;; amdgpu-corpus repo=ROCm/rocSOLVER kind=compiled arch=gfx1201 opt=O3
	.amdgcn_target "amdgcn-amd-amdhsa--gfx1201"
	.amdhsa_code_object_version 6
	.section	.text._ZN9rocsolver6v33100L18getri_kernel_smallILi1E19rocblas_complex_numIfEPS3_EEvT1_iilPiilS6_bb,"axG",@progbits,_ZN9rocsolver6v33100L18getri_kernel_smallILi1E19rocblas_complex_numIfEPS3_EEvT1_iilPiilS6_bb,comdat
	.globl	_ZN9rocsolver6v33100L18getri_kernel_smallILi1E19rocblas_complex_numIfEPS3_EEvT1_iilPiilS6_bb ; -- Begin function _ZN9rocsolver6v33100L18getri_kernel_smallILi1E19rocblas_complex_numIfEPS3_EEvT1_iilPiilS6_bb
	.p2align	8
	.type	_ZN9rocsolver6v33100L18getri_kernel_smallILi1E19rocblas_complex_numIfEPS3_EEvT1_iilPiilS6_bb,@function
_ZN9rocsolver6v33100L18getri_kernel_smallILi1E19rocblas_complex_numIfEPS3_EEvT1_iilPiilS6_bb: ; @_ZN9rocsolver6v33100L18getri_kernel_smallILi1E19rocblas_complex_numIfEPS3_EEvT1_iilPiilS6_bb
; %bb.0:
	s_mov_b32 s10, 0
	s_mov_b32 s2, exec_lo
	v_cmpx_eq_u32_e32 0, v0
	s_cbranch_execz .LBB0_13
; %bb.1:
	s_clause 0x2
	s_load_b96 s[12:14], s[0:1], 0x0
	s_load_b96 s[4:6], s[0:1], 0x30
	s_load_b64 s[0:1], s[0:1], 0x10
	s_mov_b32 s8, ttmp9
	s_wait_kmcnt 0x0
	s_ashr_i32 s3, s14, 31
	s_bitcmp1_b32 s6, 0
	s_mov_b32 s2, s14
	s_cselect_b32 s11, -1, 0
	s_ashr_i32 s9, ttmp9, 31
	s_lshl_b64 s[2:3], s[2:3], 3
	s_mul_u64 s[0:1], s[0:1], s[8:9]
	s_and_b32 vcc_lo, exec_lo, s11
	s_lshl_b64 s[0:1], s[0:1], 3
	s_delay_alu instid0(SALU_CYCLE_1) | instskip(NEXT) | instid1(SALU_CYCLE_1)
	s_add_nc_u64 s[0:1], s[12:13], s[0:1]
	s_add_nc_u64 s[2:3], s[0:1], s[2:3]
	s_mov_b32 s0, -1
	s_load_b64 s[6:7], s[2:3], 0x0
	s_cbranch_vccnz .LBB0_3
; %bb.2:
	s_lshl_b64 s[0:1], s[8:9], 2
	s_delay_alu instid0(SALU_CYCLE_1)
	s_add_nc_u64 s[0:1], s[4:5], s[0:1]
	s_load_b32 s0, s[0:1], 0x0
	s_wait_kmcnt 0x0
	s_cmp_eq_u32 s0, 0
	s_mov_b32 s0, 0
	s_cselect_b32 s10, -1, 0
.LBB0_3:
	s_and_not1_b32 vcc_lo, exec_lo, s0
	s_cbranch_vccnz .LBB0_11
; %bb.4:
	s_wait_kmcnt 0x0
	s_cmp_eq_f32 s6, 0
	v_mov_b32_e32 v0, 0
	s_cselect_b32 s0, -1, 0
	s_cmp_eq_f32 s7, 0
	ds_store_b32 v0, v0
	s_wait_dscnt 0x0
	s_barrier_signal -1
	s_cselect_b32 s1, -1, 0
	s_barrier_wait -1
	s_and_b32 s0, s0, s1
	global_inv scope:SCOPE_SE
	s_and_not1_b32 vcc_lo, exec_lo, s0
	s_cbranch_vccnz .LBB0_9
; %bb.5:
	ds_load_b32 v1, v0
	s_wait_dscnt 0x0
	v_cmp_ne_u32_e32 vcc_lo, 0, v1
	v_cmp_gt_i32_e64 s0, 2, v1
	s_and_b32 s0, vcc_lo, s0
	s_delay_alu instid0(SALU_CYCLE_1)
	s_and_b32 vcc_lo, exec_lo, s0
	s_cbranch_vccnz .LBB0_9
; %bb.6:
	v_dual_mov_b32 v2, 1 :: v_dual_mov_b32 v3, 0
	s_mov_b32 s1, 0
.LBB0_7:                                ; =>This Inner Loop Header: Depth=1
	ds_cmpstore_rtn_b32 v1, v3, v2, v1
	s_wait_dscnt 0x0
	v_cmp_ne_u32_e32 vcc_lo, 0, v1
	v_cmp_gt_i32_e64 s0, 2, v1
	s_and_b32 s0, vcc_lo, s0
	s_delay_alu instid0(SALU_CYCLE_1) | instskip(NEXT) | instid1(SALU_CYCLE_1)
	s_and_b32 s0, exec_lo, s0
	s_or_b32 s1, s0, s1
	s_delay_alu instid0(SALU_CYCLE_1)
	s_and_not1_b32 exec_lo, exec_lo, s1
	s_cbranch_execnz .LBB0_7
; %bb.8:
	s_or_b32 exec_lo, exec_lo, s1
.LBB0_9:
	s_wait_loadcnt 0x0
	s_barrier_signal -1
	s_barrier_wait -1
	global_inv scope:SCOPE_SE
	ds_load_b32 v1, v0
	s_lshl_b64 s[0:1], s[8:9], 2
	s_delay_alu instid0(SALU_CYCLE_1)
	s_add_nc_u64 s[0:1], s[4:5], s[0:1]
	s_wait_dscnt 0x0
	v_cmp_ne_u32_e32 vcc_lo, 0, v1
	global_store_b32 v0, v1, s[0:1]
	s_cbranch_vccz .LBB0_14
; %bb.10:
                                        ; implicit-def: $vgpr0
	s_and_b32 vcc_lo, exec_lo, s10
	s_cbranch_vccnz .LBB0_12
	s_branch .LBB0_13
.LBB0_11:
	s_wait_kmcnt 0x0
	v_dual_mov_b32 v0, s6 :: v_dual_mov_b32 v1, s7
	s_and_b32 vcc_lo, exec_lo, s10
	s_cbranch_vccz .LBB0_13
.LBB0_12:
	v_mov_b32_e32 v2, 0
	global_store_b64 v2, v[0:1], s[2:3]
.LBB0_13:
	s_endpgm
.LBB0_14:
	s_and_b32 s0, s6, 0x7fffffff
	s_and_b32 s1, s7, 0x7fffffff
	s_delay_alu instid0(SALU_CYCLE_1)
	s_cmp_ngt_f32 s0, s1
	s_cbranch_scc0 .LBB0_16
; %bb.15:
	v_div_scale_f32 v0, null, s7, s7, s6
	v_div_scale_f32 v3, vcc_lo, s6, s7, s6
	s_delay_alu instid0(VALU_DEP_2)
	v_rcp_f32_e32 v1, v0
	v_xor_b32_e32 v0, 0x80000000, v0
	s_delay_alu instid0(TRANS32_DEP_1) | instid1(VALU_DEP_1)
	v_fma_f32 v2, v0, v1, 1.0
	s_delay_alu instid0(VALU_DEP_1) | instskip(NEXT) | instid1(VALU_DEP_1)
	v_fmac_f32_e32 v1, v2, v1
	v_mul_f32_e32 v2, v3, v1
	s_delay_alu instid0(VALU_DEP_1) | instskip(NEXT) | instid1(VALU_DEP_1)
	v_fma_f32 v4, v0, v2, v3
	v_fmac_f32_e32 v2, v4, v1
	s_delay_alu instid0(VALU_DEP_1) | instskip(NEXT) | instid1(VALU_DEP_1)
	v_fmac_f32_e32 v3, v0, v2
	v_div_fmas_f32 v0, v3, v1, v2
	s_delay_alu instid0(VALU_DEP_1) | instskip(NEXT) | instid1(VALU_DEP_1)
	v_div_fixup_f32 v0, v0, s7, s6
	v_fma_f32 v1, s6, v0, s7
	s_delay_alu instid0(VALU_DEP_1) | instskip(SKIP_1) | instid1(VALU_DEP_2)
	v_div_scale_f32 v2, null, v1, v1, 1.0
	v_div_scale_f32 v5, vcc_lo, 1.0, v1, 1.0
	v_rcp_f32_e32 v3, v2
	v_xor_b32_e32 v2, 0x80000000, v2
	s_delay_alu instid0(TRANS32_DEP_1) | instid1(VALU_DEP_1)
	v_fma_f32 v4, v2, v3, 1.0
	s_delay_alu instid0(VALU_DEP_1) | instskip(NEXT) | instid1(VALU_DEP_1)
	v_fmac_f32_e32 v3, v4, v3
	v_mul_f32_e32 v4, v5, v3
	s_delay_alu instid0(VALU_DEP_1) | instskip(NEXT) | instid1(VALU_DEP_1)
	v_fma_f32 v6, v2, v4, v5
	v_fmac_f32_e32 v4, v6, v3
	s_delay_alu instid0(VALU_DEP_1) | instskip(SKIP_1) | instid1(VALU_DEP_1)
	v_fmac_f32_e32 v5, v2, v4
	s_wait_alu 0xfffd
	v_div_fmas_f32 v2, v5, v3, v4
	s_delay_alu instid0(VALU_DEP_1) | instskip(NEXT) | instid1(VALU_DEP_1)
	v_div_fixup_f32 v1, v2, v1, 1.0
	v_mul_f32_e32 v0, v0, v1
	v_xor_b32_e32 v1, 0x80000000, v1
	s_cbranch_execz .LBB0_17
	s_branch .LBB0_18
.LBB0_16:
                                        ; implicit-def: $vgpr0
.LBB0_17:
	v_div_scale_f32 v0, null, s6, s6, s7
	v_div_scale_f32 v3, vcc_lo, s7, s6, s7
	s_delay_alu instid0(VALU_DEP_2)
	v_rcp_f32_e32 v1, v0
	v_xor_b32_e32 v0, 0x80000000, v0
	s_delay_alu instid0(TRANS32_DEP_1) | instid1(VALU_DEP_1)
	v_fma_f32 v2, v0, v1, 1.0
	s_delay_alu instid0(VALU_DEP_1) | instskip(NEXT) | instid1(VALU_DEP_1)
	v_fmac_f32_e32 v1, v2, v1
	v_mul_f32_e32 v2, v3, v1
	s_delay_alu instid0(VALU_DEP_1) | instskip(NEXT) | instid1(VALU_DEP_1)
	v_fma_f32 v4, v0, v2, v3
	v_fmac_f32_e32 v2, v4, v1
	s_delay_alu instid0(VALU_DEP_1) | instskip(SKIP_1) | instid1(VALU_DEP_1)
	v_fmac_f32_e32 v3, v0, v2
	s_wait_alu 0xfffd
	v_div_fmas_f32 v0, v3, v1, v2
	s_delay_alu instid0(VALU_DEP_1) | instskip(NEXT) | instid1(VALU_DEP_1)
	v_div_fixup_f32 v1, v0, s6, s7
	v_fma_f32 v0, s7, v1, s6
	s_delay_alu instid0(VALU_DEP_1) | instskip(NEXT) | instid1(VALU_DEP_1)
	v_div_scale_f32 v2, null, v0, v0, 1.0
	v_rcp_f32_e32 v3, v2
	v_xor_b32_e32 v2, 0x80000000, v2
	s_delay_alu instid0(TRANS32_DEP_1) | instid1(VALU_DEP_1)
	v_fma_f32 v4, v2, v3, 1.0
	s_delay_alu instid0(VALU_DEP_1) | instskip(SKIP_1) | instid1(VALU_DEP_1)
	v_fmac_f32_e32 v3, v4, v3
	v_div_scale_f32 v4, vcc_lo, 1.0, v0, 1.0
	v_mul_f32_e32 v5, v4, v3
	s_delay_alu instid0(VALU_DEP_1) | instskip(NEXT) | instid1(VALU_DEP_1)
	v_fma_f32 v6, v2, v5, v4
	v_fmac_f32_e32 v5, v6, v3
	s_delay_alu instid0(VALU_DEP_1) | instskip(SKIP_1) | instid1(VALU_DEP_1)
	v_fmac_f32_e32 v4, v2, v5
	s_wait_alu 0xfffd
	v_div_fmas_f32 v2, v4, v3, v5
	s_delay_alu instid0(VALU_DEP_1) | instskip(NEXT) | instid1(VALU_DEP_1)
	v_div_fixup_f32 v0, v2, v0, 1.0
	v_xor_b32_e32 v2, 0x80000000, v0
	s_delay_alu instid0(VALU_DEP_1)
	v_mul_f32_e32 v1, v1, v2
.LBB0_18:
	s_cbranch_execnz .LBB0_12
	s_branch .LBB0_13
	.section	.rodata,"a",@progbits
	.p2align	6, 0x0
	.amdhsa_kernel _ZN9rocsolver6v33100L18getri_kernel_smallILi1E19rocblas_complex_numIfEPS3_EEvT1_iilPiilS6_bb
		.amdhsa_group_segment_fixed_size 4
		.amdhsa_private_segment_fixed_size 0
		.amdhsa_kernarg_size 60
		.amdhsa_user_sgpr_count 2
		.amdhsa_user_sgpr_dispatch_ptr 0
		.amdhsa_user_sgpr_queue_ptr 0
		.amdhsa_user_sgpr_kernarg_segment_ptr 1
		.amdhsa_user_sgpr_dispatch_id 0
		.amdhsa_user_sgpr_private_segment_size 0
		.amdhsa_wavefront_size32 1
		.amdhsa_uses_dynamic_stack 0
		.amdhsa_enable_private_segment 0
		.amdhsa_system_sgpr_workgroup_id_x 1
		.amdhsa_system_sgpr_workgroup_id_y 0
		.amdhsa_system_sgpr_workgroup_id_z 0
		.amdhsa_system_sgpr_workgroup_info 0
		.amdhsa_system_vgpr_workitem_id 0
		.amdhsa_next_free_vgpr 7
		.amdhsa_next_free_sgpr 15
		.amdhsa_reserve_vcc 1
		.amdhsa_float_round_mode_32 0
		.amdhsa_float_round_mode_16_64 0
		.amdhsa_float_denorm_mode_32 3
		.amdhsa_float_denorm_mode_16_64 3
		.amdhsa_fp16_overflow 0
		.amdhsa_workgroup_processor_mode 1
		.amdhsa_memory_ordered 1
		.amdhsa_forward_progress 1
		.amdhsa_inst_pref_size 8
		.amdhsa_round_robin_scheduling 0
		.amdhsa_exception_fp_ieee_invalid_op 0
		.amdhsa_exception_fp_denorm_src 0
		.amdhsa_exception_fp_ieee_div_zero 0
		.amdhsa_exception_fp_ieee_overflow 0
		.amdhsa_exception_fp_ieee_underflow 0
		.amdhsa_exception_fp_ieee_inexact 0
		.amdhsa_exception_int_div_zero 0
	.end_amdhsa_kernel
	.section	.text._ZN9rocsolver6v33100L18getri_kernel_smallILi1E19rocblas_complex_numIfEPS3_EEvT1_iilPiilS6_bb,"axG",@progbits,_ZN9rocsolver6v33100L18getri_kernel_smallILi1E19rocblas_complex_numIfEPS3_EEvT1_iilPiilS6_bb,comdat
.Lfunc_end0:
	.size	_ZN9rocsolver6v33100L18getri_kernel_smallILi1E19rocblas_complex_numIfEPS3_EEvT1_iilPiilS6_bb, .Lfunc_end0-_ZN9rocsolver6v33100L18getri_kernel_smallILi1E19rocblas_complex_numIfEPS3_EEvT1_iilPiilS6_bb
                                        ; -- End function
	.set _ZN9rocsolver6v33100L18getri_kernel_smallILi1E19rocblas_complex_numIfEPS3_EEvT1_iilPiilS6_bb.num_vgpr, 7
	.set _ZN9rocsolver6v33100L18getri_kernel_smallILi1E19rocblas_complex_numIfEPS3_EEvT1_iilPiilS6_bb.num_agpr, 0
	.set _ZN9rocsolver6v33100L18getri_kernel_smallILi1E19rocblas_complex_numIfEPS3_EEvT1_iilPiilS6_bb.numbered_sgpr, 15
	.set _ZN9rocsolver6v33100L18getri_kernel_smallILi1E19rocblas_complex_numIfEPS3_EEvT1_iilPiilS6_bb.num_named_barrier, 0
	.set _ZN9rocsolver6v33100L18getri_kernel_smallILi1E19rocblas_complex_numIfEPS3_EEvT1_iilPiilS6_bb.private_seg_size, 0
	.set _ZN9rocsolver6v33100L18getri_kernel_smallILi1E19rocblas_complex_numIfEPS3_EEvT1_iilPiilS6_bb.uses_vcc, 1
	.set _ZN9rocsolver6v33100L18getri_kernel_smallILi1E19rocblas_complex_numIfEPS3_EEvT1_iilPiilS6_bb.uses_flat_scratch, 0
	.set _ZN9rocsolver6v33100L18getri_kernel_smallILi1E19rocblas_complex_numIfEPS3_EEvT1_iilPiilS6_bb.has_dyn_sized_stack, 0
	.set _ZN9rocsolver6v33100L18getri_kernel_smallILi1E19rocblas_complex_numIfEPS3_EEvT1_iilPiilS6_bb.has_recursion, 0
	.set _ZN9rocsolver6v33100L18getri_kernel_smallILi1E19rocblas_complex_numIfEPS3_EEvT1_iilPiilS6_bb.has_indirect_call, 0
	.section	.AMDGPU.csdata,"",@progbits
; Kernel info:
; codeLenInByte = 956
; TotalNumSgprs: 17
; NumVgprs: 7
; ScratchSize: 0
; MemoryBound: 0
; FloatMode: 240
; IeeeMode: 1
; LDSByteSize: 4 bytes/workgroup (compile time only)
; SGPRBlocks: 0
; VGPRBlocks: 0
; NumSGPRsForWavesPerEU: 17
; NumVGPRsForWavesPerEU: 7
; Occupancy: 16
; WaveLimiterHint : 0
; COMPUTE_PGM_RSRC2:SCRATCH_EN: 0
; COMPUTE_PGM_RSRC2:USER_SGPR: 2
; COMPUTE_PGM_RSRC2:TRAP_HANDLER: 0
; COMPUTE_PGM_RSRC2:TGID_X_EN: 1
; COMPUTE_PGM_RSRC2:TGID_Y_EN: 0
; COMPUTE_PGM_RSRC2:TGID_Z_EN: 0
; COMPUTE_PGM_RSRC2:TIDIG_COMP_CNT: 0
	.section	.text._ZN9rocsolver6v33100L18getri_kernel_smallILi2E19rocblas_complex_numIfEPS3_EEvT1_iilPiilS6_bb,"axG",@progbits,_ZN9rocsolver6v33100L18getri_kernel_smallILi2E19rocblas_complex_numIfEPS3_EEvT1_iilPiilS6_bb,comdat
	.globl	_ZN9rocsolver6v33100L18getri_kernel_smallILi2E19rocblas_complex_numIfEPS3_EEvT1_iilPiilS6_bb ; -- Begin function _ZN9rocsolver6v33100L18getri_kernel_smallILi2E19rocblas_complex_numIfEPS3_EEvT1_iilPiilS6_bb
	.p2align	8
	.type	_ZN9rocsolver6v33100L18getri_kernel_smallILi2E19rocblas_complex_numIfEPS3_EEvT1_iilPiilS6_bb,@function
_ZN9rocsolver6v33100L18getri_kernel_smallILi2E19rocblas_complex_numIfEPS3_EEvT1_iilPiilS6_bb: ; @_ZN9rocsolver6v33100L18getri_kernel_smallILi2E19rocblas_complex_numIfEPS3_EEvT1_iilPiilS6_bb
; %bb.0:
	s_mov_b32 s2, exec_lo
	v_cmpx_gt_u32_e32 2, v0
	s_cbranch_execz .LBB1_22
; %bb.1:
	s_clause 0x2
	s_load_b32 s2, s[0:1], 0x38
	s_load_b128 s[8:11], s[0:1], 0x10
	s_load_b128 s[4:7], s[0:1], 0x28
	s_mov_b32 s12, ttmp9
	s_wait_kmcnt 0x0
	s_bitcmp1_b32 s2, 8
	s_cselect_b32 s14, -1, 0
	s_bfe_u32 s2, s2, 0x10008
	s_ashr_i32 s13, ttmp9, 31
	s_cmp_eq_u32 s2, 0
                                        ; implicit-def: $sgpr2_sgpr3
	s_cbranch_scc1 .LBB1_3
; %bb.2:
	s_load_b32 s2, s[0:1], 0x20
	s_mul_u64 s[4:5], s[4:5], s[12:13]
	s_delay_alu instid0(SALU_CYCLE_1) | instskip(NEXT) | instid1(SALU_CYCLE_1)
	s_lshl_b64 s[4:5], s[4:5], 2
	s_add_nc_u64 s[4:5], s[10:11], s[4:5]
	s_wait_kmcnt 0x0
	s_ashr_i32 s3, s2, 31
	s_delay_alu instid0(SALU_CYCLE_1) | instskip(NEXT) | instid1(SALU_CYCLE_1)
	s_lshl_b64 s[2:3], s[2:3], 2
	s_add_nc_u64 s[2:3], s[4:5], s[2:3]
.LBB1_3:
	s_clause 0x1
	s_load_b128 s[16:19], s[0:1], 0x0
	s_load_b32 s10, s[0:1], 0x38
	s_mul_u64 s[0:1], s[8:9], s[12:13]
	v_lshlrev_b32_e32 v11, 3, v0
	s_lshl_b64 s[0:1], s[0:1], 3
	s_wait_kmcnt 0x0
	s_ashr_i32 s5, s18, 31
	s_mov_b32 s4, s18
	s_add_nc_u64 s[0:1], s[16:17], s[0:1]
	s_lshl_b64 s[4:5], s[4:5], 3
	s_ashr_i32 s9, s19, 31
	s_add_nc_u64 s[0:1], s[0:1], s[4:5]
	s_mov_b32 s8, s19
	v_add_co_u32 v1, s4, s0, v11
	s_delay_alu instid0(VALU_DEP_1) | instskip(SKIP_4) | instid1(VALU_DEP_1)
	v_add_co_ci_u32_e64 v2, null, s1, 0, s4
	s_lshl_b64 s[4:5], s[8:9], 3
	s_bitcmp0_b32 s10, 0
	s_wait_alu 0xfffe
	v_add_co_u32 v3, vcc_lo, v1, s4
	v_add_co_ci_u32_e64 v4, null, s5, v2, vcc_lo
	s_clause 0x1
	global_load_b64 v[5:6], v11, s[0:1]
	global_load_b64 v[7:8], v[3:4], off
	s_mov_b32 s1, -1
	s_wait_loadcnt 0x0
	scratch_store_b128 off, v[5:8], off
	s_cbranch_scc1 .LBB1_20
; %bb.4:
	v_cmp_eq_u32_e64 s0, 0, v0
	s_and_saveexec_b32 s1, s0
; %bb.5:
	v_mov_b32_e32 v5, 0
	ds_store_b32 v5, v5 offset:32
; %bb.6:
	s_wait_alu 0xfffe
	s_or_b32 exec_lo, exec_lo, s1
	s_wait_storecnt_dscnt 0x0
	s_barrier_signal -1
	s_barrier_wait -1
	global_inv scope:SCOPE_SE
	scratch_load_b64 v[5:6], v11, off
	s_wait_loadcnt 0x0
	v_cmp_eq_f32_e32 vcc_lo, 0, v5
	v_cmp_eq_f32_e64 s1, 0, v6
	s_and_b32 s1, vcc_lo, s1
	s_wait_alu 0xfffe
	s_and_saveexec_b32 s4, s1
	s_cbranch_execz .LBB1_10
; %bb.7:
	v_mov_b32_e32 v5, 0
	s_mov_b32 s5, 0
	ds_load_b32 v6, v5 offset:32
	s_wait_dscnt 0x0
	v_readfirstlane_b32 s1, v6
	v_add_nc_u32_e32 v6, 1, v0
	s_cmp_eq_u32 s1, 0
	s_delay_alu instid0(VALU_DEP_1) | instskip(SKIP_1) | instid1(SALU_CYCLE_1)
	v_cmp_gt_i32_e32 vcc_lo, s1, v6
	s_cselect_b32 s8, -1, 0
	s_or_b32 s8, s8, vcc_lo
	s_delay_alu instid0(SALU_CYCLE_1)
	s_and_b32 exec_lo, exec_lo, s8
	s_cbranch_execz .LBB1_10
; %bb.8:
	v_mov_b32_e32 v7, s1
.LBB1_9:                                ; =>This Inner Loop Header: Depth=1
	ds_cmpstore_rtn_b32 v7, v5, v6, v7 offset:32
	s_wait_dscnt 0x0
	v_cmp_ne_u32_e32 vcc_lo, 0, v7
	v_cmp_le_i32_e64 s1, v7, v6
	s_and_b32 s1, vcc_lo, s1
	s_wait_alu 0xfffe
	s_and_b32 s1, exec_lo, s1
	s_wait_alu 0xfffe
	s_or_b32 s5, s1, s5
	s_wait_alu 0xfffe
	s_and_not1_b32 exec_lo, exec_lo, s5
	s_cbranch_execnz .LBB1_9
.LBB1_10:
	s_wait_alu 0xfffe
	s_or_b32 exec_lo, exec_lo, s4
	v_mov_b32_e32 v5, 0
	s_barrier_signal -1
	s_barrier_wait -1
	global_inv scope:SCOPE_SE
	ds_load_b32 v6, v5 offset:32
	s_and_saveexec_b32 s1, s0
	s_cbranch_execz .LBB1_12
; %bb.11:
	s_lshl_b64 s[4:5], s[12:13], 2
	s_wait_alu 0xfffe
	s_add_nc_u64 s[4:5], s[6:7], s[4:5]
	s_wait_dscnt 0x0
	global_store_b32 v5, v6, s[4:5]
.LBB1_12:
	s_wait_alu 0xfffe
	s_or_b32 exec_lo, exec_lo, s1
	s_wait_dscnt 0x0
	v_cmp_ne_u32_e32 vcc_lo, 0, v6
	s_mov_b32 s1, 0
	s_cbranch_vccnz .LBB1_20
; %bb.13:
	v_mov_b32_e32 v10, v11
                                        ; implicit-def: $vgpr7
                                        ; implicit-def: $vgpr9
	scratch_load_b64 v[5:6], v10, off
	s_wait_loadcnt 0x0
	v_cmp_ngt_f32_e64 s1, |v5|, |v6|
	s_wait_alu 0xfffe
	s_and_saveexec_b32 s4, s1
	s_wait_alu 0xfffe
	s_xor_b32 s1, exec_lo, s4
	s_cbranch_execz .LBB1_15
; %bb.14:
	v_div_scale_f32 v7, null, v6, v6, v5
	v_div_scale_f32 v12, vcc_lo, v5, v6, v5
	s_delay_alu instid0(VALU_DEP_2) | instskip(NEXT) | instid1(TRANS32_DEP_1)
	v_rcp_f32_e32 v8, v7
	v_fma_f32 v9, -v7, v8, 1.0
	s_delay_alu instid0(VALU_DEP_1) | instskip(NEXT) | instid1(VALU_DEP_1)
	v_fmac_f32_e32 v8, v9, v8
	v_mul_f32_e32 v9, v12, v8
	s_delay_alu instid0(VALU_DEP_1) | instskip(NEXT) | instid1(VALU_DEP_1)
	v_fma_f32 v13, -v7, v9, v12
	v_fmac_f32_e32 v9, v13, v8
	s_delay_alu instid0(VALU_DEP_1) | instskip(SKIP_1) | instid1(VALU_DEP_1)
	v_fma_f32 v7, -v7, v9, v12
	s_wait_alu 0xfffd
	v_div_fmas_f32 v7, v7, v8, v9
	s_delay_alu instid0(VALU_DEP_1) | instskip(NEXT) | instid1(VALU_DEP_1)
	v_div_fixup_f32 v7, v7, v6, v5
	v_fmac_f32_e32 v6, v5, v7
	s_delay_alu instid0(VALU_DEP_1) | instskip(NEXT) | instid1(VALU_DEP_1)
	v_div_scale_f32 v5, null, v6, v6, 1.0
	v_rcp_f32_e32 v8, v5
	s_delay_alu instid0(TRANS32_DEP_1) | instskip(NEXT) | instid1(VALU_DEP_1)
	v_fma_f32 v9, -v5, v8, 1.0
	v_fmac_f32_e32 v8, v9, v8
	v_div_scale_f32 v9, vcc_lo, 1.0, v6, 1.0
	s_delay_alu instid0(VALU_DEP_1) | instskip(NEXT) | instid1(VALU_DEP_1)
	v_mul_f32_e32 v12, v9, v8
	v_fma_f32 v13, -v5, v12, v9
	s_delay_alu instid0(VALU_DEP_1) | instskip(NEXT) | instid1(VALU_DEP_1)
	v_fmac_f32_e32 v12, v13, v8
	v_fma_f32 v5, -v5, v12, v9
	s_wait_alu 0xfffd
	s_delay_alu instid0(VALU_DEP_1) | instskip(NEXT) | instid1(VALU_DEP_1)
	v_div_fmas_f32 v5, v5, v8, v12
	v_div_fixup_f32 v5, v5, v6, 1.0
	s_delay_alu instid0(VALU_DEP_1) | instskip(SKIP_1) | instid1(VALU_DEP_2)
	v_mul_f32_e32 v7, v7, v5
	v_xor_b32_e32 v8, 0x80000000, v5
                                        ; implicit-def: $vgpr5_vgpr6
	v_xor_b32_e32 v9, 0x80000000, v7
.LBB1_15:
	s_wait_alu 0xfffe
	s_and_not1_saveexec_b32 s1, s1
	s_cbranch_execz .LBB1_17
; %bb.16:
	v_div_scale_f32 v7, null, v5, v5, v6
	v_div_scale_f32 v12, vcc_lo, v6, v5, v6
	s_delay_alu instid0(VALU_DEP_2) | instskip(NEXT) | instid1(TRANS32_DEP_1)
	v_rcp_f32_e32 v8, v7
	v_fma_f32 v9, -v7, v8, 1.0
	s_delay_alu instid0(VALU_DEP_1) | instskip(NEXT) | instid1(VALU_DEP_1)
	v_fmac_f32_e32 v8, v9, v8
	v_mul_f32_e32 v9, v12, v8
	s_delay_alu instid0(VALU_DEP_1) | instskip(NEXT) | instid1(VALU_DEP_1)
	v_fma_f32 v13, -v7, v9, v12
	v_fmac_f32_e32 v9, v13, v8
	s_delay_alu instid0(VALU_DEP_1) | instskip(SKIP_1) | instid1(VALU_DEP_1)
	v_fma_f32 v7, -v7, v9, v12
	s_wait_alu 0xfffd
	v_div_fmas_f32 v7, v7, v8, v9
	s_delay_alu instid0(VALU_DEP_1) | instskip(NEXT) | instid1(VALU_DEP_1)
	v_div_fixup_f32 v8, v7, v5, v6
	v_fmac_f32_e32 v5, v6, v8
	s_delay_alu instid0(VALU_DEP_1) | instskip(SKIP_1) | instid1(VALU_DEP_2)
	v_div_scale_f32 v6, null, v5, v5, 1.0
	v_div_scale_f32 v12, vcc_lo, 1.0, v5, 1.0
	v_rcp_f32_e32 v7, v6
	s_delay_alu instid0(TRANS32_DEP_1) | instskip(NEXT) | instid1(VALU_DEP_1)
	v_fma_f32 v9, -v6, v7, 1.0
	v_fmac_f32_e32 v7, v9, v7
	s_delay_alu instid0(VALU_DEP_1) | instskip(NEXT) | instid1(VALU_DEP_1)
	v_mul_f32_e32 v9, v12, v7
	v_fma_f32 v13, -v6, v9, v12
	s_delay_alu instid0(VALU_DEP_1) | instskip(NEXT) | instid1(VALU_DEP_1)
	v_fmac_f32_e32 v9, v13, v7
	v_fma_f32 v6, -v6, v9, v12
	s_wait_alu 0xfffd
	s_delay_alu instid0(VALU_DEP_1) | instskip(NEXT) | instid1(VALU_DEP_1)
	v_div_fmas_f32 v6, v6, v7, v9
	v_div_fixup_f32 v7, v6, v5, 1.0
	s_delay_alu instid0(VALU_DEP_1)
	v_xor_b32_e32 v9, 0x80000000, v7
	v_mul_f32_e64 v8, v8, -v7
.LBB1_17:
	s_wait_alu 0xfffe
	s_or_b32 exec_lo, exec_lo, s1
	scratch_store_b64 v10, v[7:8], off
	scratch_load_b64 v[5:6], off, off offset:8
	v_xor_b32_e32 v10, 0x80000000, v8
	s_wait_loadcnt 0x0
	ds_store_2addr_b64 v11, v[9:10], v[5:6] offset1:2
	s_wait_storecnt_dscnt 0x0
	s_barrier_signal -1
	s_barrier_wait -1
	global_inv scope:SCOPE_SE
	s_and_saveexec_b32 s1, s0
	s_cbranch_execz .LBB1_19
; %bb.18:
	scratch_load_b64 v[9:10], off, off
	v_mov_b32_e32 v5, 0
	ds_load_2addr_b64 v[5:8], v5 offset0:1 offset1:2
	s_wait_loadcnt_dscnt 0x0
	v_mul_f32_e32 v11, v7, v10
	v_mul_f32_e32 v10, v8, v10
	s_delay_alu instid0(VALU_DEP_2) | instskip(NEXT) | instid1(VALU_DEP_2)
	v_fmac_f32_e32 v11, v8, v9
	v_fma_f32 v7, v7, v9, -v10
	s_delay_alu instid0(VALU_DEP_1) | instskip(NEXT) | instid1(VALU_DEP_1)
	v_add_f32_e32 v9, 0, v7
	v_dual_add_f32 v8, 0, v11 :: v_dual_mul_f32 v7, v9, v6
	s_delay_alu instid0(VALU_DEP_1) | instskip(NEXT) | instid1(VALU_DEP_2)
	v_mul_f32_e32 v10, v8, v6
	v_fmac_f32_e32 v7, v8, v5
	s_delay_alu instid0(VALU_DEP_2)
	v_fma_f32 v6, v9, v5, -v10
	scratch_store_b64 off, v[6:7], off offset:8
.LBB1_19:
	s_wait_alu 0xfffe
	s_or_b32 exec_lo, exec_lo, s1
	s_mov_b32 s1, -1
	s_wait_loadcnt 0x0
	s_wait_storecnt 0x0
	s_barrier_signal -1
	s_barrier_wait -1
	global_inv scope:SCOPE_SE
.LBB1_20:
	s_wait_alu 0xfffe
	s_and_b32 vcc_lo, exec_lo, s1
	s_wait_alu 0xfffe
	s_cbranch_vccz .LBB1_22
; %bb.21:
	v_mov_b32_e32 v5, 0
	s_lshl_b64 s[0:1], s[12:13], 2
	s_wait_alu 0xfffe
	s_add_nc_u64 s[0:1], s[6:7], s[0:1]
	global_load_b32 v5, v5, s[0:1]
	s_wait_loadcnt 0x0
	v_cmp_ne_u32_e32 vcc_lo, 0, v5
	s_cbranch_vccz .LBB1_23
.LBB1_22:
	s_endpgm
.LBB1_23:
	s_mov_b32 s0, exec_lo
	v_cmpx_eq_u32_e32 1, v0
	s_cbranch_execz .LBB1_25
; %bb.24:
	scratch_load_b64 v[5:6], off, off
	v_mov_b32_e32 v7, 0
	s_delay_alu instid0(VALU_DEP_1)
	v_mov_b32_e32 v8, v7
	scratch_store_b64 off, v[7:8], off
	s_wait_loadcnt 0x0
	ds_store_b64 v7, v[5:6] offset:24
.LBB1_25:
	s_wait_alu 0xfffe
	s_or_b32 exec_lo, exec_lo, s0
	s_wait_storecnt_dscnt 0x0
	s_barrier_signal -1
	s_barrier_wait -1
	global_inv scope:SCOPE_SE
	s_clause 0x1
	scratch_load_b64 v[5:6], off, off offset:8
	scratch_load_b64 v[7:8], off, off
	v_mov_b32_e32 v0, 0
	s_and_b32 vcc_lo, exec_lo, s14
	ds_load_b64 v[9:10], v0 offset:24
	s_wait_loadcnt_dscnt 0x100
	v_mul_f32_e32 v11, v10, v6
	v_mul_f32_e32 v12, v9, v6
	s_delay_alu instid0(VALU_DEP_2) | instskip(NEXT) | instid1(VALU_DEP_1)
	v_fma_f32 v9, v9, v5, -v11
	v_add_f32_e32 v9, 0, v9
	s_delay_alu instid0(VALU_DEP_3) | instskip(SKIP_1) | instid1(VALU_DEP_1)
	v_fmac_f32_e32 v12, v10, v5
	s_wait_loadcnt 0x0
	v_dual_sub_f32 v7, v7, v9 :: v_dual_add_f32 v10, 0, v12
	s_delay_alu instid0(VALU_DEP_1)
	v_sub_f32_e32 v8, v8, v10
	scratch_store_b64 off, v[7:8], off
	s_wait_alu 0xfffe
	s_cbranch_vccz .LBB1_28
; %bb.26:
	global_load_b32 v0, v0, s[2:3]
	s_wait_loadcnt 0x0
	v_cmp_ne_u32_e32 vcc_lo, 1, v0
	s_cbranch_vccz .LBB1_28
; %bb.27:
	v_lshlrev_b32_e32 v0, 3, v0
	scratch_load_b64 v[5:6], v0, off offset:-8
	scratch_load_b64 v[7:8], off, off
	s_wait_loadcnt 0x1
	scratch_store_b64 off, v[5:6], off
	s_wait_loadcnt 0x0
	scratch_store_b64 v0, v[7:8], off offset:-8
	scratch_load_b64 v[5:6], off, off offset:8
.LBB1_28:
	scratch_load_b64 v[7:8], off, off
	s_wait_loadcnt 0x0
	s_clause 0x1
	global_store_b64 v[1:2], v[7:8], off
	global_store_b64 v[3:4], v[5:6], off
	s_endpgm
	.section	.rodata,"a",@progbits
	.p2align	6, 0x0
	.amdhsa_kernel _ZN9rocsolver6v33100L18getri_kernel_smallILi2E19rocblas_complex_numIfEPS3_EEvT1_iilPiilS6_bb
		.amdhsa_group_segment_fixed_size 36
		.amdhsa_private_segment_fixed_size 32
		.amdhsa_kernarg_size 60
		.amdhsa_user_sgpr_count 2
		.amdhsa_user_sgpr_dispatch_ptr 0
		.amdhsa_user_sgpr_queue_ptr 0
		.amdhsa_user_sgpr_kernarg_segment_ptr 1
		.amdhsa_user_sgpr_dispatch_id 0
		.amdhsa_user_sgpr_private_segment_size 0
		.amdhsa_wavefront_size32 1
		.amdhsa_uses_dynamic_stack 0
		.amdhsa_enable_private_segment 1
		.amdhsa_system_sgpr_workgroup_id_x 1
		.amdhsa_system_sgpr_workgroup_id_y 0
		.amdhsa_system_sgpr_workgroup_id_z 0
		.amdhsa_system_sgpr_workgroup_info 0
		.amdhsa_system_vgpr_workitem_id 0
		.amdhsa_next_free_vgpr 14
		.amdhsa_next_free_sgpr 20
		.amdhsa_reserve_vcc 1
		.amdhsa_float_round_mode_32 0
		.amdhsa_float_round_mode_16_64 0
		.amdhsa_float_denorm_mode_32 3
		.amdhsa_float_denorm_mode_16_64 3
		.amdhsa_fp16_overflow 0
		.amdhsa_workgroup_processor_mode 1
		.amdhsa_memory_ordered 1
		.amdhsa_forward_progress 1
		.amdhsa_inst_pref_size 14
		.amdhsa_round_robin_scheduling 0
		.amdhsa_exception_fp_ieee_invalid_op 0
		.amdhsa_exception_fp_denorm_src 0
		.amdhsa_exception_fp_ieee_div_zero 0
		.amdhsa_exception_fp_ieee_overflow 0
		.amdhsa_exception_fp_ieee_underflow 0
		.amdhsa_exception_fp_ieee_inexact 0
		.amdhsa_exception_int_div_zero 0
	.end_amdhsa_kernel
	.section	.text._ZN9rocsolver6v33100L18getri_kernel_smallILi2E19rocblas_complex_numIfEPS3_EEvT1_iilPiilS6_bb,"axG",@progbits,_ZN9rocsolver6v33100L18getri_kernel_smallILi2E19rocblas_complex_numIfEPS3_EEvT1_iilPiilS6_bb,comdat
.Lfunc_end1:
	.size	_ZN9rocsolver6v33100L18getri_kernel_smallILi2E19rocblas_complex_numIfEPS3_EEvT1_iilPiilS6_bb, .Lfunc_end1-_ZN9rocsolver6v33100L18getri_kernel_smallILi2E19rocblas_complex_numIfEPS3_EEvT1_iilPiilS6_bb
                                        ; -- End function
	.set _ZN9rocsolver6v33100L18getri_kernel_smallILi2E19rocblas_complex_numIfEPS3_EEvT1_iilPiilS6_bb.num_vgpr, 14
	.set _ZN9rocsolver6v33100L18getri_kernel_smallILi2E19rocblas_complex_numIfEPS3_EEvT1_iilPiilS6_bb.num_agpr, 0
	.set _ZN9rocsolver6v33100L18getri_kernel_smallILi2E19rocblas_complex_numIfEPS3_EEvT1_iilPiilS6_bb.numbered_sgpr, 20
	.set _ZN9rocsolver6v33100L18getri_kernel_smallILi2E19rocblas_complex_numIfEPS3_EEvT1_iilPiilS6_bb.num_named_barrier, 0
	.set _ZN9rocsolver6v33100L18getri_kernel_smallILi2E19rocblas_complex_numIfEPS3_EEvT1_iilPiilS6_bb.private_seg_size, 32
	.set _ZN9rocsolver6v33100L18getri_kernel_smallILi2E19rocblas_complex_numIfEPS3_EEvT1_iilPiilS6_bb.uses_vcc, 1
	.set _ZN9rocsolver6v33100L18getri_kernel_smallILi2E19rocblas_complex_numIfEPS3_EEvT1_iilPiilS6_bb.uses_flat_scratch, 1
	.set _ZN9rocsolver6v33100L18getri_kernel_smallILi2E19rocblas_complex_numIfEPS3_EEvT1_iilPiilS6_bb.has_dyn_sized_stack, 0
	.set _ZN9rocsolver6v33100L18getri_kernel_smallILi2E19rocblas_complex_numIfEPS3_EEvT1_iilPiilS6_bb.has_recursion, 0
	.set _ZN9rocsolver6v33100L18getri_kernel_smallILi2E19rocblas_complex_numIfEPS3_EEvT1_iilPiilS6_bb.has_indirect_call, 0
	.section	.AMDGPU.csdata,"",@progbits
; Kernel info:
; codeLenInByte = 1744
; TotalNumSgprs: 22
; NumVgprs: 14
; ScratchSize: 32
; MemoryBound: 0
; FloatMode: 240
; IeeeMode: 1
; LDSByteSize: 36 bytes/workgroup (compile time only)
; SGPRBlocks: 0
; VGPRBlocks: 1
; NumSGPRsForWavesPerEU: 22
; NumVGPRsForWavesPerEU: 14
; Occupancy: 16
; WaveLimiterHint : 0
; COMPUTE_PGM_RSRC2:SCRATCH_EN: 1
; COMPUTE_PGM_RSRC2:USER_SGPR: 2
; COMPUTE_PGM_RSRC2:TRAP_HANDLER: 0
; COMPUTE_PGM_RSRC2:TGID_X_EN: 1
; COMPUTE_PGM_RSRC2:TGID_Y_EN: 0
; COMPUTE_PGM_RSRC2:TGID_Z_EN: 0
; COMPUTE_PGM_RSRC2:TIDIG_COMP_CNT: 0
	.section	.text._ZN9rocsolver6v33100L18getri_kernel_smallILi3E19rocblas_complex_numIfEPS3_EEvT1_iilPiilS6_bb,"axG",@progbits,_ZN9rocsolver6v33100L18getri_kernel_smallILi3E19rocblas_complex_numIfEPS3_EEvT1_iilPiilS6_bb,comdat
	.globl	_ZN9rocsolver6v33100L18getri_kernel_smallILi3E19rocblas_complex_numIfEPS3_EEvT1_iilPiilS6_bb ; -- Begin function _ZN9rocsolver6v33100L18getri_kernel_smallILi3E19rocblas_complex_numIfEPS3_EEvT1_iilPiilS6_bb
	.p2align	8
	.type	_ZN9rocsolver6v33100L18getri_kernel_smallILi3E19rocblas_complex_numIfEPS3_EEvT1_iilPiilS6_bb,@function
_ZN9rocsolver6v33100L18getri_kernel_smallILi3E19rocblas_complex_numIfEPS3_EEvT1_iilPiilS6_bb: ; @_ZN9rocsolver6v33100L18getri_kernel_smallILi3E19rocblas_complex_numIfEPS3_EEvT1_iilPiilS6_bb
; %bb.0:
	s_mov_b32 s2, exec_lo
	v_cmpx_gt_u32_e32 3, v0
	s_cbranch_execz .LBB2_26
; %bb.1:
	s_clause 0x2
	s_load_b32 s2, s[0:1], 0x38
	s_load_b128 s[8:11], s[0:1], 0x10
	s_load_b128 s[4:7], s[0:1], 0x28
	s_mov_b32 s12, ttmp9
	s_wait_kmcnt 0x0
	s_bitcmp1_b32 s2, 8
	s_cselect_b32 s14, -1, 0
	s_bfe_u32 s2, s2, 0x10008
	s_ashr_i32 s13, ttmp9, 31
	s_cmp_eq_u32 s2, 0
                                        ; implicit-def: $sgpr2_sgpr3
	s_cbranch_scc1 .LBB2_3
; %bb.2:
	s_load_b32 s2, s[0:1], 0x20
	s_mul_u64 s[4:5], s[4:5], s[12:13]
	s_delay_alu instid0(SALU_CYCLE_1) | instskip(NEXT) | instid1(SALU_CYCLE_1)
	s_lshl_b64 s[4:5], s[4:5], 2
	s_add_nc_u64 s[4:5], s[10:11], s[4:5]
	s_wait_kmcnt 0x0
	s_ashr_i32 s3, s2, 31
	s_delay_alu instid0(SALU_CYCLE_1) | instskip(NEXT) | instid1(SALU_CYCLE_1)
	s_lshl_b64 s[2:3], s[2:3], 2
	s_add_nc_u64 s[2:3], s[4:5], s[2:3]
.LBB2_3:
	s_clause 0x1
	s_load_b128 s[16:19], s[0:1], 0x0
	s_load_b32 s10, s[0:1], 0x38
	s_mul_u64 s[0:1], s[8:9], s[12:13]
	v_lshlrev_b32_e32 v3, 3, v0
	s_lshl_b64 s[0:1], s[0:1], 3
	s_wait_kmcnt 0x0
	v_add3_u32 v1, s19, s19, v0
	s_ashr_i32 s5, s18, 31
	s_mov_b32 s4, s18
	s_add_nc_u64 s[0:1], s[16:17], s[0:1]
	s_lshl_b64 s[4:5], s[4:5], 3
	v_ashrrev_i32_e32 v2, 31, v1
	s_add_nc_u64 s[0:1], s[0:1], s[4:5]
	s_ashr_i32 s9, s19, 31
	v_add_co_u32 v4, s4, s0, v3
	s_mov_b32 s8, s19
	v_lshlrev_b64_e32 v[1:2], 3, v[1:2]
	v_add_co_ci_u32_e64 v5, null, s1, 0, s4
	s_lshl_b64 s[8:9], s[8:9], 3
	s_bitcmp0_b32 s10, 0
	v_add_co_u32 v6, vcc_lo, v4, s8
	s_delay_alu instid0(VALU_DEP_1)
	v_add_co_ci_u32_e64 v7, null, s9, v5, vcc_lo
	v_add_co_u32 v8, vcc_lo, s0, v1
	s_wait_alu 0xfffd
	v_add_co_ci_u32_e64 v9, null, s1, v2, vcc_lo
	s_clause 0x2
	global_load_b64 v[10:11], v3, s[0:1]
	global_load_b64 v[12:13], v[6:7], off
	global_load_b64 v[1:2], v[8:9], off
	s_mov_b32 s1, -1
	s_wait_loadcnt 0x1
	scratch_store_b128 off, v[10:13], off
	s_wait_loadcnt 0x0
	scratch_store_b64 off, v[1:2], off offset:16
	s_cbranch_scc1 .LBB2_24
; %bb.4:
	v_cmp_eq_u32_e64 s0, 0, v0
	s_and_saveexec_b32 s1, s0
; %bb.5:
	v_mov_b32_e32 v1, 0
	ds_store_b32 v1, v1 offset:24
; %bb.6:
	s_wait_alu 0xfffe
	s_or_b32 exec_lo, exec_lo, s1
	s_wait_storecnt_dscnt 0x0
	s_barrier_signal -1
	s_barrier_wait -1
	global_inv scope:SCOPE_SE
	scratch_load_b64 v[1:2], v3, off
	s_wait_loadcnt 0x0
	v_cmp_eq_f32_e32 vcc_lo, 0, v1
	v_cmp_eq_f32_e64 s1, 0, v2
	s_and_b32 s1, vcc_lo, s1
	s_wait_alu 0xfffe
	s_and_saveexec_b32 s4, s1
	s_cbranch_execz .LBB2_10
; %bb.7:
	v_mov_b32_e32 v1, 0
	s_mov_b32 s5, 0
	ds_load_b32 v2, v1 offset:24
	s_wait_dscnt 0x0
	v_readfirstlane_b32 s1, v2
	v_add_nc_u32_e32 v2, 1, v0
	s_cmp_eq_u32 s1, 0
	s_delay_alu instid0(VALU_DEP_1)
	v_cmp_gt_i32_e32 vcc_lo, s1, v2
	s_cselect_b32 s8, -1, 0
	s_wait_alu 0xfffe
	s_or_b32 s8, s8, vcc_lo
	s_wait_alu 0xfffe
	s_and_b32 exec_lo, exec_lo, s8
	s_cbranch_execz .LBB2_10
; %bb.8:
	v_mov_b32_e32 v10, s1
.LBB2_9:                                ; =>This Inner Loop Header: Depth=1
	ds_cmpstore_rtn_b32 v10, v1, v2, v10 offset:24
	s_wait_dscnt 0x0
	v_cmp_ne_u32_e32 vcc_lo, 0, v10
	v_cmp_le_i32_e64 s1, v10, v2
	s_and_b32 s1, vcc_lo, s1
	s_wait_alu 0xfffe
	s_and_b32 s1, exec_lo, s1
	s_wait_alu 0xfffe
	s_or_b32 s5, s1, s5
	s_wait_alu 0xfffe
	s_and_not1_b32 exec_lo, exec_lo, s5
	s_cbranch_execnz .LBB2_9
.LBB2_10:
	s_wait_alu 0xfffe
	s_or_b32 exec_lo, exec_lo, s4
	v_mov_b32_e32 v1, 0
	s_barrier_signal -1
	s_barrier_wait -1
	global_inv scope:SCOPE_SE
	ds_load_b32 v2, v1 offset:24
	s_and_saveexec_b32 s1, s0
	s_cbranch_execz .LBB2_12
; %bb.11:
	s_lshl_b64 s[4:5], s[12:13], 2
	s_wait_alu 0xfffe
	s_add_nc_u64 s[4:5], s[6:7], s[4:5]
	s_wait_dscnt 0x0
	global_store_b32 v1, v2, s[4:5]
.LBB2_12:
	s_wait_alu 0xfffe
	s_or_b32 exec_lo, exec_lo, s1
	s_wait_dscnt 0x0
	v_cmp_ne_u32_e32 vcc_lo, 0, v2
	s_mov_b32 s1, 0
	s_cbranch_vccnz .LBB2_24
; %bb.13:
	v_mov_b32_e32 v14, v3
                                        ; implicit-def: $vgpr10
                                        ; implicit-def: $vgpr12
	scratch_load_b64 v[1:2], v14, off
	s_wait_loadcnt 0x0
	v_cmp_ngt_f32_e64 s1, |v1|, |v2|
	s_wait_alu 0xfffe
	s_and_saveexec_b32 s4, s1
	s_wait_alu 0xfffe
	s_xor_b32 s1, exec_lo, s4
	s_cbranch_execz .LBB2_15
; %bb.14:
	v_div_scale_f32 v10, null, v2, v2, v1
	v_div_scale_f32 v13, vcc_lo, v1, v2, v1
	s_delay_alu instid0(VALU_DEP_2) | instskip(NEXT) | instid1(TRANS32_DEP_1)
	v_rcp_f32_e32 v11, v10
	v_fma_f32 v12, -v10, v11, 1.0
	s_delay_alu instid0(VALU_DEP_1) | instskip(NEXT) | instid1(VALU_DEP_1)
	v_fmac_f32_e32 v11, v12, v11
	v_mul_f32_e32 v12, v13, v11
	s_delay_alu instid0(VALU_DEP_1) | instskip(NEXT) | instid1(VALU_DEP_1)
	v_fma_f32 v15, -v10, v12, v13
	v_fmac_f32_e32 v12, v15, v11
	s_delay_alu instid0(VALU_DEP_1) | instskip(SKIP_1) | instid1(VALU_DEP_1)
	v_fma_f32 v10, -v10, v12, v13
	s_wait_alu 0xfffd
	v_div_fmas_f32 v10, v10, v11, v12
	s_delay_alu instid0(VALU_DEP_1) | instskip(NEXT) | instid1(VALU_DEP_1)
	v_div_fixup_f32 v10, v10, v2, v1
	v_fmac_f32_e32 v2, v1, v10
	s_delay_alu instid0(VALU_DEP_1) | instskip(NEXT) | instid1(VALU_DEP_1)
	v_div_scale_f32 v1, null, v2, v2, 1.0
	v_rcp_f32_e32 v11, v1
	s_delay_alu instid0(TRANS32_DEP_1) | instskip(NEXT) | instid1(VALU_DEP_1)
	v_fma_f32 v12, -v1, v11, 1.0
	v_fmac_f32_e32 v11, v12, v11
	v_div_scale_f32 v12, vcc_lo, 1.0, v2, 1.0
	s_delay_alu instid0(VALU_DEP_1) | instskip(NEXT) | instid1(VALU_DEP_1)
	v_mul_f32_e32 v13, v12, v11
	v_fma_f32 v15, -v1, v13, v12
	s_delay_alu instid0(VALU_DEP_1) | instskip(NEXT) | instid1(VALU_DEP_1)
	v_fmac_f32_e32 v13, v15, v11
	v_fma_f32 v1, -v1, v13, v12
	s_wait_alu 0xfffd
	s_delay_alu instid0(VALU_DEP_1) | instskip(NEXT) | instid1(VALU_DEP_1)
	v_div_fmas_f32 v1, v1, v11, v13
	v_div_fixup_f32 v1, v1, v2, 1.0
	s_delay_alu instid0(VALU_DEP_1) | instskip(SKIP_1) | instid1(VALU_DEP_2)
	v_mul_f32_e32 v10, v10, v1
	v_xor_b32_e32 v11, 0x80000000, v1
                                        ; implicit-def: $vgpr1_vgpr2
	v_xor_b32_e32 v12, 0x80000000, v10
.LBB2_15:
	s_wait_alu 0xfffe
	s_and_not1_saveexec_b32 s1, s1
	s_cbranch_execz .LBB2_17
; %bb.16:
	v_div_scale_f32 v10, null, v1, v1, v2
	v_div_scale_f32 v13, vcc_lo, v2, v1, v2
	s_delay_alu instid0(VALU_DEP_2) | instskip(NEXT) | instid1(TRANS32_DEP_1)
	v_rcp_f32_e32 v11, v10
	v_fma_f32 v12, -v10, v11, 1.0
	s_delay_alu instid0(VALU_DEP_1) | instskip(NEXT) | instid1(VALU_DEP_1)
	v_fmac_f32_e32 v11, v12, v11
	v_mul_f32_e32 v12, v13, v11
	s_delay_alu instid0(VALU_DEP_1) | instskip(NEXT) | instid1(VALU_DEP_1)
	v_fma_f32 v15, -v10, v12, v13
	v_fmac_f32_e32 v12, v15, v11
	s_delay_alu instid0(VALU_DEP_1) | instskip(SKIP_1) | instid1(VALU_DEP_1)
	v_fma_f32 v10, -v10, v12, v13
	s_wait_alu 0xfffd
	v_div_fmas_f32 v10, v10, v11, v12
	s_delay_alu instid0(VALU_DEP_1) | instskip(NEXT) | instid1(VALU_DEP_1)
	v_div_fixup_f32 v11, v10, v1, v2
	v_fmac_f32_e32 v1, v2, v11
	s_delay_alu instid0(VALU_DEP_1) | instskip(NEXT) | instid1(VALU_DEP_1)
	v_div_scale_f32 v2, null, v1, v1, 1.0
	v_rcp_f32_e32 v10, v2
	s_delay_alu instid0(TRANS32_DEP_1) | instskip(NEXT) | instid1(VALU_DEP_1)
	v_fma_f32 v12, -v2, v10, 1.0
	v_fmac_f32_e32 v10, v12, v10
	v_div_scale_f32 v13, vcc_lo, 1.0, v1, 1.0
	s_delay_alu instid0(VALU_DEP_1) | instskip(NEXT) | instid1(VALU_DEP_1)
	v_mul_f32_e32 v12, v13, v10
	v_fma_f32 v15, -v2, v12, v13
	s_delay_alu instid0(VALU_DEP_1) | instskip(NEXT) | instid1(VALU_DEP_1)
	v_fmac_f32_e32 v12, v15, v10
	v_fma_f32 v2, -v2, v12, v13
	s_wait_alu 0xfffd
	s_delay_alu instid0(VALU_DEP_1) | instskip(NEXT) | instid1(VALU_DEP_1)
	v_div_fmas_f32 v2, v2, v10, v12
	v_div_fixup_f32 v10, v2, v1, 1.0
	s_delay_alu instid0(VALU_DEP_1)
	v_xor_b32_e32 v12, 0x80000000, v10
	v_mul_f32_e64 v11, v11, -v10
.LBB2_17:
	s_wait_alu 0xfffe
	s_or_b32 exec_lo, exec_lo, s1
	scratch_store_b64 v14, v[10:11], off
	scratch_load_b64 v[15:16], off, off offset:8
	v_xor_b32_e32 v13, 0x80000000, v11
	v_add_nc_u32_e32 v1, 32, v3
	s_wait_loadcnt 0x0
	ds_store_2addr_b64 v3, v[12:13], v[15:16] offset1:4
	s_wait_storecnt_dscnt 0x0
	s_barrier_signal -1
	s_barrier_wait -1
	global_inv scope:SCOPE_SE
	s_and_saveexec_b32 s1, s0
	s_cbranch_execz .LBB2_19
; %bb.18:
	scratch_load_b64 v[2:3], v14, off
	ds_load_b64 v[10:11], v1
	v_mov_b32_e32 v12, 0
	ds_load_b64 v[12:13], v12 offset:8
	s_wait_loadcnt_dscnt 0x1
	v_mul_f32_e32 v15, v10, v3
	v_mul_f32_e32 v3, v11, v3
	s_delay_alu instid0(VALU_DEP_2) | instskip(NEXT) | instid1(VALU_DEP_2)
	v_fmac_f32_e32 v15, v11, v2
	v_fma_f32 v2, v10, v2, -v3
	s_delay_alu instid0(VALU_DEP_1) | instskip(SKIP_1) | instid1(VALU_DEP_1)
	v_add_f32_e32 v2, 0, v2
	s_wait_dscnt 0x0
	v_dual_add_f32 v10, 0, v15 :: v_dual_mul_f32 v3, v2, v13
	s_delay_alu instid0(VALU_DEP_1) | instskip(NEXT) | instid1(VALU_DEP_2)
	v_mul_f32_e32 v11, v10, v13
	v_fmac_f32_e32 v3, v10, v12
	s_delay_alu instid0(VALU_DEP_2)
	v_fma_f32 v2, v2, v12, -v11
	scratch_store_b64 off, v[2:3], off offset:8
.LBB2_19:
	s_wait_alu 0xfffe
	s_or_b32 exec_lo, exec_lo, s1
	s_wait_loadcnt 0x0
	s_wait_storecnt 0x0
	s_barrier_signal -1
	s_barrier_wait -1
	global_inv scope:SCOPE_SE
	scratch_load_b64 v[2:3], off, off offset:16
	s_mov_b32 s1, exec_lo
	s_wait_loadcnt 0x0
	ds_store_b64 v1, v[2:3]
	s_wait_dscnt 0x0
	s_barrier_signal -1
	s_barrier_wait -1
	global_inv scope:SCOPE_SE
	v_cmpx_ne_u32_e32 2, v0
	s_cbranch_execz .LBB2_23
; %bb.20:
	scratch_load_b64 v[2:3], v14, off
	ds_load_b64 v[10:11], v1
	s_wait_loadcnt_dscnt 0x0
	v_mul_f32_e32 v1, v11, v3
	s_delay_alu instid0(VALU_DEP_1) | instskip(SKIP_1) | instid1(VALU_DEP_1)
	v_fma_f32 v1, v10, v2, -v1
	v_mul_f32_e32 v3, v10, v3
	v_dual_fmac_f32 v3, v11, v2 :: v_dual_add_f32 v2, 0, v1
	s_delay_alu instid0(VALU_DEP_1)
	v_add_f32_e32 v1, 0, v3
	s_and_saveexec_b32 s4, s0
	s_cbranch_execz .LBB2_22
; %bb.21:
	scratch_load_b64 v[10:11], off, off offset:8
	v_mov_b32_e32 v3, 0
	ds_load_b64 v[12:13], v3 offset:40
	s_wait_loadcnt_dscnt 0x0
	v_mul_f32_e32 v3, v12, v11
	v_mul_f32_e32 v11, v13, v11
	s_delay_alu instid0(VALU_DEP_2) | instskip(NEXT) | instid1(VALU_DEP_2)
	v_fmac_f32_e32 v3, v13, v10
	v_fma_f32 v10, v12, v10, -v11
	s_delay_alu instid0(VALU_DEP_1)
	v_dual_add_f32 v1, v1, v3 :: v_dual_add_f32 v2, v2, v10
.LBB2_22:
	s_wait_alu 0xfffe
	s_or_b32 exec_lo, exec_lo, s4
	v_mov_b32_e32 v3, 0
	ds_load_b64 v[10:11], v3 offset:16
	s_wait_dscnt 0x0
	v_mul_f32_e32 v12, v1, v11
	v_mul_f32_e32 v3, v2, v11
	s_delay_alu instid0(VALU_DEP_2) | instskip(NEXT) | instid1(VALU_DEP_2)
	v_fma_f32 v2, v2, v10, -v12
	v_fmac_f32_e32 v3, v1, v10
	scratch_store_b64 off, v[2:3], off offset:16
.LBB2_23:
	s_wait_alu 0xfffe
	s_or_b32 exec_lo, exec_lo, s1
	s_mov_b32 s1, -1
	s_wait_loadcnt 0x0
	s_wait_storecnt 0x0
	s_barrier_signal -1
	s_barrier_wait -1
	global_inv scope:SCOPE_SE
.LBB2_24:
	s_wait_alu 0xfffe
	s_and_b32 vcc_lo, exec_lo, s1
	s_wait_alu 0xfffe
	s_cbranch_vccz .LBB2_26
; %bb.25:
	v_mov_b32_e32 v1, 0
	s_lshl_b64 s[0:1], s[12:13], 2
	s_wait_alu 0xfffe
	s_add_nc_u64 s[0:1], s[6:7], s[0:1]
	global_load_b32 v1, v1, s[0:1]
	s_wait_loadcnt 0x0
	v_cmp_ne_u32_e32 vcc_lo, 0, v1
	s_cbranch_vccz .LBB2_27
.LBB2_26:
	s_endpgm
.LBB2_27:
	v_lshl_add_u32 v1, v0, 3, 32
	s_mov_b32 s0, exec_lo
	v_cmpx_eq_u32_e32 2, v0
	s_cbranch_execz .LBB2_29
; %bb.28:
	scratch_load_b64 v[2:3], off, off offset:8
	v_mov_b32_e32 v10, 0
	s_delay_alu instid0(VALU_DEP_1)
	v_mov_b32_e32 v11, v10
	scratch_store_b64 off, v[10:11], off offset:8
	s_wait_loadcnt 0x0
	ds_store_b64 v1, v[2:3]
.LBB2_29:
	s_wait_alu 0xfffe
	s_or_b32 exec_lo, exec_lo, s0
	s_wait_storecnt_dscnt 0x0
	s_barrier_signal -1
	s_barrier_wait -1
	global_inv scope:SCOPE_SE
	s_clause 0x1
	scratch_load_b64 v[2:3], off, off offset:16
	scratch_load_b64 v[11:12], off, off offset:8
	v_mov_b32_e32 v10, 0
	s_mov_b32 s0, exec_lo
	ds_load_b64 v[13:14], v10 offset:48
	s_wait_loadcnt_dscnt 0x100
	v_mul_f32_e32 v15, v14, v3
	v_mul_f32_e32 v3, v13, v3
	s_delay_alu instid0(VALU_DEP_2) | instskip(NEXT) | instid1(VALU_DEP_1)
	v_fma_f32 v13, v13, v2, -v15
	v_dual_fmac_f32 v3, v14, v2 :: v_dual_add_f32 v2, 0, v13
	s_wait_loadcnt 0x0
	s_delay_alu instid0(VALU_DEP_1) | instskip(NEXT) | instid1(VALU_DEP_1)
	v_dual_add_f32 v3, 0, v3 :: v_dual_sub_f32 v2, v11, v2
	v_sub_f32_e32 v3, v12, v3
	scratch_store_b64 off, v[2:3], off offset:8
	v_cmpx_ne_u32_e32 0, v0
	s_cbranch_execz .LBB2_31
; %bb.30:
	scratch_load_b64 v[2:3], off, off
	v_mov_b32_e32 v11, v10
	scratch_store_b64 off, v[10:11], off
	s_wait_loadcnt 0x0
	ds_store_b64 v1, v[2:3]
.LBB2_31:
	s_wait_alu 0xfffe
	s_or_b32 exec_lo, exec_lo, s0
	s_wait_storecnt_dscnt 0x0
	s_barrier_signal -1
	s_barrier_wait -1
	global_inv scope:SCOPE_SE
	s_clause 0x1
	scratch_load_b128 v[0:3], off, off offset:8
	scratch_load_b64 v[14:15], off, off
	ds_load_2addr_b64 v[10:13], v10 offset0:5 offset1:6
	s_and_b32 vcc_lo, exec_lo, s14
	s_wait_loadcnt_dscnt 0x100
	v_mul_f32_e32 v16, v11, v1
	v_dual_mul_f32 v17, v10, v1 :: v_dual_mul_f32 v18, v12, v3
	v_mul_f32_e32 v3, v13, v3
	s_delay_alu instid0(VALU_DEP_3) | instskip(NEXT) | instid1(VALU_DEP_3)
	v_fma_f32 v10, v10, v0, -v16
	v_dual_fmac_f32 v17, v11, v0 :: v_dual_fmac_f32 v18, v13, v2
	s_delay_alu instid0(VALU_DEP_3) | instskip(NEXT) | instid1(VALU_DEP_2)
	v_fma_f32 v2, v12, v2, -v3
	v_dual_add_f32 v3, 0, v10 :: v_dual_add_f32 v10, 0, v17
	s_delay_alu instid0(VALU_DEP_1) | instskip(NEXT) | instid1(VALU_DEP_2)
	v_add_f32_e32 v2, v3, v2
	v_add_f32_e32 v3, v10, v18
	s_wait_loadcnt 0x0
	s_delay_alu instid0(VALU_DEP_1)
	v_dual_sub_f32 v2, v14, v2 :: v_dual_sub_f32 v3, v15, v3
	scratch_store_b64 off, v[2:3], off
	s_wait_alu 0xfffe
	s_cbranch_vccz .LBB2_36
; %bb.32:
	v_mov_b32_e32 v2, 0
	global_load_b32 v3, v2, s[2:3] offset:4
	s_wait_loadcnt 0x0
	v_cmp_ne_u32_e32 vcc_lo, 2, v3
	s_cbranch_vccz .LBB2_34
; %bb.33:
	v_lshlrev_b32_e32 v3, 3, v3
	scratch_load_b64 v[10:11], v3, off offset:-8
	s_wait_loadcnt 0x0
	scratch_store_b64 off, v[10:11], off offset:8
	scratch_store_b64 v3, v[0:1], off offset:-8
.LBB2_34:
	global_load_b32 v0, v2, s[2:3]
	s_wait_loadcnt 0x0
	v_cmp_eq_u32_e32 vcc_lo, 1, v0
	s_cbranch_vccnz .LBB2_36
; %bb.35:
	v_lshlrev_b32_e32 v0, 3, v0
	s_delay_alu instid0(VALU_DEP_1)
	v_mov_b32_e32 v10, v0
	scratch_load_b64 v[0:1], v10, off offset:-8
	scratch_load_b64 v[2:3], off, off
	s_wait_loadcnt 0x1
	scratch_store_b64 off, v[0:1], off
	s_wait_loadcnt 0x0
	scratch_store_b64 v10, v[2:3], off offset:-8
.LBB2_36:
	s_clause 0x1
	scratch_load_b128 v[0:3], off, off
	scratch_load_b64 v[10:11], off, off offset:16
	s_wait_loadcnt 0x1
	s_clause 0x1
	global_store_b64 v[4:5], v[0:1], off
	global_store_b64 v[6:7], v[2:3], off
	s_wait_loadcnt 0x0
	global_store_b64 v[8:9], v[10:11], off
	s_endpgm
	.section	.rodata,"a",@progbits
	.p2align	6, 0x0
	.amdhsa_kernel _ZN9rocsolver6v33100L18getri_kernel_smallILi3E19rocblas_complex_numIfEPS3_EEvT1_iilPiilS6_bb
		.amdhsa_group_segment_fixed_size 56
		.amdhsa_private_segment_fixed_size 32
		.amdhsa_kernarg_size 60
		.amdhsa_user_sgpr_count 2
		.amdhsa_user_sgpr_dispatch_ptr 0
		.amdhsa_user_sgpr_queue_ptr 0
		.amdhsa_user_sgpr_kernarg_segment_ptr 1
		.amdhsa_user_sgpr_dispatch_id 0
		.amdhsa_user_sgpr_private_segment_size 0
		.amdhsa_wavefront_size32 1
		.amdhsa_uses_dynamic_stack 0
		.amdhsa_enable_private_segment 1
		.amdhsa_system_sgpr_workgroup_id_x 1
		.amdhsa_system_sgpr_workgroup_id_y 0
		.amdhsa_system_sgpr_workgroup_id_z 0
		.amdhsa_system_sgpr_workgroup_info 0
		.amdhsa_system_vgpr_workitem_id 0
		.amdhsa_next_free_vgpr 19
		.amdhsa_next_free_sgpr 20
		.amdhsa_reserve_vcc 1
		.amdhsa_float_round_mode_32 0
		.amdhsa_float_round_mode_16_64 0
		.amdhsa_float_denorm_mode_32 3
		.amdhsa_float_denorm_mode_16_64 3
		.amdhsa_fp16_overflow 0
		.amdhsa_workgroup_processor_mode 1
		.amdhsa_memory_ordered 1
		.amdhsa_forward_progress 1
		.amdhsa_inst_pref_size 20
		.amdhsa_round_robin_scheduling 0
		.amdhsa_exception_fp_ieee_invalid_op 0
		.amdhsa_exception_fp_denorm_src 0
		.amdhsa_exception_fp_ieee_div_zero 0
		.amdhsa_exception_fp_ieee_overflow 0
		.amdhsa_exception_fp_ieee_underflow 0
		.amdhsa_exception_fp_ieee_inexact 0
		.amdhsa_exception_int_div_zero 0
	.end_amdhsa_kernel
	.section	.text._ZN9rocsolver6v33100L18getri_kernel_smallILi3E19rocblas_complex_numIfEPS3_EEvT1_iilPiilS6_bb,"axG",@progbits,_ZN9rocsolver6v33100L18getri_kernel_smallILi3E19rocblas_complex_numIfEPS3_EEvT1_iilPiilS6_bb,comdat
.Lfunc_end2:
	.size	_ZN9rocsolver6v33100L18getri_kernel_smallILi3E19rocblas_complex_numIfEPS3_EEvT1_iilPiilS6_bb, .Lfunc_end2-_ZN9rocsolver6v33100L18getri_kernel_smallILi3E19rocblas_complex_numIfEPS3_EEvT1_iilPiilS6_bb
                                        ; -- End function
	.set _ZN9rocsolver6v33100L18getri_kernel_smallILi3E19rocblas_complex_numIfEPS3_EEvT1_iilPiilS6_bb.num_vgpr, 19
	.set _ZN9rocsolver6v33100L18getri_kernel_smallILi3E19rocblas_complex_numIfEPS3_EEvT1_iilPiilS6_bb.num_agpr, 0
	.set _ZN9rocsolver6v33100L18getri_kernel_smallILi3E19rocblas_complex_numIfEPS3_EEvT1_iilPiilS6_bb.numbered_sgpr, 20
	.set _ZN9rocsolver6v33100L18getri_kernel_smallILi3E19rocblas_complex_numIfEPS3_EEvT1_iilPiilS6_bb.num_named_barrier, 0
	.set _ZN9rocsolver6v33100L18getri_kernel_smallILi3E19rocblas_complex_numIfEPS3_EEvT1_iilPiilS6_bb.private_seg_size, 32
	.set _ZN9rocsolver6v33100L18getri_kernel_smallILi3E19rocblas_complex_numIfEPS3_EEvT1_iilPiilS6_bb.uses_vcc, 1
	.set _ZN9rocsolver6v33100L18getri_kernel_smallILi3E19rocblas_complex_numIfEPS3_EEvT1_iilPiilS6_bb.uses_flat_scratch, 1
	.set _ZN9rocsolver6v33100L18getri_kernel_smallILi3E19rocblas_complex_numIfEPS3_EEvT1_iilPiilS6_bb.has_dyn_sized_stack, 0
	.set _ZN9rocsolver6v33100L18getri_kernel_smallILi3E19rocblas_complex_numIfEPS3_EEvT1_iilPiilS6_bb.has_recursion, 0
	.set _ZN9rocsolver6v33100L18getri_kernel_smallILi3E19rocblas_complex_numIfEPS3_EEvT1_iilPiilS6_bb.has_indirect_call, 0
	.section	.AMDGPU.csdata,"",@progbits
; Kernel info:
; codeLenInByte = 2436
; TotalNumSgprs: 22
; NumVgprs: 19
; ScratchSize: 32
; MemoryBound: 0
; FloatMode: 240
; IeeeMode: 1
; LDSByteSize: 56 bytes/workgroup (compile time only)
; SGPRBlocks: 0
; VGPRBlocks: 2
; NumSGPRsForWavesPerEU: 22
; NumVGPRsForWavesPerEU: 19
; Occupancy: 16
; WaveLimiterHint : 0
; COMPUTE_PGM_RSRC2:SCRATCH_EN: 1
; COMPUTE_PGM_RSRC2:USER_SGPR: 2
; COMPUTE_PGM_RSRC2:TRAP_HANDLER: 0
; COMPUTE_PGM_RSRC2:TGID_X_EN: 1
; COMPUTE_PGM_RSRC2:TGID_Y_EN: 0
; COMPUTE_PGM_RSRC2:TGID_Z_EN: 0
; COMPUTE_PGM_RSRC2:TIDIG_COMP_CNT: 0
	.section	.text._ZN9rocsolver6v33100L18getri_kernel_smallILi4E19rocblas_complex_numIfEPS3_EEvT1_iilPiilS6_bb,"axG",@progbits,_ZN9rocsolver6v33100L18getri_kernel_smallILi4E19rocblas_complex_numIfEPS3_EEvT1_iilPiilS6_bb,comdat
	.globl	_ZN9rocsolver6v33100L18getri_kernel_smallILi4E19rocblas_complex_numIfEPS3_EEvT1_iilPiilS6_bb ; -- Begin function _ZN9rocsolver6v33100L18getri_kernel_smallILi4E19rocblas_complex_numIfEPS3_EEvT1_iilPiilS6_bb
	.p2align	8
	.type	_ZN9rocsolver6v33100L18getri_kernel_smallILi4E19rocblas_complex_numIfEPS3_EEvT1_iilPiilS6_bb,@function
_ZN9rocsolver6v33100L18getri_kernel_smallILi4E19rocblas_complex_numIfEPS3_EEvT1_iilPiilS6_bb: ; @_ZN9rocsolver6v33100L18getri_kernel_smallILi4E19rocblas_complex_numIfEPS3_EEvT1_iilPiilS6_bb
; %bb.0:
	s_mov_b32 s2, exec_lo
	v_cmpx_gt_u32_e32 4, v0
	s_cbranch_execz .LBB3_30
; %bb.1:
	s_clause 0x2
	s_load_b32 s2, s[0:1], 0x38
	s_load_b128 s[12:15], s[0:1], 0x10
	s_load_b128 s[4:7], s[0:1], 0x28
	s_mov_b32 s16, ttmp9
	s_wait_kmcnt 0x0
	s_bitcmp1_b32 s2, 8
	s_cselect_b32 s18, -1, 0
	s_bfe_u32 s2, s2, 0x10008
	s_ashr_i32 s17, ttmp9, 31
	s_cmp_eq_u32 s2, 0
                                        ; implicit-def: $sgpr2_sgpr3
	s_cbranch_scc1 .LBB3_3
; %bb.2:
	s_load_b32 s2, s[0:1], 0x20
	s_mul_u64 s[4:5], s[4:5], s[16:17]
	s_delay_alu instid0(SALU_CYCLE_1) | instskip(NEXT) | instid1(SALU_CYCLE_1)
	s_lshl_b64 s[4:5], s[4:5], 2
	s_add_nc_u64 s[4:5], s[14:15], s[4:5]
	s_wait_kmcnt 0x0
	s_ashr_i32 s3, s2, 31
	s_delay_alu instid0(SALU_CYCLE_1) | instskip(NEXT) | instid1(SALU_CYCLE_1)
	s_lshl_b64 s[2:3], s[2:3], 2
	s_add_nc_u64 s[2:3], s[4:5], s[2:3]
.LBB3_3:
	s_clause 0x1
	s_load_b128 s[8:11], s[0:1], 0x0
	s_load_b32 s14, s[0:1], 0x38
	s_mul_u64 s[0:1], s[12:13], s[16:17]
	v_lshlrev_b32_e32 v16, 3, v0
	s_lshl_b64 s[0:1], s[0:1], 3
	s_wait_kmcnt 0x0
	v_add3_u32 v1, s11, s11, v0
	s_ashr_i32 s5, s10, 31
	s_mov_b32 s4, s10
	s_add_nc_u64 s[0:1], s[8:9], s[0:1]
	s_lshl_b64 s[4:5], s[4:5], 3
	v_add_nc_u32_e32 v8, s11, v1
	v_ashrrev_i32_e32 v2, 31, v1
	s_add_nc_u64 s[0:1], s[0:1], s[4:5]
	s_ashr_i32 s9, s11, 31
	v_add_co_u32 v4, s4, s0, v16
	v_ashrrev_i32_e32 v9, 31, v8
	s_mov_b32 s8, s11
	v_lshlrev_b64_e32 v[1:2], 3, v[1:2]
	v_add_co_ci_u32_e64 v5, null, s1, 0, s4
	s_lshl_b64 s[8:9], s[8:9], 3
	v_lshlrev_b64_e32 v[10:11], 3, v[8:9]
	v_add_co_u32 v6, vcc_lo, v4, s8
	s_delay_alu instid0(VALU_DEP_1)
	v_add_co_ci_u32_e64 v7, null, s9, v5, vcc_lo
	v_add_co_u32 v8, vcc_lo, s0, v1
	s_wait_alu 0xfffd
	v_add_co_ci_u32_e64 v9, null, s1, v2, vcc_lo
	v_add_co_u32 v10, vcc_lo, s0, v10
	s_wait_alu 0xfffd
	v_add_co_ci_u32_e64 v11, null, s1, v11, vcc_lo
	s_clause 0x3
	global_load_b64 v[12:13], v16, s[0:1]
	global_load_b64 v[14:15], v[6:7], off
	global_load_b64 v[17:18], v[8:9], off
	;; [unrolled: 1-line block ×3, first 2 shown]
	s_mov_b32 s1, -1
	s_bitcmp0_b32 s14, 0
	s_wait_loadcnt 0x2
	scratch_store_b128 off, v[12:15], off
	s_wait_loadcnt 0x0
	scratch_store_b128 off, v[17:20], off offset:16
	s_cbranch_scc1 .LBB3_28
; %bb.4:
	v_cmp_eq_u32_e64 s0, 0, v0
	s_and_saveexec_b32 s1, s0
; %bb.5:
	v_mov_b32_e32 v1, 0
	ds_store_b32 v1, v1 offset:64
; %bb.6:
	s_wait_alu 0xfffe
	s_or_b32 exec_lo, exec_lo, s1
	s_wait_storecnt_dscnt 0x0
	s_barrier_signal -1
	s_barrier_wait -1
	global_inv scope:SCOPE_SE
	scratch_load_b64 v[1:2], v16, off
	s_wait_loadcnt 0x0
	v_cmp_eq_f32_e32 vcc_lo, 0, v1
	v_cmp_eq_f32_e64 s1, 0, v2
	s_and_b32 s1, vcc_lo, s1
	s_wait_alu 0xfffe
	s_and_saveexec_b32 s4, s1
	s_cbranch_execz .LBB3_10
; %bb.7:
	v_mov_b32_e32 v1, 0
	s_mov_b32 s5, 0
	ds_load_b32 v2, v1 offset:64
	s_wait_dscnt 0x0
	v_readfirstlane_b32 s1, v2
	v_add_nc_u32_e32 v2, 1, v0
	s_cmp_eq_u32 s1, 0
	s_delay_alu instid0(VALU_DEP_1)
	v_cmp_gt_i32_e32 vcc_lo, s1, v2
	s_cselect_b32 s8, -1, 0
	s_wait_alu 0xfffe
	s_or_b32 s8, s8, vcc_lo
	s_wait_alu 0xfffe
	s_and_b32 exec_lo, exec_lo, s8
	s_cbranch_execz .LBB3_10
; %bb.8:
	v_mov_b32_e32 v3, s1
.LBB3_9:                                ; =>This Inner Loop Header: Depth=1
	ds_cmpstore_rtn_b32 v3, v1, v2, v3 offset:64
	s_wait_dscnt 0x0
	v_cmp_ne_u32_e32 vcc_lo, 0, v3
	v_cmp_le_i32_e64 s1, v3, v2
	s_and_b32 s1, vcc_lo, s1
	s_wait_alu 0xfffe
	s_and_b32 s1, exec_lo, s1
	s_wait_alu 0xfffe
	s_or_b32 s5, s1, s5
	s_wait_alu 0xfffe
	s_and_not1_b32 exec_lo, exec_lo, s5
	s_cbranch_execnz .LBB3_9
.LBB3_10:
	s_wait_alu 0xfffe
	s_or_b32 exec_lo, exec_lo, s4
	v_mov_b32_e32 v1, 0
	s_barrier_signal -1
	s_barrier_wait -1
	global_inv scope:SCOPE_SE
	ds_load_b32 v2, v1 offset:64
	s_and_saveexec_b32 s1, s0
	s_cbranch_execz .LBB3_12
; %bb.11:
	s_lshl_b64 s[4:5], s[16:17], 2
	s_wait_alu 0xfffe
	s_add_nc_u64 s[4:5], s[6:7], s[4:5]
	s_wait_dscnt 0x0
	global_store_b32 v1, v2, s[4:5]
.LBB3_12:
	s_wait_alu 0xfffe
	s_or_b32 exec_lo, exec_lo, s1
	s_wait_dscnt 0x0
	v_cmp_ne_u32_e32 vcc_lo, 0, v2
	s_mov_b32 s1, 0
	s_cbranch_vccnz .LBB3_28
; %bb.13:
	v_mov_b32_e32 v3, v16
                                        ; implicit-def: $vgpr12
                                        ; implicit-def: $vgpr14
	scratch_load_b64 v[1:2], v3, off
	s_wait_loadcnt 0x0
	v_cmp_ngt_f32_e64 s1, |v1|, |v2|
	s_wait_alu 0xfffe
	s_and_saveexec_b32 s4, s1
	s_wait_alu 0xfffe
	s_xor_b32 s1, exec_lo, s4
	s_cbranch_execz .LBB3_15
; %bb.14:
	v_div_scale_f32 v12, null, v2, v2, v1
	v_div_scale_f32 v15, vcc_lo, v1, v2, v1
	s_delay_alu instid0(VALU_DEP_2) | instskip(NEXT) | instid1(TRANS32_DEP_1)
	v_rcp_f32_e32 v13, v12
	v_fma_f32 v14, -v12, v13, 1.0
	s_delay_alu instid0(VALU_DEP_1) | instskip(NEXT) | instid1(VALU_DEP_1)
	v_fmac_f32_e32 v13, v14, v13
	v_mul_f32_e32 v14, v15, v13
	s_delay_alu instid0(VALU_DEP_1) | instskip(NEXT) | instid1(VALU_DEP_1)
	v_fma_f32 v17, -v12, v14, v15
	v_fmac_f32_e32 v14, v17, v13
	s_delay_alu instid0(VALU_DEP_1) | instskip(SKIP_1) | instid1(VALU_DEP_1)
	v_fma_f32 v12, -v12, v14, v15
	s_wait_alu 0xfffd
	v_div_fmas_f32 v12, v12, v13, v14
	s_delay_alu instid0(VALU_DEP_1) | instskip(NEXT) | instid1(VALU_DEP_1)
	v_div_fixup_f32 v12, v12, v2, v1
	v_fmac_f32_e32 v2, v1, v12
	s_delay_alu instid0(VALU_DEP_1) | instskip(NEXT) | instid1(VALU_DEP_1)
	v_div_scale_f32 v1, null, v2, v2, 1.0
	v_rcp_f32_e32 v13, v1
	s_delay_alu instid0(TRANS32_DEP_1) | instskip(NEXT) | instid1(VALU_DEP_1)
	v_fma_f32 v14, -v1, v13, 1.0
	v_fmac_f32_e32 v13, v14, v13
	v_div_scale_f32 v14, vcc_lo, 1.0, v2, 1.0
	s_delay_alu instid0(VALU_DEP_1) | instskip(NEXT) | instid1(VALU_DEP_1)
	v_mul_f32_e32 v15, v14, v13
	v_fma_f32 v17, -v1, v15, v14
	s_delay_alu instid0(VALU_DEP_1) | instskip(NEXT) | instid1(VALU_DEP_1)
	v_fmac_f32_e32 v15, v17, v13
	v_fma_f32 v1, -v1, v15, v14
	s_wait_alu 0xfffd
	s_delay_alu instid0(VALU_DEP_1) | instskip(NEXT) | instid1(VALU_DEP_1)
	v_div_fmas_f32 v1, v1, v13, v15
	v_div_fixup_f32 v1, v1, v2, 1.0
	s_delay_alu instid0(VALU_DEP_1) | instskip(SKIP_1) | instid1(VALU_DEP_2)
	v_mul_f32_e32 v12, v12, v1
	v_xor_b32_e32 v13, 0x80000000, v1
                                        ; implicit-def: $vgpr1_vgpr2
	v_xor_b32_e32 v14, 0x80000000, v12
.LBB3_15:
	s_wait_alu 0xfffe
	s_and_not1_saveexec_b32 s1, s1
	s_cbranch_execz .LBB3_17
; %bb.16:
	v_div_scale_f32 v12, null, v1, v1, v2
	v_div_scale_f32 v15, vcc_lo, v2, v1, v2
	s_delay_alu instid0(VALU_DEP_2) | instskip(NEXT) | instid1(TRANS32_DEP_1)
	v_rcp_f32_e32 v13, v12
	v_fma_f32 v14, -v12, v13, 1.0
	s_delay_alu instid0(VALU_DEP_1) | instskip(NEXT) | instid1(VALU_DEP_1)
	v_fmac_f32_e32 v13, v14, v13
	v_mul_f32_e32 v14, v15, v13
	s_delay_alu instid0(VALU_DEP_1) | instskip(NEXT) | instid1(VALU_DEP_1)
	v_fma_f32 v17, -v12, v14, v15
	v_fmac_f32_e32 v14, v17, v13
	s_delay_alu instid0(VALU_DEP_1) | instskip(SKIP_1) | instid1(VALU_DEP_1)
	v_fma_f32 v12, -v12, v14, v15
	s_wait_alu 0xfffd
	v_div_fmas_f32 v12, v12, v13, v14
	s_delay_alu instid0(VALU_DEP_1) | instskip(NEXT) | instid1(VALU_DEP_1)
	v_div_fixup_f32 v13, v12, v1, v2
	v_fmac_f32_e32 v1, v2, v13
	s_delay_alu instid0(VALU_DEP_1) | instskip(SKIP_1) | instid1(VALU_DEP_2)
	v_div_scale_f32 v2, null, v1, v1, 1.0
	v_div_scale_f32 v15, vcc_lo, 1.0, v1, 1.0
	v_rcp_f32_e32 v12, v2
	s_delay_alu instid0(TRANS32_DEP_1) | instskip(NEXT) | instid1(VALU_DEP_1)
	v_fma_f32 v14, -v2, v12, 1.0
	v_fmac_f32_e32 v12, v14, v12
	s_delay_alu instid0(VALU_DEP_1) | instskip(NEXT) | instid1(VALU_DEP_1)
	v_mul_f32_e32 v14, v15, v12
	v_fma_f32 v17, -v2, v14, v15
	s_delay_alu instid0(VALU_DEP_1) | instskip(NEXT) | instid1(VALU_DEP_1)
	v_fmac_f32_e32 v14, v17, v12
	v_fma_f32 v2, -v2, v14, v15
	s_wait_alu 0xfffd
	s_delay_alu instid0(VALU_DEP_1) | instskip(NEXT) | instid1(VALU_DEP_1)
	v_div_fmas_f32 v2, v2, v12, v14
	v_div_fixup_f32 v12, v2, v1, 1.0
	s_delay_alu instid0(VALU_DEP_1)
	v_xor_b32_e32 v14, 0x80000000, v12
	v_mul_f32_e64 v13, v13, -v12
.LBB3_17:
	s_wait_alu 0xfffe
	s_or_b32 exec_lo, exec_lo, s1
	scratch_store_b64 v3, v[12:13], off
	scratch_load_b64 v[17:18], off, off offset:8
	v_xor_b32_e32 v15, 0x80000000, v13
	v_add_nc_u32_e32 v1, 32, v16
	s_wait_loadcnt 0x0
	ds_store_2addr_b64 v16, v[14:15], v[17:18] offset1:4
	s_wait_storecnt_dscnt 0x0
	s_barrier_signal -1
	s_barrier_wait -1
	global_inv scope:SCOPE_SE
	s_and_saveexec_b32 s1, s0
	s_cbranch_execz .LBB3_19
; %bb.18:
	scratch_load_b64 v[12:13], v3, off
	ds_load_b64 v[14:15], v1
	v_mov_b32_e32 v2, 0
	ds_load_b64 v[16:17], v2 offset:8
	s_wait_loadcnt_dscnt 0x1
	v_mul_f32_e32 v2, v14, v13
	v_mul_f32_e32 v13, v15, v13
	s_delay_alu instid0(VALU_DEP_2) | instskip(NEXT) | instid1(VALU_DEP_2)
	v_fmac_f32_e32 v2, v15, v12
	v_fma_f32 v12, v14, v12, -v13
	s_delay_alu instid0(VALU_DEP_1) | instskip(SKIP_1) | instid1(VALU_DEP_1)
	v_add_f32_e32 v12, 0, v12
	s_wait_dscnt 0x0
	v_dual_mul_f32 v13, v12, v17 :: v_dual_add_f32 v2, 0, v2
	s_delay_alu instid0(VALU_DEP_1) | instskip(NEXT) | instid1(VALU_DEP_2)
	v_mul_f32_e32 v14, v2, v17
	v_fmac_f32_e32 v13, v2, v16
	s_delay_alu instid0(VALU_DEP_2)
	v_fma_f32 v12, v12, v16, -v14
	scratch_store_b64 off, v[12:13], off offset:8
.LBB3_19:
	s_wait_alu 0xfffe
	s_or_b32 exec_lo, exec_lo, s1
	s_wait_loadcnt 0x0
	s_wait_storecnt 0x0
	s_barrier_signal -1
	s_barrier_wait -1
	global_inv scope:SCOPE_SE
	scratch_load_b64 v[12:13], off, off offset:16
	s_mov_b32 s1, exec_lo
	s_wait_loadcnt 0x0
	ds_store_b64 v1, v[12:13]
	s_wait_dscnt 0x0
	s_barrier_signal -1
	s_barrier_wait -1
	global_inv scope:SCOPE_SE
	v_cmpx_gt_u32_e32 2, v0
	s_cbranch_execz .LBB3_23
; %bb.20:
	scratch_load_b64 v[12:13], v3, off
	ds_load_b64 v[14:15], v1
	s_wait_loadcnt_dscnt 0x0
	v_mul_f32_e32 v2, v15, v13
	s_delay_alu instid0(VALU_DEP_1) | instskip(SKIP_1) | instid1(VALU_DEP_1)
	v_fma_f32 v2, v14, v12, -v2
	v_mul_f32_e32 v13, v14, v13
	v_dual_fmac_f32 v13, v15, v12 :: v_dual_add_f32 v12, 0, v2
	s_delay_alu instid0(VALU_DEP_1)
	v_add_f32_e32 v2, 0, v13
	s_and_saveexec_b32 s4, s0
	s_cbranch_execz .LBB3_22
; %bb.21:
	scratch_load_b64 v[13:14], off, off offset:8
	v_mov_b32_e32 v15, 0
	ds_load_b64 v[15:16], v15 offset:40
	s_wait_loadcnt_dscnt 0x0
	v_mul_f32_e32 v17, v15, v14
	v_mul_f32_e32 v14, v16, v14
	s_delay_alu instid0(VALU_DEP_2) | instskip(NEXT) | instid1(VALU_DEP_2)
	v_fmac_f32_e32 v17, v16, v13
	v_fma_f32 v13, v15, v13, -v14
	s_delay_alu instid0(VALU_DEP_2) | instskip(NEXT) | instid1(VALU_DEP_2)
	v_add_f32_e32 v2, v2, v17
	v_add_f32_e32 v12, v12, v13
.LBB3_22:
	s_wait_alu 0xfffe
	s_or_b32 exec_lo, exec_lo, s4
	v_mov_b32_e32 v13, 0
	ds_load_b64 v[13:14], v13 offset:16
	s_wait_dscnt 0x0
	v_mul_f32_e32 v16, v2, v14
	v_mul_f32_e32 v15, v12, v14
	s_delay_alu instid0(VALU_DEP_2) | instskip(NEXT) | instid1(VALU_DEP_2)
	v_fma_f32 v14, v12, v13, -v16
	v_fmac_f32_e32 v15, v2, v13
	scratch_store_b64 off, v[14:15], off offset:16
.LBB3_23:
	s_wait_alu 0xfffe
	s_or_b32 exec_lo, exec_lo, s1
	s_wait_loadcnt 0x0
	s_wait_storecnt 0x0
	s_barrier_signal -1
	s_barrier_wait -1
	global_inv scope:SCOPE_SE
	scratch_load_b64 v[12:13], off, off offset:24
	s_mov_b32 s0, exec_lo
	s_wait_loadcnt 0x0
	ds_store_b64 v1, v[12:13]
	s_wait_dscnt 0x0
	s_barrier_signal -1
	s_barrier_wait -1
	global_inv scope:SCOPE_SE
	v_cmpx_ne_u32_e32 3, v0
	s_cbranch_execz .LBB3_27
; %bb.24:
	v_dual_mov_b32 v13, 0 :: v_dual_add_nc_u32 v12, -1, v0
	v_mov_b32_e32 v2, 0
	s_mov_b32 s1, 0
.LBB3_25:                               ; =>This Inner Loop Header: Depth=1
	scratch_load_b64 v[14:15], v3, off
	ds_load_b64 v[16:17], v1
	v_add_nc_u32_e32 v3, 8, v3
	v_add_nc_u32_e32 v12, 1, v12
	v_add_nc_u32_e32 v1, 8, v1
	s_delay_alu instid0(VALU_DEP_2)
	v_cmp_lt_u32_e32 vcc_lo, 1, v12
	s_wait_alu 0xfffe
	s_or_b32 s1, vcc_lo, s1
	s_wait_loadcnt_dscnt 0x0
	v_mul_f32_e32 v18, v17, v15
	v_mul_f32_e32 v15, v16, v15
	s_delay_alu instid0(VALU_DEP_2) | instskip(NEXT) | instid1(VALU_DEP_2)
	v_fma_f32 v16, v16, v14, -v18
	v_fmac_f32_e32 v15, v17, v14
	s_delay_alu instid0(VALU_DEP_1)
	v_dual_add_f32 v13, v13, v16 :: v_dual_add_f32 v2, v2, v15
	s_wait_alu 0xfffe
	s_and_not1_b32 exec_lo, exec_lo, s1
	s_cbranch_execnz .LBB3_25
; %bb.26:
	s_or_b32 exec_lo, exec_lo, s1
	v_mov_b32_e32 v1, 0
	ds_load_b64 v[14:15], v1 offset:24
	s_wait_dscnt 0x0
	v_mul_f32_e32 v1, v2, v15
	v_mul_f32_e32 v16, v13, v15
	s_delay_alu instid0(VALU_DEP_2) | instskip(NEXT) | instid1(VALU_DEP_2)
	v_fma_f32 v15, v13, v14, -v1
	v_fmac_f32_e32 v16, v2, v14
	scratch_store_b64 off, v[15:16], off offset:24
.LBB3_27:
	s_wait_alu 0xfffe
	s_or_b32 exec_lo, exec_lo, s0
	s_mov_b32 s1, -1
	s_wait_loadcnt 0x0
	s_wait_storecnt 0x0
	s_barrier_signal -1
	s_barrier_wait -1
	global_inv scope:SCOPE_SE
.LBB3_28:
	s_wait_alu 0xfffe
	s_and_b32 vcc_lo, exec_lo, s1
	s_wait_alu 0xfffe
	s_cbranch_vccz .LBB3_30
; %bb.29:
	v_mov_b32_e32 v1, 0
	s_lshl_b64 s[0:1], s[16:17], 2
	s_wait_alu 0xfffe
	s_add_nc_u64 s[0:1], s[6:7], s[0:1]
	global_load_b32 v1, v1, s[0:1]
	s_wait_loadcnt 0x0
	v_cmp_ne_u32_e32 vcc_lo, 0, v1
	s_cbranch_vccz .LBB3_31
.LBB3_30:
	s_endpgm
.LBB3_31:
	v_lshl_add_u32 v3, v0, 3, 32
	s_mov_b32 s0, exec_lo
	v_cmpx_eq_u32_e32 3, v0
	s_cbranch_execz .LBB3_33
; %bb.32:
	scratch_load_b64 v[1:2], off, off offset:16
	v_mov_b32_e32 v12, 0
	s_delay_alu instid0(VALU_DEP_1)
	v_mov_b32_e32 v13, v12
	scratch_store_b64 off, v[12:13], off offset:16
	s_wait_loadcnt 0x0
	ds_store_b64 v3, v[1:2]
.LBB3_33:
	s_wait_alu 0xfffe
	s_or_b32 exec_lo, exec_lo, s0
	s_wait_storecnt_dscnt 0x0
	s_barrier_signal -1
	s_barrier_wait -1
	global_inv scope:SCOPE_SE
	s_clause 0x1
	scratch_load_b64 v[12:13], off, off offset:24
	scratch_load_b64 v[14:15], off, off offset:16
	v_mov_b32_e32 v1, 0
	s_mov_b32 s0, exec_lo
	ds_load_b64 v[16:17], v1 offset:56
	s_wait_loadcnt_dscnt 0x100
	v_mul_f32_e32 v2, v17, v13
	s_delay_alu instid0(VALU_DEP_1) | instskip(NEXT) | instid1(VALU_DEP_1)
	v_fma_f32 v2, v16, v12, -v2
	v_dual_mul_f32 v13, v16, v13 :: v_dual_add_f32 v2, 0, v2
	s_wait_loadcnt 0x0
	s_delay_alu instid0(VALU_DEP_1) | instskip(NEXT) | instid1(VALU_DEP_1)
	v_dual_fmac_f32 v13, v17, v12 :: v_dual_sub_f32 v12, v14, v2
	v_add_f32_e32 v13, 0, v13
	s_delay_alu instid0(VALU_DEP_1)
	v_sub_f32_e32 v13, v15, v13
	scratch_store_b64 off, v[12:13], off offset:16
	v_cmpx_lt_u32_e32 1, v0
	s_cbranch_execz .LBB3_35
; %bb.34:
	scratch_load_b64 v[12:13], off, off offset:8
	v_mov_b32_e32 v2, v1
	scratch_store_b64 off, v[1:2], off offset:8
	s_wait_loadcnt 0x0
	ds_store_b64 v3, v[12:13]
.LBB3_35:
	s_wait_alu 0xfffe
	s_or_b32 exec_lo, exec_lo, s0
	s_wait_storecnt_dscnt 0x0
	s_barrier_signal -1
	s_barrier_wait -1
	global_inv scope:SCOPE_SE
	s_clause 0x1
	scratch_load_b128 v[12:15], off, off offset:16
	scratch_load_b64 v[20:21], off, off offset:8
	ds_load_b128 v[16:19], v1 offset:48
	s_mov_b32 s0, exec_lo
	s_wait_loadcnt_dscnt 0x100
	v_mul_f32_e32 v2, v16, v13
	s_delay_alu instid0(VALU_DEP_1) | instskip(SKIP_2) | instid1(VALU_DEP_1)
	v_fmac_f32_e32 v2, v17, v12
	v_mul_f32_e32 v1, v17, v13
	v_mul_f32_e32 v13, v18, v15
	v_fmac_f32_e32 v13, v19, v14
	s_delay_alu instid0(VALU_DEP_4) | instskip(NEXT) | instid1(VALU_DEP_4)
	v_dual_add_f32 v2, 0, v2 :: v_dual_mul_f32 v15, v19, v15
	v_fma_f32 v1, v16, v12, -v1
	s_delay_alu instid0(VALU_DEP_2) | instskip(NEXT) | instid1(VALU_DEP_3)
	v_add_f32_e32 v2, v2, v13
	v_fma_f32 v12, v18, v14, -v15
	s_wait_loadcnt 0x0
	s_delay_alu instid0(VALU_DEP_2) | instskip(NEXT) | instid1(VALU_DEP_1)
	v_dual_add_f32 v1, 0, v1 :: v_dual_sub_f32 v2, v21, v2
	v_add_f32_e32 v1, v1, v12
	s_delay_alu instid0(VALU_DEP_1)
	v_sub_f32_e32 v1, v20, v1
	scratch_store_b64 off, v[1:2], off offset:8
	v_cmpx_ne_u32_e32 0, v0
	s_cbranch_execz .LBB3_37
; %bb.36:
	scratch_load_b64 v[0:1], off, off
	v_mov_b32_e32 v12, 0
	s_delay_alu instid0(VALU_DEP_1)
	v_mov_b32_e32 v13, v12
	scratch_store_b64 off, v[12:13], off
	s_wait_loadcnt 0x0
	ds_store_b64 v3, v[0:1]
.LBB3_37:
	s_wait_alu 0xfffe
	s_or_b32 exec_lo, exec_lo, s0
	s_wait_storecnt_dscnt 0x0
	s_barrier_signal -1
	s_barrier_wait -1
	global_inv scope:SCOPE_SE
	s_clause 0x2
	scratch_load_b128 v[0:3], off, off offset:8
	scratch_load_b64 v[17:18], off, off offset:24
	scratch_load_b64 v[19:20], off, off
	v_mov_b32_e32 v12, 0
	ds_load_2addr_b64 v[13:16], v12 offset0:5 offset1:6
	ds_load_b64 v[21:22], v12 offset:56
	s_and_b32 vcc_lo, exec_lo, s18
	s_wait_loadcnt_dscnt 0x201
	v_mul_f32_e32 v23, v14, v1
	v_dual_mul_f32 v1, v13, v1 :: v_dual_mul_f32 v24, v15, v3
	s_wait_loadcnt_dscnt 0x100
	v_dual_mul_f32 v25, v21, v18 :: v_dual_mul_f32 v26, v16, v3
	s_delay_alu instid0(VALU_DEP_3) | instskip(NEXT) | instid1(VALU_DEP_3)
	v_fma_f32 v13, v13, v0, -v23
	v_dual_fmac_f32 v1, v14, v0 :: v_dual_fmac_f32 v24, v16, v2
	v_mul_f32_e32 v0, v22, v18
	s_delay_alu instid0(VALU_DEP_4) | instskip(NEXT) | instid1(VALU_DEP_4)
	v_fma_f32 v14, v15, v2, -v26
	v_add_f32_e32 v13, 0, v13
	s_delay_alu instid0(VALU_DEP_3) | instskip(NEXT) | instid1(VALU_DEP_2)
	v_fma_f32 v0, v21, v17, -v0
	v_add_f32_e32 v13, v13, v14
	s_delay_alu instid0(VALU_DEP_1) | instskip(SKIP_1) | instid1(VALU_DEP_2)
	v_dual_add_f32 v1, 0, v1 :: v_dual_add_f32 v0, v13, v0
	v_fmac_f32_e32 v25, v22, v17
	v_add_f32_e32 v1, v1, v24
	s_wait_loadcnt 0x0
	s_delay_alu instid0(VALU_DEP_1) | instskip(NEXT) | instid1(VALU_DEP_1)
	v_dual_sub_f32 v0, v19, v0 :: v_dual_add_f32 v1, v1, v25
	v_sub_f32_e32 v1, v20, v1
	scratch_store_b64 off, v[0:1], off
	s_wait_alu 0xfffe
	s_cbranch_vccz .LBB3_44
; %bb.38:
	global_load_b32 v0, v12, s[2:3] offset:8
	s_wait_loadcnt 0x0
	v_cmp_ne_u32_e32 vcc_lo, 3, v0
	s_cbranch_vccz .LBB3_40
; %bb.39:
	v_lshlrev_b32_e32 v0, 3, v0
	s_delay_alu instid0(VALU_DEP_1)
	v_mov_b32_e32 v12, v0
	scratch_load_b64 v[0:1], v12, off offset:-8
	s_wait_loadcnt 0x0
	scratch_store_b64 off, v[0:1], off offset:16
	scratch_store_b64 v12, v[2:3], off offset:-8
.LBB3_40:
	v_mov_b32_e32 v0, 0
	global_load_b32 v1, v0, s[2:3] offset:4
	s_wait_loadcnt 0x0
	v_cmp_eq_u32_e32 vcc_lo, 2, v1
	s_cbranch_vccnz .LBB3_42
; %bb.41:
	v_lshlrev_b32_e32 v1, 3, v1
	s_delay_alu instid0(VALU_DEP_1)
	v_mov_b32_e32 v3, v1
	scratch_load_b64 v[1:2], v3, off offset:-8
	scratch_load_b64 v[12:13], off, off offset:8
	s_wait_loadcnt 0x1
	scratch_store_b64 off, v[1:2], off offset:8
	s_wait_loadcnt 0x0
	scratch_store_b64 v3, v[12:13], off offset:-8
.LBB3_42:
	global_load_b32 v0, v0, s[2:3]
	s_wait_loadcnt 0x0
	v_cmp_eq_u32_e32 vcc_lo, 1, v0
	s_cbranch_vccnz .LBB3_44
; %bb.43:
	v_lshlrev_b32_e32 v0, 3, v0
	s_delay_alu instid0(VALU_DEP_1)
	v_mov_b32_e32 v12, v0
	scratch_load_b64 v[0:1], v12, off offset:-8
	scratch_load_b64 v[2:3], off, off
	s_wait_loadcnt 0x1
	scratch_store_b64 off, v[0:1], off
	s_wait_loadcnt 0x0
	scratch_store_b64 v12, v[2:3], off offset:-8
.LBB3_44:
	s_clause 0x1
	scratch_load_b128 v[0:3], off, off
	scratch_load_b128 v[12:15], off, off offset:16
	s_wait_loadcnt 0x1
	s_clause 0x1
	global_store_b64 v[4:5], v[0:1], off
	global_store_b64 v[6:7], v[2:3], off
	s_wait_loadcnt 0x0
	s_clause 0x1
	global_store_b64 v[8:9], v[12:13], off
	global_store_b64 v[10:11], v[14:15], off
	s_endpgm
	.section	.rodata,"a",@progbits
	.p2align	6, 0x0
	.amdhsa_kernel _ZN9rocsolver6v33100L18getri_kernel_smallILi4E19rocblas_complex_numIfEPS3_EEvT1_iilPiilS6_bb
		.amdhsa_group_segment_fixed_size 68
		.amdhsa_private_segment_fixed_size 48
		.amdhsa_kernarg_size 60
		.amdhsa_user_sgpr_count 2
		.amdhsa_user_sgpr_dispatch_ptr 0
		.amdhsa_user_sgpr_queue_ptr 0
		.amdhsa_user_sgpr_kernarg_segment_ptr 1
		.amdhsa_user_sgpr_dispatch_id 0
		.amdhsa_user_sgpr_private_segment_size 0
		.amdhsa_wavefront_size32 1
		.amdhsa_uses_dynamic_stack 0
		.amdhsa_enable_private_segment 1
		.amdhsa_system_sgpr_workgroup_id_x 1
		.amdhsa_system_sgpr_workgroup_id_y 0
		.amdhsa_system_sgpr_workgroup_id_z 0
		.amdhsa_system_sgpr_workgroup_info 0
		.amdhsa_system_vgpr_workitem_id 0
		.amdhsa_next_free_vgpr 27
		.amdhsa_next_free_sgpr 19
		.amdhsa_reserve_vcc 1
		.amdhsa_float_round_mode_32 0
		.amdhsa_float_round_mode_16_64 0
		.amdhsa_float_denorm_mode_32 3
		.amdhsa_float_denorm_mode_16_64 3
		.amdhsa_fp16_overflow 0
		.amdhsa_workgroup_processor_mode 1
		.amdhsa_memory_ordered 1
		.amdhsa_forward_progress 1
		.amdhsa_inst_pref_size 25
		.amdhsa_round_robin_scheduling 0
		.amdhsa_exception_fp_ieee_invalid_op 0
		.amdhsa_exception_fp_denorm_src 0
		.amdhsa_exception_fp_ieee_div_zero 0
		.amdhsa_exception_fp_ieee_overflow 0
		.amdhsa_exception_fp_ieee_underflow 0
		.amdhsa_exception_fp_ieee_inexact 0
		.amdhsa_exception_int_div_zero 0
	.end_amdhsa_kernel
	.section	.text._ZN9rocsolver6v33100L18getri_kernel_smallILi4E19rocblas_complex_numIfEPS3_EEvT1_iilPiilS6_bb,"axG",@progbits,_ZN9rocsolver6v33100L18getri_kernel_smallILi4E19rocblas_complex_numIfEPS3_EEvT1_iilPiilS6_bb,comdat
.Lfunc_end3:
	.size	_ZN9rocsolver6v33100L18getri_kernel_smallILi4E19rocblas_complex_numIfEPS3_EEvT1_iilPiilS6_bb, .Lfunc_end3-_ZN9rocsolver6v33100L18getri_kernel_smallILi4E19rocblas_complex_numIfEPS3_EEvT1_iilPiilS6_bb
                                        ; -- End function
	.set _ZN9rocsolver6v33100L18getri_kernel_smallILi4E19rocblas_complex_numIfEPS3_EEvT1_iilPiilS6_bb.num_vgpr, 27
	.set _ZN9rocsolver6v33100L18getri_kernel_smallILi4E19rocblas_complex_numIfEPS3_EEvT1_iilPiilS6_bb.num_agpr, 0
	.set _ZN9rocsolver6v33100L18getri_kernel_smallILi4E19rocblas_complex_numIfEPS3_EEvT1_iilPiilS6_bb.numbered_sgpr, 19
	.set _ZN9rocsolver6v33100L18getri_kernel_smallILi4E19rocblas_complex_numIfEPS3_EEvT1_iilPiilS6_bb.num_named_barrier, 0
	.set _ZN9rocsolver6v33100L18getri_kernel_smallILi4E19rocblas_complex_numIfEPS3_EEvT1_iilPiilS6_bb.private_seg_size, 48
	.set _ZN9rocsolver6v33100L18getri_kernel_smallILi4E19rocblas_complex_numIfEPS3_EEvT1_iilPiilS6_bb.uses_vcc, 1
	.set _ZN9rocsolver6v33100L18getri_kernel_smallILi4E19rocblas_complex_numIfEPS3_EEvT1_iilPiilS6_bb.uses_flat_scratch, 1
	.set _ZN9rocsolver6v33100L18getri_kernel_smallILi4E19rocblas_complex_numIfEPS3_EEvT1_iilPiilS6_bb.has_dyn_sized_stack, 0
	.set _ZN9rocsolver6v33100L18getri_kernel_smallILi4E19rocblas_complex_numIfEPS3_EEvT1_iilPiilS6_bb.has_recursion, 0
	.set _ZN9rocsolver6v33100L18getri_kernel_smallILi4E19rocblas_complex_numIfEPS3_EEvT1_iilPiilS6_bb.has_indirect_call, 0
	.section	.AMDGPU.csdata,"",@progbits
; Kernel info:
; codeLenInByte = 3160
; TotalNumSgprs: 21
; NumVgprs: 27
; ScratchSize: 48
; MemoryBound: 0
; FloatMode: 240
; IeeeMode: 1
; LDSByteSize: 68 bytes/workgroup (compile time only)
; SGPRBlocks: 0
; VGPRBlocks: 3
; NumSGPRsForWavesPerEU: 21
; NumVGPRsForWavesPerEU: 27
; Occupancy: 16
; WaveLimiterHint : 0
; COMPUTE_PGM_RSRC2:SCRATCH_EN: 1
; COMPUTE_PGM_RSRC2:USER_SGPR: 2
; COMPUTE_PGM_RSRC2:TRAP_HANDLER: 0
; COMPUTE_PGM_RSRC2:TGID_X_EN: 1
; COMPUTE_PGM_RSRC2:TGID_Y_EN: 0
; COMPUTE_PGM_RSRC2:TGID_Z_EN: 0
; COMPUTE_PGM_RSRC2:TIDIG_COMP_CNT: 0
	.section	.text._ZN9rocsolver6v33100L18getri_kernel_smallILi5E19rocblas_complex_numIfEPS3_EEvT1_iilPiilS6_bb,"axG",@progbits,_ZN9rocsolver6v33100L18getri_kernel_smallILi5E19rocblas_complex_numIfEPS3_EEvT1_iilPiilS6_bb,comdat
	.globl	_ZN9rocsolver6v33100L18getri_kernel_smallILi5E19rocblas_complex_numIfEPS3_EEvT1_iilPiilS6_bb ; -- Begin function _ZN9rocsolver6v33100L18getri_kernel_smallILi5E19rocblas_complex_numIfEPS3_EEvT1_iilPiilS6_bb
	.p2align	8
	.type	_ZN9rocsolver6v33100L18getri_kernel_smallILi5E19rocblas_complex_numIfEPS3_EEvT1_iilPiilS6_bb,@function
_ZN9rocsolver6v33100L18getri_kernel_smallILi5E19rocblas_complex_numIfEPS3_EEvT1_iilPiilS6_bb: ; @_ZN9rocsolver6v33100L18getri_kernel_smallILi5E19rocblas_complex_numIfEPS3_EEvT1_iilPiilS6_bb
; %bb.0:
	s_mov_b32 s2, exec_lo
	v_cmpx_gt_u32_e32 5, v0
	s_cbranch_execz .LBB4_34
; %bb.1:
	s_clause 0x2
	s_load_b32 s2, s[0:1], 0x38
	s_load_b128 s[12:15], s[0:1], 0x10
	s_load_b128 s[4:7], s[0:1], 0x28
	s_mov_b32 s16, ttmp9
	s_wait_kmcnt 0x0
	s_bitcmp1_b32 s2, 8
	s_cselect_b32 s18, -1, 0
	s_bfe_u32 s2, s2, 0x10008
	s_ashr_i32 s17, ttmp9, 31
	s_cmp_eq_u32 s2, 0
                                        ; implicit-def: $sgpr2_sgpr3
	s_cbranch_scc1 .LBB4_3
; %bb.2:
	s_load_b32 s2, s[0:1], 0x20
	s_mul_u64 s[4:5], s[4:5], s[16:17]
	s_delay_alu instid0(SALU_CYCLE_1) | instskip(NEXT) | instid1(SALU_CYCLE_1)
	s_lshl_b64 s[4:5], s[4:5], 2
	s_add_nc_u64 s[4:5], s[14:15], s[4:5]
	s_wait_kmcnt 0x0
	s_ashr_i32 s3, s2, 31
	s_delay_alu instid0(SALU_CYCLE_1) | instskip(NEXT) | instid1(SALU_CYCLE_1)
	s_lshl_b64 s[2:3], s[2:3], 2
	s_add_nc_u64 s[2:3], s[4:5], s[2:3]
.LBB4_3:
	s_clause 0x1
	s_load_b128 s[8:11], s[0:1], 0x0
	s_load_b32 s14, s[0:1], 0x38
	s_mul_u64 s[0:1], s[12:13], s[16:17]
	v_lshlrev_b32_e32 v3, 3, v0
	s_lshl_b64 s[0:1], s[0:1], 3
	s_wait_kmcnt 0x0
	v_add3_u32 v1, s11, s11, v0
	s_ashr_i32 s5, s10, 31
	s_mov_b32 s4, s10
	s_add_nc_u64 s[0:1], s[8:9], s[0:1]
	s_lshl_b64 s[4:5], s[4:5], 3
	v_add_nc_u32_e32 v8, s11, v1
	v_ashrrev_i32_e32 v2, 31, v1
	s_add_nc_u64 s[0:1], s[0:1], s[4:5]
	s_ashr_i32 s9, s11, 31
	v_add_co_u32 v4, s4, s0, v3
	v_add_nc_u32_e32 v10, s11, v8
	s_mov_b32 s8, s11
	v_lshlrev_b64_e32 v[1:2], 3, v[1:2]
	v_add_co_ci_u32_e64 v5, null, s1, 0, s4
	v_ashrrev_i32_e32 v9, 31, v8
	s_lshl_b64 s[8:9], s[8:9], 3
	v_ashrrev_i32_e32 v11, 31, v10
	v_add_co_u32 v6, vcc_lo, v4, s8
	s_delay_alu instid0(VALU_DEP_1)
	v_add_co_ci_u32_e64 v7, null, s9, v5, vcc_lo
	v_lshlrev_b64_e32 v[12:13], 3, v[8:9]
	v_add_co_u32 v8, vcc_lo, s0, v1
	s_wait_alu 0xfffd
	v_add_co_ci_u32_e64 v9, null, s1, v2, vcc_lo
	v_lshlrev_b64_e32 v[1:2], 3, v[10:11]
	s_delay_alu instid0(VALU_DEP_4)
	v_add_co_u32 v10, vcc_lo, s0, v12
	s_wait_alu 0xfffd
	v_add_co_ci_u32_e64 v11, null, s1, v13, vcc_lo
	global_load_b64 v[14:15], v3, s[0:1]
	v_add_co_u32 v12, vcc_lo, s0, v1
	s_wait_alu 0xfffd
	v_add_co_ci_u32_e64 v13, null, s1, v2, vcc_lo
	s_clause 0x3
	global_load_b64 v[16:17], v[6:7], off
	global_load_b64 v[18:19], v[8:9], off
	global_load_b64 v[20:21], v[10:11], off
	global_load_b64 v[1:2], v[12:13], off
	s_bitcmp0_b32 s14, 0
	s_mov_b32 s1, -1
	s_wait_loadcnt 0x3
	scratch_store_b128 off, v[14:17], off
	s_wait_loadcnt 0x1
	scratch_store_b128 off, v[18:21], off offset:16
	s_wait_loadcnt 0x0
	scratch_store_b64 off, v[1:2], off offset:32
	s_cbranch_scc1 .LBB4_32
; %bb.4:
	v_cmp_eq_u32_e64 s0, 0, v0
	s_and_saveexec_b32 s1, s0
; %bb.5:
	v_mov_b32_e32 v1, 0
	ds_store_b32 v1, v1 offset:40
; %bb.6:
	s_wait_alu 0xfffe
	s_or_b32 exec_lo, exec_lo, s1
	s_wait_storecnt_dscnt 0x0
	s_barrier_signal -1
	s_barrier_wait -1
	global_inv scope:SCOPE_SE
	scratch_load_b64 v[1:2], v3, off
	s_wait_loadcnt 0x0
	v_cmp_eq_f32_e32 vcc_lo, 0, v1
	v_cmp_eq_f32_e64 s1, 0, v2
	s_and_b32 s1, vcc_lo, s1
	s_wait_alu 0xfffe
	s_and_saveexec_b32 s4, s1
	s_cbranch_execz .LBB4_10
; %bb.7:
	v_mov_b32_e32 v1, 0
	s_mov_b32 s5, 0
	ds_load_b32 v2, v1 offset:40
	s_wait_dscnt 0x0
	v_readfirstlane_b32 s1, v2
	v_add_nc_u32_e32 v2, 1, v0
	s_cmp_eq_u32 s1, 0
	s_delay_alu instid0(VALU_DEP_1)
	v_cmp_gt_i32_e32 vcc_lo, s1, v2
	s_cselect_b32 s8, -1, 0
	s_wait_alu 0xfffe
	s_or_b32 s8, s8, vcc_lo
	s_wait_alu 0xfffe
	s_and_b32 exec_lo, exec_lo, s8
	s_cbranch_execz .LBB4_10
; %bb.8:
	v_mov_b32_e32 v14, s1
.LBB4_9:                                ; =>This Inner Loop Header: Depth=1
	ds_cmpstore_rtn_b32 v14, v1, v2, v14 offset:40
	s_wait_dscnt 0x0
	v_cmp_ne_u32_e32 vcc_lo, 0, v14
	v_cmp_le_i32_e64 s1, v14, v2
	s_and_b32 s1, vcc_lo, s1
	s_wait_alu 0xfffe
	s_and_b32 s1, exec_lo, s1
	s_wait_alu 0xfffe
	s_or_b32 s5, s1, s5
	s_wait_alu 0xfffe
	s_and_not1_b32 exec_lo, exec_lo, s5
	s_cbranch_execnz .LBB4_9
.LBB4_10:
	s_wait_alu 0xfffe
	s_or_b32 exec_lo, exec_lo, s4
	v_mov_b32_e32 v1, 0
	s_barrier_signal -1
	s_barrier_wait -1
	global_inv scope:SCOPE_SE
	ds_load_b32 v2, v1 offset:40
	s_and_saveexec_b32 s1, s0
	s_cbranch_execz .LBB4_12
; %bb.11:
	s_lshl_b64 s[4:5], s[16:17], 2
	s_wait_alu 0xfffe
	s_add_nc_u64 s[4:5], s[6:7], s[4:5]
	s_wait_dscnt 0x0
	global_store_b32 v1, v2, s[4:5]
.LBB4_12:
	s_wait_alu 0xfffe
	s_or_b32 exec_lo, exec_lo, s1
	s_wait_dscnt 0x0
	v_cmp_ne_u32_e32 vcc_lo, 0, v2
	s_mov_b32 s1, 0
	s_cbranch_vccnz .LBB4_32
; %bb.13:
	v_mov_b32_e32 v18, v3
                                        ; implicit-def: $vgpr14
                                        ; implicit-def: $vgpr16
	scratch_load_b64 v[1:2], v18, off
	s_wait_loadcnt 0x0
	v_cmp_ngt_f32_e64 s1, |v1|, |v2|
	s_wait_alu 0xfffe
	s_and_saveexec_b32 s4, s1
	s_wait_alu 0xfffe
	s_xor_b32 s1, exec_lo, s4
	s_cbranch_execz .LBB4_15
; %bb.14:
	v_div_scale_f32 v14, null, v2, v2, v1
	v_div_scale_f32 v17, vcc_lo, v1, v2, v1
	s_delay_alu instid0(VALU_DEP_2) | instskip(NEXT) | instid1(TRANS32_DEP_1)
	v_rcp_f32_e32 v15, v14
	v_fma_f32 v16, -v14, v15, 1.0
	s_delay_alu instid0(VALU_DEP_1) | instskip(NEXT) | instid1(VALU_DEP_1)
	v_fmac_f32_e32 v15, v16, v15
	v_mul_f32_e32 v16, v17, v15
	s_delay_alu instid0(VALU_DEP_1) | instskip(NEXT) | instid1(VALU_DEP_1)
	v_fma_f32 v19, -v14, v16, v17
	v_fmac_f32_e32 v16, v19, v15
	s_delay_alu instid0(VALU_DEP_1) | instskip(SKIP_1) | instid1(VALU_DEP_1)
	v_fma_f32 v14, -v14, v16, v17
	s_wait_alu 0xfffd
	v_div_fmas_f32 v14, v14, v15, v16
	s_delay_alu instid0(VALU_DEP_1) | instskip(NEXT) | instid1(VALU_DEP_1)
	v_div_fixup_f32 v14, v14, v2, v1
	v_fmac_f32_e32 v2, v1, v14
	s_delay_alu instid0(VALU_DEP_1) | instskip(NEXT) | instid1(VALU_DEP_1)
	v_div_scale_f32 v1, null, v2, v2, 1.0
	v_rcp_f32_e32 v15, v1
	s_delay_alu instid0(TRANS32_DEP_1) | instskip(NEXT) | instid1(VALU_DEP_1)
	v_fma_f32 v16, -v1, v15, 1.0
	v_fmac_f32_e32 v15, v16, v15
	v_div_scale_f32 v16, vcc_lo, 1.0, v2, 1.0
	s_delay_alu instid0(VALU_DEP_1) | instskip(NEXT) | instid1(VALU_DEP_1)
	v_mul_f32_e32 v17, v16, v15
	v_fma_f32 v19, -v1, v17, v16
	s_delay_alu instid0(VALU_DEP_1) | instskip(NEXT) | instid1(VALU_DEP_1)
	v_fmac_f32_e32 v17, v19, v15
	v_fma_f32 v1, -v1, v17, v16
	s_wait_alu 0xfffd
	s_delay_alu instid0(VALU_DEP_1) | instskip(NEXT) | instid1(VALU_DEP_1)
	v_div_fmas_f32 v1, v1, v15, v17
	v_div_fixup_f32 v1, v1, v2, 1.0
	s_delay_alu instid0(VALU_DEP_1) | instskip(SKIP_1) | instid1(VALU_DEP_2)
	v_mul_f32_e32 v14, v14, v1
	v_xor_b32_e32 v15, 0x80000000, v1
                                        ; implicit-def: $vgpr1_vgpr2
	v_xor_b32_e32 v16, 0x80000000, v14
.LBB4_15:
	s_wait_alu 0xfffe
	s_and_not1_saveexec_b32 s1, s1
	s_cbranch_execz .LBB4_17
; %bb.16:
	v_div_scale_f32 v14, null, v1, v1, v2
	v_div_scale_f32 v17, vcc_lo, v2, v1, v2
	s_delay_alu instid0(VALU_DEP_2) | instskip(NEXT) | instid1(TRANS32_DEP_1)
	v_rcp_f32_e32 v15, v14
	v_fma_f32 v16, -v14, v15, 1.0
	s_delay_alu instid0(VALU_DEP_1) | instskip(NEXT) | instid1(VALU_DEP_1)
	v_fmac_f32_e32 v15, v16, v15
	v_mul_f32_e32 v16, v17, v15
	s_delay_alu instid0(VALU_DEP_1) | instskip(NEXT) | instid1(VALU_DEP_1)
	v_fma_f32 v19, -v14, v16, v17
	v_fmac_f32_e32 v16, v19, v15
	s_delay_alu instid0(VALU_DEP_1) | instskip(SKIP_1) | instid1(VALU_DEP_1)
	v_fma_f32 v14, -v14, v16, v17
	s_wait_alu 0xfffd
	v_div_fmas_f32 v14, v14, v15, v16
	s_delay_alu instid0(VALU_DEP_1) | instskip(NEXT) | instid1(VALU_DEP_1)
	v_div_fixup_f32 v15, v14, v1, v2
	v_fmac_f32_e32 v1, v2, v15
	s_delay_alu instid0(VALU_DEP_1) | instskip(NEXT) | instid1(VALU_DEP_1)
	v_div_scale_f32 v2, null, v1, v1, 1.0
	v_rcp_f32_e32 v14, v2
	s_delay_alu instid0(TRANS32_DEP_1) | instskip(NEXT) | instid1(VALU_DEP_1)
	v_fma_f32 v16, -v2, v14, 1.0
	v_fmac_f32_e32 v14, v16, v14
	v_div_scale_f32 v17, vcc_lo, 1.0, v1, 1.0
	s_delay_alu instid0(VALU_DEP_1) | instskip(NEXT) | instid1(VALU_DEP_1)
	v_mul_f32_e32 v16, v17, v14
	v_fma_f32 v19, -v2, v16, v17
	s_delay_alu instid0(VALU_DEP_1) | instskip(NEXT) | instid1(VALU_DEP_1)
	v_fmac_f32_e32 v16, v19, v14
	v_fma_f32 v2, -v2, v16, v17
	s_wait_alu 0xfffd
	s_delay_alu instid0(VALU_DEP_1) | instskip(NEXT) | instid1(VALU_DEP_1)
	v_div_fmas_f32 v2, v2, v14, v16
	v_div_fixup_f32 v14, v2, v1, 1.0
	s_delay_alu instid0(VALU_DEP_1)
	v_xor_b32_e32 v16, 0x80000000, v14
	v_mul_f32_e64 v15, v15, -v14
.LBB4_17:
	s_wait_alu 0xfffe
	s_or_b32 exec_lo, exec_lo, s1
	scratch_store_b64 v18, v[14:15], off
	scratch_load_b64 v[19:20], off, off offset:8
	v_xor_b32_e32 v17, 0x80000000, v15
	v_add_nc_u32_e32 v1, 48, v3
	s_wait_loadcnt 0x0
	ds_store_2addr_b64 v3, v[16:17], v[19:20] offset1:6
	s_wait_storecnt_dscnt 0x0
	s_barrier_signal -1
	s_barrier_wait -1
	global_inv scope:SCOPE_SE
	s_and_saveexec_b32 s1, s0
	s_cbranch_execz .LBB4_19
; %bb.18:
	scratch_load_b64 v[14:15], v18, off
	ds_load_b64 v[16:17], v1
	v_mov_b32_e32 v2, 0
	ds_load_b64 v[19:20], v2 offset:8
	s_wait_loadcnt_dscnt 0x1
	v_mul_f32_e32 v2, v16, v15
	v_mul_f32_e32 v15, v17, v15
	s_delay_alu instid0(VALU_DEP_2) | instskip(NEXT) | instid1(VALU_DEP_2)
	v_fmac_f32_e32 v2, v17, v14
	v_fma_f32 v14, v16, v14, -v15
	s_delay_alu instid0(VALU_DEP_2) | instskip(NEXT) | instid1(VALU_DEP_2)
	v_add_f32_e32 v2, 0, v2
	v_add_f32_e32 v14, 0, v14
	s_wait_dscnt 0x0
	s_delay_alu instid0(VALU_DEP_2) | instskip(NEXT) | instid1(VALU_DEP_2)
	v_mul_f32_e32 v16, v2, v20
	v_mul_f32_e32 v15, v14, v20
	s_delay_alu instid0(VALU_DEP_1) | instskip(NEXT) | instid1(VALU_DEP_3)
	v_fmac_f32_e32 v15, v2, v19
	v_fma_f32 v14, v14, v19, -v16
	scratch_store_b64 off, v[14:15], off offset:8
.LBB4_19:
	s_wait_alu 0xfffe
	s_or_b32 exec_lo, exec_lo, s1
	s_wait_loadcnt 0x0
	s_wait_storecnt 0x0
	s_barrier_signal -1
	s_barrier_wait -1
	global_inv scope:SCOPE_SE
	scratch_load_b64 v[14:15], off, off offset:16
	s_mov_b32 s1, exec_lo
	s_wait_loadcnt 0x0
	ds_store_b64 v1, v[14:15]
	s_wait_dscnt 0x0
	s_barrier_signal -1
	s_barrier_wait -1
	global_inv scope:SCOPE_SE
	v_cmpx_gt_u32_e32 2, v0
	s_cbranch_execz .LBB4_23
; %bb.20:
	scratch_load_b64 v[14:15], v18, off
	ds_load_b64 v[16:17], v1
	s_wait_loadcnt_dscnt 0x0
	v_mul_f32_e32 v2, v17, v15
	s_delay_alu instid0(VALU_DEP_1) | instskip(SKIP_1) | instid1(VALU_DEP_1)
	v_fma_f32 v2, v16, v14, -v2
	v_mul_f32_e32 v15, v16, v15
	v_fmac_f32_e32 v15, v17, v14
	s_delay_alu instid0(VALU_DEP_3) | instskip(NEXT) | instid1(VALU_DEP_2)
	v_add_f32_e32 v14, 0, v2
	v_add_f32_e32 v2, 0, v15
	s_and_saveexec_b32 s4, s0
	s_cbranch_execz .LBB4_22
; %bb.21:
	scratch_load_b64 v[15:16], off, off offset:8
	v_mov_b32_e32 v17, 0
	ds_load_b64 v[19:20], v17 offset:56
	s_wait_loadcnt_dscnt 0x0
	v_mul_f32_e32 v17, v19, v16
	v_mul_f32_e32 v16, v20, v16
	s_delay_alu instid0(VALU_DEP_2) | instskip(NEXT) | instid1(VALU_DEP_2)
	v_fmac_f32_e32 v17, v20, v15
	v_fma_f32 v15, v19, v15, -v16
	s_delay_alu instid0(VALU_DEP_2) | instskip(NEXT) | instid1(VALU_DEP_2)
	v_add_f32_e32 v2, v2, v17
	v_add_f32_e32 v14, v14, v15
.LBB4_22:
	s_wait_alu 0xfffe
	s_or_b32 exec_lo, exec_lo, s4
	v_mov_b32_e32 v15, 0
	ds_load_b64 v[15:16], v15 offset:16
	s_wait_dscnt 0x0
	v_mul_f32_e32 v19, v2, v16
	v_mul_f32_e32 v17, v14, v16
	s_delay_alu instid0(VALU_DEP_2) | instskip(NEXT) | instid1(VALU_DEP_2)
	v_fma_f32 v16, v14, v15, -v19
	v_fmac_f32_e32 v17, v2, v15
	scratch_store_b64 off, v[16:17], off offset:16
.LBB4_23:
	s_wait_alu 0xfffe
	s_or_b32 exec_lo, exec_lo, s1
	s_wait_loadcnt 0x0
	s_wait_storecnt 0x0
	s_barrier_signal -1
	s_barrier_wait -1
	global_inv scope:SCOPE_SE
	scratch_load_b64 v[14:15], off, off offset:24
	v_add_nc_u32_e32 v2, -1, v0
	s_mov_b32 s0, exec_lo
	s_wait_loadcnt 0x0
	ds_store_b64 v1, v[14:15]
	s_wait_dscnt 0x0
	s_barrier_signal -1
	s_barrier_wait -1
	global_inv scope:SCOPE_SE
	v_cmpx_gt_u32_e32 3, v0
	s_cbranch_execz .LBB4_27
; %bb.24:
	v_add_nc_u32_e32 v14, -1, v0
	v_dual_mov_b32 v16, v3 :: v_dual_add_nc_u32 v15, 48, v3
	v_mov_b32_e32 v3, 0
	v_mov_b32_e32 v17, 0
	s_mov_b32 s1, 0
.LBB4_25:                               ; =>This Inner Loop Header: Depth=1
	scratch_load_b64 v[19:20], v16, off
	ds_load_b64 v[21:22], v15
	v_add_nc_u32_e32 v16, 8, v16
	v_add_nc_u32_e32 v14, 1, v14
	;; [unrolled: 1-line block ×3, first 2 shown]
	s_delay_alu instid0(VALU_DEP_2)
	v_cmp_lt_u32_e32 vcc_lo, 1, v14
	s_wait_alu 0xfffe
	s_or_b32 s1, vcc_lo, s1
	s_wait_loadcnt_dscnt 0x0
	v_mul_f32_e32 v23, v22, v20
	v_mul_f32_e32 v20, v21, v20
	s_delay_alu instid0(VALU_DEP_2) | instskip(NEXT) | instid1(VALU_DEP_1)
	v_fma_f32 v21, v21, v19, -v23
	v_dual_fmac_f32 v20, v22, v19 :: v_dual_add_f32 v17, v17, v21
	s_delay_alu instid0(VALU_DEP_1)
	v_add_f32_e32 v3, v3, v20
	s_wait_alu 0xfffe
	s_and_not1_b32 exec_lo, exec_lo, s1
	s_cbranch_execnz .LBB4_25
; %bb.26:
	s_or_b32 exec_lo, exec_lo, s1
	v_mov_b32_e32 v14, 0
	ds_load_b64 v[14:15], v14 offset:24
	s_wait_dscnt 0x0
	v_mul_f32_e32 v19, v3, v15
	v_mul_f32_e32 v16, v17, v15
	s_delay_alu instid0(VALU_DEP_2) | instskip(NEXT) | instid1(VALU_DEP_2)
	v_fma_f32 v15, v17, v14, -v19
	v_fmac_f32_e32 v16, v3, v14
	scratch_store_b64 off, v[15:16], off offset:24
.LBB4_27:
	s_wait_alu 0xfffe
	s_or_b32 exec_lo, exec_lo, s0
	s_wait_loadcnt 0x0
	s_wait_storecnt 0x0
	s_barrier_signal -1
	s_barrier_wait -1
	global_inv scope:SCOPE_SE
	scratch_load_b64 v[14:15], off, off offset:32
	s_mov_b32 s0, exec_lo
	s_wait_loadcnt 0x0
	ds_store_b64 v1, v[14:15]
	s_wait_dscnt 0x0
	s_barrier_signal -1
	s_barrier_wait -1
	global_inv scope:SCOPE_SE
	v_cmpx_ne_u32_e32 4, v0
	s_cbranch_execz .LBB4_31
; %bb.28:
	v_dual_mov_b32 v3, 0 :: v_dual_mov_b32 v14, 0
	s_mov_b32 s1, 0
.LBB4_29:                               ; =>This Inner Loop Header: Depth=1
	scratch_load_b64 v[15:16], v18, off
	ds_load_b64 v[19:20], v1
	v_add_nc_u32_e32 v2, 1, v2
	v_add_nc_u32_e32 v1, 8, v1
	s_delay_alu instid0(VALU_DEP_2)
	v_cmp_lt_u32_e32 vcc_lo, 2, v2
	s_wait_alu 0xfffe
	s_or_b32 s1, vcc_lo, s1
	s_wait_loadcnt_dscnt 0x0
	v_mul_f32_e32 v17, v20, v16
	v_mul_f32_e32 v16, v19, v16
	s_delay_alu instid0(VALU_DEP_2) | instskip(NEXT) | instid1(VALU_DEP_2)
	v_fma_f32 v17, v19, v15, -v17
	v_fmac_f32_e32 v16, v20, v15
	v_add_nc_u32_e32 v18, 8, v18
	s_delay_alu instid0(VALU_DEP_2)
	v_dual_add_f32 v14, v14, v17 :: v_dual_add_f32 v3, v3, v16
	s_wait_alu 0xfffe
	s_and_not1_b32 exec_lo, exec_lo, s1
	s_cbranch_execnz .LBB4_29
; %bb.30:
	s_or_b32 exec_lo, exec_lo, s1
	v_mov_b32_e32 v1, 0
	ds_load_b64 v[1:2], v1 offset:32
	s_wait_dscnt 0x0
	v_mul_f32_e32 v16, v3, v2
	v_mul_f32_e32 v15, v14, v2
	s_delay_alu instid0(VALU_DEP_2) | instskip(NEXT) | instid1(VALU_DEP_2)
	v_fma_f32 v14, v14, v1, -v16
	v_fmac_f32_e32 v15, v3, v1
	scratch_store_b64 off, v[14:15], off offset:32
.LBB4_31:
	s_wait_alu 0xfffe
	s_or_b32 exec_lo, exec_lo, s0
	s_mov_b32 s1, -1
	s_wait_loadcnt 0x0
	s_wait_storecnt 0x0
	s_barrier_signal -1
	s_barrier_wait -1
	global_inv scope:SCOPE_SE
.LBB4_32:
	s_wait_alu 0xfffe
	s_and_b32 vcc_lo, exec_lo, s1
	s_wait_alu 0xfffe
	s_cbranch_vccz .LBB4_34
; %bb.33:
	v_mov_b32_e32 v1, 0
	s_lshl_b64 s[0:1], s[16:17], 2
	s_wait_alu 0xfffe
	s_add_nc_u64 s[0:1], s[6:7], s[0:1]
	global_load_b32 v1, v1, s[0:1]
	s_wait_loadcnt 0x0
	v_cmp_ne_u32_e32 vcc_lo, 0, v1
	s_cbranch_vccz .LBB4_35
.LBB4_34:
	s_endpgm
.LBB4_35:
	v_lshl_add_u32 v3, v0, 3, 48
	s_mov_b32 s0, exec_lo
	v_cmpx_eq_u32_e32 4, v0
	s_cbranch_execz .LBB4_37
; %bb.36:
	scratch_load_b64 v[1:2], off, off offset:24
	v_mov_b32_e32 v14, 0
	s_delay_alu instid0(VALU_DEP_1)
	v_mov_b32_e32 v15, v14
	scratch_store_b64 off, v[14:15], off offset:24
	s_wait_loadcnt 0x0
	ds_store_b64 v3, v[1:2]
.LBB4_37:
	s_wait_alu 0xfffe
	s_or_b32 exec_lo, exec_lo, s0
	s_wait_storecnt_dscnt 0x0
	s_barrier_signal -1
	s_barrier_wait -1
	global_inv scope:SCOPE_SE
	s_clause 0x1
	scratch_load_b64 v[14:15], off, off offset:32
	scratch_load_b64 v[16:17], off, off offset:24
	v_mov_b32_e32 v1, 0
	s_mov_b32 s0, exec_lo
	ds_load_b64 v[18:19], v1 offset:80
	s_wait_loadcnt_dscnt 0x100
	v_mul_f32_e32 v2, v19, v15
	s_delay_alu instid0(VALU_DEP_1) | instskip(NEXT) | instid1(VALU_DEP_1)
	v_fma_f32 v2, v18, v14, -v2
	v_dual_mul_f32 v15, v18, v15 :: v_dual_add_f32 v2, 0, v2
	s_delay_alu instid0(VALU_DEP_1) | instskip(SKIP_1) | instid1(VALU_DEP_1)
	v_fmac_f32_e32 v15, v19, v14
	s_wait_loadcnt 0x0
	v_dual_sub_f32 v14, v16, v2 :: v_dual_add_f32 v15, 0, v15
	s_delay_alu instid0(VALU_DEP_1)
	v_sub_f32_e32 v15, v17, v15
	scratch_store_b64 off, v[14:15], off offset:24
	v_cmpx_lt_u32_e32 2, v0
	s_cbranch_execz .LBB4_39
; %bb.38:
	scratch_load_b64 v[14:15], off, off offset:16
	v_mov_b32_e32 v2, v1
	scratch_store_b64 off, v[1:2], off offset:16
	s_wait_loadcnt 0x0
	ds_store_b64 v3, v[14:15]
.LBB4_39:
	s_wait_alu 0xfffe
	s_or_b32 exec_lo, exec_lo, s0
	s_wait_storecnt_dscnt 0x0
	s_barrier_signal -1
	s_barrier_wait -1
	global_inv scope:SCOPE_SE
	s_clause 0x1
	scratch_load_b128 v[14:17], off, off offset:24
	scratch_load_b64 v[22:23], off, off offset:16
	ds_load_2addr_b64 v[18:21], v1 offset0:9 offset1:10
	s_mov_b32 s0, exec_lo
	s_wait_loadcnt_dscnt 0x100
	v_mul_f32_e32 v2, v18, v15
	s_delay_alu instid0(VALU_DEP_1) | instskip(SKIP_2) | instid1(VALU_DEP_1)
	v_fmac_f32_e32 v2, v19, v14
	v_mul_f32_e32 v1, v19, v15
	v_mul_f32_e32 v15, v20, v17
	v_dual_fmac_f32 v15, v21, v16 :: v_dual_add_f32 v2, 0, v2
	v_mul_f32_e32 v17, v21, v17
	s_delay_alu instid0(VALU_DEP_4) | instskip(NEXT) | instid1(VALU_DEP_3)
	v_fma_f32 v1, v18, v14, -v1
	v_add_f32_e32 v2, v2, v15
	s_delay_alu instid0(VALU_DEP_3) | instskip(SKIP_1) | instid1(VALU_DEP_2)
	v_fma_f32 v14, v20, v16, -v17
	s_wait_loadcnt 0x0
	v_dual_add_f32 v1, 0, v1 :: v_dual_sub_f32 v2, v23, v2
	s_delay_alu instid0(VALU_DEP_1) | instskip(NEXT) | instid1(VALU_DEP_1)
	v_add_f32_e32 v1, v1, v14
	v_sub_f32_e32 v1, v22, v1
	scratch_store_b64 off, v[1:2], off offset:16
	v_cmpx_lt_u32_e32 1, v0
	s_cbranch_execz .LBB4_41
; %bb.40:
	scratch_load_b64 v[1:2], off, off offset:8
	v_mov_b32_e32 v14, 0
	s_delay_alu instid0(VALU_DEP_1)
	v_mov_b32_e32 v15, v14
	scratch_store_b64 off, v[14:15], off offset:8
	s_wait_loadcnt 0x0
	ds_store_b64 v3, v[1:2]
.LBB4_41:
	s_wait_alu 0xfffe
	s_or_b32 exec_lo, exec_lo, s0
	s_wait_storecnt_dscnt 0x0
	s_barrier_signal -1
	s_barrier_wait -1
	global_inv scope:SCOPE_SE
	s_clause 0x2
	scratch_load_b128 v[15:18], off, off offset:16
	scratch_load_b64 v[1:2], off, off offset:32
	scratch_load_b64 v[23:24], off, off offset:8
	v_mov_b32_e32 v14, 0
	ds_load_b128 v[19:22], v14 offset:64
	ds_load_b64 v[25:26], v14 offset:80
	s_mov_b32 s0, exec_lo
	s_wait_loadcnt_dscnt 0x201
	v_mul_f32_e32 v27, v20, v16
	s_wait_loadcnt_dscnt 0x100
	v_dual_mul_f32 v16, v19, v16 :: v_dual_mul_f32 v29, v25, v2
	v_mul_f32_e32 v2, v26, v2
	s_delay_alu instid0(VALU_DEP_3) | instskip(SKIP_1) | instid1(VALU_DEP_4)
	v_fma_f32 v19, v19, v15, -v27
	v_mul_f32_e32 v28, v21, v18
	v_dual_fmac_f32 v16, v20, v15 :: v_dual_fmac_f32 v29, v26, v1
	s_delay_alu instid0(VALU_DEP_4) | instskip(NEXT) | instid1(VALU_DEP_3)
	v_fma_f32 v1, v25, v1, -v2
	v_fmac_f32_e32 v28, v22, v17
	s_delay_alu instid0(VALU_DEP_3) | instskip(SKIP_1) | instid1(VALU_DEP_1)
	v_add_f32_e32 v16, 0, v16
	v_mul_f32_e32 v18, v22, v18
	v_fma_f32 v15, v21, v17, -v18
	v_add_f32_e32 v17, 0, v19
	s_delay_alu instid0(VALU_DEP_1) | instskip(NEXT) | instid1(VALU_DEP_1)
	v_add_f32_e32 v2, v17, v15
	v_add_f32_e32 v1, v2, v1
	;; [unrolled: 1-line block ×3, first 2 shown]
	s_wait_loadcnt 0x0
	s_delay_alu instid0(VALU_DEP_2) | instskip(NEXT) | instid1(VALU_DEP_2)
	v_sub_f32_e32 v1, v23, v1
	v_add_f32_e32 v2, v15, v29
	s_delay_alu instid0(VALU_DEP_1)
	v_sub_f32_e32 v2, v24, v2
	scratch_store_b64 off, v[1:2], off offset:8
	v_cmpx_ne_u32_e32 0, v0
	s_cbranch_execz .LBB4_43
; %bb.42:
	scratch_load_b64 v[0:1], off, off
	v_mov_b32_e32 v15, v14
	scratch_store_b64 off, v[14:15], off
	s_wait_loadcnt 0x0
	ds_store_b64 v3, v[0:1]
.LBB4_43:
	s_wait_alu 0xfffe
	s_or_b32 exec_lo, exec_lo, s0
	s_wait_storecnt_dscnt 0x0
	s_barrier_signal -1
	s_barrier_wait -1
	global_inv scope:SCOPE_SE
	s_clause 0x2
	scratch_load_b128 v[15:18], off, off offset:8
	scratch_load_b128 v[0:3], off, off offset:24
	scratch_load_b64 v[27:28], off, off
	ds_load_2addr_b64 v[19:22], v14 offset0:7 offset1:8
	ds_load_2addr_b64 v[23:26], v14 offset0:9 offset1:10
	s_and_b32 vcc_lo, exec_lo, s18
	s_wait_loadcnt_dscnt 0x201
	v_dual_mul_f32 v14, v19, v16 :: v_dual_mul_f32 v29, v21, v18
	s_wait_loadcnt_dscnt 0x100
	v_dual_mul_f32 v16, v20, v16 :: v_dual_mul_f32 v31, v25, v3
	v_mul_f32_e32 v18, v22, v18
	s_delay_alu instid0(VALU_DEP_3) | instskip(NEXT) | instid1(VALU_DEP_3)
	v_dual_fmac_f32 v14, v20, v15 :: v_dual_fmac_f32 v29, v22, v17
	v_fma_f32 v16, v19, v15, -v16
	v_mul_f32_e32 v15, v24, v1
	s_delay_alu instid0(VALU_DEP_4) | instskip(SKIP_1) | instid1(VALU_DEP_4)
	v_fma_f32 v17, v21, v17, -v18
	v_dual_mul_f32 v30, v23, v1 :: v_dual_mul_f32 v3, v26, v3
	v_dual_add_f32 v16, 0, v16 :: v_dual_fmac_f32 v31, v26, v2
	s_delay_alu instid0(VALU_DEP_4) | instskip(NEXT) | instid1(VALU_DEP_3)
	v_fma_f32 v15, v23, v0, -v15
	v_fmac_f32_e32 v30, v24, v0
	s_delay_alu instid0(VALU_DEP_4) | instskip(NEXT) | instid1(VALU_DEP_4)
	v_fma_f32 v2, v25, v2, -v3
	v_add_f32_e32 v16, v16, v17
	s_delay_alu instid0(VALU_DEP_1) | instskip(NEXT) | instid1(VALU_DEP_1)
	v_dual_add_f32 v14, 0, v14 :: v_dual_add_f32 v3, v16, v15
	v_add_f32_e32 v14, v14, v29
	s_delay_alu instid0(VALU_DEP_2) | instskip(NEXT) | instid1(VALU_DEP_2)
	v_add_f32_e32 v2, v3, v2
	v_add_f32_e32 v14, v14, v30
	s_wait_loadcnt 0x0
	s_delay_alu instid0(VALU_DEP_1) | instskip(NEXT) | instid1(VALU_DEP_1)
	v_dual_sub_f32 v2, v27, v2 :: v_dual_add_f32 v3, v14, v31
	v_sub_f32_e32 v3, v28, v3
	scratch_store_b64 off, v[2:3], off
	s_wait_alu 0xfffe
	s_cbranch_vccz .LBB4_52
; %bb.44:
	v_mov_b32_e32 v2, 0
	global_load_b32 v3, v2, s[2:3] offset:12
	s_wait_loadcnt 0x0
	v_cmp_ne_u32_e32 vcc_lo, 4, v3
	s_cbranch_vccz .LBB4_46
; %bb.45:
	v_lshlrev_b32_e32 v3, 3, v3
	scratch_load_b64 v[14:15], v3, off offset:-8
	s_wait_loadcnt 0x0
	scratch_store_b64 off, v[14:15], off offset:24
	scratch_store_b64 v3, v[0:1], off offset:-8
.LBB4_46:
	global_load_b32 v0, v2, s[2:3] offset:8
	s_wait_loadcnt 0x0
	v_cmp_eq_u32_e32 vcc_lo, 3, v0
	s_cbranch_vccnz .LBB4_48
; %bb.47:
	v_lshlrev_b32_e32 v0, 3, v0
	s_delay_alu instid0(VALU_DEP_1)
	v_mov_b32_e32 v14, v0
	scratch_load_b64 v[0:1], v14, off offset:-8
	scratch_load_b64 v[2:3], off, off offset:16
	s_wait_loadcnt 0x1
	scratch_store_b64 off, v[0:1], off offset:16
	s_wait_loadcnt 0x0
	scratch_store_b64 v14, v[2:3], off offset:-8
.LBB4_48:
	v_mov_b32_e32 v0, 0
	global_load_b32 v1, v0, s[2:3] offset:4
	s_wait_loadcnt 0x0
	v_cmp_eq_u32_e32 vcc_lo, 2, v1
	s_cbranch_vccnz .LBB4_50
; %bb.49:
	v_lshlrev_b32_e32 v1, 3, v1
	s_delay_alu instid0(VALU_DEP_1)
	v_mov_b32_e32 v3, v1
	scratch_load_b64 v[1:2], v3, off offset:-8
	scratch_load_b64 v[14:15], off, off offset:8
	s_wait_loadcnt 0x1
	scratch_store_b64 off, v[1:2], off offset:8
	s_wait_loadcnt 0x0
	scratch_store_b64 v3, v[14:15], off offset:-8
.LBB4_50:
	global_load_b32 v0, v0, s[2:3]
	s_wait_loadcnt 0x0
	v_cmp_eq_u32_e32 vcc_lo, 1, v0
	s_cbranch_vccnz .LBB4_52
; %bb.51:
	v_lshlrev_b32_e32 v0, 3, v0
	s_delay_alu instid0(VALU_DEP_1)
	v_mov_b32_e32 v14, v0
	scratch_load_b64 v[0:1], v14, off offset:-8
	scratch_load_b64 v[2:3], off, off
	s_wait_loadcnt 0x1
	scratch_store_b64 off, v[0:1], off
	s_wait_loadcnt 0x0
	scratch_store_b64 v14, v[2:3], off offset:-8
.LBB4_52:
	s_clause 0x2
	scratch_load_b128 v[0:3], off, off
	scratch_load_b128 v[14:17], off, off offset:16
	scratch_load_b64 v[18:19], off, off offset:32
	s_wait_loadcnt 0x2
	s_clause 0x1
	global_store_b64 v[4:5], v[0:1], off
	global_store_b64 v[6:7], v[2:3], off
	s_wait_loadcnt 0x1
	s_clause 0x1
	global_store_b64 v[8:9], v[14:15], off
	global_store_b64 v[10:11], v[16:17], off
	s_wait_loadcnt 0x0
	global_store_b64 v[12:13], v[18:19], off
	s_endpgm
	.section	.rodata,"a",@progbits
	.p2align	6, 0x0
	.amdhsa_kernel _ZN9rocsolver6v33100L18getri_kernel_smallILi5E19rocblas_complex_numIfEPS3_EEvT1_iilPiilS6_bb
		.amdhsa_group_segment_fixed_size 88
		.amdhsa_private_segment_fixed_size 48
		.amdhsa_kernarg_size 60
		.amdhsa_user_sgpr_count 2
		.amdhsa_user_sgpr_dispatch_ptr 0
		.amdhsa_user_sgpr_queue_ptr 0
		.amdhsa_user_sgpr_kernarg_segment_ptr 1
		.amdhsa_user_sgpr_dispatch_id 0
		.amdhsa_user_sgpr_private_segment_size 0
		.amdhsa_wavefront_size32 1
		.amdhsa_uses_dynamic_stack 0
		.amdhsa_enable_private_segment 1
		.amdhsa_system_sgpr_workgroup_id_x 1
		.amdhsa_system_sgpr_workgroup_id_y 0
		.amdhsa_system_sgpr_workgroup_id_z 0
		.amdhsa_system_sgpr_workgroup_info 0
		.amdhsa_system_vgpr_workitem_id 0
		.amdhsa_next_free_vgpr 32
		.amdhsa_next_free_sgpr 19
		.amdhsa_reserve_vcc 1
		.amdhsa_float_round_mode_32 0
		.amdhsa_float_round_mode_16_64 0
		.amdhsa_float_denorm_mode_32 3
		.amdhsa_float_denorm_mode_16_64 3
		.amdhsa_fp16_overflow 0
		.amdhsa_workgroup_processor_mode 1
		.amdhsa_memory_ordered 1
		.amdhsa_forward_progress 1
		.amdhsa_inst_pref_size 31
		.amdhsa_round_robin_scheduling 0
		.amdhsa_exception_fp_ieee_invalid_op 0
		.amdhsa_exception_fp_denorm_src 0
		.amdhsa_exception_fp_ieee_div_zero 0
		.amdhsa_exception_fp_ieee_overflow 0
		.amdhsa_exception_fp_ieee_underflow 0
		.amdhsa_exception_fp_ieee_inexact 0
		.amdhsa_exception_int_div_zero 0
	.end_amdhsa_kernel
	.section	.text._ZN9rocsolver6v33100L18getri_kernel_smallILi5E19rocblas_complex_numIfEPS3_EEvT1_iilPiilS6_bb,"axG",@progbits,_ZN9rocsolver6v33100L18getri_kernel_smallILi5E19rocblas_complex_numIfEPS3_EEvT1_iilPiilS6_bb,comdat
.Lfunc_end4:
	.size	_ZN9rocsolver6v33100L18getri_kernel_smallILi5E19rocblas_complex_numIfEPS3_EEvT1_iilPiilS6_bb, .Lfunc_end4-_ZN9rocsolver6v33100L18getri_kernel_smallILi5E19rocblas_complex_numIfEPS3_EEvT1_iilPiilS6_bb
                                        ; -- End function
	.set _ZN9rocsolver6v33100L18getri_kernel_smallILi5E19rocblas_complex_numIfEPS3_EEvT1_iilPiilS6_bb.num_vgpr, 32
	.set _ZN9rocsolver6v33100L18getri_kernel_smallILi5E19rocblas_complex_numIfEPS3_EEvT1_iilPiilS6_bb.num_agpr, 0
	.set _ZN9rocsolver6v33100L18getri_kernel_smallILi5E19rocblas_complex_numIfEPS3_EEvT1_iilPiilS6_bb.numbered_sgpr, 19
	.set _ZN9rocsolver6v33100L18getri_kernel_smallILi5E19rocblas_complex_numIfEPS3_EEvT1_iilPiilS6_bb.num_named_barrier, 0
	.set _ZN9rocsolver6v33100L18getri_kernel_smallILi5E19rocblas_complex_numIfEPS3_EEvT1_iilPiilS6_bb.private_seg_size, 48
	.set _ZN9rocsolver6v33100L18getri_kernel_smallILi5E19rocblas_complex_numIfEPS3_EEvT1_iilPiilS6_bb.uses_vcc, 1
	.set _ZN9rocsolver6v33100L18getri_kernel_smallILi5E19rocblas_complex_numIfEPS3_EEvT1_iilPiilS6_bb.uses_flat_scratch, 1
	.set _ZN9rocsolver6v33100L18getri_kernel_smallILi5E19rocblas_complex_numIfEPS3_EEvT1_iilPiilS6_bb.has_dyn_sized_stack, 0
	.set _ZN9rocsolver6v33100L18getri_kernel_smallILi5E19rocblas_complex_numIfEPS3_EEvT1_iilPiilS6_bb.has_recursion, 0
	.set _ZN9rocsolver6v33100L18getri_kernel_smallILi5E19rocblas_complex_numIfEPS3_EEvT1_iilPiilS6_bb.has_indirect_call, 0
	.section	.AMDGPU.csdata,"",@progbits
; Kernel info:
; codeLenInByte = 3928
; TotalNumSgprs: 21
; NumVgprs: 32
; ScratchSize: 48
; MemoryBound: 0
; FloatMode: 240
; IeeeMode: 1
; LDSByteSize: 88 bytes/workgroup (compile time only)
; SGPRBlocks: 0
; VGPRBlocks: 3
; NumSGPRsForWavesPerEU: 21
; NumVGPRsForWavesPerEU: 32
; Occupancy: 16
; WaveLimiterHint : 0
; COMPUTE_PGM_RSRC2:SCRATCH_EN: 1
; COMPUTE_PGM_RSRC2:USER_SGPR: 2
; COMPUTE_PGM_RSRC2:TRAP_HANDLER: 0
; COMPUTE_PGM_RSRC2:TGID_X_EN: 1
; COMPUTE_PGM_RSRC2:TGID_Y_EN: 0
; COMPUTE_PGM_RSRC2:TGID_Z_EN: 0
; COMPUTE_PGM_RSRC2:TIDIG_COMP_CNT: 0
	.section	.text._ZN9rocsolver6v33100L18getri_kernel_smallILi6E19rocblas_complex_numIfEPS3_EEvT1_iilPiilS6_bb,"axG",@progbits,_ZN9rocsolver6v33100L18getri_kernel_smallILi6E19rocblas_complex_numIfEPS3_EEvT1_iilPiilS6_bb,comdat
	.globl	_ZN9rocsolver6v33100L18getri_kernel_smallILi6E19rocblas_complex_numIfEPS3_EEvT1_iilPiilS6_bb ; -- Begin function _ZN9rocsolver6v33100L18getri_kernel_smallILi6E19rocblas_complex_numIfEPS3_EEvT1_iilPiilS6_bb
	.p2align	8
	.type	_ZN9rocsolver6v33100L18getri_kernel_smallILi6E19rocblas_complex_numIfEPS3_EEvT1_iilPiilS6_bb,@function
_ZN9rocsolver6v33100L18getri_kernel_smallILi6E19rocblas_complex_numIfEPS3_EEvT1_iilPiilS6_bb: ; @_ZN9rocsolver6v33100L18getri_kernel_smallILi6E19rocblas_complex_numIfEPS3_EEvT1_iilPiilS6_bb
; %bb.0:
	s_mov_b32 s2, exec_lo
	v_cmpx_gt_u32_e32 6, v0
	s_cbranch_execz .LBB5_38
; %bb.1:
	s_clause 0x2
	s_load_b32 s2, s[0:1], 0x38
	s_load_b128 s[12:15], s[0:1], 0x10
	s_load_b128 s[4:7], s[0:1], 0x28
	s_mov_b32 s16, ttmp9
	s_wait_kmcnt 0x0
	s_bitcmp1_b32 s2, 8
	s_cselect_b32 s18, -1, 0
	s_bfe_u32 s2, s2, 0x10008
	s_ashr_i32 s17, ttmp9, 31
	s_cmp_eq_u32 s2, 0
                                        ; implicit-def: $sgpr2_sgpr3
	s_cbranch_scc1 .LBB5_3
; %bb.2:
	s_load_b32 s2, s[0:1], 0x20
	s_mul_u64 s[4:5], s[4:5], s[16:17]
	s_delay_alu instid0(SALU_CYCLE_1) | instskip(NEXT) | instid1(SALU_CYCLE_1)
	s_lshl_b64 s[4:5], s[4:5], 2
	s_add_nc_u64 s[4:5], s[14:15], s[4:5]
	s_wait_kmcnt 0x0
	s_ashr_i32 s3, s2, 31
	s_delay_alu instid0(SALU_CYCLE_1) | instskip(NEXT) | instid1(SALU_CYCLE_1)
	s_lshl_b64 s[2:3], s[2:3], 2
	s_add_nc_u64 s[2:3], s[4:5], s[2:3]
.LBB5_3:
	s_clause 0x1
	s_load_b128 s[8:11], s[0:1], 0x0
	s_load_b32 s14, s[0:1], 0x38
	s_mul_u64 s[0:1], s[12:13], s[16:17]
	v_lshlrev_b32_e32 v3, 3, v0
	s_lshl_b64 s[0:1], s[0:1], 3
	s_wait_kmcnt 0x0
	v_add3_u32 v1, s11, s11, v0
	s_ashr_i32 s5, s10, 31
	s_mov_b32 s4, s10
	s_add_nc_u64 s[0:1], s[8:9], s[0:1]
	s_lshl_b64 s[4:5], s[4:5], 3
	v_add_nc_u32_e32 v8, s11, v1
	v_ashrrev_i32_e32 v2, 31, v1
	s_add_nc_u64 s[0:1], s[0:1], s[4:5]
	s_ashr_i32 s9, s11, 31
	v_add_co_u32 v4, s4, s0, v3
	v_add_nc_u32_e32 v10, s11, v8
	s_mov_b32 s8, s11
	v_lshlrev_b64_e32 v[1:2], 3, v[1:2]
	v_add_co_ci_u32_e64 v5, null, s1, 0, s4
	s_delay_alu instid0(VALU_DEP_3)
	v_add_nc_u32_e32 v14, s11, v10
	v_ashrrev_i32_e32 v9, 31, v8
	s_lshl_b64 s[8:9], s[8:9], 3
	v_ashrrev_i32_e32 v11, 31, v10
	v_add_co_u32 v6, vcc_lo, v4, s8
	v_ashrrev_i32_e32 v15, 31, v14
	v_add_co_ci_u32_e64 v7, null, s9, v5, vcc_lo
	v_lshlrev_b64_e32 v[12:13], 3, v[8:9]
	v_add_co_u32 v8, vcc_lo, s0, v1
	s_wait_alu 0xfffd
	v_add_co_ci_u32_e64 v9, null, s1, v2, vcc_lo
	v_lshlrev_b64_e32 v[1:2], 3, v[10:11]
	v_lshlrev_b64_e32 v[14:15], 3, v[14:15]
	v_add_co_u32 v10, vcc_lo, s0, v12
	s_wait_alu 0xfffd
	v_add_co_ci_u32_e64 v11, null, s1, v13, vcc_lo
	s_delay_alu instid0(VALU_DEP_4)
	v_add_co_u32 v12, vcc_lo, s0, v1
	s_wait_alu 0xfffd
	v_add_co_ci_u32_e64 v13, null, s1, v2, vcc_lo
	v_add_co_u32 v14, vcc_lo, s0, v14
	s_wait_alu 0xfffd
	v_add_co_ci_u32_e64 v15, null, s1, v15, vcc_lo
	s_clause 0x5
	global_load_b64 v[16:17], v3, s[0:1]
	global_load_b64 v[18:19], v[6:7], off
	global_load_b64 v[20:21], v[8:9], off
	;; [unrolled: 1-line block ×5, first 2 shown]
	s_bitcmp0_b32 s14, 0
	s_mov_b32 s1, -1
	s_wait_loadcnt 0x4
	scratch_store_b128 off, v[16:19], off
	s_wait_loadcnt 0x2
	scratch_store_b128 off, v[20:23], off offset:16
	s_wait_loadcnt 0x0
	scratch_store_b128 off, v[24:27], off offset:32
	s_cbranch_scc1 .LBB5_36
; %bb.4:
	v_cmp_eq_u32_e64 s0, 0, v0
	s_and_saveexec_b32 s1, s0
; %bb.5:
	v_mov_b32_e32 v1, 0
	ds_store_b32 v1, v1 offset:96
; %bb.6:
	s_wait_alu 0xfffe
	s_or_b32 exec_lo, exec_lo, s1
	s_wait_storecnt_dscnt 0x0
	s_barrier_signal -1
	s_barrier_wait -1
	global_inv scope:SCOPE_SE
	scratch_load_b64 v[1:2], v3, off
	s_wait_loadcnt 0x0
	v_cmp_eq_f32_e32 vcc_lo, 0, v1
	v_cmp_eq_f32_e64 s1, 0, v2
	s_and_b32 s1, vcc_lo, s1
	s_wait_alu 0xfffe
	s_and_saveexec_b32 s4, s1
	s_cbranch_execz .LBB5_10
; %bb.7:
	v_mov_b32_e32 v1, 0
	s_mov_b32 s5, 0
	ds_load_b32 v2, v1 offset:96
	s_wait_dscnt 0x0
	v_readfirstlane_b32 s1, v2
	v_add_nc_u32_e32 v2, 1, v0
	s_cmp_eq_u32 s1, 0
	s_delay_alu instid0(VALU_DEP_1)
	v_cmp_gt_i32_e32 vcc_lo, s1, v2
	s_cselect_b32 s8, -1, 0
	s_wait_alu 0xfffe
	s_or_b32 s8, s8, vcc_lo
	s_wait_alu 0xfffe
	s_and_b32 exec_lo, exec_lo, s8
	s_cbranch_execz .LBB5_10
; %bb.8:
	v_mov_b32_e32 v16, s1
.LBB5_9:                                ; =>This Inner Loop Header: Depth=1
	ds_cmpstore_rtn_b32 v16, v1, v2, v16 offset:96
	s_wait_dscnt 0x0
	v_cmp_ne_u32_e32 vcc_lo, 0, v16
	v_cmp_le_i32_e64 s1, v16, v2
	s_and_b32 s1, vcc_lo, s1
	s_wait_alu 0xfffe
	s_and_b32 s1, exec_lo, s1
	s_wait_alu 0xfffe
	s_or_b32 s5, s1, s5
	s_wait_alu 0xfffe
	s_and_not1_b32 exec_lo, exec_lo, s5
	s_cbranch_execnz .LBB5_9
.LBB5_10:
	s_wait_alu 0xfffe
	s_or_b32 exec_lo, exec_lo, s4
	v_mov_b32_e32 v1, 0
	s_barrier_signal -1
	s_barrier_wait -1
	global_inv scope:SCOPE_SE
	ds_load_b32 v2, v1 offset:96
	s_and_saveexec_b32 s1, s0
	s_cbranch_execz .LBB5_12
; %bb.11:
	s_lshl_b64 s[4:5], s[16:17], 2
	s_wait_alu 0xfffe
	s_add_nc_u64 s[4:5], s[6:7], s[4:5]
	s_wait_dscnt 0x0
	global_store_b32 v1, v2, s[4:5]
.LBB5_12:
	s_wait_alu 0xfffe
	s_or_b32 exec_lo, exec_lo, s1
	s_wait_dscnt 0x0
	v_cmp_ne_u32_e32 vcc_lo, 0, v2
	s_mov_b32 s1, 0
	s_cbranch_vccnz .LBB5_36
; %bb.13:
	v_mov_b32_e32 v20, v3
                                        ; implicit-def: $vgpr16
                                        ; implicit-def: $vgpr18
	scratch_load_b64 v[1:2], v20, off
	s_wait_loadcnt 0x0
	v_cmp_ngt_f32_e64 s1, |v1|, |v2|
	s_wait_alu 0xfffe
	s_and_saveexec_b32 s4, s1
	s_wait_alu 0xfffe
	s_xor_b32 s1, exec_lo, s4
	s_cbranch_execz .LBB5_15
; %bb.14:
	v_div_scale_f32 v16, null, v2, v2, v1
	v_div_scale_f32 v19, vcc_lo, v1, v2, v1
	s_delay_alu instid0(VALU_DEP_2) | instskip(NEXT) | instid1(TRANS32_DEP_1)
	v_rcp_f32_e32 v17, v16
	v_fma_f32 v18, -v16, v17, 1.0
	s_delay_alu instid0(VALU_DEP_1) | instskip(NEXT) | instid1(VALU_DEP_1)
	v_fmac_f32_e32 v17, v18, v17
	v_mul_f32_e32 v18, v19, v17
	s_delay_alu instid0(VALU_DEP_1) | instskip(NEXT) | instid1(VALU_DEP_1)
	v_fma_f32 v21, -v16, v18, v19
	v_fmac_f32_e32 v18, v21, v17
	s_delay_alu instid0(VALU_DEP_1) | instskip(SKIP_1) | instid1(VALU_DEP_1)
	v_fma_f32 v16, -v16, v18, v19
	s_wait_alu 0xfffd
	v_div_fmas_f32 v16, v16, v17, v18
	s_delay_alu instid0(VALU_DEP_1) | instskip(NEXT) | instid1(VALU_DEP_1)
	v_div_fixup_f32 v16, v16, v2, v1
	v_fmac_f32_e32 v2, v1, v16
	s_delay_alu instid0(VALU_DEP_1) | instskip(NEXT) | instid1(VALU_DEP_1)
	v_div_scale_f32 v1, null, v2, v2, 1.0
	v_rcp_f32_e32 v17, v1
	s_delay_alu instid0(TRANS32_DEP_1) | instskip(NEXT) | instid1(VALU_DEP_1)
	v_fma_f32 v18, -v1, v17, 1.0
	v_fmac_f32_e32 v17, v18, v17
	v_div_scale_f32 v18, vcc_lo, 1.0, v2, 1.0
	s_delay_alu instid0(VALU_DEP_1) | instskip(NEXT) | instid1(VALU_DEP_1)
	v_mul_f32_e32 v19, v18, v17
	v_fma_f32 v21, -v1, v19, v18
	s_delay_alu instid0(VALU_DEP_1) | instskip(NEXT) | instid1(VALU_DEP_1)
	v_fmac_f32_e32 v19, v21, v17
	v_fma_f32 v1, -v1, v19, v18
	s_wait_alu 0xfffd
	s_delay_alu instid0(VALU_DEP_1) | instskip(NEXT) | instid1(VALU_DEP_1)
	v_div_fmas_f32 v1, v1, v17, v19
	v_div_fixup_f32 v1, v1, v2, 1.0
	s_delay_alu instid0(VALU_DEP_1) | instskip(SKIP_1) | instid1(VALU_DEP_2)
	v_mul_f32_e32 v16, v16, v1
	v_xor_b32_e32 v17, 0x80000000, v1
                                        ; implicit-def: $vgpr1_vgpr2
	v_xor_b32_e32 v18, 0x80000000, v16
.LBB5_15:
	s_wait_alu 0xfffe
	s_and_not1_saveexec_b32 s1, s1
	s_cbranch_execz .LBB5_17
; %bb.16:
	v_div_scale_f32 v16, null, v1, v1, v2
	v_div_scale_f32 v19, vcc_lo, v2, v1, v2
	s_delay_alu instid0(VALU_DEP_2) | instskip(NEXT) | instid1(TRANS32_DEP_1)
	v_rcp_f32_e32 v17, v16
	v_fma_f32 v18, -v16, v17, 1.0
	s_delay_alu instid0(VALU_DEP_1) | instskip(NEXT) | instid1(VALU_DEP_1)
	v_fmac_f32_e32 v17, v18, v17
	v_mul_f32_e32 v18, v19, v17
	s_delay_alu instid0(VALU_DEP_1) | instskip(NEXT) | instid1(VALU_DEP_1)
	v_fma_f32 v21, -v16, v18, v19
	v_fmac_f32_e32 v18, v21, v17
	s_delay_alu instid0(VALU_DEP_1) | instskip(SKIP_1) | instid1(VALU_DEP_1)
	v_fma_f32 v16, -v16, v18, v19
	s_wait_alu 0xfffd
	v_div_fmas_f32 v16, v16, v17, v18
	s_delay_alu instid0(VALU_DEP_1) | instskip(NEXT) | instid1(VALU_DEP_1)
	v_div_fixup_f32 v17, v16, v1, v2
	v_fmac_f32_e32 v1, v2, v17
	s_delay_alu instid0(VALU_DEP_1) | instskip(SKIP_1) | instid1(VALU_DEP_2)
	v_div_scale_f32 v2, null, v1, v1, 1.0
	v_div_scale_f32 v19, vcc_lo, 1.0, v1, 1.0
	v_rcp_f32_e32 v16, v2
	s_delay_alu instid0(TRANS32_DEP_1) | instskip(NEXT) | instid1(VALU_DEP_1)
	v_fma_f32 v18, -v2, v16, 1.0
	v_fmac_f32_e32 v16, v18, v16
	s_delay_alu instid0(VALU_DEP_1) | instskip(NEXT) | instid1(VALU_DEP_1)
	v_mul_f32_e32 v18, v19, v16
	v_fma_f32 v21, -v2, v18, v19
	s_delay_alu instid0(VALU_DEP_1) | instskip(NEXT) | instid1(VALU_DEP_1)
	v_fmac_f32_e32 v18, v21, v16
	v_fma_f32 v2, -v2, v18, v19
	s_wait_alu 0xfffd
	s_delay_alu instid0(VALU_DEP_1) | instskip(NEXT) | instid1(VALU_DEP_1)
	v_div_fmas_f32 v2, v2, v16, v18
	v_div_fixup_f32 v16, v2, v1, 1.0
	s_delay_alu instid0(VALU_DEP_1)
	v_xor_b32_e32 v18, 0x80000000, v16
	v_mul_f32_e64 v17, v17, -v16
.LBB5_17:
	s_wait_alu 0xfffe
	s_or_b32 exec_lo, exec_lo, s1
	scratch_store_b64 v20, v[16:17], off
	scratch_load_b64 v[21:22], off, off offset:8
	v_xor_b32_e32 v19, 0x80000000, v17
	v_add_nc_u32_e32 v1, 48, v3
	s_wait_loadcnt 0x0
	ds_store_2addr_b64 v3, v[18:19], v[21:22] offset1:6
	s_wait_storecnt_dscnt 0x0
	s_barrier_signal -1
	s_barrier_wait -1
	global_inv scope:SCOPE_SE
	s_and_saveexec_b32 s1, s0
	s_cbranch_execz .LBB5_19
; %bb.18:
	scratch_load_b64 v[16:17], v20, off
	ds_load_b64 v[18:19], v1
	v_mov_b32_e32 v2, 0
	ds_load_b64 v[21:22], v2 offset:8
	s_wait_loadcnt_dscnt 0x1
	v_mul_f32_e32 v2, v18, v17
	v_mul_f32_e32 v17, v19, v17
	s_delay_alu instid0(VALU_DEP_2) | instskip(NEXT) | instid1(VALU_DEP_2)
	v_fmac_f32_e32 v2, v19, v16
	v_fma_f32 v16, v18, v16, -v17
	s_delay_alu instid0(VALU_DEP_2) | instskip(NEXT) | instid1(VALU_DEP_2)
	v_add_f32_e32 v2, 0, v2
	v_add_f32_e32 v16, 0, v16
	s_wait_dscnt 0x0
	s_delay_alu instid0(VALU_DEP_2) | instskip(NEXT) | instid1(VALU_DEP_2)
	v_mul_f32_e32 v18, v2, v22
	v_mul_f32_e32 v17, v16, v22
	s_delay_alu instid0(VALU_DEP_1) | instskip(NEXT) | instid1(VALU_DEP_3)
	v_fmac_f32_e32 v17, v2, v21
	v_fma_f32 v16, v16, v21, -v18
	scratch_store_b64 off, v[16:17], off offset:8
.LBB5_19:
	s_wait_alu 0xfffe
	s_or_b32 exec_lo, exec_lo, s1
	s_wait_loadcnt 0x0
	s_wait_storecnt 0x0
	s_barrier_signal -1
	s_barrier_wait -1
	global_inv scope:SCOPE_SE
	scratch_load_b64 v[16:17], off, off offset:16
	s_mov_b32 s1, exec_lo
	s_wait_loadcnt 0x0
	ds_store_b64 v1, v[16:17]
	s_wait_dscnt 0x0
	s_barrier_signal -1
	s_barrier_wait -1
	global_inv scope:SCOPE_SE
	v_cmpx_gt_u32_e32 2, v0
	s_cbranch_execz .LBB5_23
; %bb.20:
	scratch_load_b64 v[16:17], v20, off
	ds_load_b64 v[18:19], v1
	s_wait_loadcnt_dscnt 0x0
	v_mul_f32_e32 v2, v19, v17
	s_delay_alu instid0(VALU_DEP_1) | instskip(SKIP_1) | instid1(VALU_DEP_1)
	v_fma_f32 v2, v18, v16, -v2
	v_mul_f32_e32 v17, v18, v17
	v_dual_fmac_f32 v17, v19, v16 :: v_dual_add_f32 v16, 0, v2
	s_delay_alu instid0(VALU_DEP_1)
	v_add_f32_e32 v2, 0, v17
	s_and_saveexec_b32 s4, s0
	s_cbranch_execz .LBB5_22
; %bb.21:
	scratch_load_b64 v[17:18], off, off offset:8
	v_mov_b32_e32 v19, 0
	ds_load_b64 v[21:22], v19 offset:56
	s_wait_loadcnt_dscnt 0x0
	v_mul_f32_e32 v19, v21, v18
	v_mul_f32_e32 v18, v22, v18
	s_delay_alu instid0(VALU_DEP_2) | instskip(NEXT) | instid1(VALU_DEP_2)
	v_fmac_f32_e32 v19, v22, v17
	v_fma_f32 v17, v21, v17, -v18
	s_delay_alu instid0(VALU_DEP_2) | instskip(NEXT) | instid1(VALU_DEP_2)
	v_add_f32_e32 v2, v2, v19
	v_add_f32_e32 v16, v16, v17
.LBB5_22:
	s_wait_alu 0xfffe
	s_or_b32 exec_lo, exec_lo, s4
	v_mov_b32_e32 v17, 0
	ds_load_b64 v[17:18], v17 offset:16
	s_wait_dscnt 0x0
	v_mul_f32_e32 v21, v2, v18
	v_mul_f32_e32 v19, v16, v18
	s_delay_alu instid0(VALU_DEP_2) | instskip(NEXT) | instid1(VALU_DEP_2)
	v_fma_f32 v18, v16, v17, -v21
	v_fmac_f32_e32 v19, v2, v17
	scratch_store_b64 off, v[18:19], off offset:16
.LBB5_23:
	s_wait_alu 0xfffe
	s_or_b32 exec_lo, exec_lo, s1
	s_wait_loadcnt 0x0
	s_wait_storecnt 0x0
	s_barrier_signal -1
	s_barrier_wait -1
	global_inv scope:SCOPE_SE
	scratch_load_b64 v[16:17], off, off offset:24
	v_add_nc_u32_e32 v2, -1, v0
	s_mov_b32 s0, exec_lo
	s_wait_loadcnt 0x0
	ds_store_b64 v1, v[16:17]
	s_wait_dscnt 0x0
	s_barrier_signal -1
	s_barrier_wait -1
	global_inv scope:SCOPE_SE
	v_cmpx_gt_u32_e32 3, v0
	s_cbranch_execz .LBB5_27
; %bb.24:
	v_dual_mov_b32 v16, 0 :: v_dual_add_nc_u32 v17, -1, v0
	v_dual_mov_b32 v19, v3 :: v_dual_add_nc_u32 v18, 48, v3
	v_mov_b32_e32 v21, 0
	s_mov_b32 s1, 0
.LBB5_25:                               ; =>This Inner Loop Header: Depth=1
	scratch_load_b64 v[22:23], v19, off
	ds_load_b64 v[24:25], v18
	v_add_nc_u32_e32 v19, 8, v19
	v_add_nc_u32_e32 v17, 1, v17
	;; [unrolled: 1-line block ×3, first 2 shown]
	s_delay_alu instid0(VALU_DEP_2)
	v_cmp_lt_u32_e32 vcc_lo, 1, v17
	s_wait_alu 0xfffe
	s_or_b32 s1, vcc_lo, s1
	s_wait_loadcnt_dscnt 0x0
	v_mul_f32_e32 v26, v25, v23
	v_mul_f32_e32 v23, v24, v23
	s_delay_alu instid0(VALU_DEP_2) | instskip(NEXT) | instid1(VALU_DEP_2)
	v_fma_f32 v24, v24, v22, -v26
	v_fmac_f32_e32 v23, v25, v22
	s_delay_alu instid0(VALU_DEP_1)
	v_dual_add_f32 v21, v21, v24 :: v_dual_add_f32 v16, v16, v23
	s_wait_alu 0xfffe
	s_and_not1_b32 exec_lo, exec_lo, s1
	s_cbranch_execnz .LBB5_25
; %bb.26:
	s_or_b32 exec_lo, exec_lo, s1
	v_mov_b32_e32 v17, 0
	ds_load_b64 v[17:18], v17 offset:24
	s_wait_dscnt 0x0
	v_mul_f32_e32 v22, v16, v18
	v_mul_f32_e32 v19, v21, v18
	s_delay_alu instid0(VALU_DEP_2) | instskip(NEXT) | instid1(VALU_DEP_2)
	v_fma_f32 v18, v21, v17, -v22
	v_fmac_f32_e32 v19, v16, v17
	scratch_store_b64 off, v[18:19], off offset:24
.LBB5_27:
	s_wait_alu 0xfffe
	s_or_b32 exec_lo, exec_lo, s0
	s_wait_loadcnt 0x0
	s_wait_storecnt 0x0
	s_barrier_signal -1
	s_barrier_wait -1
	global_inv scope:SCOPE_SE
	scratch_load_b64 v[16:17], off, off offset:32
	s_mov_b32 s0, exec_lo
	s_wait_loadcnt 0x0
	ds_store_b64 v1, v[16:17]
	s_wait_dscnt 0x0
	s_barrier_signal -1
	s_barrier_wait -1
	global_inv scope:SCOPE_SE
	v_cmpx_gt_u32_e32 4, v0
	s_cbranch_execz .LBB5_31
; %bb.28:
	v_add_nc_u32_e32 v16, -1, v0
	v_dual_mov_b32 v18, v3 :: v_dual_add_nc_u32 v17, 48, v3
	v_mov_b32_e32 v3, 0
	v_mov_b32_e32 v19, 0
	s_mov_b32 s1, 0
.LBB5_29:                               ; =>This Inner Loop Header: Depth=1
	scratch_load_b64 v[21:22], v18, off
	ds_load_b64 v[23:24], v17
	v_add_nc_u32_e32 v18, 8, v18
	v_add_nc_u32_e32 v16, 1, v16
	;; [unrolled: 1-line block ×3, first 2 shown]
	s_delay_alu instid0(VALU_DEP_2)
	v_cmp_lt_u32_e32 vcc_lo, 2, v16
	s_wait_alu 0xfffe
	s_or_b32 s1, vcc_lo, s1
	s_wait_loadcnt_dscnt 0x0
	v_mul_f32_e32 v25, v24, v22
	v_mul_f32_e32 v22, v23, v22
	s_delay_alu instid0(VALU_DEP_2) | instskip(NEXT) | instid1(VALU_DEP_1)
	v_fma_f32 v23, v23, v21, -v25
	v_dual_fmac_f32 v22, v24, v21 :: v_dual_add_f32 v19, v19, v23
	s_delay_alu instid0(VALU_DEP_1)
	v_add_f32_e32 v3, v3, v22
	s_wait_alu 0xfffe
	s_and_not1_b32 exec_lo, exec_lo, s1
	s_cbranch_execnz .LBB5_29
; %bb.30:
	s_or_b32 exec_lo, exec_lo, s1
	v_mov_b32_e32 v16, 0
	ds_load_b64 v[16:17], v16 offset:32
	s_wait_dscnt 0x0
	v_mul_f32_e32 v21, v3, v17
	v_mul_f32_e32 v18, v19, v17
	s_delay_alu instid0(VALU_DEP_2) | instskip(NEXT) | instid1(VALU_DEP_2)
	v_fma_f32 v17, v19, v16, -v21
	v_fmac_f32_e32 v18, v3, v16
	scratch_store_b64 off, v[17:18], off offset:32
.LBB5_31:
	s_wait_alu 0xfffe
	s_or_b32 exec_lo, exec_lo, s0
	s_wait_loadcnt 0x0
	s_wait_storecnt 0x0
	s_barrier_signal -1
	s_barrier_wait -1
	global_inv scope:SCOPE_SE
	scratch_load_b64 v[16:17], off, off offset:40
	s_mov_b32 s0, exec_lo
	s_wait_loadcnt 0x0
	ds_store_b64 v1, v[16:17]
	s_wait_dscnt 0x0
	s_barrier_signal -1
	s_barrier_wait -1
	global_inv scope:SCOPE_SE
	v_cmpx_ne_u32_e32 5, v0
	s_cbranch_execz .LBB5_35
; %bb.32:
	v_dual_mov_b32 v3, 0 :: v_dual_mov_b32 v16, 0
	s_mov_b32 s1, 0
.LBB5_33:                               ; =>This Inner Loop Header: Depth=1
	scratch_load_b64 v[17:18], v20, off
	ds_load_b64 v[21:22], v1
	v_add_nc_u32_e32 v2, 1, v2
	v_add_nc_u32_e32 v1, 8, v1
	;; [unrolled: 1-line block ×3, first 2 shown]
	s_delay_alu instid0(VALU_DEP_3)
	v_cmp_lt_u32_e32 vcc_lo, 3, v2
	s_wait_alu 0xfffe
	s_or_b32 s1, vcc_lo, s1
	s_wait_loadcnt_dscnt 0x0
	v_mul_f32_e32 v19, v22, v18
	v_mul_f32_e32 v18, v21, v18
	s_delay_alu instid0(VALU_DEP_2) | instskip(NEXT) | instid1(VALU_DEP_2)
	v_fma_f32 v19, v21, v17, -v19
	v_fmac_f32_e32 v18, v22, v17
	s_delay_alu instid0(VALU_DEP_1)
	v_dual_add_f32 v16, v16, v19 :: v_dual_add_f32 v3, v3, v18
	s_wait_alu 0xfffe
	s_and_not1_b32 exec_lo, exec_lo, s1
	s_cbranch_execnz .LBB5_33
; %bb.34:
	s_or_b32 exec_lo, exec_lo, s1
	v_mov_b32_e32 v1, 0
	ds_load_b64 v[1:2], v1 offset:40
	s_wait_dscnt 0x0
	v_mul_f32_e32 v18, v3, v2
	v_mul_f32_e32 v17, v16, v2
	s_delay_alu instid0(VALU_DEP_2) | instskip(NEXT) | instid1(VALU_DEP_2)
	v_fma_f32 v16, v16, v1, -v18
	v_fmac_f32_e32 v17, v3, v1
	scratch_store_b64 off, v[16:17], off offset:40
.LBB5_35:
	s_wait_alu 0xfffe
	s_or_b32 exec_lo, exec_lo, s0
	s_mov_b32 s1, -1
	s_wait_loadcnt 0x0
	s_wait_storecnt 0x0
	s_barrier_signal -1
	s_barrier_wait -1
	global_inv scope:SCOPE_SE
.LBB5_36:
	s_wait_alu 0xfffe
	s_and_b32 vcc_lo, exec_lo, s1
	s_wait_alu 0xfffe
	s_cbranch_vccz .LBB5_38
; %bb.37:
	v_mov_b32_e32 v1, 0
	s_lshl_b64 s[0:1], s[16:17], 2
	s_wait_alu 0xfffe
	s_add_nc_u64 s[0:1], s[6:7], s[0:1]
	global_load_b32 v1, v1, s[0:1]
	s_wait_loadcnt 0x0
	v_cmp_ne_u32_e32 vcc_lo, 0, v1
	s_cbranch_vccz .LBB5_39
.LBB5_38:
	s_endpgm
.LBB5_39:
	v_lshl_add_u32 v3, v0, 3, 48
	s_mov_b32 s0, exec_lo
	v_cmpx_eq_u32_e32 5, v0
	s_cbranch_execz .LBB5_41
; %bb.40:
	scratch_load_b64 v[1:2], off, off offset:32
	v_mov_b32_e32 v16, 0
	s_delay_alu instid0(VALU_DEP_1)
	v_mov_b32_e32 v17, v16
	scratch_store_b64 off, v[16:17], off offset:32
	s_wait_loadcnt 0x0
	ds_store_b64 v3, v[1:2]
.LBB5_41:
	s_wait_alu 0xfffe
	s_or_b32 exec_lo, exec_lo, s0
	s_wait_storecnt_dscnt 0x0
	s_barrier_signal -1
	s_barrier_wait -1
	global_inv scope:SCOPE_SE
	s_clause 0x1
	scratch_load_b64 v[16:17], off, off offset:40
	scratch_load_b64 v[18:19], off, off offset:32
	v_mov_b32_e32 v1, 0
	s_mov_b32 s0, exec_lo
	ds_load_b64 v[20:21], v1 offset:88
	s_wait_loadcnt_dscnt 0x100
	v_mul_f32_e32 v2, v21, v17
	s_delay_alu instid0(VALU_DEP_1) | instskip(NEXT) | instid1(VALU_DEP_1)
	v_fma_f32 v2, v20, v16, -v2
	v_dual_mul_f32 v17, v20, v17 :: v_dual_add_f32 v2, 0, v2
	s_wait_loadcnt 0x0
	s_delay_alu instid0(VALU_DEP_1) | instskip(NEXT) | instid1(VALU_DEP_1)
	v_dual_fmac_f32 v17, v21, v16 :: v_dual_sub_f32 v16, v18, v2
	v_add_f32_e32 v17, 0, v17
	s_delay_alu instid0(VALU_DEP_1)
	v_sub_f32_e32 v17, v19, v17
	scratch_store_b64 off, v[16:17], off offset:32
	v_cmpx_lt_u32_e32 3, v0
	s_cbranch_execz .LBB5_43
; %bb.42:
	scratch_load_b64 v[16:17], off, off offset:24
	v_mov_b32_e32 v2, v1
	scratch_store_b64 off, v[1:2], off offset:24
	s_wait_loadcnt 0x0
	ds_store_b64 v3, v[16:17]
.LBB5_43:
	s_wait_alu 0xfffe
	s_or_b32 exec_lo, exec_lo, s0
	s_wait_storecnt_dscnt 0x0
	s_barrier_signal -1
	s_barrier_wait -1
	global_inv scope:SCOPE_SE
	s_clause 0x1
	scratch_load_b128 v[16:19], off, off offset:32
	scratch_load_b64 v[24:25], off, off offset:24
	ds_load_b128 v[20:23], v1 offset:80
	s_mov_b32 s0, exec_lo
	s_wait_loadcnt_dscnt 0x100
	v_mul_f32_e32 v2, v20, v17
	s_delay_alu instid0(VALU_DEP_1) | instskip(SKIP_2) | instid1(VALU_DEP_1)
	v_fmac_f32_e32 v2, v21, v16
	v_mul_f32_e32 v1, v21, v17
	v_mul_f32_e32 v17, v22, v19
	v_fmac_f32_e32 v17, v23, v18
	s_delay_alu instid0(VALU_DEP_4) | instskip(NEXT) | instid1(VALU_DEP_4)
	v_dual_add_f32 v2, 0, v2 :: v_dual_mul_f32 v19, v23, v19
	v_fma_f32 v1, v20, v16, -v1
	s_delay_alu instid0(VALU_DEP_2) | instskip(NEXT) | instid1(VALU_DEP_3)
	v_add_f32_e32 v2, v2, v17
	v_fma_f32 v16, v22, v18, -v19
	s_wait_loadcnt 0x0
	s_delay_alu instid0(VALU_DEP_2) | instskip(NEXT) | instid1(VALU_DEP_1)
	v_dual_add_f32 v1, 0, v1 :: v_dual_sub_f32 v2, v25, v2
	v_add_f32_e32 v1, v1, v16
	s_delay_alu instid0(VALU_DEP_1)
	v_sub_f32_e32 v1, v24, v1
	scratch_store_b64 off, v[1:2], off offset:24
	v_cmpx_lt_u32_e32 2, v0
	s_cbranch_execz .LBB5_45
; %bb.44:
	scratch_load_b64 v[1:2], off, off offset:16
	v_mov_b32_e32 v16, 0
	s_delay_alu instid0(VALU_DEP_1)
	v_mov_b32_e32 v17, v16
	scratch_store_b64 off, v[16:17], off offset:16
	s_wait_loadcnt 0x0
	ds_store_b64 v3, v[1:2]
.LBB5_45:
	s_wait_alu 0xfffe
	s_or_b32 exec_lo, exec_lo, s0
	s_wait_storecnt_dscnt 0x0
	s_barrier_signal -1
	s_barrier_wait -1
	global_inv scope:SCOPE_SE
	s_clause 0x2
	scratch_load_b128 v[16:19], off, off offset:24
	scratch_load_b64 v[24:25], off, off offset:40
	scratch_load_b64 v[26:27], off, off offset:16
	v_mov_b32_e32 v1, 0
	ds_load_2addr_b64 v[20:23], v1 offset0:9 offset1:10
	ds_load_b64 v[28:29], v1 offset:88
	s_mov_b32 s0, exec_lo
	s_wait_loadcnt_dscnt 0x201
	v_mul_f32_e32 v2, v21, v17
	v_dual_mul_f32 v17, v20, v17 :: v_dual_mul_f32 v30, v22, v19
	v_mul_f32_e32 v19, v23, v19
	s_wait_loadcnt_dscnt 0x100
	v_mul_f32_e32 v31, v28, v25
	v_fma_f32 v2, v20, v16, -v2
	v_fmac_f32_e32 v17, v21, v16
	v_mul_f32_e32 v16, v29, v25
	v_fmac_f32_e32 v30, v23, v18
	v_fma_f32 v18, v22, v18, -v19
	s_delay_alu instid0(VALU_DEP_4) | instskip(NEXT) | instid1(VALU_DEP_4)
	v_dual_add_f32 v2, 0, v2 :: v_dual_add_f32 v17, 0, v17
	v_fma_f32 v16, v28, v24, -v16
	s_delay_alu instid0(VALU_DEP_2) | instskip(NEXT) | instid1(VALU_DEP_1)
	v_add_f32_e32 v2, v2, v18
	v_dual_add_f32 v17, v17, v30 :: v_dual_add_f32 v2, v2, v16
	s_wait_loadcnt 0x0
	s_delay_alu instid0(VALU_DEP_1) | instskip(NEXT) | instid1(VALU_DEP_1)
	v_dual_fmac_f32 v31, v29, v24 :: v_dual_sub_f32 v16, v26, v2
	v_add_f32_e32 v17, v17, v31
	s_delay_alu instid0(VALU_DEP_1)
	v_sub_f32_e32 v17, v27, v17
	scratch_store_b64 off, v[16:17], off offset:16
	v_cmpx_lt_u32_e32 1, v0
	s_cbranch_execz .LBB5_47
; %bb.46:
	scratch_load_b64 v[16:17], off, off offset:8
	v_mov_b32_e32 v2, v1
	scratch_store_b64 off, v[1:2], off offset:8
	s_wait_loadcnt 0x0
	ds_store_b64 v3, v[16:17]
.LBB5_47:
	s_wait_alu 0xfffe
	s_or_b32 exec_lo, exec_lo, s0
	s_wait_storecnt_dscnt 0x0
	s_barrier_signal -1
	s_barrier_wait -1
	global_inv scope:SCOPE_SE
	s_clause 0x2
	scratch_load_b128 v[16:19], off, off offset:16
	scratch_load_b128 v[20:23], off, off offset:32
	scratch_load_b64 v[32:33], off, off offset:8
	ds_load_b128 v[24:27], v1 offset:64
	ds_load_b128 v[28:31], v1 offset:80
	s_mov_b32 s0, exec_lo
	s_wait_loadcnt_dscnt 0x201
	v_mul_f32_e32 v2, v25, v17
	s_wait_loadcnt_dscnt 0x100
	v_dual_mul_f32 v34, v28, v21 :: v_dual_mul_f32 v35, v30, v23
	s_delay_alu instid0(VALU_DEP_2) | instskip(SKIP_2) | instid1(VALU_DEP_4)
	v_fma_f32 v2, v24, v16, -v2
	v_mul_f32_e32 v1, v24, v17
	v_mul_f32_e32 v17, v26, v19
	v_dual_mul_f32 v19, v27, v19 :: v_dual_fmac_f32 v34, v29, v20
	s_delay_alu instid0(VALU_DEP_3) | instskip(NEXT) | instid1(VALU_DEP_3)
	v_dual_add_f32 v2, 0, v2 :: v_dual_fmac_f32 v1, v25, v16
	v_dual_mul_f32 v16, v29, v21 :: v_dual_fmac_f32 v17, v27, v18
	s_delay_alu instid0(VALU_DEP_3) | instskip(SKIP_1) | instid1(VALU_DEP_3)
	v_fma_f32 v18, v26, v18, -v19
	v_fmac_f32_e32 v35, v31, v22
	v_fma_f32 v16, v28, v20, -v16
	s_delay_alu instid0(VALU_DEP_3) | instskip(NEXT) | instid1(VALU_DEP_1)
	v_dual_add_f32 v2, v2, v18 :: v_dual_add_f32 v1, 0, v1
	v_dual_add_f32 v2, v2, v16 :: v_dual_mul_f32 v19, v31, v23
	s_delay_alu instid0(VALU_DEP_2) | instskip(NEXT) | instid1(VALU_DEP_2)
	v_add_f32_e32 v1, v1, v17
	v_fma_f32 v17, v30, v22, -v19
	s_delay_alu instid0(VALU_DEP_1) | instskip(SKIP_1) | instid1(VALU_DEP_1)
	v_dual_add_f32 v1, v1, v34 :: v_dual_add_f32 v2, v2, v17
	s_wait_loadcnt 0x0
	v_dual_add_f32 v16, v1, v35 :: v_dual_sub_f32 v1, v32, v2
	s_delay_alu instid0(VALU_DEP_1)
	v_sub_f32_e32 v2, v33, v16
	scratch_store_b64 off, v[1:2], off offset:8
	v_cmpx_ne_u32_e32 0, v0
	s_cbranch_execz .LBB5_49
; %bb.48:
	scratch_load_b64 v[0:1], off, off
	v_mov_b32_e32 v16, 0
	s_delay_alu instid0(VALU_DEP_1)
	v_mov_b32_e32 v17, v16
	scratch_store_b64 off, v[16:17], off
	s_wait_loadcnt 0x0
	ds_store_b64 v3, v[0:1]
.LBB5_49:
	s_wait_alu 0xfffe
	s_or_b32 exec_lo, exec_lo, s0
	s_wait_storecnt_dscnt 0x0
	s_barrier_signal -1
	s_barrier_wait -1
	global_inv scope:SCOPE_SE
	s_clause 0x3
	scratch_load_b128 v[17:20], off, off offset:8
	scratch_load_b128 v[0:3], off, off offset:24
	scratch_load_b64 v[29:30], off, off offset:40
	scratch_load_b64 v[31:32], off, off
	v_mov_b32_e32 v16, 0
	ds_load_2addr_b64 v[21:24], v16 offset0:7 offset1:8
	ds_load_2addr_b64 v[25:28], v16 offset0:9 offset1:10
	ds_load_b64 v[33:34], v16 offset:88
	s_and_b32 vcc_lo, exec_lo, s18
	s_wait_loadcnt_dscnt 0x302
	v_dual_mul_f32 v35, v21, v18 :: v_dual_mul_f32 v36, v23, v20
	s_wait_loadcnt_dscnt 0x201
	v_dual_mul_f32 v37, v25, v1 :: v_dual_mul_f32 v20, v24, v20
	v_mul_f32_e32 v1, v26, v1
	s_delay_alu instid0(VALU_DEP_3)
	v_fmac_f32_e32 v35, v22, v17
	v_mul_f32_e32 v18, v22, v18
	v_fmac_f32_e32 v36, v24, v19
	s_wait_loadcnt_dscnt 0x100
	v_dual_mul_f32 v38, v27, v3 :: v_dual_mul_f32 v39, v33, v30
	v_fmac_f32_e32 v37, v26, v0
	v_fma_f32 v18, v21, v17, -v18
	v_fma_f32 v17, v23, v19, -v20
	v_add_f32_e32 v19, 0, v35
	v_fma_f32 v0, v25, v0, -v1
	s_delay_alu instid0(VALU_DEP_4) | instskip(NEXT) | instid1(VALU_DEP_1)
	v_dual_fmac_f32 v39, v34, v29 :: v_dual_add_f32 v18, 0, v18
	v_dual_mul_f32 v20, v28, v3 :: v_dual_add_f32 v1, v18, v17
	s_delay_alu instid0(VALU_DEP_4) | instskip(SKIP_1) | instid1(VALU_DEP_3)
	v_dual_add_f32 v17, v19, v36 :: v_dual_mul_f32 v18, v34, v30
	v_fmac_f32_e32 v38, v28, v2
	v_fma_f32 v19, v27, v2, -v20
	s_delay_alu instid0(VALU_DEP_4) | instskip(NEXT) | instid1(VALU_DEP_4)
	v_add_f32_e32 v0, v1, v0
	v_add_f32_e32 v1, v17, v37
	v_fma_f32 v17, v33, v29, -v18
	s_delay_alu instid0(VALU_DEP_2) | instskip(NEXT) | instid1(VALU_DEP_1)
	v_dual_add_f32 v0, v0, v19 :: v_dual_add_f32 v1, v1, v38
	v_dual_add_f32 v0, v0, v17 :: v_dual_add_f32 v1, v1, v39
	s_wait_loadcnt 0x0
	s_delay_alu instid0(VALU_DEP_1)
	v_dual_sub_f32 v0, v31, v0 :: v_dual_sub_f32 v1, v32, v1
	scratch_store_b64 off, v[0:1], off
	s_wait_alu 0xfffe
	s_cbranch_vccz .LBB5_60
; %bb.50:
	global_load_b32 v0, v16, s[2:3] offset:16
	s_wait_loadcnt 0x0
	v_cmp_ne_u32_e32 vcc_lo, 5, v0
	s_cbranch_vccz .LBB5_52
; %bb.51:
	v_lshlrev_b32_e32 v0, 3, v0
	s_delay_alu instid0(VALU_DEP_1)
	v_mov_b32_e32 v16, v0
	scratch_load_b64 v[0:1], v16, off offset:-8
	s_wait_loadcnt 0x0
	scratch_store_b64 off, v[0:1], off offset:32
	scratch_store_b64 v16, v[2:3], off offset:-8
.LBB5_52:
	v_mov_b32_e32 v0, 0
	global_load_b32 v1, v0, s[2:3] offset:12
	s_wait_loadcnt 0x0
	v_cmp_eq_u32_e32 vcc_lo, 4, v1
	s_cbranch_vccnz .LBB5_54
; %bb.53:
	v_lshlrev_b32_e32 v1, 3, v1
	s_delay_alu instid0(VALU_DEP_1)
	v_mov_b32_e32 v3, v1
	scratch_load_b64 v[1:2], v3, off offset:-8
	scratch_load_b64 v[16:17], off, off offset:24
	s_wait_loadcnt 0x1
	scratch_store_b64 off, v[1:2], off offset:24
	s_wait_loadcnt 0x0
	scratch_store_b64 v3, v[16:17], off offset:-8
.LBB5_54:
	global_load_b32 v0, v0, s[2:3] offset:8
	s_wait_loadcnt 0x0
	v_cmp_eq_u32_e32 vcc_lo, 3, v0
	s_cbranch_vccnz .LBB5_56
; %bb.55:
	v_lshlrev_b32_e32 v0, 3, v0
	s_delay_alu instid0(VALU_DEP_1)
	v_mov_b32_e32 v16, v0
	scratch_load_b64 v[0:1], v16, off offset:-8
	scratch_load_b64 v[2:3], off, off offset:16
	s_wait_loadcnt 0x1
	scratch_store_b64 off, v[0:1], off offset:16
	s_wait_loadcnt 0x0
	scratch_store_b64 v16, v[2:3], off offset:-8
.LBB5_56:
	v_mov_b32_e32 v0, 0
	global_load_b32 v1, v0, s[2:3] offset:4
	s_wait_loadcnt 0x0
	v_cmp_eq_u32_e32 vcc_lo, 2, v1
	s_cbranch_vccnz .LBB5_58
; %bb.57:
	v_lshlrev_b32_e32 v1, 3, v1
	s_delay_alu instid0(VALU_DEP_1)
	v_mov_b32_e32 v3, v1
	scratch_load_b64 v[1:2], v3, off offset:-8
	scratch_load_b64 v[16:17], off, off offset:8
	s_wait_loadcnt 0x1
	scratch_store_b64 off, v[1:2], off offset:8
	s_wait_loadcnt 0x0
	scratch_store_b64 v3, v[16:17], off offset:-8
.LBB5_58:
	global_load_b32 v0, v0, s[2:3]
	s_wait_loadcnt 0x0
	v_cmp_eq_u32_e32 vcc_lo, 1, v0
	s_cbranch_vccnz .LBB5_60
; %bb.59:
	v_lshlrev_b32_e32 v0, 3, v0
	s_delay_alu instid0(VALU_DEP_1)
	v_mov_b32_e32 v16, v0
	scratch_load_b64 v[0:1], v16, off offset:-8
	scratch_load_b64 v[2:3], off, off
	s_wait_loadcnt 0x1
	scratch_store_b64 off, v[0:1], off
	s_wait_loadcnt 0x0
	scratch_store_b64 v16, v[2:3], off offset:-8
.LBB5_60:
	s_clause 0x2
	scratch_load_b128 v[0:3], off, off
	scratch_load_b128 v[16:19], off, off offset:16
	scratch_load_b128 v[20:23], off, off offset:32
	s_wait_loadcnt 0x2
	s_clause 0x1
	global_store_b64 v[4:5], v[0:1], off
	global_store_b64 v[6:7], v[2:3], off
	s_wait_loadcnt 0x1
	s_clause 0x1
	global_store_b64 v[8:9], v[16:17], off
	global_store_b64 v[10:11], v[18:19], off
	;; [unrolled: 4-line block ×3, first 2 shown]
	s_endpgm
	.section	.rodata,"a",@progbits
	.p2align	6, 0x0
	.amdhsa_kernel _ZN9rocsolver6v33100L18getri_kernel_smallILi6E19rocblas_complex_numIfEPS3_EEvT1_iilPiilS6_bb
		.amdhsa_group_segment_fixed_size 100
		.amdhsa_private_segment_fixed_size 64
		.amdhsa_kernarg_size 60
		.amdhsa_user_sgpr_count 2
		.amdhsa_user_sgpr_dispatch_ptr 0
		.amdhsa_user_sgpr_queue_ptr 0
		.amdhsa_user_sgpr_kernarg_segment_ptr 1
		.amdhsa_user_sgpr_dispatch_id 0
		.amdhsa_user_sgpr_private_segment_size 0
		.amdhsa_wavefront_size32 1
		.amdhsa_uses_dynamic_stack 0
		.amdhsa_enable_private_segment 1
		.amdhsa_system_sgpr_workgroup_id_x 1
		.amdhsa_system_sgpr_workgroup_id_y 0
		.amdhsa_system_sgpr_workgroup_id_z 0
		.amdhsa_system_sgpr_workgroup_info 0
		.amdhsa_system_vgpr_workitem_id 0
		.amdhsa_next_free_vgpr 40
		.amdhsa_next_free_sgpr 19
		.amdhsa_reserve_vcc 1
		.amdhsa_float_round_mode_32 0
		.amdhsa_float_round_mode_16_64 0
		.amdhsa_float_denorm_mode_32 3
		.amdhsa_float_denorm_mode_16_64 3
		.amdhsa_fp16_overflow 0
		.amdhsa_workgroup_processor_mode 1
		.amdhsa_memory_ordered 1
		.amdhsa_forward_progress 1
		.amdhsa_inst_pref_size 37
		.amdhsa_round_robin_scheduling 0
		.amdhsa_exception_fp_ieee_invalid_op 0
		.amdhsa_exception_fp_denorm_src 0
		.amdhsa_exception_fp_ieee_div_zero 0
		.amdhsa_exception_fp_ieee_overflow 0
		.amdhsa_exception_fp_ieee_underflow 0
		.amdhsa_exception_fp_ieee_inexact 0
		.amdhsa_exception_int_div_zero 0
	.end_amdhsa_kernel
	.section	.text._ZN9rocsolver6v33100L18getri_kernel_smallILi6E19rocblas_complex_numIfEPS3_EEvT1_iilPiilS6_bb,"axG",@progbits,_ZN9rocsolver6v33100L18getri_kernel_smallILi6E19rocblas_complex_numIfEPS3_EEvT1_iilPiilS6_bb,comdat
.Lfunc_end5:
	.size	_ZN9rocsolver6v33100L18getri_kernel_smallILi6E19rocblas_complex_numIfEPS3_EEvT1_iilPiilS6_bb, .Lfunc_end5-_ZN9rocsolver6v33100L18getri_kernel_smallILi6E19rocblas_complex_numIfEPS3_EEvT1_iilPiilS6_bb
                                        ; -- End function
	.set _ZN9rocsolver6v33100L18getri_kernel_smallILi6E19rocblas_complex_numIfEPS3_EEvT1_iilPiilS6_bb.num_vgpr, 40
	.set _ZN9rocsolver6v33100L18getri_kernel_smallILi6E19rocblas_complex_numIfEPS3_EEvT1_iilPiilS6_bb.num_agpr, 0
	.set _ZN9rocsolver6v33100L18getri_kernel_smallILi6E19rocblas_complex_numIfEPS3_EEvT1_iilPiilS6_bb.numbered_sgpr, 19
	.set _ZN9rocsolver6v33100L18getri_kernel_smallILi6E19rocblas_complex_numIfEPS3_EEvT1_iilPiilS6_bb.num_named_barrier, 0
	.set _ZN9rocsolver6v33100L18getri_kernel_smallILi6E19rocblas_complex_numIfEPS3_EEvT1_iilPiilS6_bb.private_seg_size, 64
	.set _ZN9rocsolver6v33100L18getri_kernel_smallILi6E19rocblas_complex_numIfEPS3_EEvT1_iilPiilS6_bb.uses_vcc, 1
	.set _ZN9rocsolver6v33100L18getri_kernel_smallILi6E19rocblas_complex_numIfEPS3_EEvT1_iilPiilS6_bb.uses_flat_scratch, 1
	.set _ZN9rocsolver6v33100L18getri_kernel_smallILi6E19rocblas_complex_numIfEPS3_EEvT1_iilPiilS6_bb.has_dyn_sized_stack, 0
	.set _ZN9rocsolver6v33100L18getri_kernel_smallILi6E19rocblas_complex_numIfEPS3_EEvT1_iilPiilS6_bb.has_recursion, 0
	.set _ZN9rocsolver6v33100L18getri_kernel_smallILi6E19rocblas_complex_numIfEPS3_EEvT1_iilPiilS6_bb.has_indirect_call, 0
	.section	.AMDGPU.csdata,"",@progbits
; Kernel info:
; codeLenInByte = 4732
; TotalNumSgprs: 21
; NumVgprs: 40
; ScratchSize: 64
; MemoryBound: 0
; FloatMode: 240
; IeeeMode: 1
; LDSByteSize: 100 bytes/workgroup (compile time only)
; SGPRBlocks: 0
; VGPRBlocks: 4
; NumSGPRsForWavesPerEU: 21
; NumVGPRsForWavesPerEU: 40
; Occupancy: 16
; WaveLimiterHint : 0
; COMPUTE_PGM_RSRC2:SCRATCH_EN: 1
; COMPUTE_PGM_RSRC2:USER_SGPR: 2
; COMPUTE_PGM_RSRC2:TRAP_HANDLER: 0
; COMPUTE_PGM_RSRC2:TGID_X_EN: 1
; COMPUTE_PGM_RSRC2:TGID_Y_EN: 0
; COMPUTE_PGM_RSRC2:TGID_Z_EN: 0
; COMPUTE_PGM_RSRC2:TIDIG_COMP_CNT: 0
	.section	.text._ZN9rocsolver6v33100L18getri_kernel_smallILi7E19rocblas_complex_numIfEPS3_EEvT1_iilPiilS6_bb,"axG",@progbits,_ZN9rocsolver6v33100L18getri_kernel_smallILi7E19rocblas_complex_numIfEPS3_EEvT1_iilPiilS6_bb,comdat
	.globl	_ZN9rocsolver6v33100L18getri_kernel_smallILi7E19rocblas_complex_numIfEPS3_EEvT1_iilPiilS6_bb ; -- Begin function _ZN9rocsolver6v33100L18getri_kernel_smallILi7E19rocblas_complex_numIfEPS3_EEvT1_iilPiilS6_bb
	.p2align	8
	.type	_ZN9rocsolver6v33100L18getri_kernel_smallILi7E19rocblas_complex_numIfEPS3_EEvT1_iilPiilS6_bb,@function
_ZN9rocsolver6v33100L18getri_kernel_smallILi7E19rocblas_complex_numIfEPS3_EEvT1_iilPiilS6_bb: ; @_ZN9rocsolver6v33100L18getri_kernel_smallILi7E19rocblas_complex_numIfEPS3_EEvT1_iilPiilS6_bb
; %bb.0:
	s_mov_b32 s2, exec_lo
	v_cmpx_gt_u32_e32 7, v0
	s_cbranch_execz .LBB6_42
; %bb.1:
	s_clause 0x2
	s_load_b32 s2, s[0:1], 0x38
	s_load_b128 s[12:15], s[0:1], 0x10
	s_load_b128 s[4:7], s[0:1], 0x28
	s_mov_b32 s16, ttmp9
	s_wait_kmcnt 0x0
	s_bitcmp1_b32 s2, 8
	s_cselect_b32 s18, -1, 0
	s_bfe_u32 s2, s2, 0x10008
	s_ashr_i32 s17, ttmp9, 31
	s_cmp_eq_u32 s2, 0
                                        ; implicit-def: $sgpr2_sgpr3
	s_cbranch_scc1 .LBB6_3
; %bb.2:
	s_load_b32 s2, s[0:1], 0x20
	s_mul_u64 s[4:5], s[4:5], s[16:17]
	s_delay_alu instid0(SALU_CYCLE_1) | instskip(NEXT) | instid1(SALU_CYCLE_1)
	s_lshl_b64 s[4:5], s[4:5], 2
	s_add_nc_u64 s[4:5], s[14:15], s[4:5]
	s_wait_kmcnt 0x0
	s_ashr_i32 s3, s2, 31
	s_delay_alu instid0(SALU_CYCLE_1) | instskip(NEXT) | instid1(SALU_CYCLE_1)
	s_lshl_b64 s[2:3], s[2:3], 2
	s_add_nc_u64 s[2:3], s[4:5], s[2:3]
.LBB6_3:
	s_clause 0x1
	s_load_b128 s[8:11], s[0:1], 0x0
	s_load_b32 s14, s[0:1], 0x38
	s_mul_u64 s[0:1], s[12:13], s[16:17]
	v_lshlrev_b32_e32 v3, 3, v0
	s_lshl_b64 s[0:1], s[0:1], 3
	s_wait_kmcnt 0x0
	v_add3_u32 v1, s11, s11, v0
	s_ashr_i32 s5, s10, 31
	s_mov_b32 s4, s10
	s_add_nc_u64 s[0:1], s[8:9], s[0:1]
	s_lshl_b64 s[4:5], s[4:5], 3
	v_add_nc_u32_e32 v8, s11, v1
	v_ashrrev_i32_e32 v2, 31, v1
	s_add_nc_u64 s[0:1], s[0:1], s[4:5]
	s_ashr_i32 s9, s11, 31
	v_add_co_u32 v4, s4, s0, v3
	v_add_nc_u32_e32 v10, s11, v8
	s_mov_b32 s8, s11
	v_lshlrev_b64_e32 v[1:2], 3, v[1:2]
	v_add_co_ci_u32_e64 v5, null, s1, 0, s4
	v_ashrrev_i32_e32 v9, 31, v8
	v_add_nc_u32_e32 v14, s11, v10
	s_lshl_b64 s[8:9], s[8:9], 3
	v_ashrrev_i32_e32 v11, 31, v10
	v_add_co_u32 v6, vcc_lo, v4, s8
	s_delay_alu instid0(VALU_DEP_1)
	v_add_co_ci_u32_e64 v7, null, s9, v5, vcc_lo
	v_lshlrev_b64_e32 v[12:13], 3, v[8:9]
	v_add_co_u32 v8, vcc_lo, s0, v1
	v_add_nc_u32_e32 v16, s11, v14
	s_wait_alu 0xfffd
	v_add_co_ci_u32_e64 v9, null, s1, v2, vcc_lo
	v_lshlrev_b64_e32 v[1:2], 3, v[10:11]
	v_ashrrev_i32_e32 v15, 31, v14
	v_ashrrev_i32_e32 v17, 31, v16
	v_add_co_u32 v10, vcc_lo, s0, v12
	s_wait_alu 0xfffd
	v_add_co_ci_u32_e64 v11, null, s1, v13, vcc_lo
	v_lshlrev_b64_e32 v[14:15], 3, v[14:15]
	v_add_co_u32 v12, vcc_lo, s0, v1
	s_wait_alu 0xfffd
	v_add_co_ci_u32_e64 v13, null, s1, v2, vcc_lo
	v_lshlrev_b64_e32 v[1:2], 3, v[16:17]
	s_delay_alu instid0(VALU_DEP_4)
	v_add_co_u32 v14, vcc_lo, s0, v14
	s_wait_alu 0xfffd
	v_add_co_ci_u32_e64 v15, null, s1, v15, vcc_lo
	global_load_b64 v[18:19], v3, s[0:1]
	v_add_co_u32 v16, vcc_lo, s0, v1
	s_wait_alu 0xfffd
	v_add_co_ci_u32_e64 v17, null, s1, v2, vcc_lo
	s_clause 0x5
	global_load_b64 v[20:21], v[6:7], off
	global_load_b64 v[22:23], v[8:9], off
	;; [unrolled: 1-line block ×6, first 2 shown]
	s_mov_b32 s1, -1
	s_bitcmp0_b32 s14, 0
	s_wait_loadcnt 0x5
	scratch_store_b128 off, v[18:21], off
	s_wait_loadcnt 0x3
	scratch_store_b128 off, v[22:25], off offset:16
	s_wait_loadcnt 0x1
	scratch_store_b128 off, v[26:29], off offset:32
	s_wait_loadcnt 0x0
	scratch_store_b64 off, v[1:2], off offset:48
	s_cbranch_scc1 .LBB6_40
; %bb.4:
	v_cmp_eq_u32_e64 s0, 0, v0
	s_and_saveexec_b32 s1, s0
; %bb.5:
	v_mov_b32_e32 v1, 0
	ds_store_b32 v1, v1 offset:56
; %bb.6:
	s_wait_alu 0xfffe
	s_or_b32 exec_lo, exec_lo, s1
	s_wait_storecnt_dscnt 0x0
	s_barrier_signal -1
	s_barrier_wait -1
	global_inv scope:SCOPE_SE
	scratch_load_b64 v[1:2], v3, off
	s_wait_loadcnt 0x0
	v_cmp_eq_f32_e32 vcc_lo, 0, v1
	v_cmp_eq_f32_e64 s1, 0, v2
	s_and_b32 s1, vcc_lo, s1
	s_wait_alu 0xfffe
	s_and_saveexec_b32 s4, s1
	s_cbranch_execz .LBB6_10
; %bb.7:
	v_mov_b32_e32 v1, 0
	s_mov_b32 s5, 0
	ds_load_b32 v2, v1 offset:56
	s_wait_dscnt 0x0
	v_readfirstlane_b32 s1, v2
	v_add_nc_u32_e32 v2, 1, v0
	s_cmp_eq_u32 s1, 0
	s_delay_alu instid0(VALU_DEP_1)
	v_cmp_gt_i32_e32 vcc_lo, s1, v2
	s_cselect_b32 s8, -1, 0
	s_wait_alu 0xfffe
	s_or_b32 s8, s8, vcc_lo
	s_wait_alu 0xfffe
	s_and_b32 exec_lo, exec_lo, s8
	s_cbranch_execz .LBB6_10
; %bb.8:
	v_mov_b32_e32 v18, s1
.LBB6_9:                                ; =>This Inner Loop Header: Depth=1
	ds_cmpstore_rtn_b32 v18, v1, v2, v18 offset:56
	s_wait_dscnt 0x0
	v_cmp_ne_u32_e32 vcc_lo, 0, v18
	v_cmp_le_i32_e64 s1, v18, v2
	s_and_b32 s1, vcc_lo, s1
	s_wait_alu 0xfffe
	s_and_b32 s1, exec_lo, s1
	s_wait_alu 0xfffe
	s_or_b32 s5, s1, s5
	s_wait_alu 0xfffe
	s_and_not1_b32 exec_lo, exec_lo, s5
	s_cbranch_execnz .LBB6_9
.LBB6_10:
	s_wait_alu 0xfffe
	s_or_b32 exec_lo, exec_lo, s4
	v_mov_b32_e32 v1, 0
	s_barrier_signal -1
	s_barrier_wait -1
	global_inv scope:SCOPE_SE
	ds_load_b32 v2, v1 offset:56
	s_and_saveexec_b32 s1, s0
	s_cbranch_execz .LBB6_12
; %bb.11:
	s_lshl_b64 s[4:5], s[16:17], 2
	s_wait_alu 0xfffe
	s_add_nc_u64 s[4:5], s[6:7], s[4:5]
	s_wait_dscnt 0x0
	global_store_b32 v1, v2, s[4:5]
.LBB6_12:
	s_wait_alu 0xfffe
	s_or_b32 exec_lo, exec_lo, s1
	s_wait_dscnt 0x0
	v_cmp_ne_u32_e32 vcc_lo, 0, v2
	s_mov_b32 s1, 0
	s_cbranch_vccnz .LBB6_40
; %bb.13:
	v_mov_b32_e32 v22, v3
                                        ; implicit-def: $vgpr18
                                        ; implicit-def: $vgpr20
	scratch_load_b64 v[1:2], v22, off
	s_wait_loadcnt 0x0
	v_cmp_ngt_f32_e64 s1, |v1|, |v2|
	s_wait_alu 0xfffe
	s_and_saveexec_b32 s4, s1
	s_wait_alu 0xfffe
	s_xor_b32 s1, exec_lo, s4
	s_cbranch_execz .LBB6_15
; %bb.14:
	v_div_scale_f32 v18, null, v2, v2, v1
	v_div_scale_f32 v21, vcc_lo, v1, v2, v1
	s_delay_alu instid0(VALU_DEP_2) | instskip(NEXT) | instid1(TRANS32_DEP_1)
	v_rcp_f32_e32 v19, v18
	v_fma_f32 v20, -v18, v19, 1.0
	s_delay_alu instid0(VALU_DEP_1) | instskip(NEXT) | instid1(VALU_DEP_1)
	v_fmac_f32_e32 v19, v20, v19
	v_mul_f32_e32 v20, v21, v19
	s_delay_alu instid0(VALU_DEP_1) | instskip(NEXT) | instid1(VALU_DEP_1)
	v_fma_f32 v23, -v18, v20, v21
	v_fmac_f32_e32 v20, v23, v19
	s_delay_alu instid0(VALU_DEP_1) | instskip(SKIP_1) | instid1(VALU_DEP_1)
	v_fma_f32 v18, -v18, v20, v21
	s_wait_alu 0xfffd
	v_div_fmas_f32 v18, v18, v19, v20
	s_delay_alu instid0(VALU_DEP_1) | instskip(NEXT) | instid1(VALU_DEP_1)
	v_div_fixup_f32 v18, v18, v2, v1
	v_fmac_f32_e32 v2, v1, v18
	s_delay_alu instid0(VALU_DEP_1) | instskip(NEXT) | instid1(VALU_DEP_1)
	v_div_scale_f32 v1, null, v2, v2, 1.0
	v_rcp_f32_e32 v19, v1
	s_delay_alu instid0(TRANS32_DEP_1) | instskip(NEXT) | instid1(VALU_DEP_1)
	v_fma_f32 v20, -v1, v19, 1.0
	v_fmac_f32_e32 v19, v20, v19
	v_div_scale_f32 v20, vcc_lo, 1.0, v2, 1.0
	s_delay_alu instid0(VALU_DEP_1) | instskip(NEXT) | instid1(VALU_DEP_1)
	v_mul_f32_e32 v21, v20, v19
	v_fma_f32 v23, -v1, v21, v20
	s_delay_alu instid0(VALU_DEP_1) | instskip(NEXT) | instid1(VALU_DEP_1)
	v_fmac_f32_e32 v21, v23, v19
	v_fma_f32 v1, -v1, v21, v20
	s_wait_alu 0xfffd
	s_delay_alu instid0(VALU_DEP_1) | instskip(NEXT) | instid1(VALU_DEP_1)
	v_div_fmas_f32 v1, v1, v19, v21
	v_div_fixup_f32 v1, v1, v2, 1.0
	s_delay_alu instid0(VALU_DEP_1) | instskip(SKIP_1) | instid1(VALU_DEP_2)
	v_mul_f32_e32 v18, v18, v1
	v_xor_b32_e32 v19, 0x80000000, v1
                                        ; implicit-def: $vgpr1_vgpr2
	v_xor_b32_e32 v20, 0x80000000, v18
.LBB6_15:
	s_wait_alu 0xfffe
	s_and_not1_saveexec_b32 s1, s1
	s_cbranch_execz .LBB6_17
; %bb.16:
	v_div_scale_f32 v18, null, v1, v1, v2
	v_div_scale_f32 v21, vcc_lo, v2, v1, v2
	s_delay_alu instid0(VALU_DEP_2) | instskip(NEXT) | instid1(TRANS32_DEP_1)
	v_rcp_f32_e32 v19, v18
	v_fma_f32 v20, -v18, v19, 1.0
	s_delay_alu instid0(VALU_DEP_1) | instskip(NEXT) | instid1(VALU_DEP_1)
	v_fmac_f32_e32 v19, v20, v19
	v_mul_f32_e32 v20, v21, v19
	s_delay_alu instid0(VALU_DEP_1) | instskip(NEXT) | instid1(VALU_DEP_1)
	v_fma_f32 v23, -v18, v20, v21
	v_fmac_f32_e32 v20, v23, v19
	s_delay_alu instid0(VALU_DEP_1) | instskip(SKIP_1) | instid1(VALU_DEP_1)
	v_fma_f32 v18, -v18, v20, v21
	s_wait_alu 0xfffd
	v_div_fmas_f32 v18, v18, v19, v20
	s_delay_alu instid0(VALU_DEP_1) | instskip(NEXT) | instid1(VALU_DEP_1)
	v_div_fixup_f32 v19, v18, v1, v2
	v_fmac_f32_e32 v1, v2, v19
	s_delay_alu instid0(VALU_DEP_1) | instskip(NEXT) | instid1(VALU_DEP_1)
	v_div_scale_f32 v2, null, v1, v1, 1.0
	v_rcp_f32_e32 v18, v2
	s_delay_alu instid0(TRANS32_DEP_1) | instskip(NEXT) | instid1(VALU_DEP_1)
	v_fma_f32 v20, -v2, v18, 1.0
	v_fmac_f32_e32 v18, v20, v18
	v_div_scale_f32 v21, vcc_lo, 1.0, v1, 1.0
	s_delay_alu instid0(VALU_DEP_1) | instskip(NEXT) | instid1(VALU_DEP_1)
	v_mul_f32_e32 v20, v21, v18
	v_fma_f32 v23, -v2, v20, v21
	s_delay_alu instid0(VALU_DEP_1) | instskip(NEXT) | instid1(VALU_DEP_1)
	v_fmac_f32_e32 v20, v23, v18
	v_fma_f32 v2, -v2, v20, v21
	s_wait_alu 0xfffd
	s_delay_alu instid0(VALU_DEP_1) | instskip(NEXT) | instid1(VALU_DEP_1)
	v_div_fmas_f32 v2, v2, v18, v20
	v_div_fixup_f32 v18, v2, v1, 1.0
	s_delay_alu instid0(VALU_DEP_1)
	v_xor_b32_e32 v20, 0x80000000, v18
	v_mul_f32_e64 v19, v19, -v18
.LBB6_17:
	s_wait_alu 0xfffe
	s_or_b32 exec_lo, exec_lo, s1
	scratch_store_b64 v22, v[18:19], off
	scratch_load_b64 v[23:24], off, off offset:8
	v_xor_b32_e32 v21, 0x80000000, v19
	v_add_nc_u32_e32 v1, 64, v3
	s_wait_loadcnt 0x0
	ds_store_2addr_b64 v3, v[20:21], v[23:24] offset1:8
	s_wait_storecnt_dscnt 0x0
	s_barrier_signal -1
	s_barrier_wait -1
	global_inv scope:SCOPE_SE
	s_and_saveexec_b32 s1, s0
	s_cbranch_execz .LBB6_19
; %bb.18:
	scratch_load_b64 v[18:19], v22, off
	ds_load_b64 v[20:21], v1
	v_mov_b32_e32 v2, 0
	ds_load_b64 v[23:24], v2 offset:8
	s_wait_loadcnt_dscnt 0x1
	v_mul_f32_e32 v2, v20, v19
	v_mul_f32_e32 v19, v21, v19
	s_delay_alu instid0(VALU_DEP_2) | instskip(NEXT) | instid1(VALU_DEP_2)
	v_fmac_f32_e32 v2, v21, v18
	v_fma_f32 v18, v20, v18, -v19
	s_delay_alu instid0(VALU_DEP_2) | instskip(NEXT) | instid1(VALU_DEP_2)
	v_add_f32_e32 v2, 0, v2
	v_add_f32_e32 v18, 0, v18
	s_wait_dscnt 0x0
	s_delay_alu instid0(VALU_DEP_2) | instskip(NEXT) | instid1(VALU_DEP_2)
	v_mul_f32_e32 v20, v2, v24
	v_mul_f32_e32 v19, v18, v24
	s_delay_alu instid0(VALU_DEP_1) | instskip(NEXT) | instid1(VALU_DEP_3)
	v_fmac_f32_e32 v19, v2, v23
	v_fma_f32 v18, v18, v23, -v20
	scratch_store_b64 off, v[18:19], off offset:8
.LBB6_19:
	s_wait_alu 0xfffe
	s_or_b32 exec_lo, exec_lo, s1
	s_wait_loadcnt 0x0
	s_wait_storecnt 0x0
	s_barrier_signal -1
	s_barrier_wait -1
	global_inv scope:SCOPE_SE
	scratch_load_b64 v[18:19], off, off offset:16
	s_mov_b32 s1, exec_lo
	s_wait_loadcnt 0x0
	ds_store_b64 v1, v[18:19]
	s_wait_dscnt 0x0
	s_barrier_signal -1
	s_barrier_wait -1
	global_inv scope:SCOPE_SE
	v_cmpx_gt_u32_e32 2, v0
	s_cbranch_execz .LBB6_23
; %bb.20:
	scratch_load_b64 v[18:19], v22, off
	ds_load_b64 v[20:21], v1
	s_wait_loadcnt_dscnt 0x0
	v_mul_f32_e32 v2, v21, v19
	s_delay_alu instid0(VALU_DEP_1) | instskip(SKIP_1) | instid1(VALU_DEP_1)
	v_fma_f32 v2, v20, v18, -v2
	v_mul_f32_e32 v19, v20, v19
	v_fmac_f32_e32 v19, v21, v18
	s_delay_alu instid0(VALU_DEP_3) | instskip(NEXT) | instid1(VALU_DEP_2)
	v_add_f32_e32 v18, 0, v2
	v_add_f32_e32 v2, 0, v19
	s_and_saveexec_b32 s4, s0
	s_cbranch_execz .LBB6_22
; %bb.21:
	scratch_load_b64 v[19:20], off, off offset:8
	v_mov_b32_e32 v21, 0
	ds_load_b64 v[23:24], v21 offset:72
	s_wait_loadcnt_dscnt 0x0
	v_mul_f32_e32 v21, v23, v20
	v_mul_f32_e32 v20, v24, v20
	s_delay_alu instid0(VALU_DEP_2) | instskip(NEXT) | instid1(VALU_DEP_2)
	v_fmac_f32_e32 v21, v24, v19
	v_fma_f32 v19, v23, v19, -v20
	s_delay_alu instid0(VALU_DEP_2) | instskip(NEXT) | instid1(VALU_DEP_2)
	v_add_f32_e32 v2, v2, v21
	v_add_f32_e32 v18, v18, v19
.LBB6_22:
	s_wait_alu 0xfffe
	s_or_b32 exec_lo, exec_lo, s4
	v_mov_b32_e32 v19, 0
	ds_load_b64 v[19:20], v19 offset:16
	s_wait_dscnt 0x0
	v_mul_f32_e32 v23, v2, v20
	v_mul_f32_e32 v21, v18, v20
	s_delay_alu instid0(VALU_DEP_2) | instskip(NEXT) | instid1(VALU_DEP_2)
	v_fma_f32 v20, v18, v19, -v23
	v_fmac_f32_e32 v21, v2, v19
	scratch_store_b64 off, v[20:21], off offset:16
.LBB6_23:
	s_wait_alu 0xfffe
	s_or_b32 exec_lo, exec_lo, s1
	s_wait_loadcnt 0x0
	s_wait_storecnt 0x0
	s_barrier_signal -1
	s_barrier_wait -1
	global_inv scope:SCOPE_SE
	scratch_load_b64 v[18:19], off, off offset:24
	v_add_nc_u32_e32 v2, -1, v0
	s_mov_b32 s0, exec_lo
	s_wait_loadcnt 0x0
	ds_store_b64 v1, v[18:19]
	s_wait_dscnt 0x0
	s_barrier_signal -1
	s_barrier_wait -1
	global_inv scope:SCOPE_SE
	v_cmpx_gt_u32_e32 3, v0
	s_cbranch_execz .LBB6_27
; %bb.24:
	v_dual_mov_b32 v18, 0 :: v_dual_add_nc_u32 v19, -1, v0
	v_dual_mov_b32 v21, v3 :: v_dual_add_nc_u32 v20, 64, v3
	v_mov_b32_e32 v23, 0
	s_mov_b32 s1, 0
.LBB6_25:                               ; =>This Inner Loop Header: Depth=1
	scratch_load_b64 v[24:25], v21, off
	ds_load_b64 v[26:27], v20
	v_add_nc_u32_e32 v21, 8, v21
	v_add_nc_u32_e32 v19, 1, v19
	;; [unrolled: 1-line block ×3, first 2 shown]
	s_delay_alu instid0(VALU_DEP_2)
	v_cmp_lt_u32_e32 vcc_lo, 1, v19
	s_wait_alu 0xfffe
	s_or_b32 s1, vcc_lo, s1
	s_wait_loadcnt_dscnt 0x0
	v_mul_f32_e32 v28, v27, v25
	v_mul_f32_e32 v25, v26, v25
	s_delay_alu instid0(VALU_DEP_2) | instskip(NEXT) | instid1(VALU_DEP_2)
	v_fma_f32 v26, v26, v24, -v28
	v_fmac_f32_e32 v25, v27, v24
	s_delay_alu instid0(VALU_DEP_1)
	v_dual_add_f32 v23, v23, v26 :: v_dual_add_f32 v18, v18, v25
	s_wait_alu 0xfffe
	s_and_not1_b32 exec_lo, exec_lo, s1
	s_cbranch_execnz .LBB6_25
; %bb.26:
	s_or_b32 exec_lo, exec_lo, s1
	v_mov_b32_e32 v19, 0
	ds_load_b64 v[19:20], v19 offset:24
	s_wait_dscnt 0x0
	v_mul_f32_e32 v24, v18, v20
	v_mul_f32_e32 v21, v23, v20
	s_delay_alu instid0(VALU_DEP_2) | instskip(NEXT) | instid1(VALU_DEP_2)
	v_fma_f32 v20, v23, v19, -v24
	v_fmac_f32_e32 v21, v18, v19
	scratch_store_b64 off, v[20:21], off offset:24
.LBB6_27:
	s_wait_alu 0xfffe
	s_or_b32 exec_lo, exec_lo, s0
	s_wait_loadcnt 0x0
	s_wait_storecnt 0x0
	s_barrier_signal -1
	s_barrier_wait -1
	global_inv scope:SCOPE_SE
	scratch_load_b64 v[18:19], off, off offset:32
	s_mov_b32 s0, exec_lo
	s_wait_loadcnt 0x0
	ds_store_b64 v1, v[18:19]
	s_wait_dscnt 0x0
	s_barrier_signal -1
	s_barrier_wait -1
	global_inv scope:SCOPE_SE
	v_cmpx_gt_u32_e32 4, v0
	s_cbranch_execz .LBB6_31
; %bb.28:
	v_dual_mov_b32 v18, 0 :: v_dual_add_nc_u32 v19, -1, v0
	v_dual_mov_b32 v21, v3 :: v_dual_add_nc_u32 v20, 64, v3
	v_mov_b32_e32 v23, 0
	s_mov_b32 s1, 0
.LBB6_29:                               ; =>This Inner Loop Header: Depth=1
	scratch_load_b64 v[24:25], v21, off
	ds_load_b64 v[26:27], v20
	v_add_nc_u32_e32 v21, 8, v21
	v_add_nc_u32_e32 v19, 1, v19
	;; [unrolled: 1-line block ×3, first 2 shown]
	s_delay_alu instid0(VALU_DEP_2)
	v_cmp_lt_u32_e32 vcc_lo, 2, v19
	s_wait_alu 0xfffe
	s_or_b32 s1, vcc_lo, s1
	s_wait_loadcnt_dscnt 0x0
	v_mul_f32_e32 v28, v27, v25
	v_mul_f32_e32 v25, v26, v25
	s_delay_alu instid0(VALU_DEP_2) | instskip(NEXT) | instid1(VALU_DEP_2)
	v_fma_f32 v26, v26, v24, -v28
	v_fmac_f32_e32 v25, v27, v24
	s_delay_alu instid0(VALU_DEP_1)
	v_dual_add_f32 v23, v23, v26 :: v_dual_add_f32 v18, v18, v25
	s_wait_alu 0xfffe
	s_and_not1_b32 exec_lo, exec_lo, s1
	s_cbranch_execnz .LBB6_29
; %bb.30:
	s_or_b32 exec_lo, exec_lo, s1
	v_mov_b32_e32 v19, 0
	ds_load_b64 v[19:20], v19 offset:32
	s_wait_dscnt 0x0
	v_mul_f32_e32 v24, v18, v20
	v_mul_f32_e32 v21, v23, v20
	s_delay_alu instid0(VALU_DEP_2) | instskip(NEXT) | instid1(VALU_DEP_2)
	v_fma_f32 v20, v23, v19, -v24
	v_fmac_f32_e32 v21, v18, v19
	scratch_store_b64 off, v[20:21], off offset:32
.LBB6_31:
	s_wait_alu 0xfffe
	s_or_b32 exec_lo, exec_lo, s0
	s_wait_loadcnt 0x0
	s_wait_storecnt 0x0
	s_barrier_signal -1
	s_barrier_wait -1
	global_inv scope:SCOPE_SE
	scratch_load_b64 v[18:19], off, off offset:40
	s_mov_b32 s0, exec_lo
	s_wait_loadcnt 0x0
	ds_store_b64 v1, v[18:19]
	s_wait_dscnt 0x0
	s_barrier_signal -1
	s_barrier_wait -1
	global_inv scope:SCOPE_SE
	v_cmpx_gt_u32_e32 5, v0
	s_cbranch_execz .LBB6_35
; %bb.32:
	v_add_nc_u32_e32 v18, -1, v0
	v_dual_mov_b32 v20, v3 :: v_dual_add_nc_u32 v19, 64, v3
	v_mov_b32_e32 v3, 0
	v_mov_b32_e32 v21, 0
	s_mov_b32 s1, 0
.LBB6_33:                               ; =>This Inner Loop Header: Depth=1
	scratch_load_b64 v[23:24], v20, off
	ds_load_b64 v[25:26], v19
	v_add_nc_u32_e32 v20, 8, v20
	v_add_nc_u32_e32 v18, 1, v18
	;; [unrolled: 1-line block ×3, first 2 shown]
	s_delay_alu instid0(VALU_DEP_2)
	v_cmp_lt_u32_e32 vcc_lo, 3, v18
	s_wait_alu 0xfffe
	s_or_b32 s1, vcc_lo, s1
	s_wait_loadcnt_dscnt 0x0
	v_mul_f32_e32 v27, v26, v24
	v_mul_f32_e32 v24, v25, v24
	s_delay_alu instid0(VALU_DEP_2) | instskip(NEXT) | instid1(VALU_DEP_1)
	v_fma_f32 v25, v25, v23, -v27
	v_dual_fmac_f32 v24, v26, v23 :: v_dual_add_f32 v21, v21, v25
	s_delay_alu instid0(VALU_DEP_1)
	v_add_f32_e32 v3, v3, v24
	s_wait_alu 0xfffe
	s_and_not1_b32 exec_lo, exec_lo, s1
	s_cbranch_execnz .LBB6_33
; %bb.34:
	s_or_b32 exec_lo, exec_lo, s1
	v_mov_b32_e32 v18, 0
	ds_load_b64 v[18:19], v18 offset:40
	s_wait_dscnt 0x0
	v_mul_f32_e32 v23, v3, v19
	v_mul_f32_e32 v20, v21, v19
	s_delay_alu instid0(VALU_DEP_2) | instskip(NEXT) | instid1(VALU_DEP_2)
	v_fma_f32 v19, v21, v18, -v23
	v_fmac_f32_e32 v20, v3, v18
	scratch_store_b64 off, v[19:20], off offset:40
.LBB6_35:
	s_wait_alu 0xfffe
	s_or_b32 exec_lo, exec_lo, s0
	s_wait_loadcnt 0x0
	s_wait_storecnt 0x0
	s_barrier_signal -1
	s_barrier_wait -1
	global_inv scope:SCOPE_SE
	scratch_load_b64 v[18:19], off, off offset:48
	s_mov_b32 s0, exec_lo
	s_wait_loadcnt 0x0
	ds_store_b64 v1, v[18:19]
	s_wait_dscnt 0x0
	s_barrier_signal -1
	s_barrier_wait -1
	global_inv scope:SCOPE_SE
	v_cmpx_ne_u32_e32 6, v0
	s_cbranch_execz .LBB6_39
; %bb.36:
	v_dual_mov_b32 v3, 0 :: v_dual_mov_b32 v18, 0
	s_mov_b32 s1, 0
.LBB6_37:                               ; =>This Inner Loop Header: Depth=1
	scratch_load_b64 v[19:20], v22, off
	ds_load_b64 v[23:24], v1
	v_add_nc_u32_e32 v2, 1, v2
	v_add_nc_u32_e32 v1, 8, v1
	s_delay_alu instid0(VALU_DEP_2)
	v_cmp_lt_u32_e32 vcc_lo, 4, v2
	s_wait_alu 0xfffe
	s_or_b32 s1, vcc_lo, s1
	s_wait_loadcnt_dscnt 0x0
	v_mul_f32_e32 v21, v24, v20
	v_mul_f32_e32 v20, v23, v20
	s_delay_alu instid0(VALU_DEP_2) | instskip(NEXT) | instid1(VALU_DEP_2)
	v_fma_f32 v21, v23, v19, -v21
	v_fmac_f32_e32 v20, v24, v19
	v_add_nc_u32_e32 v22, 8, v22
	s_delay_alu instid0(VALU_DEP_2)
	v_dual_add_f32 v18, v18, v21 :: v_dual_add_f32 v3, v3, v20
	s_wait_alu 0xfffe
	s_and_not1_b32 exec_lo, exec_lo, s1
	s_cbranch_execnz .LBB6_37
; %bb.38:
	s_or_b32 exec_lo, exec_lo, s1
	v_mov_b32_e32 v1, 0
	ds_load_b64 v[1:2], v1 offset:48
	s_wait_dscnt 0x0
	v_mul_f32_e32 v20, v3, v2
	v_mul_f32_e32 v19, v18, v2
	s_delay_alu instid0(VALU_DEP_2) | instskip(NEXT) | instid1(VALU_DEP_2)
	v_fma_f32 v18, v18, v1, -v20
	v_fmac_f32_e32 v19, v3, v1
	scratch_store_b64 off, v[18:19], off offset:48
.LBB6_39:
	s_wait_alu 0xfffe
	s_or_b32 exec_lo, exec_lo, s0
	s_mov_b32 s1, -1
	s_wait_loadcnt 0x0
	s_wait_storecnt 0x0
	s_barrier_signal -1
	s_barrier_wait -1
	global_inv scope:SCOPE_SE
.LBB6_40:
	s_wait_alu 0xfffe
	s_and_b32 vcc_lo, exec_lo, s1
	s_wait_alu 0xfffe
	s_cbranch_vccz .LBB6_42
; %bb.41:
	v_mov_b32_e32 v1, 0
	s_lshl_b64 s[0:1], s[16:17], 2
	s_wait_alu 0xfffe
	s_add_nc_u64 s[0:1], s[6:7], s[0:1]
	global_load_b32 v1, v1, s[0:1]
	s_wait_loadcnt 0x0
	v_cmp_ne_u32_e32 vcc_lo, 0, v1
	s_cbranch_vccz .LBB6_43
.LBB6_42:
	s_endpgm
.LBB6_43:
	v_lshl_add_u32 v3, v0, 3, 64
	s_mov_b32 s0, exec_lo
	v_cmpx_eq_u32_e32 6, v0
	s_cbranch_execz .LBB6_45
; %bb.44:
	scratch_load_b64 v[1:2], off, off offset:40
	v_mov_b32_e32 v18, 0
	s_delay_alu instid0(VALU_DEP_1)
	v_mov_b32_e32 v19, v18
	scratch_store_b64 off, v[18:19], off offset:40
	s_wait_loadcnt 0x0
	ds_store_b64 v3, v[1:2]
.LBB6_45:
	s_wait_alu 0xfffe
	s_or_b32 exec_lo, exec_lo, s0
	s_wait_storecnt_dscnt 0x0
	s_barrier_signal -1
	s_barrier_wait -1
	global_inv scope:SCOPE_SE
	s_clause 0x1
	scratch_load_b64 v[18:19], off, off offset:48
	scratch_load_b64 v[20:21], off, off offset:40
	v_mov_b32_e32 v1, 0
	s_mov_b32 s0, exec_lo
	ds_load_b64 v[22:23], v1 offset:112
	s_wait_loadcnt_dscnt 0x100
	v_mul_f32_e32 v2, v23, v19
	s_delay_alu instid0(VALU_DEP_1) | instskip(NEXT) | instid1(VALU_DEP_1)
	v_fma_f32 v2, v22, v18, -v2
	v_dual_mul_f32 v19, v22, v19 :: v_dual_add_f32 v2, 0, v2
	s_delay_alu instid0(VALU_DEP_1) | instskip(SKIP_1) | instid1(VALU_DEP_1)
	v_fmac_f32_e32 v19, v23, v18
	s_wait_loadcnt 0x0
	v_dual_sub_f32 v18, v20, v2 :: v_dual_add_f32 v19, 0, v19
	s_delay_alu instid0(VALU_DEP_1)
	v_sub_f32_e32 v19, v21, v19
	scratch_store_b64 off, v[18:19], off offset:40
	v_cmpx_lt_u32_e32 4, v0
	s_cbranch_execz .LBB6_47
; %bb.46:
	scratch_load_b64 v[18:19], off, off offset:32
	v_mov_b32_e32 v2, v1
	scratch_store_b64 off, v[1:2], off offset:32
	s_wait_loadcnt 0x0
	ds_store_b64 v3, v[18:19]
.LBB6_47:
	s_wait_alu 0xfffe
	s_or_b32 exec_lo, exec_lo, s0
	s_wait_storecnt_dscnt 0x0
	s_barrier_signal -1
	s_barrier_wait -1
	global_inv scope:SCOPE_SE
	s_clause 0x1
	scratch_load_b128 v[18:21], off, off offset:40
	scratch_load_b64 v[26:27], off, off offset:32
	ds_load_2addr_b64 v[22:25], v1 offset0:13 offset1:14
	s_mov_b32 s0, exec_lo
	s_wait_loadcnt_dscnt 0x100
	v_mul_f32_e32 v2, v22, v19
	s_delay_alu instid0(VALU_DEP_1) | instskip(SKIP_2) | instid1(VALU_DEP_1)
	v_fmac_f32_e32 v2, v23, v18
	v_mul_f32_e32 v1, v23, v19
	v_mul_f32_e32 v19, v24, v21
	v_dual_fmac_f32 v19, v25, v20 :: v_dual_add_f32 v2, 0, v2
	v_mul_f32_e32 v21, v25, v21
	s_delay_alu instid0(VALU_DEP_4) | instskip(NEXT) | instid1(VALU_DEP_3)
	v_fma_f32 v1, v22, v18, -v1
	v_add_f32_e32 v2, v2, v19
	s_delay_alu instid0(VALU_DEP_3) | instskip(SKIP_1) | instid1(VALU_DEP_2)
	v_fma_f32 v18, v24, v20, -v21
	s_wait_loadcnt 0x0
	v_dual_add_f32 v1, 0, v1 :: v_dual_sub_f32 v2, v27, v2
	s_delay_alu instid0(VALU_DEP_1) | instskip(NEXT) | instid1(VALU_DEP_1)
	v_add_f32_e32 v1, v1, v18
	v_sub_f32_e32 v1, v26, v1
	scratch_store_b64 off, v[1:2], off offset:32
	v_cmpx_lt_u32_e32 3, v0
	s_cbranch_execz .LBB6_49
; %bb.48:
	scratch_load_b64 v[1:2], off, off offset:24
	v_mov_b32_e32 v18, 0
	s_delay_alu instid0(VALU_DEP_1)
	v_mov_b32_e32 v19, v18
	scratch_store_b64 off, v[18:19], off offset:24
	s_wait_loadcnt 0x0
	ds_store_b64 v3, v[1:2]
.LBB6_49:
	s_wait_alu 0xfffe
	s_or_b32 exec_lo, exec_lo, s0
	s_wait_storecnt_dscnt 0x0
	s_barrier_signal -1
	s_barrier_wait -1
	global_inv scope:SCOPE_SE
	s_clause 0x2
	scratch_load_b128 v[18:21], off, off offset:32
	scratch_load_b64 v[26:27], off, off offset:48
	scratch_load_b64 v[28:29], off, off offset:24
	v_mov_b32_e32 v1, 0
	ds_load_b128 v[22:25], v1 offset:96
	ds_load_b64 v[30:31], v1 offset:112
	s_mov_b32 s0, exec_lo
	s_wait_loadcnt_dscnt 0x201
	v_mul_f32_e32 v2, v23, v19
	v_dual_mul_f32 v19, v22, v19 :: v_dual_mul_f32 v32, v24, v21
	v_mul_f32_e32 v21, v25, v21
	s_wait_loadcnt_dscnt 0x100
	v_mul_f32_e32 v33, v30, v27
	v_fma_f32 v2, v22, v18, -v2
	s_delay_alu instid0(VALU_DEP_2) | instskip(NEXT) | instid1(VALU_DEP_2)
	v_dual_fmac_f32 v32, v25, v20 :: v_dual_fmac_f32 v33, v31, v26
	v_add_f32_e32 v2, 0, v2
	v_fmac_f32_e32 v19, v23, v18
	v_mul_f32_e32 v18, v31, v27
	v_fma_f32 v20, v24, v20, -v21
	s_delay_alu instid0(VALU_DEP_2) | instskip(NEXT) | instid1(VALU_DEP_2)
	v_fma_f32 v18, v30, v26, -v18
	v_dual_add_f32 v2, v2, v20 :: v_dual_add_f32 v19, 0, v19
	s_delay_alu instid0(VALU_DEP_1) | instskip(SKIP_1) | instid1(VALU_DEP_1)
	v_dual_add_f32 v2, v2, v18 :: v_dual_add_f32 v19, v19, v32
	s_wait_loadcnt 0x0
	v_dual_sub_f32 v18, v28, v2 :: v_dual_add_f32 v19, v19, v33
	s_delay_alu instid0(VALU_DEP_1)
	v_sub_f32_e32 v19, v29, v19
	scratch_store_b64 off, v[18:19], off offset:24
	v_cmpx_lt_u32_e32 2, v0
	s_cbranch_execz .LBB6_51
; %bb.50:
	scratch_load_b64 v[18:19], off, off offset:16
	v_mov_b32_e32 v2, v1
	scratch_store_b64 off, v[1:2], off offset:16
	s_wait_loadcnt 0x0
	ds_store_b64 v3, v[18:19]
.LBB6_51:
	s_wait_alu 0xfffe
	s_or_b32 exec_lo, exec_lo, s0
	s_wait_storecnt_dscnt 0x0
	s_barrier_signal -1
	s_barrier_wait -1
	global_inv scope:SCOPE_SE
	s_clause 0x2
	scratch_load_b128 v[18:21], off, off offset:24
	scratch_load_b128 v[22:25], off, off offset:40
	scratch_load_b64 v[34:35], off, off offset:16
	ds_load_2addr_b64 v[26:29], v1 offset0:11 offset1:12
	ds_load_2addr_b64 v[30:33], v1 offset0:13 offset1:14
	s_mov_b32 s0, exec_lo
	s_wait_loadcnt_dscnt 0x201
	v_mul_f32_e32 v2, v27, v19
	s_wait_loadcnt_dscnt 0x100
	v_dual_mul_f32 v36, v30, v23 :: v_dual_mul_f32 v37, v32, v25
	s_delay_alu instid0(VALU_DEP_2) | instskip(SKIP_2) | instid1(VALU_DEP_4)
	v_fma_f32 v2, v26, v18, -v2
	v_mul_f32_e32 v1, v26, v19
	v_mul_f32_e32 v19, v28, v21
	v_dual_mul_f32 v21, v29, v21 :: v_dual_fmac_f32 v36, v31, v22
	s_delay_alu instid0(VALU_DEP_4) | instskip(NEXT) | instid1(VALU_DEP_4)
	v_add_f32_e32 v2, 0, v2
	v_fmac_f32_e32 v1, v27, v18
	s_delay_alu instid0(VALU_DEP_4) | instskip(NEXT) | instid1(VALU_DEP_4)
	v_dual_mul_f32 v18, v31, v23 :: v_dual_fmac_f32 v19, v29, v20
	v_fma_f32 v20, v28, v20, -v21
	v_fmac_f32_e32 v37, v33, v24
	s_delay_alu instid0(VALU_DEP_3) | instskip(NEXT) | instid1(VALU_DEP_3)
	v_fma_f32 v18, v30, v22, -v18
	v_dual_add_f32 v2, v2, v20 :: v_dual_add_f32 v1, 0, v1
	s_delay_alu instid0(VALU_DEP_1) | instskip(NEXT) | instid1(VALU_DEP_2)
	v_dual_add_f32 v2, v2, v18 :: v_dual_mul_f32 v21, v33, v25
	v_add_f32_e32 v1, v1, v19
	s_delay_alu instid0(VALU_DEP_2) | instskip(NEXT) | instid1(VALU_DEP_1)
	v_fma_f32 v19, v32, v24, -v21
	v_dual_add_f32 v1, v1, v36 :: v_dual_add_f32 v2, v2, v19
	s_wait_loadcnt 0x0
	s_delay_alu instid0(VALU_DEP_1) | instskip(NEXT) | instid1(VALU_DEP_1)
	v_dual_add_f32 v18, v1, v37 :: v_dual_sub_f32 v1, v34, v2
	v_sub_f32_e32 v2, v35, v18
	scratch_store_b64 off, v[1:2], off offset:16
	v_cmpx_lt_u32_e32 1, v0
	s_cbranch_execz .LBB6_53
; %bb.52:
	scratch_load_b64 v[1:2], off, off offset:8
	v_mov_b32_e32 v18, 0
	s_delay_alu instid0(VALU_DEP_1)
	v_mov_b32_e32 v19, v18
	scratch_store_b64 off, v[18:19], off offset:8
	s_wait_loadcnt 0x0
	ds_store_b64 v3, v[1:2]
.LBB6_53:
	s_wait_alu 0xfffe
	s_or_b32 exec_lo, exec_lo, s0
	s_wait_storecnt_dscnt 0x0
	s_barrier_signal -1
	s_barrier_wait -1
	global_inv scope:SCOPE_SE
	s_clause 0x3
	scratch_load_b128 v[19:22], off, off offset:16
	scratch_load_b128 v[23:26], off, off offset:32
	scratch_load_b64 v[1:2], off, off offset:48
	scratch_load_b64 v[35:36], off, off offset:8
	v_mov_b32_e32 v18, 0
	ds_load_b128 v[27:30], v18 offset:80
	ds_load_b128 v[31:34], v18 offset:96
	ds_load_b64 v[37:38], v18 offset:112
	s_mov_b32 s0, exec_lo
	s_wait_loadcnt_dscnt 0x302
	v_mul_f32_e32 v39, v27, v20
	s_wait_loadcnt_dscnt 0x100
	v_dual_mul_f32 v20, v28, v20 :: v_dual_mul_f32 v43, v37, v2
	v_dual_mul_f32 v40, v29, v22 :: v_dual_mul_f32 v41, v31, v24
	s_delay_alu instid0(VALU_DEP_3) | instskip(SKIP_1) | instid1(VALU_DEP_4)
	v_dual_mul_f32 v42, v33, v26 :: v_dual_fmac_f32 v39, v28, v19
	v_mul_f32_e32 v22, v30, v22
	v_fma_f32 v20, v27, v19, -v20
	s_delay_alu instid0(VALU_DEP_4) | instskip(SKIP_1) | instid1(VALU_DEP_4)
	v_dual_mul_f32 v19, v32, v24 :: v_dual_fmac_f32 v40, v30, v21
	v_fmac_f32_e32 v41, v32, v23
	v_fma_f32 v21, v29, v21, -v22
	s_delay_alu instid0(VALU_DEP_4) | instskip(SKIP_3) | instid1(VALU_DEP_4)
	v_dual_add_f32 v20, 0, v20 :: v_dual_fmac_f32 v43, v38, v1
	v_fmac_f32_e32 v42, v34, v25
	v_add_f32_e32 v22, 0, v39
	v_fma_f32 v19, v31, v23, -v19
	v_add_f32_e32 v20, v20, v21
	v_mul_f32_e32 v2, v38, v2
	s_delay_alu instid0(VALU_DEP_4) | instskip(NEXT) | instid1(VALU_DEP_3)
	v_add_f32_e32 v21, v22, v40
	v_dual_mul_f32 v24, v34, v26 :: v_dual_add_f32 v19, v20, v19
	s_delay_alu instid0(VALU_DEP_3) | instskip(NEXT) | instid1(VALU_DEP_3)
	v_fma_f32 v1, v37, v1, -v2
	v_add_f32_e32 v20, v21, v41
	s_delay_alu instid0(VALU_DEP_3) | instskip(NEXT) | instid1(VALU_DEP_1)
	v_fma_f32 v22, v33, v25, -v24
	v_add_f32_e32 v2, v19, v22
	s_delay_alu instid0(VALU_DEP_3) | instskip(NEXT) | instid1(VALU_DEP_1)
	v_add_f32_e32 v19, v20, v42
	v_dual_add_f32 v1, v2, v1 :: v_dual_add_f32 v2, v19, v43
	s_wait_loadcnt 0x0
	s_delay_alu instid0(VALU_DEP_1)
	v_dual_sub_f32 v1, v35, v1 :: v_dual_sub_f32 v2, v36, v2
	scratch_store_b64 off, v[1:2], off offset:8
	v_cmpx_ne_u32_e32 0, v0
	s_cbranch_execz .LBB6_55
; %bb.54:
	scratch_load_b64 v[0:1], off, off
	v_mov_b32_e32 v19, v18
	scratch_store_b64 off, v[18:19], off
	s_wait_loadcnt 0x0
	ds_store_b64 v3, v[0:1]
.LBB6_55:
	s_wait_alu 0xfffe
	s_or_b32 exec_lo, exec_lo, s0
	s_wait_storecnt_dscnt 0x0
	s_barrier_signal -1
	s_barrier_wait -1
	global_inv scope:SCOPE_SE
	s_clause 0x3
	scratch_load_b128 v[19:22], off, off offset:8
	scratch_load_b128 v[23:26], off, off offset:24
	scratch_load_b128 v[0:3], off, off offset:40
	scratch_load_b64 v[39:40], off, off
	ds_load_2addr_b64 v[27:30], v18 offset0:9 offset1:10
	ds_load_2addr_b64 v[31:34], v18 offset0:11 offset1:12
	;; [unrolled: 1-line block ×3, first 2 shown]
	s_and_b32 vcc_lo, exec_lo, s18
	s_wait_loadcnt_dscnt 0x302
	v_dual_mul_f32 v18, v27, v20 :: v_dual_mul_f32 v41, v29, v22
	s_wait_loadcnt_dscnt 0x100
	v_dual_mul_f32 v20, v28, v20 :: v_dual_mul_f32 v45, v37, v3
	v_mul_f32_e32 v22, v30, v22
	v_dual_mul_f32 v42, v31, v24 :: v_dual_mul_f32 v43, v33, v26
	s_delay_alu instid0(VALU_DEP_3)
	v_fma_f32 v20, v27, v19, -v20
	v_mul_f32_e32 v44, v35, v1
	v_dual_fmac_f32 v18, v28, v19 :: v_dual_fmac_f32 v41, v30, v21
	v_mul_f32_e32 v19, v32, v24
	v_fma_f32 v21, v29, v21, -v22
	v_dual_add_f32 v20, 0, v20 :: v_dual_fmac_f32 v43, v34, v25
	v_mul_f32_e32 v3, v38, v3
	s_delay_alu instid0(VALU_DEP_4) | instskip(SKIP_1) | instid1(VALU_DEP_4)
	v_fma_f32 v19, v31, v23, -v19
	v_dual_fmac_f32 v44, v36, v0 :: v_dual_fmac_f32 v45, v38, v2
	v_add_f32_e32 v20, v20, v21
	v_dual_mul_f32 v21, v36, v1 :: v_dual_add_f32 v18, 0, v18
	v_fma_f32 v2, v37, v2, -v3
	s_delay_alu instid0(VALU_DEP_3) | instskip(NEXT) | instid1(VALU_DEP_3)
	v_add_f32_e32 v19, v20, v19
	v_fma_f32 v20, v35, v0, -v21
	v_mul_f32_e32 v22, v34, v26
	v_add_f32_e32 v18, v18, v41
	s_delay_alu instid0(VALU_DEP_2) | instskip(NEXT) | instid1(VALU_DEP_1)
	v_fma_f32 v22, v33, v25, -v22
	v_dual_fmac_f32 v42, v32, v23 :: v_dual_add_f32 v19, v19, v22
	s_delay_alu instid0(VALU_DEP_1) | instskip(NEXT) | instid1(VALU_DEP_1)
	v_dual_add_f32 v18, v18, v42 :: v_dual_add_f32 v3, v19, v20
	v_add_f32_e32 v18, v18, v43
	s_delay_alu instid0(VALU_DEP_1) | instskip(NEXT) | instid1(VALU_DEP_1)
	v_add_f32_e32 v18, v18, v44
	v_dual_add_f32 v2, v3, v2 :: v_dual_add_f32 v3, v18, v45
	s_wait_loadcnt 0x0
	s_delay_alu instid0(VALU_DEP_1)
	v_dual_sub_f32 v2, v39, v2 :: v_dual_sub_f32 v3, v40, v3
	scratch_store_b64 off, v[2:3], off
	s_wait_alu 0xfffe
	s_cbranch_vccz .LBB6_68
; %bb.56:
	v_mov_b32_e32 v2, 0
	global_load_b32 v3, v2, s[2:3] offset:20
	s_wait_loadcnt 0x0
	v_cmp_ne_u32_e32 vcc_lo, 6, v3
	s_cbranch_vccz .LBB6_58
; %bb.57:
	v_lshlrev_b32_e32 v3, 3, v3
	scratch_load_b64 v[18:19], v3, off offset:-8
	s_wait_loadcnt 0x0
	scratch_store_b64 off, v[18:19], off offset:40
	scratch_store_b64 v3, v[0:1], off offset:-8
.LBB6_58:
	global_load_b32 v0, v2, s[2:3] offset:16
	s_wait_loadcnt 0x0
	v_cmp_eq_u32_e32 vcc_lo, 5, v0
	s_cbranch_vccnz .LBB6_60
; %bb.59:
	v_lshlrev_b32_e32 v0, 3, v0
	s_delay_alu instid0(VALU_DEP_1)
	v_mov_b32_e32 v18, v0
	scratch_load_b64 v[0:1], v18, off offset:-8
	scratch_load_b64 v[2:3], off, off offset:32
	s_wait_loadcnt 0x1
	scratch_store_b64 off, v[0:1], off offset:32
	s_wait_loadcnt 0x0
	scratch_store_b64 v18, v[2:3], off offset:-8
.LBB6_60:
	v_mov_b32_e32 v0, 0
	global_load_b32 v1, v0, s[2:3] offset:12
	s_wait_loadcnt 0x0
	v_cmp_eq_u32_e32 vcc_lo, 4, v1
	s_cbranch_vccnz .LBB6_62
; %bb.61:
	v_lshlrev_b32_e32 v1, 3, v1
	s_delay_alu instid0(VALU_DEP_1)
	v_mov_b32_e32 v3, v1
	scratch_load_b64 v[1:2], v3, off offset:-8
	scratch_load_b64 v[18:19], off, off offset:24
	s_wait_loadcnt 0x1
	scratch_store_b64 off, v[1:2], off offset:24
	s_wait_loadcnt 0x0
	scratch_store_b64 v3, v[18:19], off offset:-8
.LBB6_62:
	global_load_b32 v0, v0, s[2:3] offset:8
	s_wait_loadcnt 0x0
	v_cmp_eq_u32_e32 vcc_lo, 3, v0
	s_cbranch_vccnz .LBB6_64
; %bb.63:
	v_lshlrev_b32_e32 v0, 3, v0
	s_delay_alu instid0(VALU_DEP_1)
	v_mov_b32_e32 v18, v0
	scratch_load_b64 v[0:1], v18, off offset:-8
	scratch_load_b64 v[2:3], off, off offset:16
	s_wait_loadcnt 0x1
	scratch_store_b64 off, v[0:1], off offset:16
	s_wait_loadcnt 0x0
	scratch_store_b64 v18, v[2:3], off offset:-8
.LBB6_64:
	v_mov_b32_e32 v0, 0
	global_load_b32 v1, v0, s[2:3] offset:4
	s_wait_loadcnt 0x0
	v_cmp_eq_u32_e32 vcc_lo, 2, v1
	s_cbranch_vccnz .LBB6_66
; %bb.65:
	v_lshlrev_b32_e32 v1, 3, v1
	s_delay_alu instid0(VALU_DEP_1)
	v_mov_b32_e32 v3, v1
	scratch_load_b64 v[1:2], v3, off offset:-8
	scratch_load_b64 v[18:19], off, off offset:8
	s_wait_loadcnt 0x1
	scratch_store_b64 off, v[1:2], off offset:8
	s_wait_loadcnt 0x0
	scratch_store_b64 v3, v[18:19], off offset:-8
.LBB6_66:
	global_load_b32 v0, v0, s[2:3]
	s_wait_loadcnt 0x0
	v_cmp_eq_u32_e32 vcc_lo, 1, v0
	s_cbranch_vccnz .LBB6_68
; %bb.67:
	v_lshlrev_b32_e32 v0, 3, v0
	s_delay_alu instid0(VALU_DEP_1)
	v_mov_b32_e32 v18, v0
	scratch_load_b64 v[0:1], v18, off offset:-8
	scratch_load_b64 v[2:3], off, off
	s_wait_loadcnt 0x1
	scratch_store_b64 off, v[0:1], off
	s_wait_loadcnt 0x0
	scratch_store_b64 v18, v[2:3], off offset:-8
.LBB6_68:
	s_clause 0x3
	scratch_load_b128 v[0:3], off, off
	scratch_load_b128 v[18:21], off, off offset:16
	scratch_load_b128 v[22:25], off, off offset:32
	scratch_load_b64 v[26:27], off, off offset:48
	s_wait_loadcnt 0x3
	s_clause 0x1
	global_store_b64 v[4:5], v[0:1], off
	global_store_b64 v[6:7], v[2:3], off
	s_wait_loadcnt 0x2
	s_clause 0x1
	global_store_b64 v[8:9], v[18:19], off
	global_store_b64 v[10:11], v[20:21], off
	;; [unrolled: 4-line block ×3, first 2 shown]
	s_wait_loadcnt 0x0
	global_store_b64 v[16:17], v[26:27], off
	s_endpgm
	.section	.rodata,"a",@progbits
	.p2align	6, 0x0
	.amdhsa_kernel _ZN9rocsolver6v33100L18getri_kernel_smallILi7E19rocblas_complex_numIfEPS3_EEvT1_iilPiilS6_bb
		.amdhsa_group_segment_fixed_size 120
		.amdhsa_private_segment_fixed_size 64
		.amdhsa_kernarg_size 60
		.amdhsa_user_sgpr_count 2
		.amdhsa_user_sgpr_dispatch_ptr 0
		.amdhsa_user_sgpr_queue_ptr 0
		.amdhsa_user_sgpr_kernarg_segment_ptr 1
		.amdhsa_user_sgpr_dispatch_id 0
		.amdhsa_user_sgpr_private_segment_size 0
		.amdhsa_wavefront_size32 1
		.amdhsa_uses_dynamic_stack 0
		.amdhsa_enable_private_segment 1
		.amdhsa_system_sgpr_workgroup_id_x 1
		.amdhsa_system_sgpr_workgroup_id_y 0
		.amdhsa_system_sgpr_workgroup_id_z 0
		.amdhsa_system_sgpr_workgroup_info 0
		.amdhsa_system_vgpr_workitem_id 0
		.amdhsa_next_free_vgpr 46
		.amdhsa_next_free_sgpr 19
		.amdhsa_reserve_vcc 1
		.amdhsa_float_round_mode_32 0
		.amdhsa_float_round_mode_16_64 0
		.amdhsa_float_denorm_mode_32 3
		.amdhsa_float_denorm_mode_16_64 3
		.amdhsa_fp16_overflow 0
		.amdhsa_workgroup_processor_mode 1
		.amdhsa_memory_ordered 1
		.amdhsa_forward_progress 1
		.amdhsa_inst_pref_size 44
		.amdhsa_round_robin_scheduling 0
		.amdhsa_exception_fp_ieee_invalid_op 0
		.amdhsa_exception_fp_denorm_src 0
		.amdhsa_exception_fp_ieee_div_zero 0
		.amdhsa_exception_fp_ieee_overflow 0
		.amdhsa_exception_fp_ieee_underflow 0
		.amdhsa_exception_fp_ieee_inexact 0
		.amdhsa_exception_int_div_zero 0
	.end_amdhsa_kernel
	.section	.text._ZN9rocsolver6v33100L18getri_kernel_smallILi7E19rocblas_complex_numIfEPS3_EEvT1_iilPiilS6_bb,"axG",@progbits,_ZN9rocsolver6v33100L18getri_kernel_smallILi7E19rocblas_complex_numIfEPS3_EEvT1_iilPiilS6_bb,comdat
.Lfunc_end6:
	.size	_ZN9rocsolver6v33100L18getri_kernel_smallILi7E19rocblas_complex_numIfEPS3_EEvT1_iilPiilS6_bb, .Lfunc_end6-_ZN9rocsolver6v33100L18getri_kernel_smallILi7E19rocblas_complex_numIfEPS3_EEvT1_iilPiilS6_bb
                                        ; -- End function
	.set _ZN9rocsolver6v33100L18getri_kernel_smallILi7E19rocblas_complex_numIfEPS3_EEvT1_iilPiilS6_bb.num_vgpr, 46
	.set _ZN9rocsolver6v33100L18getri_kernel_smallILi7E19rocblas_complex_numIfEPS3_EEvT1_iilPiilS6_bb.num_agpr, 0
	.set _ZN9rocsolver6v33100L18getri_kernel_smallILi7E19rocblas_complex_numIfEPS3_EEvT1_iilPiilS6_bb.numbered_sgpr, 19
	.set _ZN9rocsolver6v33100L18getri_kernel_smallILi7E19rocblas_complex_numIfEPS3_EEvT1_iilPiilS6_bb.num_named_barrier, 0
	.set _ZN9rocsolver6v33100L18getri_kernel_smallILi7E19rocblas_complex_numIfEPS3_EEvT1_iilPiilS6_bb.private_seg_size, 64
	.set _ZN9rocsolver6v33100L18getri_kernel_smallILi7E19rocblas_complex_numIfEPS3_EEvT1_iilPiilS6_bb.uses_vcc, 1
	.set _ZN9rocsolver6v33100L18getri_kernel_smallILi7E19rocblas_complex_numIfEPS3_EEvT1_iilPiilS6_bb.uses_flat_scratch, 1
	.set _ZN9rocsolver6v33100L18getri_kernel_smallILi7E19rocblas_complex_numIfEPS3_EEvT1_iilPiilS6_bb.has_dyn_sized_stack, 0
	.set _ZN9rocsolver6v33100L18getri_kernel_smallILi7E19rocblas_complex_numIfEPS3_EEvT1_iilPiilS6_bb.has_recursion, 0
	.set _ZN9rocsolver6v33100L18getri_kernel_smallILi7E19rocblas_complex_numIfEPS3_EEvT1_iilPiilS6_bb.has_indirect_call, 0
	.section	.AMDGPU.csdata,"",@progbits
; Kernel info:
; codeLenInByte = 5572
; TotalNumSgprs: 21
; NumVgprs: 46
; ScratchSize: 64
; MemoryBound: 0
; FloatMode: 240
; IeeeMode: 1
; LDSByteSize: 120 bytes/workgroup (compile time only)
; SGPRBlocks: 0
; VGPRBlocks: 5
; NumSGPRsForWavesPerEU: 21
; NumVGPRsForWavesPerEU: 46
; Occupancy: 16
; WaveLimiterHint : 0
; COMPUTE_PGM_RSRC2:SCRATCH_EN: 1
; COMPUTE_PGM_RSRC2:USER_SGPR: 2
; COMPUTE_PGM_RSRC2:TRAP_HANDLER: 0
; COMPUTE_PGM_RSRC2:TGID_X_EN: 1
; COMPUTE_PGM_RSRC2:TGID_Y_EN: 0
; COMPUTE_PGM_RSRC2:TGID_Z_EN: 0
; COMPUTE_PGM_RSRC2:TIDIG_COMP_CNT: 0
	.section	.text._ZN9rocsolver6v33100L18getri_kernel_smallILi8E19rocblas_complex_numIfEPS3_EEvT1_iilPiilS6_bb,"axG",@progbits,_ZN9rocsolver6v33100L18getri_kernel_smallILi8E19rocblas_complex_numIfEPS3_EEvT1_iilPiilS6_bb,comdat
	.globl	_ZN9rocsolver6v33100L18getri_kernel_smallILi8E19rocblas_complex_numIfEPS3_EEvT1_iilPiilS6_bb ; -- Begin function _ZN9rocsolver6v33100L18getri_kernel_smallILi8E19rocblas_complex_numIfEPS3_EEvT1_iilPiilS6_bb
	.p2align	8
	.type	_ZN9rocsolver6v33100L18getri_kernel_smallILi8E19rocblas_complex_numIfEPS3_EEvT1_iilPiilS6_bb,@function
_ZN9rocsolver6v33100L18getri_kernel_smallILi8E19rocblas_complex_numIfEPS3_EEvT1_iilPiilS6_bb: ; @_ZN9rocsolver6v33100L18getri_kernel_smallILi8E19rocblas_complex_numIfEPS3_EEvT1_iilPiilS6_bb
; %bb.0:
	s_mov_b32 s2, exec_lo
	v_cmpx_gt_u32_e32 8, v0
	s_cbranch_execz .LBB7_46
; %bb.1:
	s_clause 0x2
	s_load_b32 s2, s[0:1], 0x38
	s_load_b128 s[12:15], s[0:1], 0x10
	s_load_b128 s[4:7], s[0:1], 0x28
	s_mov_b32 s16, ttmp9
	s_wait_kmcnt 0x0
	s_bitcmp1_b32 s2, 8
	s_cselect_b32 s18, -1, 0
	s_bfe_u32 s2, s2, 0x10008
	s_ashr_i32 s17, ttmp9, 31
	s_cmp_eq_u32 s2, 0
                                        ; implicit-def: $sgpr2_sgpr3
	s_cbranch_scc1 .LBB7_3
; %bb.2:
	s_load_b32 s2, s[0:1], 0x20
	s_mul_u64 s[4:5], s[4:5], s[16:17]
	s_delay_alu instid0(SALU_CYCLE_1) | instskip(NEXT) | instid1(SALU_CYCLE_1)
	s_lshl_b64 s[4:5], s[4:5], 2
	s_add_nc_u64 s[4:5], s[14:15], s[4:5]
	s_wait_kmcnt 0x0
	s_ashr_i32 s3, s2, 31
	s_delay_alu instid0(SALU_CYCLE_1) | instskip(NEXT) | instid1(SALU_CYCLE_1)
	s_lshl_b64 s[2:3], s[2:3], 2
	s_add_nc_u64 s[2:3], s[4:5], s[2:3]
.LBB7_3:
	s_clause 0x1
	s_load_b128 s[8:11], s[0:1], 0x0
	s_load_b32 s14, s[0:1], 0x38
	s_mul_u64 s[0:1], s[12:13], s[16:17]
	v_lshlrev_b32_e32 v3, 3, v0
	s_lshl_b64 s[0:1], s[0:1], 3
	s_wait_kmcnt 0x0
	v_add3_u32 v1, s11, s11, v0
	s_ashr_i32 s5, s10, 31
	s_mov_b32 s4, s10
	s_add_nc_u64 s[0:1], s[8:9], s[0:1]
	s_lshl_b64 s[4:5], s[4:5], 3
	v_add_nc_u32_e32 v8, s11, v1
	v_ashrrev_i32_e32 v2, 31, v1
	s_add_nc_u64 s[0:1], s[0:1], s[4:5]
	s_ashr_i32 s9, s11, 31
	v_add_co_u32 v4, s4, s0, v3
	v_add_nc_u32_e32 v10, s11, v8
	s_mov_b32 s8, s11
	v_lshlrev_b64_e32 v[1:2], 3, v[1:2]
	v_add_co_ci_u32_e64 v5, null, s1, 0, s4
	s_delay_alu instid0(VALU_DEP_3)
	v_add_nc_u32_e32 v14, s11, v10
	v_ashrrev_i32_e32 v9, 31, v8
	s_lshl_b64 s[8:9], s[8:9], 3
	v_ashrrev_i32_e32 v11, 31, v10
	v_add_co_u32 v6, vcc_lo, v4, s8
	v_add_nc_u32_e32 v16, s11, v14
	v_add_co_ci_u32_e64 v7, null, s9, v5, vcc_lo
	v_lshlrev_b64_e32 v[12:13], 3, v[8:9]
	v_add_co_u32 v8, vcc_lo, s0, v1
	s_wait_alu 0xfffd
	v_add_co_ci_u32_e64 v9, null, s1, v2, vcc_lo
	v_lshlrev_b64_e32 v[1:2], 3, v[10:11]
	v_add_nc_u32_e32 v18, s11, v16
	v_ashrrev_i32_e32 v15, 31, v14
	v_ashrrev_i32_e32 v17, 31, v16
	v_add_co_u32 v10, vcc_lo, s0, v12
	s_delay_alu instid0(VALU_DEP_4)
	v_ashrrev_i32_e32 v19, 31, v18
	s_wait_alu 0xfffd
	v_add_co_ci_u32_e64 v11, null, s1, v13, vcc_lo
	v_lshlrev_b64_e32 v[14:15], 3, v[14:15]
	v_add_co_u32 v12, vcc_lo, s0, v1
	s_wait_alu 0xfffd
	v_add_co_ci_u32_e64 v13, null, s1, v2, vcc_lo
	v_lshlrev_b64_e32 v[1:2], 3, v[16:17]
	v_lshlrev_b64_e32 v[18:19], 3, v[18:19]
	v_add_co_u32 v14, vcc_lo, s0, v14
	s_wait_alu 0xfffd
	v_add_co_ci_u32_e64 v15, null, s1, v15, vcc_lo
	s_delay_alu instid0(VALU_DEP_4)
	v_add_co_u32 v16, vcc_lo, s0, v1
	s_wait_alu 0xfffd
	v_add_co_ci_u32_e64 v17, null, s1, v2, vcc_lo
	v_add_co_u32 v18, vcc_lo, s0, v18
	global_load_b64 v[20:21], v3, s[0:1]
	s_wait_alu 0xfffd
	v_add_co_ci_u32_e64 v19, null, s1, v19, vcc_lo
	s_clause 0x6
	global_load_b64 v[22:23], v[6:7], off
	global_load_b64 v[24:25], v[8:9], off
	;; [unrolled: 1-line block ×7, first 2 shown]
	s_mov_b32 s1, -1
	s_bitcmp0_b32 s14, 0
	s_wait_loadcnt 0x6
	scratch_store_b128 off, v[20:23], off
	s_wait_loadcnt 0x4
	scratch_store_b128 off, v[24:27], off offset:16
	s_wait_loadcnt 0x2
	scratch_store_b128 off, v[28:31], off offset:32
	;; [unrolled: 2-line block ×3, first 2 shown]
	s_cbranch_scc1 .LBB7_44
; %bb.4:
	v_cmp_eq_u32_e64 s0, 0, v0
	s_and_saveexec_b32 s1, s0
; %bb.5:
	v_mov_b32_e32 v1, 0
	ds_store_b32 v1, v1 offset:128
; %bb.6:
	s_wait_alu 0xfffe
	s_or_b32 exec_lo, exec_lo, s1
	s_wait_storecnt_dscnt 0x0
	s_barrier_signal -1
	s_barrier_wait -1
	global_inv scope:SCOPE_SE
	scratch_load_b64 v[1:2], v3, off
	s_wait_loadcnt 0x0
	v_cmp_eq_f32_e32 vcc_lo, 0, v1
	v_cmp_eq_f32_e64 s1, 0, v2
	s_and_b32 s1, vcc_lo, s1
	s_wait_alu 0xfffe
	s_and_saveexec_b32 s4, s1
	s_cbranch_execz .LBB7_10
; %bb.7:
	v_mov_b32_e32 v1, 0
	s_mov_b32 s5, 0
	ds_load_b32 v2, v1 offset:128
	s_wait_dscnt 0x0
	v_readfirstlane_b32 s1, v2
	v_add_nc_u32_e32 v2, 1, v0
	s_cmp_eq_u32 s1, 0
	s_delay_alu instid0(VALU_DEP_1)
	v_cmp_gt_i32_e32 vcc_lo, s1, v2
	s_cselect_b32 s8, -1, 0
	s_wait_alu 0xfffe
	s_or_b32 s8, s8, vcc_lo
	s_wait_alu 0xfffe
	s_and_b32 exec_lo, exec_lo, s8
	s_cbranch_execz .LBB7_10
; %bb.8:
	v_mov_b32_e32 v20, s1
.LBB7_9:                                ; =>This Inner Loop Header: Depth=1
	ds_cmpstore_rtn_b32 v20, v1, v2, v20 offset:128
	s_wait_dscnt 0x0
	v_cmp_ne_u32_e32 vcc_lo, 0, v20
	v_cmp_le_i32_e64 s1, v20, v2
	s_and_b32 s1, vcc_lo, s1
	s_wait_alu 0xfffe
	s_and_b32 s1, exec_lo, s1
	s_wait_alu 0xfffe
	s_or_b32 s5, s1, s5
	s_wait_alu 0xfffe
	s_and_not1_b32 exec_lo, exec_lo, s5
	s_cbranch_execnz .LBB7_9
.LBB7_10:
	s_wait_alu 0xfffe
	s_or_b32 exec_lo, exec_lo, s4
	v_mov_b32_e32 v1, 0
	s_barrier_signal -1
	s_barrier_wait -1
	global_inv scope:SCOPE_SE
	ds_load_b32 v2, v1 offset:128
	s_and_saveexec_b32 s1, s0
	s_cbranch_execz .LBB7_12
; %bb.11:
	s_lshl_b64 s[4:5], s[16:17], 2
	s_wait_alu 0xfffe
	s_add_nc_u64 s[4:5], s[6:7], s[4:5]
	s_wait_dscnt 0x0
	global_store_b32 v1, v2, s[4:5]
.LBB7_12:
	s_wait_alu 0xfffe
	s_or_b32 exec_lo, exec_lo, s1
	s_wait_dscnt 0x0
	v_cmp_ne_u32_e32 vcc_lo, 0, v2
	s_mov_b32 s1, 0
	s_cbranch_vccnz .LBB7_44
; %bb.13:
	v_mov_b32_e32 v24, v3
                                        ; implicit-def: $vgpr20
                                        ; implicit-def: $vgpr22
	scratch_load_b64 v[1:2], v24, off
	s_wait_loadcnt 0x0
	v_cmp_ngt_f32_e64 s1, |v1|, |v2|
	s_wait_alu 0xfffe
	s_and_saveexec_b32 s4, s1
	s_wait_alu 0xfffe
	s_xor_b32 s1, exec_lo, s4
	s_cbranch_execz .LBB7_15
; %bb.14:
	v_div_scale_f32 v20, null, v2, v2, v1
	v_div_scale_f32 v23, vcc_lo, v1, v2, v1
	s_delay_alu instid0(VALU_DEP_2) | instskip(NEXT) | instid1(TRANS32_DEP_1)
	v_rcp_f32_e32 v21, v20
	v_fma_f32 v22, -v20, v21, 1.0
	s_delay_alu instid0(VALU_DEP_1) | instskip(NEXT) | instid1(VALU_DEP_1)
	v_fmac_f32_e32 v21, v22, v21
	v_mul_f32_e32 v22, v23, v21
	s_delay_alu instid0(VALU_DEP_1) | instskip(NEXT) | instid1(VALU_DEP_1)
	v_fma_f32 v25, -v20, v22, v23
	v_fmac_f32_e32 v22, v25, v21
	s_delay_alu instid0(VALU_DEP_1) | instskip(SKIP_1) | instid1(VALU_DEP_1)
	v_fma_f32 v20, -v20, v22, v23
	s_wait_alu 0xfffd
	v_div_fmas_f32 v20, v20, v21, v22
	s_delay_alu instid0(VALU_DEP_1) | instskip(NEXT) | instid1(VALU_DEP_1)
	v_div_fixup_f32 v20, v20, v2, v1
	v_fmac_f32_e32 v2, v1, v20
	s_delay_alu instid0(VALU_DEP_1) | instskip(NEXT) | instid1(VALU_DEP_1)
	v_div_scale_f32 v1, null, v2, v2, 1.0
	v_rcp_f32_e32 v21, v1
	s_delay_alu instid0(TRANS32_DEP_1) | instskip(NEXT) | instid1(VALU_DEP_1)
	v_fma_f32 v22, -v1, v21, 1.0
	v_fmac_f32_e32 v21, v22, v21
	v_div_scale_f32 v22, vcc_lo, 1.0, v2, 1.0
	s_delay_alu instid0(VALU_DEP_1) | instskip(NEXT) | instid1(VALU_DEP_1)
	v_mul_f32_e32 v23, v22, v21
	v_fma_f32 v25, -v1, v23, v22
	s_delay_alu instid0(VALU_DEP_1) | instskip(NEXT) | instid1(VALU_DEP_1)
	v_fmac_f32_e32 v23, v25, v21
	v_fma_f32 v1, -v1, v23, v22
	s_wait_alu 0xfffd
	s_delay_alu instid0(VALU_DEP_1) | instskip(NEXT) | instid1(VALU_DEP_1)
	v_div_fmas_f32 v1, v1, v21, v23
	v_div_fixup_f32 v1, v1, v2, 1.0
	s_delay_alu instid0(VALU_DEP_1) | instskip(SKIP_1) | instid1(VALU_DEP_2)
	v_mul_f32_e32 v20, v20, v1
	v_xor_b32_e32 v21, 0x80000000, v1
                                        ; implicit-def: $vgpr1_vgpr2
	v_xor_b32_e32 v22, 0x80000000, v20
.LBB7_15:
	s_wait_alu 0xfffe
	s_and_not1_saveexec_b32 s1, s1
	s_cbranch_execz .LBB7_17
; %bb.16:
	v_div_scale_f32 v20, null, v1, v1, v2
	v_div_scale_f32 v23, vcc_lo, v2, v1, v2
	s_delay_alu instid0(VALU_DEP_2) | instskip(NEXT) | instid1(TRANS32_DEP_1)
	v_rcp_f32_e32 v21, v20
	v_fma_f32 v22, -v20, v21, 1.0
	s_delay_alu instid0(VALU_DEP_1) | instskip(NEXT) | instid1(VALU_DEP_1)
	v_fmac_f32_e32 v21, v22, v21
	v_mul_f32_e32 v22, v23, v21
	s_delay_alu instid0(VALU_DEP_1) | instskip(NEXT) | instid1(VALU_DEP_1)
	v_fma_f32 v25, -v20, v22, v23
	v_fmac_f32_e32 v22, v25, v21
	s_delay_alu instid0(VALU_DEP_1) | instskip(SKIP_1) | instid1(VALU_DEP_1)
	v_fma_f32 v20, -v20, v22, v23
	s_wait_alu 0xfffd
	v_div_fmas_f32 v20, v20, v21, v22
	s_delay_alu instid0(VALU_DEP_1) | instskip(NEXT) | instid1(VALU_DEP_1)
	v_div_fixup_f32 v21, v20, v1, v2
	v_fmac_f32_e32 v1, v2, v21
	s_delay_alu instid0(VALU_DEP_1) | instskip(SKIP_1) | instid1(VALU_DEP_2)
	v_div_scale_f32 v2, null, v1, v1, 1.0
	v_div_scale_f32 v23, vcc_lo, 1.0, v1, 1.0
	v_rcp_f32_e32 v20, v2
	s_delay_alu instid0(TRANS32_DEP_1) | instskip(NEXT) | instid1(VALU_DEP_1)
	v_fma_f32 v22, -v2, v20, 1.0
	v_fmac_f32_e32 v20, v22, v20
	s_delay_alu instid0(VALU_DEP_1) | instskip(NEXT) | instid1(VALU_DEP_1)
	v_mul_f32_e32 v22, v23, v20
	v_fma_f32 v25, -v2, v22, v23
	s_delay_alu instid0(VALU_DEP_1) | instskip(NEXT) | instid1(VALU_DEP_1)
	v_fmac_f32_e32 v22, v25, v20
	v_fma_f32 v2, -v2, v22, v23
	s_wait_alu 0xfffd
	s_delay_alu instid0(VALU_DEP_1) | instskip(NEXT) | instid1(VALU_DEP_1)
	v_div_fmas_f32 v2, v2, v20, v22
	v_div_fixup_f32 v20, v2, v1, 1.0
	s_delay_alu instid0(VALU_DEP_1)
	v_xor_b32_e32 v22, 0x80000000, v20
	v_mul_f32_e64 v21, v21, -v20
.LBB7_17:
	s_wait_alu 0xfffe
	s_or_b32 exec_lo, exec_lo, s1
	scratch_store_b64 v24, v[20:21], off
	scratch_load_b64 v[25:26], off, off offset:8
	v_xor_b32_e32 v23, 0x80000000, v21
	v_add_nc_u32_e32 v1, 64, v3
	s_wait_loadcnt 0x0
	ds_store_2addr_b64 v3, v[22:23], v[25:26] offset1:8
	s_wait_storecnt_dscnt 0x0
	s_barrier_signal -1
	s_barrier_wait -1
	global_inv scope:SCOPE_SE
	s_and_saveexec_b32 s1, s0
	s_cbranch_execz .LBB7_19
; %bb.18:
	scratch_load_b64 v[20:21], v24, off
	ds_load_b64 v[22:23], v1
	v_mov_b32_e32 v2, 0
	ds_load_b64 v[25:26], v2 offset:8
	s_wait_loadcnt_dscnt 0x1
	v_mul_f32_e32 v2, v22, v21
	v_mul_f32_e32 v21, v23, v21
	s_delay_alu instid0(VALU_DEP_2) | instskip(NEXT) | instid1(VALU_DEP_2)
	v_fmac_f32_e32 v2, v23, v20
	v_fma_f32 v20, v22, v20, -v21
	s_delay_alu instid0(VALU_DEP_2) | instskip(NEXT) | instid1(VALU_DEP_2)
	v_add_f32_e32 v2, 0, v2
	v_add_f32_e32 v20, 0, v20
	s_wait_dscnt 0x0
	s_delay_alu instid0(VALU_DEP_2) | instskip(NEXT) | instid1(VALU_DEP_2)
	v_mul_f32_e32 v22, v2, v26
	v_mul_f32_e32 v21, v20, v26
	s_delay_alu instid0(VALU_DEP_1) | instskip(NEXT) | instid1(VALU_DEP_3)
	v_fmac_f32_e32 v21, v2, v25
	v_fma_f32 v20, v20, v25, -v22
	scratch_store_b64 off, v[20:21], off offset:8
.LBB7_19:
	s_wait_alu 0xfffe
	s_or_b32 exec_lo, exec_lo, s1
	s_wait_loadcnt 0x0
	s_wait_storecnt 0x0
	s_barrier_signal -1
	s_barrier_wait -1
	global_inv scope:SCOPE_SE
	scratch_load_b64 v[20:21], off, off offset:16
	s_mov_b32 s1, exec_lo
	s_wait_loadcnt 0x0
	ds_store_b64 v1, v[20:21]
	s_wait_dscnt 0x0
	s_barrier_signal -1
	s_barrier_wait -1
	global_inv scope:SCOPE_SE
	v_cmpx_gt_u32_e32 2, v0
	s_cbranch_execz .LBB7_23
; %bb.20:
	scratch_load_b64 v[20:21], v24, off
	ds_load_b64 v[22:23], v1
	s_wait_loadcnt_dscnt 0x0
	v_mul_f32_e32 v2, v23, v21
	s_delay_alu instid0(VALU_DEP_1) | instskip(SKIP_1) | instid1(VALU_DEP_1)
	v_fma_f32 v2, v22, v20, -v2
	v_mul_f32_e32 v21, v22, v21
	v_dual_fmac_f32 v21, v23, v20 :: v_dual_add_f32 v20, 0, v2
	s_delay_alu instid0(VALU_DEP_1)
	v_add_f32_e32 v2, 0, v21
	s_and_saveexec_b32 s4, s0
	s_cbranch_execz .LBB7_22
; %bb.21:
	scratch_load_b64 v[21:22], off, off offset:8
	v_mov_b32_e32 v23, 0
	ds_load_b64 v[25:26], v23 offset:72
	s_wait_loadcnt_dscnt 0x0
	v_mul_f32_e32 v23, v25, v22
	v_mul_f32_e32 v22, v26, v22
	s_delay_alu instid0(VALU_DEP_2) | instskip(NEXT) | instid1(VALU_DEP_2)
	v_fmac_f32_e32 v23, v26, v21
	v_fma_f32 v21, v25, v21, -v22
	s_delay_alu instid0(VALU_DEP_2) | instskip(NEXT) | instid1(VALU_DEP_2)
	v_add_f32_e32 v2, v2, v23
	v_add_f32_e32 v20, v20, v21
.LBB7_22:
	s_wait_alu 0xfffe
	s_or_b32 exec_lo, exec_lo, s4
	v_mov_b32_e32 v21, 0
	ds_load_b64 v[21:22], v21 offset:16
	s_wait_dscnt 0x0
	v_mul_f32_e32 v25, v2, v22
	v_mul_f32_e32 v23, v20, v22
	s_delay_alu instid0(VALU_DEP_2) | instskip(NEXT) | instid1(VALU_DEP_2)
	v_fma_f32 v22, v20, v21, -v25
	v_fmac_f32_e32 v23, v2, v21
	scratch_store_b64 off, v[22:23], off offset:16
.LBB7_23:
	s_wait_alu 0xfffe
	s_or_b32 exec_lo, exec_lo, s1
	s_wait_loadcnt 0x0
	s_wait_storecnt 0x0
	s_barrier_signal -1
	s_barrier_wait -1
	global_inv scope:SCOPE_SE
	scratch_load_b64 v[20:21], off, off offset:24
	v_add_nc_u32_e32 v2, -1, v0
	s_mov_b32 s0, exec_lo
	s_wait_loadcnt 0x0
	ds_store_b64 v1, v[20:21]
	s_wait_dscnt 0x0
	s_barrier_signal -1
	s_barrier_wait -1
	global_inv scope:SCOPE_SE
	v_cmpx_gt_u32_e32 3, v0
	s_cbranch_execz .LBB7_27
; %bb.24:
	v_dual_mov_b32 v20, 0 :: v_dual_add_nc_u32 v21, -1, v0
	v_dual_mov_b32 v23, v3 :: v_dual_add_nc_u32 v22, 64, v3
	v_mov_b32_e32 v25, 0
	s_mov_b32 s1, 0
.LBB7_25:                               ; =>This Inner Loop Header: Depth=1
	scratch_load_b64 v[26:27], v23, off
	ds_load_b64 v[28:29], v22
	v_add_nc_u32_e32 v23, 8, v23
	v_add_nc_u32_e32 v21, 1, v21
	v_add_nc_u32_e32 v22, 8, v22
	s_delay_alu instid0(VALU_DEP_2)
	v_cmp_lt_u32_e32 vcc_lo, 1, v21
	s_wait_alu 0xfffe
	s_or_b32 s1, vcc_lo, s1
	s_wait_loadcnt_dscnt 0x0
	v_mul_f32_e32 v30, v29, v27
	v_mul_f32_e32 v27, v28, v27
	s_delay_alu instid0(VALU_DEP_2) | instskip(NEXT) | instid1(VALU_DEP_2)
	v_fma_f32 v28, v28, v26, -v30
	v_fmac_f32_e32 v27, v29, v26
	s_delay_alu instid0(VALU_DEP_1)
	v_dual_add_f32 v25, v25, v28 :: v_dual_add_f32 v20, v20, v27
	s_wait_alu 0xfffe
	s_and_not1_b32 exec_lo, exec_lo, s1
	s_cbranch_execnz .LBB7_25
; %bb.26:
	s_or_b32 exec_lo, exec_lo, s1
	v_mov_b32_e32 v21, 0
	ds_load_b64 v[21:22], v21 offset:24
	s_wait_dscnt 0x0
	v_mul_f32_e32 v26, v20, v22
	v_mul_f32_e32 v23, v25, v22
	s_delay_alu instid0(VALU_DEP_2) | instskip(NEXT) | instid1(VALU_DEP_2)
	v_fma_f32 v22, v25, v21, -v26
	v_fmac_f32_e32 v23, v20, v21
	scratch_store_b64 off, v[22:23], off offset:24
.LBB7_27:
	s_wait_alu 0xfffe
	s_or_b32 exec_lo, exec_lo, s0
	s_wait_loadcnt 0x0
	s_wait_storecnt 0x0
	s_barrier_signal -1
	s_barrier_wait -1
	global_inv scope:SCOPE_SE
	scratch_load_b64 v[20:21], off, off offset:32
	s_mov_b32 s0, exec_lo
	s_wait_loadcnt 0x0
	ds_store_b64 v1, v[20:21]
	s_wait_dscnt 0x0
	s_barrier_signal -1
	s_barrier_wait -1
	global_inv scope:SCOPE_SE
	v_cmpx_gt_u32_e32 4, v0
	s_cbranch_execz .LBB7_31
; %bb.28:
	v_dual_mov_b32 v20, 0 :: v_dual_add_nc_u32 v21, -1, v0
	v_dual_mov_b32 v23, v3 :: v_dual_add_nc_u32 v22, 64, v3
	v_mov_b32_e32 v25, 0
	s_mov_b32 s1, 0
.LBB7_29:                               ; =>This Inner Loop Header: Depth=1
	scratch_load_b64 v[26:27], v23, off
	ds_load_b64 v[28:29], v22
	v_add_nc_u32_e32 v23, 8, v23
	v_add_nc_u32_e32 v21, 1, v21
	v_add_nc_u32_e32 v22, 8, v22
	s_delay_alu instid0(VALU_DEP_2)
	v_cmp_lt_u32_e32 vcc_lo, 2, v21
	s_wait_alu 0xfffe
	s_or_b32 s1, vcc_lo, s1
	s_wait_loadcnt_dscnt 0x0
	v_mul_f32_e32 v30, v29, v27
	v_mul_f32_e32 v27, v28, v27
	s_delay_alu instid0(VALU_DEP_2) | instskip(NEXT) | instid1(VALU_DEP_2)
	v_fma_f32 v28, v28, v26, -v30
	v_fmac_f32_e32 v27, v29, v26
	s_delay_alu instid0(VALU_DEP_1)
	v_dual_add_f32 v25, v25, v28 :: v_dual_add_f32 v20, v20, v27
	s_wait_alu 0xfffe
	s_and_not1_b32 exec_lo, exec_lo, s1
	s_cbranch_execnz .LBB7_29
; %bb.30:
	s_or_b32 exec_lo, exec_lo, s1
	v_mov_b32_e32 v21, 0
	ds_load_b64 v[21:22], v21 offset:32
	s_wait_dscnt 0x0
	v_mul_f32_e32 v26, v20, v22
	v_mul_f32_e32 v23, v25, v22
	s_delay_alu instid0(VALU_DEP_2) | instskip(NEXT) | instid1(VALU_DEP_2)
	v_fma_f32 v22, v25, v21, -v26
	v_fmac_f32_e32 v23, v20, v21
	scratch_store_b64 off, v[22:23], off offset:32
.LBB7_31:
	s_wait_alu 0xfffe
	s_or_b32 exec_lo, exec_lo, s0
	s_wait_loadcnt 0x0
	s_wait_storecnt 0x0
	s_barrier_signal -1
	s_barrier_wait -1
	global_inv scope:SCOPE_SE
	scratch_load_b64 v[20:21], off, off offset:40
	;; [unrolled: 55-line block ×3, first 2 shown]
	s_mov_b32 s0, exec_lo
	s_wait_loadcnt 0x0
	ds_store_b64 v1, v[20:21]
	s_wait_dscnt 0x0
	s_barrier_signal -1
	s_barrier_wait -1
	global_inv scope:SCOPE_SE
	v_cmpx_gt_u32_e32 6, v0
	s_cbranch_execz .LBB7_39
; %bb.36:
	v_add_nc_u32_e32 v20, -1, v0
	v_dual_mov_b32 v22, v3 :: v_dual_add_nc_u32 v21, 64, v3
	v_mov_b32_e32 v3, 0
	v_mov_b32_e32 v23, 0
	s_mov_b32 s1, 0
.LBB7_37:                               ; =>This Inner Loop Header: Depth=1
	scratch_load_b64 v[25:26], v22, off
	ds_load_b64 v[27:28], v21
	v_add_nc_u32_e32 v22, 8, v22
	v_add_nc_u32_e32 v20, 1, v20
	;; [unrolled: 1-line block ×3, first 2 shown]
	s_delay_alu instid0(VALU_DEP_2)
	v_cmp_lt_u32_e32 vcc_lo, 4, v20
	s_wait_alu 0xfffe
	s_or_b32 s1, vcc_lo, s1
	s_wait_loadcnt_dscnt 0x0
	v_mul_f32_e32 v29, v28, v26
	v_mul_f32_e32 v26, v27, v26
	s_delay_alu instid0(VALU_DEP_2) | instskip(NEXT) | instid1(VALU_DEP_1)
	v_fma_f32 v27, v27, v25, -v29
	v_dual_fmac_f32 v26, v28, v25 :: v_dual_add_f32 v23, v23, v27
	s_delay_alu instid0(VALU_DEP_1)
	v_add_f32_e32 v3, v3, v26
	s_wait_alu 0xfffe
	s_and_not1_b32 exec_lo, exec_lo, s1
	s_cbranch_execnz .LBB7_37
; %bb.38:
	s_or_b32 exec_lo, exec_lo, s1
	v_mov_b32_e32 v20, 0
	ds_load_b64 v[20:21], v20 offset:48
	s_wait_dscnt 0x0
	v_mul_f32_e32 v25, v3, v21
	v_mul_f32_e32 v22, v23, v21
	s_delay_alu instid0(VALU_DEP_2) | instskip(NEXT) | instid1(VALU_DEP_2)
	v_fma_f32 v21, v23, v20, -v25
	v_fmac_f32_e32 v22, v3, v20
	scratch_store_b64 off, v[21:22], off offset:48
.LBB7_39:
	s_wait_alu 0xfffe
	s_or_b32 exec_lo, exec_lo, s0
	s_wait_loadcnt 0x0
	s_wait_storecnt 0x0
	s_barrier_signal -1
	s_barrier_wait -1
	global_inv scope:SCOPE_SE
	scratch_load_b64 v[20:21], off, off offset:56
	s_mov_b32 s0, exec_lo
	s_wait_loadcnt 0x0
	ds_store_b64 v1, v[20:21]
	s_wait_dscnt 0x0
	s_barrier_signal -1
	s_barrier_wait -1
	global_inv scope:SCOPE_SE
	v_cmpx_ne_u32_e32 7, v0
	s_cbranch_execz .LBB7_43
; %bb.40:
	v_dual_mov_b32 v3, 0 :: v_dual_mov_b32 v20, 0
	s_mov_b32 s1, 0
.LBB7_41:                               ; =>This Inner Loop Header: Depth=1
	scratch_load_b64 v[21:22], v24, off
	ds_load_b64 v[25:26], v1
	v_add_nc_u32_e32 v2, 1, v2
	v_add_nc_u32_e32 v1, 8, v1
	;; [unrolled: 1-line block ×3, first 2 shown]
	s_delay_alu instid0(VALU_DEP_3)
	v_cmp_lt_u32_e32 vcc_lo, 5, v2
	s_wait_alu 0xfffe
	s_or_b32 s1, vcc_lo, s1
	s_wait_loadcnt_dscnt 0x0
	v_mul_f32_e32 v23, v26, v22
	v_mul_f32_e32 v22, v25, v22
	s_delay_alu instid0(VALU_DEP_2) | instskip(NEXT) | instid1(VALU_DEP_2)
	v_fma_f32 v23, v25, v21, -v23
	v_fmac_f32_e32 v22, v26, v21
	s_delay_alu instid0(VALU_DEP_1)
	v_dual_add_f32 v20, v20, v23 :: v_dual_add_f32 v3, v3, v22
	s_wait_alu 0xfffe
	s_and_not1_b32 exec_lo, exec_lo, s1
	s_cbranch_execnz .LBB7_41
; %bb.42:
	s_or_b32 exec_lo, exec_lo, s1
	v_mov_b32_e32 v1, 0
	ds_load_b64 v[1:2], v1 offset:56
	s_wait_dscnt 0x0
	v_mul_f32_e32 v22, v3, v2
	v_mul_f32_e32 v21, v20, v2
	s_delay_alu instid0(VALU_DEP_2) | instskip(NEXT) | instid1(VALU_DEP_2)
	v_fma_f32 v20, v20, v1, -v22
	v_fmac_f32_e32 v21, v3, v1
	scratch_store_b64 off, v[20:21], off offset:56
.LBB7_43:
	s_wait_alu 0xfffe
	s_or_b32 exec_lo, exec_lo, s0
	s_mov_b32 s1, -1
	s_wait_loadcnt 0x0
	s_wait_storecnt 0x0
	s_barrier_signal -1
	s_barrier_wait -1
	global_inv scope:SCOPE_SE
.LBB7_44:
	s_wait_alu 0xfffe
	s_and_b32 vcc_lo, exec_lo, s1
	s_wait_alu 0xfffe
	s_cbranch_vccz .LBB7_46
; %bb.45:
	v_mov_b32_e32 v1, 0
	s_lshl_b64 s[0:1], s[16:17], 2
	s_wait_alu 0xfffe
	s_add_nc_u64 s[0:1], s[6:7], s[0:1]
	global_load_b32 v1, v1, s[0:1]
	s_wait_loadcnt 0x0
	v_cmp_ne_u32_e32 vcc_lo, 0, v1
	s_cbranch_vccz .LBB7_47
.LBB7_46:
	s_endpgm
.LBB7_47:
	v_lshl_add_u32 v3, v0, 3, 64
	s_mov_b32 s0, exec_lo
	v_cmpx_eq_u32_e32 7, v0
	s_cbranch_execz .LBB7_49
; %bb.48:
	scratch_load_b64 v[1:2], off, off offset:48
	v_mov_b32_e32 v20, 0
	s_delay_alu instid0(VALU_DEP_1)
	v_mov_b32_e32 v21, v20
	scratch_store_b64 off, v[20:21], off offset:48
	s_wait_loadcnt 0x0
	ds_store_b64 v3, v[1:2]
.LBB7_49:
	s_wait_alu 0xfffe
	s_or_b32 exec_lo, exec_lo, s0
	s_wait_storecnt_dscnt 0x0
	s_barrier_signal -1
	s_barrier_wait -1
	global_inv scope:SCOPE_SE
	s_clause 0x1
	scratch_load_b64 v[20:21], off, off offset:56
	scratch_load_b64 v[22:23], off, off offset:48
	v_mov_b32_e32 v1, 0
	s_mov_b32 s0, exec_lo
	ds_load_b64 v[24:25], v1 offset:120
	s_wait_loadcnt_dscnt 0x100
	v_mul_f32_e32 v2, v25, v21
	s_delay_alu instid0(VALU_DEP_1) | instskip(NEXT) | instid1(VALU_DEP_1)
	v_fma_f32 v2, v24, v20, -v2
	v_dual_mul_f32 v21, v24, v21 :: v_dual_add_f32 v2, 0, v2
	s_wait_loadcnt 0x0
	s_delay_alu instid0(VALU_DEP_1) | instskip(NEXT) | instid1(VALU_DEP_1)
	v_dual_fmac_f32 v21, v25, v20 :: v_dual_sub_f32 v20, v22, v2
	v_add_f32_e32 v21, 0, v21
	s_delay_alu instid0(VALU_DEP_1)
	v_sub_f32_e32 v21, v23, v21
	scratch_store_b64 off, v[20:21], off offset:48
	v_cmpx_lt_u32_e32 5, v0
	s_cbranch_execz .LBB7_51
; %bb.50:
	scratch_load_b64 v[20:21], off, off offset:40
	v_mov_b32_e32 v2, v1
	scratch_store_b64 off, v[1:2], off offset:40
	s_wait_loadcnt 0x0
	ds_store_b64 v3, v[20:21]
.LBB7_51:
	s_wait_alu 0xfffe
	s_or_b32 exec_lo, exec_lo, s0
	s_wait_storecnt_dscnt 0x0
	s_barrier_signal -1
	s_barrier_wait -1
	global_inv scope:SCOPE_SE
	s_clause 0x1
	scratch_load_b128 v[20:23], off, off offset:48
	scratch_load_b64 v[28:29], off, off offset:40
	ds_load_b128 v[24:27], v1 offset:112
	s_mov_b32 s0, exec_lo
	s_wait_loadcnt_dscnt 0x100
	v_mul_f32_e32 v2, v24, v21
	s_delay_alu instid0(VALU_DEP_1) | instskip(SKIP_2) | instid1(VALU_DEP_1)
	v_fmac_f32_e32 v2, v25, v20
	v_mul_f32_e32 v1, v25, v21
	v_mul_f32_e32 v21, v26, v23
	v_fmac_f32_e32 v21, v27, v22
	s_delay_alu instid0(VALU_DEP_4) | instskip(NEXT) | instid1(VALU_DEP_4)
	v_dual_add_f32 v2, 0, v2 :: v_dual_mul_f32 v23, v27, v23
	v_fma_f32 v1, v24, v20, -v1
	s_delay_alu instid0(VALU_DEP_2) | instskip(NEXT) | instid1(VALU_DEP_3)
	v_add_f32_e32 v2, v2, v21
	v_fma_f32 v20, v26, v22, -v23
	s_wait_loadcnt 0x0
	s_delay_alu instid0(VALU_DEP_2) | instskip(NEXT) | instid1(VALU_DEP_1)
	v_dual_add_f32 v1, 0, v1 :: v_dual_sub_f32 v2, v29, v2
	v_add_f32_e32 v1, v1, v20
	s_delay_alu instid0(VALU_DEP_1)
	v_sub_f32_e32 v1, v28, v1
	scratch_store_b64 off, v[1:2], off offset:40
	v_cmpx_lt_u32_e32 4, v0
	s_cbranch_execz .LBB7_53
; %bb.52:
	scratch_load_b64 v[1:2], off, off offset:32
	v_mov_b32_e32 v20, 0
	s_delay_alu instid0(VALU_DEP_1)
	v_mov_b32_e32 v21, v20
	scratch_store_b64 off, v[20:21], off offset:32
	s_wait_loadcnt 0x0
	ds_store_b64 v3, v[1:2]
.LBB7_53:
	s_wait_alu 0xfffe
	s_or_b32 exec_lo, exec_lo, s0
	s_wait_storecnt_dscnt 0x0
	s_barrier_signal -1
	s_barrier_wait -1
	global_inv scope:SCOPE_SE
	s_clause 0x2
	scratch_load_b128 v[20:23], off, off offset:40
	scratch_load_b64 v[28:29], off, off offset:56
	scratch_load_b64 v[30:31], off, off offset:32
	v_mov_b32_e32 v1, 0
	ds_load_2addr_b64 v[24:27], v1 offset0:13 offset1:14
	ds_load_b64 v[32:33], v1 offset:120
	s_mov_b32 s0, exec_lo
	s_wait_loadcnt_dscnt 0x201
	v_mul_f32_e32 v2, v25, v21
	v_dual_mul_f32 v21, v24, v21 :: v_dual_mul_f32 v34, v26, v23
	v_mul_f32_e32 v23, v27, v23
	s_wait_loadcnt_dscnt 0x100
	v_mul_f32_e32 v35, v32, v29
	v_fma_f32 v2, v24, v20, -v2
	v_fmac_f32_e32 v21, v25, v20
	v_mul_f32_e32 v20, v33, v29
	v_fmac_f32_e32 v34, v27, v22
	v_fma_f32 v22, v26, v22, -v23
	s_delay_alu instid0(VALU_DEP_4) | instskip(NEXT) | instid1(VALU_DEP_4)
	v_dual_add_f32 v2, 0, v2 :: v_dual_add_f32 v21, 0, v21
	v_fma_f32 v20, v32, v28, -v20
	s_delay_alu instid0(VALU_DEP_2) | instskip(NEXT) | instid1(VALU_DEP_1)
	v_add_f32_e32 v2, v2, v22
	v_dual_add_f32 v21, v21, v34 :: v_dual_add_f32 v2, v2, v20
	s_wait_loadcnt 0x0
	s_delay_alu instid0(VALU_DEP_1) | instskip(NEXT) | instid1(VALU_DEP_1)
	v_dual_fmac_f32 v35, v33, v28 :: v_dual_sub_f32 v20, v30, v2
	v_add_f32_e32 v21, v21, v35
	s_delay_alu instid0(VALU_DEP_1)
	v_sub_f32_e32 v21, v31, v21
	scratch_store_b64 off, v[20:21], off offset:32
	v_cmpx_lt_u32_e32 3, v0
	s_cbranch_execz .LBB7_55
; %bb.54:
	scratch_load_b64 v[20:21], off, off offset:24
	v_mov_b32_e32 v2, v1
	scratch_store_b64 off, v[1:2], off offset:24
	s_wait_loadcnt 0x0
	ds_store_b64 v3, v[20:21]
.LBB7_55:
	s_wait_alu 0xfffe
	s_or_b32 exec_lo, exec_lo, s0
	s_wait_storecnt_dscnt 0x0
	s_barrier_signal -1
	s_barrier_wait -1
	global_inv scope:SCOPE_SE
	s_clause 0x2
	scratch_load_b128 v[20:23], off, off offset:32
	scratch_load_b128 v[24:27], off, off offset:48
	scratch_load_b64 v[36:37], off, off offset:24
	ds_load_b128 v[28:31], v1 offset:96
	ds_load_b128 v[32:35], v1 offset:112
	s_mov_b32 s0, exec_lo
	s_wait_loadcnt_dscnt 0x201
	v_mul_f32_e32 v2, v29, v21
	s_wait_loadcnt_dscnt 0x100
	v_dual_mul_f32 v38, v32, v25 :: v_dual_mul_f32 v39, v34, v27
	s_delay_alu instid0(VALU_DEP_2) | instskip(SKIP_2) | instid1(VALU_DEP_4)
	v_fma_f32 v2, v28, v20, -v2
	v_mul_f32_e32 v1, v28, v21
	v_mul_f32_e32 v21, v30, v23
	v_dual_mul_f32 v23, v31, v23 :: v_dual_fmac_f32 v38, v33, v24
	s_delay_alu instid0(VALU_DEP_3) | instskip(NEXT) | instid1(VALU_DEP_3)
	v_dual_add_f32 v2, 0, v2 :: v_dual_fmac_f32 v1, v29, v20
	v_dual_mul_f32 v20, v33, v25 :: v_dual_fmac_f32 v21, v31, v22
	s_delay_alu instid0(VALU_DEP_3) | instskip(SKIP_1) | instid1(VALU_DEP_3)
	v_fma_f32 v22, v30, v22, -v23
	v_fmac_f32_e32 v39, v35, v26
	v_fma_f32 v20, v32, v24, -v20
	s_delay_alu instid0(VALU_DEP_3) | instskip(NEXT) | instid1(VALU_DEP_1)
	v_dual_add_f32 v2, v2, v22 :: v_dual_add_f32 v1, 0, v1
	v_dual_add_f32 v2, v2, v20 :: v_dual_mul_f32 v23, v35, v27
	s_delay_alu instid0(VALU_DEP_2) | instskip(NEXT) | instid1(VALU_DEP_2)
	v_add_f32_e32 v1, v1, v21
	v_fma_f32 v21, v34, v26, -v23
	s_delay_alu instid0(VALU_DEP_1) | instskip(SKIP_1) | instid1(VALU_DEP_1)
	v_dual_add_f32 v1, v1, v38 :: v_dual_add_f32 v2, v2, v21
	s_wait_loadcnt 0x0
	v_dual_add_f32 v20, v1, v39 :: v_dual_sub_f32 v1, v36, v2
	s_delay_alu instid0(VALU_DEP_1)
	v_sub_f32_e32 v2, v37, v20
	scratch_store_b64 off, v[1:2], off offset:24
	v_cmpx_lt_u32_e32 2, v0
	s_cbranch_execz .LBB7_57
; %bb.56:
	scratch_load_b64 v[1:2], off, off offset:16
	v_mov_b32_e32 v20, 0
	s_delay_alu instid0(VALU_DEP_1)
	v_mov_b32_e32 v21, v20
	scratch_store_b64 off, v[20:21], off offset:16
	s_wait_loadcnt 0x0
	ds_store_b64 v3, v[1:2]
.LBB7_57:
	s_wait_alu 0xfffe
	s_or_b32 exec_lo, exec_lo, s0
	s_wait_storecnt_dscnt 0x0
	s_barrier_signal -1
	s_barrier_wait -1
	global_inv scope:SCOPE_SE
	s_clause 0x3
	scratch_load_b128 v[20:23], off, off offset:24
	scratch_load_b128 v[24:27], off, off offset:40
	scratch_load_b64 v[36:37], off, off offset:56
	scratch_load_b64 v[38:39], off, off offset:16
	v_mov_b32_e32 v1, 0
	ds_load_2addr_b64 v[28:31], v1 offset0:11 offset1:12
	ds_load_2addr_b64 v[32:35], v1 offset0:13 offset1:14
	ds_load_b64 v[40:41], v1 offset:120
	s_mov_b32 s0, exec_lo
	s_wait_loadcnt_dscnt 0x302
	v_mul_f32_e32 v2, v28, v21
	v_dual_mul_f32 v42, v30, v23 :: v_dual_mul_f32 v21, v29, v21
	s_wait_loadcnt_dscnt 0x100
	v_mul_f32_e32 v45, v40, v37
	v_dual_mul_f32 v43, v32, v25 :: v_dual_mul_f32 v44, v34, v27
	v_dual_fmac_f32 v2, v29, v20 :: v_dual_mul_f32 v23, v31, v23
	v_fma_f32 v21, v28, v20, -v21
	v_fmac_f32_e32 v42, v31, v22
	v_mul_f32_e32 v20, v33, v25
	s_delay_alu instid0(VALU_DEP_4) | instskip(SKIP_3) | instid1(VALU_DEP_4)
	v_add_f32_e32 v2, 0, v2
	v_fma_f32 v22, v30, v22, -v23
	v_add_f32_e32 v21, 0, v21
	v_mul_f32_e32 v23, v35, v27
	v_dual_fmac_f32 v43, v33, v24 :: v_dual_add_f32 v2, v2, v42
	v_dual_fmac_f32 v44, v35, v26 :: v_dual_fmac_f32 v45, v41, v36
	s_delay_alu instid0(VALU_DEP_4) | instskip(SKIP_1) | instid1(VALU_DEP_4)
	v_add_f32_e32 v21, v21, v22
	v_fma_f32 v20, v32, v24, -v20
	v_add_f32_e32 v2, v2, v43
	v_fma_f32 v23, v34, v26, -v23
	s_delay_alu instid0(VALU_DEP_3) | instskip(NEXT) | instid1(VALU_DEP_3)
	v_add_f32_e32 v20, v21, v20
	v_add_f32_e32 v2, v2, v44
	s_delay_alu instid0(VALU_DEP_2) | instskip(NEXT) | instid1(VALU_DEP_2)
	v_add_f32_e32 v20, v20, v23
	v_add_f32_e32 v2, v2, v45
	v_mul_f32_e32 v22, v41, v37
	s_delay_alu instid0(VALU_DEP_1) | instskip(SKIP_1) | instid1(VALU_DEP_1)
	v_fma_f32 v21, v40, v36, -v22
	s_wait_loadcnt 0x0
	v_dual_add_f32 v20, v20, v21 :: v_dual_sub_f32 v21, v39, v2
	s_delay_alu instid0(VALU_DEP_1)
	v_sub_f32_e32 v20, v38, v20
	scratch_store_b64 off, v[20:21], off offset:16
	v_cmpx_lt_u32_e32 1, v0
	s_cbranch_execz .LBB7_59
; %bb.58:
	scratch_load_b64 v[20:21], off, off offset:8
	v_mov_b32_e32 v2, v1
	scratch_store_b64 off, v[1:2], off offset:8
	s_wait_loadcnt 0x0
	ds_store_b64 v3, v[20:21]
.LBB7_59:
	s_wait_alu 0xfffe
	s_or_b32 exec_lo, exec_lo, s0
	s_wait_storecnt_dscnt 0x0
	s_barrier_signal -1
	s_barrier_wait -1
	global_inv scope:SCOPE_SE
	s_clause 0x3
	scratch_load_b128 v[20:23], off, off offset:16
	scratch_load_b128 v[24:27], off, off offset:32
	;; [unrolled: 1-line block ×3, first 2 shown]
	scratch_load_b64 v[44:45], off, off offset:8
	ds_load_b128 v[32:35], v1 offset:80
	ds_load_b128 v[36:39], v1 offset:96
	;; [unrolled: 1-line block ×3, first 2 shown]
	s_mov_b32 s0, exec_lo
	s_wait_loadcnt_dscnt 0x302
	v_dual_mul_f32 v1, v32, v21 :: v_dual_mul_f32 v2, v34, v23
	v_mul_f32_e32 v21, v33, v21
	s_wait_loadcnt_dscnt 0x201
	v_dual_mul_f32 v23, v35, v23 :: v_dual_mul_f32 v46, v36, v25
	s_delay_alu instid0(VALU_DEP_3) | instskip(NEXT) | instid1(VALU_DEP_3)
	v_dual_mul_f32 v47, v38, v27 :: v_dual_fmac_f32 v2, v35, v22
	v_fma_f32 v21, v32, v20, -v21
	v_fmac_f32_e32 v1, v33, v20
	v_mul_f32_e32 v20, v37, v25
	v_fma_f32 v22, v34, v22, -v23
	v_mul_f32_e32 v23, v39, v27
	v_dual_add_f32 v21, 0, v21 :: v_dual_fmac_f32 v46, v37, v24
	s_delay_alu instid0(VALU_DEP_4) | instskip(SKIP_2) | instid1(VALU_DEP_3)
	v_fma_f32 v20, v36, v24, -v20
	s_wait_loadcnt_dscnt 0x100
	v_dual_mul_f32 v48, v40, v29 :: v_dual_mul_f32 v49, v42, v31
	v_add_f32_e32 v21, v21, v22
	v_fmac_f32_e32 v47, v39, v26
	v_fma_f32 v22, v38, v26, -v23
	s_delay_alu instid0(VALU_DEP_4) | instskip(NEXT) | instid1(VALU_DEP_4)
	v_dual_fmac_f32 v48, v41, v28 :: v_dual_fmac_f32 v49, v43, v30
	v_add_f32_e32 v20, v21, v20
	s_delay_alu instid0(VALU_DEP_1) | instskip(SKIP_1) | instid1(VALU_DEP_1)
	v_dual_add_f32 v20, v20, v22 :: v_dual_add_f32 v1, 0, v1
	v_mul_f32_e32 v21, v43, v31
	v_fma_f32 v21, v42, v30, -v21
	s_delay_alu instid0(VALU_DEP_3) | instskip(SKIP_1) | instid1(VALU_DEP_1)
	v_add_f32_e32 v1, v1, v2
	v_mul_f32_e32 v2, v41, v29
	v_fma_f32 v2, v40, v28, -v2
	s_delay_alu instid0(VALU_DEP_1) | instskip(NEXT) | instid1(VALU_DEP_1)
	v_add_f32_e32 v2, v20, v2
	v_dual_add_f32 v2, v2, v21 :: v_dual_add_f32 v1, v1, v46
	s_delay_alu instid0(VALU_DEP_1) | instskip(NEXT) | instid1(VALU_DEP_1)
	v_add_f32_e32 v1, v1, v47
	v_add_f32_e32 v1, v1, v48
	s_wait_loadcnt 0x0
	s_delay_alu instid0(VALU_DEP_1) | instskip(NEXT) | instid1(VALU_DEP_1)
	v_dual_add_f32 v20, v1, v49 :: v_dual_sub_f32 v1, v44, v2
	v_sub_f32_e32 v2, v45, v20
	scratch_store_b64 off, v[1:2], off offset:8
	v_cmpx_ne_u32_e32 0, v0
	s_cbranch_execz .LBB7_61
; %bb.60:
	scratch_load_b64 v[0:1], off, off
	v_mov_b32_e32 v20, 0
	s_delay_alu instid0(VALU_DEP_1)
	v_mov_b32_e32 v21, v20
	scratch_store_b64 off, v[20:21], off
	s_wait_loadcnt 0x0
	ds_store_b64 v3, v[0:1]
.LBB7_61:
	s_wait_alu 0xfffe
	s_or_b32 exec_lo, exec_lo, s0
	s_wait_storecnt_dscnt 0x0
	s_barrier_signal -1
	s_barrier_wait -1
	global_inv scope:SCOPE_SE
	s_clause 0x4
	scratch_load_b128 v[21:24], off, off offset:8
	scratch_load_b128 v[25:28], off, off offset:24
	;; [unrolled: 1-line block ×3, first 2 shown]
	scratch_load_b64 v[41:42], off, off offset:56
	scratch_load_b64 v[43:44], off, off
	v_mov_b32_e32 v20, 0
	ds_load_2addr_b64 v[29:32], v20 offset0:9 offset1:10
	ds_load_2addr_b64 v[33:36], v20 offset0:11 offset1:12
	;; [unrolled: 1-line block ×3, first 2 shown]
	ds_load_b64 v[45:46], v20 offset:120
	s_and_b32 vcc_lo, exec_lo, s18
	s_wait_loadcnt_dscnt 0x403
	v_dual_mul_f32 v47, v29, v22 :: v_dual_mul_f32 v48, v31, v24
	s_wait_loadcnt_dscnt 0x302
	v_dual_mul_f32 v49, v33, v26 :: v_dual_mul_f32 v24, v32, v24
	;; [unrolled: 2-line block ×3, first 2 shown]
	v_dual_fmac_f32 v47, v30, v21 :: v_dual_fmac_f32 v48, v32, v23
	s_delay_alu instid0(VALU_DEP_3) | instskip(SKIP_1) | instid1(VALU_DEP_4)
	v_fmac_f32_e32 v49, v34, v25
	v_fma_f32 v23, v31, v23, -v24
	v_dual_fmac_f32 v50, v36, v27 :: v_dual_fmac_f32 v51, v38, v0
	s_delay_alu instid0(VALU_DEP_4) | instskip(SKIP_4) | instid1(VALU_DEP_3)
	v_add_f32_e32 v24, 0, v47
	v_mul_f32_e32 v22, v30, v22
	s_wait_loadcnt_dscnt 0x100
	v_dual_mul_f32 v52, v39, v3 :: v_dual_mul_f32 v53, v45, v42
	v_mul_f32_e32 v1, v38, v1
	v_fma_f32 v22, v29, v21, -v22
	v_dual_mul_f32 v21, v34, v26 :: v_dual_mul_f32 v26, v36, v28
	s_delay_alu instid0(VALU_DEP_3) | instskip(SKIP_1) | instid1(VALU_DEP_4)
	v_fma_f32 v0, v37, v0, -v1
	v_dual_fmac_f32 v52, v40, v2 :: v_dual_fmac_f32 v53, v46, v41
	v_add_f32_e32 v22, 0, v22
	s_delay_alu instid0(VALU_DEP_4) | instskip(NEXT) | instid1(VALU_DEP_2)
	v_fma_f32 v21, v33, v25, -v21
	v_add_f32_e32 v22, v22, v23
	s_delay_alu instid0(VALU_DEP_1) | instskip(SKIP_2) | instid1(VALU_DEP_2)
	v_add_f32_e32 v21, v22, v21
	v_add_f32_e32 v23, v24, v48
	v_fma_f32 v24, v35, v27, -v26
	v_dual_add_f32 v22, v23, v49 :: v_dual_mul_f32 v23, v40, v3
	s_delay_alu instid0(VALU_DEP_2) | instskip(NEXT) | instid1(VALU_DEP_2)
	v_add_f32_e32 v1, v21, v24
	v_add_f32_e32 v21, v22, v50
	v_mul_f32_e32 v22, v46, v42
	s_delay_alu instid0(VALU_DEP_4) | instskip(NEXT) | instid1(VALU_DEP_4)
	v_fma_f32 v23, v39, v2, -v23
	v_add_f32_e32 v0, v1, v0
	s_delay_alu instid0(VALU_DEP_4) | instskip(NEXT) | instid1(VALU_DEP_4)
	v_add_f32_e32 v1, v21, v51
	v_fma_f32 v21, v45, v41, -v22
	s_delay_alu instid0(VALU_DEP_2) | instskip(NEXT) | instid1(VALU_DEP_1)
	v_dual_add_f32 v0, v0, v23 :: v_dual_add_f32 v1, v1, v52
	v_add_f32_e32 v0, v0, v21
	s_wait_loadcnt 0x0
	s_delay_alu instid0(VALU_DEP_1) | instskip(NEXT) | instid1(VALU_DEP_1)
	v_dual_add_f32 v1, v1, v53 :: v_dual_sub_f32 v0, v43, v0
	v_sub_f32_e32 v1, v44, v1
	scratch_store_b64 off, v[0:1], off
	s_wait_alu 0xfffe
	s_cbranch_vccz .LBB7_76
; %bb.62:
	global_load_b32 v0, v20, s[2:3] offset:24
	s_wait_loadcnt 0x0
	v_cmp_ne_u32_e32 vcc_lo, 7, v0
	s_cbranch_vccz .LBB7_64
; %bb.63:
	v_lshlrev_b32_e32 v0, 3, v0
	s_delay_alu instid0(VALU_DEP_1)
	v_mov_b32_e32 v20, v0
	scratch_load_b64 v[0:1], v20, off offset:-8
	s_wait_loadcnt 0x0
	scratch_store_b64 off, v[0:1], off offset:48
	scratch_store_b64 v20, v[2:3], off offset:-8
.LBB7_64:
	v_mov_b32_e32 v0, 0
	global_load_b32 v1, v0, s[2:3] offset:20
	s_wait_loadcnt 0x0
	v_cmp_eq_u32_e32 vcc_lo, 6, v1
	s_cbranch_vccnz .LBB7_66
; %bb.65:
	v_lshlrev_b32_e32 v1, 3, v1
	s_delay_alu instid0(VALU_DEP_1)
	v_mov_b32_e32 v3, v1
	scratch_load_b64 v[1:2], v3, off offset:-8
	scratch_load_b64 v[20:21], off, off offset:40
	s_wait_loadcnt 0x1
	scratch_store_b64 off, v[1:2], off offset:40
	s_wait_loadcnt 0x0
	scratch_store_b64 v3, v[20:21], off offset:-8
.LBB7_66:
	global_load_b32 v0, v0, s[2:3] offset:16
	s_wait_loadcnt 0x0
	v_cmp_eq_u32_e32 vcc_lo, 5, v0
	s_cbranch_vccnz .LBB7_68
; %bb.67:
	v_lshlrev_b32_e32 v0, 3, v0
	s_delay_alu instid0(VALU_DEP_1)
	v_mov_b32_e32 v20, v0
	scratch_load_b64 v[0:1], v20, off offset:-8
	scratch_load_b64 v[2:3], off, off offset:32
	s_wait_loadcnt 0x1
	scratch_store_b64 off, v[0:1], off offset:32
	s_wait_loadcnt 0x0
	scratch_store_b64 v20, v[2:3], off offset:-8
.LBB7_68:
	v_mov_b32_e32 v0, 0
	global_load_b32 v1, v0, s[2:3] offset:12
	s_wait_loadcnt 0x0
	v_cmp_eq_u32_e32 vcc_lo, 4, v1
	s_cbranch_vccnz .LBB7_70
; %bb.69:
	v_lshlrev_b32_e32 v1, 3, v1
	s_delay_alu instid0(VALU_DEP_1)
	v_mov_b32_e32 v3, v1
	scratch_load_b64 v[1:2], v3, off offset:-8
	scratch_load_b64 v[20:21], off, off offset:24
	s_wait_loadcnt 0x1
	scratch_store_b64 off, v[1:2], off offset:24
	s_wait_loadcnt 0x0
	scratch_store_b64 v3, v[20:21], off offset:-8
.LBB7_70:
	global_load_b32 v0, v0, s[2:3] offset:8
	s_wait_loadcnt 0x0
	v_cmp_eq_u32_e32 vcc_lo, 3, v0
	s_cbranch_vccnz .LBB7_72
; %bb.71:
	v_lshlrev_b32_e32 v0, 3, v0
	s_delay_alu instid0(VALU_DEP_1)
	v_mov_b32_e32 v20, v0
	scratch_load_b64 v[0:1], v20, off offset:-8
	scratch_load_b64 v[2:3], off, off offset:16
	s_wait_loadcnt 0x1
	scratch_store_b64 off, v[0:1], off offset:16
	s_wait_loadcnt 0x0
	scratch_store_b64 v20, v[2:3], off offset:-8
.LBB7_72:
	v_mov_b32_e32 v0, 0
	global_load_b32 v1, v0, s[2:3] offset:4
	s_wait_loadcnt 0x0
	v_cmp_eq_u32_e32 vcc_lo, 2, v1
	s_cbranch_vccnz .LBB7_74
; %bb.73:
	v_lshlrev_b32_e32 v1, 3, v1
	s_delay_alu instid0(VALU_DEP_1)
	v_mov_b32_e32 v3, v1
	scratch_load_b64 v[1:2], v3, off offset:-8
	scratch_load_b64 v[20:21], off, off offset:8
	s_wait_loadcnt 0x1
	scratch_store_b64 off, v[1:2], off offset:8
	s_wait_loadcnt 0x0
	scratch_store_b64 v3, v[20:21], off offset:-8
.LBB7_74:
	global_load_b32 v0, v0, s[2:3]
	s_wait_loadcnt 0x0
	v_cmp_eq_u32_e32 vcc_lo, 1, v0
	s_cbranch_vccnz .LBB7_76
; %bb.75:
	v_lshlrev_b32_e32 v0, 3, v0
	s_delay_alu instid0(VALU_DEP_1)
	v_mov_b32_e32 v20, v0
	scratch_load_b64 v[0:1], v20, off offset:-8
	scratch_load_b64 v[2:3], off, off
	s_wait_loadcnt 0x1
	scratch_store_b64 off, v[0:1], off
	s_wait_loadcnt 0x0
	scratch_store_b64 v20, v[2:3], off offset:-8
.LBB7_76:
	s_clause 0x3
	scratch_load_b128 v[0:3], off, off
	scratch_load_b128 v[20:23], off, off offset:16
	scratch_load_b128 v[24:27], off, off offset:32
	;; [unrolled: 1-line block ×3, first 2 shown]
	s_wait_loadcnt 0x3
	s_clause 0x1
	global_store_b64 v[4:5], v[0:1], off
	global_store_b64 v[6:7], v[2:3], off
	s_wait_loadcnt 0x2
	s_clause 0x1
	global_store_b64 v[8:9], v[20:21], off
	global_store_b64 v[10:11], v[22:23], off
	;; [unrolled: 4-line block ×4, first 2 shown]
	s_endpgm
	.section	.rodata,"a",@progbits
	.p2align	6, 0x0
	.amdhsa_kernel _ZN9rocsolver6v33100L18getri_kernel_smallILi8E19rocblas_complex_numIfEPS3_EEvT1_iilPiilS6_bb
		.amdhsa_group_segment_fixed_size 132
		.amdhsa_private_segment_fixed_size 80
		.amdhsa_kernarg_size 60
		.amdhsa_user_sgpr_count 2
		.amdhsa_user_sgpr_dispatch_ptr 0
		.amdhsa_user_sgpr_queue_ptr 0
		.amdhsa_user_sgpr_kernarg_segment_ptr 1
		.amdhsa_user_sgpr_dispatch_id 0
		.amdhsa_user_sgpr_private_segment_size 0
		.amdhsa_wavefront_size32 1
		.amdhsa_uses_dynamic_stack 0
		.amdhsa_enable_private_segment 1
		.amdhsa_system_sgpr_workgroup_id_x 1
		.amdhsa_system_sgpr_workgroup_id_y 0
		.amdhsa_system_sgpr_workgroup_id_z 0
		.amdhsa_system_sgpr_workgroup_info 0
		.amdhsa_system_vgpr_workitem_id 0
		.amdhsa_next_free_vgpr 54
		.amdhsa_next_free_sgpr 19
		.amdhsa_reserve_vcc 1
		.amdhsa_float_round_mode_32 0
		.amdhsa_float_round_mode_16_64 0
		.amdhsa_float_denorm_mode_32 3
		.amdhsa_float_denorm_mode_16_64 3
		.amdhsa_fp16_overflow 0
		.amdhsa_workgroup_processor_mode 1
		.amdhsa_memory_ordered 1
		.amdhsa_forward_progress 1
		.amdhsa_inst_pref_size 51
		.amdhsa_round_robin_scheduling 0
		.amdhsa_exception_fp_ieee_invalid_op 0
		.amdhsa_exception_fp_denorm_src 0
		.amdhsa_exception_fp_ieee_div_zero 0
		.amdhsa_exception_fp_ieee_overflow 0
		.amdhsa_exception_fp_ieee_underflow 0
		.amdhsa_exception_fp_ieee_inexact 0
		.amdhsa_exception_int_div_zero 0
	.end_amdhsa_kernel
	.section	.text._ZN9rocsolver6v33100L18getri_kernel_smallILi8E19rocblas_complex_numIfEPS3_EEvT1_iilPiilS6_bb,"axG",@progbits,_ZN9rocsolver6v33100L18getri_kernel_smallILi8E19rocblas_complex_numIfEPS3_EEvT1_iilPiilS6_bb,comdat
.Lfunc_end7:
	.size	_ZN9rocsolver6v33100L18getri_kernel_smallILi8E19rocblas_complex_numIfEPS3_EEvT1_iilPiilS6_bb, .Lfunc_end7-_ZN9rocsolver6v33100L18getri_kernel_smallILi8E19rocblas_complex_numIfEPS3_EEvT1_iilPiilS6_bb
                                        ; -- End function
	.set _ZN9rocsolver6v33100L18getri_kernel_smallILi8E19rocblas_complex_numIfEPS3_EEvT1_iilPiilS6_bb.num_vgpr, 54
	.set _ZN9rocsolver6v33100L18getri_kernel_smallILi8E19rocblas_complex_numIfEPS3_EEvT1_iilPiilS6_bb.num_agpr, 0
	.set _ZN9rocsolver6v33100L18getri_kernel_smallILi8E19rocblas_complex_numIfEPS3_EEvT1_iilPiilS6_bb.numbered_sgpr, 19
	.set _ZN9rocsolver6v33100L18getri_kernel_smallILi8E19rocblas_complex_numIfEPS3_EEvT1_iilPiilS6_bb.num_named_barrier, 0
	.set _ZN9rocsolver6v33100L18getri_kernel_smallILi8E19rocblas_complex_numIfEPS3_EEvT1_iilPiilS6_bb.private_seg_size, 80
	.set _ZN9rocsolver6v33100L18getri_kernel_smallILi8E19rocblas_complex_numIfEPS3_EEvT1_iilPiilS6_bb.uses_vcc, 1
	.set _ZN9rocsolver6v33100L18getri_kernel_smallILi8E19rocblas_complex_numIfEPS3_EEvT1_iilPiilS6_bb.uses_flat_scratch, 1
	.set _ZN9rocsolver6v33100L18getri_kernel_smallILi8E19rocblas_complex_numIfEPS3_EEvT1_iilPiilS6_bb.has_dyn_sized_stack, 0
	.set _ZN9rocsolver6v33100L18getri_kernel_smallILi8E19rocblas_complex_numIfEPS3_EEvT1_iilPiilS6_bb.has_recursion, 0
	.set _ZN9rocsolver6v33100L18getri_kernel_smallILi8E19rocblas_complex_numIfEPS3_EEvT1_iilPiilS6_bb.has_indirect_call, 0
	.section	.AMDGPU.csdata,"",@progbits
; Kernel info:
; codeLenInByte = 6484
; TotalNumSgprs: 21
; NumVgprs: 54
; ScratchSize: 80
; MemoryBound: 0
; FloatMode: 240
; IeeeMode: 1
; LDSByteSize: 132 bytes/workgroup (compile time only)
; SGPRBlocks: 0
; VGPRBlocks: 6
; NumSGPRsForWavesPerEU: 21
; NumVGPRsForWavesPerEU: 54
; Occupancy: 16
; WaveLimiterHint : 0
; COMPUTE_PGM_RSRC2:SCRATCH_EN: 1
; COMPUTE_PGM_RSRC2:USER_SGPR: 2
; COMPUTE_PGM_RSRC2:TRAP_HANDLER: 0
; COMPUTE_PGM_RSRC2:TGID_X_EN: 1
; COMPUTE_PGM_RSRC2:TGID_Y_EN: 0
; COMPUTE_PGM_RSRC2:TGID_Z_EN: 0
; COMPUTE_PGM_RSRC2:TIDIG_COMP_CNT: 0
	.section	.text._ZN9rocsolver6v33100L18getri_kernel_smallILi9E19rocblas_complex_numIfEPS3_EEvT1_iilPiilS6_bb,"axG",@progbits,_ZN9rocsolver6v33100L18getri_kernel_smallILi9E19rocblas_complex_numIfEPS3_EEvT1_iilPiilS6_bb,comdat
	.globl	_ZN9rocsolver6v33100L18getri_kernel_smallILi9E19rocblas_complex_numIfEPS3_EEvT1_iilPiilS6_bb ; -- Begin function _ZN9rocsolver6v33100L18getri_kernel_smallILi9E19rocblas_complex_numIfEPS3_EEvT1_iilPiilS6_bb
	.p2align	8
	.type	_ZN9rocsolver6v33100L18getri_kernel_smallILi9E19rocblas_complex_numIfEPS3_EEvT1_iilPiilS6_bb,@function
_ZN9rocsolver6v33100L18getri_kernel_smallILi9E19rocblas_complex_numIfEPS3_EEvT1_iilPiilS6_bb: ; @_ZN9rocsolver6v33100L18getri_kernel_smallILi9E19rocblas_complex_numIfEPS3_EEvT1_iilPiilS6_bb
; %bb.0:
	s_mov_b32 s2, exec_lo
	v_cmpx_gt_u32_e32 9, v0
	s_cbranch_execz .LBB8_50
; %bb.1:
	s_clause 0x2
	s_load_b32 s2, s[0:1], 0x38
	s_load_b128 s[12:15], s[0:1], 0x10
	s_load_b128 s[4:7], s[0:1], 0x28
	s_mov_b32 s16, ttmp9
	s_wait_kmcnt 0x0
	s_bitcmp1_b32 s2, 8
	s_cselect_b32 s18, -1, 0
	s_bfe_u32 s2, s2, 0x10008
	s_ashr_i32 s17, ttmp9, 31
	s_cmp_eq_u32 s2, 0
                                        ; implicit-def: $sgpr2_sgpr3
	s_cbranch_scc1 .LBB8_3
; %bb.2:
	s_load_b32 s2, s[0:1], 0x20
	s_mul_u64 s[4:5], s[4:5], s[16:17]
	s_delay_alu instid0(SALU_CYCLE_1) | instskip(NEXT) | instid1(SALU_CYCLE_1)
	s_lshl_b64 s[4:5], s[4:5], 2
	s_add_nc_u64 s[4:5], s[14:15], s[4:5]
	s_wait_kmcnt 0x0
	s_ashr_i32 s3, s2, 31
	s_delay_alu instid0(SALU_CYCLE_1) | instskip(NEXT) | instid1(SALU_CYCLE_1)
	s_lshl_b64 s[2:3], s[2:3], 2
	s_add_nc_u64 s[2:3], s[4:5], s[2:3]
.LBB8_3:
	s_clause 0x1
	s_load_b128 s[8:11], s[0:1], 0x0
	s_load_b32 s14, s[0:1], 0x38
	s_mul_u64 s[0:1], s[12:13], s[16:17]
	v_lshlrev_b32_e32 v3, 3, v0
	s_lshl_b64 s[0:1], s[0:1], 3
	s_wait_kmcnt 0x0
	v_add3_u32 v1, s11, s11, v0
	s_ashr_i32 s5, s10, 31
	s_mov_b32 s4, s10
	s_add_nc_u64 s[0:1], s[8:9], s[0:1]
	s_lshl_b64 s[4:5], s[4:5], 3
	v_add_nc_u32_e32 v8, s11, v1
	v_ashrrev_i32_e32 v2, 31, v1
	s_add_nc_u64 s[0:1], s[0:1], s[4:5]
	s_ashr_i32 s9, s11, 31
	v_add_co_u32 v4, s4, s0, v3
	v_add_nc_u32_e32 v10, s11, v8
	s_mov_b32 s8, s11
	v_lshlrev_b64_e32 v[1:2], 3, v[1:2]
	v_add_co_ci_u32_e64 v5, null, s1, 0, s4
	v_ashrrev_i32_e32 v9, 31, v8
	s_lshl_b64 s[8:9], s[8:9], 3
	v_ashrrev_i32_e32 v11, 31, v10
	v_add_co_u32 v6, vcc_lo, v4, s8
	v_add_nc_u32_e32 v14, s11, v10
	v_add_co_ci_u32_e64 v7, null, s9, v5, vcc_lo
	v_lshlrev_b64_e32 v[12:13], 3, v[8:9]
	v_add_co_u32 v8, vcc_lo, s0, v1
	s_wait_alu 0xfffd
	v_add_co_ci_u32_e64 v9, null, s1, v2, vcc_lo
	v_lshlrev_b64_e32 v[1:2], 3, v[10:11]
	v_add_nc_u32_e32 v16, s11, v14
	v_add_co_u32 v10, vcc_lo, s0, v12
	s_wait_alu 0xfffd
	v_add_co_ci_u32_e64 v11, null, s1, v13, vcc_lo
	s_delay_alu instid0(VALU_DEP_4)
	v_add_co_u32 v12, vcc_lo, s0, v1
	v_add_nc_u32_e32 v1, s11, v16
	v_ashrrev_i32_e32 v15, 31, v14
	v_ashrrev_i32_e32 v17, 31, v16
	s_wait_alu 0xfffd
	v_add_co_ci_u32_e64 v13, null, s1, v2, vcc_lo
	v_add_nc_u32_e32 v18, s11, v1
	v_ashrrev_i32_e32 v2, 31, v1
	v_lshlrev_b64_e32 v[14:15], 3, v[14:15]
	v_lshlrev_b64_e32 v[16:17], 3, v[16:17]
	global_load_b64 v[22:23], v3, s[0:1]
	v_ashrrev_i32_e32 v19, 31, v18
	v_lshlrev_b64_e32 v[1:2], 3, v[1:2]
	s_clause 0x3
	global_load_b64 v[24:25], v[6:7], off
	global_load_b64 v[26:27], v[8:9], off
	;; [unrolled: 1-line block ×4, first 2 shown]
	v_add_co_u32 v14, vcc_lo, s0, v14
	v_lshlrev_b64_e32 v[20:21], 3, v[18:19]
	s_wait_alu 0xfffd
	v_add_co_ci_u32_e64 v15, null, s1, v15, vcc_lo
	v_add_co_u32 v16, vcc_lo, s0, v16
	s_wait_alu 0xfffd
	v_add_co_ci_u32_e64 v17, null, s1, v17, vcc_lo
	v_add_co_u32 v18, vcc_lo, s0, v1
	;; [unrolled: 3-line block ×3, first 2 shown]
	s_wait_alu 0xfffd
	v_add_co_ci_u32_e64 v21, null, s1, v21, vcc_lo
	s_clause 0x3
	global_load_b64 v[32:33], v[14:15], off
	global_load_b64 v[34:35], v[16:17], off
	;; [unrolled: 1-line block ×4, first 2 shown]
	s_bitcmp0_b32 s14, 0
	s_mov_b32 s1, -1
	s_wait_loadcnt 0x7
	scratch_store_b128 off, v[22:25], off
	s_wait_loadcnt 0x5
	scratch_store_b128 off, v[26:29], off offset:16
	s_wait_loadcnt 0x3
	scratch_store_b128 off, v[30:33], off offset:32
	s_wait_loadcnt 0x1
	scratch_store_b128 off, v[34:37], off offset:48
	s_wait_loadcnt 0x0
	scratch_store_b64 off, v[1:2], off offset:64
	s_cbranch_scc1 .LBB8_48
; %bb.4:
	v_cmp_eq_u32_e64 s0, 0, v0
	s_and_saveexec_b32 s1, s0
; %bb.5:
	v_mov_b32_e32 v1, 0
	ds_store_b32 v1, v1 offset:72
; %bb.6:
	s_wait_alu 0xfffe
	s_or_b32 exec_lo, exec_lo, s1
	s_wait_storecnt_dscnt 0x0
	s_barrier_signal -1
	s_barrier_wait -1
	global_inv scope:SCOPE_SE
	scratch_load_b64 v[1:2], v3, off
	s_wait_loadcnt 0x0
	v_cmp_eq_f32_e32 vcc_lo, 0, v1
	v_cmp_eq_f32_e64 s1, 0, v2
	s_and_b32 s1, vcc_lo, s1
	s_wait_alu 0xfffe
	s_and_saveexec_b32 s4, s1
	s_cbranch_execz .LBB8_10
; %bb.7:
	v_mov_b32_e32 v1, 0
	s_mov_b32 s5, 0
	ds_load_b32 v2, v1 offset:72
	s_wait_dscnt 0x0
	v_readfirstlane_b32 s1, v2
	v_add_nc_u32_e32 v2, 1, v0
	s_cmp_eq_u32 s1, 0
	s_delay_alu instid0(VALU_DEP_1)
	v_cmp_gt_i32_e32 vcc_lo, s1, v2
	s_cselect_b32 s8, -1, 0
	s_wait_alu 0xfffe
	s_or_b32 s8, s8, vcc_lo
	s_wait_alu 0xfffe
	s_and_b32 exec_lo, exec_lo, s8
	s_cbranch_execz .LBB8_10
; %bb.8:
	v_mov_b32_e32 v22, s1
.LBB8_9:                                ; =>This Inner Loop Header: Depth=1
	ds_cmpstore_rtn_b32 v22, v1, v2, v22 offset:72
	s_wait_dscnt 0x0
	v_cmp_ne_u32_e32 vcc_lo, 0, v22
	v_cmp_le_i32_e64 s1, v22, v2
	s_and_b32 s1, vcc_lo, s1
	s_wait_alu 0xfffe
	s_and_b32 s1, exec_lo, s1
	s_wait_alu 0xfffe
	s_or_b32 s5, s1, s5
	s_wait_alu 0xfffe
	s_and_not1_b32 exec_lo, exec_lo, s5
	s_cbranch_execnz .LBB8_9
.LBB8_10:
	s_wait_alu 0xfffe
	s_or_b32 exec_lo, exec_lo, s4
	v_mov_b32_e32 v1, 0
	s_barrier_signal -1
	s_barrier_wait -1
	global_inv scope:SCOPE_SE
	ds_load_b32 v2, v1 offset:72
	s_and_saveexec_b32 s1, s0
	s_cbranch_execz .LBB8_12
; %bb.11:
	s_lshl_b64 s[4:5], s[16:17], 2
	s_wait_alu 0xfffe
	s_add_nc_u64 s[4:5], s[6:7], s[4:5]
	s_wait_dscnt 0x0
	global_store_b32 v1, v2, s[4:5]
.LBB8_12:
	s_wait_alu 0xfffe
	s_or_b32 exec_lo, exec_lo, s1
	s_wait_dscnt 0x0
	v_cmp_ne_u32_e32 vcc_lo, 0, v2
	s_mov_b32 s1, 0
	s_cbranch_vccnz .LBB8_48
; %bb.13:
	v_mov_b32_e32 v26, v3
                                        ; implicit-def: $vgpr22
                                        ; implicit-def: $vgpr24
	scratch_load_b64 v[1:2], v26, off
	s_wait_loadcnt 0x0
	v_cmp_ngt_f32_e64 s1, |v1|, |v2|
	s_wait_alu 0xfffe
	s_and_saveexec_b32 s4, s1
	s_wait_alu 0xfffe
	s_xor_b32 s1, exec_lo, s4
	s_cbranch_execz .LBB8_15
; %bb.14:
	v_div_scale_f32 v22, null, v2, v2, v1
	v_div_scale_f32 v25, vcc_lo, v1, v2, v1
	s_delay_alu instid0(VALU_DEP_2) | instskip(NEXT) | instid1(TRANS32_DEP_1)
	v_rcp_f32_e32 v23, v22
	v_fma_f32 v24, -v22, v23, 1.0
	s_delay_alu instid0(VALU_DEP_1) | instskip(NEXT) | instid1(VALU_DEP_1)
	v_fmac_f32_e32 v23, v24, v23
	v_mul_f32_e32 v24, v25, v23
	s_delay_alu instid0(VALU_DEP_1) | instskip(NEXT) | instid1(VALU_DEP_1)
	v_fma_f32 v27, -v22, v24, v25
	v_fmac_f32_e32 v24, v27, v23
	s_delay_alu instid0(VALU_DEP_1) | instskip(SKIP_1) | instid1(VALU_DEP_1)
	v_fma_f32 v22, -v22, v24, v25
	s_wait_alu 0xfffd
	v_div_fmas_f32 v22, v22, v23, v24
	s_delay_alu instid0(VALU_DEP_1) | instskip(NEXT) | instid1(VALU_DEP_1)
	v_div_fixup_f32 v22, v22, v2, v1
	v_fmac_f32_e32 v2, v1, v22
	s_delay_alu instid0(VALU_DEP_1) | instskip(NEXT) | instid1(VALU_DEP_1)
	v_div_scale_f32 v1, null, v2, v2, 1.0
	v_rcp_f32_e32 v23, v1
	s_delay_alu instid0(TRANS32_DEP_1) | instskip(NEXT) | instid1(VALU_DEP_1)
	v_fma_f32 v24, -v1, v23, 1.0
	v_fmac_f32_e32 v23, v24, v23
	v_div_scale_f32 v24, vcc_lo, 1.0, v2, 1.0
	s_delay_alu instid0(VALU_DEP_1) | instskip(NEXT) | instid1(VALU_DEP_1)
	v_mul_f32_e32 v25, v24, v23
	v_fma_f32 v27, -v1, v25, v24
	s_delay_alu instid0(VALU_DEP_1) | instskip(NEXT) | instid1(VALU_DEP_1)
	v_fmac_f32_e32 v25, v27, v23
	v_fma_f32 v1, -v1, v25, v24
	s_wait_alu 0xfffd
	s_delay_alu instid0(VALU_DEP_1) | instskip(NEXT) | instid1(VALU_DEP_1)
	v_div_fmas_f32 v1, v1, v23, v25
	v_div_fixup_f32 v1, v1, v2, 1.0
	s_delay_alu instid0(VALU_DEP_1) | instskip(SKIP_1) | instid1(VALU_DEP_2)
	v_mul_f32_e32 v22, v22, v1
	v_xor_b32_e32 v23, 0x80000000, v1
                                        ; implicit-def: $vgpr1_vgpr2
	v_xor_b32_e32 v24, 0x80000000, v22
.LBB8_15:
	s_wait_alu 0xfffe
	s_and_not1_saveexec_b32 s1, s1
	s_cbranch_execz .LBB8_17
; %bb.16:
	v_div_scale_f32 v22, null, v1, v1, v2
	v_div_scale_f32 v25, vcc_lo, v2, v1, v2
	s_delay_alu instid0(VALU_DEP_2) | instskip(NEXT) | instid1(TRANS32_DEP_1)
	v_rcp_f32_e32 v23, v22
	v_fma_f32 v24, -v22, v23, 1.0
	s_delay_alu instid0(VALU_DEP_1) | instskip(NEXT) | instid1(VALU_DEP_1)
	v_fmac_f32_e32 v23, v24, v23
	v_mul_f32_e32 v24, v25, v23
	s_delay_alu instid0(VALU_DEP_1) | instskip(NEXT) | instid1(VALU_DEP_1)
	v_fma_f32 v27, -v22, v24, v25
	v_fmac_f32_e32 v24, v27, v23
	s_delay_alu instid0(VALU_DEP_1) | instskip(SKIP_1) | instid1(VALU_DEP_1)
	v_fma_f32 v22, -v22, v24, v25
	s_wait_alu 0xfffd
	v_div_fmas_f32 v22, v22, v23, v24
	s_delay_alu instid0(VALU_DEP_1) | instskip(NEXT) | instid1(VALU_DEP_1)
	v_div_fixup_f32 v23, v22, v1, v2
	v_fmac_f32_e32 v1, v2, v23
	s_delay_alu instid0(VALU_DEP_1) | instskip(NEXT) | instid1(VALU_DEP_1)
	v_div_scale_f32 v2, null, v1, v1, 1.0
	v_rcp_f32_e32 v22, v2
	s_delay_alu instid0(TRANS32_DEP_1) | instskip(NEXT) | instid1(VALU_DEP_1)
	v_fma_f32 v24, -v2, v22, 1.0
	v_fmac_f32_e32 v22, v24, v22
	v_div_scale_f32 v25, vcc_lo, 1.0, v1, 1.0
	s_delay_alu instid0(VALU_DEP_1) | instskip(NEXT) | instid1(VALU_DEP_1)
	v_mul_f32_e32 v24, v25, v22
	v_fma_f32 v27, -v2, v24, v25
	s_delay_alu instid0(VALU_DEP_1) | instskip(NEXT) | instid1(VALU_DEP_1)
	v_fmac_f32_e32 v24, v27, v22
	v_fma_f32 v2, -v2, v24, v25
	s_wait_alu 0xfffd
	s_delay_alu instid0(VALU_DEP_1) | instskip(NEXT) | instid1(VALU_DEP_1)
	v_div_fmas_f32 v2, v2, v22, v24
	v_div_fixup_f32 v22, v2, v1, 1.0
	s_delay_alu instid0(VALU_DEP_1)
	v_xor_b32_e32 v24, 0x80000000, v22
	v_mul_f32_e64 v23, v23, -v22
.LBB8_17:
	s_wait_alu 0xfffe
	s_or_b32 exec_lo, exec_lo, s1
	scratch_store_b64 v26, v[22:23], off
	scratch_load_b64 v[27:28], off, off offset:8
	v_xor_b32_e32 v25, 0x80000000, v23
	v_add_nc_u32_e32 v1, 0x50, v3
	s_wait_loadcnt 0x0
	ds_store_2addr_b64 v3, v[24:25], v[27:28] offset1:10
	s_wait_storecnt_dscnt 0x0
	s_barrier_signal -1
	s_barrier_wait -1
	global_inv scope:SCOPE_SE
	s_and_saveexec_b32 s1, s0
	s_cbranch_execz .LBB8_19
; %bb.18:
	scratch_load_b64 v[22:23], v26, off
	ds_load_b64 v[24:25], v1
	v_mov_b32_e32 v2, 0
	ds_load_b64 v[27:28], v2 offset:8
	s_wait_loadcnt_dscnt 0x1
	v_mul_f32_e32 v2, v24, v23
	v_mul_f32_e32 v23, v25, v23
	s_delay_alu instid0(VALU_DEP_2) | instskip(NEXT) | instid1(VALU_DEP_2)
	v_fmac_f32_e32 v2, v25, v22
	v_fma_f32 v22, v24, v22, -v23
	s_delay_alu instid0(VALU_DEP_2) | instskip(NEXT) | instid1(VALU_DEP_2)
	v_add_f32_e32 v2, 0, v2
	v_add_f32_e32 v22, 0, v22
	s_wait_dscnt 0x0
	s_delay_alu instid0(VALU_DEP_2) | instskip(NEXT) | instid1(VALU_DEP_2)
	v_mul_f32_e32 v24, v2, v28
	v_mul_f32_e32 v23, v22, v28
	s_delay_alu instid0(VALU_DEP_1) | instskip(NEXT) | instid1(VALU_DEP_3)
	v_fmac_f32_e32 v23, v2, v27
	v_fma_f32 v22, v22, v27, -v24
	scratch_store_b64 off, v[22:23], off offset:8
.LBB8_19:
	s_wait_alu 0xfffe
	s_or_b32 exec_lo, exec_lo, s1
	s_wait_loadcnt 0x0
	s_wait_storecnt 0x0
	s_barrier_signal -1
	s_barrier_wait -1
	global_inv scope:SCOPE_SE
	scratch_load_b64 v[22:23], off, off offset:16
	s_mov_b32 s1, exec_lo
	s_wait_loadcnt 0x0
	ds_store_b64 v1, v[22:23]
	s_wait_dscnt 0x0
	s_barrier_signal -1
	s_barrier_wait -1
	global_inv scope:SCOPE_SE
	v_cmpx_gt_u32_e32 2, v0
	s_cbranch_execz .LBB8_23
; %bb.20:
	scratch_load_b64 v[22:23], v26, off
	ds_load_b64 v[24:25], v1
	s_wait_loadcnt_dscnt 0x0
	v_mul_f32_e32 v2, v25, v23
	s_delay_alu instid0(VALU_DEP_1) | instskip(SKIP_1) | instid1(VALU_DEP_1)
	v_fma_f32 v2, v24, v22, -v2
	v_mul_f32_e32 v23, v24, v23
	v_fmac_f32_e32 v23, v25, v22
	s_delay_alu instid0(VALU_DEP_3) | instskip(NEXT) | instid1(VALU_DEP_2)
	v_add_f32_e32 v22, 0, v2
	v_add_f32_e32 v2, 0, v23
	s_and_saveexec_b32 s4, s0
	s_cbranch_execz .LBB8_22
; %bb.21:
	scratch_load_b64 v[23:24], off, off offset:8
	v_mov_b32_e32 v25, 0
	ds_load_b64 v[27:28], v25 offset:88
	s_wait_loadcnt_dscnt 0x0
	v_mul_f32_e32 v25, v27, v24
	v_mul_f32_e32 v24, v28, v24
	s_delay_alu instid0(VALU_DEP_2) | instskip(NEXT) | instid1(VALU_DEP_2)
	v_fmac_f32_e32 v25, v28, v23
	v_fma_f32 v23, v27, v23, -v24
	s_delay_alu instid0(VALU_DEP_2) | instskip(NEXT) | instid1(VALU_DEP_2)
	v_add_f32_e32 v2, v2, v25
	v_add_f32_e32 v22, v22, v23
.LBB8_22:
	s_wait_alu 0xfffe
	s_or_b32 exec_lo, exec_lo, s4
	v_mov_b32_e32 v23, 0
	ds_load_b64 v[23:24], v23 offset:16
	s_wait_dscnt 0x0
	v_mul_f32_e32 v27, v2, v24
	v_mul_f32_e32 v25, v22, v24
	s_delay_alu instid0(VALU_DEP_2) | instskip(NEXT) | instid1(VALU_DEP_2)
	v_fma_f32 v24, v22, v23, -v27
	v_fmac_f32_e32 v25, v2, v23
	scratch_store_b64 off, v[24:25], off offset:16
.LBB8_23:
	s_wait_alu 0xfffe
	s_or_b32 exec_lo, exec_lo, s1
	s_wait_loadcnt 0x0
	s_wait_storecnt 0x0
	s_barrier_signal -1
	s_barrier_wait -1
	global_inv scope:SCOPE_SE
	scratch_load_b64 v[22:23], off, off offset:24
	v_add_nc_u32_e32 v2, -1, v0
	s_mov_b32 s0, exec_lo
	s_wait_loadcnt 0x0
	ds_store_b64 v1, v[22:23]
	s_wait_dscnt 0x0
	s_barrier_signal -1
	s_barrier_wait -1
	global_inv scope:SCOPE_SE
	v_cmpx_gt_u32_e32 3, v0
	s_cbranch_execz .LBB8_27
; %bb.24:
	v_dual_mov_b32 v22, 0 :: v_dual_add_nc_u32 v23, -1, v0
	v_dual_mov_b32 v25, v3 :: v_dual_add_nc_u32 v24, 0x50, v3
	v_mov_b32_e32 v27, 0
	s_mov_b32 s1, 0
.LBB8_25:                               ; =>This Inner Loop Header: Depth=1
	scratch_load_b64 v[28:29], v25, off
	ds_load_b64 v[30:31], v24
	v_add_nc_u32_e32 v25, 8, v25
	v_add_nc_u32_e32 v23, 1, v23
	v_add_nc_u32_e32 v24, 8, v24
	s_delay_alu instid0(VALU_DEP_2)
	v_cmp_lt_u32_e32 vcc_lo, 1, v23
	s_wait_alu 0xfffe
	s_or_b32 s1, vcc_lo, s1
	s_wait_loadcnt_dscnt 0x0
	v_mul_f32_e32 v32, v31, v29
	v_mul_f32_e32 v29, v30, v29
	s_delay_alu instid0(VALU_DEP_2) | instskip(NEXT) | instid1(VALU_DEP_2)
	v_fma_f32 v30, v30, v28, -v32
	v_fmac_f32_e32 v29, v31, v28
	s_delay_alu instid0(VALU_DEP_1)
	v_dual_add_f32 v27, v27, v30 :: v_dual_add_f32 v22, v22, v29
	s_wait_alu 0xfffe
	s_and_not1_b32 exec_lo, exec_lo, s1
	s_cbranch_execnz .LBB8_25
; %bb.26:
	s_or_b32 exec_lo, exec_lo, s1
	v_mov_b32_e32 v23, 0
	ds_load_b64 v[23:24], v23 offset:24
	s_wait_dscnt 0x0
	v_mul_f32_e32 v28, v22, v24
	v_mul_f32_e32 v25, v27, v24
	s_delay_alu instid0(VALU_DEP_2) | instskip(NEXT) | instid1(VALU_DEP_2)
	v_fma_f32 v24, v27, v23, -v28
	v_fmac_f32_e32 v25, v22, v23
	scratch_store_b64 off, v[24:25], off offset:24
.LBB8_27:
	s_wait_alu 0xfffe
	s_or_b32 exec_lo, exec_lo, s0
	s_wait_loadcnt 0x0
	s_wait_storecnt 0x0
	s_barrier_signal -1
	s_barrier_wait -1
	global_inv scope:SCOPE_SE
	scratch_load_b64 v[22:23], off, off offset:32
	s_mov_b32 s0, exec_lo
	s_wait_loadcnt 0x0
	ds_store_b64 v1, v[22:23]
	s_wait_dscnt 0x0
	s_barrier_signal -1
	s_barrier_wait -1
	global_inv scope:SCOPE_SE
	v_cmpx_gt_u32_e32 4, v0
	s_cbranch_execz .LBB8_31
; %bb.28:
	v_dual_mov_b32 v22, 0 :: v_dual_add_nc_u32 v23, -1, v0
	v_dual_mov_b32 v25, v3 :: v_dual_add_nc_u32 v24, 0x50, v3
	v_mov_b32_e32 v27, 0
	s_mov_b32 s1, 0
.LBB8_29:                               ; =>This Inner Loop Header: Depth=1
	scratch_load_b64 v[28:29], v25, off
	ds_load_b64 v[30:31], v24
	v_add_nc_u32_e32 v25, 8, v25
	v_add_nc_u32_e32 v23, 1, v23
	v_add_nc_u32_e32 v24, 8, v24
	s_delay_alu instid0(VALU_DEP_2)
	v_cmp_lt_u32_e32 vcc_lo, 2, v23
	s_wait_alu 0xfffe
	s_or_b32 s1, vcc_lo, s1
	s_wait_loadcnt_dscnt 0x0
	v_mul_f32_e32 v32, v31, v29
	v_mul_f32_e32 v29, v30, v29
	s_delay_alu instid0(VALU_DEP_2) | instskip(NEXT) | instid1(VALU_DEP_2)
	v_fma_f32 v30, v30, v28, -v32
	v_fmac_f32_e32 v29, v31, v28
	s_delay_alu instid0(VALU_DEP_1)
	v_dual_add_f32 v27, v27, v30 :: v_dual_add_f32 v22, v22, v29
	s_wait_alu 0xfffe
	s_and_not1_b32 exec_lo, exec_lo, s1
	s_cbranch_execnz .LBB8_29
; %bb.30:
	s_or_b32 exec_lo, exec_lo, s1
	v_mov_b32_e32 v23, 0
	ds_load_b64 v[23:24], v23 offset:32
	s_wait_dscnt 0x0
	v_mul_f32_e32 v28, v22, v24
	v_mul_f32_e32 v25, v27, v24
	s_delay_alu instid0(VALU_DEP_2) | instskip(NEXT) | instid1(VALU_DEP_2)
	v_fma_f32 v24, v27, v23, -v28
	v_fmac_f32_e32 v25, v22, v23
	scratch_store_b64 off, v[24:25], off offset:32
.LBB8_31:
	s_wait_alu 0xfffe
	s_or_b32 exec_lo, exec_lo, s0
	s_wait_loadcnt 0x0
	s_wait_storecnt 0x0
	s_barrier_signal -1
	s_barrier_wait -1
	global_inv scope:SCOPE_SE
	scratch_load_b64 v[22:23], off, off offset:40
	;; [unrolled: 55-line block ×4, first 2 shown]
	s_mov_b32 s0, exec_lo
	s_wait_loadcnt 0x0
	ds_store_b64 v1, v[22:23]
	s_wait_dscnt 0x0
	s_barrier_signal -1
	s_barrier_wait -1
	global_inv scope:SCOPE_SE
	v_cmpx_gt_u32_e32 7, v0
	s_cbranch_execz .LBB8_43
; %bb.40:
	v_add_nc_u32_e32 v22, -1, v0
	v_dual_mov_b32 v24, v3 :: v_dual_add_nc_u32 v23, 0x50, v3
	v_mov_b32_e32 v3, 0
	v_mov_b32_e32 v25, 0
	s_mov_b32 s1, 0
.LBB8_41:                               ; =>This Inner Loop Header: Depth=1
	scratch_load_b64 v[27:28], v24, off
	ds_load_b64 v[29:30], v23
	v_add_nc_u32_e32 v24, 8, v24
	v_add_nc_u32_e32 v22, 1, v22
	;; [unrolled: 1-line block ×3, first 2 shown]
	s_delay_alu instid0(VALU_DEP_2)
	v_cmp_lt_u32_e32 vcc_lo, 5, v22
	s_wait_alu 0xfffe
	s_or_b32 s1, vcc_lo, s1
	s_wait_loadcnt_dscnt 0x0
	v_mul_f32_e32 v31, v30, v28
	v_mul_f32_e32 v28, v29, v28
	s_delay_alu instid0(VALU_DEP_2) | instskip(NEXT) | instid1(VALU_DEP_1)
	v_fma_f32 v29, v29, v27, -v31
	v_dual_fmac_f32 v28, v30, v27 :: v_dual_add_f32 v25, v25, v29
	s_delay_alu instid0(VALU_DEP_1)
	v_add_f32_e32 v3, v3, v28
	s_wait_alu 0xfffe
	s_and_not1_b32 exec_lo, exec_lo, s1
	s_cbranch_execnz .LBB8_41
; %bb.42:
	s_or_b32 exec_lo, exec_lo, s1
	v_mov_b32_e32 v22, 0
	ds_load_b64 v[22:23], v22 offset:56
	s_wait_dscnt 0x0
	v_mul_f32_e32 v27, v3, v23
	v_mul_f32_e32 v24, v25, v23
	s_delay_alu instid0(VALU_DEP_2) | instskip(NEXT) | instid1(VALU_DEP_2)
	v_fma_f32 v23, v25, v22, -v27
	v_fmac_f32_e32 v24, v3, v22
	scratch_store_b64 off, v[23:24], off offset:56
.LBB8_43:
	s_wait_alu 0xfffe
	s_or_b32 exec_lo, exec_lo, s0
	s_wait_loadcnt 0x0
	s_wait_storecnt 0x0
	s_barrier_signal -1
	s_barrier_wait -1
	global_inv scope:SCOPE_SE
	scratch_load_b64 v[22:23], off, off offset:64
	s_mov_b32 s0, exec_lo
	s_wait_loadcnt 0x0
	ds_store_b64 v1, v[22:23]
	s_wait_dscnt 0x0
	s_barrier_signal -1
	s_barrier_wait -1
	global_inv scope:SCOPE_SE
	v_cmpx_ne_u32_e32 8, v0
	s_cbranch_execz .LBB8_47
; %bb.44:
	v_dual_mov_b32 v3, 0 :: v_dual_mov_b32 v22, 0
	s_mov_b32 s1, 0
.LBB8_45:                               ; =>This Inner Loop Header: Depth=1
	scratch_load_b64 v[23:24], v26, off
	ds_load_b64 v[27:28], v1
	v_add_nc_u32_e32 v2, 1, v2
	v_add_nc_u32_e32 v1, 8, v1
	s_delay_alu instid0(VALU_DEP_2)
	v_cmp_lt_u32_e32 vcc_lo, 6, v2
	s_wait_alu 0xfffe
	s_or_b32 s1, vcc_lo, s1
	s_wait_loadcnt_dscnt 0x0
	v_mul_f32_e32 v25, v28, v24
	v_mul_f32_e32 v24, v27, v24
	s_delay_alu instid0(VALU_DEP_2) | instskip(NEXT) | instid1(VALU_DEP_2)
	v_fma_f32 v25, v27, v23, -v25
	v_fmac_f32_e32 v24, v28, v23
	v_add_nc_u32_e32 v26, 8, v26
	s_delay_alu instid0(VALU_DEP_2)
	v_dual_add_f32 v22, v22, v25 :: v_dual_add_f32 v3, v3, v24
	s_wait_alu 0xfffe
	s_and_not1_b32 exec_lo, exec_lo, s1
	s_cbranch_execnz .LBB8_45
; %bb.46:
	s_or_b32 exec_lo, exec_lo, s1
	v_mov_b32_e32 v1, 0
	ds_load_b64 v[1:2], v1 offset:64
	s_wait_dscnt 0x0
	v_mul_f32_e32 v24, v3, v2
	v_mul_f32_e32 v23, v22, v2
	s_delay_alu instid0(VALU_DEP_2) | instskip(NEXT) | instid1(VALU_DEP_2)
	v_fma_f32 v22, v22, v1, -v24
	v_fmac_f32_e32 v23, v3, v1
	scratch_store_b64 off, v[22:23], off offset:64
.LBB8_47:
	s_wait_alu 0xfffe
	s_or_b32 exec_lo, exec_lo, s0
	s_mov_b32 s1, -1
	s_wait_loadcnt 0x0
	s_wait_storecnt 0x0
	s_barrier_signal -1
	s_barrier_wait -1
	global_inv scope:SCOPE_SE
.LBB8_48:
	s_wait_alu 0xfffe
	s_and_b32 vcc_lo, exec_lo, s1
	s_wait_alu 0xfffe
	s_cbranch_vccz .LBB8_50
; %bb.49:
	v_mov_b32_e32 v1, 0
	s_lshl_b64 s[0:1], s[16:17], 2
	s_wait_alu 0xfffe
	s_add_nc_u64 s[0:1], s[6:7], s[0:1]
	global_load_b32 v1, v1, s[0:1]
	s_wait_loadcnt 0x0
	v_cmp_ne_u32_e32 vcc_lo, 0, v1
	s_cbranch_vccz .LBB8_51
.LBB8_50:
	s_endpgm
.LBB8_51:
	v_lshl_add_u32 v3, v0, 3, 0x50
	s_mov_b32 s0, exec_lo
	v_cmpx_eq_u32_e32 8, v0
	s_cbranch_execz .LBB8_53
; %bb.52:
	scratch_load_b64 v[1:2], off, off offset:56
	v_mov_b32_e32 v22, 0
	s_delay_alu instid0(VALU_DEP_1)
	v_mov_b32_e32 v23, v22
	scratch_store_b64 off, v[22:23], off offset:56
	s_wait_loadcnt 0x0
	ds_store_b64 v3, v[1:2]
.LBB8_53:
	s_wait_alu 0xfffe
	s_or_b32 exec_lo, exec_lo, s0
	s_wait_storecnt_dscnt 0x0
	s_barrier_signal -1
	s_barrier_wait -1
	global_inv scope:SCOPE_SE
	s_clause 0x1
	scratch_load_b64 v[22:23], off, off offset:64
	scratch_load_b64 v[24:25], off, off offset:56
	v_mov_b32_e32 v1, 0
	s_mov_b32 s0, exec_lo
	ds_load_b64 v[26:27], v1 offset:144
	s_wait_loadcnt_dscnt 0x100
	v_mul_f32_e32 v2, v27, v23
	s_delay_alu instid0(VALU_DEP_1) | instskip(NEXT) | instid1(VALU_DEP_1)
	v_fma_f32 v2, v26, v22, -v2
	v_dual_mul_f32 v23, v26, v23 :: v_dual_add_f32 v2, 0, v2
	s_delay_alu instid0(VALU_DEP_1) | instskip(SKIP_1) | instid1(VALU_DEP_1)
	v_fmac_f32_e32 v23, v27, v22
	s_wait_loadcnt 0x0
	v_dual_sub_f32 v22, v24, v2 :: v_dual_add_f32 v23, 0, v23
	s_delay_alu instid0(VALU_DEP_1)
	v_sub_f32_e32 v23, v25, v23
	scratch_store_b64 off, v[22:23], off offset:56
	v_cmpx_lt_u32_e32 6, v0
	s_cbranch_execz .LBB8_55
; %bb.54:
	scratch_load_b64 v[22:23], off, off offset:48
	v_mov_b32_e32 v2, v1
	scratch_store_b64 off, v[1:2], off offset:48
	s_wait_loadcnt 0x0
	ds_store_b64 v3, v[22:23]
.LBB8_55:
	s_wait_alu 0xfffe
	s_or_b32 exec_lo, exec_lo, s0
	s_wait_storecnt_dscnt 0x0
	s_barrier_signal -1
	s_barrier_wait -1
	global_inv scope:SCOPE_SE
	s_clause 0x1
	scratch_load_b128 v[22:25], off, off offset:56
	scratch_load_b64 v[30:31], off, off offset:48
	ds_load_2addr_b64 v[26:29], v1 offset0:17 offset1:18
	s_mov_b32 s0, exec_lo
	s_wait_loadcnt_dscnt 0x100
	v_mul_f32_e32 v2, v26, v23
	s_delay_alu instid0(VALU_DEP_1) | instskip(SKIP_2) | instid1(VALU_DEP_1)
	v_fmac_f32_e32 v2, v27, v22
	v_mul_f32_e32 v1, v27, v23
	v_mul_f32_e32 v23, v28, v25
	v_dual_fmac_f32 v23, v29, v24 :: v_dual_add_f32 v2, 0, v2
	v_mul_f32_e32 v25, v29, v25
	s_delay_alu instid0(VALU_DEP_4) | instskip(NEXT) | instid1(VALU_DEP_3)
	v_fma_f32 v1, v26, v22, -v1
	v_add_f32_e32 v2, v2, v23
	s_delay_alu instid0(VALU_DEP_3) | instskip(SKIP_1) | instid1(VALU_DEP_2)
	v_fma_f32 v22, v28, v24, -v25
	s_wait_loadcnt 0x0
	v_dual_add_f32 v1, 0, v1 :: v_dual_sub_f32 v2, v31, v2
	s_delay_alu instid0(VALU_DEP_1) | instskip(NEXT) | instid1(VALU_DEP_1)
	v_add_f32_e32 v1, v1, v22
	v_sub_f32_e32 v1, v30, v1
	scratch_store_b64 off, v[1:2], off offset:48
	v_cmpx_lt_u32_e32 5, v0
	s_cbranch_execz .LBB8_57
; %bb.56:
	scratch_load_b64 v[1:2], off, off offset:40
	v_mov_b32_e32 v22, 0
	s_delay_alu instid0(VALU_DEP_1)
	v_mov_b32_e32 v23, v22
	scratch_store_b64 off, v[22:23], off offset:40
	s_wait_loadcnt 0x0
	ds_store_b64 v3, v[1:2]
.LBB8_57:
	s_wait_alu 0xfffe
	s_or_b32 exec_lo, exec_lo, s0
	s_wait_storecnt_dscnt 0x0
	s_barrier_signal -1
	s_barrier_wait -1
	global_inv scope:SCOPE_SE
	s_clause 0x2
	scratch_load_b128 v[22:25], off, off offset:48
	scratch_load_b64 v[30:31], off, off offset:64
	scratch_load_b64 v[32:33], off, off offset:40
	v_mov_b32_e32 v1, 0
	ds_load_b128 v[26:29], v1 offset:128
	ds_load_b64 v[34:35], v1 offset:144
	s_mov_b32 s0, exec_lo
	s_wait_loadcnt_dscnt 0x201
	v_mul_f32_e32 v2, v27, v23
	v_dual_mul_f32 v23, v26, v23 :: v_dual_mul_f32 v36, v28, v25
	v_mul_f32_e32 v25, v29, v25
	s_wait_loadcnt_dscnt 0x100
	v_mul_f32_e32 v37, v34, v31
	v_fma_f32 v2, v26, v22, -v2
	s_delay_alu instid0(VALU_DEP_2) | instskip(NEXT) | instid1(VALU_DEP_2)
	v_dual_fmac_f32 v36, v29, v24 :: v_dual_fmac_f32 v37, v35, v30
	v_add_f32_e32 v2, 0, v2
	v_fmac_f32_e32 v23, v27, v22
	v_mul_f32_e32 v22, v35, v31
	v_fma_f32 v24, v28, v24, -v25
	s_delay_alu instid0(VALU_DEP_2) | instskip(NEXT) | instid1(VALU_DEP_2)
	v_fma_f32 v22, v34, v30, -v22
	v_dual_add_f32 v2, v2, v24 :: v_dual_add_f32 v23, 0, v23
	s_delay_alu instid0(VALU_DEP_1) | instskip(SKIP_1) | instid1(VALU_DEP_1)
	v_dual_add_f32 v2, v2, v22 :: v_dual_add_f32 v23, v23, v36
	s_wait_loadcnt 0x0
	v_dual_sub_f32 v22, v32, v2 :: v_dual_add_f32 v23, v23, v37
	s_delay_alu instid0(VALU_DEP_1)
	v_sub_f32_e32 v23, v33, v23
	scratch_store_b64 off, v[22:23], off offset:40
	v_cmpx_lt_u32_e32 4, v0
	s_cbranch_execz .LBB8_59
; %bb.58:
	scratch_load_b64 v[22:23], off, off offset:32
	v_mov_b32_e32 v2, v1
	scratch_store_b64 off, v[1:2], off offset:32
	s_wait_loadcnt 0x0
	ds_store_b64 v3, v[22:23]
.LBB8_59:
	s_wait_alu 0xfffe
	s_or_b32 exec_lo, exec_lo, s0
	s_wait_storecnt_dscnt 0x0
	s_barrier_signal -1
	s_barrier_wait -1
	global_inv scope:SCOPE_SE
	s_clause 0x2
	scratch_load_b128 v[22:25], off, off offset:40
	scratch_load_b128 v[26:29], off, off offset:56
	scratch_load_b64 v[38:39], off, off offset:32
	ds_load_2addr_b64 v[30:33], v1 offset0:15 offset1:16
	ds_load_2addr_b64 v[34:37], v1 offset0:17 offset1:18
	s_mov_b32 s0, exec_lo
	s_wait_loadcnt_dscnt 0x201
	v_mul_f32_e32 v2, v31, v23
	s_wait_loadcnt_dscnt 0x100
	v_dual_mul_f32 v40, v34, v27 :: v_dual_mul_f32 v41, v36, v29
	s_delay_alu instid0(VALU_DEP_2) | instskip(SKIP_2) | instid1(VALU_DEP_4)
	v_fma_f32 v2, v30, v22, -v2
	v_mul_f32_e32 v1, v30, v23
	v_mul_f32_e32 v23, v32, v25
	v_dual_mul_f32 v25, v33, v25 :: v_dual_fmac_f32 v40, v35, v26
	s_delay_alu instid0(VALU_DEP_4) | instskip(NEXT) | instid1(VALU_DEP_4)
	v_add_f32_e32 v2, 0, v2
	v_fmac_f32_e32 v1, v31, v22
	s_delay_alu instid0(VALU_DEP_4) | instskip(NEXT) | instid1(VALU_DEP_4)
	v_dual_mul_f32 v22, v35, v27 :: v_dual_fmac_f32 v23, v33, v24
	v_fma_f32 v24, v32, v24, -v25
	v_fmac_f32_e32 v41, v37, v28
	s_delay_alu instid0(VALU_DEP_3) | instskip(NEXT) | instid1(VALU_DEP_3)
	v_fma_f32 v22, v34, v26, -v22
	v_dual_add_f32 v2, v2, v24 :: v_dual_add_f32 v1, 0, v1
	s_delay_alu instid0(VALU_DEP_1) | instskip(NEXT) | instid1(VALU_DEP_2)
	v_dual_add_f32 v2, v2, v22 :: v_dual_mul_f32 v25, v37, v29
	v_add_f32_e32 v1, v1, v23
	s_delay_alu instid0(VALU_DEP_2) | instskip(NEXT) | instid1(VALU_DEP_1)
	v_fma_f32 v23, v36, v28, -v25
	v_dual_add_f32 v1, v1, v40 :: v_dual_add_f32 v2, v2, v23
	s_wait_loadcnt 0x0
	s_delay_alu instid0(VALU_DEP_1) | instskip(NEXT) | instid1(VALU_DEP_1)
	v_dual_add_f32 v22, v1, v41 :: v_dual_sub_f32 v1, v38, v2
	v_sub_f32_e32 v2, v39, v22
	scratch_store_b64 off, v[1:2], off offset:32
	v_cmpx_lt_u32_e32 3, v0
	s_cbranch_execz .LBB8_61
; %bb.60:
	scratch_load_b64 v[1:2], off, off offset:24
	v_mov_b32_e32 v22, 0
	s_delay_alu instid0(VALU_DEP_1)
	v_mov_b32_e32 v23, v22
	scratch_store_b64 off, v[22:23], off offset:24
	s_wait_loadcnt 0x0
	ds_store_b64 v3, v[1:2]
.LBB8_61:
	s_wait_alu 0xfffe
	s_or_b32 exec_lo, exec_lo, s0
	s_wait_storecnt_dscnt 0x0
	s_barrier_signal -1
	s_barrier_wait -1
	global_inv scope:SCOPE_SE
	s_clause 0x3
	scratch_load_b128 v[22:25], off, off offset:32
	scratch_load_b128 v[26:29], off, off offset:48
	scratch_load_b64 v[38:39], off, off offset:64
	scratch_load_b64 v[40:41], off, off offset:24
	v_mov_b32_e32 v1, 0
	ds_load_b128 v[30:33], v1 offset:112
	ds_load_b128 v[34:37], v1 offset:128
	ds_load_b64 v[42:43], v1 offset:144
	s_mov_b32 s0, exec_lo
	s_wait_loadcnt_dscnt 0x302
	v_mul_f32_e32 v2, v30, v23
	v_dual_mul_f32 v44, v32, v25 :: v_dual_mul_f32 v23, v31, v23
	s_wait_loadcnt_dscnt 0x100
	v_mul_f32_e32 v47, v42, v39
	v_dual_mul_f32 v45, v34, v27 :: v_dual_mul_f32 v46, v36, v29
	v_dual_fmac_f32 v2, v31, v22 :: v_dual_mul_f32 v25, v33, v25
	v_fma_f32 v23, v30, v22, -v23
	v_fmac_f32_e32 v44, v33, v24
	v_mul_f32_e32 v22, v35, v27
	s_delay_alu instid0(VALU_DEP_4) | instskip(SKIP_3) | instid1(VALU_DEP_4)
	v_add_f32_e32 v2, 0, v2
	v_fma_f32 v24, v32, v24, -v25
	v_add_f32_e32 v23, 0, v23
	v_mul_f32_e32 v25, v37, v29
	v_dual_fmac_f32 v45, v35, v26 :: v_dual_add_f32 v2, v2, v44
	v_dual_fmac_f32 v46, v37, v28 :: v_dual_fmac_f32 v47, v43, v38
	s_delay_alu instid0(VALU_DEP_4) | instskip(SKIP_1) | instid1(VALU_DEP_4)
	v_add_f32_e32 v23, v23, v24
	v_fma_f32 v22, v34, v26, -v22
	v_add_f32_e32 v2, v2, v45
	v_fma_f32 v25, v36, v28, -v25
	s_delay_alu instid0(VALU_DEP_3) | instskip(NEXT) | instid1(VALU_DEP_3)
	v_add_f32_e32 v22, v23, v22
	v_add_f32_e32 v2, v2, v46
	s_delay_alu instid0(VALU_DEP_2) | instskip(NEXT) | instid1(VALU_DEP_2)
	v_add_f32_e32 v22, v22, v25
	v_add_f32_e32 v2, v2, v47
	v_mul_f32_e32 v24, v43, v39
	s_delay_alu instid0(VALU_DEP_1) | instskip(SKIP_1) | instid1(VALU_DEP_1)
	v_fma_f32 v23, v42, v38, -v24
	s_wait_loadcnt 0x0
	v_dual_add_f32 v22, v22, v23 :: v_dual_sub_f32 v23, v41, v2
	s_delay_alu instid0(VALU_DEP_1)
	v_sub_f32_e32 v22, v40, v22
	scratch_store_b64 off, v[22:23], off offset:24
	v_cmpx_lt_u32_e32 2, v0
	s_cbranch_execz .LBB8_63
; %bb.62:
	scratch_load_b64 v[22:23], off, off offset:16
	v_mov_b32_e32 v2, v1
	scratch_store_b64 off, v[1:2], off offset:16
	s_wait_loadcnt 0x0
	ds_store_b64 v3, v[22:23]
.LBB8_63:
	s_wait_alu 0xfffe
	s_or_b32 exec_lo, exec_lo, s0
	s_wait_storecnt_dscnt 0x0
	s_barrier_signal -1
	s_barrier_wait -1
	global_inv scope:SCOPE_SE
	s_clause 0x3
	scratch_load_b128 v[22:25], off, off offset:24
	scratch_load_b128 v[26:29], off, off offset:40
	;; [unrolled: 1-line block ×3, first 2 shown]
	scratch_load_b64 v[46:47], off, off offset:16
	ds_load_2addr_b64 v[34:37], v1 offset0:13 offset1:14
	ds_load_2addr_b64 v[38:41], v1 offset0:15 offset1:16
	;; [unrolled: 1-line block ×3, first 2 shown]
	s_mov_b32 s0, exec_lo
	s_wait_loadcnt_dscnt 0x302
	v_dual_mul_f32 v1, v34, v23 :: v_dual_mul_f32 v2, v36, v25
	v_mul_f32_e32 v23, v35, v23
	s_wait_loadcnt_dscnt 0x201
	v_dual_mul_f32 v25, v37, v25 :: v_dual_mul_f32 v48, v38, v27
	s_delay_alu instid0(VALU_DEP_3) | instskip(NEXT) | instid1(VALU_DEP_3)
	v_dual_mul_f32 v49, v40, v29 :: v_dual_fmac_f32 v2, v37, v24
	v_fma_f32 v23, v34, v22, -v23
	v_fmac_f32_e32 v1, v35, v22
	v_mul_f32_e32 v22, v39, v27
	v_fma_f32 v24, v36, v24, -v25
	s_delay_alu instid0(VALU_DEP_4)
	v_dual_fmac_f32 v48, v39, v26 :: v_dual_add_f32 v23, 0, v23
	s_wait_loadcnt_dscnt 0x100
	v_dual_mul_f32 v50, v42, v31 :: v_dual_mul_f32 v51, v44, v33
	v_fma_f32 v22, v38, v26, -v22
	v_fmac_f32_e32 v49, v41, v28
	v_add_f32_e32 v23, v23, v24
	s_delay_alu instid0(VALU_DEP_4) | instskip(NEXT) | instid1(VALU_DEP_2)
	v_dual_mul_f32 v25, v41, v29 :: v_dual_fmac_f32 v50, v43, v30
	v_dual_fmac_f32 v51, v45, v32 :: v_dual_add_f32 v22, v23, v22
	s_delay_alu instid0(VALU_DEP_2) | instskip(NEXT) | instid1(VALU_DEP_1)
	v_fma_f32 v24, v40, v28, -v25
	v_dual_mul_f32 v23, v45, v33 :: v_dual_add_f32 v22, v22, v24
	v_add_f32_e32 v1, 0, v1
	s_delay_alu instid0(VALU_DEP_2) | instskip(NEXT) | instid1(VALU_DEP_2)
	v_fma_f32 v23, v44, v32, -v23
	v_dual_add_f32 v1, v1, v2 :: v_dual_mul_f32 v2, v43, v31
	s_delay_alu instid0(VALU_DEP_1) | instskip(NEXT) | instid1(VALU_DEP_1)
	v_fma_f32 v2, v42, v30, -v2
	v_add_f32_e32 v2, v22, v2
	s_delay_alu instid0(VALU_DEP_1) | instskip(NEXT) | instid1(VALU_DEP_1)
	v_dual_add_f32 v2, v2, v23 :: v_dual_add_f32 v1, v1, v48
	v_add_f32_e32 v1, v1, v49
	s_delay_alu instid0(VALU_DEP_1) | instskip(SKIP_1) | instid1(VALU_DEP_1)
	v_add_f32_e32 v1, v1, v50
	s_wait_loadcnt 0x0
	v_dual_add_f32 v22, v1, v51 :: v_dual_sub_f32 v1, v46, v2
	s_delay_alu instid0(VALU_DEP_1)
	v_sub_f32_e32 v2, v47, v22
	scratch_store_b64 off, v[1:2], off offset:16
	v_cmpx_lt_u32_e32 1, v0
	s_cbranch_execz .LBB8_65
; %bb.64:
	scratch_load_b64 v[1:2], off, off offset:8
	v_mov_b32_e32 v22, 0
	s_delay_alu instid0(VALU_DEP_1)
	v_mov_b32_e32 v23, v22
	scratch_store_b64 off, v[22:23], off offset:8
	s_wait_loadcnt 0x0
	ds_store_b64 v3, v[1:2]
.LBB8_65:
	s_wait_alu 0xfffe
	s_or_b32 exec_lo, exec_lo, s0
	s_wait_storecnt_dscnt 0x0
	s_barrier_signal -1
	s_barrier_wait -1
	global_inv scope:SCOPE_SE
	s_clause 0x4
	scratch_load_b128 v[23:26], off, off offset:16
	scratch_load_b128 v[27:30], off, off offset:32
	;; [unrolled: 1-line block ×3, first 2 shown]
	scratch_load_b64 v[1:2], off, off offset:64
	scratch_load_b64 v[47:48], off, off offset:8
	v_mov_b32_e32 v22, 0
	ds_load_b128 v[35:38], v22 offset:96
	ds_load_b128 v[39:42], v22 offset:112
	ds_load_b128 v[43:46], v22 offset:128
	ds_load_b64 v[49:50], v22 offset:144
	s_mov_b32 s0, exec_lo
	s_wait_loadcnt_dscnt 0x403
	v_mul_f32_e32 v51, v35, v24
	v_mul_f32_e32 v24, v36, v24
	s_wait_loadcnt_dscnt 0x302
	v_dual_mul_f32 v52, v37, v26 :: v_dual_mul_f32 v53, v39, v28
	s_wait_loadcnt_dscnt 0x201
	v_dual_mul_f32 v56, v45, v34 :: v_dual_fmac_f32 v51, v36, v23
	s_wait_loadcnt_dscnt 0x100
	v_mul_f32_e32 v57, v49, v2
	v_mul_f32_e32 v26, v38, v26
	v_fma_f32 v24, v35, v23, -v24
	v_dual_mul_f32 v23, v40, v28 :: v_dual_fmac_f32 v52, v38, v25
	v_fmac_f32_e32 v53, v40, v27
	s_delay_alu instid0(VALU_DEP_4) | instskip(NEXT) | instid1(VALU_DEP_4)
	v_fma_f32 v25, v37, v25, -v26
	v_add_f32_e32 v24, 0, v24
	v_dual_add_f32 v26, 0, v51 :: v_dual_fmac_f32 v57, v50, v1
	v_fma_f32 v23, v39, v27, -v23
	v_dual_mul_f32 v54, v41, v30 :: v_dual_mul_f32 v55, v43, v32
	s_delay_alu instid0(VALU_DEP_3) | instskip(SKIP_1) | instid1(VALU_DEP_3)
	v_dual_add_f32 v24, v24, v25 :: v_dual_add_f32 v25, v26, v52
	v_mul_f32_e32 v28, v42, v30
	v_dual_fmac_f32 v54, v42, v29 :: v_dual_fmac_f32 v55, v44, v31
	s_delay_alu instid0(VALU_DEP_3) | instskip(NEXT) | instid1(VALU_DEP_3)
	v_dual_add_f32 v23, v24, v23 :: v_dual_fmac_f32 v56, v46, v33
	v_fma_f32 v27, v41, v29, -v28
	v_mul_f32_e32 v26, v44, v32
	s_delay_alu instid0(VALU_DEP_2) | instskip(NEXT) | instid1(VALU_DEP_2)
	v_dual_mul_f32 v2, v50, v2 :: v_dual_add_f32 v23, v23, v27
	v_fma_f32 v26, v43, v31, -v26
	v_dual_add_f32 v24, v25, v53 :: v_dual_mul_f32 v25, v46, v34
	s_delay_alu instid0(VALU_DEP_3) | instskip(NEXT) | instid1(VALU_DEP_3)
	v_fma_f32 v1, v49, v1, -v2
	v_add_f32_e32 v23, v23, v26
	s_delay_alu instid0(VALU_DEP_3) | instskip(NEXT) | instid1(VALU_DEP_1)
	v_fma_f32 v25, v45, v33, -v25
	v_add_f32_e32 v2, v23, v25
	s_delay_alu instid0(VALU_DEP_1) | instskip(SKIP_1) | instid1(VALU_DEP_1)
	v_dual_add_f32 v24, v24, v54 :: v_dual_add_f32 v1, v2, v1
	s_wait_loadcnt 0x0
	v_dual_add_f32 v24, v24, v55 :: v_dual_sub_f32 v1, v47, v1
	s_delay_alu instid0(VALU_DEP_1) | instskip(NEXT) | instid1(VALU_DEP_1)
	v_add_f32_e32 v23, v24, v56
	v_add_f32_e32 v2, v23, v57
	s_delay_alu instid0(VALU_DEP_1)
	v_sub_f32_e32 v2, v48, v2
	scratch_store_b64 off, v[1:2], off offset:8
	v_cmpx_ne_u32_e32 0, v0
	s_cbranch_execz .LBB8_67
; %bb.66:
	scratch_load_b64 v[0:1], off, off
	v_mov_b32_e32 v23, v22
	scratch_store_b64 off, v[22:23], off
	s_wait_loadcnt 0x0
	ds_store_b64 v3, v[0:1]
.LBB8_67:
	s_wait_alu 0xfffe
	s_or_b32 exec_lo, exec_lo, s0
	s_wait_storecnt_dscnt 0x0
	s_barrier_signal -1
	s_barrier_wait -1
	global_inv scope:SCOPE_SE
	s_clause 0x4
	scratch_load_b128 v[23:26], off, off offset:8
	scratch_load_b128 v[27:30], off, off offset:24
	;; [unrolled: 1-line block ×4, first 2 shown]
	scratch_load_b64 v[51:52], off, off
	ds_load_2addr_b64 v[35:38], v22 offset0:11 offset1:12
	ds_load_2addr_b64 v[39:42], v22 offset0:13 offset1:14
	;; [unrolled: 1-line block ×4, first 2 shown]
	s_and_b32 vcc_lo, exec_lo, s18
	s_wait_loadcnt_dscnt 0x403
	v_dual_mul_f32 v22, v35, v24 :: v_dual_mul_f32 v53, v37, v26
	s_wait_loadcnt_dscnt 0x100
	v_dual_mul_f32 v24, v36, v24 :: v_dual_mul_f32 v59, v49, v3
	v_mul_f32_e32 v26, v38, v26
	v_dual_mul_f32 v54, v39, v28 :: v_dual_mul_f32 v55, v41, v30
	s_delay_alu instid0(VALU_DEP_3) | instskip(SKIP_1) | instid1(VALU_DEP_4)
	v_fma_f32 v24, v35, v23, -v24
	v_dual_fmac_f32 v22, v36, v23 :: v_dual_fmac_f32 v53, v38, v25
	v_fma_f32 v25, v37, v25, -v26
	v_dual_mul_f32 v58, v47, v1 :: v_dual_mul_f32 v23, v40, v28
	s_delay_alu instid0(VALU_DEP_4) | instskip(SKIP_1) | instid1(VALU_DEP_2)
	v_dual_add_f32 v24, 0, v24 :: v_dual_fmac_f32 v55, v42, v29
	v_dual_mul_f32 v3, v50, v3 :: v_dual_mul_f32 v56, v43, v32
	v_dual_mul_f32 v57, v45, v34 :: v_dual_add_f32 v24, v24, v25
	v_mul_f32_e32 v25, v44, v32
	v_fma_f32 v23, v39, v27, -v23
	v_add_f32_e32 v22, 0, v22
	s_delay_alu instid0(VALU_DEP_4) | instskip(NEXT) | instid1(VALU_DEP_4)
	v_dual_fmac_f32 v56, v44, v31 :: v_dual_fmac_f32 v57, v46, v33
	v_fma_f32 v25, v43, v31, -v25
	s_delay_alu instid0(VALU_DEP_4) | instskip(SKIP_3) | instid1(VALU_DEP_4)
	v_dual_mul_f32 v26, v42, v30 :: v_dual_add_f32 v23, v24, v23
	v_mul_f32_e32 v24, v46, v34
	v_fmac_f32_e32 v59, v50, v2
	v_fma_f32 v2, v49, v2, -v3
	v_fma_f32 v26, v41, v29, -v26
	v_fmac_f32_e32 v54, v40, v27
	v_fma_f32 v24, v45, v33, -v24
	s_delay_alu instid0(VALU_DEP_3) | instskip(SKIP_1) | instid1(VALU_DEP_2)
	v_dual_fmac_f32 v58, v48, v0 :: v_dual_add_f32 v23, v23, v26
	v_mul_f32_e32 v26, v48, v1
	v_add_f32_e32 v23, v23, v25
	v_add_f32_e32 v22, v22, v53
	s_delay_alu instid0(VALU_DEP_3) | instskip(NEXT) | instid1(VALU_DEP_2)
	v_fma_f32 v25, v47, v0, -v26
	v_dual_add_f32 v23, v23, v24 :: v_dual_add_f32 v22, v22, v54
	s_delay_alu instid0(VALU_DEP_1) | instskip(NEXT) | instid1(VALU_DEP_1)
	v_dual_add_f32 v3, v23, v25 :: v_dual_add_f32 v22, v22, v55
	v_add_f32_e32 v2, v3, v2
	s_delay_alu instid0(VALU_DEP_2) | instskip(SKIP_1) | instid1(VALU_DEP_2)
	v_add_f32_e32 v22, v22, v56
	s_wait_loadcnt 0x0
	v_sub_f32_e32 v2, v51, v2
	s_delay_alu instid0(VALU_DEP_2) | instskip(NEXT) | instid1(VALU_DEP_1)
	v_add_f32_e32 v22, v22, v57
	v_add_f32_e32 v22, v22, v58
	s_delay_alu instid0(VALU_DEP_1) | instskip(NEXT) | instid1(VALU_DEP_1)
	v_add_f32_e32 v3, v22, v59
	v_sub_f32_e32 v3, v52, v3
	scratch_store_b64 off, v[2:3], off
	s_wait_alu 0xfffe
	s_cbranch_vccz .LBB8_84
; %bb.68:
	v_mov_b32_e32 v2, 0
	global_load_b32 v3, v2, s[2:3] offset:28
	s_wait_loadcnt 0x0
	v_cmp_ne_u32_e32 vcc_lo, 8, v3
	s_cbranch_vccz .LBB8_70
; %bb.69:
	v_lshlrev_b32_e32 v3, 3, v3
	scratch_load_b64 v[22:23], v3, off offset:-8
	s_wait_loadcnt 0x0
	scratch_store_b64 off, v[22:23], off offset:56
	scratch_store_b64 v3, v[0:1], off offset:-8
.LBB8_70:
	global_load_b32 v0, v2, s[2:3] offset:24
	s_wait_loadcnt 0x0
	v_cmp_eq_u32_e32 vcc_lo, 7, v0
	s_cbranch_vccnz .LBB8_72
; %bb.71:
	v_lshlrev_b32_e32 v0, 3, v0
	s_delay_alu instid0(VALU_DEP_1)
	v_mov_b32_e32 v22, v0
	scratch_load_b64 v[0:1], v22, off offset:-8
	scratch_load_b64 v[2:3], off, off offset:48
	s_wait_loadcnt 0x1
	scratch_store_b64 off, v[0:1], off offset:48
	s_wait_loadcnt 0x0
	scratch_store_b64 v22, v[2:3], off offset:-8
.LBB8_72:
	v_mov_b32_e32 v0, 0
	global_load_b32 v1, v0, s[2:3] offset:20
	s_wait_loadcnt 0x0
	v_cmp_eq_u32_e32 vcc_lo, 6, v1
	s_cbranch_vccnz .LBB8_74
; %bb.73:
	v_lshlrev_b32_e32 v1, 3, v1
	s_delay_alu instid0(VALU_DEP_1)
	v_mov_b32_e32 v3, v1
	scratch_load_b64 v[1:2], v3, off offset:-8
	scratch_load_b64 v[22:23], off, off offset:40
	s_wait_loadcnt 0x1
	scratch_store_b64 off, v[1:2], off offset:40
	s_wait_loadcnt 0x0
	scratch_store_b64 v3, v[22:23], off offset:-8
.LBB8_74:
	global_load_b32 v0, v0, s[2:3] offset:16
	s_wait_loadcnt 0x0
	v_cmp_eq_u32_e32 vcc_lo, 5, v0
	s_cbranch_vccnz .LBB8_76
; %bb.75:
	v_lshlrev_b32_e32 v0, 3, v0
	s_delay_alu instid0(VALU_DEP_1)
	v_mov_b32_e32 v22, v0
	scratch_load_b64 v[0:1], v22, off offset:-8
	scratch_load_b64 v[2:3], off, off offset:32
	s_wait_loadcnt 0x1
	scratch_store_b64 off, v[0:1], off offset:32
	s_wait_loadcnt 0x0
	scratch_store_b64 v22, v[2:3], off offset:-8
.LBB8_76:
	v_mov_b32_e32 v0, 0
	global_load_b32 v1, v0, s[2:3] offset:12
	s_wait_loadcnt 0x0
	v_cmp_eq_u32_e32 vcc_lo, 4, v1
	s_cbranch_vccnz .LBB8_78
; %bb.77:
	v_lshlrev_b32_e32 v1, 3, v1
	s_delay_alu instid0(VALU_DEP_1)
	v_mov_b32_e32 v3, v1
	scratch_load_b64 v[1:2], v3, off offset:-8
	scratch_load_b64 v[22:23], off, off offset:24
	s_wait_loadcnt 0x1
	scratch_store_b64 off, v[1:2], off offset:24
	s_wait_loadcnt 0x0
	scratch_store_b64 v3, v[22:23], off offset:-8
.LBB8_78:
	;; [unrolled: 31-line block ×3, first 2 shown]
	global_load_b32 v0, v0, s[2:3]
	s_wait_loadcnt 0x0
	v_cmp_eq_u32_e32 vcc_lo, 1, v0
	s_cbranch_vccnz .LBB8_84
; %bb.83:
	v_lshlrev_b32_e32 v0, 3, v0
	s_delay_alu instid0(VALU_DEP_1)
	v_mov_b32_e32 v22, v0
	scratch_load_b64 v[0:1], v22, off offset:-8
	scratch_load_b64 v[2:3], off, off
	s_wait_loadcnt 0x1
	scratch_store_b64 off, v[0:1], off
	s_wait_loadcnt 0x0
	scratch_store_b64 v22, v[2:3], off offset:-8
.LBB8_84:
	s_clause 0x4
	scratch_load_b128 v[0:3], off, off
	scratch_load_b128 v[22:25], off, off offset:16
	scratch_load_b128 v[26:29], off, off offset:32
	;; [unrolled: 1-line block ×3, first 2 shown]
	scratch_load_b64 v[34:35], off, off offset:64
	s_wait_loadcnt 0x4
	s_clause 0x1
	global_store_b64 v[4:5], v[0:1], off
	global_store_b64 v[6:7], v[2:3], off
	s_wait_loadcnt 0x3
	s_clause 0x1
	global_store_b64 v[8:9], v[22:23], off
	global_store_b64 v[10:11], v[24:25], off
	;; [unrolled: 4-line block ×4, first 2 shown]
	s_wait_loadcnt 0x0
	global_store_b64 v[20:21], v[34:35], off
	s_endpgm
	.section	.rodata,"a",@progbits
	.p2align	6, 0x0
	.amdhsa_kernel _ZN9rocsolver6v33100L18getri_kernel_smallILi9E19rocblas_complex_numIfEPS3_EEvT1_iilPiilS6_bb
		.amdhsa_group_segment_fixed_size 152
		.amdhsa_private_segment_fixed_size 80
		.amdhsa_kernarg_size 60
		.amdhsa_user_sgpr_count 2
		.amdhsa_user_sgpr_dispatch_ptr 0
		.amdhsa_user_sgpr_queue_ptr 0
		.amdhsa_user_sgpr_kernarg_segment_ptr 1
		.amdhsa_user_sgpr_dispatch_id 0
		.amdhsa_user_sgpr_private_segment_size 0
		.amdhsa_wavefront_size32 1
		.amdhsa_uses_dynamic_stack 0
		.amdhsa_enable_private_segment 1
		.amdhsa_system_sgpr_workgroup_id_x 1
		.amdhsa_system_sgpr_workgroup_id_y 0
		.amdhsa_system_sgpr_workgroup_id_z 0
		.amdhsa_system_sgpr_workgroup_info 0
		.amdhsa_system_vgpr_workitem_id 0
		.amdhsa_next_free_vgpr 60
		.amdhsa_next_free_sgpr 19
		.amdhsa_reserve_vcc 1
		.amdhsa_float_round_mode_32 0
		.amdhsa_float_round_mode_16_64 0
		.amdhsa_float_denorm_mode_32 3
		.amdhsa_float_denorm_mode_16_64 3
		.amdhsa_fp16_overflow 0
		.amdhsa_workgroup_processor_mode 1
		.amdhsa_memory_ordered 1
		.amdhsa_forward_progress 1
		.amdhsa_inst_pref_size 59
		.amdhsa_round_robin_scheduling 0
		.amdhsa_exception_fp_ieee_invalid_op 0
		.amdhsa_exception_fp_denorm_src 0
		.amdhsa_exception_fp_ieee_div_zero 0
		.amdhsa_exception_fp_ieee_overflow 0
		.amdhsa_exception_fp_ieee_underflow 0
		.amdhsa_exception_fp_ieee_inexact 0
		.amdhsa_exception_int_div_zero 0
	.end_amdhsa_kernel
	.section	.text._ZN9rocsolver6v33100L18getri_kernel_smallILi9E19rocblas_complex_numIfEPS3_EEvT1_iilPiilS6_bb,"axG",@progbits,_ZN9rocsolver6v33100L18getri_kernel_smallILi9E19rocblas_complex_numIfEPS3_EEvT1_iilPiilS6_bb,comdat
.Lfunc_end8:
	.size	_ZN9rocsolver6v33100L18getri_kernel_smallILi9E19rocblas_complex_numIfEPS3_EEvT1_iilPiilS6_bb, .Lfunc_end8-_ZN9rocsolver6v33100L18getri_kernel_smallILi9E19rocblas_complex_numIfEPS3_EEvT1_iilPiilS6_bb
                                        ; -- End function
	.set _ZN9rocsolver6v33100L18getri_kernel_smallILi9E19rocblas_complex_numIfEPS3_EEvT1_iilPiilS6_bb.num_vgpr, 60
	.set _ZN9rocsolver6v33100L18getri_kernel_smallILi9E19rocblas_complex_numIfEPS3_EEvT1_iilPiilS6_bb.num_agpr, 0
	.set _ZN9rocsolver6v33100L18getri_kernel_smallILi9E19rocblas_complex_numIfEPS3_EEvT1_iilPiilS6_bb.numbered_sgpr, 19
	.set _ZN9rocsolver6v33100L18getri_kernel_smallILi9E19rocblas_complex_numIfEPS3_EEvT1_iilPiilS6_bb.num_named_barrier, 0
	.set _ZN9rocsolver6v33100L18getri_kernel_smallILi9E19rocblas_complex_numIfEPS3_EEvT1_iilPiilS6_bb.private_seg_size, 80
	.set _ZN9rocsolver6v33100L18getri_kernel_smallILi9E19rocblas_complex_numIfEPS3_EEvT1_iilPiilS6_bb.uses_vcc, 1
	.set _ZN9rocsolver6v33100L18getri_kernel_smallILi9E19rocblas_complex_numIfEPS3_EEvT1_iilPiilS6_bb.uses_flat_scratch, 1
	.set _ZN9rocsolver6v33100L18getri_kernel_smallILi9E19rocblas_complex_numIfEPS3_EEvT1_iilPiilS6_bb.has_dyn_sized_stack, 0
	.set _ZN9rocsolver6v33100L18getri_kernel_smallILi9E19rocblas_complex_numIfEPS3_EEvT1_iilPiilS6_bb.has_recursion, 0
	.set _ZN9rocsolver6v33100L18getri_kernel_smallILi9E19rocblas_complex_numIfEPS3_EEvT1_iilPiilS6_bb.has_indirect_call, 0
	.section	.AMDGPU.csdata,"",@progbits
; Kernel info:
; codeLenInByte = 7432
; TotalNumSgprs: 21
; NumVgprs: 60
; ScratchSize: 80
; MemoryBound: 0
; FloatMode: 240
; IeeeMode: 1
; LDSByteSize: 152 bytes/workgroup (compile time only)
; SGPRBlocks: 0
; VGPRBlocks: 7
; NumSGPRsForWavesPerEU: 21
; NumVGPRsForWavesPerEU: 60
; Occupancy: 16
; WaveLimiterHint : 0
; COMPUTE_PGM_RSRC2:SCRATCH_EN: 1
; COMPUTE_PGM_RSRC2:USER_SGPR: 2
; COMPUTE_PGM_RSRC2:TRAP_HANDLER: 0
; COMPUTE_PGM_RSRC2:TGID_X_EN: 1
; COMPUTE_PGM_RSRC2:TGID_Y_EN: 0
; COMPUTE_PGM_RSRC2:TGID_Z_EN: 0
; COMPUTE_PGM_RSRC2:TIDIG_COMP_CNT: 0
	.section	.text._ZN9rocsolver6v33100L18getri_kernel_smallILi10E19rocblas_complex_numIfEPS3_EEvT1_iilPiilS6_bb,"axG",@progbits,_ZN9rocsolver6v33100L18getri_kernel_smallILi10E19rocblas_complex_numIfEPS3_EEvT1_iilPiilS6_bb,comdat
	.globl	_ZN9rocsolver6v33100L18getri_kernel_smallILi10E19rocblas_complex_numIfEPS3_EEvT1_iilPiilS6_bb ; -- Begin function _ZN9rocsolver6v33100L18getri_kernel_smallILi10E19rocblas_complex_numIfEPS3_EEvT1_iilPiilS6_bb
	.p2align	8
	.type	_ZN9rocsolver6v33100L18getri_kernel_smallILi10E19rocblas_complex_numIfEPS3_EEvT1_iilPiilS6_bb,@function
_ZN9rocsolver6v33100L18getri_kernel_smallILi10E19rocblas_complex_numIfEPS3_EEvT1_iilPiilS6_bb: ; @_ZN9rocsolver6v33100L18getri_kernel_smallILi10E19rocblas_complex_numIfEPS3_EEvT1_iilPiilS6_bb
; %bb.0:
	s_mov_b32 s2, exec_lo
	v_cmpx_gt_u32_e32 10, v0
	s_cbranch_execz .LBB9_54
; %bb.1:
	s_clause 0x2
	s_load_b32 s2, s[0:1], 0x38
	s_load_b128 s[12:15], s[0:1], 0x10
	s_load_b128 s[4:7], s[0:1], 0x28
	s_mov_b32 s16, ttmp9
	s_wait_kmcnt 0x0
	s_bitcmp1_b32 s2, 8
	s_cselect_b32 s18, -1, 0
	s_bfe_u32 s2, s2, 0x10008
	s_ashr_i32 s17, ttmp9, 31
	s_cmp_eq_u32 s2, 0
                                        ; implicit-def: $sgpr2_sgpr3
	s_cbranch_scc1 .LBB9_3
; %bb.2:
	s_load_b32 s2, s[0:1], 0x20
	s_mul_u64 s[4:5], s[4:5], s[16:17]
	s_delay_alu instid0(SALU_CYCLE_1) | instskip(NEXT) | instid1(SALU_CYCLE_1)
	s_lshl_b64 s[4:5], s[4:5], 2
	s_add_nc_u64 s[4:5], s[14:15], s[4:5]
	s_wait_kmcnt 0x0
	s_ashr_i32 s3, s2, 31
	s_delay_alu instid0(SALU_CYCLE_1) | instskip(NEXT) | instid1(SALU_CYCLE_1)
	s_lshl_b64 s[2:3], s[2:3], 2
	s_add_nc_u64 s[2:3], s[4:5], s[2:3]
.LBB9_3:
	s_clause 0x1
	s_load_b128 s[8:11], s[0:1], 0x0
	s_load_b32 s14, s[0:1], 0x38
	s_mul_u64 s[0:1], s[12:13], s[16:17]
	v_lshlrev_b32_e32 v3, 3, v0
	s_lshl_b64 s[0:1], s[0:1], 3
	s_wait_kmcnt 0x0
	v_add3_u32 v1, s11, s11, v0
	s_ashr_i32 s5, s10, 31
	s_mov_b32 s4, s10
	s_add_nc_u64 s[0:1], s[8:9], s[0:1]
	s_lshl_b64 s[4:5], s[4:5], 3
	v_add_nc_u32_e32 v8, s11, v1
	v_ashrrev_i32_e32 v2, 31, v1
	s_add_nc_u64 s[0:1], s[0:1], s[4:5]
	s_ashr_i32 s9, s11, 31
	v_add_co_u32 v4, s4, s0, v3
	v_add_nc_u32_e32 v10, s11, v8
	s_mov_b32 s8, s11
	v_lshlrev_b64_e32 v[1:2], 3, v[1:2]
	v_add_co_ci_u32_e64 v5, null, s1, 0, s4
	v_ashrrev_i32_e32 v9, 31, v8
	s_lshl_b64 s[8:9], s[8:9], 3
	v_ashrrev_i32_e32 v11, 31, v10
	v_add_co_u32 v6, vcc_lo, v4, s8
	v_add_nc_u32_e32 v14, s11, v10
	v_add_co_ci_u32_e64 v7, null, s9, v5, vcc_lo
	v_lshlrev_b64_e32 v[12:13], 3, v[8:9]
	v_add_co_u32 v8, vcc_lo, s0, v1
	s_wait_alu 0xfffd
	v_add_co_ci_u32_e64 v9, null, s1, v2, vcc_lo
	v_lshlrev_b64_e32 v[1:2], 3, v[10:11]
	v_add_nc_u32_e32 v16, s11, v14
	v_add_co_u32 v10, vcc_lo, s0, v12
	s_wait_alu 0xfffd
	v_add_co_ci_u32_e64 v11, null, s1, v13, vcc_lo
	s_delay_alu instid0(VALU_DEP_4)
	v_add_co_u32 v12, vcc_lo, s0, v1
	v_add_nc_u32_e32 v1, s11, v16
	v_ashrrev_i32_e32 v15, 31, v14
	v_ashrrev_i32_e32 v17, 31, v16
	s_wait_alu 0xfffd
	v_add_co_ci_u32_e64 v13, null, s1, v2, vcc_lo
	v_add_nc_u32_e32 v18, s11, v1
	v_ashrrev_i32_e32 v2, 31, v1
	v_lshlrev_b64_e32 v[14:15], 3, v[14:15]
	v_lshlrev_b64_e32 v[16:17], 3, v[16:17]
	global_load_b64 v[24:25], v3, s[0:1]
	v_add_nc_u32_e32 v20, s11, v18
	v_lshlrev_b64_e32 v[1:2], 3, v[1:2]
	v_ashrrev_i32_e32 v19, 31, v18
	v_add_co_u32 v14, vcc_lo, s0, v14
	s_delay_alu instid0(VALU_DEP_4)
	v_ashrrev_i32_e32 v21, 31, v20
	s_wait_alu 0xfffd
	v_add_co_ci_u32_e64 v15, null, s1, v15, vcc_lo
	v_add_co_u32 v16, vcc_lo, s0, v16
	s_wait_alu 0xfffd
	v_add_co_ci_u32_e64 v17, null, s1, v17, vcc_lo
	v_lshlrev_b64_e32 v[22:23], 3, v[18:19]
	v_add_co_u32 v18, vcc_lo, s0, v1
	s_wait_alu 0xfffd
	v_add_co_ci_u32_e64 v19, null, s1, v2, vcc_lo
	v_lshlrev_b64_e32 v[1:2], 3, v[20:21]
	s_delay_alu instid0(VALU_DEP_4)
	v_add_co_u32 v20, vcc_lo, s0, v22
	s_wait_alu 0xfffd
	v_add_co_ci_u32_e64 v21, null, s1, v23, vcc_lo
	s_clause 0x3
	global_load_b64 v[26:27], v[6:7], off
	global_load_b64 v[28:29], v[8:9], off
	;; [unrolled: 1-line block ×4, first 2 shown]
	v_add_co_u32 v22, vcc_lo, s0, v1
	s_wait_alu 0xfffd
	v_add_co_ci_u32_e64 v23, null, s1, v2, vcc_lo
	s_clause 0x4
	global_load_b64 v[34:35], v[14:15], off
	global_load_b64 v[36:37], v[16:17], off
	;; [unrolled: 1-line block ×5, first 2 shown]
	s_bitcmp0_b32 s14, 0
	s_mov_b32 s1, -1
	s_wait_loadcnt 0x8
	scratch_store_b128 off, v[24:27], off
	s_wait_loadcnt 0x6
	scratch_store_b128 off, v[28:31], off offset:16
	s_wait_loadcnt 0x4
	scratch_store_b128 off, v[32:35], off offset:32
	;; [unrolled: 2-line block ×4, first 2 shown]
	s_cbranch_scc1 .LBB9_52
; %bb.4:
	v_cmp_eq_u32_e64 s0, 0, v0
	s_and_saveexec_b32 s1, s0
; %bb.5:
	v_mov_b32_e32 v1, 0
	ds_store_b32 v1, v1 offset:160
; %bb.6:
	s_wait_alu 0xfffe
	s_or_b32 exec_lo, exec_lo, s1
	s_wait_storecnt_dscnt 0x0
	s_barrier_signal -1
	s_barrier_wait -1
	global_inv scope:SCOPE_SE
	scratch_load_b64 v[1:2], v3, off
	s_wait_loadcnt 0x0
	v_cmp_eq_f32_e32 vcc_lo, 0, v1
	v_cmp_eq_f32_e64 s1, 0, v2
	s_and_b32 s1, vcc_lo, s1
	s_wait_alu 0xfffe
	s_and_saveexec_b32 s4, s1
	s_cbranch_execz .LBB9_10
; %bb.7:
	v_mov_b32_e32 v1, 0
	s_mov_b32 s5, 0
	ds_load_b32 v2, v1 offset:160
	s_wait_dscnt 0x0
	v_readfirstlane_b32 s1, v2
	v_add_nc_u32_e32 v2, 1, v0
	s_cmp_eq_u32 s1, 0
	s_delay_alu instid0(VALU_DEP_1)
	v_cmp_gt_i32_e32 vcc_lo, s1, v2
	s_cselect_b32 s8, -1, 0
	s_wait_alu 0xfffe
	s_or_b32 s8, s8, vcc_lo
	s_wait_alu 0xfffe
	s_and_b32 exec_lo, exec_lo, s8
	s_cbranch_execz .LBB9_10
; %bb.8:
	v_mov_b32_e32 v24, s1
.LBB9_9:                                ; =>This Inner Loop Header: Depth=1
	ds_cmpstore_rtn_b32 v24, v1, v2, v24 offset:160
	s_wait_dscnt 0x0
	v_cmp_ne_u32_e32 vcc_lo, 0, v24
	v_cmp_le_i32_e64 s1, v24, v2
	s_and_b32 s1, vcc_lo, s1
	s_wait_alu 0xfffe
	s_and_b32 s1, exec_lo, s1
	s_wait_alu 0xfffe
	s_or_b32 s5, s1, s5
	s_wait_alu 0xfffe
	s_and_not1_b32 exec_lo, exec_lo, s5
	s_cbranch_execnz .LBB9_9
.LBB9_10:
	s_wait_alu 0xfffe
	s_or_b32 exec_lo, exec_lo, s4
	v_mov_b32_e32 v1, 0
	s_barrier_signal -1
	s_barrier_wait -1
	global_inv scope:SCOPE_SE
	ds_load_b32 v2, v1 offset:160
	s_and_saveexec_b32 s1, s0
	s_cbranch_execz .LBB9_12
; %bb.11:
	s_lshl_b64 s[4:5], s[16:17], 2
	s_wait_alu 0xfffe
	s_add_nc_u64 s[4:5], s[6:7], s[4:5]
	s_wait_dscnt 0x0
	global_store_b32 v1, v2, s[4:5]
.LBB9_12:
	s_wait_alu 0xfffe
	s_or_b32 exec_lo, exec_lo, s1
	s_wait_dscnt 0x0
	v_cmp_ne_u32_e32 vcc_lo, 0, v2
	s_mov_b32 s1, 0
	s_cbranch_vccnz .LBB9_52
; %bb.13:
	v_mov_b32_e32 v28, v3
                                        ; implicit-def: $vgpr24
                                        ; implicit-def: $vgpr26
	scratch_load_b64 v[1:2], v28, off
	s_wait_loadcnt 0x0
	v_cmp_ngt_f32_e64 s1, |v1|, |v2|
	s_wait_alu 0xfffe
	s_and_saveexec_b32 s4, s1
	s_wait_alu 0xfffe
	s_xor_b32 s1, exec_lo, s4
	s_cbranch_execz .LBB9_15
; %bb.14:
	v_div_scale_f32 v24, null, v2, v2, v1
	v_div_scale_f32 v27, vcc_lo, v1, v2, v1
	s_delay_alu instid0(VALU_DEP_2) | instskip(NEXT) | instid1(TRANS32_DEP_1)
	v_rcp_f32_e32 v25, v24
	v_fma_f32 v26, -v24, v25, 1.0
	s_delay_alu instid0(VALU_DEP_1) | instskip(NEXT) | instid1(VALU_DEP_1)
	v_fmac_f32_e32 v25, v26, v25
	v_mul_f32_e32 v26, v27, v25
	s_delay_alu instid0(VALU_DEP_1) | instskip(NEXT) | instid1(VALU_DEP_1)
	v_fma_f32 v29, -v24, v26, v27
	v_fmac_f32_e32 v26, v29, v25
	s_delay_alu instid0(VALU_DEP_1) | instskip(SKIP_1) | instid1(VALU_DEP_1)
	v_fma_f32 v24, -v24, v26, v27
	s_wait_alu 0xfffd
	v_div_fmas_f32 v24, v24, v25, v26
	s_delay_alu instid0(VALU_DEP_1) | instskip(NEXT) | instid1(VALU_DEP_1)
	v_div_fixup_f32 v24, v24, v2, v1
	v_fmac_f32_e32 v2, v1, v24
	s_delay_alu instid0(VALU_DEP_1) | instskip(NEXT) | instid1(VALU_DEP_1)
	v_div_scale_f32 v1, null, v2, v2, 1.0
	v_rcp_f32_e32 v25, v1
	s_delay_alu instid0(TRANS32_DEP_1) | instskip(NEXT) | instid1(VALU_DEP_1)
	v_fma_f32 v26, -v1, v25, 1.0
	v_fmac_f32_e32 v25, v26, v25
	v_div_scale_f32 v26, vcc_lo, 1.0, v2, 1.0
	s_delay_alu instid0(VALU_DEP_1) | instskip(NEXT) | instid1(VALU_DEP_1)
	v_mul_f32_e32 v27, v26, v25
	v_fma_f32 v29, -v1, v27, v26
	s_delay_alu instid0(VALU_DEP_1) | instskip(NEXT) | instid1(VALU_DEP_1)
	v_fmac_f32_e32 v27, v29, v25
	v_fma_f32 v1, -v1, v27, v26
	s_wait_alu 0xfffd
	s_delay_alu instid0(VALU_DEP_1) | instskip(NEXT) | instid1(VALU_DEP_1)
	v_div_fmas_f32 v1, v1, v25, v27
	v_div_fixup_f32 v1, v1, v2, 1.0
	s_delay_alu instid0(VALU_DEP_1) | instskip(SKIP_1) | instid1(VALU_DEP_2)
	v_mul_f32_e32 v24, v24, v1
	v_xor_b32_e32 v25, 0x80000000, v1
                                        ; implicit-def: $vgpr1_vgpr2
	v_xor_b32_e32 v26, 0x80000000, v24
.LBB9_15:
	s_wait_alu 0xfffe
	s_and_not1_saveexec_b32 s1, s1
	s_cbranch_execz .LBB9_17
; %bb.16:
	v_div_scale_f32 v24, null, v1, v1, v2
	v_div_scale_f32 v27, vcc_lo, v2, v1, v2
	s_delay_alu instid0(VALU_DEP_2) | instskip(NEXT) | instid1(TRANS32_DEP_1)
	v_rcp_f32_e32 v25, v24
	v_fma_f32 v26, -v24, v25, 1.0
	s_delay_alu instid0(VALU_DEP_1) | instskip(NEXT) | instid1(VALU_DEP_1)
	v_fmac_f32_e32 v25, v26, v25
	v_mul_f32_e32 v26, v27, v25
	s_delay_alu instid0(VALU_DEP_1) | instskip(NEXT) | instid1(VALU_DEP_1)
	v_fma_f32 v29, -v24, v26, v27
	v_fmac_f32_e32 v26, v29, v25
	s_delay_alu instid0(VALU_DEP_1) | instskip(SKIP_1) | instid1(VALU_DEP_1)
	v_fma_f32 v24, -v24, v26, v27
	s_wait_alu 0xfffd
	v_div_fmas_f32 v24, v24, v25, v26
	s_delay_alu instid0(VALU_DEP_1) | instskip(NEXT) | instid1(VALU_DEP_1)
	v_div_fixup_f32 v25, v24, v1, v2
	v_fmac_f32_e32 v1, v2, v25
	s_delay_alu instid0(VALU_DEP_1) | instskip(SKIP_1) | instid1(VALU_DEP_2)
	v_div_scale_f32 v2, null, v1, v1, 1.0
	v_div_scale_f32 v27, vcc_lo, 1.0, v1, 1.0
	v_rcp_f32_e32 v24, v2
	s_delay_alu instid0(TRANS32_DEP_1) | instskip(NEXT) | instid1(VALU_DEP_1)
	v_fma_f32 v26, -v2, v24, 1.0
	v_fmac_f32_e32 v24, v26, v24
	s_delay_alu instid0(VALU_DEP_1) | instskip(NEXT) | instid1(VALU_DEP_1)
	v_mul_f32_e32 v26, v27, v24
	v_fma_f32 v29, -v2, v26, v27
	s_delay_alu instid0(VALU_DEP_1) | instskip(NEXT) | instid1(VALU_DEP_1)
	v_fmac_f32_e32 v26, v29, v24
	v_fma_f32 v2, -v2, v26, v27
	s_wait_alu 0xfffd
	s_delay_alu instid0(VALU_DEP_1) | instskip(NEXT) | instid1(VALU_DEP_1)
	v_div_fmas_f32 v2, v2, v24, v26
	v_div_fixup_f32 v24, v2, v1, 1.0
	s_delay_alu instid0(VALU_DEP_1)
	v_xor_b32_e32 v26, 0x80000000, v24
	v_mul_f32_e64 v25, v25, -v24
.LBB9_17:
	s_wait_alu 0xfffe
	s_or_b32 exec_lo, exec_lo, s1
	scratch_store_b64 v28, v[24:25], off
	scratch_load_b64 v[29:30], off, off offset:8
	v_xor_b32_e32 v27, 0x80000000, v25
	v_add_nc_u32_e32 v1, 0x50, v3
	s_wait_loadcnt 0x0
	ds_store_2addr_b64 v3, v[26:27], v[29:30] offset1:10
	s_wait_storecnt_dscnt 0x0
	s_barrier_signal -1
	s_barrier_wait -1
	global_inv scope:SCOPE_SE
	s_and_saveexec_b32 s1, s0
	s_cbranch_execz .LBB9_19
; %bb.18:
	scratch_load_b64 v[24:25], v28, off
	ds_load_b64 v[26:27], v1
	v_mov_b32_e32 v2, 0
	ds_load_b64 v[29:30], v2 offset:8
	s_wait_loadcnt_dscnt 0x1
	v_mul_f32_e32 v2, v26, v25
	v_mul_f32_e32 v25, v27, v25
	s_delay_alu instid0(VALU_DEP_2) | instskip(NEXT) | instid1(VALU_DEP_2)
	v_fmac_f32_e32 v2, v27, v24
	v_fma_f32 v24, v26, v24, -v25
	s_delay_alu instid0(VALU_DEP_2) | instskip(NEXT) | instid1(VALU_DEP_2)
	v_add_f32_e32 v2, 0, v2
	v_add_f32_e32 v24, 0, v24
	s_wait_dscnt 0x0
	s_delay_alu instid0(VALU_DEP_2) | instskip(NEXT) | instid1(VALU_DEP_2)
	v_mul_f32_e32 v26, v2, v30
	v_mul_f32_e32 v25, v24, v30
	s_delay_alu instid0(VALU_DEP_1) | instskip(NEXT) | instid1(VALU_DEP_3)
	v_fmac_f32_e32 v25, v2, v29
	v_fma_f32 v24, v24, v29, -v26
	scratch_store_b64 off, v[24:25], off offset:8
.LBB9_19:
	s_wait_alu 0xfffe
	s_or_b32 exec_lo, exec_lo, s1
	s_wait_loadcnt 0x0
	s_wait_storecnt 0x0
	s_barrier_signal -1
	s_barrier_wait -1
	global_inv scope:SCOPE_SE
	scratch_load_b64 v[24:25], off, off offset:16
	s_mov_b32 s1, exec_lo
	s_wait_loadcnt 0x0
	ds_store_b64 v1, v[24:25]
	s_wait_dscnt 0x0
	s_barrier_signal -1
	s_barrier_wait -1
	global_inv scope:SCOPE_SE
	v_cmpx_gt_u32_e32 2, v0
	s_cbranch_execz .LBB9_23
; %bb.20:
	scratch_load_b64 v[24:25], v28, off
	ds_load_b64 v[26:27], v1
	s_wait_loadcnt_dscnt 0x0
	v_mul_f32_e32 v2, v27, v25
	s_delay_alu instid0(VALU_DEP_1) | instskip(SKIP_1) | instid1(VALU_DEP_1)
	v_fma_f32 v2, v26, v24, -v2
	v_mul_f32_e32 v25, v26, v25
	v_dual_fmac_f32 v25, v27, v24 :: v_dual_add_f32 v24, 0, v2
	s_delay_alu instid0(VALU_DEP_1)
	v_add_f32_e32 v2, 0, v25
	s_and_saveexec_b32 s4, s0
	s_cbranch_execz .LBB9_22
; %bb.21:
	scratch_load_b64 v[25:26], off, off offset:8
	v_mov_b32_e32 v27, 0
	ds_load_b64 v[29:30], v27 offset:88
	s_wait_loadcnt_dscnt 0x0
	v_mul_f32_e32 v27, v29, v26
	v_mul_f32_e32 v26, v30, v26
	s_delay_alu instid0(VALU_DEP_2) | instskip(NEXT) | instid1(VALU_DEP_2)
	v_fmac_f32_e32 v27, v30, v25
	v_fma_f32 v25, v29, v25, -v26
	s_delay_alu instid0(VALU_DEP_2) | instskip(NEXT) | instid1(VALU_DEP_2)
	v_add_f32_e32 v2, v2, v27
	v_add_f32_e32 v24, v24, v25
.LBB9_22:
	s_wait_alu 0xfffe
	s_or_b32 exec_lo, exec_lo, s4
	v_mov_b32_e32 v25, 0
	ds_load_b64 v[25:26], v25 offset:16
	s_wait_dscnt 0x0
	v_mul_f32_e32 v29, v2, v26
	v_mul_f32_e32 v27, v24, v26
	s_delay_alu instid0(VALU_DEP_2) | instskip(NEXT) | instid1(VALU_DEP_2)
	v_fma_f32 v26, v24, v25, -v29
	v_fmac_f32_e32 v27, v2, v25
	scratch_store_b64 off, v[26:27], off offset:16
.LBB9_23:
	s_wait_alu 0xfffe
	s_or_b32 exec_lo, exec_lo, s1
	s_wait_loadcnt 0x0
	s_wait_storecnt 0x0
	s_barrier_signal -1
	s_barrier_wait -1
	global_inv scope:SCOPE_SE
	scratch_load_b64 v[24:25], off, off offset:24
	v_add_nc_u32_e32 v2, -1, v0
	s_mov_b32 s0, exec_lo
	s_wait_loadcnt 0x0
	ds_store_b64 v1, v[24:25]
	s_wait_dscnt 0x0
	s_barrier_signal -1
	s_barrier_wait -1
	global_inv scope:SCOPE_SE
	v_cmpx_gt_u32_e32 3, v0
	s_cbranch_execz .LBB9_27
; %bb.24:
	v_dual_mov_b32 v24, 0 :: v_dual_add_nc_u32 v25, -1, v0
	v_dual_mov_b32 v27, v3 :: v_dual_add_nc_u32 v26, 0x50, v3
	v_mov_b32_e32 v29, 0
	s_mov_b32 s1, 0
.LBB9_25:                               ; =>This Inner Loop Header: Depth=1
	scratch_load_b64 v[30:31], v27, off
	ds_load_b64 v[32:33], v26
	v_add_nc_u32_e32 v27, 8, v27
	v_add_nc_u32_e32 v25, 1, v25
	v_add_nc_u32_e32 v26, 8, v26
	s_delay_alu instid0(VALU_DEP_2)
	v_cmp_lt_u32_e32 vcc_lo, 1, v25
	s_wait_alu 0xfffe
	s_or_b32 s1, vcc_lo, s1
	s_wait_loadcnt_dscnt 0x0
	v_mul_f32_e32 v34, v33, v31
	v_mul_f32_e32 v31, v32, v31
	s_delay_alu instid0(VALU_DEP_2) | instskip(NEXT) | instid1(VALU_DEP_2)
	v_fma_f32 v32, v32, v30, -v34
	v_fmac_f32_e32 v31, v33, v30
	s_delay_alu instid0(VALU_DEP_1)
	v_dual_add_f32 v29, v29, v32 :: v_dual_add_f32 v24, v24, v31
	s_wait_alu 0xfffe
	s_and_not1_b32 exec_lo, exec_lo, s1
	s_cbranch_execnz .LBB9_25
; %bb.26:
	s_or_b32 exec_lo, exec_lo, s1
	v_mov_b32_e32 v25, 0
	ds_load_b64 v[25:26], v25 offset:24
	s_wait_dscnt 0x0
	v_mul_f32_e32 v30, v24, v26
	v_mul_f32_e32 v27, v29, v26
	s_delay_alu instid0(VALU_DEP_2) | instskip(NEXT) | instid1(VALU_DEP_2)
	v_fma_f32 v26, v29, v25, -v30
	v_fmac_f32_e32 v27, v24, v25
	scratch_store_b64 off, v[26:27], off offset:24
.LBB9_27:
	s_wait_alu 0xfffe
	s_or_b32 exec_lo, exec_lo, s0
	s_wait_loadcnt 0x0
	s_wait_storecnt 0x0
	s_barrier_signal -1
	s_barrier_wait -1
	global_inv scope:SCOPE_SE
	scratch_load_b64 v[24:25], off, off offset:32
	s_mov_b32 s0, exec_lo
	s_wait_loadcnt 0x0
	ds_store_b64 v1, v[24:25]
	s_wait_dscnt 0x0
	s_barrier_signal -1
	s_barrier_wait -1
	global_inv scope:SCOPE_SE
	v_cmpx_gt_u32_e32 4, v0
	s_cbranch_execz .LBB9_31
; %bb.28:
	v_dual_mov_b32 v24, 0 :: v_dual_add_nc_u32 v25, -1, v0
	v_dual_mov_b32 v27, v3 :: v_dual_add_nc_u32 v26, 0x50, v3
	v_mov_b32_e32 v29, 0
	s_mov_b32 s1, 0
.LBB9_29:                               ; =>This Inner Loop Header: Depth=1
	scratch_load_b64 v[30:31], v27, off
	ds_load_b64 v[32:33], v26
	v_add_nc_u32_e32 v27, 8, v27
	v_add_nc_u32_e32 v25, 1, v25
	v_add_nc_u32_e32 v26, 8, v26
	s_delay_alu instid0(VALU_DEP_2)
	v_cmp_lt_u32_e32 vcc_lo, 2, v25
	s_wait_alu 0xfffe
	s_or_b32 s1, vcc_lo, s1
	s_wait_loadcnt_dscnt 0x0
	v_mul_f32_e32 v34, v33, v31
	v_mul_f32_e32 v31, v32, v31
	s_delay_alu instid0(VALU_DEP_2) | instskip(NEXT) | instid1(VALU_DEP_2)
	v_fma_f32 v32, v32, v30, -v34
	v_fmac_f32_e32 v31, v33, v30
	s_delay_alu instid0(VALU_DEP_1)
	v_dual_add_f32 v29, v29, v32 :: v_dual_add_f32 v24, v24, v31
	s_wait_alu 0xfffe
	s_and_not1_b32 exec_lo, exec_lo, s1
	s_cbranch_execnz .LBB9_29
; %bb.30:
	s_or_b32 exec_lo, exec_lo, s1
	v_mov_b32_e32 v25, 0
	ds_load_b64 v[25:26], v25 offset:32
	s_wait_dscnt 0x0
	v_mul_f32_e32 v30, v24, v26
	v_mul_f32_e32 v27, v29, v26
	s_delay_alu instid0(VALU_DEP_2) | instskip(NEXT) | instid1(VALU_DEP_2)
	v_fma_f32 v26, v29, v25, -v30
	v_fmac_f32_e32 v27, v24, v25
	scratch_store_b64 off, v[26:27], off offset:32
.LBB9_31:
	s_wait_alu 0xfffe
	s_or_b32 exec_lo, exec_lo, s0
	s_wait_loadcnt 0x0
	s_wait_storecnt 0x0
	s_barrier_signal -1
	s_barrier_wait -1
	global_inv scope:SCOPE_SE
	scratch_load_b64 v[24:25], off, off offset:40
	;; [unrolled: 55-line block ×5, first 2 shown]
	s_mov_b32 s0, exec_lo
	s_wait_loadcnt 0x0
	ds_store_b64 v1, v[24:25]
	s_wait_dscnt 0x0
	s_barrier_signal -1
	s_barrier_wait -1
	global_inv scope:SCOPE_SE
	v_cmpx_gt_u32_e32 8, v0
	s_cbranch_execz .LBB9_47
; %bb.44:
	v_add_nc_u32_e32 v24, -1, v0
	v_dual_mov_b32 v26, v3 :: v_dual_add_nc_u32 v25, 0x50, v3
	v_mov_b32_e32 v3, 0
	v_mov_b32_e32 v27, 0
	s_mov_b32 s1, 0
.LBB9_45:                               ; =>This Inner Loop Header: Depth=1
	scratch_load_b64 v[29:30], v26, off
	ds_load_b64 v[31:32], v25
	v_add_nc_u32_e32 v26, 8, v26
	v_add_nc_u32_e32 v24, 1, v24
	;; [unrolled: 1-line block ×3, first 2 shown]
	s_delay_alu instid0(VALU_DEP_2)
	v_cmp_lt_u32_e32 vcc_lo, 6, v24
	s_wait_alu 0xfffe
	s_or_b32 s1, vcc_lo, s1
	s_wait_loadcnt_dscnt 0x0
	v_mul_f32_e32 v33, v32, v30
	v_mul_f32_e32 v30, v31, v30
	s_delay_alu instid0(VALU_DEP_2) | instskip(NEXT) | instid1(VALU_DEP_1)
	v_fma_f32 v31, v31, v29, -v33
	v_dual_fmac_f32 v30, v32, v29 :: v_dual_add_f32 v27, v27, v31
	s_delay_alu instid0(VALU_DEP_1)
	v_add_f32_e32 v3, v3, v30
	s_wait_alu 0xfffe
	s_and_not1_b32 exec_lo, exec_lo, s1
	s_cbranch_execnz .LBB9_45
; %bb.46:
	s_or_b32 exec_lo, exec_lo, s1
	v_mov_b32_e32 v24, 0
	ds_load_b64 v[24:25], v24 offset:64
	s_wait_dscnt 0x0
	v_mul_f32_e32 v29, v3, v25
	v_mul_f32_e32 v26, v27, v25
	s_delay_alu instid0(VALU_DEP_2) | instskip(NEXT) | instid1(VALU_DEP_2)
	v_fma_f32 v25, v27, v24, -v29
	v_fmac_f32_e32 v26, v3, v24
	scratch_store_b64 off, v[25:26], off offset:64
.LBB9_47:
	s_wait_alu 0xfffe
	s_or_b32 exec_lo, exec_lo, s0
	s_wait_loadcnt 0x0
	s_wait_storecnt 0x0
	s_barrier_signal -1
	s_barrier_wait -1
	global_inv scope:SCOPE_SE
	scratch_load_b64 v[24:25], off, off offset:72
	s_mov_b32 s0, exec_lo
	s_wait_loadcnt 0x0
	ds_store_b64 v1, v[24:25]
	s_wait_dscnt 0x0
	s_barrier_signal -1
	s_barrier_wait -1
	global_inv scope:SCOPE_SE
	v_cmpx_ne_u32_e32 9, v0
	s_cbranch_execz .LBB9_51
; %bb.48:
	v_dual_mov_b32 v3, 0 :: v_dual_mov_b32 v24, 0
	s_mov_b32 s1, 0
.LBB9_49:                               ; =>This Inner Loop Header: Depth=1
	scratch_load_b64 v[25:26], v28, off
	ds_load_b64 v[29:30], v1
	v_add_nc_u32_e32 v2, 1, v2
	v_add_nc_u32_e32 v1, 8, v1
	;; [unrolled: 1-line block ×3, first 2 shown]
	s_delay_alu instid0(VALU_DEP_3)
	v_cmp_lt_u32_e32 vcc_lo, 7, v2
	s_wait_alu 0xfffe
	s_or_b32 s1, vcc_lo, s1
	s_wait_loadcnt_dscnt 0x0
	v_mul_f32_e32 v27, v30, v26
	v_mul_f32_e32 v26, v29, v26
	s_delay_alu instid0(VALU_DEP_2) | instskip(NEXT) | instid1(VALU_DEP_2)
	v_fma_f32 v27, v29, v25, -v27
	v_fmac_f32_e32 v26, v30, v25
	s_delay_alu instid0(VALU_DEP_1)
	v_dual_add_f32 v24, v24, v27 :: v_dual_add_f32 v3, v3, v26
	s_wait_alu 0xfffe
	s_and_not1_b32 exec_lo, exec_lo, s1
	s_cbranch_execnz .LBB9_49
; %bb.50:
	s_or_b32 exec_lo, exec_lo, s1
	v_mov_b32_e32 v1, 0
	ds_load_b64 v[1:2], v1 offset:72
	s_wait_dscnt 0x0
	v_mul_f32_e32 v26, v3, v2
	v_mul_f32_e32 v25, v24, v2
	s_delay_alu instid0(VALU_DEP_2) | instskip(NEXT) | instid1(VALU_DEP_2)
	v_fma_f32 v24, v24, v1, -v26
	v_fmac_f32_e32 v25, v3, v1
	scratch_store_b64 off, v[24:25], off offset:72
.LBB9_51:
	s_wait_alu 0xfffe
	s_or_b32 exec_lo, exec_lo, s0
	s_mov_b32 s1, -1
	s_wait_loadcnt 0x0
	s_wait_storecnt 0x0
	s_barrier_signal -1
	s_barrier_wait -1
	global_inv scope:SCOPE_SE
.LBB9_52:
	s_wait_alu 0xfffe
	s_and_b32 vcc_lo, exec_lo, s1
	s_wait_alu 0xfffe
	s_cbranch_vccz .LBB9_54
; %bb.53:
	v_mov_b32_e32 v1, 0
	s_lshl_b64 s[0:1], s[16:17], 2
	s_wait_alu 0xfffe
	s_add_nc_u64 s[0:1], s[6:7], s[0:1]
	global_load_b32 v1, v1, s[0:1]
	s_wait_loadcnt 0x0
	v_cmp_ne_u32_e32 vcc_lo, 0, v1
	s_cbranch_vccz .LBB9_55
.LBB9_54:
	s_endpgm
.LBB9_55:
	v_lshl_add_u32 v3, v0, 3, 0x50
	s_mov_b32 s0, exec_lo
	v_cmpx_eq_u32_e32 9, v0
	s_cbranch_execz .LBB9_57
; %bb.56:
	scratch_load_b64 v[1:2], off, off offset:64
	v_mov_b32_e32 v24, 0
	s_delay_alu instid0(VALU_DEP_1)
	v_mov_b32_e32 v25, v24
	scratch_store_b64 off, v[24:25], off offset:64
	s_wait_loadcnt 0x0
	ds_store_b64 v3, v[1:2]
.LBB9_57:
	s_wait_alu 0xfffe
	s_or_b32 exec_lo, exec_lo, s0
	s_wait_storecnt_dscnt 0x0
	s_barrier_signal -1
	s_barrier_wait -1
	global_inv scope:SCOPE_SE
	s_clause 0x1
	scratch_load_b64 v[24:25], off, off offset:72
	scratch_load_b64 v[26:27], off, off offset:64
	v_mov_b32_e32 v1, 0
	s_mov_b32 s0, exec_lo
	ds_load_b64 v[28:29], v1 offset:152
	s_wait_loadcnt_dscnt 0x100
	v_mul_f32_e32 v2, v29, v25
	s_delay_alu instid0(VALU_DEP_1) | instskip(NEXT) | instid1(VALU_DEP_1)
	v_fma_f32 v2, v28, v24, -v2
	v_dual_mul_f32 v25, v28, v25 :: v_dual_add_f32 v2, 0, v2
	s_wait_loadcnt 0x0
	s_delay_alu instid0(VALU_DEP_1) | instskip(NEXT) | instid1(VALU_DEP_1)
	v_dual_fmac_f32 v25, v29, v24 :: v_dual_sub_f32 v24, v26, v2
	v_add_f32_e32 v25, 0, v25
	s_delay_alu instid0(VALU_DEP_1)
	v_sub_f32_e32 v25, v27, v25
	scratch_store_b64 off, v[24:25], off offset:64
	v_cmpx_lt_u32_e32 7, v0
	s_cbranch_execz .LBB9_59
; %bb.58:
	scratch_load_b64 v[24:25], off, off offset:56
	v_mov_b32_e32 v2, v1
	scratch_store_b64 off, v[1:2], off offset:56
	s_wait_loadcnt 0x0
	ds_store_b64 v3, v[24:25]
.LBB9_59:
	s_wait_alu 0xfffe
	s_or_b32 exec_lo, exec_lo, s0
	s_wait_storecnt_dscnt 0x0
	s_barrier_signal -1
	s_barrier_wait -1
	global_inv scope:SCOPE_SE
	s_clause 0x1
	scratch_load_b128 v[24:27], off, off offset:64
	scratch_load_b64 v[32:33], off, off offset:56
	ds_load_b128 v[28:31], v1 offset:144
	s_mov_b32 s0, exec_lo
	s_wait_loadcnt_dscnt 0x100
	v_mul_f32_e32 v2, v28, v25
	s_delay_alu instid0(VALU_DEP_1) | instskip(SKIP_2) | instid1(VALU_DEP_1)
	v_fmac_f32_e32 v2, v29, v24
	v_mul_f32_e32 v1, v29, v25
	v_mul_f32_e32 v25, v30, v27
	v_fmac_f32_e32 v25, v31, v26
	s_delay_alu instid0(VALU_DEP_4) | instskip(NEXT) | instid1(VALU_DEP_4)
	v_dual_add_f32 v2, 0, v2 :: v_dual_mul_f32 v27, v31, v27
	v_fma_f32 v1, v28, v24, -v1
	s_delay_alu instid0(VALU_DEP_2) | instskip(NEXT) | instid1(VALU_DEP_3)
	v_add_f32_e32 v2, v2, v25
	v_fma_f32 v24, v30, v26, -v27
	s_wait_loadcnt 0x0
	s_delay_alu instid0(VALU_DEP_2) | instskip(NEXT) | instid1(VALU_DEP_1)
	v_dual_add_f32 v1, 0, v1 :: v_dual_sub_f32 v2, v33, v2
	v_add_f32_e32 v1, v1, v24
	s_delay_alu instid0(VALU_DEP_1)
	v_sub_f32_e32 v1, v32, v1
	scratch_store_b64 off, v[1:2], off offset:56
	v_cmpx_lt_u32_e32 6, v0
	s_cbranch_execz .LBB9_61
; %bb.60:
	scratch_load_b64 v[1:2], off, off offset:48
	v_mov_b32_e32 v24, 0
	s_delay_alu instid0(VALU_DEP_1)
	v_mov_b32_e32 v25, v24
	scratch_store_b64 off, v[24:25], off offset:48
	s_wait_loadcnt 0x0
	ds_store_b64 v3, v[1:2]
.LBB9_61:
	s_wait_alu 0xfffe
	s_or_b32 exec_lo, exec_lo, s0
	s_wait_storecnt_dscnt 0x0
	s_barrier_signal -1
	s_barrier_wait -1
	global_inv scope:SCOPE_SE
	s_clause 0x2
	scratch_load_b128 v[24:27], off, off offset:56
	scratch_load_b64 v[32:33], off, off offset:72
	scratch_load_b64 v[34:35], off, off offset:48
	v_mov_b32_e32 v1, 0
	ds_load_2addr_b64 v[28:31], v1 offset0:17 offset1:18
	ds_load_b64 v[36:37], v1 offset:152
	s_mov_b32 s0, exec_lo
	s_wait_loadcnt_dscnt 0x201
	v_mul_f32_e32 v2, v29, v25
	v_dual_mul_f32 v25, v28, v25 :: v_dual_mul_f32 v38, v30, v27
	v_mul_f32_e32 v27, v31, v27
	s_wait_loadcnt_dscnt 0x100
	v_mul_f32_e32 v39, v36, v33
	v_fma_f32 v2, v28, v24, -v2
	v_fmac_f32_e32 v25, v29, v24
	v_mul_f32_e32 v24, v37, v33
	v_fmac_f32_e32 v38, v31, v26
	v_fma_f32 v26, v30, v26, -v27
	s_delay_alu instid0(VALU_DEP_4) | instskip(NEXT) | instid1(VALU_DEP_4)
	v_dual_add_f32 v2, 0, v2 :: v_dual_add_f32 v25, 0, v25
	v_fma_f32 v24, v36, v32, -v24
	s_delay_alu instid0(VALU_DEP_2) | instskip(NEXT) | instid1(VALU_DEP_1)
	v_add_f32_e32 v2, v2, v26
	v_dual_add_f32 v25, v25, v38 :: v_dual_add_f32 v2, v2, v24
	s_wait_loadcnt 0x0
	s_delay_alu instid0(VALU_DEP_1) | instskip(NEXT) | instid1(VALU_DEP_1)
	v_dual_fmac_f32 v39, v37, v32 :: v_dual_sub_f32 v24, v34, v2
	v_add_f32_e32 v25, v25, v39
	s_delay_alu instid0(VALU_DEP_1)
	v_sub_f32_e32 v25, v35, v25
	scratch_store_b64 off, v[24:25], off offset:48
	v_cmpx_lt_u32_e32 5, v0
	s_cbranch_execz .LBB9_63
; %bb.62:
	scratch_load_b64 v[24:25], off, off offset:40
	v_mov_b32_e32 v2, v1
	scratch_store_b64 off, v[1:2], off offset:40
	s_wait_loadcnt 0x0
	ds_store_b64 v3, v[24:25]
.LBB9_63:
	s_wait_alu 0xfffe
	s_or_b32 exec_lo, exec_lo, s0
	s_wait_storecnt_dscnt 0x0
	s_barrier_signal -1
	s_barrier_wait -1
	global_inv scope:SCOPE_SE
	s_clause 0x2
	scratch_load_b128 v[24:27], off, off offset:48
	scratch_load_b128 v[28:31], off, off offset:64
	scratch_load_b64 v[40:41], off, off offset:40
	ds_load_b128 v[32:35], v1 offset:128
	ds_load_b128 v[36:39], v1 offset:144
	s_mov_b32 s0, exec_lo
	s_wait_loadcnt_dscnt 0x201
	v_mul_f32_e32 v2, v33, v25
	s_wait_loadcnt_dscnt 0x100
	v_dual_mul_f32 v42, v36, v29 :: v_dual_mul_f32 v43, v38, v31
	s_delay_alu instid0(VALU_DEP_2) | instskip(SKIP_2) | instid1(VALU_DEP_4)
	v_fma_f32 v2, v32, v24, -v2
	v_mul_f32_e32 v1, v32, v25
	v_mul_f32_e32 v25, v34, v27
	v_dual_mul_f32 v27, v35, v27 :: v_dual_fmac_f32 v42, v37, v28
	s_delay_alu instid0(VALU_DEP_3) | instskip(NEXT) | instid1(VALU_DEP_3)
	v_dual_add_f32 v2, 0, v2 :: v_dual_fmac_f32 v1, v33, v24
	v_dual_mul_f32 v24, v37, v29 :: v_dual_fmac_f32 v25, v35, v26
	s_delay_alu instid0(VALU_DEP_3) | instskip(SKIP_1) | instid1(VALU_DEP_3)
	v_fma_f32 v26, v34, v26, -v27
	v_fmac_f32_e32 v43, v39, v30
	v_fma_f32 v24, v36, v28, -v24
	s_delay_alu instid0(VALU_DEP_3) | instskip(NEXT) | instid1(VALU_DEP_1)
	v_dual_add_f32 v2, v2, v26 :: v_dual_add_f32 v1, 0, v1
	v_dual_add_f32 v2, v2, v24 :: v_dual_mul_f32 v27, v39, v31
	s_delay_alu instid0(VALU_DEP_2) | instskip(NEXT) | instid1(VALU_DEP_2)
	v_add_f32_e32 v1, v1, v25
	v_fma_f32 v25, v38, v30, -v27
	s_delay_alu instid0(VALU_DEP_1) | instskip(SKIP_1) | instid1(VALU_DEP_1)
	v_dual_add_f32 v1, v1, v42 :: v_dual_add_f32 v2, v2, v25
	s_wait_loadcnt 0x0
	v_dual_add_f32 v24, v1, v43 :: v_dual_sub_f32 v1, v40, v2
	s_delay_alu instid0(VALU_DEP_1)
	v_sub_f32_e32 v2, v41, v24
	scratch_store_b64 off, v[1:2], off offset:40
	v_cmpx_lt_u32_e32 4, v0
	s_cbranch_execz .LBB9_65
; %bb.64:
	scratch_load_b64 v[1:2], off, off offset:32
	v_mov_b32_e32 v24, 0
	s_delay_alu instid0(VALU_DEP_1)
	v_mov_b32_e32 v25, v24
	scratch_store_b64 off, v[24:25], off offset:32
	s_wait_loadcnt 0x0
	ds_store_b64 v3, v[1:2]
.LBB9_65:
	s_wait_alu 0xfffe
	s_or_b32 exec_lo, exec_lo, s0
	s_wait_storecnt_dscnt 0x0
	s_barrier_signal -1
	s_barrier_wait -1
	global_inv scope:SCOPE_SE
	s_clause 0x3
	scratch_load_b128 v[24:27], off, off offset:40
	scratch_load_b128 v[28:31], off, off offset:56
	scratch_load_b64 v[40:41], off, off offset:72
	scratch_load_b64 v[42:43], off, off offset:32
	v_mov_b32_e32 v1, 0
	ds_load_2addr_b64 v[32:35], v1 offset0:15 offset1:16
	ds_load_2addr_b64 v[36:39], v1 offset0:17 offset1:18
	ds_load_b64 v[44:45], v1 offset:152
	s_mov_b32 s0, exec_lo
	s_wait_loadcnt_dscnt 0x302
	v_mul_f32_e32 v2, v32, v25
	v_dual_mul_f32 v46, v34, v27 :: v_dual_mul_f32 v25, v33, v25
	s_wait_loadcnt_dscnt 0x100
	v_mul_f32_e32 v49, v44, v41
	v_dual_mul_f32 v47, v36, v29 :: v_dual_mul_f32 v48, v38, v31
	v_dual_fmac_f32 v2, v33, v24 :: v_dual_mul_f32 v27, v35, v27
	v_fma_f32 v25, v32, v24, -v25
	v_fmac_f32_e32 v46, v35, v26
	v_mul_f32_e32 v24, v37, v29
	s_delay_alu instid0(VALU_DEP_4) | instskip(SKIP_3) | instid1(VALU_DEP_4)
	v_add_f32_e32 v2, 0, v2
	v_fma_f32 v26, v34, v26, -v27
	v_add_f32_e32 v25, 0, v25
	v_mul_f32_e32 v27, v39, v31
	v_dual_fmac_f32 v47, v37, v28 :: v_dual_add_f32 v2, v2, v46
	v_dual_fmac_f32 v48, v39, v30 :: v_dual_fmac_f32 v49, v45, v40
	s_delay_alu instid0(VALU_DEP_4) | instskip(SKIP_1) | instid1(VALU_DEP_4)
	v_add_f32_e32 v25, v25, v26
	v_fma_f32 v24, v36, v28, -v24
	v_add_f32_e32 v2, v2, v47
	v_fma_f32 v27, v38, v30, -v27
	s_delay_alu instid0(VALU_DEP_3) | instskip(NEXT) | instid1(VALU_DEP_3)
	v_add_f32_e32 v24, v25, v24
	v_add_f32_e32 v2, v2, v48
	s_delay_alu instid0(VALU_DEP_2) | instskip(NEXT) | instid1(VALU_DEP_2)
	v_add_f32_e32 v24, v24, v27
	v_add_f32_e32 v2, v2, v49
	v_mul_f32_e32 v26, v45, v41
	s_delay_alu instid0(VALU_DEP_1) | instskip(SKIP_1) | instid1(VALU_DEP_1)
	v_fma_f32 v25, v44, v40, -v26
	s_wait_loadcnt 0x0
	v_dual_add_f32 v24, v24, v25 :: v_dual_sub_f32 v25, v43, v2
	s_delay_alu instid0(VALU_DEP_1)
	v_sub_f32_e32 v24, v42, v24
	scratch_store_b64 off, v[24:25], off offset:32
	v_cmpx_lt_u32_e32 3, v0
	s_cbranch_execz .LBB9_67
; %bb.66:
	scratch_load_b64 v[24:25], off, off offset:24
	v_mov_b32_e32 v2, v1
	scratch_store_b64 off, v[1:2], off offset:24
	s_wait_loadcnt 0x0
	ds_store_b64 v3, v[24:25]
.LBB9_67:
	s_wait_alu 0xfffe
	s_or_b32 exec_lo, exec_lo, s0
	s_wait_storecnt_dscnt 0x0
	s_barrier_signal -1
	s_barrier_wait -1
	global_inv scope:SCOPE_SE
	s_clause 0x3
	scratch_load_b128 v[24:27], off, off offset:32
	scratch_load_b128 v[28:31], off, off offset:48
	;; [unrolled: 1-line block ×3, first 2 shown]
	scratch_load_b64 v[48:49], off, off offset:24
	ds_load_b128 v[36:39], v1 offset:112
	ds_load_b128 v[40:43], v1 offset:128
	;; [unrolled: 1-line block ×3, first 2 shown]
	s_mov_b32 s0, exec_lo
	s_wait_loadcnt_dscnt 0x302
	v_dual_mul_f32 v1, v36, v25 :: v_dual_mul_f32 v2, v38, v27
	v_mul_f32_e32 v25, v37, v25
	s_wait_loadcnt_dscnt 0x201
	v_dual_mul_f32 v27, v39, v27 :: v_dual_mul_f32 v50, v40, v29
	s_delay_alu instid0(VALU_DEP_3) | instskip(NEXT) | instid1(VALU_DEP_3)
	v_dual_mul_f32 v51, v42, v31 :: v_dual_fmac_f32 v2, v39, v26
	v_fma_f32 v25, v36, v24, -v25
	v_fmac_f32_e32 v1, v37, v24
	v_mul_f32_e32 v24, v41, v29
	v_fma_f32 v26, v38, v26, -v27
	v_mul_f32_e32 v27, v43, v31
	v_dual_add_f32 v25, 0, v25 :: v_dual_fmac_f32 v50, v41, v28
	s_delay_alu instid0(VALU_DEP_4) | instskip(SKIP_2) | instid1(VALU_DEP_3)
	v_fma_f32 v24, v40, v28, -v24
	s_wait_loadcnt_dscnt 0x100
	v_dual_mul_f32 v52, v44, v33 :: v_dual_mul_f32 v53, v46, v35
	v_add_f32_e32 v25, v25, v26
	v_fmac_f32_e32 v51, v43, v30
	v_fma_f32 v26, v42, v30, -v27
	s_delay_alu instid0(VALU_DEP_4) | instskip(NEXT) | instid1(VALU_DEP_4)
	v_dual_fmac_f32 v52, v45, v32 :: v_dual_fmac_f32 v53, v47, v34
	v_add_f32_e32 v24, v25, v24
	s_delay_alu instid0(VALU_DEP_1) | instskip(SKIP_1) | instid1(VALU_DEP_1)
	v_dual_add_f32 v24, v24, v26 :: v_dual_add_f32 v1, 0, v1
	v_mul_f32_e32 v25, v47, v35
	v_fma_f32 v25, v46, v34, -v25
	s_delay_alu instid0(VALU_DEP_3) | instskip(SKIP_1) | instid1(VALU_DEP_1)
	v_add_f32_e32 v1, v1, v2
	v_mul_f32_e32 v2, v45, v33
	v_fma_f32 v2, v44, v32, -v2
	s_delay_alu instid0(VALU_DEP_1) | instskip(NEXT) | instid1(VALU_DEP_1)
	v_add_f32_e32 v2, v24, v2
	v_dual_add_f32 v2, v2, v25 :: v_dual_add_f32 v1, v1, v50
	s_delay_alu instid0(VALU_DEP_1) | instskip(NEXT) | instid1(VALU_DEP_1)
	v_add_f32_e32 v1, v1, v51
	v_add_f32_e32 v1, v1, v52
	s_wait_loadcnt 0x0
	s_delay_alu instid0(VALU_DEP_1) | instskip(NEXT) | instid1(VALU_DEP_1)
	v_dual_add_f32 v24, v1, v53 :: v_dual_sub_f32 v1, v48, v2
	v_sub_f32_e32 v2, v49, v24
	scratch_store_b64 off, v[1:2], off offset:24
	v_cmpx_lt_u32_e32 2, v0
	s_cbranch_execz .LBB9_69
; %bb.68:
	scratch_load_b64 v[1:2], off, off offset:16
	v_mov_b32_e32 v24, 0
	s_delay_alu instid0(VALU_DEP_1)
	v_mov_b32_e32 v25, v24
	scratch_store_b64 off, v[24:25], off offset:16
	s_wait_loadcnt 0x0
	ds_store_b64 v3, v[1:2]
.LBB9_69:
	s_wait_alu 0xfffe
	s_or_b32 exec_lo, exec_lo, s0
	s_wait_storecnt_dscnt 0x0
	s_barrier_signal -1
	s_barrier_wait -1
	global_inv scope:SCOPE_SE
	s_clause 0x4
	scratch_load_b128 v[24:27], off, off offset:24
	scratch_load_b128 v[28:31], off, off offset:40
	scratch_load_b128 v[32:35], off, off offset:56
	scratch_load_b64 v[48:49], off, off offset:72
	scratch_load_b64 v[50:51], off, off offset:16
	v_mov_b32_e32 v1, 0
	ds_load_2addr_b64 v[36:39], v1 offset0:13 offset1:14
	ds_load_2addr_b64 v[40:43], v1 offset0:15 offset1:16
	;; [unrolled: 1-line block ×3, first 2 shown]
	ds_load_b64 v[52:53], v1 offset:152
	s_mov_b32 s0, exec_lo
	s_wait_loadcnt_dscnt 0x403
	v_mul_f32_e32 v2, v36, v25
	s_wait_loadcnt_dscnt 0x302
	v_dual_mul_f32 v54, v38, v27 :: v_dual_mul_f32 v55, v40, v29
	v_dual_mul_f32 v56, v42, v31 :: v_dual_mul_f32 v25, v37, v25
	s_wait_loadcnt_dscnt 0x100
	v_dual_mul_f32 v59, v52, v49 :: v_dual_fmac_f32 v2, v37, v24
	v_mul_f32_e32 v27, v39, v27
	v_dual_mul_f32 v57, v44, v33 :: v_dual_mul_f32 v58, v46, v35
	v_fma_f32 v25, v36, v24, -v25
	v_fmac_f32_e32 v54, v39, v26
	v_add_f32_e32 v2, 0, v2
	v_mul_f32_e32 v24, v41, v29
	v_fma_f32 v26, v38, v26, -v27
	v_add_f32_e32 v25, 0, v25
	v_mul_f32_e32 v27, v43, v31
	v_dual_fmac_f32 v55, v41, v28 :: v_dual_add_f32 v2, v2, v54
	v_dual_fmac_f32 v56, v43, v30 :: v_dual_fmac_f32 v57, v45, v32
	s_delay_alu instid0(VALU_DEP_4) | instskip(SKIP_1) | instid1(VALU_DEP_4)
	v_add_f32_e32 v25, v25, v26
	v_dual_fmac_f32 v58, v47, v34 :: v_dual_fmac_f32 v59, v53, v48
	v_add_f32_e32 v2, v2, v55
	v_fma_f32 v24, v40, v28, -v24
	v_mul_f32_e32 v26, v45, v33
	v_fma_f32 v27, v42, v30, -v27
	s_delay_alu instid0(VALU_DEP_4) | instskip(NEXT) | instid1(VALU_DEP_1)
	v_add_f32_e32 v2, v2, v56
	v_add_f32_e32 v2, v2, v57
	s_delay_alu instid0(VALU_DEP_1) | instskip(NEXT) | instid1(VALU_DEP_1)
	v_add_f32_e32 v2, v2, v58
	v_add_f32_e32 v2, v2, v59
	v_dual_add_f32 v24, v25, v24 :: v_dual_mul_f32 v25, v47, v35
	v_fma_f32 v26, v44, v32, -v26
	s_delay_alu instid0(VALU_DEP_2) | instskip(NEXT) | instid1(VALU_DEP_3)
	v_dual_add_f32 v24, v24, v27 :: v_dual_mul_f32 v27, v53, v49
	v_fma_f32 v25, v46, v34, -v25
	s_delay_alu instid0(VALU_DEP_2) | instskip(NEXT) | instid1(VALU_DEP_3)
	v_add_f32_e32 v24, v24, v26
	v_fma_f32 v26, v52, v48, -v27
	s_wait_loadcnt 0x0
	s_delay_alu instid0(VALU_DEP_2) | instskip(NEXT) | instid1(VALU_DEP_1)
	v_dual_add_f32 v24, v24, v25 :: v_dual_sub_f32 v25, v51, v2
	v_add_f32_e32 v24, v24, v26
	s_delay_alu instid0(VALU_DEP_1)
	v_sub_f32_e32 v24, v50, v24
	scratch_store_b64 off, v[24:25], off offset:16
	v_cmpx_lt_u32_e32 1, v0
	s_cbranch_execz .LBB9_71
; %bb.70:
	scratch_load_b64 v[24:25], off, off offset:8
	v_mov_b32_e32 v2, v1
	scratch_store_b64 off, v[1:2], off offset:8
	s_wait_loadcnt 0x0
	ds_store_b64 v3, v[24:25]
.LBB9_71:
	s_wait_alu 0xfffe
	s_or_b32 exec_lo, exec_lo, s0
	s_wait_storecnt_dscnt 0x0
	s_barrier_signal -1
	s_barrier_wait -1
	global_inv scope:SCOPE_SE
	s_clause 0x4
	scratch_load_b128 v[24:27], off, off offset:16
	scratch_load_b128 v[28:31], off, off offset:32
	;; [unrolled: 1-line block ×4, first 2 shown]
	scratch_load_b64 v[56:57], off, off offset:8
	ds_load_b128 v[40:43], v1 offset:96
	ds_load_b128 v[44:47], v1 offset:112
	;; [unrolled: 1-line block ×4, first 2 shown]
	s_mov_b32 s0, exec_lo
	s_wait_loadcnt_dscnt 0x403
	v_dual_mul_f32 v1, v40, v25 :: v_dual_mul_f32 v2, v42, v27
	v_mul_f32_e32 v25, v41, v25
	s_wait_loadcnt_dscnt 0x302
	v_dual_mul_f32 v27, v43, v27 :: v_dual_mul_f32 v58, v44, v29
	s_delay_alu instid0(VALU_DEP_3) | instskip(NEXT) | instid1(VALU_DEP_3)
	v_dual_mul_f32 v59, v46, v31 :: v_dual_fmac_f32 v2, v43, v26
	v_fma_f32 v25, v40, v24, -v25
	v_fmac_f32_e32 v1, v41, v24
	v_mul_f32_e32 v24, v45, v29
	v_fma_f32 v26, v42, v26, -v27
	v_mul_f32_e32 v27, v47, v31
	v_dual_add_f32 v25, 0, v25 :: v_dual_fmac_f32 v58, v45, v28
	s_delay_alu instid0(VALU_DEP_4) | instskip(SKIP_2) | instid1(VALU_DEP_3)
	v_fma_f32 v24, v44, v28, -v24
	s_wait_loadcnt_dscnt 0x201
	v_dual_mul_f32 v60, v48, v33 :: v_dual_mul_f32 v61, v50, v35
	v_add_f32_e32 v25, v25, v26
	v_fmac_f32_e32 v59, v47, v30
	v_fma_f32 v26, v46, v30, -v27
	s_wait_loadcnt_dscnt 0x100
	v_dual_mul_f32 v62, v52, v37 :: v_dual_mul_f32 v63, v54, v39
	v_dual_add_f32 v24, v25, v24 :: v_dual_mul_f32 v25, v51, v35
	v_dual_fmac_f32 v60, v49, v32 :: v_dual_fmac_f32 v61, v51, v34
	s_delay_alu instid0(VALU_DEP_3) | instskip(NEXT) | instid1(VALU_DEP_3)
	v_fmac_f32_e32 v62, v53, v36
	v_dual_add_f32 v24, v24, v26 :: v_dual_add_f32 v1, 0, v1
	v_mul_f32_e32 v26, v53, v37
	v_fma_f32 v25, v50, v34, -v25
	v_fmac_f32_e32 v63, v55, v38
	s_delay_alu instid0(VALU_DEP_4) | instskip(SKIP_2) | instid1(VALU_DEP_2)
	v_add_f32_e32 v1, v1, v2
	v_mul_f32_e32 v2, v49, v33
	v_fma_f32 v26, v52, v36, -v26
	v_fma_f32 v2, v48, v32, -v2
	s_delay_alu instid0(VALU_DEP_1) | instskip(SKIP_1) | instid1(VALU_DEP_2)
	v_add_f32_e32 v2, v24, v2
	v_mul_f32_e32 v24, v55, v39
	v_add_f32_e32 v2, v2, v25
	s_delay_alu instid0(VALU_DEP_2) | instskip(NEXT) | instid1(VALU_DEP_2)
	v_fma_f32 v24, v54, v38, -v24
	v_add_f32_e32 v2, v2, v26
	s_delay_alu instid0(VALU_DEP_1) | instskip(NEXT) | instid1(VALU_DEP_1)
	v_dual_add_f32 v1, v1, v58 :: v_dual_add_f32 v2, v2, v24
	v_add_f32_e32 v1, v1, v59
	s_delay_alu instid0(VALU_DEP_1) | instskip(NEXT) | instid1(VALU_DEP_1)
	v_add_f32_e32 v1, v1, v60
	v_add_f32_e32 v1, v1, v61
	s_delay_alu instid0(VALU_DEP_1) | instskip(SKIP_1) | instid1(VALU_DEP_1)
	v_add_f32_e32 v1, v1, v62
	s_wait_loadcnt 0x0
	v_dual_add_f32 v24, v1, v63 :: v_dual_sub_f32 v1, v56, v2
	s_delay_alu instid0(VALU_DEP_1)
	v_sub_f32_e32 v2, v57, v24
	scratch_store_b64 off, v[1:2], off offset:8
	v_cmpx_ne_u32_e32 0, v0
	s_cbranch_execz .LBB9_73
; %bb.72:
	scratch_load_b64 v[0:1], off, off
	v_mov_b32_e32 v24, 0
	s_delay_alu instid0(VALU_DEP_1)
	v_mov_b32_e32 v25, v24
	scratch_store_b64 off, v[24:25], off
	s_wait_loadcnt 0x0
	ds_store_b64 v3, v[0:1]
.LBB9_73:
	s_wait_alu 0xfffe
	s_or_b32 exec_lo, exec_lo, s0
	s_wait_storecnt_dscnt 0x0
	s_barrier_signal -1
	s_barrier_wait -1
	global_inv scope:SCOPE_SE
	s_clause 0x5
	scratch_load_b128 v[25:28], off, off offset:8
	scratch_load_b128 v[29:32], off, off offset:24
	;; [unrolled: 1-line block ×4, first 2 shown]
	scratch_load_b64 v[53:54], off, off offset:72
	scratch_load_b64 v[55:56], off, off
	v_mov_b32_e32 v24, 0
	ds_load_2addr_b64 v[37:40], v24 offset0:11 offset1:12
	ds_load_2addr_b64 v[41:44], v24 offset0:13 offset1:14
	;; [unrolled: 1-line block ×4, first 2 shown]
	ds_load_b64 v[57:58], v24 offset:152
	s_and_b32 vcc_lo, exec_lo, s18
	s_wait_loadcnt_dscnt 0x504
	v_dual_mul_f32 v59, v37, v26 :: v_dual_mul_f32 v60, v39, v28
	s_wait_loadcnt_dscnt 0x403
	v_dual_mul_f32 v61, v41, v30 :: v_dual_mul_f32 v28, v40, v28
	;; [unrolled: 2-line block ×3, first 2 shown]
	v_dual_fmac_f32 v59, v38, v25 :: v_dual_fmac_f32 v60, v40, v27
	s_delay_alu instid0(VALU_DEP_3)
	v_fmac_f32_e32 v61, v42, v29
	v_fma_f32 v27, v39, v27, -v28
	s_wait_loadcnt_dscnt 0x201
	v_dual_mul_f32 v64, v47, v36 :: v_dual_mul_f32 v65, v49, v1
	v_add_f32_e32 v28, 0, v59
	v_mul_f32_e32 v26, v38, v26
	v_dual_fmac_f32 v62, v44, v31 :: v_dual_fmac_f32 v63, v46, v33
	s_wait_loadcnt_dscnt 0x100
	v_dual_mul_f32 v66, v51, v3 :: v_dual_mul_f32 v67, v57, v54
	s_delay_alu instid0(VALU_DEP_3) | instskip(SKIP_2) | instid1(VALU_DEP_3)
	v_fma_f32 v26, v37, v25, -v26
	v_dual_mul_f32 v25, v42, v30 :: v_dual_mul_f32 v30, v44, v32
	v_dual_mul_f32 v1, v50, v1 :: v_dual_fmac_f32 v64, v48, v35
	v_add_f32_e32 v26, 0, v26
	s_delay_alu instid0(VALU_DEP_3) | instskip(NEXT) | instid1(VALU_DEP_4)
	v_fma_f32 v25, v41, v29, -v25
	v_fma_f32 v29, v43, v31, -v30
	v_dual_fmac_f32 v66, v52, v2 :: v_dual_fmac_f32 v67, v58, v53
	s_delay_alu instid0(VALU_DEP_4) | instskip(SKIP_2) | instid1(VALU_DEP_3)
	v_add_f32_e32 v26, v26, v27
	v_fmac_f32_e32 v65, v50, v0
	v_fma_f32 v0, v49, v0, -v1
	v_add_f32_e32 v25, v26, v25
	v_add_f32_e32 v27, v28, v60
	s_delay_alu instid0(VALU_DEP_2) | instskip(NEXT) | instid1(VALU_DEP_2)
	v_add_f32_e32 v25, v25, v29
	v_dual_add_f32 v26, v27, v61 :: v_dual_mul_f32 v27, v48, v36
	s_delay_alu instid0(VALU_DEP_1) | instskip(SKIP_1) | instid1(VALU_DEP_1)
	v_fma_f32 v27, v47, v35, -v27
	v_mul_f32_e32 v28, v46, v34
	v_fma_f32 v28, v45, v33, -v28
	s_delay_alu instid0(VALU_DEP_1) | instskip(SKIP_1) | instid1(VALU_DEP_2)
	v_dual_add_f32 v25, v25, v28 :: v_dual_add_f32 v26, v26, v62
	v_mul_f32_e32 v28, v52, v3
	v_add_f32_e32 v1, v25, v27
	s_delay_alu instid0(VALU_DEP_3) | instskip(NEXT) | instid1(VALU_DEP_3)
	v_add_f32_e32 v26, v26, v63
	v_fma_f32 v27, v51, v2, -v28
	s_delay_alu instid0(VALU_DEP_3) | instskip(NEXT) | instid1(VALU_DEP_1)
	v_add_f32_e32 v0, v1, v0
	v_dual_add_f32 v25, v26, v64 :: v_dual_add_f32 v0, v0, v27
	s_delay_alu instid0(VALU_DEP_1) | instskip(NEXT) | instid1(VALU_DEP_1)
	v_add_f32_e32 v1, v25, v65
	v_add_f32_e32 v1, v1, v66
	s_delay_alu instid0(VALU_DEP_1) | instskip(NEXT) | instid1(VALU_DEP_1)
	v_dual_mul_f32 v26, v58, v54 :: v_dual_add_f32 v1, v1, v67
	v_fma_f32 v25, v57, v53, -v26
	s_wait_loadcnt 0x0
	s_delay_alu instid0(VALU_DEP_2) | instskip(NEXT) | instid1(VALU_DEP_2)
	v_sub_f32_e32 v1, v56, v1
	v_add_f32_e32 v0, v0, v25
	s_delay_alu instid0(VALU_DEP_1)
	v_sub_f32_e32 v0, v55, v0
	scratch_store_b64 off, v[0:1], off
	s_wait_alu 0xfffe
	s_cbranch_vccz .LBB9_92
; %bb.74:
	global_load_b32 v0, v24, s[2:3] offset:32
	s_wait_loadcnt 0x0
	v_cmp_ne_u32_e32 vcc_lo, 9, v0
	s_cbranch_vccz .LBB9_76
; %bb.75:
	v_lshlrev_b32_e32 v0, 3, v0
	s_delay_alu instid0(VALU_DEP_1)
	v_mov_b32_e32 v24, v0
	scratch_load_b64 v[0:1], v24, off offset:-8
	s_wait_loadcnt 0x0
	scratch_store_b64 off, v[0:1], off offset:64
	scratch_store_b64 v24, v[2:3], off offset:-8
.LBB9_76:
	v_mov_b32_e32 v0, 0
	global_load_b32 v1, v0, s[2:3] offset:28
	s_wait_loadcnt 0x0
	v_cmp_eq_u32_e32 vcc_lo, 8, v1
	s_cbranch_vccnz .LBB9_78
; %bb.77:
	v_lshlrev_b32_e32 v1, 3, v1
	s_delay_alu instid0(VALU_DEP_1)
	v_mov_b32_e32 v3, v1
	scratch_load_b64 v[1:2], v3, off offset:-8
	scratch_load_b64 v[24:25], off, off offset:56
	s_wait_loadcnt 0x1
	scratch_store_b64 off, v[1:2], off offset:56
	s_wait_loadcnt 0x0
	scratch_store_b64 v3, v[24:25], off offset:-8
.LBB9_78:
	global_load_b32 v0, v0, s[2:3] offset:24
	s_wait_loadcnt 0x0
	v_cmp_eq_u32_e32 vcc_lo, 7, v0
	s_cbranch_vccnz .LBB9_80
; %bb.79:
	v_lshlrev_b32_e32 v0, 3, v0
	s_delay_alu instid0(VALU_DEP_1)
	v_mov_b32_e32 v24, v0
	scratch_load_b64 v[0:1], v24, off offset:-8
	scratch_load_b64 v[2:3], off, off offset:48
	s_wait_loadcnt 0x1
	scratch_store_b64 off, v[0:1], off offset:48
	s_wait_loadcnt 0x0
	scratch_store_b64 v24, v[2:3], off offset:-8
.LBB9_80:
	v_mov_b32_e32 v0, 0
	global_load_b32 v1, v0, s[2:3] offset:20
	s_wait_loadcnt 0x0
	v_cmp_eq_u32_e32 vcc_lo, 6, v1
	s_cbranch_vccnz .LBB9_82
; %bb.81:
	v_lshlrev_b32_e32 v1, 3, v1
	s_delay_alu instid0(VALU_DEP_1)
	v_mov_b32_e32 v3, v1
	scratch_load_b64 v[1:2], v3, off offset:-8
	scratch_load_b64 v[24:25], off, off offset:40
	s_wait_loadcnt 0x1
	scratch_store_b64 off, v[1:2], off offset:40
	s_wait_loadcnt 0x0
	scratch_store_b64 v3, v[24:25], off offset:-8
.LBB9_82:
	global_load_b32 v0, v0, s[2:3] offset:16
	s_wait_loadcnt 0x0
	v_cmp_eq_u32_e32 vcc_lo, 5, v0
	s_cbranch_vccnz .LBB9_84
; %bb.83:
	v_lshlrev_b32_e32 v0, 3, v0
	s_delay_alu instid0(VALU_DEP_1)
	v_mov_b32_e32 v24, v0
	scratch_load_b64 v[0:1], v24, off offset:-8
	scratch_load_b64 v[2:3], off, off offset:32
	s_wait_loadcnt 0x1
	scratch_store_b64 off, v[0:1], off offset:32
	s_wait_loadcnt 0x0
	scratch_store_b64 v24, v[2:3], off offset:-8
.LBB9_84:
	;; [unrolled: 31-line block ×3, first 2 shown]
	v_mov_b32_e32 v0, 0
	global_load_b32 v1, v0, s[2:3] offset:4
	s_wait_loadcnt 0x0
	v_cmp_eq_u32_e32 vcc_lo, 2, v1
	s_cbranch_vccnz .LBB9_90
; %bb.89:
	v_lshlrev_b32_e32 v1, 3, v1
	s_delay_alu instid0(VALU_DEP_1)
	v_mov_b32_e32 v3, v1
	scratch_load_b64 v[1:2], v3, off offset:-8
	scratch_load_b64 v[24:25], off, off offset:8
	s_wait_loadcnt 0x1
	scratch_store_b64 off, v[1:2], off offset:8
	s_wait_loadcnt 0x0
	scratch_store_b64 v3, v[24:25], off offset:-8
.LBB9_90:
	global_load_b32 v0, v0, s[2:3]
	s_wait_loadcnt 0x0
	v_cmp_eq_u32_e32 vcc_lo, 1, v0
	s_cbranch_vccnz .LBB9_92
; %bb.91:
	v_lshlrev_b32_e32 v0, 3, v0
	s_delay_alu instid0(VALU_DEP_1)
	v_mov_b32_e32 v24, v0
	scratch_load_b64 v[0:1], v24, off offset:-8
	scratch_load_b64 v[2:3], off, off
	s_wait_loadcnt 0x1
	scratch_store_b64 off, v[0:1], off
	s_wait_loadcnt 0x0
	scratch_store_b64 v24, v[2:3], off offset:-8
.LBB9_92:
	s_clause 0x4
	scratch_load_b128 v[0:3], off, off
	scratch_load_b128 v[24:27], off, off offset:16
	scratch_load_b128 v[28:31], off, off offset:32
	scratch_load_b128 v[32:35], off, off offset:48
	scratch_load_b128 v[36:39], off, off offset:64
	s_wait_loadcnt 0x4
	s_clause 0x1
	global_store_b64 v[4:5], v[0:1], off
	global_store_b64 v[6:7], v[2:3], off
	s_wait_loadcnt 0x3
	s_clause 0x1
	global_store_b64 v[8:9], v[24:25], off
	global_store_b64 v[10:11], v[26:27], off
	;; [unrolled: 4-line block ×5, first 2 shown]
	s_endpgm
	.section	.rodata,"a",@progbits
	.p2align	6, 0x0
	.amdhsa_kernel _ZN9rocsolver6v33100L18getri_kernel_smallILi10E19rocblas_complex_numIfEPS3_EEvT1_iilPiilS6_bb
		.amdhsa_group_segment_fixed_size 164
		.amdhsa_private_segment_fixed_size 96
		.amdhsa_kernarg_size 60
		.amdhsa_user_sgpr_count 2
		.amdhsa_user_sgpr_dispatch_ptr 0
		.amdhsa_user_sgpr_queue_ptr 0
		.amdhsa_user_sgpr_kernarg_segment_ptr 1
		.amdhsa_user_sgpr_dispatch_id 0
		.amdhsa_user_sgpr_private_segment_size 0
		.amdhsa_wavefront_size32 1
		.amdhsa_uses_dynamic_stack 0
		.amdhsa_enable_private_segment 1
		.amdhsa_system_sgpr_workgroup_id_x 1
		.amdhsa_system_sgpr_workgroup_id_y 0
		.amdhsa_system_sgpr_workgroup_id_z 0
		.amdhsa_system_sgpr_workgroup_info 0
		.amdhsa_system_vgpr_workitem_id 0
		.amdhsa_next_free_vgpr 68
		.amdhsa_next_free_sgpr 19
		.amdhsa_reserve_vcc 1
		.amdhsa_float_round_mode_32 0
		.amdhsa_float_round_mode_16_64 0
		.amdhsa_float_denorm_mode_32 3
		.amdhsa_float_denorm_mode_16_64 3
		.amdhsa_fp16_overflow 0
		.amdhsa_workgroup_processor_mode 1
		.amdhsa_memory_ordered 1
		.amdhsa_forward_progress 1
		.amdhsa_inst_pref_size 66
		.amdhsa_round_robin_scheduling 0
		.amdhsa_exception_fp_ieee_invalid_op 0
		.amdhsa_exception_fp_denorm_src 0
		.amdhsa_exception_fp_ieee_div_zero 0
		.amdhsa_exception_fp_ieee_overflow 0
		.amdhsa_exception_fp_ieee_underflow 0
		.amdhsa_exception_fp_ieee_inexact 0
		.amdhsa_exception_int_div_zero 0
	.end_amdhsa_kernel
	.section	.text._ZN9rocsolver6v33100L18getri_kernel_smallILi10E19rocblas_complex_numIfEPS3_EEvT1_iilPiilS6_bb,"axG",@progbits,_ZN9rocsolver6v33100L18getri_kernel_smallILi10E19rocblas_complex_numIfEPS3_EEvT1_iilPiilS6_bb,comdat
.Lfunc_end9:
	.size	_ZN9rocsolver6v33100L18getri_kernel_smallILi10E19rocblas_complex_numIfEPS3_EEvT1_iilPiilS6_bb, .Lfunc_end9-_ZN9rocsolver6v33100L18getri_kernel_smallILi10E19rocblas_complex_numIfEPS3_EEvT1_iilPiilS6_bb
                                        ; -- End function
	.set _ZN9rocsolver6v33100L18getri_kernel_smallILi10E19rocblas_complex_numIfEPS3_EEvT1_iilPiilS6_bb.num_vgpr, 68
	.set _ZN9rocsolver6v33100L18getri_kernel_smallILi10E19rocblas_complex_numIfEPS3_EEvT1_iilPiilS6_bb.num_agpr, 0
	.set _ZN9rocsolver6v33100L18getri_kernel_smallILi10E19rocblas_complex_numIfEPS3_EEvT1_iilPiilS6_bb.numbered_sgpr, 19
	.set _ZN9rocsolver6v33100L18getri_kernel_smallILi10E19rocblas_complex_numIfEPS3_EEvT1_iilPiilS6_bb.num_named_barrier, 0
	.set _ZN9rocsolver6v33100L18getri_kernel_smallILi10E19rocblas_complex_numIfEPS3_EEvT1_iilPiilS6_bb.private_seg_size, 96
	.set _ZN9rocsolver6v33100L18getri_kernel_smallILi10E19rocblas_complex_numIfEPS3_EEvT1_iilPiilS6_bb.uses_vcc, 1
	.set _ZN9rocsolver6v33100L18getri_kernel_smallILi10E19rocblas_complex_numIfEPS3_EEvT1_iilPiilS6_bb.uses_flat_scratch, 1
	.set _ZN9rocsolver6v33100L18getri_kernel_smallILi10E19rocblas_complex_numIfEPS3_EEvT1_iilPiilS6_bb.has_dyn_sized_stack, 0
	.set _ZN9rocsolver6v33100L18getri_kernel_smallILi10E19rocblas_complex_numIfEPS3_EEvT1_iilPiilS6_bb.has_recursion, 0
	.set _ZN9rocsolver6v33100L18getri_kernel_smallILi10E19rocblas_complex_numIfEPS3_EEvT1_iilPiilS6_bb.has_indirect_call, 0
	.section	.AMDGPU.csdata,"",@progbits
; Kernel info:
; codeLenInByte = 8436
; TotalNumSgprs: 21
; NumVgprs: 68
; ScratchSize: 96
; MemoryBound: 0
; FloatMode: 240
; IeeeMode: 1
; LDSByteSize: 164 bytes/workgroup (compile time only)
; SGPRBlocks: 0
; VGPRBlocks: 8
; NumSGPRsForWavesPerEU: 21
; NumVGPRsForWavesPerEU: 68
; Occupancy: 16
; WaveLimiterHint : 1
; COMPUTE_PGM_RSRC2:SCRATCH_EN: 1
; COMPUTE_PGM_RSRC2:USER_SGPR: 2
; COMPUTE_PGM_RSRC2:TRAP_HANDLER: 0
; COMPUTE_PGM_RSRC2:TGID_X_EN: 1
; COMPUTE_PGM_RSRC2:TGID_Y_EN: 0
; COMPUTE_PGM_RSRC2:TGID_Z_EN: 0
; COMPUTE_PGM_RSRC2:TIDIG_COMP_CNT: 0
	.section	.text._ZN9rocsolver6v33100L18getri_kernel_smallILi11E19rocblas_complex_numIfEPS3_EEvT1_iilPiilS6_bb,"axG",@progbits,_ZN9rocsolver6v33100L18getri_kernel_smallILi11E19rocblas_complex_numIfEPS3_EEvT1_iilPiilS6_bb,comdat
	.globl	_ZN9rocsolver6v33100L18getri_kernel_smallILi11E19rocblas_complex_numIfEPS3_EEvT1_iilPiilS6_bb ; -- Begin function _ZN9rocsolver6v33100L18getri_kernel_smallILi11E19rocblas_complex_numIfEPS3_EEvT1_iilPiilS6_bb
	.p2align	8
	.type	_ZN9rocsolver6v33100L18getri_kernel_smallILi11E19rocblas_complex_numIfEPS3_EEvT1_iilPiilS6_bb,@function
_ZN9rocsolver6v33100L18getri_kernel_smallILi11E19rocblas_complex_numIfEPS3_EEvT1_iilPiilS6_bb: ; @_ZN9rocsolver6v33100L18getri_kernel_smallILi11E19rocblas_complex_numIfEPS3_EEvT1_iilPiilS6_bb
; %bb.0:
	s_mov_b32 s2, exec_lo
	v_cmpx_gt_u32_e32 11, v0
	s_cbranch_execz .LBB10_58
; %bb.1:
	s_clause 0x2
	s_load_b32 s2, s[0:1], 0x38
	s_load_b128 s[12:15], s[0:1], 0x10
	s_load_b128 s[4:7], s[0:1], 0x28
	s_mov_b32 s16, ttmp9
	s_wait_kmcnt 0x0
	s_bitcmp1_b32 s2, 8
	s_cselect_b32 s18, -1, 0
	s_bfe_u32 s2, s2, 0x10008
	s_ashr_i32 s17, ttmp9, 31
	s_cmp_eq_u32 s2, 0
                                        ; implicit-def: $sgpr2_sgpr3
	s_cbranch_scc1 .LBB10_3
; %bb.2:
	s_load_b32 s2, s[0:1], 0x20
	s_mul_u64 s[4:5], s[4:5], s[16:17]
	s_delay_alu instid0(SALU_CYCLE_1) | instskip(NEXT) | instid1(SALU_CYCLE_1)
	s_lshl_b64 s[4:5], s[4:5], 2
	s_add_nc_u64 s[4:5], s[14:15], s[4:5]
	s_wait_kmcnt 0x0
	s_ashr_i32 s3, s2, 31
	s_delay_alu instid0(SALU_CYCLE_1) | instskip(NEXT) | instid1(SALU_CYCLE_1)
	s_lshl_b64 s[2:3], s[2:3], 2
	s_add_nc_u64 s[2:3], s[4:5], s[2:3]
.LBB10_3:
	s_clause 0x1
	s_load_b128 s[8:11], s[0:1], 0x0
	s_load_b32 s14, s[0:1], 0x38
	s_mul_u64 s[0:1], s[12:13], s[16:17]
	v_lshlrev_b32_e32 v3, 3, v0
	s_lshl_b64 s[0:1], s[0:1], 3
	s_wait_kmcnt 0x0
	v_add3_u32 v1, s11, s11, v0
	s_ashr_i32 s5, s10, 31
	s_mov_b32 s4, s10
	s_add_nc_u64 s[0:1], s[8:9], s[0:1]
	s_lshl_b64 s[4:5], s[4:5], 3
	v_add_nc_u32_e32 v8, s11, v1
	v_ashrrev_i32_e32 v2, 31, v1
	s_add_nc_u64 s[0:1], s[0:1], s[4:5]
	s_ashr_i32 s9, s11, 31
	v_add_co_u32 v4, s4, s0, v3
	v_add_nc_u32_e32 v10, s11, v8
	s_mov_b32 s8, s11
	v_lshlrev_b64_e32 v[1:2], 3, v[1:2]
	v_add_co_ci_u32_e64 v5, null, s1, 0, s4
	v_ashrrev_i32_e32 v9, 31, v8
	s_lshl_b64 s[8:9], s[8:9], 3
	v_ashrrev_i32_e32 v11, 31, v10
	v_add_co_u32 v6, vcc_lo, v4, s8
	v_add_nc_u32_e32 v14, s11, v10
	v_add_co_ci_u32_e64 v7, null, s9, v5, vcc_lo
	v_lshlrev_b64_e32 v[12:13], 3, v[8:9]
	v_add_co_u32 v8, vcc_lo, s0, v1
	s_wait_alu 0xfffd
	v_add_co_ci_u32_e64 v9, null, s1, v2, vcc_lo
	v_lshlrev_b64_e32 v[1:2], 3, v[10:11]
	v_add_nc_u32_e32 v16, s11, v14
	v_add_co_u32 v10, vcc_lo, s0, v12
	s_wait_alu 0xfffd
	v_add_co_ci_u32_e64 v11, null, s1, v13, vcc_lo
	s_delay_alu instid0(VALU_DEP_4)
	v_add_co_u32 v12, vcc_lo, s0, v1
	v_add_nc_u32_e32 v1, s11, v16
	v_ashrrev_i32_e32 v15, 31, v14
	v_ashrrev_i32_e32 v17, 31, v16
	s_wait_alu 0xfffd
	v_add_co_ci_u32_e64 v13, null, s1, v2, vcc_lo
	v_add_nc_u32_e32 v18, s11, v1
	v_ashrrev_i32_e32 v2, 31, v1
	v_lshlrev_b64_e32 v[14:15], 3, v[14:15]
	v_lshlrev_b64_e32 v[16:17], 3, v[16:17]
	global_load_b64 v[26:27], v3, s[0:1]
	v_add_nc_u32_e32 v20, s11, v18
	v_lshlrev_b64_e32 v[1:2], 3, v[1:2]
	v_ashrrev_i32_e32 v19, 31, v18
	v_add_co_u32 v14, vcc_lo, s0, v14
	s_delay_alu instid0(VALU_DEP_4)
	v_add_nc_u32_e32 v24, s11, v20
	v_ashrrev_i32_e32 v21, 31, v20
	s_wait_alu 0xfffd
	v_add_co_ci_u32_e64 v15, null, s1, v15, vcc_lo
	v_add_co_u32 v16, vcc_lo, s0, v16
	v_ashrrev_i32_e32 v25, 31, v24
	s_wait_alu 0xfffd
	v_add_co_ci_u32_e64 v17, null, s1, v17, vcc_lo
	v_lshlrev_b64_e32 v[22:23], 3, v[18:19]
	v_add_co_u32 v18, vcc_lo, s0, v1
	s_wait_alu 0xfffd
	v_add_co_ci_u32_e64 v19, null, s1, v2, vcc_lo
	v_lshlrev_b64_e32 v[1:2], 3, v[20:21]
	v_lshlrev_b64_e32 v[24:25], 3, v[24:25]
	v_add_co_u32 v20, vcc_lo, s0, v22
	s_wait_alu 0xfffd
	v_add_co_ci_u32_e64 v21, null, s1, v23, vcc_lo
	s_delay_alu instid0(VALU_DEP_4)
	v_add_co_u32 v22, vcc_lo, s0, v1
	s_wait_alu 0xfffd
	v_add_co_ci_u32_e64 v23, null, s1, v2, vcc_lo
	v_add_co_u32 v24, vcc_lo, s0, v24
	s_clause 0x3
	global_load_b64 v[28:29], v[6:7], off
	global_load_b64 v[30:31], v[8:9], off
	;; [unrolled: 1-line block ×4, first 2 shown]
	s_wait_alu 0xfffd
	v_add_co_ci_u32_e64 v25, null, s1, v25, vcc_lo
	s_clause 0x5
	global_load_b64 v[36:37], v[14:15], off
	global_load_b64 v[38:39], v[16:17], off
	;; [unrolled: 1-line block ×6, first 2 shown]
	s_mov_b32 s1, -1
	s_bitcmp0_b32 s14, 0
	s_wait_loadcnt 0x9
	scratch_store_b128 off, v[26:29], off
	s_wait_loadcnt 0x7
	scratch_store_b128 off, v[30:33], off offset:16
	s_wait_loadcnt 0x5
	scratch_store_b128 off, v[34:37], off offset:32
	;; [unrolled: 2-line block ×4, first 2 shown]
	s_wait_loadcnt 0x0
	scratch_store_b64 off, v[1:2], off offset:80
	s_cbranch_scc1 .LBB10_56
; %bb.4:
	v_cmp_eq_u32_e64 s0, 0, v0
	s_and_saveexec_b32 s1, s0
; %bb.5:
	v_mov_b32_e32 v1, 0
	ds_store_b32 v1, v1 offset:88
; %bb.6:
	s_wait_alu 0xfffe
	s_or_b32 exec_lo, exec_lo, s1
	s_wait_storecnt_dscnt 0x0
	s_barrier_signal -1
	s_barrier_wait -1
	global_inv scope:SCOPE_SE
	scratch_load_b64 v[1:2], v3, off
	s_wait_loadcnt 0x0
	v_cmp_eq_f32_e32 vcc_lo, 0, v1
	v_cmp_eq_f32_e64 s1, 0, v2
	s_and_b32 s1, vcc_lo, s1
	s_wait_alu 0xfffe
	s_and_saveexec_b32 s4, s1
	s_cbranch_execz .LBB10_10
; %bb.7:
	v_mov_b32_e32 v1, 0
	s_mov_b32 s5, 0
	ds_load_b32 v2, v1 offset:88
	s_wait_dscnt 0x0
	v_readfirstlane_b32 s1, v2
	v_add_nc_u32_e32 v2, 1, v0
	s_cmp_eq_u32 s1, 0
	s_delay_alu instid0(VALU_DEP_1)
	v_cmp_gt_i32_e32 vcc_lo, s1, v2
	s_cselect_b32 s8, -1, 0
	s_wait_alu 0xfffe
	s_or_b32 s8, s8, vcc_lo
	s_wait_alu 0xfffe
	s_and_b32 exec_lo, exec_lo, s8
	s_cbranch_execz .LBB10_10
; %bb.8:
	v_mov_b32_e32 v26, s1
.LBB10_9:                               ; =>This Inner Loop Header: Depth=1
	ds_cmpstore_rtn_b32 v26, v1, v2, v26 offset:88
	s_wait_dscnt 0x0
	v_cmp_ne_u32_e32 vcc_lo, 0, v26
	v_cmp_le_i32_e64 s1, v26, v2
	s_and_b32 s1, vcc_lo, s1
	s_wait_alu 0xfffe
	s_and_b32 s1, exec_lo, s1
	s_wait_alu 0xfffe
	s_or_b32 s5, s1, s5
	s_wait_alu 0xfffe
	s_and_not1_b32 exec_lo, exec_lo, s5
	s_cbranch_execnz .LBB10_9
.LBB10_10:
	s_wait_alu 0xfffe
	s_or_b32 exec_lo, exec_lo, s4
	v_mov_b32_e32 v1, 0
	s_barrier_signal -1
	s_barrier_wait -1
	global_inv scope:SCOPE_SE
	ds_load_b32 v2, v1 offset:88
	s_and_saveexec_b32 s1, s0
	s_cbranch_execz .LBB10_12
; %bb.11:
	s_lshl_b64 s[4:5], s[16:17], 2
	s_wait_alu 0xfffe
	s_add_nc_u64 s[4:5], s[6:7], s[4:5]
	s_wait_dscnt 0x0
	global_store_b32 v1, v2, s[4:5]
.LBB10_12:
	s_wait_alu 0xfffe
	s_or_b32 exec_lo, exec_lo, s1
	s_wait_dscnt 0x0
	v_cmp_ne_u32_e32 vcc_lo, 0, v2
	s_mov_b32 s1, 0
	s_cbranch_vccnz .LBB10_56
; %bb.13:
	v_mov_b32_e32 v30, v3
                                        ; implicit-def: $vgpr26
                                        ; implicit-def: $vgpr28
	scratch_load_b64 v[1:2], v30, off
	s_wait_loadcnt 0x0
	v_cmp_ngt_f32_e64 s1, |v1|, |v2|
	s_wait_alu 0xfffe
	s_and_saveexec_b32 s4, s1
	s_wait_alu 0xfffe
	s_xor_b32 s1, exec_lo, s4
	s_cbranch_execz .LBB10_15
; %bb.14:
	v_div_scale_f32 v26, null, v2, v2, v1
	v_div_scale_f32 v29, vcc_lo, v1, v2, v1
	s_delay_alu instid0(VALU_DEP_2) | instskip(NEXT) | instid1(TRANS32_DEP_1)
	v_rcp_f32_e32 v27, v26
	v_fma_f32 v28, -v26, v27, 1.0
	s_delay_alu instid0(VALU_DEP_1) | instskip(NEXT) | instid1(VALU_DEP_1)
	v_fmac_f32_e32 v27, v28, v27
	v_mul_f32_e32 v28, v29, v27
	s_delay_alu instid0(VALU_DEP_1) | instskip(NEXT) | instid1(VALU_DEP_1)
	v_fma_f32 v31, -v26, v28, v29
	v_fmac_f32_e32 v28, v31, v27
	s_delay_alu instid0(VALU_DEP_1) | instskip(SKIP_1) | instid1(VALU_DEP_1)
	v_fma_f32 v26, -v26, v28, v29
	s_wait_alu 0xfffd
	v_div_fmas_f32 v26, v26, v27, v28
	s_delay_alu instid0(VALU_DEP_1) | instskip(NEXT) | instid1(VALU_DEP_1)
	v_div_fixup_f32 v26, v26, v2, v1
	v_fmac_f32_e32 v2, v1, v26
	s_delay_alu instid0(VALU_DEP_1) | instskip(NEXT) | instid1(VALU_DEP_1)
	v_div_scale_f32 v1, null, v2, v2, 1.0
	v_rcp_f32_e32 v27, v1
	s_delay_alu instid0(TRANS32_DEP_1) | instskip(NEXT) | instid1(VALU_DEP_1)
	v_fma_f32 v28, -v1, v27, 1.0
	v_fmac_f32_e32 v27, v28, v27
	v_div_scale_f32 v28, vcc_lo, 1.0, v2, 1.0
	s_delay_alu instid0(VALU_DEP_1) | instskip(NEXT) | instid1(VALU_DEP_1)
	v_mul_f32_e32 v29, v28, v27
	v_fma_f32 v31, -v1, v29, v28
	s_delay_alu instid0(VALU_DEP_1) | instskip(NEXT) | instid1(VALU_DEP_1)
	v_fmac_f32_e32 v29, v31, v27
	v_fma_f32 v1, -v1, v29, v28
	s_wait_alu 0xfffd
	s_delay_alu instid0(VALU_DEP_1) | instskip(NEXT) | instid1(VALU_DEP_1)
	v_div_fmas_f32 v1, v1, v27, v29
	v_div_fixup_f32 v1, v1, v2, 1.0
	s_delay_alu instid0(VALU_DEP_1) | instskip(SKIP_1) | instid1(VALU_DEP_2)
	v_mul_f32_e32 v26, v26, v1
	v_xor_b32_e32 v27, 0x80000000, v1
                                        ; implicit-def: $vgpr1_vgpr2
	v_xor_b32_e32 v28, 0x80000000, v26
.LBB10_15:
	s_wait_alu 0xfffe
	s_and_not1_saveexec_b32 s1, s1
	s_cbranch_execz .LBB10_17
; %bb.16:
	v_div_scale_f32 v26, null, v1, v1, v2
	v_div_scale_f32 v29, vcc_lo, v2, v1, v2
	s_delay_alu instid0(VALU_DEP_2) | instskip(NEXT) | instid1(TRANS32_DEP_1)
	v_rcp_f32_e32 v27, v26
	v_fma_f32 v28, -v26, v27, 1.0
	s_delay_alu instid0(VALU_DEP_1) | instskip(NEXT) | instid1(VALU_DEP_1)
	v_fmac_f32_e32 v27, v28, v27
	v_mul_f32_e32 v28, v29, v27
	s_delay_alu instid0(VALU_DEP_1) | instskip(NEXT) | instid1(VALU_DEP_1)
	v_fma_f32 v31, -v26, v28, v29
	v_fmac_f32_e32 v28, v31, v27
	s_delay_alu instid0(VALU_DEP_1) | instskip(SKIP_1) | instid1(VALU_DEP_1)
	v_fma_f32 v26, -v26, v28, v29
	s_wait_alu 0xfffd
	v_div_fmas_f32 v26, v26, v27, v28
	s_delay_alu instid0(VALU_DEP_1) | instskip(NEXT) | instid1(VALU_DEP_1)
	v_div_fixup_f32 v27, v26, v1, v2
	v_fmac_f32_e32 v1, v2, v27
	s_delay_alu instid0(VALU_DEP_1) | instskip(NEXT) | instid1(VALU_DEP_1)
	v_div_scale_f32 v2, null, v1, v1, 1.0
	v_rcp_f32_e32 v26, v2
	s_delay_alu instid0(TRANS32_DEP_1) | instskip(NEXT) | instid1(VALU_DEP_1)
	v_fma_f32 v28, -v2, v26, 1.0
	v_fmac_f32_e32 v26, v28, v26
	v_div_scale_f32 v29, vcc_lo, 1.0, v1, 1.0
	s_delay_alu instid0(VALU_DEP_1) | instskip(NEXT) | instid1(VALU_DEP_1)
	v_mul_f32_e32 v28, v29, v26
	v_fma_f32 v31, -v2, v28, v29
	s_delay_alu instid0(VALU_DEP_1) | instskip(NEXT) | instid1(VALU_DEP_1)
	v_fmac_f32_e32 v28, v31, v26
	v_fma_f32 v2, -v2, v28, v29
	s_wait_alu 0xfffd
	s_delay_alu instid0(VALU_DEP_1) | instskip(NEXT) | instid1(VALU_DEP_1)
	v_div_fmas_f32 v2, v2, v26, v28
	v_div_fixup_f32 v26, v2, v1, 1.0
	s_delay_alu instid0(VALU_DEP_1)
	v_xor_b32_e32 v28, 0x80000000, v26
	v_mul_f32_e64 v27, v27, -v26
.LBB10_17:
	s_wait_alu 0xfffe
	s_or_b32 exec_lo, exec_lo, s1
	scratch_store_b64 v30, v[26:27], off
	scratch_load_b64 v[31:32], off, off offset:8
	v_xor_b32_e32 v29, 0x80000000, v27
	v_add_nc_u32_e32 v1, 0x60, v3
	s_wait_loadcnt 0x0
	ds_store_2addr_b64 v3, v[28:29], v[31:32] offset1:12
	s_wait_storecnt_dscnt 0x0
	s_barrier_signal -1
	s_barrier_wait -1
	global_inv scope:SCOPE_SE
	s_and_saveexec_b32 s1, s0
	s_cbranch_execz .LBB10_19
; %bb.18:
	scratch_load_b64 v[26:27], v30, off
	ds_load_b64 v[28:29], v1
	v_mov_b32_e32 v2, 0
	ds_load_b64 v[31:32], v2 offset:8
	s_wait_loadcnt_dscnt 0x1
	v_mul_f32_e32 v2, v28, v27
	v_mul_f32_e32 v27, v29, v27
	s_delay_alu instid0(VALU_DEP_2) | instskip(NEXT) | instid1(VALU_DEP_2)
	v_fmac_f32_e32 v2, v29, v26
	v_fma_f32 v26, v28, v26, -v27
	s_delay_alu instid0(VALU_DEP_2) | instskip(NEXT) | instid1(VALU_DEP_2)
	v_add_f32_e32 v2, 0, v2
	v_add_f32_e32 v26, 0, v26
	s_wait_dscnt 0x0
	s_delay_alu instid0(VALU_DEP_2) | instskip(NEXT) | instid1(VALU_DEP_2)
	v_mul_f32_e32 v28, v2, v32
	v_mul_f32_e32 v27, v26, v32
	s_delay_alu instid0(VALU_DEP_1) | instskip(NEXT) | instid1(VALU_DEP_3)
	v_fmac_f32_e32 v27, v2, v31
	v_fma_f32 v26, v26, v31, -v28
	scratch_store_b64 off, v[26:27], off offset:8
.LBB10_19:
	s_wait_alu 0xfffe
	s_or_b32 exec_lo, exec_lo, s1
	s_wait_loadcnt 0x0
	s_wait_storecnt 0x0
	s_barrier_signal -1
	s_barrier_wait -1
	global_inv scope:SCOPE_SE
	scratch_load_b64 v[26:27], off, off offset:16
	s_mov_b32 s1, exec_lo
	s_wait_loadcnt 0x0
	ds_store_b64 v1, v[26:27]
	s_wait_dscnt 0x0
	s_barrier_signal -1
	s_barrier_wait -1
	global_inv scope:SCOPE_SE
	v_cmpx_gt_u32_e32 2, v0
	s_cbranch_execz .LBB10_23
; %bb.20:
	scratch_load_b64 v[26:27], v30, off
	ds_load_b64 v[28:29], v1
	s_wait_loadcnt_dscnt 0x0
	v_mul_f32_e32 v2, v29, v27
	s_delay_alu instid0(VALU_DEP_1) | instskip(SKIP_1) | instid1(VALU_DEP_1)
	v_fma_f32 v2, v28, v26, -v2
	v_mul_f32_e32 v27, v28, v27
	v_fmac_f32_e32 v27, v29, v26
	s_delay_alu instid0(VALU_DEP_3) | instskip(NEXT) | instid1(VALU_DEP_2)
	v_add_f32_e32 v26, 0, v2
	v_add_f32_e32 v2, 0, v27
	s_and_saveexec_b32 s4, s0
	s_cbranch_execz .LBB10_22
; %bb.21:
	scratch_load_b64 v[27:28], off, off offset:8
	v_mov_b32_e32 v29, 0
	ds_load_b64 v[31:32], v29 offset:104
	s_wait_loadcnt_dscnt 0x0
	v_mul_f32_e32 v29, v31, v28
	v_mul_f32_e32 v28, v32, v28
	s_delay_alu instid0(VALU_DEP_2) | instskip(NEXT) | instid1(VALU_DEP_2)
	v_fmac_f32_e32 v29, v32, v27
	v_fma_f32 v27, v31, v27, -v28
	s_delay_alu instid0(VALU_DEP_2) | instskip(NEXT) | instid1(VALU_DEP_2)
	v_add_f32_e32 v2, v2, v29
	v_add_f32_e32 v26, v26, v27
.LBB10_22:
	s_wait_alu 0xfffe
	s_or_b32 exec_lo, exec_lo, s4
	v_mov_b32_e32 v27, 0
	ds_load_b64 v[27:28], v27 offset:16
	s_wait_dscnt 0x0
	v_mul_f32_e32 v31, v2, v28
	v_mul_f32_e32 v29, v26, v28
	s_delay_alu instid0(VALU_DEP_2) | instskip(NEXT) | instid1(VALU_DEP_2)
	v_fma_f32 v28, v26, v27, -v31
	v_fmac_f32_e32 v29, v2, v27
	scratch_store_b64 off, v[28:29], off offset:16
.LBB10_23:
	s_wait_alu 0xfffe
	s_or_b32 exec_lo, exec_lo, s1
	s_wait_loadcnt 0x0
	s_wait_storecnt 0x0
	s_barrier_signal -1
	s_barrier_wait -1
	global_inv scope:SCOPE_SE
	scratch_load_b64 v[26:27], off, off offset:24
	v_add_nc_u32_e32 v2, -1, v0
	s_mov_b32 s0, exec_lo
	s_wait_loadcnt 0x0
	ds_store_b64 v1, v[26:27]
	s_wait_dscnt 0x0
	s_barrier_signal -1
	s_barrier_wait -1
	global_inv scope:SCOPE_SE
	v_cmpx_gt_u32_e32 3, v0
	s_cbranch_execz .LBB10_27
; %bb.24:
	v_dual_mov_b32 v26, 0 :: v_dual_add_nc_u32 v27, -1, v0
	v_dual_mov_b32 v29, v3 :: v_dual_add_nc_u32 v28, 0x60, v3
	v_mov_b32_e32 v31, 0
	s_mov_b32 s1, 0
.LBB10_25:                              ; =>This Inner Loop Header: Depth=1
	scratch_load_b64 v[32:33], v29, off
	ds_load_b64 v[34:35], v28
	v_add_nc_u32_e32 v29, 8, v29
	v_add_nc_u32_e32 v27, 1, v27
	v_add_nc_u32_e32 v28, 8, v28
	s_delay_alu instid0(VALU_DEP_2)
	v_cmp_lt_u32_e32 vcc_lo, 1, v27
	s_wait_alu 0xfffe
	s_or_b32 s1, vcc_lo, s1
	s_wait_loadcnt_dscnt 0x0
	v_mul_f32_e32 v36, v35, v33
	v_mul_f32_e32 v33, v34, v33
	s_delay_alu instid0(VALU_DEP_2) | instskip(NEXT) | instid1(VALU_DEP_2)
	v_fma_f32 v34, v34, v32, -v36
	v_fmac_f32_e32 v33, v35, v32
	s_delay_alu instid0(VALU_DEP_1)
	v_dual_add_f32 v31, v31, v34 :: v_dual_add_f32 v26, v26, v33
	s_wait_alu 0xfffe
	s_and_not1_b32 exec_lo, exec_lo, s1
	s_cbranch_execnz .LBB10_25
; %bb.26:
	s_or_b32 exec_lo, exec_lo, s1
	v_mov_b32_e32 v27, 0
	ds_load_b64 v[27:28], v27 offset:24
	s_wait_dscnt 0x0
	v_mul_f32_e32 v32, v26, v28
	v_mul_f32_e32 v29, v31, v28
	s_delay_alu instid0(VALU_DEP_2) | instskip(NEXT) | instid1(VALU_DEP_2)
	v_fma_f32 v28, v31, v27, -v32
	v_fmac_f32_e32 v29, v26, v27
	scratch_store_b64 off, v[28:29], off offset:24
.LBB10_27:
	s_wait_alu 0xfffe
	s_or_b32 exec_lo, exec_lo, s0
	s_wait_loadcnt 0x0
	s_wait_storecnt 0x0
	s_barrier_signal -1
	s_barrier_wait -1
	global_inv scope:SCOPE_SE
	scratch_load_b64 v[26:27], off, off offset:32
	s_mov_b32 s0, exec_lo
	s_wait_loadcnt 0x0
	ds_store_b64 v1, v[26:27]
	s_wait_dscnt 0x0
	s_barrier_signal -1
	s_barrier_wait -1
	global_inv scope:SCOPE_SE
	v_cmpx_gt_u32_e32 4, v0
	s_cbranch_execz .LBB10_31
; %bb.28:
	v_dual_mov_b32 v26, 0 :: v_dual_add_nc_u32 v27, -1, v0
	v_dual_mov_b32 v29, v3 :: v_dual_add_nc_u32 v28, 0x60, v3
	v_mov_b32_e32 v31, 0
	s_mov_b32 s1, 0
.LBB10_29:                              ; =>This Inner Loop Header: Depth=1
	scratch_load_b64 v[32:33], v29, off
	ds_load_b64 v[34:35], v28
	v_add_nc_u32_e32 v29, 8, v29
	v_add_nc_u32_e32 v27, 1, v27
	v_add_nc_u32_e32 v28, 8, v28
	s_delay_alu instid0(VALU_DEP_2)
	v_cmp_lt_u32_e32 vcc_lo, 2, v27
	s_wait_alu 0xfffe
	s_or_b32 s1, vcc_lo, s1
	s_wait_loadcnt_dscnt 0x0
	v_mul_f32_e32 v36, v35, v33
	v_mul_f32_e32 v33, v34, v33
	s_delay_alu instid0(VALU_DEP_2) | instskip(NEXT) | instid1(VALU_DEP_2)
	v_fma_f32 v34, v34, v32, -v36
	v_fmac_f32_e32 v33, v35, v32
	s_delay_alu instid0(VALU_DEP_1)
	v_dual_add_f32 v31, v31, v34 :: v_dual_add_f32 v26, v26, v33
	s_wait_alu 0xfffe
	s_and_not1_b32 exec_lo, exec_lo, s1
	s_cbranch_execnz .LBB10_29
; %bb.30:
	s_or_b32 exec_lo, exec_lo, s1
	v_mov_b32_e32 v27, 0
	ds_load_b64 v[27:28], v27 offset:32
	s_wait_dscnt 0x0
	v_mul_f32_e32 v32, v26, v28
	v_mul_f32_e32 v29, v31, v28
	s_delay_alu instid0(VALU_DEP_2) | instskip(NEXT) | instid1(VALU_DEP_2)
	v_fma_f32 v28, v31, v27, -v32
	v_fmac_f32_e32 v29, v26, v27
	scratch_store_b64 off, v[28:29], off offset:32
.LBB10_31:
	s_wait_alu 0xfffe
	s_or_b32 exec_lo, exec_lo, s0
	s_wait_loadcnt 0x0
	s_wait_storecnt 0x0
	s_barrier_signal -1
	s_barrier_wait -1
	global_inv scope:SCOPE_SE
	scratch_load_b64 v[26:27], off, off offset:40
	;; [unrolled: 55-line block ×6, first 2 shown]
	s_mov_b32 s0, exec_lo
	s_wait_loadcnt 0x0
	ds_store_b64 v1, v[26:27]
	s_wait_dscnt 0x0
	s_barrier_signal -1
	s_barrier_wait -1
	global_inv scope:SCOPE_SE
	v_cmpx_gt_u32_e32 9, v0
	s_cbranch_execz .LBB10_51
; %bb.48:
	v_add_nc_u32_e32 v26, -1, v0
	v_dual_mov_b32 v28, v3 :: v_dual_add_nc_u32 v27, 0x60, v3
	v_mov_b32_e32 v3, 0
	v_mov_b32_e32 v29, 0
	s_mov_b32 s1, 0
.LBB10_49:                              ; =>This Inner Loop Header: Depth=1
	scratch_load_b64 v[31:32], v28, off
	ds_load_b64 v[33:34], v27
	v_add_nc_u32_e32 v28, 8, v28
	v_add_nc_u32_e32 v26, 1, v26
	;; [unrolled: 1-line block ×3, first 2 shown]
	s_delay_alu instid0(VALU_DEP_2)
	v_cmp_lt_u32_e32 vcc_lo, 7, v26
	s_wait_alu 0xfffe
	s_or_b32 s1, vcc_lo, s1
	s_wait_loadcnt_dscnt 0x0
	v_mul_f32_e32 v35, v34, v32
	v_mul_f32_e32 v32, v33, v32
	s_delay_alu instid0(VALU_DEP_2) | instskip(NEXT) | instid1(VALU_DEP_1)
	v_fma_f32 v33, v33, v31, -v35
	v_dual_fmac_f32 v32, v34, v31 :: v_dual_add_f32 v29, v29, v33
	s_delay_alu instid0(VALU_DEP_1)
	v_add_f32_e32 v3, v3, v32
	s_wait_alu 0xfffe
	s_and_not1_b32 exec_lo, exec_lo, s1
	s_cbranch_execnz .LBB10_49
; %bb.50:
	s_or_b32 exec_lo, exec_lo, s1
	v_mov_b32_e32 v26, 0
	ds_load_b64 v[26:27], v26 offset:72
	s_wait_dscnt 0x0
	v_mul_f32_e32 v31, v3, v27
	v_mul_f32_e32 v28, v29, v27
	s_delay_alu instid0(VALU_DEP_2) | instskip(NEXT) | instid1(VALU_DEP_2)
	v_fma_f32 v27, v29, v26, -v31
	v_fmac_f32_e32 v28, v3, v26
	scratch_store_b64 off, v[27:28], off offset:72
.LBB10_51:
	s_wait_alu 0xfffe
	s_or_b32 exec_lo, exec_lo, s0
	s_wait_loadcnt 0x0
	s_wait_storecnt 0x0
	s_barrier_signal -1
	s_barrier_wait -1
	global_inv scope:SCOPE_SE
	scratch_load_b64 v[26:27], off, off offset:80
	s_mov_b32 s0, exec_lo
	s_wait_loadcnt 0x0
	ds_store_b64 v1, v[26:27]
	s_wait_dscnt 0x0
	s_barrier_signal -1
	s_barrier_wait -1
	global_inv scope:SCOPE_SE
	v_cmpx_ne_u32_e32 10, v0
	s_cbranch_execz .LBB10_55
; %bb.52:
	v_dual_mov_b32 v3, 0 :: v_dual_mov_b32 v26, 0
	s_mov_b32 s1, 0
.LBB10_53:                              ; =>This Inner Loop Header: Depth=1
	scratch_load_b64 v[27:28], v30, off
	ds_load_b64 v[31:32], v1
	v_add_nc_u32_e32 v2, 1, v2
	v_add_nc_u32_e32 v1, 8, v1
	s_delay_alu instid0(VALU_DEP_2)
	v_cmp_lt_u32_e32 vcc_lo, 8, v2
	s_wait_alu 0xfffe
	s_or_b32 s1, vcc_lo, s1
	s_wait_loadcnt_dscnt 0x0
	v_mul_f32_e32 v29, v32, v28
	v_mul_f32_e32 v28, v31, v28
	s_delay_alu instid0(VALU_DEP_2) | instskip(NEXT) | instid1(VALU_DEP_2)
	v_fma_f32 v29, v31, v27, -v29
	v_fmac_f32_e32 v28, v32, v27
	v_add_nc_u32_e32 v30, 8, v30
	s_delay_alu instid0(VALU_DEP_2)
	v_dual_add_f32 v26, v26, v29 :: v_dual_add_f32 v3, v3, v28
	s_wait_alu 0xfffe
	s_and_not1_b32 exec_lo, exec_lo, s1
	s_cbranch_execnz .LBB10_53
; %bb.54:
	s_or_b32 exec_lo, exec_lo, s1
	v_mov_b32_e32 v1, 0
	ds_load_b64 v[1:2], v1 offset:80
	s_wait_dscnt 0x0
	v_mul_f32_e32 v28, v3, v2
	v_mul_f32_e32 v27, v26, v2
	s_delay_alu instid0(VALU_DEP_2) | instskip(NEXT) | instid1(VALU_DEP_2)
	v_fma_f32 v26, v26, v1, -v28
	v_fmac_f32_e32 v27, v3, v1
	scratch_store_b64 off, v[26:27], off offset:80
.LBB10_55:
	s_wait_alu 0xfffe
	s_or_b32 exec_lo, exec_lo, s0
	s_mov_b32 s1, -1
	s_wait_loadcnt 0x0
	s_wait_storecnt 0x0
	s_barrier_signal -1
	s_barrier_wait -1
	global_inv scope:SCOPE_SE
.LBB10_56:
	s_wait_alu 0xfffe
	s_and_b32 vcc_lo, exec_lo, s1
	s_wait_alu 0xfffe
	s_cbranch_vccz .LBB10_58
; %bb.57:
	v_mov_b32_e32 v1, 0
	s_lshl_b64 s[0:1], s[16:17], 2
	s_wait_alu 0xfffe
	s_add_nc_u64 s[0:1], s[6:7], s[0:1]
	global_load_b32 v1, v1, s[0:1]
	s_wait_loadcnt 0x0
	v_cmp_ne_u32_e32 vcc_lo, 0, v1
	s_cbranch_vccz .LBB10_59
.LBB10_58:
	s_endpgm
.LBB10_59:
	v_lshl_add_u32 v3, v0, 3, 0x60
	s_mov_b32 s0, exec_lo
	v_cmpx_eq_u32_e32 10, v0
	s_cbranch_execz .LBB10_61
; %bb.60:
	scratch_load_b64 v[1:2], off, off offset:72
	v_mov_b32_e32 v26, 0
	s_delay_alu instid0(VALU_DEP_1)
	v_mov_b32_e32 v27, v26
	scratch_store_b64 off, v[26:27], off offset:72
	s_wait_loadcnt 0x0
	ds_store_b64 v3, v[1:2]
.LBB10_61:
	s_wait_alu 0xfffe
	s_or_b32 exec_lo, exec_lo, s0
	s_wait_storecnt_dscnt 0x0
	s_barrier_signal -1
	s_barrier_wait -1
	global_inv scope:SCOPE_SE
	s_clause 0x1
	scratch_load_b64 v[26:27], off, off offset:80
	scratch_load_b64 v[28:29], off, off offset:72
	v_mov_b32_e32 v1, 0
	s_mov_b32 s0, exec_lo
	ds_load_b64 v[30:31], v1 offset:176
	s_wait_loadcnt_dscnt 0x100
	v_mul_f32_e32 v2, v31, v27
	s_delay_alu instid0(VALU_DEP_1) | instskip(NEXT) | instid1(VALU_DEP_1)
	v_fma_f32 v2, v30, v26, -v2
	v_dual_mul_f32 v27, v30, v27 :: v_dual_add_f32 v2, 0, v2
	s_delay_alu instid0(VALU_DEP_1) | instskip(SKIP_1) | instid1(VALU_DEP_1)
	v_fmac_f32_e32 v27, v31, v26
	s_wait_loadcnt 0x0
	v_dual_sub_f32 v26, v28, v2 :: v_dual_add_f32 v27, 0, v27
	s_delay_alu instid0(VALU_DEP_1)
	v_sub_f32_e32 v27, v29, v27
	scratch_store_b64 off, v[26:27], off offset:72
	v_cmpx_lt_u32_e32 8, v0
	s_cbranch_execz .LBB10_63
; %bb.62:
	scratch_load_b64 v[26:27], off, off offset:64
	v_mov_b32_e32 v2, v1
	scratch_store_b64 off, v[1:2], off offset:64
	s_wait_loadcnt 0x0
	ds_store_b64 v3, v[26:27]
.LBB10_63:
	s_wait_alu 0xfffe
	s_or_b32 exec_lo, exec_lo, s0
	s_wait_storecnt_dscnt 0x0
	s_barrier_signal -1
	s_barrier_wait -1
	global_inv scope:SCOPE_SE
	s_clause 0x1
	scratch_load_b128 v[26:29], off, off offset:72
	scratch_load_b64 v[34:35], off, off offset:64
	ds_load_2addr_b64 v[30:33], v1 offset0:21 offset1:22
	s_mov_b32 s0, exec_lo
	s_wait_loadcnt_dscnt 0x100
	v_mul_f32_e32 v2, v30, v27
	s_delay_alu instid0(VALU_DEP_1) | instskip(SKIP_2) | instid1(VALU_DEP_1)
	v_fmac_f32_e32 v2, v31, v26
	v_mul_f32_e32 v1, v31, v27
	v_mul_f32_e32 v27, v32, v29
	v_dual_fmac_f32 v27, v33, v28 :: v_dual_add_f32 v2, 0, v2
	v_mul_f32_e32 v29, v33, v29
	s_delay_alu instid0(VALU_DEP_4) | instskip(NEXT) | instid1(VALU_DEP_3)
	v_fma_f32 v1, v30, v26, -v1
	v_add_f32_e32 v2, v2, v27
	s_delay_alu instid0(VALU_DEP_3) | instskip(SKIP_1) | instid1(VALU_DEP_2)
	v_fma_f32 v26, v32, v28, -v29
	s_wait_loadcnt 0x0
	v_dual_add_f32 v1, 0, v1 :: v_dual_sub_f32 v2, v35, v2
	s_delay_alu instid0(VALU_DEP_1) | instskip(NEXT) | instid1(VALU_DEP_1)
	v_add_f32_e32 v1, v1, v26
	v_sub_f32_e32 v1, v34, v1
	scratch_store_b64 off, v[1:2], off offset:64
	v_cmpx_lt_u32_e32 7, v0
	s_cbranch_execz .LBB10_65
; %bb.64:
	scratch_load_b64 v[1:2], off, off offset:56
	v_mov_b32_e32 v26, 0
	s_delay_alu instid0(VALU_DEP_1)
	v_mov_b32_e32 v27, v26
	scratch_store_b64 off, v[26:27], off offset:56
	s_wait_loadcnt 0x0
	ds_store_b64 v3, v[1:2]
.LBB10_65:
	s_wait_alu 0xfffe
	s_or_b32 exec_lo, exec_lo, s0
	s_wait_storecnt_dscnt 0x0
	s_barrier_signal -1
	s_barrier_wait -1
	global_inv scope:SCOPE_SE
	s_clause 0x2
	scratch_load_b128 v[26:29], off, off offset:64
	scratch_load_b64 v[34:35], off, off offset:80
	scratch_load_b64 v[36:37], off, off offset:56
	v_mov_b32_e32 v1, 0
	ds_load_b128 v[30:33], v1 offset:160
	ds_load_b64 v[38:39], v1 offset:176
	s_mov_b32 s0, exec_lo
	s_wait_loadcnt_dscnt 0x201
	v_mul_f32_e32 v2, v31, v27
	v_dual_mul_f32 v27, v30, v27 :: v_dual_mul_f32 v40, v32, v29
	v_mul_f32_e32 v29, v33, v29
	s_wait_loadcnt_dscnt 0x100
	v_mul_f32_e32 v41, v38, v35
	v_fma_f32 v2, v30, v26, -v2
	s_delay_alu instid0(VALU_DEP_2) | instskip(NEXT) | instid1(VALU_DEP_2)
	v_dual_fmac_f32 v40, v33, v28 :: v_dual_fmac_f32 v41, v39, v34
	v_add_f32_e32 v2, 0, v2
	v_fmac_f32_e32 v27, v31, v26
	v_mul_f32_e32 v26, v39, v35
	v_fma_f32 v28, v32, v28, -v29
	s_delay_alu instid0(VALU_DEP_2) | instskip(NEXT) | instid1(VALU_DEP_2)
	v_fma_f32 v26, v38, v34, -v26
	v_dual_add_f32 v2, v2, v28 :: v_dual_add_f32 v27, 0, v27
	s_delay_alu instid0(VALU_DEP_1) | instskip(SKIP_1) | instid1(VALU_DEP_1)
	v_dual_add_f32 v2, v2, v26 :: v_dual_add_f32 v27, v27, v40
	s_wait_loadcnt 0x0
	v_dual_sub_f32 v26, v36, v2 :: v_dual_add_f32 v27, v27, v41
	s_delay_alu instid0(VALU_DEP_1)
	v_sub_f32_e32 v27, v37, v27
	scratch_store_b64 off, v[26:27], off offset:56
	v_cmpx_lt_u32_e32 6, v0
	s_cbranch_execz .LBB10_67
; %bb.66:
	scratch_load_b64 v[26:27], off, off offset:48
	v_mov_b32_e32 v2, v1
	scratch_store_b64 off, v[1:2], off offset:48
	s_wait_loadcnt 0x0
	ds_store_b64 v3, v[26:27]
.LBB10_67:
	s_wait_alu 0xfffe
	s_or_b32 exec_lo, exec_lo, s0
	s_wait_storecnt_dscnt 0x0
	s_barrier_signal -1
	s_barrier_wait -1
	global_inv scope:SCOPE_SE
	s_clause 0x2
	scratch_load_b128 v[26:29], off, off offset:56
	scratch_load_b128 v[30:33], off, off offset:72
	scratch_load_b64 v[42:43], off, off offset:48
	ds_load_2addr_b64 v[34:37], v1 offset0:19 offset1:20
	ds_load_2addr_b64 v[38:41], v1 offset0:21 offset1:22
	s_mov_b32 s0, exec_lo
	s_wait_loadcnt_dscnt 0x201
	v_mul_f32_e32 v2, v35, v27
	s_wait_loadcnt_dscnt 0x100
	v_dual_mul_f32 v44, v38, v31 :: v_dual_mul_f32 v45, v40, v33
	s_delay_alu instid0(VALU_DEP_2) | instskip(SKIP_2) | instid1(VALU_DEP_4)
	v_fma_f32 v2, v34, v26, -v2
	v_mul_f32_e32 v1, v34, v27
	v_mul_f32_e32 v27, v36, v29
	v_dual_mul_f32 v29, v37, v29 :: v_dual_fmac_f32 v44, v39, v30
	s_delay_alu instid0(VALU_DEP_4) | instskip(NEXT) | instid1(VALU_DEP_4)
	v_add_f32_e32 v2, 0, v2
	v_fmac_f32_e32 v1, v35, v26
	s_delay_alu instid0(VALU_DEP_4) | instskip(NEXT) | instid1(VALU_DEP_4)
	v_dual_mul_f32 v26, v39, v31 :: v_dual_fmac_f32 v27, v37, v28
	v_fma_f32 v28, v36, v28, -v29
	v_fmac_f32_e32 v45, v41, v32
	s_delay_alu instid0(VALU_DEP_3) | instskip(NEXT) | instid1(VALU_DEP_3)
	v_fma_f32 v26, v38, v30, -v26
	v_dual_add_f32 v2, v2, v28 :: v_dual_add_f32 v1, 0, v1
	s_delay_alu instid0(VALU_DEP_1) | instskip(NEXT) | instid1(VALU_DEP_2)
	v_dual_add_f32 v2, v2, v26 :: v_dual_mul_f32 v29, v41, v33
	v_add_f32_e32 v1, v1, v27
	s_delay_alu instid0(VALU_DEP_2) | instskip(NEXT) | instid1(VALU_DEP_1)
	v_fma_f32 v27, v40, v32, -v29
	v_dual_add_f32 v1, v1, v44 :: v_dual_add_f32 v2, v2, v27
	s_wait_loadcnt 0x0
	s_delay_alu instid0(VALU_DEP_1) | instskip(NEXT) | instid1(VALU_DEP_1)
	v_dual_add_f32 v26, v1, v45 :: v_dual_sub_f32 v1, v42, v2
	v_sub_f32_e32 v2, v43, v26
	scratch_store_b64 off, v[1:2], off offset:48
	v_cmpx_lt_u32_e32 5, v0
	s_cbranch_execz .LBB10_69
; %bb.68:
	scratch_load_b64 v[1:2], off, off offset:40
	v_mov_b32_e32 v26, 0
	s_delay_alu instid0(VALU_DEP_1)
	v_mov_b32_e32 v27, v26
	scratch_store_b64 off, v[26:27], off offset:40
	s_wait_loadcnt 0x0
	ds_store_b64 v3, v[1:2]
.LBB10_69:
	s_wait_alu 0xfffe
	s_or_b32 exec_lo, exec_lo, s0
	s_wait_storecnt_dscnt 0x0
	s_barrier_signal -1
	s_barrier_wait -1
	global_inv scope:SCOPE_SE
	s_clause 0x3
	scratch_load_b128 v[26:29], off, off offset:48
	scratch_load_b128 v[30:33], off, off offset:64
	scratch_load_b64 v[42:43], off, off offset:80
	scratch_load_b64 v[44:45], off, off offset:40
	v_mov_b32_e32 v1, 0
	ds_load_b128 v[34:37], v1 offset:144
	ds_load_b128 v[38:41], v1 offset:160
	ds_load_b64 v[46:47], v1 offset:176
	s_mov_b32 s0, exec_lo
	s_wait_loadcnt_dscnt 0x302
	v_mul_f32_e32 v2, v34, v27
	v_dual_mul_f32 v48, v36, v29 :: v_dual_mul_f32 v27, v35, v27
	s_wait_loadcnt_dscnt 0x100
	v_mul_f32_e32 v51, v46, v43
	v_dual_mul_f32 v49, v38, v31 :: v_dual_mul_f32 v50, v40, v33
	v_dual_fmac_f32 v2, v35, v26 :: v_dual_mul_f32 v29, v37, v29
	v_fma_f32 v27, v34, v26, -v27
	v_fmac_f32_e32 v48, v37, v28
	v_mul_f32_e32 v26, v39, v31
	s_delay_alu instid0(VALU_DEP_4) | instskip(SKIP_3) | instid1(VALU_DEP_4)
	v_add_f32_e32 v2, 0, v2
	v_fma_f32 v28, v36, v28, -v29
	v_add_f32_e32 v27, 0, v27
	v_mul_f32_e32 v29, v41, v33
	v_dual_fmac_f32 v49, v39, v30 :: v_dual_add_f32 v2, v2, v48
	v_dual_fmac_f32 v50, v41, v32 :: v_dual_fmac_f32 v51, v47, v42
	s_delay_alu instid0(VALU_DEP_4) | instskip(SKIP_1) | instid1(VALU_DEP_4)
	v_add_f32_e32 v27, v27, v28
	v_fma_f32 v26, v38, v30, -v26
	v_add_f32_e32 v2, v2, v49
	v_fma_f32 v29, v40, v32, -v29
	s_delay_alu instid0(VALU_DEP_3) | instskip(NEXT) | instid1(VALU_DEP_3)
	v_add_f32_e32 v26, v27, v26
	v_add_f32_e32 v2, v2, v50
	s_delay_alu instid0(VALU_DEP_2) | instskip(NEXT) | instid1(VALU_DEP_2)
	v_add_f32_e32 v26, v26, v29
	v_add_f32_e32 v2, v2, v51
	v_mul_f32_e32 v28, v47, v43
	s_delay_alu instid0(VALU_DEP_1) | instskip(SKIP_1) | instid1(VALU_DEP_1)
	v_fma_f32 v27, v46, v42, -v28
	s_wait_loadcnt 0x0
	v_dual_add_f32 v26, v26, v27 :: v_dual_sub_f32 v27, v45, v2
	s_delay_alu instid0(VALU_DEP_1)
	v_sub_f32_e32 v26, v44, v26
	scratch_store_b64 off, v[26:27], off offset:40
	v_cmpx_lt_u32_e32 4, v0
	s_cbranch_execz .LBB10_71
; %bb.70:
	scratch_load_b64 v[26:27], off, off offset:32
	v_mov_b32_e32 v2, v1
	scratch_store_b64 off, v[1:2], off offset:32
	s_wait_loadcnt 0x0
	ds_store_b64 v3, v[26:27]
.LBB10_71:
	s_wait_alu 0xfffe
	s_or_b32 exec_lo, exec_lo, s0
	s_wait_storecnt_dscnt 0x0
	s_barrier_signal -1
	s_barrier_wait -1
	global_inv scope:SCOPE_SE
	s_clause 0x3
	scratch_load_b128 v[26:29], off, off offset:40
	scratch_load_b128 v[30:33], off, off offset:56
	;; [unrolled: 1-line block ×3, first 2 shown]
	scratch_load_b64 v[50:51], off, off offset:32
	ds_load_2addr_b64 v[38:41], v1 offset0:17 offset1:18
	ds_load_2addr_b64 v[42:45], v1 offset0:19 offset1:20
	;; [unrolled: 1-line block ×3, first 2 shown]
	s_mov_b32 s0, exec_lo
	s_wait_loadcnt_dscnt 0x302
	v_dual_mul_f32 v1, v38, v27 :: v_dual_mul_f32 v2, v40, v29
	v_mul_f32_e32 v27, v39, v27
	s_wait_loadcnt_dscnt 0x201
	v_dual_mul_f32 v29, v41, v29 :: v_dual_mul_f32 v52, v42, v31
	s_delay_alu instid0(VALU_DEP_3) | instskip(NEXT) | instid1(VALU_DEP_3)
	v_dual_mul_f32 v53, v44, v33 :: v_dual_fmac_f32 v2, v41, v28
	v_fma_f32 v27, v38, v26, -v27
	v_fmac_f32_e32 v1, v39, v26
	v_mul_f32_e32 v26, v43, v31
	v_fma_f32 v28, v40, v28, -v29
	s_delay_alu instid0(VALU_DEP_4)
	v_dual_fmac_f32 v52, v43, v30 :: v_dual_add_f32 v27, 0, v27
	s_wait_loadcnt_dscnt 0x100
	v_dual_mul_f32 v54, v46, v35 :: v_dual_mul_f32 v55, v48, v37
	v_fma_f32 v26, v42, v30, -v26
	v_fmac_f32_e32 v53, v45, v32
	v_add_f32_e32 v27, v27, v28
	s_delay_alu instid0(VALU_DEP_4) | instskip(NEXT) | instid1(VALU_DEP_2)
	v_dual_mul_f32 v29, v45, v33 :: v_dual_fmac_f32 v54, v47, v34
	v_dual_fmac_f32 v55, v49, v36 :: v_dual_add_f32 v26, v27, v26
	s_delay_alu instid0(VALU_DEP_2) | instskip(NEXT) | instid1(VALU_DEP_1)
	v_fma_f32 v28, v44, v32, -v29
	v_dual_mul_f32 v27, v49, v37 :: v_dual_add_f32 v26, v26, v28
	v_add_f32_e32 v1, 0, v1
	s_delay_alu instid0(VALU_DEP_2) | instskip(NEXT) | instid1(VALU_DEP_2)
	v_fma_f32 v27, v48, v36, -v27
	v_dual_add_f32 v1, v1, v2 :: v_dual_mul_f32 v2, v47, v35
	s_delay_alu instid0(VALU_DEP_1) | instskip(NEXT) | instid1(VALU_DEP_1)
	v_fma_f32 v2, v46, v34, -v2
	v_add_f32_e32 v2, v26, v2
	s_delay_alu instid0(VALU_DEP_1) | instskip(NEXT) | instid1(VALU_DEP_1)
	v_dual_add_f32 v2, v2, v27 :: v_dual_add_f32 v1, v1, v52
	v_add_f32_e32 v1, v1, v53
	s_delay_alu instid0(VALU_DEP_1) | instskip(SKIP_1) | instid1(VALU_DEP_1)
	v_add_f32_e32 v1, v1, v54
	s_wait_loadcnt 0x0
	v_dual_add_f32 v26, v1, v55 :: v_dual_sub_f32 v1, v50, v2
	s_delay_alu instid0(VALU_DEP_1)
	v_sub_f32_e32 v2, v51, v26
	scratch_store_b64 off, v[1:2], off offset:32
	v_cmpx_lt_u32_e32 3, v0
	s_cbranch_execz .LBB10_73
; %bb.72:
	scratch_load_b64 v[1:2], off, off offset:24
	v_mov_b32_e32 v26, 0
	s_delay_alu instid0(VALU_DEP_1)
	v_mov_b32_e32 v27, v26
	scratch_store_b64 off, v[26:27], off offset:24
	s_wait_loadcnt 0x0
	ds_store_b64 v3, v[1:2]
.LBB10_73:
	s_wait_alu 0xfffe
	s_or_b32 exec_lo, exec_lo, s0
	s_wait_storecnt_dscnt 0x0
	s_barrier_signal -1
	s_barrier_wait -1
	global_inv scope:SCOPE_SE
	s_clause 0x4
	scratch_load_b128 v[26:29], off, off offset:32
	scratch_load_b128 v[30:33], off, off offset:48
	;; [unrolled: 1-line block ×3, first 2 shown]
	scratch_load_b64 v[50:51], off, off offset:80
	scratch_load_b64 v[52:53], off, off offset:24
	v_mov_b32_e32 v1, 0
	ds_load_b128 v[38:41], v1 offset:128
	ds_load_b128 v[42:45], v1 offset:144
	;; [unrolled: 1-line block ×3, first 2 shown]
	ds_load_b64 v[54:55], v1 offset:176
	s_mov_b32 s0, exec_lo
	s_wait_loadcnt_dscnt 0x403
	v_mul_f32_e32 v2, v38, v27
	s_wait_loadcnt_dscnt 0x302
	v_dual_mul_f32 v56, v40, v29 :: v_dual_mul_f32 v57, v42, v31
	v_dual_mul_f32 v58, v44, v33 :: v_dual_mul_f32 v27, v39, v27
	s_wait_loadcnt_dscnt 0x100
	v_dual_mul_f32 v61, v54, v51 :: v_dual_fmac_f32 v2, v39, v26
	v_mul_f32_e32 v29, v41, v29
	v_dual_mul_f32 v59, v46, v35 :: v_dual_mul_f32 v60, v48, v37
	v_fma_f32 v27, v38, v26, -v27
	v_fmac_f32_e32 v56, v41, v28
	v_add_f32_e32 v2, 0, v2
	v_mul_f32_e32 v26, v43, v31
	v_fma_f32 v28, v40, v28, -v29
	v_add_f32_e32 v27, 0, v27
	v_mul_f32_e32 v29, v45, v33
	v_dual_fmac_f32 v57, v43, v30 :: v_dual_add_f32 v2, v2, v56
	v_dual_fmac_f32 v58, v45, v32 :: v_dual_fmac_f32 v59, v47, v34
	s_delay_alu instid0(VALU_DEP_4) | instskip(SKIP_1) | instid1(VALU_DEP_4)
	v_add_f32_e32 v27, v27, v28
	v_fma_f32 v26, v42, v30, -v26
	v_add_f32_e32 v2, v2, v57
	v_mul_f32_e32 v28, v47, v35
	v_fma_f32 v29, v44, v32, -v29
	v_dual_fmac_f32 v60, v49, v36 :: v_dual_fmac_f32 v61, v55, v50
	s_delay_alu instid0(VALU_DEP_4) | instskip(SKIP_2) | instid1(VALU_DEP_3)
	v_add_f32_e32 v2, v2, v58
	v_dual_add_f32 v26, v27, v26 :: v_dual_mul_f32 v27, v49, v37
	v_fma_f32 v28, v46, v34, -v28
	v_add_f32_e32 v2, v2, v59
	s_delay_alu instid0(VALU_DEP_3) | instskip(NEXT) | instid1(VALU_DEP_4)
	v_dual_add_f32 v26, v26, v29 :: v_dual_mul_f32 v29, v55, v51
	v_fma_f32 v27, v48, v36, -v27
	s_delay_alu instid0(VALU_DEP_3) | instskip(NEXT) | instid1(VALU_DEP_1)
	v_add_f32_e32 v2, v2, v60
	v_add_f32_e32 v2, v2, v61
	s_delay_alu instid0(VALU_DEP_4) | instskip(SKIP_2) | instid1(VALU_DEP_2)
	v_add_f32_e32 v26, v26, v28
	v_fma_f32 v28, v54, v50, -v29
	s_wait_loadcnt 0x0
	v_dual_add_f32 v26, v26, v27 :: v_dual_sub_f32 v27, v53, v2
	s_delay_alu instid0(VALU_DEP_1) | instskip(NEXT) | instid1(VALU_DEP_1)
	v_add_f32_e32 v26, v26, v28
	v_sub_f32_e32 v26, v52, v26
	scratch_store_b64 off, v[26:27], off offset:24
	v_cmpx_lt_u32_e32 2, v0
	s_cbranch_execz .LBB10_75
; %bb.74:
	scratch_load_b64 v[26:27], off, off offset:16
	v_mov_b32_e32 v2, v1
	scratch_store_b64 off, v[1:2], off offset:16
	s_wait_loadcnt 0x0
	ds_store_b64 v3, v[26:27]
.LBB10_75:
	s_wait_alu 0xfffe
	s_or_b32 exec_lo, exec_lo, s0
	s_wait_storecnt_dscnt 0x0
	s_barrier_signal -1
	s_barrier_wait -1
	global_inv scope:SCOPE_SE
	s_clause 0x4
	scratch_load_b128 v[26:29], off, off offset:24
	scratch_load_b128 v[30:33], off, off offset:40
	;; [unrolled: 1-line block ×4, first 2 shown]
	scratch_load_b64 v[58:59], off, off offset:16
	ds_load_2addr_b64 v[42:45], v1 offset0:15 offset1:16
	ds_load_2addr_b64 v[46:49], v1 offset0:17 offset1:18
	ds_load_2addr_b64 v[50:53], v1 offset0:19 offset1:20
	ds_load_2addr_b64 v[54:57], v1 offset0:21 offset1:22
	s_mov_b32 s0, exec_lo
	s_wait_loadcnt_dscnt 0x403
	v_dual_mul_f32 v1, v42, v27 :: v_dual_mul_f32 v2, v44, v29
	v_mul_f32_e32 v27, v43, v27
	s_wait_loadcnt_dscnt 0x302
	v_dual_mul_f32 v29, v45, v29 :: v_dual_mul_f32 v60, v46, v31
	s_delay_alu instid0(VALU_DEP_3) | instskip(NEXT) | instid1(VALU_DEP_3)
	v_dual_mul_f32 v61, v48, v33 :: v_dual_fmac_f32 v2, v45, v28
	v_fma_f32 v27, v42, v26, -v27
	v_fmac_f32_e32 v1, v43, v26
	v_mul_f32_e32 v26, v47, v31
	v_fma_f32 v28, v44, v28, -v29
	s_delay_alu instid0(VALU_DEP_4)
	v_dual_fmac_f32 v60, v47, v30 :: v_dual_add_f32 v27, 0, v27
	s_wait_loadcnt_dscnt 0x201
	v_dual_mul_f32 v62, v50, v35 :: v_dual_mul_f32 v63, v52, v37
	v_fma_f32 v26, v46, v30, -v26
	s_wait_loadcnt_dscnt 0x100
	v_dual_mul_f32 v64, v54, v39 :: v_dual_mul_f32 v65, v56, v41
	v_add_f32_e32 v27, v27, v28
	v_mul_f32_e32 v29, v49, v33
	v_dual_fmac_f32 v61, v49, v32 :: v_dual_fmac_f32 v62, v51, v34
	s_delay_alu instid0(VALU_DEP_3) | instskip(NEXT) | instid1(VALU_DEP_3)
	v_dual_fmac_f32 v65, v57, v40 :: v_dual_add_f32 v26, v27, v26
	v_fma_f32 v28, v48, v32, -v29
	v_fmac_f32_e32 v64, v55, v38
	s_delay_alu instid0(VALU_DEP_2) | instskip(NEXT) | instid1(VALU_DEP_1)
	v_dual_add_f32 v26, v26, v28 :: v_dual_add_f32 v1, 0, v1
	v_dual_mul_f32 v28, v55, v39 :: v_dual_add_f32 v1, v1, v2
	v_mul_f32_e32 v2, v51, v35
	s_delay_alu instid0(VALU_DEP_2) | instskip(SKIP_1) | instid1(VALU_DEP_4)
	v_fma_f32 v28, v54, v38, -v28
	v_mul_f32_e32 v27, v53, v37
	v_add_f32_e32 v1, v1, v60
	s_delay_alu instid0(VALU_DEP_4) | instskip(NEXT) | instid1(VALU_DEP_3)
	v_fma_f32 v2, v50, v34, -v2
	v_fma_f32 v27, v52, v36, -v27
	s_delay_alu instid0(VALU_DEP_2) | instskip(SKIP_1) | instid1(VALU_DEP_2)
	v_dual_add_f32 v2, v26, v2 :: v_dual_add_f32 v1, v1, v61
	v_mul_f32_e32 v26, v57, v41
	v_dual_add_f32 v2, v2, v27 :: v_dual_add_f32 v1, v1, v62
	s_delay_alu instid0(VALU_DEP_2) | instskip(NEXT) | instid1(VALU_DEP_2)
	v_fma_f32 v26, v56, v40, -v26
	v_add_f32_e32 v2, v2, v28
	s_delay_alu instid0(VALU_DEP_1) | instskip(NEXT) | instid1(VALU_DEP_1)
	v_dual_fmac_f32 v63, v53, v36 :: v_dual_add_f32 v2, v2, v26
	v_add_f32_e32 v1, v1, v63
	s_delay_alu instid0(VALU_DEP_1) | instskip(SKIP_1) | instid1(VALU_DEP_1)
	v_add_f32_e32 v1, v1, v64
	s_wait_loadcnt 0x0
	v_dual_add_f32 v26, v1, v65 :: v_dual_sub_f32 v1, v58, v2
	s_delay_alu instid0(VALU_DEP_1)
	v_sub_f32_e32 v2, v59, v26
	scratch_store_b64 off, v[1:2], off offset:16
	v_cmpx_lt_u32_e32 1, v0
	s_cbranch_execz .LBB10_77
; %bb.76:
	scratch_load_b64 v[1:2], off, off offset:8
	v_mov_b32_e32 v26, 0
	s_delay_alu instid0(VALU_DEP_1)
	v_mov_b32_e32 v27, v26
	scratch_store_b64 off, v[26:27], off offset:8
	s_wait_loadcnt 0x0
	ds_store_b64 v3, v[1:2]
.LBB10_77:
	s_wait_alu 0xfffe
	s_or_b32 exec_lo, exec_lo, s0
	s_wait_storecnt_dscnt 0x0
	s_barrier_signal -1
	s_barrier_wait -1
	global_inv scope:SCOPE_SE
	s_clause 0x5
	scratch_load_b128 v[27:30], off, off offset:16
	scratch_load_b128 v[31:34], off, off offset:32
	scratch_load_b128 v[35:38], off, off offset:48
	scratch_load_b128 v[39:42], off, off offset:64
	scratch_load_b64 v[1:2], off, off offset:80
	scratch_load_b64 v[59:60], off, off offset:8
	v_mov_b32_e32 v26, 0
	ds_load_b128 v[43:46], v26 offset:112
	ds_load_b128 v[47:50], v26 offset:128
	;; [unrolled: 1-line block ×4, first 2 shown]
	ds_load_b64 v[61:62], v26 offset:176
	s_mov_b32 s0, exec_lo
	s_wait_loadcnt_dscnt 0x504
	v_mul_f32_e32 v63, v43, v28
	v_mul_f32_e32 v28, v44, v28
	s_wait_loadcnt_dscnt 0x403
	v_dual_mul_f32 v64, v45, v30 :: v_dual_mul_f32 v65, v47, v32
	s_wait_loadcnt_dscnt 0x100
	v_mul_f32_e32 v71, v61, v2
	v_mul_f32_e32 v30, v46, v30
	v_fma_f32 v28, v43, v27, -v28
	v_dual_mul_f32 v70, v57, v42 :: v_dual_fmac_f32 v63, v44, v27
	v_dual_mul_f32 v27, v48, v32 :: v_dual_fmac_f32 v64, v46, v29
	v_fmac_f32_e32 v65, v48, v31
	v_fma_f32 v29, v45, v29, -v30
	v_add_f32_e32 v28, 0, v28
	v_add_f32_e32 v30, 0, v63
	v_fma_f32 v27, v47, v31, -v27
	v_dual_mul_f32 v66, v49, v34 :: v_dual_mul_f32 v67, v51, v36
	s_delay_alu instid0(VALU_DEP_4) | instskip(SKIP_2) | instid1(VALU_DEP_4)
	v_add_f32_e32 v28, v28, v29
	v_mul_f32_e32 v32, v50, v34
	v_dual_mul_f32 v68, v53, v38 :: v_dual_mul_f32 v69, v55, v40
	v_dual_fmac_f32 v66, v50, v33 :: v_dual_fmac_f32 v67, v52, v35
	s_delay_alu instid0(VALU_DEP_4) | instskip(NEXT) | instid1(VALU_DEP_4)
	v_add_f32_e32 v27, v28, v27
	v_fma_f32 v31, v49, v33, -v32
	s_delay_alu instid0(VALU_DEP_4) | instskip(SKIP_1) | instid1(VALU_DEP_3)
	v_dual_fmac_f32 v68, v54, v37 :: v_dual_fmac_f32 v69, v56, v39
	v_mul_f32_e32 v2, v62, v2
	v_dual_fmac_f32 v70, v58, v41 :: v_dual_add_f32 v27, v27, v31
	v_mul_f32_e32 v31, v56, v40
	v_add_f32_e32 v29, v30, v64
	v_fmac_f32_e32 v71, v62, v1
	v_fma_f32 v1, v61, v1, -v2
	s_delay_alu instid0(VALU_DEP_4) | instskip(NEXT) | instid1(VALU_DEP_4)
	v_fma_f32 v31, v55, v39, -v31
	v_dual_add_f32 v28, v29, v65 :: v_dual_mul_f32 v29, v54, v38
	s_delay_alu instid0(VALU_DEP_1) | instskip(SKIP_1) | instid1(VALU_DEP_1)
	v_fma_f32 v29, v53, v37, -v29
	v_mul_f32_e32 v30, v52, v36
	v_fma_f32 v30, v51, v35, -v30
	s_delay_alu instid0(VALU_DEP_1) | instskip(NEXT) | instid1(VALU_DEP_1)
	v_add_f32_e32 v27, v27, v30
	v_dual_add_f32 v28, v28, v66 :: v_dual_add_f32 v27, v27, v29
	v_mul_f32_e32 v30, v58, v42
	s_delay_alu instid0(VALU_DEP_2) | instskip(NEXT) | instid1(VALU_DEP_3)
	v_add_f32_e32 v28, v28, v67
	v_add_f32_e32 v27, v27, v31
	s_delay_alu instid0(VALU_DEP_3) | instskip(NEXT) | instid1(VALU_DEP_1)
	v_fma_f32 v29, v57, v41, -v30
	v_add_f32_e32 v2, v27, v29
	s_delay_alu instid0(VALU_DEP_1) | instskip(NEXT) | instid1(VALU_DEP_1)
	v_dual_add_f32 v28, v28, v68 :: v_dual_add_f32 v1, v2, v1
	v_add_f32_e32 v28, v28, v69
	s_wait_loadcnt 0x0
	s_delay_alu instid0(VALU_DEP_2) | instskip(NEXT) | instid1(VALU_DEP_2)
	v_sub_f32_e32 v1, v59, v1
	v_add_f32_e32 v27, v28, v70
	s_delay_alu instid0(VALU_DEP_1) | instskip(NEXT) | instid1(VALU_DEP_1)
	v_add_f32_e32 v2, v27, v71
	v_sub_f32_e32 v2, v60, v2
	scratch_store_b64 off, v[1:2], off offset:8
	v_cmpx_ne_u32_e32 0, v0
	s_cbranch_execz .LBB10_79
; %bb.78:
	scratch_load_b64 v[0:1], off, off
	v_mov_b32_e32 v27, v26
	scratch_store_b64 off, v[26:27], off
	s_wait_loadcnt 0x0
	ds_store_b64 v3, v[0:1]
.LBB10_79:
	s_wait_alu 0xfffe
	s_or_b32 exec_lo, exec_lo, s0
	s_wait_storecnt_dscnt 0x0
	s_barrier_signal -1
	s_barrier_wait -1
	global_inv scope:SCOPE_SE
	s_clause 0x5
	scratch_load_b128 v[27:30], off, off offset:8
	scratch_load_b128 v[31:34], off, off offset:24
	;; [unrolled: 1-line block ×5, first 2 shown]
	scratch_load_b64 v[63:64], off, off
	ds_load_2addr_b64 v[43:46], v26 offset0:13 offset1:14
	ds_load_2addr_b64 v[47:50], v26 offset0:15 offset1:16
	;; [unrolled: 1-line block ×5, first 2 shown]
	s_and_b32 vcc_lo, exec_lo, s18
	s_wait_loadcnt_dscnt 0x504
	v_dual_mul_f32 v26, v43, v28 :: v_dual_mul_f32 v65, v45, v30
	v_mul_f32_e32 v28, v44, v28
	s_wait_loadcnt_dscnt 0x100
	v_dual_mul_f32 v30, v46, v30 :: v_dual_mul_f32 v73, v61, v3
	v_dual_mul_f32 v66, v47, v32 :: v_dual_mul_f32 v67, v49, v34
	s_delay_alu instid0(VALU_DEP_3) | instskip(SKIP_1) | instid1(VALU_DEP_4)
	v_fma_f32 v28, v43, v27, -v28
	v_dual_fmac_f32 v26, v44, v27 :: v_dual_fmac_f32 v65, v46, v29
	v_fma_f32 v29, v45, v29, -v30
	v_dual_mul_f32 v72, v59, v1 :: v_dual_mul_f32 v27, v48, v32
	s_delay_alu instid0(VALU_DEP_4) | instskip(SKIP_1) | instid1(VALU_DEP_3)
	v_dual_add_f32 v28, 0, v28 :: v_dual_fmac_f32 v67, v50, v33
	v_dual_mul_f32 v70, v55, v40 :: v_dual_mul_f32 v71, v57, v42
	v_fma_f32 v27, v47, v31, -v27
	s_delay_alu instid0(VALU_DEP_3) | instskip(SKIP_2) | instid1(VALU_DEP_3)
	v_add_f32_e32 v28, v28, v29
	v_dual_mul_f32 v29, v52, v36 :: v_dual_add_f32 v26, 0, v26
	v_dual_mul_f32 v68, v51, v36 :: v_dual_mul_f32 v69, v53, v38
	v_add_f32_e32 v27, v28, v27
	s_delay_alu instid0(VALU_DEP_3) | instskip(SKIP_4) | instid1(VALU_DEP_4)
	v_fma_f32 v29, v51, v35, -v29
	v_mul_f32_e32 v30, v50, v34
	v_mul_f32_e32 v28, v54, v38
	v_dual_fmac_f32 v71, v58, v41 :: v_dual_fmac_f32 v68, v52, v35
	v_fmac_f32_e32 v69, v54, v37
	v_fma_f32 v30, v49, v33, -v30
	v_fmac_f32_e32 v66, v48, v31
	v_fma_f32 v28, v53, v37, -v28
	v_dual_fmac_f32 v72, v60, v0 :: v_dual_fmac_f32 v73, v62, v2
	s_delay_alu instid0(VALU_DEP_4) | instskip(SKIP_1) | instid1(VALU_DEP_2)
	v_dual_add_f32 v27, v27, v30 :: v_dual_mul_f32 v30, v56, v40
	v_mul_f32_e32 v3, v62, v3
	v_add_f32_e32 v27, v27, v29
	v_add_f32_e32 v26, v26, v65
	v_mul_f32_e32 v29, v58, v42
	v_fma_f32 v30, v55, v39, -v30
	v_fma_f32 v2, v61, v2, -v3
	v_dual_add_f32 v27, v27, v28 :: v_dual_fmac_f32 v70, v56, v39
	v_mul_f32_e32 v28, v60, v1
	v_fma_f32 v29, v57, v41, -v29
	s_delay_alu instid0(VALU_DEP_3) | instskip(SKIP_1) | instid1(VALU_DEP_4)
	v_add_f32_e32 v27, v27, v30
	v_add_f32_e32 v26, v26, v66
	v_fma_f32 v28, v59, v0, -v28
	s_delay_alu instid0(VALU_DEP_2) | instskip(NEXT) | instid1(VALU_DEP_1)
	v_dual_add_f32 v27, v27, v29 :: v_dual_add_f32 v26, v26, v67
	v_add_f32_e32 v3, v27, v28
	s_delay_alu instid0(VALU_DEP_2) | instskip(NEXT) | instid1(VALU_DEP_1)
	v_add_f32_e32 v26, v26, v68
	v_add_f32_e32 v26, v26, v69
	s_delay_alu instid0(VALU_DEP_1) | instskip(NEXT) | instid1(VALU_DEP_1)
	v_add_f32_e32 v26, v26, v70
	v_add_f32_e32 v26, v26, v71
	s_delay_alu instid0(VALU_DEP_1) | instskip(NEXT) | instid1(VALU_DEP_1)
	v_add_f32_e32 v26, v26, v72
	v_dual_add_f32 v2, v3, v2 :: v_dual_add_f32 v3, v26, v73
	s_wait_loadcnt 0x0
	s_delay_alu instid0(VALU_DEP_1)
	v_dual_sub_f32 v2, v63, v2 :: v_dual_sub_f32 v3, v64, v3
	scratch_store_b64 off, v[2:3], off
	s_wait_alu 0xfffe
	s_cbranch_vccz .LBB10_100
; %bb.80:
	v_mov_b32_e32 v2, 0
	global_load_b32 v3, v2, s[2:3] offset:36
	s_wait_loadcnt 0x0
	v_cmp_ne_u32_e32 vcc_lo, 10, v3
	s_cbranch_vccz .LBB10_82
; %bb.81:
	v_lshlrev_b32_e32 v3, 3, v3
	scratch_load_b64 v[26:27], v3, off offset:-8
	s_wait_loadcnt 0x0
	scratch_store_b64 off, v[26:27], off offset:72
	scratch_store_b64 v3, v[0:1], off offset:-8
.LBB10_82:
	global_load_b32 v0, v2, s[2:3] offset:32
	s_wait_loadcnt 0x0
	v_cmp_eq_u32_e32 vcc_lo, 9, v0
	s_cbranch_vccnz .LBB10_84
; %bb.83:
	v_lshlrev_b32_e32 v0, 3, v0
	s_delay_alu instid0(VALU_DEP_1)
	v_mov_b32_e32 v26, v0
	scratch_load_b64 v[0:1], v26, off offset:-8
	scratch_load_b64 v[2:3], off, off offset:64
	s_wait_loadcnt 0x1
	scratch_store_b64 off, v[0:1], off offset:64
	s_wait_loadcnt 0x0
	scratch_store_b64 v26, v[2:3], off offset:-8
.LBB10_84:
	v_mov_b32_e32 v0, 0
	global_load_b32 v1, v0, s[2:3] offset:28
	s_wait_loadcnt 0x0
	v_cmp_eq_u32_e32 vcc_lo, 8, v1
	s_cbranch_vccnz .LBB10_86
; %bb.85:
	v_lshlrev_b32_e32 v1, 3, v1
	s_delay_alu instid0(VALU_DEP_1)
	v_mov_b32_e32 v3, v1
	scratch_load_b64 v[1:2], v3, off offset:-8
	scratch_load_b64 v[26:27], off, off offset:56
	s_wait_loadcnt 0x1
	scratch_store_b64 off, v[1:2], off offset:56
	s_wait_loadcnt 0x0
	scratch_store_b64 v3, v[26:27], off offset:-8
.LBB10_86:
	global_load_b32 v0, v0, s[2:3] offset:24
	s_wait_loadcnt 0x0
	v_cmp_eq_u32_e32 vcc_lo, 7, v0
	s_cbranch_vccnz .LBB10_88
; %bb.87:
	v_lshlrev_b32_e32 v0, 3, v0
	s_delay_alu instid0(VALU_DEP_1)
	v_mov_b32_e32 v26, v0
	scratch_load_b64 v[0:1], v26, off offset:-8
	scratch_load_b64 v[2:3], off, off offset:48
	s_wait_loadcnt 0x1
	scratch_store_b64 off, v[0:1], off offset:48
	s_wait_loadcnt 0x0
	scratch_store_b64 v26, v[2:3], off offset:-8
.LBB10_88:
	v_mov_b32_e32 v0, 0
	global_load_b32 v1, v0, s[2:3] offset:20
	s_wait_loadcnt 0x0
	v_cmp_eq_u32_e32 vcc_lo, 6, v1
	s_cbranch_vccnz .LBB10_90
; %bb.89:
	v_lshlrev_b32_e32 v1, 3, v1
	s_delay_alu instid0(VALU_DEP_1)
	v_mov_b32_e32 v3, v1
	scratch_load_b64 v[1:2], v3, off offset:-8
	scratch_load_b64 v[26:27], off, off offset:40
	s_wait_loadcnt 0x1
	scratch_store_b64 off, v[1:2], off offset:40
	s_wait_loadcnt 0x0
	scratch_store_b64 v3, v[26:27], off offset:-8
.LBB10_90:
	;; [unrolled: 31-line block ×4, first 2 shown]
	global_load_b32 v0, v0, s[2:3]
	s_wait_loadcnt 0x0
	v_cmp_eq_u32_e32 vcc_lo, 1, v0
	s_cbranch_vccnz .LBB10_100
; %bb.99:
	v_lshlrev_b32_e32 v0, 3, v0
	s_delay_alu instid0(VALU_DEP_1)
	v_mov_b32_e32 v26, v0
	scratch_load_b64 v[0:1], v26, off offset:-8
	scratch_load_b64 v[2:3], off, off
	s_wait_loadcnt 0x1
	scratch_store_b64 off, v[0:1], off
	s_wait_loadcnt 0x0
	scratch_store_b64 v26, v[2:3], off offset:-8
.LBB10_100:
	s_clause 0x5
	scratch_load_b128 v[0:3], off, off
	scratch_load_b128 v[26:29], off, off offset:16
	scratch_load_b128 v[30:33], off, off offset:32
	;; [unrolled: 1-line block ×4, first 2 shown]
	scratch_load_b64 v[42:43], off, off offset:80
	s_wait_loadcnt 0x5
	s_clause 0x1
	global_store_b64 v[4:5], v[0:1], off
	global_store_b64 v[6:7], v[2:3], off
	s_wait_loadcnt 0x4
	s_clause 0x1
	global_store_b64 v[8:9], v[26:27], off
	global_store_b64 v[10:11], v[28:29], off
	;; [unrolled: 4-line block ×5, first 2 shown]
	s_wait_loadcnt 0x0
	global_store_b64 v[24:25], v[42:43], off
	s_endpgm
	.section	.rodata,"a",@progbits
	.p2align	6, 0x0
	.amdhsa_kernel _ZN9rocsolver6v33100L18getri_kernel_smallILi11E19rocblas_complex_numIfEPS3_EEvT1_iilPiilS6_bb
		.amdhsa_group_segment_fixed_size 184
		.amdhsa_private_segment_fixed_size 96
		.amdhsa_kernarg_size 60
		.amdhsa_user_sgpr_count 2
		.amdhsa_user_sgpr_dispatch_ptr 0
		.amdhsa_user_sgpr_queue_ptr 0
		.amdhsa_user_sgpr_kernarg_segment_ptr 1
		.amdhsa_user_sgpr_dispatch_id 0
		.amdhsa_user_sgpr_private_segment_size 0
		.amdhsa_wavefront_size32 1
		.amdhsa_uses_dynamic_stack 0
		.amdhsa_enable_private_segment 1
		.amdhsa_system_sgpr_workgroup_id_x 1
		.amdhsa_system_sgpr_workgroup_id_y 0
		.amdhsa_system_sgpr_workgroup_id_z 0
		.amdhsa_system_sgpr_workgroup_info 0
		.amdhsa_system_vgpr_workitem_id 0
		.amdhsa_next_free_vgpr 74
		.amdhsa_next_free_sgpr 19
		.amdhsa_reserve_vcc 1
		.amdhsa_float_round_mode_32 0
		.amdhsa_float_round_mode_16_64 0
		.amdhsa_float_denorm_mode_32 3
		.amdhsa_float_denorm_mode_16_64 3
		.amdhsa_fp16_overflow 0
		.amdhsa_workgroup_processor_mode 1
		.amdhsa_memory_ordered 1
		.amdhsa_forward_progress 1
		.amdhsa_inst_pref_size 74
		.amdhsa_round_robin_scheduling 0
		.amdhsa_exception_fp_ieee_invalid_op 0
		.amdhsa_exception_fp_denorm_src 0
		.amdhsa_exception_fp_ieee_div_zero 0
		.amdhsa_exception_fp_ieee_overflow 0
		.amdhsa_exception_fp_ieee_underflow 0
		.amdhsa_exception_fp_ieee_inexact 0
		.amdhsa_exception_int_div_zero 0
	.end_amdhsa_kernel
	.section	.text._ZN9rocsolver6v33100L18getri_kernel_smallILi11E19rocblas_complex_numIfEPS3_EEvT1_iilPiilS6_bb,"axG",@progbits,_ZN9rocsolver6v33100L18getri_kernel_smallILi11E19rocblas_complex_numIfEPS3_EEvT1_iilPiilS6_bb,comdat
.Lfunc_end10:
	.size	_ZN9rocsolver6v33100L18getri_kernel_smallILi11E19rocblas_complex_numIfEPS3_EEvT1_iilPiilS6_bb, .Lfunc_end10-_ZN9rocsolver6v33100L18getri_kernel_smallILi11E19rocblas_complex_numIfEPS3_EEvT1_iilPiilS6_bb
                                        ; -- End function
	.set _ZN9rocsolver6v33100L18getri_kernel_smallILi11E19rocblas_complex_numIfEPS3_EEvT1_iilPiilS6_bb.num_vgpr, 74
	.set _ZN9rocsolver6v33100L18getri_kernel_smallILi11E19rocblas_complex_numIfEPS3_EEvT1_iilPiilS6_bb.num_agpr, 0
	.set _ZN9rocsolver6v33100L18getri_kernel_smallILi11E19rocblas_complex_numIfEPS3_EEvT1_iilPiilS6_bb.numbered_sgpr, 19
	.set _ZN9rocsolver6v33100L18getri_kernel_smallILi11E19rocblas_complex_numIfEPS3_EEvT1_iilPiilS6_bb.num_named_barrier, 0
	.set _ZN9rocsolver6v33100L18getri_kernel_smallILi11E19rocblas_complex_numIfEPS3_EEvT1_iilPiilS6_bb.private_seg_size, 96
	.set _ZN9rocsolver6v33100L18getri_kernel_smallILi11E19rocblas_complex_numIfEPS3_EEvT1_iilPiilS6_bb.uses_vcc, 1
	.set _ZN9rocsolver6v33100L18getri_kernel_smallILi11E19rocblas_complex_numIfEPS3_EEvT1_iilPiilS6_bb.uses_flat_scratch, 1
	.set _ZN9rocsolver6v33100L18getri_kernel_smallILi11E19rocblas_complex_numIfEPS3_EEvT1_iilPiilS6_bb.has_dyn_sized_stack, 0
	.set _ZN9rocsolver6v33100L18getri_kernel_smallILi11E19rocblas_complex_numIfEPS3_EEvT1_iilPiilS6_bb.has_recursion, 0
	.set _ZN9rocsolver6v33100L18getri_kernel_smallILi11E19rocblas_complex_numIfEPS3_EEvT1_iilPiilS6_bb.has_indirect_call, 0
	.section	.AMDGPU.csdata,"",@progbits
; Kernel info:
; codeLenInByte = 9432
; TotalNumSgprs: 21
; NumVgprs: 74
; ScratchSize: 96
; MemoryBound: 0
; FloatMode: 240
; IeeeMode: 1
; LDSByteSize: 184 bytes/workgroup (compile time only)
; SGPRBlocks: 0
; VGPRBlocks: 9
; NumSGPRsForWavesPerEU: 21
; NumVGPRsForWavesPerEU: 74
; Occupancy: 16
; WaveLimiterHint : 1
; COMPUTE_PGM_RSRC2:SCRATCH_EN: 1
; COMPUTE_PGM_RSRC2:USER_SGPR: 2
; COMPUTE_PGM_RSRC2:TRAP_HANDLER: 0
; COMPUTE_PGM_RSRC2:TGID_X_EN: 1
; COMPUTE_PGM_RSRC2:TGID_Y_EN: 0
; COMPUTE_PGM_RSRC2:TGID_Z_EN: 0
; COMPUTE_PGM_RSRC2:TIDIG_COMP_CNT: 0
	.section	.text._ZN9rocsolver6v33100L18getri_kernel_smallILi12E19rocblas_complex_numIfEPS3_EEvT1_iilPiilS6_bb,"axG",@progbits,_ZN9rocsolver6v33100L18getri_kernel_smallILi12E19rocblas_complex_numIfEPS3_EEvT1_iilPiilS6_bb,comdat
	.globl	_ZN9rocsolver6v33100L18getri_kernel_smallILi12E19rocblas_complex_numIfEPS3_EEvT1_iilPiilS6_bb ; -- Begin function _ZN9rocsolver6v33100L18getri_kernel_smallILi12E19rocblas_complex_numIfEPS3_EEvT1_iilPiilS6_bb
	.p2align	8
	.type	_ZN9rocsolver6v33100L18getri_kernel_smallILi12E19rocblas_complex_numIfEPS3_EEvT1_iilPiilS6_bb,@function
_ZN9rocsolver6v33100L18getri_kernel_smallILi12E19rocblas_complex_numIfEPS3_EEvT1_iilPiilS6_bb: ; @_ZN9rocsolver6v33100L18getri_kernel_smallILi12E19rocblas_complex_numIfEPS3_EEvT1_iilPiilS6_bb
; %bb.0:
	s_mov_b32 s2, exec_lo
	v_cmpx_gt_u32_e32 12, v0
	s_cbranch_execz .LBB11_62
; %bb.1:
	s_clause 0x2
	s_load_b32 s2, s[0:1], 0x38
	s_load_b128 s[12:15], s[0:1], 0x10
	s_load_b128 s[4:7], s[0:1], 0x28
	s_mov_b32 s16, ttmp9
	s_wait_kmcnt 0x0
	s_bitcmp1_b32 s2, 8
	s_cselect_b32 s18, -1, 0
	s_bfe_u32 s2, s2, 0x10008
	s_ashr_i32 s17, ttmp9, 31
	s_cmp_eq_u32 s2, 0
                                        ; implicit-def: $sgpr2_sgpr3
	s_cbranch_scc1 .LBB11_3
; %bb.2:
	s_load_b32 s2, s[0:1], 0x20
	s_mul_u64 s[4:5], s[4:5], s[16:17]
	s_delay_alu instid0(SALU_CYCLE_1) | instskip(NEXT) | instid1(SALU_CYCLE_1)
	s_lshl_b64 s[4:5], s[4:5], 2
	s_add_nc_u64 s[4:5], s[14:15], s[4:5]
	s_wait_kmcnt 0x0
	s_ashr_i32 s3, s2, 31
	s_delay_alu instid0(SALU_CYCLE_1) | instskip(NEXT) | instid1(SALU_CYCLE_1)
	s_lshl_b64 s[2:3], s[2:3], 2
	s_add_nc_u64 s[2:3], s[4:5], s[2:3]
.LBB11_3:
	s_clause 0x1
	s_load_b128 s[8:11], s[0:1], 0x0
	s_load_b32 s4, s[0:1], 0x38
	s_mul_u64 s[0:1], s[12:13], s[16:17]
	v_lshlrev_b32_e32 v3, 3, v0
	s_lshl_b64 s[0:1], s[0:1], 3
	s_wait_kmcnt 0x0
	v_add3_u32 v1, s11, s11, v0
	s_ashr_i32 s13, s10, 31
	s_mov_b32 s12, s10
	s_add_nc_u64 s[0:1], s[8:9], s[0:1]
	s_lshl_b64 s[12:13], s[12:13], 3
	v_add_nc_u32_e32 v8, s11, v1
	v_ashrrev_i32_e32 v2, 31, v1
	s_add_nc_u64 s[0:1], s[0:1], s[12:13]
	s_ashr_i32 s9, s11, 31
	v_add_co_u32 v4, s5, s0, v3
	v_add_nc_u32_e32 v10, s11, v8
	s_mov_b32 s8, s11
	v_lshlrev_b64_e32 v[1:2], 3, v[1:2]
	v_add_co_ci_u32_e64 v5, null, s1, 0, s5
	v_ashrrev_i32_e32 v9, 31, v8
	s_lshl_b64 s[8:9], s[8:9], 3
	v_ashrrev_i32_e32 v11, 31, v10
	v_add_co_u32 v6, vcc_lo, v4, s8
	v_add_nc_u32_e32 v14, s11, v10
	v_add_co_ci_u32_e64 v7, null, s9, v5, vcc_lo
	v_lshlrev_b64_e32 v[12:13], 3, v[8:9]
	v_add_co_u32 v8, vcc_lo, s0, v1
	s_wait_alu 0xfffd
	v_add_co_ci_u32_e64 v9, null, s1, v2, vcc_lo
	v_lshlrev_b64_e32 v[1:2], 3, v[10:11]
	v_add_nc_u32_e32 v16, s11, v14
	v_add_co_u32 v10, vcc_lo, s0, v12
	s_wait_alu 0xfffd
	v_add_co_ci_u32_e64 v11, null, s1, v13, vcc_lo
	s_delay_alu instid0(VALU_DEP_4)
	v_add_co_u32 v12, vcc_lo, s0, v1
	v_add_nc_u32_e32 v1, s11, v16
	v_ashrrev_i32_e32 v15, 31, v14
	v_ashrrev_i32_e32 v17, 31, v16
	s_wait_alu 0xfffd
	v_add_co_ci_u32_e64 v13, null, s1, v2, vcc_lo
	v_add_nc_u32_e32 v18, s11, v1
	v_ashrrev_i32_e32 v2, 31, v1
	v_lshlrev_b64_e32 v[14:15], 3, v[14:15]
	v_lshlrev_b64_e32 v[16:17], 3, v[16:17]
	global_load_b64 v[28:29], v3, s[0:1]
	v_add_nc_u32_e32 v20, s11, v18
	v_lshlrev_b64_e32 v[1:2], 3, v[1:2]
	v_ashrrev_i32_e32 v19, 31, v18
	v_add_co_u32 v14, vcc_lo, s0, v14
	s_delay_alu instid0(VALU_DEP_4)
	v_add_nc_u32_e32 v24, s11, v20
	v_ashrrev_i32_e32 v21, 31, v20
	s_wait_alu 0xfffd
	v_add_co_ci_u32_e64 v15, null, s1, v15, vcc_lo
	v_add_co_u32 v16, vcc_lo, s0, v16
	s_wait_alu 0xfffd
	v_add_co_ci_u32_e64 v17, null, s1, v17, vcc_lo
	v_lshlrev_b64_e32 v[22:23], 3, v[18:19]
	v_add_co_u32 v18, vcc_lo, s0, v1
	v_add_nc_u32_e32 v26, s11, v24
	s_wait_alu 0xfffd
	v_add_co_ci_u32_e64 v19, null, s1, v2, vcc_lo
	v_lshlrev_b64_e32 v[1:2], 3, v[20:21]
	v_ashrrev_i32_e32 v25, 31, v24
	v_ashrrev_i32_e32 v27, 31, v26
	v_add_co_u32 v20, vcc_lo, s0, v22
	s_wait_alu 0xfffd
	v_add_co_ci_u32_e64 v21, null, s1, v23, vcc_lo
	v_lshlrev_b64_e32 v[24:25], 3, v[24:25]
	v_add_co_u32 v22, vcc_lo, s0, v1
	s_wait_alu 0xfffd
	v_add_co_ci_u32_e64 v23, null, s1, v2, vcc_lo
	v_lshlrev_b64_e32 v[1:2], 3, v[26:27]
	s_delay_alu instid0(VALU_DEP_4)
	v_add_co_u32 v24, vcc_lo, s0, v24
	s_wait_alu 0xfffd
	v_add_co_ci_u32_e64 v25, null, s1, v25, vcc_lo
	s_clause 0x3
	global_load_b64 v[30:31], v[6:7], off
	global_load_b64 v[32:33], v[8:9], off
	;; [unrolled: 1-line block ×4, first 2 shown]
	v_add_co_u32 v26, vcc_lo, s0, v1
	s_wait_alu 0xfffd
	v_add_co_ci_u32_e64 v27, null, s1, v2, vcc_lo
	s_clause 0x6
	global_load_b64 v[38:39], v[14:15], off
	global_load_b64 v[40:41], v[16:17], off
	;; [unrolled: 1-line block ×7, first 2 shown]
	s_mov_b32 s1, -1
	s_bitcmp0_b32 s4, 0
	s_wait_loadcnt 0xa
	scratch_store_b128 off, v[28:31], off
	s_wait_loadcnt 0x8
	scratch_store_b128 off, v[32:35], off offset:16
	s_wait_loadcnt 0x6
	scratch_store_b128 off, v[36:39], off offset:32
	;; [unrolled: 2-line block ×5, first 2 shown]
	s_cbranch_scc1 .LBB11_60
; %bb.4:
	v_cmp_eq_u32_e64 s0, 0, v0
	s_and_saveexec_b32 s1, s0
; %bb.5:
	v_mov_b32_e32 v1, 0
	ds_store_b32 v1, v1 offset:192
; %bb.6:
	s_wait_alu 0xfffe
	s_or_b32 exec_lo, exec_lo, s1
	s_wait_storecnt_dscnt 0x0
	s_barrier_signal -1
	s_barrier_wait -1
	global_inv scope:SCOPE_SE
	scratch_load_b64 v[1:2], v3, off
	s_wait_loadcnt 0x0
	v_cmp_eq_f32_e32 vcc_lo, 0, v1
	v_cmp_eq_f32_e64 s1, 0, v2
	s_and_b32 s1, vcc_lo, s1
	s_wait_alu 0xfffe
	s_and_saveexec_b32 s4, s1
	s_cbranch_execz .LBB11_10
; %bb.7:
	v_mov_b32_e32 v1, 0
	s_mov_b32 s5, 0
	ds_load_b32 v2, v1 offset:192
	s_wait_dscnt 0x0
	v_readfirstlane_b32 s1, v2
	v_add_nc_u32_e32 v2, 1, v0
	s_cmp_eq_u32 s1, 0
	s_delay_alu instid0(VALU_DEP_1)
	v_cmp_gt_i32_e32 vcc_lo, s1, v2
	s_cselect_b32 s8, -1, 0
	s_wait_alu 0xfffe
	s_or_b32 s8, s8, vcc_lo
	s_wait_alu 0xfffe
	s_and_b32 exec_lo, exec_lo, s8
	s_cbranch_execz .LBB11_10
; %bb.8:
	v_mov_b32_e32 v28, s1
.LBB11_9:                               ; =>This Inner Loop Header: Depth=1
	ds_cmpstore_rtn_b32 v28, v1, v2, v28 offset:192
	s_wait_dscnt 0x0
	v_cmp_ne_u32_e32 vcc_lo, 0, v28
	v_cmp_le_i32_e64 s1, v28, v2
	s_and_b32 s1, vcc_lo, s1
	s_wait_alu 0xfffe
	s_and_b32 s1, exec_lo, s1
	s_wait_alu 0xfffe
	s_or_b32 s5, s1, s5
	s_wait_alu 0xfffe
	s_and_not1_b32 exec_lo, exec_lo, s5
	s_cbranch_execnz .LBB11_9
.LBB11_10:
	s_wait_alu 0xfffe
	s_or_b32 exec_lo, exec_lo, s4
	v_mov_b32_e32 v1, 0
	s_barrier_signal -1
	s_barrier_wait -1
	global_inv scope:SCOPE_SE
	ds_load_b32 v2, v1 offset:192
	s_and_saveexec_b32 s1, s0
	s_cbranch_execz .LBB11_12
; %bb.11:
	s_lshl_b64 s[4:5], s[16:17], 2
	s_wait_alu 0xfffe
	s_add_nc_u64 s[4:5], s[6:7], s[4:5]
	s_wait_dscnt 0x0
	global_store_b32 v1, v2, s[4:5]
.LBB11_12:
	s_wait_alu 0xfffe
	s_or_b32 exec_lo, exec_lo, s1
	s_wait_dscnt 0x0
	v_cmp_ne_u32_e32 vcc_lo, 0, v2
	s_mov_b32 s1, 0
	s_cbranch_vccnz .LBB11_60
; %bb.13:
	v_mov_b32_e32 v32, v3
                                        ; implicit-def: $vgpr28
                                        ; implicit-def: $vgpr30
	scratch_load_b64 v[1:2], v32, off
	s_wait_loadcnt 0x0
	v_cmp_ngt_f32_e64 s1, |v1|, |v2|
	s_wait_alu 0xfffe
	s_and_saveexec_b32 s4, s1
	s_wait_alu 0xfffe
	s_xor_b32 s1, exec_lo, s4
	s_cbranch_execz .LBB11_15
; %bb.14:
	v_div_scale_f32 v28, null, v2, v2, v1
	v_div_scale_f32 v31, vcc_lo, v1, v2, v1
	s_delay_alu instid0(VALU_DEP_2) | instskip(NEXT) | instid1(TRANS32_DEP_1)
	v_rcp_f32_e32 v29, v28
	v_fma_f32 v30, -v28, v29, 1.0
	s_delay_alu instid0(VALU_DEP_1) | instskip(NEXT) | instid1(VALU_DEP_1)
	v_fmac_f32_e32 v29, v30, v29
	v_mul_f32_e32 v30, v31, v29
	s_delay_alu instid0(VALU_DEP_1) | instskip(NEXT) | instid1(VALU_DEP_1)
	v_fma_f32 v33, -v28, v30, v31
	v_fmac_f32_e32 v30, v33, v29
	s_delay_alu instid0(VALU_DEP_1) | instskip(SKIP_1) | instid1(VALU_DEP_1)
	v_fma_f32 v28, -v28, v30, v31
	s_wait_alu 0xfffd
	v_div_fmas_f32 v28, v28, v29, v30
	s_delay_alu instid0(VALU_DEP_1) | instskip(NEXT) | instid1(VALU_DEP_1)
	v_div_fixup_f32 v28, v28, v2, v1
	v_fmac_f32_e32 v2, v1, v28
	s_delay_alu instid0(VALU_DEP_1) | instskip(NEXT) | instid1(VALU_DEP_1)
	v_div_scale_f32 v1, null, v2, v2, 1.0
	v_rcp_f32_e32 v29, v1
	s_delay_alu instid0(TRANS32_DEP_1) | instskip(NEXT) | instid1(VALU_DEP_1)
	v_fma_f32 v30, -v1, v29, 1.0
	v_fmac_f32_e32 v29, v30, v29
	v_div_scale_f32 v30, vcc_lo, 1.0, v2, 1.0
	s_delay_alu instid0(VALU_DEP_1) | instskip(NEXT) | instid1(VALU_DEP_1)
	v_mul_f32_e32 v31, v30, v29
	v_fma_f32 v33, -v1, v31, v30
	s_delay_alu instid0(VALU_DEP_1) | instskip(NEXT) | instid1(VALU_DEP_1)
	v_fmac_f32_e32 v31, v33, v29
	v_fma_f32 v1, -v1, v31, v30
	s_wait_alu 0xfffd
	s_delay_alu instid0(VALU_DEP_1) | instskip(NEXT) | instid1(VALU_DEP_1)
	v_div_fmas_f32 v1, v1, v29, v31
	v_div_fixup_f32 v1, v1, v2, 1.0
	s_delay_alu instid0(VALU_DEP_1) | instskip(SKIP_1) | instid1(VALU_DEP_2)
	v_mul_f32_e32 v28, v28, v1
	v_xor_b32_e32 v29, 0x80000000, v1
                                        ; implicit-def: $vgpr1_vgpr2
	v_xor_b32_e32 v30, 0x80000000, v28
.LBB11_15:
	s_wait_alu 0xfffe
	s_and_not1_saveexec_b32 s1, s1
	s_cbranch_execz .LBB11_17
; %bb.16:
	v_div_scale_f32 v28, null, v1, v1, v2
	v_div_scale_f32 v31, vcc_lo, v2, v1, v2
	s_delay_alu instid0(VALU_DEP_2) | instskip(NEXT) | instid1(TRANS32_DEP_1)
	v_rcp_f32_e32 v29, v28
	v_fma_f32 v30, -v28, v29, 1.0
	s_delay_alu instid0(VALU_DEP_1) | instskip(NEXT) | instid1(VALU_DEP_1)
	v_fmac_f32_e32 v29, v30, v29
	v_mul_f32_e32 v30, v31, v29
	s_delay_alu instid0(VALU_DEP_1) | instskip(NEXT) | instid1(VALU_DEP_1)
	v_fma_f32 v33, -v28, v30, v31
	v_fmac_f32_e32 v30, v33, v29
	s_delay_alu instid0(VALU_DEP_1) | instskip(SKIP_1) | instid1(VALU_DEP_1)
	v_fma_f32 v28, -v28, v30, v31
	s_wait_alu 0xfffd
	v_div_fmas_f32 v28, v28, v29, v30
	s_delay_alu instid0(VALU_DEP_1) | instskip(NEXT) | instid1(VALU_DEP_1)
	v_div_fixup_f32 v29, v28, v1, v2
	v_fmac_f32_e32 v1, v2, v29
	s_delay_alu instid0(VALU_DEP_1) | instskip(SKIP_1) | instid1(VALU_DEP_2)
	v_div_scale_f32 v2, null, v1, v1, 1.0
	v_div_scale_f32 v31, vcc_lo, 1.0, v1, 1.0
	v_rcp_f32_e32 v28, v2
	s_delay_alu instid0(TRANS32_DEP_1) | instskip(NEXT) | instid1(VALU_DEP_1)
	v_fma_f32 v30, -v2, v28, 1.0
	v_fmac_f32_e32 v28, v30, v28
	s_delay_alu instid0(VALU_DEP_1) | instskip(NEXT) | instid1(VALU_DEP_1)
	v_mul_f32_e32 v30, v31, v28
	v_fma_f32 v33, -v2, v30, v31
	s_delay_alu instid0(VALU_DEP_1) | instskip(NEXT) | instid1(VALU_DEP_1)
	v_fmac_f32_e32 v30, v33, v28
	v_fma_f32 v2, -v2, v30, v31
	s_wait_alu 0xfffd
	s_delay_alu instid0(VALU_DEP_1) | instskip(NEXT) | instid1(VALU_DEP_1)
	v_div_fmas_f32 v2, v2, v28, v30
	v_div_fixup_f32 v28, v2, v1, 1.0
	s_delay_alu instid0(VALU_DEP_1)
	v_xor_b32_e32 v30, 0x80000000, v28
	v_mul_f32_e64 v29, v29, -v28
.LBB11_17:
	s_wait_alu 0xfffe
	s_or_b32 exec_lo, exec_lo, s1
	scratch_store_b64 v32, v[28:29], off
	scratch_load_b64 v[33:34], off, off offset:8
	v_xor_b32_e32 v31, 0x80000000, v29
	v_add_nc_u32_e32 v1, 0x60, v3
	s_wait_loadcnt 0x0
	ds_store_2addr_b64 v3, v[30:31], v[33:34] offset1:12
	s_wait_storecnt_dscnt 0x0
	s_barrier_signal -1
	s_barrier_wait -1
	global_inv scope:SCOPE_SE
	s_and_saveexec_b32 s1, s0
	s_cbranch_execz .LBB11_19
; %bb.18:
	scratch_load_b64 v[28:29], v32, off
	ds_load_b64 v[30:31], v1
	v_mov_b32_e32 v2, 0
	ds_load_b64 v[33:34], v2 offset:8
	s_wait_loadcnt_dscnt 0x1
	v_mul_f32_e32 v2, v30, v29
	v_mul_f32_e32 v29, v31, v29
	s_delay_alu instid0(VALU_DEP_2) | instskip(NEXT) | instid1(VALU_DEP_2)
	v_fmac_f32_e32 v2, v31, v28
	v_fma_f32 v28, v30, v28, -v29
	s_delay_alu instid0(VALU_DEP_2) | instskip(NEXT) | instid1(VALU_DEP_2)
	v_add_f32_e32 v2, 0, v2
	v_add_f32_e32 v28, 0, v28
	s_wait_dscnt 0x0
	s_delay_alu instid0(VALU_DEP_2) | instskip(NEXT) | instid1(VALU_DEP_2)
	v_mul_f32_e32 v30, v2, v34
	v_mul_f32_e32 v29, v28, v34
	s_delay_alu instid0(VALU_DEP_1) | instskip(NEXT) | instid1(VALU_DEP_3)
	v_fmac_f32_e32 v29, v2, v33
	v_fma_f32 v28, v28, v33, -v30
	scratch_store_b64 off, v[28:29], off offset:8
.LBB11_19:
	s_wait_alu 0xfffe
	s_or_b32 exec_lo, exec_lo, s1
	s_wait_loadcnt 0x0
	s_wait_storecnt 0x0
	s_barrier_signal -1
	s_barrier_wait -1
	global_inv scope:SCOPE_SE
	scratch_load_b64 v[28:29], off, off offset:16
	s_mov_b32 s1, exec_lo
	s_wait_loadcnt 0x0
	ds_store_b64 v1, v[28:29]
	s_wait_dscnt 0x0
	s_barrier_signal -1
	s_barrier_wait -1
	global_inv scope:SCOPE_SE
	v_cmpx_gt_u32_e32 2, v0
	s_cbranch_execz .LBB11_23
; %bb.20:
	scratch_load_b64 v[28:29], v32, off
	ds_load_b64 v[30:31], v1
	s_wait_loadcnt_dscnt 0x0
	v_mul_f32_e32 v2, v31, v29
	s_delay_alu instid0(VALU_DEP_1) | instskip(SKIP_1) | instid1(VALU_DEP_1)
	v_fma_f32 v2, v30, v28, -v2
	v_mul_f32_e32 v29, v30, v29
	v_dual_fmac_f32 v29, v31, v28 :: v_dual_add_f32 v28, 0, v2
	s_delay_alu instid0(VALU_DEP_1)
	v_add_f32_e32 v2, 0, v29
	s_and_saveexec_b32 s4, s0
	s_cbranch_execz .LBB11_22
; %bb.21:
	scratch_load_b64 v[29:30], off, off offset:8
	v_mov_b32_e32 v31, 0
	ds_load_b64 v[33:34], v31 offset:104
	s_wait_loadcnt_dscnt 0x0
	v_mul_f32_e32 v31, v33, v30
	v_mul_f32_e32 v30, v34, v30
	s_delay_alu instid0(VALU_DEP_2) | instskip(NEXT) | instid1(VALU_DEP_2)
	v_fmac_f32_e32 v31, v34, v29
	v_fma_f32 v29, v33, v29, -v30
	s_delay_alu instid0(VALU_DEP_2) | instskip(NEXT) | instid1(VALU_DEP_2)
	v_add_f32_e32 v2, v2, v31
	v_add_f32_e32 v28, v28, v29
.LBB11_22:
	s_wait_alu 0xfffe
	s_or_b32 exec_lo, exec_lo, s4
	v_mov_b32_e32 v29, 0
	ds_load_b64 v[29:30], v29 offset:16
	s_wait_dscnt 0x0
	v_mul_f32_e32 v33, v2, v30
	v_mul_f32_e32 v31, v28, v30
	s_delay_alu instid0(VALU_DEP_2) | instskip(NEXT) | instid1(VALU_DEP_2)
	v_fma_f32 v30, v28, v29, -v33
	v_fmac_f32_e32 v31, v2, v29
	scratch_store_b64 off, v[30:31], off offset:16
.LBB11_23:
	s_wait_alu 0xfffe
	s_or_b32 exec_lo, exec_lo, s1
	s_wait_loadcnt 0x0
	s_wait_storecnt 0x0
	s_barrier_signal -1
	s_barrier_wait -1
	global_inv scope:SCOPE_SE
	scratch_load_b64 v[28:29], off, off offset:24
	v_add_nc_u32_e32 v2, -1, v0
	s_mov_b32 s0, exec_lo
	s_wait_loadcnt 0x0
	ds_store_b64 v1, v[28:29]
	s_wait_dscnt 0x0
	s_barrier_signal -1
	s_barrier_wait -1
	global_inv scope:SCOPE_SE
	v_cmpx_gt_u32_e32 3, v0
	s_cbranch_execz .LBB11_27
; %bb.24:
	v_dual_mov_b32 v28, 0 :: v_dual_add_nc_u32 v29, -1, v0
	v_dual_mov_b32 v31, v3 :: v_dual_add_nc_u32 v30, 0x60, v3
	v_mov_b32_e32 v33, 0
	s_mov_b32 s1, 0
.LBB11_25:                              ; =>This Inner Loop Header: Depth=1
	scratch_load_b64 v[34:35], v31, off
	ds_load_b64 v[36:37], v30
	v_add_nc_u32_e32 v31, 8, v31
	v_add_nc_u32_e32 v29, 1, v29
	v_add_nc_u32_e32 v30, 8, v30
	s_delay_alu instid0(VALU_DEP_2)
	v_cmp_lt_u32_e32 vcc_lo, 1, v29
	s_wait_alu 0xfffe
	s_or_b32 s1, vcc_lo, s1
	s_wait_loadcnt_dscnt 0x0
	v_mul_f32_e32 v38, v37, v35
	v_mul_f32_e32 v35, v36, v35
	s_delay_alu instid0(VALU_DEP_2) | instskip(NEXT) | instid1(VALU_DEP_2)
	v_fma_f32 v36, v36, v34, -v38
	v_fmac_f32_e32 v35, v37, v34
	s_delay_alu instid0(VALU_DEP_1)
	v_dual_add_f32 v33, v33, v36 :: v_dual_add_f32 v28, v28, v35
	s_wait_alu 0xfffe
	s_and_not1_b32 exec_lo, exec_lo, s1
	s_cbranch_execnz .LBB11_25
; %bb.26:
	s_or_b32 exec_lo, exec_lo, s1
	v_mov_b32_e32 v29, 0
	ds_load_b64 v[29:30], v29 offset:24
	s_wait_dscnt 0x0
	v_mul_f32_e32 v34, v28, v30
	v_mul_f32_e32 v31, v33, v30
	s_delay_alu instid0(VALU_DEP_2) | instskip(NEXT) | instid1(VALU_DEP_2)
	v_fma_f32 v30, v33, v29, -v34
	v_fmac_f32_e32 v31, v28, v29
	scratch_store_b64 off, v[30:31], off offset:24
.LBB11_27:
	s_wait_alu 0xfffe
	s_or_b32 exec_lo, exec_lo, s0
	s_wait_loadcnt 0x0
	s_wait_storecnt 0x0
	s_barrier_signal -1
	s_barrier_wait -1
	global_inv scope:SCOPE_SE
	scratch_load_b64 v[28:29], off, off offset:32
	s_mov_b32 s0, exec_lo
	s_wait_loadcnt 0x0
	ds_store_b64 v1, v[28:29]
	s_wait_dscnt 0x0
	s_barrier_signal -1
	s_barrier_wait -1
	global_inv scope:SCOPE_SE
	v_cmpx_gt_u32_e32 4, v0
	s_cbranch_execz .LBB11_31
; %bb.28:
	v_dual_mov_b32 v28, 0 :: v_dual_add_nc_u32 v29, -1, v0
	v_dual_mov_b32 v31, v3 :: v_dual_add_nc_u32 v30, 0x60, v3
	v_mov_b32_e32 v33, 0
	s_mov_b32 s1, 0
.LBB11_29:                              ; =>This Inner Loop Header: Depth=1
	scratch_load_b64 v[34:35], v31, off
	ds_load_b64 v[36:37], v30
	v_add_nc_u32_e32 v31, 8, v31
	v_add_nc_u32_e32 v29, 1, v29
	v_add_nc_u32_e32 v30, 8, v30
	s_delay_alu instid0(VALU_DEP_2)
	v_cmp_lt_u32_e32 vcc_lo, 2, v29
	s_wait_alu 0xfffe
	s_or_b32 s1, vcc_lo, s1
	s_wait_loadcnt_dscnt 0x0
	v_mul_f32_e32 v38, v37, v35
	v_mul_f32_e32 v35, v36, v35
	s_delay_alu instid0(VALU_DEP_2) | instskip(NEXT) | instid1(VALU_DEP_2)
	v_fma_f32 v36, v36, v34, -v38
	v_fmac_f32_e32 v35, v37, v34
	s_delay_alu instid0(VALU_DEP_1)
	v_dual_add_f32 v33, v33, v36 :: v_dual_add_f32 v28, v28, v35
	s_wait_alu 0xfffe
	s_and_not1_b32 exec_lo, exec_lo, s1
	s_cbranch_execnz .LBB11_29
; %bb.30:
	s_or_b32 exec_lo, exec_lo, s1
	v_mov_b32_e32 v29, 0
	ds_load_b64 v[29:30], v29 offset:32
	s_wait_dscnt 0x0
	v_mul_f32_e32 v34, v28, v30
	v_mul_f32_e32 v31, v33, v30
	s_delay_alu instid0(VALU_DEP_2) | instskip(NEXT) | instid1(VALU_DEP_2)
	v_fma_f32 v30, v33, v29, -v34
	v_fmac_f32_e32 v31, v28, v29
	scratch_store_b64 off, v[30:31], off offset:32
.LBB11_31:
	s_wait_alu 0xfffe
	s_or_b32 exec_lo, exec_lo, s0
	s_wait_loadcnt 0x0
	s_wait_storecnt 0x0
	s_barrier_signal -1
	s_barrier_wait -1
	global_inv scope:SCOPE_SE
	scratch_load_b64 v[28:29], off, off offset:40
	;; [unrolled: 55-line block ×7, first 2 shown]
	s_mov_b32 s0, exec_lo
	s_wait_loadcnt 0x0
	ds_store_b64 v1, v[28:29]
	s_wait_dscnt 0x0
	s_barrier_signal -1
	s_barrier_wait -1
	global_inv scope:SCOPE_SE
	v_cmpx_gt_u32_e32 10, v0
	s_cbranch_execz .LBB11_55
; %bb.52:
	v_add_nc_u32_e32 v28, -1, v0
	v_dual_mov_b32 v30, v3 :: v_dual_add_nc_u32 v29, 0x60, v3
	v_mov_b32_e32 v3, 0
	v_mov_b32_e32 v31, 0
	s_mov_b32 s1, 0
.LBB11_53:                              ; =>This Inner Loop Header: Depth=1
	scratch_load_b64 v[33:34], v30, off
	ds_load_b64 v[35:36], v29
	v_add_nc_u32_e32 v30, 8, v30
	v_add_nc_u32_e32 v28, 1, v28
	;; [unrolled: 1-line block ×3, first 2 shown]
	s_delay_alu instid0(VALU_DEP_2)
	v_cmp_lt_u32_e32 vcc_lo, 8, v28
	s_wait_alu 0xfffe
	s_or_b32 s1, vcc_lo, s1
	s_wait_loadcnt_dscnt 0x0
	v_mul_f32_e32 v37, v36, v34
	v_mul_f32_e32 v34, v35, v34
	s_delay_alu instid0(VALU_DEP_2) | instskip(NEXT) | instid1(VALU_DEP_1)
	v_fma_f32 v35, v35, v33, -v37
	v_dual_fmac_f32 v34, v36, v33 :: v_dual_add_f32 v31, v31, v35
	s_delay_alu instid0(VALU_DEP_1)
	v_add_f32_e32 v3, v3, v34
	s_wait_alu 0xfffe
	s_and_not1_b32 exec_lo, exec_lo, s1
	s_cbranch_execnz .LBB11_53
; %bb.54:
	s_or_b32 exec_lo, exec_lo, s1
	v_mov_b32_e32 v28, 0
	ds_load_b64 v[28:29], v28 offset:80
	s_wait_dscnt 0x0
	v_mul_f32_e32 v33, v3, v29
	v_mul_f32_e32 v30, v31, v29
	s_delay_alu instid0(VALU_DEP_2) | instskip(NEXT) | instid1(VALU_DEP_2)
	v_fma_f32 v29, v31, v28, -v33
	v_fmac_f32_e32 v30, v3, v28
	scratch_store_b64 off, v[29:30], off offset:80
.LBB11_55:
	s_wait_alu 0xfffe
	s_or_b32 exec_lo, exec_lo, s0
	s_wait_loadcnt 0x0
	s_wait_storecnt 0x0
	s_barrier_signal -1
	s_barrier_wait -1
	global_inv scope:SCOPE_SE
	scratch_load_b64 v[28:29], off, off offset:88
	s_mov_b32 s0, exec_lo
	s_wait_loadcnt 0x0
	ds_store_b64 v1, v[28:29]
	s_wait_dscnt 0x0
	s_barrier_signal -1
	s_barrier_wait -1
	global_inv scope:SCOPE_SE
	v_cmpx_ne_u32_e32 11, v0
	s_cbranch_execz .LBB11_59
; %bb.56:
	v_dual_mov_b32 v3, 0 :: v_dual_mov_b32 v28, 0
	s_mov_b32 s1, 0
.LBB11_57:                              ; =>This Inner Loop Header: Depth=1
	scratch_load_b64 v[29:30], v32, off
	ds_load_b64 v[33:34], v1
	v_add_nc_u32_e32 v2, 1, v2
	v_add_nc_u32_e32 v1, 8, v1
	;; [unrolled: 1-line block ×3, first 2 shown]
	s_delay_alu instid0(VALU_DEP_3)
	v_cmp_lt_u32_e32 vcc_lo, 9, v2
	s_wait_alu 0xfffe
	s_or_b32 s1, vcc_lo, s1
	s_wait_loadcnt_dscnt 0x0
	v_mul_f32_e32 v31, v34, v30
	v_mul_f32_e32 v30, v33, v30
	s_delay_alu instid0(VALU_DEP_2) | instskip(NEXT) | instid1(VALU_DEP_2)
	v_fma_f32 v31, v33, v29, -v31
	v_fmac_f32_e32 v30, v34, v29
	s_delay_alu instid0(VALU_DEP_1)
	v_dual_add_f32 v28, v28, v31 :: v_dual_add_f32 v3, v3, v30
	s_wait_alu 0xfffe
	s_and_not1_b32 exec_lo, exec_lo, s1
	s_cbranch_execnz .LBB11_57
; %bb.58:
	s_or_b32 exec_lo, exec_lo, s1
	v_mov_b32_e32 v1, 0
	ds_load_b64 v[1:2], v1 offset:88
	s_wait_dscnt 0x0
	v_mul_f32_e32 v30, v3, v2
	v_mul_f32_e32 v29, v28, v2
	s_delay_alu instid0(VALU_DEP_2) | instskip(NEXT) | instid1(VALU_DEP_2)
	v_fma_f32 v28, v28, v1, -v30
	v_fmac_f32_e32 v29, v3, v1
	scratch_store_b64 off, v[28:29], off offset:88
.LBB11_59:
	s_wait_alu 0xfffe
	s_or_b32 exec_lo, exec_lo, s0
	s_mov_b32 s1, -1
	s_wait_loadcnt 0x0
	s_wait_storecnt 0x0
	s_barrier_signal -1
	s_barrier_wait -1
	global_inv scope:SCOPE_SE
.LBB11_60:
	s_wait_alu 0xfffe
	s_and_b32 vcc_lo, exec_lo, s1
	s_wait_alu 0xfffe
	s_cbranch_vccz .LBB11_62
; %bb.61:
	v_mov_b32_e32 v1, 0
	s_lshl_b64 s[0:1], s[16:17], 2
	s_wait_alu 0xfffe
	s_add_nc_u64 s[0:1], s[6:7], s[0:1]
	global_load_b32 v1, v1, s[0:1]
	s_wait_loadcnt 0x0
	v_cmp_ne_u32_e32 vcc_lo, 0, v1
	s_cbranch_vccz .LBB11_63
.LBB11_62:
	s_endpgm
.LBB11_63:
	v_lshl_add_u32 v3, v0, 3, 0x60
	s_mov_b32 s0, exec_lo
	v_cmpx_eq_u32_e32 11, v0
	s_cbranch_execz .LBB11_65
; %bb.64:
	scratch_load_b64 v[1:2], off, off offset:80
	v_mov_b32_e32 v28, 0
	s_delay_alu instid0(VALU_DEP_1)
	v_mov_b32_e32 v29, v28
	scratch_store_b64 off, v[28:29], off offset:80
	s_wait_loadcnt 0x0
	ds_store_b64 v3, v[1:2]
.LBB11_65:
	s_wait_alu 0xfffe
	s_or_b32 exec_lo, exec_lo, s0
	s_wait_storecnt_dscnt 0x0
	s_barrier_signal -1
	s_barrier_wait -1
	global_inv scope:SCOPE_SE
	s_clause 0x1
	scratch_load_b64 v[28:29], off, off offset:88
	scratch_load_b64 v[30:31], off, off offset:80
	v_mov_b32_e32 v1, 0
	s_mov_b32 s0, exec_lo
	ds_load_b64 v[32:33], v1 offset:184
	s_wait_loadcnt_dscnt 0x100
	v_mul_f32_e32 v2, v33, v29
	s_delay_alu instid0(VALU_DEP_1) | instskip(NEXT) | instid1(VALU_DEP_1)
	v_fma_f32 v2, v32, v28, -v2
	v_dual_mul_f32 v29, v32, v29 :: v_dual_add_f32 v2, 0, v2
	s_wait_loadcnt 0x0
	s_delay_alu instid0(VALU_DEP_1) | instskip(NEXT) | instid1(VALU_DEP_1)
	v_dual_fmac_f32 v29, v33, v28 :: v_dual_sub_f32 v28, v30, v2
	v_add_f32_e32 v29, 0, v29
	s_delay_alu instid0(VALU_DEP_1)
	v_sub_f32_e32 v29, v31, v29
	scratch_store_b64 off, v[28:29], off offset:80
	v_cmpx_lt_u32_e32 9, v0
	s_cbranch_execz .LBB11_67
; %bb.66:
	scratch_load_b64 v[28:29], off, off offset:72
	v_mov_b32_e32 v2, v1
	scratch_store_b64 off, v[1:2], off offset:72
	s_wait_loadcnt 0x0
	ds_store_b64 v3, v[28:29]
.LBB11_67:
	s_wait_alu 0xfffe
	s_or_b32 exec_lo, exec_lo, s0
	s_wait_storecnt_dscnt 0x0
	s_barrier_signal -1
	s_barrier_wait -1
	global_inv scope:SCOPE_SE
	s_clause 0x1
	scratch_load_b128 v[28:31], off, off offset:80
	scratch_load_b64 v[36:37], off, off offset:72
	ds_load_b128 v[32:35], v1 offset:176
	s_mov_b32 s0, exec_lo
	s_wait_loadcnt_dscnt 0x100
	v_mul_f32_e32 v2, v32, v29
	s_delay_alu instid0(VALU_DEP_1) | instskip(SKIP_2) | instid1(VALU_DEP_1)
	v_fmac_f32_e32 v2, v33, v28
	v_mul_f32_e32 v1, v33, v29
	v_mul_f32_e32 v29, v34, v31
	v_fmac_f32_e32 v29, v35, v30
	s_delay_alu instid0(VALU_DEP_4) | instskip(NEXT) | instid1(VALU_DEP_4)
	v_dual_add_f32 v2, 0, v2 :: v_dual_mul_f32 v31, v35, v31
	v_fma_f32 v1, v32, v28, -v1
	s_delay_alu instid0(VALU_DEP_2) | instskip(NEXT) | instid1(VALU_DEP_3)
	v_add_f32_e32 v2, v2, v29
	v_fma_f32 v28, v34, v30, -v31
	s_wait_loadcnt 0x0
	s_delay_alu instid0(VALU_DEP_2) | instskip(NEXT) | instid1(VALU_DEP_1)
	v_dual_add_f32 v1, 0, v1 :: v_dual_sub_f32 v2, v37, v2
	v_add_f32_e32 v1, v1, v28
	s_delay_alu instid0(VALU_DEP_1)
	v_sub_f32_e32 v1, v36, v1
	scratch_store_b64 off, v[1:2], off offset:72
	v_cmpx_lt_u32_e32 8, v0
	s_cbranch_execz .LBB11_69
; %bb.68:
	scratch_load_b64 v[1:2], off, off offset:64
	v_mov_b32_e32 v28, 0
	s_delay_alu instid0(VALU_DEP_1)
	v_mov_b32_e32 v29, v28
	scratch_store_b64 off, v[28:29], off offset:64
	s_wait_loadcnt 0x0
	ds_store_b64 v3, v[1:2]
.LBB11_69:
	s_wait_alu 0xfffe
	s_or_b32 exec_lo, exec_lo, s0
	s_wait_storecnt_dscnt 0x0
	s_barrier_signal -1
	s_barrier_wait -1
	global_inv scope:SCOPE_SE
	s_clause 0x2
	scratch_load_b128 v[28:31], off, off offset:72
	scratch_load_b64 v[36:37], off, off offset:88
	scratch_load_b64 v[38:39], off, off offset:64
	v_mov_b32_e32 v1, 0
	ds_load_2addr_b64 v[32:35], v1 offset0:21 offset1:22
	ds_load_b64 v[40:41], v1 offset:184
	s_mov_b32 s0, exec_lo
	s_wait_loadcnt_dscnt 0x201
	v_mul_f32_e32 v2, v33, v29
	v_dual_mul_f32 v29, v32, v29 :: v_dual_mul_f32 v42, v34, v31
	v_mul_f32_e32 v31, v35, v31
	s_wait_loadcnt_dscnt 0x100
	v_mul_f32_e32 v43, v40, v37
	v_fma_f32 v2, v32, v28, -v2
	v_fmac_f32_e32 v29, v33, v28
	v_mul_f32_e32 v28, v41, v37
	v_fmac_f32_e32 v42, v35, v30
	v_fma_f32 v30, v34, v30, -v31
	s_delay_alu instid0(VALU_DEP_4) | instskip(NEXT) | instid1(VALU_DEP_4)
	v_dual_add_f32 v2, 0, v2 :: v_dual_add_f32 v29, 0, v29
	v_fma_f32 v28, v40, v36, -v28
	s_delay_alu instid0(VALU_DEP_2) | instskip(NEXT) | instid1(VALU_DEP_1)
	v_add_f32_e32 v2, v2, v30
	v_dual_add_f32 v29, v29, v42 :: v_dual_add_f32 v2, v2, v28
	s_wait_loadcnt 0x0
	s_delay_alu instid0(VALU_DEP_1) | instskip(NEXT) | instid1(VALU_DEP_1)
	v_dual_fmac_f32 v43, v41, v36 :: v_dual_sub_f32 v28, v38, v2
	v_add_f32_e32 v29, v29, v43
	s_delay_alu instid0(VALU_DEP_1)
	v_sub_f32_e32 v29, v39, v29
	scratch_store_b64 off, v[28:29], off offset:64
	v_cmpx_lt_u32_e32 7, v0
	s_cbranch_execz .LBB11_71
; %bb.70:
	scratch_load_b64 v[28:29], off, off offset:56
	v_mov_b32_e32 v2, v1
	scratch_store_b64 off, v[1:2], off offset:56
	s_wait_loadcnt 0x0
	ds_store_b64 v3, v[28:29]
.LBB11_71:
	s_wait_alu 0xfffe
	s_or_b32 exec_lo, exec_lo, s0
	s_wait_storecnt_dscnt 0x0
	s_barrier_signal -1
	s_barrier_wait -1
	global_inv scope:SCOPE_SE
	s_clause 0x2
	scratch_load_b128 v[28:31], off, off offset:64
	scratch_load_b128 v[32:35], off, off offset:80
	scratch_load_b64 v[44:45], off, off offset:56
	ds_load_b128 v[36:39], v1 offset:160
	ds_load_b128 v[40:43], v1 offset:176
	s_mov_b32 s0, exec_lo
	s_wait_loadcnt_dscnt 0x201
	v_mul_f32_e32 v2, v37, v29
	s_wait_loadcnt_dscnt 0x100
	v_dual_mul_f32 v46, v40, v33 :: v_dual_mul_f32 v47, v42, v35
	s_delay_alu instid0(VALU_DEP_2) | instskip(SKIP_2) | instid1(VALU_DEP_4)
	v_fma_f32 v2, v36, v28, -v2
	v_mul_f32_e32 v1, v36, v29
	v_mul_f32_e32 v29, v38, v31
	v_dual_mul_f32 v31, v39, v31 :: v_dual_fmac_f32 v46, v41, v32
	s_delay_alu instid0(VALU_DEP_3) | instskip(NEXT) | instid1(VALU_DEP_3)
	v_dual_add_f32 v2, 0, v2 :: v_dual_fmac_f32 v1, v37, v28
	v_dual_mul_f32 v28, v41, v33 :: v_dual_fmac_f32 v29, v39, v30
	s_delay_alu instid0(VALU_DEP_3) | instskip(SKIP_1) | instid1(VALU_DEP_3)
	v_fma_f32 v30, v38, v30, -v31
	v_fmac_f32_e32 v47, v43, v34
	v_fma_f32 v28, v40, v32, -v28
	s_delay_alu instid0(VALU_DEP_3) | instskip(NEXT) | instid1(VALU_DEP_1)
	v_dual_add_f32 v2, v2, v30 :: v_dual_add_f32 v1, 0, v1
	v_dual_add_f32 v2, v2, v28 :: v_dual_mul_f32 v31, v43, v35
	s_delay_alu instid0(VALU_DEP_2) | instskip(NEXT) | instid1(VALU_DEP_2)
	v_add_f32_e32 v1, v1, v29
	v_fma_f32 v29, v42, v34, -v31
	s_delay_alu instid0(VALU_DEP_1) | instskip(SKIP_1) | instid1(VALU_DEP_1)
	v_dual_add_f32 v1, v1, v46 :: v_dual_add_f32 v2, v2, v29
	s_wait_loadcnt 0x0
	v_dual_add_f32 v28, v1, v47 :: v_dual_sub_f32 v1, v44, v2
	s_delay_alu instid0(VALU_DEP_1)
	v_sub_f32_e32 v2, v45, v28
	scratch_store_b64 off, v[1:2], off offset:56
	v_cmpx_lt_u32_e32 6, v0
	s_cbranch_execz .LBB11_73
; %bb.72:
	scratch_load_b64 v[1:2], off, off offset:48
	v_mov_b32_e32 v28, 0
	s_delay_alu instid0(VALU_DEP_1)
	v_mov_b32_e32 v29, v28
	scratch_store_b64 off, v[28:29], off offset:48
	s_wait_loadcnt 0x0
	ds_store_b64 v3, v[1:2]
.LBB11_73:
	s_wait_alu 0xfffe
	s_or_b32 exec_lo, exec_lo, s0
	s_wait_storecnt_dscnt 0x0
	s_barrier_signal -1
	s_barrier_wait -1
	global_inv scope:SCOPE_SE
	s_clause 0x3
	scratch_load_b128 v[28:31], off, off offset:56
	scratch_load_b128 v[32:35], off, off offset:72
	scratch_load_b64 v[44:45], off, off offset:88
	scratch_load_b64 v[46:47], off, off offset:48
	v_mov_b32_e32 v1, 0
	ds_load_2addr_b64 v[36:39], v1 offset0:19 offset1:20
	ds_load_2addr_b64 v[40:43], v1 offset0:21 offset1:22
	ds_load_b64 v[48:49], v1 offset:184
	s_mov_b32 s0, exec_lo
	s_wait_loadcnt_dscnt 0x302
	v_mul_f32_e32 v2, v36, v29
	v_dual_mul_f32 v50, v38, v31 :: v_dual_mul_f32 v29, v37, v29
	s_wait_loadcnt_dscnt 0x100
	v_mul_f32_e32 v53, v48, v45
	v_dual_mul_f32 v51, v40, v33 :: v_dual_mul_f32 v52, v42, v35
	v_dual_fmac_f32 v2, v37, v28 :: v_dual_mul_f32 v31, v39, v31
	v_fma_f32 v29, v36, v28, -v29
	v_fmac_f32_e32 v50, v39, v30
	v_mul_f32_e32 v28, v41, v33
	s_delay_alu instid0(VALU_DEP_4) | instskip(SKIP_3) | instid1(VALU_DEP_4)
	v_add_f32_e32 v2, 0, v2
	v_fma_f32 v30, v38, v30, -v31
	v_add_f32_e32 v29, 0, v29
	v_mul_f32_e32 v31, v43, v35
	v_dual_fmac_f32 v51, v41, v32 :: v_dual_add_f32 v2, v2, v50
	v_dual_fmac_f32 v52, v43, v34 :: v_dual_fmac_f32 v53, v49, v44
	s_delay_alu instid0(VALU_DEP_4) | instskip(SKIP_1) | instid1(VALU_DEP_4)
	v_add_f32_e32 v29, v29, v30
	v_fma_f32 v28, v40, v32, -v28
	v_add_f32_e32 v2, v2, v51
	v_fma_f32 v31, v42, v34, -v31
	s_delay_alu instid0(VALU_DEP_3) | instskip(NEXT) | instid1(VALU_DEP_3)
	v_add_f32_e32 v28, v29, v28
	v_add_f32_e32 v2, v2, v52
	s_delay_alu instid0(VALU_DEP_2) | instskip(NEXT) | instid1(VALU_DEP_2)
	v_add_f32_e32 v28, v28, v31
	v_add_f32_e32 v2, v2, v53
	v_mul_f32_e32 v30, v49, v45
	s_delay_alu instid0(VALU_DEP_1) | instskip(SKIP_1) | instid1(VALU_DEP_1)
	v_fma_f32 v29, v48, v44, -v30
	s_wait_loadcnt 0x0
	v_dual_add_f32 v28, v28, v29 :: v_dual_sub_f32 v29, v47, v2
	s_delay_alu instid0(VALU_DEP_1)
	v_sub_f32_e32 v28, v46, v28
	scratch_store_b64 off, v[28:29], off offset:48
	v_cmpx_lt_u32_e32 5, v0
	s_cbranch_execz .LBB11_75
; %bb.74:
	scratch_load_b64 v[28:29], off, off offset:40
	v_mov_b32_e32 v2, v1
	scratch_store_b64 off, v[1:2], off offset:40
	s_wait_loadcnt 0x0
	ds_store_b64 v3, v[28:29]
.LBB11_75:
	s_wait_alu 0xfffe
	s_or_b32 exec_lo, exec_lo, s0
	s_wait_storecnt_dscnt 0x0
	s_barrier_signal -1
	s_barrier_wait -1
	global_inv scope:SCOPE_SE
	s_clause 0x3
	scratch_load_b128 v[28:31], off, off offset:48
	scratch_load_b128 v[32:35], off, off offset:64
	;; [unrolled: 1-line block ×3, first 2 shown]
	scratch_load_b64 v[52:53], off, off offset:40
	ds_load_b128 v[40:43], v1 offset:144
	ds_load_b128 v[44:47], v1 offset:160
	;; [unrolled: 1-line block ×3, first 2 shown]
	s_mov_b32 s0, exec_lo
	s_wait_loadcnt_dscnt 0x302
	v_dual_mul_f32 v1, v40, v29 :: v_dual_mul_f32 v2, v42, v31
	v_mul_f32_e32 v29, v41, v29
	s_wait_loadcnt_dscnt 0x201
	v_dual_mul_f32 v31, v43, v31 :: v_dual_mul_f32 v54, v44, v33
	s_delay_alu instid0(VALU_DEP_3) | instskip(NEXT) | instid1(VALU_DEP_3)
	v_dual_mul_f32 v55, v46, v35 :: v_dual_fmac_f32 v2, v43, v30
	v_fma_f32 v29, v40, v28, -v29
	v_fmac_f32_e32 v1, v41, v28
	v_mul_f32_e32 v28, v45, v33
	v_fma_f32 v30, v42, v30, -v31
	v_mul_f32_e32 v31, v47, v35
	v_dual_add_f32 v29, 0, v29 :: v_dual_fmac_f32 v54, v45, v32
	s_delay_alu instid0(VALU_DEP_4) | instskip(SKIP_2) | instid1(VALU_DEP_3)
	v_fma_f32 v28, v44, v32, -v28
	s_wait_loadcnt_dscnt 0x100
	v_dual_mul_f32 v56, v48, v37 :: v_dual_mul_f32 v57, v50, v39
	v_add_f32_e32 v29, v29, v30
	v_fmac_f32_e32 v55, v47, v34
	v_fma_f32 v30, v46, v34, -v31
	s_delay_alu instid0(VALU_DEP_4) | instskip(NEXT) | instid1(VALU_DEP_4)
	v_dual_fmac_f32 v56, v49, v36 :: v_dual_fmac_f32 v57, v51, v38
	v_add_f32_e32 v28, v29, v28
	s_delay_alu instid0(VALU_DEP_1) | instskip(SKIP_1) | instid1(VALU_DEP_1)
	v_dual_add_f32 v28, v28, v30 :: v_dual_add_f32 v1, 0, v1
	v_mul_f32_e32 v29, v51, v39
	v_fma_f32 v29, v50, v38, -v29
	s_delay_alu instid0(VALU_DEP_3) | instskip(SKIP_1) | instid1(VALU_DEP_1)
	v_add_f32_e32 v1, v1, v2
	v_mul_f32_e32 v2, v49, v37
	v_fma_f32 v2, v48, v36, -v2
	s_delay_alu instid0(VALU_DEP_1) | instskip(NEXT) | instid1(VALU_DEP_1)
	v_add_f32_e32 v2, v28, v2
	v_dual_add_f32 v2, v2, v29 :: v_dual_add_f32 v1, v1, v54
	s_delay_alu instid0(VALU_DEP_1) | instskip(NEXT) | instid1(VALU_DEP_1)
	v_add_f32_e32 v1, v1, v55
	v_add_f32_e32 v1, v1, v56
	s_wait_loadcnt 0x0
	s_delay_alu instid0(VALU_DEP_1) | instskip(NEXT) | instid1(VALU_DEP_1)
	v_dual_add_f32 v28, v1, v57 :: v_dual_sub_f32 v1, v52, v2
	v_sub_f32_e32 v2, v53, v28
	scratch_store_b64 off, v[1:2], off offset:40
	v_cmpx_lt_u32_e32 4, v0
	s_cbranch_execz .LBB11_77
; %bb.76:
	scratch_load_b64 v[1:2], off, off offset:32
	v_mov_b32_e32 v28, 0
	s_delay_alu instid0(VALU_DEP_1)
	v_mov_b32_e32 v29, v28
	scratch_store_b64 off, v[28:29], off offset:32
	s_wait_loadcnt 0x0
	ds_store_b64 v3, v[1:2]
.LBB11_77:
	s_wait_alu 0xfffe
	s_or_b32 exec_lo, exec_lo, s0
	s_wait_storecnt_dscnt 0x0
	s_barrier_signal -1
	s_barrier_wait -1
	global_inv scope:SCOPE_SE
	s_clause 0x4
	scratch_load_b128 v[28:31], off, off offset:40
	scratch_load_b128 v[32:35], off, off offset:56
	;; [unrolled: 1-line block ×3, first 2 shown]
	scratch_load_b64 v[52:53], off, off offset:88
	scratch_load_b64 v[54:55], off, off offset:32
	v_mov_b32_e32 v1, 0
	ds_load_2addr_b64 v[40:43], v1 offset0:17 offset1:18
	ds_load_2addr_b64 v[44:47], v1 offset0:19 offset1:20
	ds_load_2addr_b64 v[48:51], v1 offset0:21 offset1:22
	ds_load_b64 v[56:57], v1 offset:184
	s_mov_b32 s0, exec_lo
	s_wait_loadcnt_dscnt 0x403
	v_mul_f32_e32 v2, v40, v29
	s_wait_loadcnt_dscnt 0x302
	v_dual_mul_f32 v58, v42, v31 :: v_dual_mul_f32 v59, v44, v33
	v_dual_mul_f32 v60, v46, v35 :: v_dual_mul_f32 v29, v41, v29
	s_wait_loadcnt_dscnt 0x100
	v_dual_mul_f32 v63, v56, v53 :: v_dual_fmac_f32 v2, v41, v28
	v_mul_f32_e32 v31, v43, v31
	v_dual_mul_f32 v61, v48, v37 :: v_dual_mul_f32 v62, v50, v39
	v_fma_f32 v29, v40, v28, -v29
	v_fmac_f32_e32 v58, v43, v30
	v_add_f32_e32 v2, 0, v2
	v_mul_f32_e32 v28, v45, v33
	v_fma_f32 v30, v42, v30, -v31
	v_add_f32_e32 v29, 0, v29
	v_mul_f32_e32 v31, v47, v35
	v_dual_fmac_f32 v59, v45, v32 :: v_dual_add_f32 v2, v2, v58
	v_dual_fmac_f32 v60, v47, v34 :: v_dual_fmac_f32 v61, v49, v36
	s_delay_alu instid0(VALU_DEP_4) | instskip(SKIP_1) | instid1(VALU_DEP_4)
	v_add_f32_e32 v29, v29, v30
	v_dual_fmac_f32 v62, v51, v38 :: v_dual_fmac_f32 v63, v57, v52
	v_add_f32_e32 v2, v2, v59
	v_fma_f32 v28, v44, v32, -v28
	v_mul_f32_e32 v30, v49, v37
	v_fma_f32 v31, v46, v34, -v31
	s_delay_alu instid0(VALU_DEP_4) | instskip(NEXT) | instid1(VALU_DEP_1)
	v_add_f32_e32 v2, v2, v60
	v_add_f32_e32 v2, v2, v61
	s_delay_alu instid0(VALU_DEP_1) | instskip(NEXT) | instid1(VALU_DEP_1)
	v_add_f32_e32 v2, v2, v62
	v_add_f32_e32 v2, v2, v63
	v_dual_add_f32 v28, v29, v28 :: v_dual_mul_f32 v29, v51, v39
	v_fma_f32 v30, v48, v36, -v30
	s_delay_alu instid0(VALU_DEP_2) | instskip(NEXT) | instid1(VALU_DEP_3)
	v_dual_add_f32 v28, v28, v31 :: v_dual_mul_f32 v31, v57, v53
	v_fma_f32 v29, v50, v38, -v29
	s_delay_alu instid0(VALU_DEP_2) | instskip(NEXT) | instid1(VALU_DEP_3)
	v_add_f32_e32 v28, v28, v30
	v_fma_f32 v30, v56, v52, -v31
	s_wait_loadcnt 0x0
	s_delay_alu instid0(VALU_DEP_2) | instskip(NEXT) | instid1(VALU_DEP_1)
	v_dual_add_f32 v28, v28, v29 :: v_dual_sub_f32 v29, v55, v2
	v_add_f32_e32 v28, v28, v30
	s_delay_alu instid0(VALU_DEP_1)
	v_sub_f32_e32 v28, v54, v28
	scratch_store_b64 off, v[28:29], off offset:32
	v_cmpx_lt_u32_e32 3, v0
	s_cbranch_execz .LBB11_79
; %bb.78:
	scratch_load_b64 v[28:29], off, off offset:24
	v_mov_b32_e32 v2, v1
	scratch_store_b64 off, v[1:2], off offset:24
	s_wait_loadcnt 0x0
	ds_store_b64 v3, v[28:29]
.LBB11_79:
	s_wait_alu 0xfffe
	s_or_b32 exec_lo, exec_lo, s0
	s_wait_storecnt_dscnt 0x0
	s_barrier_signal -1
	s_barrier_wait -1
	global_inv scope:SCOPE_SE
	s_clause 0x4
	scratch_load_b128 v[28:31], off, off offset:32
	scratch_load_b128 v[32:35], off, off offset:48
	;; [unrolled: 1-line block ×4, first 2 shown]
	scratch_load_b64 v[60:61], off, off offset:24
	ds_load_b128 v[44:47], v1 offset:128
	ds_load_b128 v[48:51], v1 offset:144
	;; [unrolled: 1-line block ×4, first 2 shown]
	s_mov_b32 s0, exec_lo
	s_wait_loadcnt_dscnt 0x403
	v_dual_mul_f32 v1, v44, v29 :: v_dual_mul_f32 v2, v46, v31
	v_mul_f32_e32 v29, v45, v29
	s_wait_loadcnt_dscnt 0x302
	v_dual_mul_f32 v31, v47, v31 :: v_dual_mul_f32 v62, v48, v33
	s_delay_alu instid0(VALU_DEP_3) | instskip(NEXT) | instid1(VALU_DEP_3)
	v_dual_mul_f32 v63, v50, v35 :: v_dual_fmac_f32 v2, v47, v30
	v_fma_f32 v29, v44, v28, -v29
	v_fmac_f32_e32 v1, v45, v28
	v_mul_f32_e32 v28, v49, v33
	v_fma_f32 v30, v46, v30, -v31
	v_mul_f32_e32 v31, v51, v35
	v_dual_add_f32 v29, 0, v29 :: v_dual_fmac_f32 v62, v49, v32
	s_delay_alu instid0(VALU_DEP_4) | instskip(SKIP_2) | instid1(VALU_DEP_3)
	v_fma_f32 v28, v48, v32, -v28
	s_wait_loadcnt_dscnt 0x201
	v_dual_mul_f32 v64, v52, v37 :: v_dual_mul_f32 v65, v54, v39
	v_add_f32_e32 v29, v29, v30
	v_fmac_f32_e32 v63, v51, v34
	v_fma_f32 v30, v50, v34, -v31
	s_wait_loadcnt_dscnt 0x100
	v_dual_mul_f32 v66, v56, v41 :: v_dual_mul_f32 v67, v58, v43
	v_dual_add_f32 v28, v29, v28 :: v_dual_mul_f32 v29, v55, v39
	v_dual_fmac_f32 v64, v53, v36 :: v_dual_fmac_f32 v65, v55, v38
	s_delay_alu instid0(VALU_DEP_3) | instskip(NEXT) | instid1(VALU_DEP_3)
	v_fmac_f32_e32 v66, v57, v40
	v_dual_add_f32 v28, v28, v30 :: v_dual_add_f32 v1, 0, v1
	v_mul_f32_e32 v30, v57, v41
	v_fma_f32 v29, v54, v38, -v29
	v_fmac_f32_e32 v67, v59, v42
	s_delay_alu instid0(VALU_DEP_4) | instskip(SKIP_2) | instid1(VALU_DEP_2)
	v_add_f32_e32 v1, v1, v2
	v_mul_f32_e32 v2, v53, v37
	v_fma_f32 v30, v56, v40, -v30
	v_fma_f32 v2, v52, v36, -v2
	s_delay_alu instid0(VALU_DEP_1) | instskip(SKIP_1) | instid1(VALU_DEP_2)
	v_add_f32_e32 v2, v28, v2
	v_mul_f32_e32 v28, v59, v43
	v_add_f32_e32 v2, v2, v29
	s_delay_alu instid0(VALU_DEP_2) | instskip(NEXT) | instid1(VALU_DEP_2)
	v_fma_f32 v28, v58, v42, -v28
	v_add_f32_e32 v2, v2, v30
	s_delay_alu instid0(VALU_DEP_1) | instskip(NEXT) | instid1(VALU_DEP_1)
	v_dual_add_f32 v1, v1, v62 :: v_dual_add_f32 v2, v2, v28
	v_add_f32_e32 v1, v1, v63
	s_delay_alu instid0(VALU_DEP_1) | instskip(NEXT) | instid1(VALU_DEP_1)
	v_add_f32_e32 v1, v1, v64
	v_add_f32_e32 v1, v1, v65
	s_delay_alu instid0(VALU_DEP_1) | instskip(SKIP_1) | instid1(VALU_DEP_1)
	v_add_f32_e32 v1, v1, v66
	s_wait_loadcnt 0x0
	v_dual_add_f32 v28, v1, v67 :: v_dual_sub_f32 v1, v60, v2
	s_delay_alu instid0(VALU_DEP_1)
	v_sub_f32_e32 v2, v61, v28
	scratch_store_b64 off, v[1:2], off offset:24
	v_cmpx_lt_u32_e32 2, v0
	s_cbranch_execz .LBB11_81
; %bb.80:
	scratch_load_b64 v[1:2], off, off offset:16
	v_mov_b32_e32 v28, 0
	s_delay_alu instid0(VALU_DEP_1)
	v_mov_b32_e32 v29, v28
	scratch_store_b64 off, v[28:29], off offset:16
	s_wait_loadcnt 0x0
	ds_store_b64 v3, v[1:2]
.LBB11_81:
	s_wait_alu 0xfffe
	s_or_b32 exec_lo, exec_lo, s0
	s_wait_storecnt_dscnt 0x0
	s_barrier_signal -1
	s_barrier_wait -1
	global_inv scope:SCOPE_SE
	s_clause 0x5
	scratch_load_b128 v[28:31], off, off offset:24
	scratch_load_b128 v[32:35], off, off offset:40
	;; [unrolled: 1-line block ×4, first 2 shown]
	scratch_load_b64 v[60:61], off, off offset:88
	scratch_load_b64 v[62:63], off, off offset:16
	v_mov_b32_e32 v1, 0
	ds_load_2addr_b64 v[44:47], v1 offset0:15 offset1:16
	ds_load_2addr_b64 v[48:51], v1 offset0:17 offset1:18
	;; [unrolled: 1-line block ×4, first 2 shown]
	ds_load_b64 v[64:65], v1 offset:184
	s_mov_b32 s0, exec_lo
	s_wait_loadcnt_dscnt 0x504
	v_mul_f32_e32 v2, v44, v29
	s_wait_loadcnt_dscnt 0x403
	v_dual_mul_f32 v66, v46, v31 :: v_dual_mul_f32 v67, v48, v33
	s_wait_loadcnt_dscnt 0x302
	v_dual_mul_f32 v70, v54, v39 :: v_dual_mul_f32 v29, v45, v29
	s_wait_loadcnt_dscnt 0x100
	v_dual_mul_f32 v73, v64, v61 :: v_dual_fmac_f32 v2, v45, v28
	v_mul_f32_e32 v31, v47, v31
	v_dual_mul_f32 v68, v50, v35 :: v_dual_mul_f32 v69, v52, v37
	v_fma_f32 v29, v44, v28, -v29
	v_fmac_f32_e32 v66, v47, v30
	v_add_f32_e32 v2, 0, v2
	v_mul_f32_e32 v28, v49, v33
	v_fma_f32 v30, v46, v30, -v31
	v_add_f32_e32 v29, 0, v29
	v_mul_f32_e32 v31, v51, v35
	v_dual_fmac_f32 v67, v49, v32 :: v_dual_add_f32 v2, v2, v66
	v_dual_fmac_f32 v68, v51, v34 :: v_dual_fmac_f32 v69, v53, v36
	s_delay_alu instid0(VALU_DEP_4) | instskip(SKIP_1) | instid1(VALU_DEP_4)
	v_add_f32_e32 v29, v29, v30
	v_dual_mul_f32 v71, v56, v41 :: v_dual_mul_f32 v72, v58, v43
	v_add_f32_e32 v2, v2, v67
	v_dual_fmac_f32 v70, v55, v38 :: v_dual_fmac_f32 v73, v65, v60
	s_delay_alu instid0(VALU_DEP_3) | instskip(NEXT) | instid1(VALU_DEP_3)
	v_dual_fmac_f32 v71, v57, v40 :: v_dual_fmac_f32 v72, v59, v42
	v_add_f32_e32 v2, v2, v68
	v_fma_f32 v28, v48, v32, -v28
	v_mul_f32_e32 v30, v53, v37
	v_fma_f32 v31, v50, v34, -v31
	s_delay_alu instid0(VALU_DEP_4) | instskip(NEXT) | instid1(VALU_DEP_1)
	v_add_f32_e32 v2, v2, v69
	v_add_f32_e32 v2, v2, v70
	s_delay_alu instid0(VALU_DEP_1) | instskip(NEXT) | instid1(VALU_DEP_1)
	v_add_f32_e32 v2, v2, v71
	v_add_f32_e32 v2, v2, v72
	s_delay_alu instid0(VALU_DEP_1) | instskip(SKIP_2) | instid1(VALU_DEP_2)
	v_add_f32_e32 v2, v2, v73
	v_dual_add_f32 v28, v29, v28 :: v_dual_mul_f32 v29, v55, v39
	v_fma_f32 v30, v52, v36, -v30
	v_dual_add_f32 v28, v28, v31 :: v_dual_mul_f32 v31, v57, v41
	s_delay_alu instid0(VALU_DEP_3) | instskip(NEXT) | instid1(VALU_DEP_2)
	v_fma_f32 v29, v54, v38, -v29
	v_add_f32_e32 v28, v28, v30
	v_mul_f32_e32 v30, v59, v43
	s_delay_alu instid0(VALU_DEP_4) | instskip(NEXT) | instid1(VALU_DEP_3)
	v_fma_f32 v31, v56, v40, -v31
	v_add_f32_e32 v28, v28, v29
	v_mul_f32_e32 v29, v65, v61
	s_delay_alu instid0(VALU_DEP_4) | instskip(NEXT) | instid1(VALU_DEP_3)
	v_fma_f32 v30, v58, v42, -v30
	v_add_f32_e32 v28, v28, v31
	s_delay_alu instid0(VALU_DEP_3) | instskip(NEXT) | instid1(VALU_DEP_2)
	v_fma_f32 v29, v64, v60, -v29
	v_add_f32_e32 v28, v28, v30
	s_wait_loadcnt 0x0
	s_delay_alu instid0(VALU_DEP_1) | instskip(NEXT) | instid1(VALU_DEP_1)
	v_dual_add_f32 v28, v28, v29 :: v_dual_sub_f32 v29, v63, v2
	v_sub_f32_e32 v28, v62, v28
	scratch_store_b64 off, v[28:29], off offset:16
	v_cmpx_lt_u32_e32 1, v0
	s_cbranch_execz .LBB11_83
; %bb.82:
	scratch_load_b64 v[28:29], off, off offset:8
	v_mov_b32_e32 v2, v1
	scratch_store_b64 off, v[1:2], off offset:8
	s_wait_loadcnt 0x0
	ds_store_b64 v3, v[28:29]
.LBB11_83:
	s_wait_alu 0xfffe
	s_or_b32 exec_lo, exec_lo, s0
	s_wait_storecnt_dscnt 0x0
	s_barrier_signal -1
	s_barrier_wait -1
	global_inv scope:SCOPE_SE
	s_clause 0x5
	scratch_load_b128 v[28:31], off, off offset:16
	scratch_load_b128 v[32:35], off, off offset:32
	;; [unrolled: 1-line block ×5, first 2 shown]
	scratch_load_b64 v[68:69], off, off offset:8
	ds_load_b128 v[48:51], v1 offset:112
	ds_load_b128 v[52:55], v1 offset:128
	;; [unrolled: 1-line block ×5, first 2 shown]
	s_mov_b32 s0, exec_lo
	s_wait_loadcnt_dscnt 0x504
	v_dual_mul_f32 v1, v48, v29 :: v_dual_mul_f32 v2, v50, v31
	v_mul_f32_e32 v29, v49, v29
	s_wait_loadcnt_dscnt 0x403
	v_dual_mul_f32 v31, v51, v31 :: v_dual_mul_f32 v70, v52, v33
	s_delay_alu instid0(VALU_DEP_3) | instskip(NEXT) | instid1(VALU_DEP_3)
	v_dual_mul_f32 v71, v54, v35 :: v_dual_fmac_f32 v2, v51, v30
	v_fma_f32 v29, v48, v28, -v29
	v_fmac_f32_e32 v1, v49, v28
	v_mul_f32_e32 v28, v53, v33
	v_fma_f32 v30, v50, v30, -v31
	v_mul_f32_e32 v31, v55, v35
	v_dual_add_f32 v29, 0, v29 :: v_dual_fmac_f32 v70, v53, v32
	s_delay_alu instid0(VALU_DEP_4) | instskip(SKIP_2) | instid1(VALU_DEP_3)
	v_fma_f32 v28, v52, v32, -v28
	s_wait_loadcnt_dscnt 0x302
	v_dual_mul_f32 v72, v56, v37 :: v_dual_mul_f32 v73, v58, v39
	v_add_f32_e32 v29, v29, v30
	v_fmac_f32_e32 v71, v55, v34
	v_fma_f32 v30, v54, v34, -v31
	s_wait_loadcnt_dscnt 0x201
	v_dual_mul_f32 v74, v60, v41 :: v_dual_mul_f32 v75, v62, v43
	v_dual_add_f32 v28, v29, v28 :: v_dual_mul_f32 v29, v59, v39
	v_fmac_f32_e32 v72, v57, v36
	s_wait_loadcnt_dscnt 0x100
	v_dual_mul_f32 v76, v64, v45 :: v_dual_mul_f32 v77, v66, v47
	s_delay_alu instid0(VALU_DEP_3) | instskip(SKIP_3) | instid1(VALU_DEP_4)
	v_dual_add_f32 v28, v28, v30 :: v_dual_add_f32 v1, 0, v1
	v_mul_f32_e32 v30, v61, v41
	v_fma_f32 v29, v58, v38, -v29
	v_dual_fmac_f32 v73, v59, v38 :: v_dual_fmac_f32 v74, v61, v40
	v_add_f32_e32 v1, v1, v2
	v_mul_f32_e32 v2, v57, v37
	v_fma_f32 v30, v60, v40, -v30
	v_dual_fmac_f32 v75, v63, v42 :: v_dual_fmac_f32 v76, v65, v44
	s_delay_alu instid0(VALU_DEP_3) | instskip(NEXT) | instid1(VALU_DEP_1)
	v_fma_f32 v2, v56, v36, -v2
	v_add_f32_e32 v2, v28, v2
	v_mul_f32_e32 v28, v63, v43
	s_delay_alu instid0(VALU_DEP_2) | instskip(SKIP_1) | instid1(VALU_DEP_3)
	v_dual_add_f32 v2, v2, v29 :: v_dual_add_f32 v1, v1, v70
	v_mul_f32_e32 v29, v65, v45
	v_fma_f32 v28, v62, v42, -v28
	s_delay_alu instid0(VALU_DEP_3) | instskip(SKIP_3) | instid1(VALU_DEP_4)
	v_add_f32_e32 v2, v2, v30
	v_mul_f32_e32 v30, v67, v47
	v_add_f32_e32 v1, v1, v71
	v_fma_f32 v29, v64, v44, -v29
	v_dual_add_f32 v2, v2, v28 :: v_dual_fmac_f32 v77, v67, v46
	s_delay_alu instid0(VALU_DEP_3) | instskip(SKIP_1) | instid1(VALU_DEP_3)
	v_add_f32_e32 v1, v1, v72
	v_fma_f32 v28, v66, v46, -v30
	v_add_f32_e32 v2, v2, v29
	s_delay_alu instid0(VALU_DEP_1) | instskip(NEXT) | instid1(VALU_DEP_1)
	v_dual_add_f32 v1, v1, v73 :: v_dual_add_f32 v2, v2, v28
	v_add_f32_e32 v1, v1, v74
	s_delay_alu instid0(VALU_DEP_1) | instskip(NEXT) | instid1(VALU_DEP_1)
	v_add_f32_e32 v1, v1, v75
	v_add_f32_e32 v1, v1, v76
	s_wait_loadcnt 0x0
	s_delay_alu instid0(VALU_DEP_1) | instskip(NEXT) | instid1(VALU_DEP_1)
	v_dual_add_f32 v28, v1, v77 :: v_dual_sub_f32 v1, v68, v2
	v_sub_f32_e32 v2, v69, v28
	scratch_store_b64 off, v[1:2], off offset:8
	v_cmpx_ne_u32_e32 0, v0
	s_cbranch_execz .LBB11_85
; %bb.84:
	scratch_load_b64 v[0:1], off, off
	v_mov_b32_e32 v28, 0
	s_delay_alu instid0(VALU_DEP_1)
	v_mov_b32_e32 v29, v28
	scratch_store_b64 off, v[28:29], off
	s_wait_loadcnt 0x0
	ds_store_b64 v3, v[0:1]
.LBB11_85:
	s_wait_alu 0xfffe
	s_or_b32 exec_lo, exec_lo, s0
	s_wait_storecnt_dscnt 0x0
	s_barrier_signal -1
	s_barrier_wait -1
	global_inv scope:SCOPE_SE
	s_clause 0x6
	scratch_load_b128 v[29:32], off, off offset:8
	scratch_load_b128 v[33:36], off, off offset:24
	;; [unrolled: 1-line block ×5, first 2 shown]
	scratch_load_b64 v[65:66], off, off offset:88
	scratch_load_b64 v[67:68], off, off
	v_mov_b32_e32 v28, 0
	ds_load_2addr_b64 v[45:48], v28 offset0:13 offset1:14
	ds_load_2addr_b64 v[49:52], v28 offset0:15 offset1:16
	;; [unrolled: 1-line block ×5, first 2 shown]
	ds_load_b64 v[69:70], v28 offset:184
	s_and_b32 vcc_lo, exec_lo, s18
	s_wait_loadcnt_dscnt 0x605
	v_dual_mul_f32 v71, v45, v30 :: v_dual_mul_f32 v72, v47, v32
	s_wait_loadcnt_dscnt 0x504
	v_dual_mul_f32 v73, v49, v34 :: v_dual_mul_f32 v32, v48, v32
	;; [unrolled: 2-line block ×3, first 2 shown]
	v_dual_fmac_f32 v71, v46, v29 :: v_dual_fmac_f32 v72, v48, v31
	s_delay_alu instid0(VALU_DEP_3) | instskip(SKIP_1) | instid1(VALU_DEP_4)
	v_fmac_f32_e32 v73, v50, v33
	v_fma_f32 v31, v47, v31, -v32
	v_dual_fmac_f32 v74, v52, v35 :: v_dual_fmac_f32 v75, v54, v37
	s_delay_alu instid0(VALU_DEP_4)
	v_add_f32_e32 v32, 0, v71
	v_mul_f32_e32 v30, v46, v30
	s_wait_loadcnt_dscnt 0x302
	v_dual_mul_f32 v76, v55, v40 :: v_dual_mul_f32 v77, v57, v42
	s_wait_loadcnt_dscnt 0x201
	v_dual_mul_f32 v78, v59, v44 :: v_dual_mul_f32 v79, v61, v1
	v_fma_f32 v30, v45, v29, -v30
	v_dual_mul_f32 v29, v50, v34 :: v_dual_mul_f32 v34, v52, v36
	v_dual_fmac_f32 v76, v56, v39 :: v_dual_fmac_f32 v77, v58, v41
	s_delay_alu instid0(VALU_DEP_3) | instskip(NEXT) | instid1(VALU_DEP_3)
	v_add_f32_e32 v30, 0, v30
	v_fma_f32 v29, v49, v33, -v29
	s_delay_alu instid0(VALU_DEP_4) | instskip(SKIP_1) | instid1(VALU_DEP_4)
	v_fma_f32 v33, v51, v35, -v34
	v_dual_fmac_f32 v78, v60, v43 :: v_dual_fmac_f32 v79, v62, v0
	v_add_f32_e32 v30, v30, v31
	s_wait_loadcnt_dscnt 0x100
	v_dual_mul_f32 v80, v63, v3 :: v_dual_mul_f32 v81, v69, v66
	v_mul_f32_e32 v1, v62, v1
	s_delay_alu instid0(VALU_DEP_3) | instskip(SKIP_1) | instid1(VALU_DEP_4)
	v_add_f32_e32 v29, v30, v29
	v_add_f32_e32 v31, v32, v72
	v_dual_fmac_f32 v80, v64, v2 :: v_dual_fmac_f32 v81, v70, v65
	s_delay_alu instid0(VALU_DEP_4) | instskip(NEXT) | instid1(VALU_DEP_4)
	v_fma_f32 v0, v61, v0, -v1
	v_add_f32_e32 v29, v29, v33
	s_delay_alu instid0(VALU_DEP_4) | instskip(SKIP_1) | instid1(VALU_DEP_2)
	v_dual_add_f32 v30, v31, v73 :: v_dual_mul_f32 v33, v58, v42
	v_mul_f32_e32 v31, v56, v40
	v_fma_f32 v33, v57, v41, -v33
	s_delay_alu instid0(VALU_DEP_2) | instskip(SKIP_1) | instid1(VALU_DEP_1)
	v_fma_f32 v31, v55, v39, -v31
	v_mul_f32_e32 v32, v54, v38
	v_fma_f32 v32, v53, v37, -v32
	s_delay_alu instid0(VALU_DEP_1) | instskip(NEXT) | instid1(VALU_DEP_1)
	v_dual_add_f32 v30, v30, v74 :: v_dual_add_f32 v29, v29, v32
	v_dual_mul_f32 v32, v60, v44 :: v_dual_add_f32 v29, v29, v31
	s_delay_alu instid0(VALU_DEP_2) | instskip(NEXT) | instid1(VALU_DEP_2)
	v_add_f32_e32 v30, v30, v75
	v_fma_f32 v31, v59, v43, -v32
	s_delay_alu instid0(VALU_DEP_2) | instskip(NEXT) | instid1(VALU_DEP_1)
	v_dual_add_f32 v29, v29, v33 :: v_dual_add_f32 v30, v30, v76
	v_dual_add_f32 v1, v29, v31 :: v_dual_add_f32 v30, v30, v77
	v_mul_f32_e32 v32, v64, v3
	s_delay_alu instid0(VALU_DEP_2) | instskip(NEXT) | instid1(VALU_DEP_2)
	v_dual_add_f32 v0, v1, v0 :: v_dual_add_f32 v29, v30, v78
	v_fma_f32 v31, v63, v2, -v32
	s_delay_alu instid0(VALU_DEP_2) | instskip(NEXT) | instid1(VALU_DEP_1)
	v_dual_add_f32 v1, v29, v79 :: v_dual_mul_f32 v30, v70, v66
	v_add_f32_e32 v1, v1, v80
	s_delay_alu instid0(VALU_DEP_2) | instskip(NEXT) | instid1(VALU_DEP_2)
	v_fma_f32 v29, v69, v65, -v30
	v_add_f32_e32 v1, v1, v81
	s_wait_loadcnt 0x0
	s_delay_alu instid0(VALU_DEP_1) | instskip(SKIP_1) | instid1(VALU_DEP_1)
	v_sub_f32_e32 v1, v68, v1
	v_add_f32_e32 v0, v0, v31
	v_add_f32_e32 v0, v0, v29
	s_delay_alu instid0(VALU_DEP_1)
	v_sub_f32_e32 v0, v67, v0
	scratch_store_b64 off, v[0:1], off
	s_wait_alu 0xfffe
	s_cbranch_vccz .LBB11_108
; %bb.86:
	global_load_b32 v0, v28, s[2:3] offset:40
	s_wait_loadcnt 0x0
	v_cmp_ne_u32_e32 vcc_lo, 11, v0
	s_cbranch_vccz .LBB11_88
; %bb.87:
	v_lshlrev_b32_e32 v0, 3, v0
	s_delay_alu instid0(VALU_DEP_1)
	v_mov_b32_e32 v28, v0
	scratch_load_b64 v[0:1], v28, off offset:-8
	s_wait_loadcnt 0x0
	scratch_store_b64 off, v[0:1], off offset:80
	scratch_store_b64 v28, v[2:3], off offset:-8
.LBB11_88:
	v_mov_b32_e32 v0, 0
	global_load_b32 v1, v0, s[2:3] offset:36
	s_wait_loadcnt 0x0
	v_cmp_eq_u32_e32 vcc_lo, 10, v1
	s_cbranch_vccnz .LBB11_90
; %bb.89:
	v_lshlrev_b32_e32 v1, 3, v1
	s_delay_alu instid0(VALU_DEP_1)
	v_mov_b32_e32 v3, v1
	scratch_load_b64 v[1:2], v3, off offset:-8
	scratch_load_b64 v[28:29], off, off offset:72
	s_wait_loadcnt 0x1
	scratch_store_b64 off, v[1:2], off offset:72
	s_wait_loadcnt 0x0
	scratch_store_b64 v3, v[28:29], off offset:-8
.LBB11_90:
	global_load_b32 v0, v0, s[2:3] offset:32
	s_wait_loadcnt 0x0
	v_cmp_eq_u32_e32 vcc_lo, 9, v0
	s_cbranch_vccnz .LBB11_92
; %bb.91:
	v_lshlrev_b32_e32 v0, 3, v0
	s_delay_alu instid0(VALU_DEP_1)
	v_mov_b32_e32 v28, v0
	scratch_load_b64 v[0:1], v28, off offset:-8
	scratch_load_b64 v[2:3], off, off offset:64
	s_wait_loadcnt 0x1
	scratch_store_b64 off, v[0:1], off offset:64
	s_wait_loadcnt 0x0
	scratch_store_b64 v28, v[2:3], off offset:-8
.LBB11_92:
	v_mov_b32_e32 v0, 0
	global_load_b32 v1, v0, s[2:3] offset:28
	s_wait_loadcnt 0x0
	v_cmp_eq_u32_e32 vcc_lo, 8, v1
	s_cbranch_vccnz .LBB11_94
; %bb.93:
	v_lshlrev_b32_e32 v1, 3, v1
	s_delay_alu instid0(VALU_DEP_1)
	v_mov_b32_e32 v3, v1
	scratch_load_b64 v[1:2], v3, off offset:-8
	scratch_load_b64 v[28:29], off, off offset:56
	s_wait_loadcnt 0x1
	scratch_store_b64 off, v[1:2], off offset:56
	s_wait_loadcnt 0x0
	scratch_store_b64 v3, v[28:29], off offset:-8
.LBB11_94:
	global_load_b32 v0, v0, s[2:3] offset:24
	s_wait_loadcnt 0x0
	v_cmp_eq_u32_e32 vcc_lo, 7, v0
	s_cbranch_vccnz .LBB11_96
; %bb.95:
	v_lshlrev_b32_e32 v0, 3, v0
	s_delay_alu instid0(VALU_DEP_1)
	v_mov_b32_e32 v28, v0
	scratch_load_b64 v[0:1], v28, off offset:-8
	scratch_load_b64 v[2:3], off, off offset:48
	s_wait_loadcnt 0x1
	scratch_store_b64 off, v[0:1], off offset:48
	s_wait_loadcnt 0x0
	scratch_store_b64 v28, v[2:3], off offset:-8
.LBB11_96:
	;; [unrolled: 31-line block ×4, first 2 shown]
	v_mov_b32_e32 v0, 0
	global_load_b32 v1, v0, s[2:3] offset:4
	s_wait_loadcnt 0x0
	v_cmp_eq_u32_e32 vcc_lo, 2, v1
	s_cbranch_vccnz .LBB11_106
; %bb.105:
	v_lshlrev_b32_e32 v1, 3, v1
	s_delay_alu instid0(VALU_DEP_1)
	v_mov_b32_e32 v3, v1
	scratch_load_b64 v[1:2], v3, off offset:-8
	scratch_load_b64 v[28:29], off, off offset:8
	s_wait_loadcnt 0x1
	scratch_store_b64 off, v[1:2], off offset:8
	s_wait_loadcnt 0x0
	scratch_store_b64 v3, v[28:29], off offset:-8
.LBB11_106:
	global_load_b32 v0, v0, s[2:3]
	s_wait_loadcnt 0x0
	v_cmp_eq_u32_e32 vcc_lo, 1, v0
	s_cbranch_vccnz .LBB11_108
; %bb.107:
	v_lshlrev_b32_e32 v0, 3, v0
	s_delay_alu instid0(VALU_DEP_1)
	v_mov_b32_e32 v28, v0
	scratch_load_b64 v[0:1], v28, off offset:-8
	scratch_load_b64 v[2:3], off, off
	s_wait_loadcnt 0x1
	scratch_store_b64 off, v[0:1], off
	s_wait_loadcnt 0x0
	scratch_store_b64 v28, v[2:3], off offset:-8
.LBB11_108:
	s_clause 0x5
	scratch_load_b128 v[0:3], off, off
	scratch_load_b128 v[28:31], off, off offset:16
	scratch_load_b128 v[32:35], off, off offset:32
	;; [unrolled: 1-line block ×5, first 2 shown]
	s_wait_loadcnt 0x5
	s_clause 0x1
	global_store_b64 v[4:5], v[0:1], off
	global_store_b64 v[6:7], v[2:3], off
	s_wait_loadcnt 0x4
	s_clause 0x1
	global_store_b64 v[8:9], v[28:29], off
	global_store_b64 v[10:11], v[30:31], off
	;; [unrolled: 4-line block ×6, first 2 shown]
	s_endpgm
	.section	.rodata,"a",@progbits
	.p2align	6, 0x0
	.amdhsa_kernel _ZN9rocsolver6v33100L18getri_kernel_smallILi12E19rocblas_complex_numIfEPS3_EEvT1_iilPiilS6_bb
		.amdhsa_group_segment_fixed_size 196
		.amdhsa_private_segment_fixed_size 112
		.amdhsa_kernarg_size 60
		.amdhsa_user_sgpr_count 2
		.amdhsa_user_sgpr_dispatch_ptr 0
		.amdhsa_user_sgpr_queue_ptr 0
		.amdhsa_user_sgpr_kernarg_segment_ptr 1
		.amdhsa_user_sgpr_dispatch_id 0
		.amdhsa_user_sgpr_private_segment_size 0
		.amdhsa_wavefront_size32 1
		.amdhsa_uses_dynamic_stack 0
		.amdhsa_enable_private_segment 1
		.amdhsa_system_sgpr_workgroup_id_x 1
		.amdhsa_system_sgpr_workgroup_id_y 0
		.amdhsa_system_sgpr_workgroup_id_z 0
		.amdhsa_system_sgpr_workgroup_info 0
		.amdhsa_system_vgpr_workitem_id 0
		.amdhsa_next_free_vgpr 82
		.amdhsa_next_free_sgpr 19
		.amdhsa_reserve_vcc 1
		.amdhsa_float_round_mode_32 0
		.amdhsa_float_round_mode_16_64 0
		.amdhsa_float_denorm_mode_32 3
		.amdhsa_float_denorm_mode_16_64 3
		.amdhsa_fp16_overflow 0
		.amdhsa_workgroup_processor_mode 1
		.amdhsa_memory_ordered 1
		.amdhsa_forward_progress 1
		.amdhsa_inst_pref_size 83
		.amdhsa_round_robin_scheduling 0
		.amdhsa_exception_fp_ieee_invalid_op 0
		.amdhsa_exception_fp_denorm_src 0
		.amdhsa_exception_fp_ieee_div_zero 0
		.amdhsa_exception_fp_ieee_overflow 0
		.amdhsa_exception_fp_ieee_underflow 0
		.amdhsa_exception_fp_ieee_inexact 0
		.amdhsa_exception_int_div_zero 0
	.end_amdhsa_kernel
	.section	.text._ZN9rocsolver6v33100L18getri_kernel_smallILi12E19rocblas_complex_numIfEPS3_EEvT1_iilPiilS6_bb,"axG",@progbits,_ZN9rocsolver6v33100L18getri_kernel_smallILi12E19rocblas_complex_numIfEPS3_EEvT1_iilPiilS6_bb,comdat
.Lfunc_end11:
	.size	_ZN9rocsolver6v33100L18getri_kernel_smallILi12E19rocblas_complex_numIfEPS3_EEvT1_iilPiilS6_bb, .Lfunc_end11-_ZN9rocsolver6v33100L18getri_kernel_smallILi12E19rocblas_complex_numIfEPS3_EEvT1_iilPiilS6_bb
                                        ; -- End function
	.set _ZN9rocsolver6v33100L18getri_kernel_smallILi12E19rocblas_complex_numIfEPS3_EEvT1_iilPiilS6_bb.num_vgpr, 82
	.set _ZN9rocsolver6v33100L18getri_kernel_smallILi12E19rocblas_complex_numIfEPS3_EEvT1_iilPiilS6_bb.num_agpr, 0
	.set _ZN9rocsolver6v33100L18getri_kernel_smallILi12E19rocblas_complex_numIfEPS3_EEvT1_iilPiilS6_bb.numbered_sgpr, 19
	.set _ZN9rocsolver6v33100L18getri_kernel_smallILi12E19rocblas_complex_numIfEPS3_EEvT1_iilPiilS6_bb.num_named_barrier, 0
	.set _ZN9rocsolver6v33100L18getri_kernel_smallILi12E19rocblas_complex_numIfEPS3_EEvT1_iilPiilS6_bb.private_seg_size, 112
	.set _ZN9rocsolver6v33100L18getri_kernel_smallILi12E19rocblas_complex_numIfEPS3_EEvT1_iilPiilS6_bb.uses_vcc, 1
	.set _ZN9rocsolver6v33100L18getri_kernel_smallILi12E19rocblas_complex_numIfEPS3_EEvT1_iilPiilS6_bb.uses_flat_scratch, 1
	.set _ZN9rocsolver6v33100L18getri_kernel_smallILi12E19rocblas_complex_numIfEPS3_EEvT1_iilPiilS6_bb.has_dyn_sized_stack, 0
	.set _ZN9rocsolver6v33100L18getri_kernel_smallILi12E19rocblas_complex_numIfEPS3_EEvT1_iilPiilS6_bb.has_recursion, 0
	.set _ZN9rocsolver6v33100L18getri_kernel_smallILi12E19rocblas_complex_numIfEPS3_EEvT1_iilPiilS6_bb.has_indirect_call, 0
	.section	.AMDGPU.csdata,"",@progbits
; Kernel info:
; codeLenInByte = 10532
; TotalNumSgprs: 21
; NumVgprs: 82
; ScratchSize: 112
; MemoryBound: 0
; FloatMode: 240
; IeeeMode: 1
; LDSByteSize: 196 bytes/workgroup (compile time only)
; SGPRBlocks: 0
; VGPRBlocks: 10
; NumSGPRsForWavesPerEU: 21
; NumVGPRsForWavesPerEU: 82
; Occupancy: 16
; WaveLimiterHint : 1
; COMPUTE_PGM_RSRC2:SCRATCH_EN: 1
; COMPUTE_PGM_RSRC2:USER_SGPR: 2
; COMPUTE_PGM_RSRC2:TRAP_HANDLER: 0
; COMPUTE_PGM_RSRC2:TGID_X_EN: 1
; COMPUTE_PGM_RSRC2:TGID_Y_EN: 0
; COMPUTE_PGM_RSRC2:TGID_Z_EN: 0
; COMPUTE_PGM_RSRC2:TIDIG_COMP_CNT: 0
	.section	.text._ZN9rocsolver6v33100L18getri_kernel_smallILi13E19rocblas_complex_numIfEPS3_EEvT1_iilPiilS6_bb,"axG",@progbits,_ZN9rocsolver6v33100L18getri_kernel_smallILi13E19rocblas_complex_numIfEPS3_EEvT1_iilPiilS6_bb,comdat
	.globl	_ZN9rocsolver6v33100L18getri_kernel_smallILi13E19rocblas_complex_numIfEPS3_EEvT1_iilPiilS6_bb ; -- Begin function _ZN9rocsolver6v33100L18getri_kernel_smallILi13E19rocblas_complex_numIfEPS3_EEvT1_iilPiilS6_bb
	.p2align	8
	.type	_ZN9rocsolver6v33100L18getri_kernel_smallILi13E19rocblas_complex_numIfEPS3_EEvT1_iilPiilS6_bb,@function
_ZN9rocsolver6v33100L18getri_kernel_smallILi13E19rocblas_complex_numIfEPS3_EEvT1_iilPiilS6_bb: ; @_ZN9rocsolver6v33100L18getri_kernel_smallILi13E19rocblas_complex_numIfEPS3_EEvT1_iilPiilS6_bb
; %bb.0:
	s_mov_b32 s2, exec_lo
	v_cmpx_gt_u32_e32 13, v0
	s_cbranch_execz .LBB12_66
; %bb.1:
	s_clause 0x2
	s_load_b32 s2, s[0:1], 0x38
	s_load_b128 s[12:15], s[0:1], 0x10
	s_load_b128 s[4:7], s[0:1], 0x28
	s_mov_b32 s16, ttmp9
	s_wait_kmcnt 0x0
	s_bitcmp1_b32 s2, 8
	s_cselect_b32 s18, -1, 0
	s_bfe_u32 s2, s2, 0x10008
	s_ashr_i32 s17, ttmp9, 31
	s_cmp_eq_u32 s2, 0
                                        ; implicit-def: $sgpr2_sgpr3
	s_cbranch_scc1 .LBB12_3
; %bb.2:
	s_load_b32 s2, s[0:1], 0x20
	s_mul_u64 s[4:5], s[4:5], s[16:17]
	s_delay_alu instid0(SALU_CYCLE_1) | instskip(NEXT) | instid1(SALU_CYCLE_1)
	s_lshl_b64 s[4:5], s[4:5], 2
	s_add_nc_u64 s[4:5], s[14:15], s[4:5]
	s_wait_kmcnt 0x0
	s_ashr_i32 s3, s2, 31
	s_delay_alu instid0(SALU_CYCLE_1) | instskip(NEXT) | instid1(SALU_CYCLE_1)
	s_lshl_b64 s[2:3], s[2:3], 2
	s_add_nc_u64 s[2:3], s[4:5], s[2:3]
.LBB12_3:
	s_clause 0x1
	s_load_b128 s[8:11], s[0:1], 0x0
	s_load_b32 s4, s[0:1], 0x38
	s_mul_u64 s[0:1], s[12:13], s[16:17]
	v_lshlrev_b32_e32 v3, 3, v0
	s_lshl_b64 s[0:1], s[0:1], 3
	s_wait_kmcnt 0x0
	v_add3_u32 v1, s11, s11, v0
	s_ashr_i32 s13, s10, 31
	s_mov_b32 s12, s10
	s_add_nc_u64 s[0:1], s[8:9], s[0:1]
	s_lshl_b64 s[12:13], s[12:13], 3
	v_add_nc_u32_e32 v8, s11, v1
	v_ashrrev_i32_e32 v2, 31, v1
	s_add_nc_u64 s[0:1], s[0:1], s[12:13]
	s_ashr_i32 s9, s11, 31
	v_add_co_u32 v4, s5, s0, v3
	v_add_nc_u32_e32 v10, s11, v8
	s_mov_b32 s8, s11
	v_lshlrev_b64_e32 v[1:2], 3, v[1:2]
	v_add_co_ci_u32_e64 v5, null, s1, 0, s5
	v_ashrrev_i32_e32 v9, 31, v8
	s_lshl_b64 s[8:9], s[8:9], 3
	v_ashrrev_i32_e32 v11, 31, v10
	v_add_co_u32 v6, vcc_lo, v4, s8
	v_add_nc_u32_e32 v14, s11, v10
	v_add_co_ci_u32_e64 v7, null, s9, v5, vcc_lo
	v_lshlrev_b64_e32 v[12:13], 3, v[8:9]
	v_add_co_u32 v8, vcc_lo, s0, v1
	s_wait_alu 0xfffd
	v_add_co_ci_u32_e64 v9, null, s1, v2, vcc_lo
	v_lshlrev_b64_e32 v[1:2], 3, v[10:11]
	v_add_nc_u32_e32 v16, s11, v14
	v_add_co_u32 v10, vcc_lo, s0, v12
	s_wait_alu 0xfffd
	v_add_co_ci_u32_e64 v11, null, s1, v13, vcc_lo
	s_delay_alu instid0(VALU_DEP_4)
	v_add_co_u32 v12, vcc_lo, s0, v1
	v_add_nc_u32_e32 v1, s11, v16
	v_ashrrev_i32_e32 v15, 31, v14
	v_ashrrev_i32_e32 v17, 31, v16
	s_wait_alu 0xfffd
	v_add_co_ci_u32_e64 v13, null, s1, v2, vcc_lo
	v_ashrrev_i32_e32 v2, 31, v1
	v_lshlrev_b64_e32 v[14:15], 3, v[14:15]
	v_add_nc_u32_e32 v18, s11, v1
	v_lshlrev_b64_e32 v[16:17], 3, v[16:17]
	global_load_b64 v[30:31], v3, s[0:1]
	v_lshlrev_b64_e32 v[1:2], 3, v[1:2]
	s_clause 0x3
	global_load_b64 v[32:33], v[6:7], off
	global_load_b64 v[34:35], v[8:9], off
	;; [unrolled: 1-line block ×4, first 2 shown]
	v_ashrrev_i32_e32 v19, 31, v18
	v_add_nc_u32_e32 v22, s11, v18
	v_add_co_u32 v14, vcc_lo, s0, v14
	s_wait_alu 0xfffd
	v_add_co_ci_u32_e64 v15, null, s1, v15, vcc_lo
	v_add_co_u32 v16, vcc_lo, s0, v16
	s_wait_alu 0xfffd
	v_add_co_ci_u32_e64 v17, null, s1, v17, vcc_lo
	v_lshlrev_b64_e32 v[20:21], 3, v[18:19]
	v_add_co_u32 v18, vcc_lo, s0, v1
	v_add_nc_u32_e32 v1, s11, v22
	v_ashrrev_i32_e32 v23, 31, v22
	s_wait_alu 0xfffd
	v_add_co_ci_u32_e64 v19, null, s1, v2, vcc_lo
	v_add_co_u32 v20, vcc_lo, s0, v20
	v_add_nc_u32_e32 v24, s11, v1
	v_ashrrev_i32_e32 v2, 31, v1
	v_lshlrev_b64_e32 v[22:23], 3, v[22:23]
	s_wait_alu 0xfffd
	v_add_co_ci_u32_e64 v21, null, s1, v21, vcc_lo
	v_add_nc_u32_e32 v26, s11, v24
	v_lshlrev_b64_e32 v[1:2], 3, v[1:2]
	v_ashrrev_i32_e32 v25, 31, v24
	v_add_co_u32 v22, vcc_lo, s0, v22
	s_delay_alu instid0(VALU_DEP_4)
	v_ashrrev_i32_e32 v27, 31, v26
	s_wait_alu 0xfffd
	v_add_co_ci_u32_e64 v23, null, s1, v23, vcc_lo
	v_lshlrev_b64_e32 v[28:29], 3, v[24:25]
	v_add_co_u32 v24, vcc_lo, s0, v1
	s_wait_alu 0xfffd
	v_add_co_ci_u32_e64 v25, null, s1, v2, vcc_lo
	v_lshlrev_b64_e32 v[1:2], 3, v[26:27]
	s_delay_alu instid0(VALU_DEP_4)
	v_add_co_u32 v26, vcc_lo, s0, v28
	s_wait_alu 0xfffd
	v_add_co_ci_u32_e64 v27, null, s1, v29, vcc_lo
	s_clause 0x3
	global_load_b64 v[40:41], v[14:15], off
	global_load_b64 v[42:43], v[16:17], off
	;; [unrolled: 1-line block ×4, first 2 shown]
	v_add_co_u32 v28, vcc_lo, s0, v1
	s_wait_alu 0xfffd
	v_add_co_ci_u32_e64 v29, null, s1, v2, vcc_lo
	s_clause 0x3
	global_load_b64 v[48:49], v[22:23], off
	global_load_b64 v[50:51], v[24:25], off
	;; [unrolled: 1-line block ×4, first 2 shown]
	s_bitcmp0_b32 s4, 0
	s_mov_b32 s1, -1
	s_wait_loadcnt 0xb
	scratch_store_b128 off, v[30:33], off
	s_wait_loadcnt 0x9
	scratch_store_b128 off, v[34:37], off offset:16
	s_wait_loadcnt 0x7
	scratch_store_b128 off, v[38:41], off offset:32
	;; [unrolled: 2-line block ×5, first 2 shown]
	s_wait_loadcnt 0x0
	scratch_store_b64 off, v[1:2], off offset:96
	s_cbranch_scc1 .LBB12_64
; %bb.4:
	v_cmp_eq_u32_e64 s0, 0, v0
	s_and_saveexec_b32 s1, s0
; %bb.5:
	v_mov_b32_e32 v1, 0
	ds_store_b32 v1, v1 offset:104
; %bb.6:
	s_wait_alu 0xfffe
	s_or_b32 exec_lo, exec_lo, s1
	s_wait_storecnt_dscnt 0x0
	s_barrier_signal -1
	s_barrier_wait -1
	global_inv scope:SCOPE_SE
	scratch_load_b64 v[1:2], v3, off
	s_wait_loadcnt 0x0
	v_cmp_eq_f32_e32 vcc_lo, 0, v1
	v_cmp_eq_f32_e64 s1, 0, v2
	s_and_b32 s1, vcc_lo, s1
	s_wait_alu 0xfffe
	s_and_saveexec_b32 s4, s1
	s_cbranch_execz .LBB12_10
; %bb.7:
	v_mov_b32_e32 v1, 0
	s_mov_b32 s5, 0
	ds_load_b32 v2, v1 offset:104
	s_wait_dscnt 0x0
	v_readfirstlane_b32 s1, v2
	v_add_nc_u32_e32 v2, 1, v0
	s_cmp_eq_u32 s1, 0
	s_delay_alu instid0(VALU_DEP_1)
	v_cmp_gt_i32_e32 vcc_lo, s1, v2
	s_cselect_b32 s8, -1, 0
	s_wait_alu 0xfffe
	s_or_b32 s8, s8, vcc_lo
	s_wait_alu 0xfffe
	s_and_b32 exec_lo, exec_lo, s8
	s_cbranch_execz .LBB12_10
; %bb.8:
	v_mov_b32_e32 v30, s1
.LBB12_9:                               ; =>This Inner Loop Header: Depth=1
	ds_cmpstore_rtn_b32 v30, v1, v2, v30 offset:104
	s_wait_dscnt 0x0
	v_cmp_ne_u32_e32 vcc_lo, 0, v30
	v_cmp_le_i32_e64 s1, v30, v2
	s_and_b32 s1, vcc_lo, s1
	s_wait_alu 0xfffe
	s_and_b32 s1, exec_lo, s1
	s_wait_alu 0xfffe
	s_or_b32 s5, s1, s5
	s_wait_alu 0xfffe
	s_and_not1_b32 exec_lo, exec_lo, s5
	s_cbranch_execnz .LBB12_9
.LBB12_10:
	s_wait_alu 0xfffe
	s_or_b32 exec_lo, exec_lo, s4
	v_mov_b32_e32 v1, 0
	s_barrier_signal -1
	s_barrier_wait -1
	global_inv scope:SCOPE_SE
	ds_load_b32 v2, v1 offset:104
	s_and_saveexec_b32 s1, s0
	s_cbranch_execz .LBB12_12
; %bb.11:
	s_lshl_b64 s[4:5], s[16:17], 2
	s_wait_alu 0xfffe
	s_add_nc_u64 s[4:5], s[6:7], s[4:5]
	s_wait_dscnt 0x0
	global_store_b32 v1, v2, s[4:5]
.LBB12_12:
	s_wait_alu 0xfffe
	s_or_b32 exec_lo, exec_lo, s1
	s_wait_dscnt 0x0
	v_cmp_ne_u32_e32 vcc_lo, 0, v2
	s_mov_b32 s1, 0
	s_cbranch_vccnz .LBB12_64
; %bb.13:
	v_mov_b32_e32 v34, v3
                                        ; implicit-def: $vgpr30
                                        ; implicit-def: $vgpr32
	scratch_load_b64 v[1:2], v34, off
	s_wait_loadcnt 0x0
	v_cmp_ngt_f32_e64 s1, |v1|, |v2|
	s_wait_alu 0xfffe
	s_and_saveexec_b32 s4, s1
	s_wait_alu 0xfffe
	s_xor_b32 s1, exec_lo, s4
	s_cbranch_execz .LBB12_15
; %bb.14:
	v_div_scale_f32 v30, null, v2, v2, v1
	v_div_scale_f32 v33, vcc_lo, v1, v2, v1
	s_delay_alu instid0(VALU_DEP_2) | instskip(NEXT) | instid1(TRANS32_DEP_1)
	v_rcp_f32_e32 v31, v30
	v_fma_f32 v32, -v30, v31, 1.0
	s_delay_alu instid0(VALU_DEP_1) | instskip(NEXT) | instid1(VALU_DEP_1)
	v_fmac_f32_e32 v31, v32, v31
	v_mul_f32_e32 v32, v33, v31
	s_delay_alu instid0(VALU_DEP_1) | instskip(NEXT) | instid1(VALU_DEP_1)
	v_fma_f32 v35, -v30, v32, v33
	v_fmac_f32_e32 v32, v35, v31
	s_delay_alu instid0(VALU_DEP_1) | instskip(SKIP_1) | instid1(VALU_DEP_1)
	v_fma_f32 v30, -v30, v32, v33
	s_wait_alu 0xfffd
	v_div_fmas_f32 v30, v30, v31, v32
	s_delay_alu instid0(VALU_DEP_1) | instskip(NEXT) | instid1(VALU_DEP_1)
	v_div_fixup_f32 v30, v30, v2, v1
	v_fmac_f32_e32 v2, v1, v30
	s_delay_alu instid0(VALU_DEP_1) | instskip(NEXT) | instid1(VALU_DEP_1)
	v_div_scale_f32 v1, null, v2, v2, 1.0
	v_rcp_f32_e32 v31, v1
	s_delay_alu instid0(TRANS32_DEP_1) | instskip(NEXT) | instid1(VALU_DEP_1)
	v_fma_f32 v32, -v1, v31, 1.0
	v_fmac_f32_e32 v31, v32, v31
	v_div_scale_f32 v32, vcc_lo, 1.0, v2, 1.0
	s_delay_alu instid0(VALU_DEP_1) | instskip(NEXT) | instid1(VALU_DEP_1)
	v_mul_f32_e32 v33, v32, v31
	v_fma_f32 v35, -v1, v33, v32
	s_delay_alu instid0(VALU_DEP_1) | instskip(NEXT) | instid1(VALU_DEP_1)
	v_fmac_f32_e32 v33, v35, v31
	v_fma_f32 v1, -v1, v33, v32
	s_wait_alu 0xfffd
	s_delay_alu instid0(VALU_DEP_1) | instskip(NEXT) | instid1(VALU_DEP_1)
	v_div_fmas_f32 v1, v1, v31, v33
	v_div_fixup_f32 v1, v1, v2, 1.0
	s_delay_alu instid0(VALU_DEP_1) | instskip(SKIP_1) | instid1(VALU_DEP_2)
	v_mul_f32_e32 v30, v30, v1
	v_xor_b32_e32 v31, 0x80000000, v1
                                        ; implicit-def: $vgpr1_vgpr2
	v_xor_b32_e32 v32, 0x80000000, v30
.LBB12_15:
	s_wait_alu 0xfffe
	s_and_not1_saveexec_b32 s1, s1
	s_cbranch_execz .LBB12_17
; %bb.16:
	v_div_scale_f32 v30, null, v1, v1, v2
	v_div_scale_f32 v33, vcc_lo, v2, v1, v2
	s_delay_alu instid0(VALU_DEP_2) | instskip(NEXT) | instid1(TRANS32_DEP_1)
	v_rcp_f32_e32 v31, v30
	v_fma_f32 v32, -v30, v31, 1.0
	s_delay_alu instid0(VALU_DEP_1) | instskip(NEXT) | instid1(VALU_DEP_1)
	v_fmac_f32_e32 v31, v32, v31
	v_mul_f32_e32 v32, v33, v31
	s_delay_alu instid0(VALU_DEP_1) | instskip(NEXT) | instid1(VALU_DEP_1)
	v_fma_f32 v35, -v30, v32, v33
	v_fmac_f32_e32 v32, v35, v31
	s_delay_alu instid0(VALU_DEP_1) | instskip(SKIP_1) | instid1(VALU_DEP_1)
	v_fma_f32 v30, -v30, v32, v33
	s_wait_alu 0xfffd
	v_div_fmas_f32 v30, v30, v31, v32
	s_delay_alu instid0(VALU_DEP_1) | instskip(NEXT) | instid1(VALU_DEP_1)
	v_div_fixup_f32 v31, v30, v1, v2
	v_fmac_f32_e32 v1, v2, v31
	s_delay_alu instid0(VALU_DEP_1) | instskip(NEXT) | instid1(VALU_DEP_1)
	v_div_scale_f32 v2, null, v1, v1, 1.0
	v_rcp_f32_e32 v30, v2
	s_delay_alu instid0(TRANS32_DEP_1) | instskip(NEXT) | instid1(VALU_DEP_1)
	v_fma_f32 v32, -v2, v30, 1.0
	v_fmac_f32_e32 v30, v32, v30
	v_div_scale_f32 v33, vcc_lo, 1.0, v1, 1.0
	s_delay_alu instid0(VALU_DEP_1) | instskip(NEXT) | instid1(VALU_DEP_1)
	v_mul_f32_e32 v32, v33, v30
	v_fma_f32 v35, -v2, v32, v33
	s_delay_alu instid0(VALU_DEP_1) | instskip(NEXT) | instid1(VALU_DEP_1)
	v_fmac_f32_e32 v32, v35, v30
	v_fma_f32 v2, -v2, v32, v33
	s_wait_alu 0xfffd
	s_delay_alu instid0(VALU_DEP_1) | instskip(NEXT) | instid1(VALU_DEP_1)
	v_div_fmas_f32 v2, v2, v30, v32
	v_div_fixup_f32 v30, v2, v1, 1.0
	s_delay_alu instid0(VALU_DEP_1)
	v_xor_b32_e32 v32, 0x80000000, v30
	v_mul_f32_e64 v31, v31, -v30
.LBB12_17:
	s_wait_alu 0xfffe
	s_or_b32 exec_lo, exec_lo, s1
	scratch_store_b64 v34, v[30:31], off
	scratch_load_b64 v[35:36], off, off offset:8
	v_xor_b32_e32 v33, 0x80000000, v31
	v_add_nc_u32_e32 v1, 0x70, v3
	s_wait_loadcnt 0x0
	ds_store_2addr_b64 v3, v[32:33], v[35:36] offset1:14
	s_wait_storecnt_dscnt 0x0
	s_barrier_signal -1
	s_barrier_wait -1
	global_inv scope:SCOPE_SE
	s_and_saveexec_b32 s1, s0
	s_cbranch_execz .LBB12_19
; %bb.18:
	scratch_load_b64 v[30:31], v34, off
	ds_load_b64 v[32:33], v1
	v_mov_b32_e32 v2, 0
	ds_load_b64 v[35:36], v2 offset:8
	s_wait_loadcnt_dscnt 0x1
	v_mul_f32_e32 v2, v32, v31
	v_mul_f32_e32 v31, v33, v31
	s_delay_alu instid0(VALU_DEP_2) | instskip(NEXT) | instid1(VALU_DEP_2)
	v_fmac_f32_e32 v2, v33, v30
	v_fma_f32 v30, v32, v30, -v31
	s_delay_alu instid0(VALU_DEP_2) | instskip(NEXT) | instid1(VALU_DEP_2)
	v_add_f32_e32 v2, 0, v2
	v_add_f32_e32 v30, 0, v30
	s_wait_dscnt 0x0
	s_delay_alu instid0(VALU_DEP_2) | instskip(NEXT) | instid1(VALU_DEP_2)
	v_mul_f32_e32 v32, v2, v36
	v_mul_f32_e32 v31, v30, v36
	s_delay_alu instid0(VALU_DEP_1) | instskip(NEXT) | instid1(VALU_DEP_3)
	v_fmac_f32_e32 v31, v2, v35
	v_fma_f32 v30, v30, v35, -v32
	scratch_store_b64 off, v[30:31], off offset:8
.LBB12_19:
	s_wait_alu 0xfffe
	s_or_b32 exec_lo, exec_lo, s1
	s_wait_loadcnt 0x0
	s_wait_storecnt 0x0
	s_barrier_signal -1
	s_barrier_wait -1
	global_inv scope:SCOPE_SE
	scratch_load_b64 v[30:31], off, off offset:16
	s_mov_b32 s1, exec_lo
	s_wait_loadcnt 0x0
	ds_store_b64 v1, v[30:31]
	s_wait_dscnt 0x0
	s_barrier_signal -1
	s_barrier_wait -1
	global_inv scope:SCOPE_SE
	v_cmpx_gt_u32_e32 2, v0
	s_cbranch_execz .LBB12_23
; %bb.20:
	scratch_load_b64 v[30:31], v34, off
	ds_load_b64 v[32:33], v1
	s_wait_loadcnt_dscnt 0x0
	v_mul_f32_e32 v2, v33, v31
	s_delay_alu instid0(VALU_DEP_1) | instskip(SKIP_1) | instid1(VALU_DEP_1)
	v_fma_f32 v2, v32, v30, -v2
	v_mul_f32_e32 v31, v32, v31
	v_fmac_f32_e32 v31, v33, v30
	s_delay_alu instid0(VALU_DEP_3) | instskip(NEXT) | instid1(VALU_DEP_2)
	v_add_f32_e32 v30, 0, v2
	v_add_f32_e32 v2, 0, v31
	s_and_saveexec_b32 s4, s0
	s_cbranch_execz .LBB12_22
; %bb.21:
	scratch_load_b64 v[31:32], off, off offset:8
	v_mov_b32_e32 v33, 0
	ds_load_b64 v[35:36], v33 offset:120
	s_wait_loadcnt_dscnt 0x0
	v_mul_f32_e32 v33, v35, v32
	v_mul_f32_e32 v32, v36, v32
	s_delay_alu instid0(VALU_DEP_2) | instskip(NEXT) | instid1(VALU_DEP_2)
	v_fmac_f32_e32 v33, v36, v31
	v_fma_f32 v31, v35, v31, -v32
	s_delay_alu instid0(VALU_DEP_2) | instskip(NEXT) | instid1(VALU_DEP_2)
	v_add_f32_e32 v2, v2, v33
	v_add_f32_e32 v30, v30, v31
.LBB12_22:
	s_wait_alu 0xfffe
	s_or_b32 exec_lo, exec_lo, s4
	v_mov_b32_e32 v31, 0
	ds_load_b64 v[31:32], v31 offset:16
	s_wait_dscnt 0x0
	v_mul_f32_e32 v35, v2, v32
	v_mul_f32_e32 v33, v30, v32
	s_delay_alu instid0(VALU_DEP_2) | instskip(NEXT) | instid1(VALU_DEP_2)
	v_fma_f32 v32, v30, v31, -v35
	v_fmac_f32_e32 v33, v2, v31
	scratch_store_b64 off, v[32:33], off offset:16
.LBB12_23:
	s_wait_alu 0xfffe
	s_or_b32 exec_lo, exec_lo, s1
	s_wait_loadcnt 0x0
	s_wait_storecnt 0x0
	s_barrier_signal -1
	s_barrier_wait -1
	global_inv scope:SCOPE_SE
	scratch_load_b64 v[30:31], off, off offset:24
	v_add_nc_u32_e32 v2, -1, v0
	s_mov_b32 s0, exec_lo
	s_wait_loadcnt 0x0
	ds_store_b64 v1, v[30:31]
	s_wait_dscnt 0x0
	s_barrier_signal -1
	s_barrier_wait -1
	global_inv scope:SCOPE_SE
	v_cmpx_gt_u32_e32 3, v0
	s_cbranch_execz .LBB12_27
; %bb.24:
	v_dual_mov_b32 v30, 0 :: v_dual_add_nc_u32 v31, -1, v0
	v_dual_mov_b32 v33, v3 :: v_dual_add_nc_u32 v32, 0x70, v3
	v_mov_b32_e32 v35, 0
	s_mov_b32 s1, 0
.LBB12_25:                              ; =>This Inner Loop Header: Depth=1
	scratch_load_b64 v[36:37], v33, off
	ds_load_b64 v[38:39], v32
	v_add_nc_u32_e32 v33, 8, v33
	v_add_nc_u32_e32 v31, 1, v31
	v_add_nc_u32_e32 v32, 8, v32
	s_delay_alu instid0(VALU_DEP_2)
	v_cmp_lt_u32_e32 vcc_lo, 1, v31
	s_wait_alu 0xfffe
	s_or_b32 s1, vcc_lo, s1
	s_wait_loadcnt_dscnt 0x0
	v_mul_f32_e32 v40, v39, v37
	v_mul_f32_e32 v37, v38, v37
	s_delay_alu instid0(VALU_DEP_2) | instskip(NEXT) | instid1(VALU_DEP_2)
	v_fma_f32 v38, v38, v36, -v40
	v_fmac_f32_e32 v37, v39, v36
	s_delay_alu instid0(VALU_DEP_1)
	v_dual_add_f32 v35, v35, v38 :: v_dual_add_f32 v30, v30, v37
	s_wait_alu 0xfffe
	s_and_not1_b32 exec_lo, exec_lo, s1
	s_cbranch_execnz .LBB12_25
; %bb.26:
	s_or_b32 exec_lo, exec_lo, s1
	v_mov_b32_e32 v31, 0
	ds_load_b64 v[31:32], v31 offset:24
	s_wait_dscnt 0x0
	v_mul_f32_e32 v36, v30, v32
	v_mul_f32_e32 v33, v35, v32
	s_delay_alu instid0(VALU_DEP_2) | instskip(NEXT) | instid1(VALU_DEP_2)
	v_fma_f32 v32, v35, v31, -v36
	v_fmac_f32_e32 v33, v30, v31
	scratch_store_b64 off, v[32:33], off offset:24
.LBB12_27:
	s_wait_alu 0xfffe
	s_or_b32 exec_lo, exec_lo, s0
	s_wait_loadcnt 0x0
	s_wait_storecnt 0x0
	s_barrier_signal -1
	s_barrier_wait -1
	global_inv scope:SCOPE_SE
	scratch_load_b64 v[30:31], off, off offset:32
	s_mov_b32 s0, exec_lo
	s_wait_loadcnt 0x0
	ds_store_b64 v1, v[30:31]
	s_wait_dscnt 0x0
	s_barrier_signal -1
	s_barrier_wait -1
	global_inv scope:SCOPE_SE
	v_cmpx_gt_u32_e32 4, v0
	s_cbranch_execz .LBB12_31
; %bb.28:
	v_dual_mov_b32 v30, 0 :: v_dual_add_nc_u32 v31, -1, v0
	v_dual_mov_b32 v33, v3 :: v_dual_add_nc_u32 v32, 0x70, v3
	v_mov_b32_e32 v35, 0
	s_mov_b32 s1, 0
.LBB12_29:                              ; =>This Inner Loop Header: Depth=1
	scratch_load_b64 v[36:37], v33, off
	ds_load_b64 v[38:39], v32
	v_add_nc_u32_e32 v33, 8, v33
	v_add_nc_u32_e32 v31, 1, v31
	v_add_nc_u32_e32 v32, 8, v32
	s_delay_alu instid0(VALU_DEP_2)
	v_cmp_lt_u32_e32 vcc_lo, 2, v31
	s_wait_alu 0xfffe
	s_or_b32 s1, vcc_lo, s1
	s_wait_loadcnt_dscnt 0x0
	v_mul_f32_e32 v40, v39, v37
	v_mul_f32_e32 v37, v38, v37
	s_delay_alu instid0(VALU_DEP_2) | instskip(NEXT) | instid1(VALU_DEP_2)
	v_fma_f32 v38, v38, v36, -v40
	v_fmac_f32_e32 v37, v39, v36
	s_delay_alu instid0(VALU_DEP_1)
	v_dual_add_f32 v35, v35, v38 :: v_dual_add_f32 v30, v30, v37
	s_wait_alu 0xfffe
	s_and_not1_b32 exec_lo, exec_lo, s1
	s_cbranch_execnz .LBB12_29
; %bb.30:
	s_or_b32 exec_lo, exec_lo, s1
	v_mov_b32_e32 v31, 0
	ds_load_b64 v[31:32], v31 offset:32
	s_wait_dscnt 0x0
	v_mul_f32_e32 v36, v30, v32
	v_mul_f32_e32 v33, v35, v32
	s_delay_alu instid0(VALU_DEP_2) | instskip(NEXT) | instid1(VALU_DEP_2)
	v_fma_f32 v32, v35, v31, -v36
	v_fmac_f32_e32 v33, v30, v31
	scratch_store_b64 off, v[32:33], off offset:32
.LBB12_31:
	s_wait_alu 0xfffe
	s_or_b32 exec_lo, exec_lo, s0
	s_wait_loadcnt 0x0
	s_wait_storecnt 0x0
	s_barrier_signal -1
	s_barrier_wait -1
	global_inv scope:SCOPE_SE
	scratch_load_b64 v[30:31], off, off offset:40
	;; [unrolled: 55-line block ×8, first 2 shown]
	s_mov_b32 s0, exec_lo
	s_wait_loadcnt 0x0
	ds_store_b64 v1, v[30:31]
	s_wait_dscnt 0x0
	s_barrier_signal -1
	s_barrier_wait -1
	global_inv scope:SCOPE_SE
	v_cmpx_gt_u32_e32 11, v0
	s_cbranch_execz .LBB12_59
; %bb.56:
	v_add_nc_u32_e32 v30, -1, v0
	v_dual_mov_b32 v32, v3 :: v_dual_add_nc_u32 v31, 0x70, v3
	v_mov_b32_e32 v3, 0
	v_mov_b32_e32 v33, 0
	s_mov_b32 s1, 0
.LBB12_57:                              ; =>This Inner Loop Header: Depth=1
	scratch_load_b64 v[35:36], v32, off
	ds_load_b64 v[37:38], v31
	v_add_nc_u32_e32 v32, 8, v32
	v_add_nc_u32_e32 v30, 1, v30
	;; [unrolled: 1-line block ×3, first 2 shown]
	s_delay_alu instid0(VALU_DEP_2)
	v_cmp_lt_u32_e32 vcc_lo, 9, v30
	s_wait_alu 0xfffe
	s_or_b32 s1, vcc_lo, s1
	s_wait_loadcnt_dscnt 0x0
	v_mul_f32_e32 v39, v38, v36
	v_mul_f32_e32 v36, v37, v36
	s_delay_alu instid0(VALU_DEP_2) | instskip(NEXT) | instid1(VALU_DEP_1)
	v_fma_f32 v37, v37, v35, -v39
	v_dual_fmac_f32 v36, v38, v35 :: v_dual_add_f32 v33, v33, v37
	s_delay_alu instid0(VALU_DEP_1)
	v_add_f32_e32 v3, v3, v36
	s_wait_alu 0xfffe
	s_and_not1_b32 exec_lo, exec_lo, s1
	s_cbranch_execnz .LBB12_57
; %bb.58:
	s_or_b32 exec_lo, exec_lo, s1
	v_mov_b32_e32 v30, 0
	ds_load_b64 v[30:31], v30 offset:88
	s_wait_dscnt 0x0
	v_mul_f32_e32 v35, v3, v31
	v_mul_f32_e32 v32, v33, v31
	s_delay_alu instid0(VALU_DEP_2) | instskip(NEXT) | instid1(VALU_DEP_2)
	v_fma_f32 v31, v33, v30, -v35
	v_fmac_f32_e32 v32, v3, v30
	scratch_store_b64 off, v[31:32], off offset:88
.LBB12_59:
	s_wait_alu 0xfffe
	s_or_b32 exec_lo, exec_lo, s0
	s_wait_loadcnt 0x0
	s_wait_storecnt 0x0
	s_barrier_signal -1
	s_barrier_wait -1
	global_inv scope:SCOPE_SE
	scratch_load_b64 v[30:31], off, off offset:96
	s_mov_b32 s0, exec_lo
	s_wait_loadcnt 0x0
	ds_store_b64 v1, v[30:31]
	s_wait_dscnt 0x0
	s_barrier_signal -1
	s_barrier_wait -1
	global_inv scope:SCOPE_SE
	v_cmpx_ne_u32_e32 12, v0
	s_cbranch_execz .LBB12_63
; %bb.60:
	v_dual_mov_b32 v3, 0 :: v_dual_mov_b32 v30, 0
	s_mov_b32 s1, 0
.LBB12_61:                              ; =>This Inner Loop Header: Depth=1
	scratch_load_b64 v[31:32], v34, off
	ds_load_b64 v[35:36], v1
	v_add_nc_u32_e32 v2, 1, v2
	v_add_nc_u32_e32 v1, 8, v1
	s_delay_alu instid0(VALU_DEP_2)
	v_cmp_lt_u32_e32 vcc_lo, 10, v2
	s_wait_alu 0xfffe
	s_or_b32 s1, vcc_lo, s1
	s_wait_loadcnt_dscnt 0x0
	v_mul_f32_e32 v33, v36, v32
	v_mul_f32_e32 v32, v35, v32
	s_delay_alu instid0(VALU_DEP_2) | instskip(NEXT) | instid1(VALU_DEP_2)
	v_fma_f32 v33, v35, v31, -v33
	v_fmac_f32_e32 v32, v36, v31
	v_add_nc_u32_e32 v34, 8, v34
	s_delay_alu instid0(VALU_DEP_2)
	v_dual_add_f32 v30, v30, v33 :: v_dual_add_f32 v3, v3, v32
	s_wait_alu 0xfffe
	s_and_not1_b32 exec_lo, exec_lo, s1
	s_cbranch_execnz .LBB12_61
; %bb.62:
	s_or_b32 exec_lo, exec_lo, s1
	v_mov_b32_e32 v1, 0
	ds_load_b64 v[1:2], v1 offset:96
	s_wait_dscnt 0x0
	v_mul_f32_e32 v32, v3, v2
	v_mul_f32_e32 v31, v30, v2
	s_delay_alu instid0(VALU_DEP_2) | instskip(NEXT) | instid1(VALU_DEP_2)
	v_fma_f32 v30, v30, v1, -v32
	v_fmac_f32_e32 v31, v3, v1
	scratch_store_b64 off, v[30:31], off offset:96
.LBB12_63:
	s_wait_alu 0xfffe
	s_or_b32 exec_lo, exec_lo, s0
	s_mov_b32 s1, -1
	s_wait_loadcnt 0x0
	s_wait_storecnt 0x0
	s_barrier_signal -1
	s_barrier_wait -1
	global_inv scope:SCOPE_SE
.LBB12_64:
	s_wait_alu 0xfffe
	s_and_b32 vcc_lo, exec_lo, s1
	s_wait_alu 0xfffe
	s_cbranch_vccz .LBB12_66
; %bb.65:
	v_mov_b32_e32 v1, 0
	s_lshl_b64 s[0:1], s[16:17], 2
	s_wait_alu 0xfffe
	s_add_nc_u64 s[0:1], s[6:7], s[0:1]
	global_load_b32 v1, v1, s[0:1]
	s_wait_loadcnt 0x0
	v_cmp_ne_u32_e32 vcc_lo, 0, v1
	s_cbranch_vccz .LBB12_67
.LBB12_66:
	s_endpgm
.LBB12_67:
	v_lshl_add_u32 v3, v0, 3, 0x70
	s_mov_b32 s0, exec_lo
	v_cmpx_eq_u32_e32 12, v0
	s_cbranch_execz .LBB12_69
; %bb.68:
	scratch_load_b64 v[1:2], off, off offset:88
	v_mov_b32_e32 v30, 0
	s_delay_alu instid0(VALU_DEP_1)
	v_mov_b32_e32 v31, v30
	scratch_store_b64 off, v[30:31], off offset:88
	s_wait_loadcnt 0x0
	ds_store_b64 v3, v[1:2]
.LBB12_69:
	s_wait_alu 0xfffe
	s_or_b32 exec_lo, exec_lo, s0
	s_wait_storecnt_dscnt 0x0
	s_barrier_signal -1
	s_barrier_wait -1
	global_inv scope:SCOPE_SE
	s_clause 0x1
	scratch_load_b64 v[30:31], off, off offset:96
	scratch_load_b64 v[32:33], off, off offset:88
	v_mov_b32_e32 v1, 0
	s_mov_b32 s0, exec_lo
	ds_load_b64 v[34:35], v1 offset:208
	s_wait_loadcnt_dscnt 0x100
	v_mul_f32_e32 v2, v35, v31
	s_delay_alu instid0(VALU_DEP_1) | instskip(NEXT) | instid1(VALU_DEP_1)
	v_fma_f32 v2, v34, v30, -v2
	v_dual_mul_f32 v31, v34, v31 :: v_dual_add_f32 v2, 0, v2
	s_delay_alu instid0(VALU_DEP_1) | instskip(SKIP_1) | instid1(VALU_DEP_1)
	v_fmac_f32_e32 v31, v35, v30
	s_wait_loadcnt 0x0
	v_dual_sub_f32 v30, v32, v2 :: v_dual_add_f32 v31, 0, v31
	s_delay_alu instid0(VALU_DEP_1)
	v_sub_f32_e32 v31, v33, v31
	scratch_store_b64 off, v[30:31], off offset:88
	v_cmpx_lt_u32_e32 10, v0
	s_cbranch_execz .LBB12_71
; %bb.70:
	scratch_load_b64 v[30:31], off, off offset:80
	v_mov_b32_e32 v2, v1
	scratch_store_b64 off, v[1:2], off offset:80
	s_wait_loadcnt 0x0
	ds_store_b64 v3, v[30:31]
.LBB12_71:
	s_wait_alu 0xfffe
	s_or_b32 exec_lo, exec_lo, s0
	s_wait_storecnt_dscnt 0x0
	s_barrier_signal -1
	s_barrier_wait -1
	global_inv scope:SCOPE_SE
	s_clause 0x1
	scratch_load_b128 v[30:33], off, off offset:88
	scratch_load_b64 v[38:39], off, off offset:80
	ds_load_2addr_b64 v[34:37], v1 offset0:25 offset1:26
	s_mov_b32 s0, exec_lo
	s_wait_loadcnt_dscnt 0x100
	v_mul_f32_e32 v2, v34, v31
	s_delay_alu instid0(VALU_DEP_1) | instskip(SKIP_2) | instid1(VALU_DEP_1)
	v_fmac_f32_e32 v2, v35, v30
	v_mul_f32_e32 v1, v35, v31
	v_mul_f32_e32 v31, v36, v33
	v_dual_fmac_f32 v31, v37, v32 :: v_dual_add_f32 v2, 0, v2
	v_mul_f32_e32 v33, v37, v33
	s_delay_alu instid0(VALU_DEP_4) | instskip(NEXT) | instid1(VALU_DEP_3)
	v_fma_f32 v1, v34, v30, -v1
	v_add_f32_e32 v2, v2, v31
	s_delay_alu instid0(VALU_DEP_3) | instskip(SKIP_1) | instid1(VALU_DEP_2)
	v_fma_f32 v30, v36, v32, -v33
	s_wait_loadcnt 0x0
	v_dual_add_f32 v1, 0, v1 :: v_dual_sub_f32 v2, v39, v2
	s_delay_alu instid0(VALU_DEP_1) | instskip(NEXT) | instid1(VALU_DEP_1)
	v_add_f32_e32 v1, v1, v30
	v_sub_f32_e32 v1, v38, v1
	scratch_store_b64 off, v[1:2], off offset:80
	v_cmpx_lt_u32_e32 9, v0
	s_cbranch_execz .LBB12_73
; %bb.72:
	scratch_load_b64 v[1:2], off, off offset:72
	v_mov_b32_e32 v30, 0
	s_delay_alu instid0(VALU_DEP_1)
	v_mov_b32_e32 v31, v30
	scratch_store_b64 off, v[30:31], off offset:72
	s_wait_loadcnt 0x0
	ds_store_b64 v3, v[1:2]
.LBB12_73:
	s_wait_alu 0xfffe
	s_or_b32 exec_lo, exec_lo, s0
	s_wait_storecnt_dscnt 0x0
	s_barrier_signal -1
	s_barrier_wait -1
	global_inv scope:SCOPE_SE
	s_clause 0x2
	scratch_load_b128 v[30:33], off, off offset:80
	scratch_load_b64 v[38:39], off, off offset:96
	scratch_load_b64 v[40:41], off, off offset:72
	v_mov_b32_e32 v1, 0
	ds_load_b128 v[34:37], v1 offset:192
	ds_load_b64 v[42:43], v1 offset:208
	s_mov_b32 s0, exec_lo
	s_wait_loadcnt_dscnt 0x201
	v_mul_f32_e32 v2, v35, v31
	v_dual_mul_f32 v31, v34, v31 :: v_dual_mul_f32 v44, v36, v33
	v_mul_f32_e32 v33, v37, v33
	s_wait_loadcnt_dscnt 0x100
	v_mul_f32_e32 v45, v42, v39
	v_fma_f32 v2, v34, v30, -v2
	s_delay_alu instid0(VALU_DEP_2) | instskip(NEXT) | instid1(VALU_DEP_2)
	v_dual_fmac_f32 v44, v37, v32 :: v_dual_fmac_f32 v45, v43, v38
	v_add_f32_e32 v2, 0, v2
	v_fmac_f32_e32 v31, v35, v30
	v_mul_f32_e32 v30, v43, v39
	v_fma_f32 v32, v36, v32, -v33
	s_delay_alu instid0(VALU_DEP_2) | instskip(NEXT) | instid1(VALU_DEP_2)
	v_fma_f32 v30, v42, v38, -v30
	v_dual_add_f32 v2, v2, v32 :: v_dual_add_f32 v31, 0, v31
	s_delay_alu instid0(VALU_DEP_1) | instskip(SKIP_1) | instid1(VALU_DEP_1)
	v_dual_add_f32 v2, v2, v30 :: v_dual_add_f32 v31, v31, v44
	s_wait_loadcnt 0x0
	v_dual_sub_f32 v30, v40, v2 :: v_dual_add_f32 v31, v31, v45
	s_delay_alu instid0(VALU_DEP_1)
	v_sub_f32_e32 v31, v41, v31
	scratch_store_b64 off, v[30:31], off offset:72
	v_cmpx_lt_u32_e32 8, v0
	s_cbranch_execz .LBB12_75
; %bb.74:
	scratch_load_b64 v[30:31], off, off offset:64
	v_mov_b32_e32 v2, v1
	scratch_store_b64 off, v[1:2], off offset:64
	s_wait_loadcnt 0x0
	ds_store_b64 v3, v[30:31]
.LBB12_75:
	s_wait_alu 0xfffe
	s_or_b32 exec_lo, exec_lo, s0
	s_wait_storecnt_dscnt 0x0
	s_barrier_signal -1
	s_barrier_wait -1
	global_inv scope:SCOPE_SE
	s_clause 0x2
	scratch_load_b128 v[30:33], off, off offset:72
	scratch_load_b128 v[34:37], off, off offset:88
	scratch_load_b64 v[46:47], off, off offset:64
	ds_load_2addr_b64 v[38:41], v1 offset0:23 offset1:24
	ds_load_2addr_b64 v[42:45], v1 offset0:25 offset1:26
	s_mov_b32 s0, exec_lo
	s_wait_loadcnt_dscnt 0x201
	v_mul_f32_e32 v2, v39, v31
	s_wait_loadcnt_dscnt 0x100
	v_dual_mul_f32 v48, v42, v35 :: v_dual_mul_f32 v49, v44, v37
	s_delay_alu instid0(VALU_DEP_2) | instskip(SKIP_2) | instid1(VALU_DEP_4)
	v_fma_f32 v2, v38, v30, -v2
	v_mul_f32_e32 v1, v38, v31
	v_mul_f32_e32 v31, v40, v33
	v_dual_mul_f32 v33, v41, v33 :: v_dual_fmac_f32 v48, v43, v34
	s_delay_alu instid0(VALU_DEP_4) | instskip(NEXT) | instid1(VALU_DEP_4)
	v_add_f32_e32 v2, 0, v2
	v_fmac_f32_e32 v1, v39, v30
	s_delay_alu instid0(VALU_DEP_4) | instskip(NEXT) | instid1(VALU_DEP_4)
	v_dual_mul_f32 v30, v43, v35 :: v_dual_fmac_f32 v31, v41, v32
	v_fma_f32 v32, v40, v32, -v33
	v_fmac_f32_e32 v49, v45, v36
	s_delay_alu instid0(VALU_DEP_3) | instskip(NEXT) | instid1(VALU_DEP_3)
	v_fma_f32 v30, v42, v34, -v30
	v_dual_add_f32 v2, v2, v32 :: v_dual_add_f32 v1, 0, v1
	s_delay_alu instid0(VALU_DEP_1) | instskip(NEXT) | instid1(VALU_DEP_2)
	v_dual_add_f32 v2, v2, v30 :: v_dual_mul_f32 v33, v45, v37
	v_add_f32_e32 v1, v1, v31
	s_delay_alu instid0(VALU_DEP_2) | instskip(NEXT) | instid1(VALU_DEP_1)
	v_fma_f32 v31, v44, v36, -v33
	v_dual_add_f32 v1, v1, v48 :: v_dual_add_f32 v2, v2, v31
	s_wait_loadcnt 0x0
	s_delay_alu instid0(VALU_DEP_1) | instskip(NEXT) | instid1(VALU_DEP_1)
	v_dual_add_f32 v30, v1, v49 :: v_dual_sub_f32 v1, v46, v2
	v_sub_f32_e32 v2, v47, v30
	scratch_store_b64 off, v[1:2], off offset:64
	v_cmpx_lt_u32_e32 7, v0
	s_cbranch_execz .LBB12_77
; %bb.76:
	scratch_load_b64 v[1:2], off, off offset:56
	v_mov_b32_e32 v30, 0
	s_delay_alu instid0(VALU_DEP_1)
	v_mov_b32_e32 v31, v30
	scratch_store_b64 off, v[30:31], off offset:56
	s_wait_loadcnt 0x0
	ds_store_b64 v3, v[1:2]
.LBB12_77:
	s_wait_alu 0xfffe
	s_or_b32 exec_lo, exec_lo, s0
	s_wait_storecnt_dscnt 0x0
	s_barrier_signal -1
	s_barrier_wait -1
	global_inv scope:SCOPE_SE
	s_clause 0x3
	scratch_load_b128 v[30:33], off, off offset:64
	scratch_load_b128 v[34:37], off, off offset:80
	scratch_load_b64 v[46:47], off, off offset:96
	scratch_load_b64 v[48:49], off, off offset:56
	v_mov_b32_e32 v1, 0
	ds_load_b128 v[38:41], v1 offset:176
	ds_load_b128 v[42:45], v1 offset:192
	ds_load_b64 v[50:51], v1 offset:208
	s_mov_b32 s0, exec_lo
	s_wait_loadcnt_dscnt 0x302
	v_mul_f32_e32 v2, v38, v31
	v_dual_mul_f32 v52, v40, v33 :: v_dual_mul_f32 v31, v39, v31
	s_wait_loadcnt_dscnt 0x100
	v_mul_f32_e32 v55, v50, v47
	v_dual_mul_f32 v53, v42, v35 :: v_dual_mul_f32 v54, v44, v37
	v_dual_fmac_f32 v2, v39, v30 :: v_dual_mul_f32 v33, v41, v33
	v_fma_f32 v31, v38, v30, -v31
	v_fmac_f32_e32 v52, v41, v32
	v_mul_f32_e32 v30, v43, v35
	s_delay_alu instid0(VALU_DEP_4) | instskip(SKIP_3) | instid1(VALU_DEP_4)
	v_add_f32_e32 v2, 0, v2
	v_fma_f32 v32, v40, v32, -v33
	v_add_f32_e32 v31, 0, v31
	v_mul_f32_e32 v33, v45, v37
	v_dual_fmac_f32 v53, v43, v34 :: v_dual_add_f32 v2, v2, v52
	v_dual_fmac_f32 v54, v45, v36 :: v_dual_fmac_f32 v55, v51, v46
	s_delay_alu instid0(VALU_DEP_4) | instskip(SKIP_1) | instid1(VALU_DEP_4)
	v_add_f32_e32 v31, v31, v32
	v_fma_f32 v30, v42, v34, -v30
	v_add_f32_e32 v2, v2, v53
	v_fma_f32 v33, v44, v36, -v33
	s_delay_alu instid0(VALU_DEP_3) | instskip(NEXT) | instid1(VALU_DEP_3)
	v_add_f32_e32 v30, v31, v30
	v_add_f32_e32 v2, v2, v54
	s_delay_alu instid0(VALU_DEP_2) | instskip(NEXT) | instid1(VALU_DEP_2)
	v_add_f32_e32 v30, v30, v33
	v_add_f32_e32 v2, v2, v55
	v_mul_f32_e32 v32, v51, v47
	s_delay_alu instid0(VALU_DEP_1) | instskip(SKIP_1) | instid1(VALU_DEP_1)
	v_fma_f32 v31, v50, v46, -v32
	s_wait_loadcnt 0x0
	v_dual_add_f32 v30, v30, v31 :: v_dual_sub_f32 v31, v49, v2
	s_delay_alu instid0(VALU_DEP_1)
	v_sub_f32_e32 v30, v48, v30
	scratch_store_b64 off, v[30:31], off offset:56
	v_cmpx_lt_u32_e32 6, v0
	s_cbranch_execz .LBB12_79
; %bb.78:
	scratch_load_b64 v[30:31], off, off offset:48
	v_mov_b32_e32 v2, v1
	scratch_store_b64 off, v[1:2], off offset:48
	s_wait_loadcnt 0x0
	ds_store_b64 v3, v[30:31]
.LBB12_79:
	s_wait_alu 0xfffe
	s_or_b32 exec_lo, exec_lo, s0
	s_wait_storecnt_dscnt 0x0
	s_barrier_signal -1
	s_barrier_wait -1
	global_inv scope:SCOPE_SE
	s_clause 0x3
	scratch_load_b128 v[30:33], off, off offset:56
	scratch_load_b128 v[34:37], off, off offset:72
	;; [unrolled: 1-line block ×3, first 2 shown]
	scratch_load_b64 v[54:55], off, off offset:48
	ds_load_2addr_b64 v[42:45], v1 offset0:21 offset1:22
	ds_load_2addr_b64 v[46:49], v1 offset0:23 offset1:24
	;; [unrolled: 1-line block ×3, first 2 shown]
	s_mov_b32 s0, exec_lo
	s_wait_loadcnt_dscnt 0x302
	v_dual_mul_f32 v1, v42, v31 :: v_dual_mul_f32 v2, v44, v33
	v_mul_f32_e32 v31, v43, v31
	s_wait_loadcnt_dscnt 0x201
	v_dual_mul_f32 v33, v45, v33 :: v_dual_mul_f32 v56, v46, v35
	s_delay_alu instid0(VALU_DEP_3) | instskip(NEXT) | instid1(VALU_DEP_3)
	v_dual_mul_f32 v57, v48, v37 :: v_dual_fmac_f32 v2, v45, v32
	v_fma_f32 v31, v42, v30, -v31
	v_fmac_f32_e32 v1, v43, v30
	v_mul_f32_e32 v30, v47, v35
	v_fma_f32 v32, v44, v32, -v33
	s_delay_alu instid0(VALU_DEP_4)
	v_dual_fmac_f32 v56, v47, v34 :: v_dual_add_f32 v31, 0, v31
	s_wait_loadcnt_dscnt 0x100
	v_dual_mul_f32 v58, v50, v39 :: v_dual_mul_f32 v59, v52, v41
	v_fma_f32 v30, v46, v34, -v30
	v_fmac_f32_e32 v57, v49, v36
	v_add_f32_e32 v31, v31, v32
	s_delay_alu instid0(VALU_DEP_4) | instskip(NEXT) | instid1(VALU_DEP_2)
	v_dual_mul_f32 v33, v49, v37 :: v_dual_fmac_f32 v58, v51, v38
	v_dual_fmac_f32 v59, v53, v40 :: v_dual_add_f32 v30, v31, v30
	s_delay_alu instid0(VALU_DEP_2) | instskip(NEXT) | instid1(VALU_DEP_1)
	v_fma_f32 v32, v48, v36, -v33
	v_dual_mul_f32 v31, v53, v41 :: v_dual_add_f32 v30, v30, v32
	v_add_f32_e32 v1, 0, v1
	s_delay_alu instid0(VALU_DEP_2) | instskip(NEXT) | instid1(VALU_DEP_2)
	v_fma_f32 v31, v52, v40, -v31
	v_dual_add_f32 v1, v1, v2 :: v_dual_mul_f32 v2, v51, v39
	s_delay_alu instid0(VALU_DEP_1) | instskip(NEXT) | instid1(VALU_DEP_1)
	v_fma_f32 v2, v50, v38, -v2
	v_add_f32_e32 v2, v30, v2
	s_delay_alu instid0(VALU_DEP_1) | instskip(NEXT) | instid1(VALU_DEP_1)
	v_dual_add_f32 v2, v2, v31 :: v_dual_add_f32 v1, v1, v56
	v_add_f32_e32 v1, v1, v57
	s_delay_alu instid0(VALU_DEP_1) | instskip(SKIP_1) | instid1(VALU_DEP_1)
	v_add_f32_e32 v1, v1, v58
	s_wait_loadcnt 0x0
	v_dual_add_f32 v30, v1, v59 :: v_dual_sub_f32 v1, v54, v2
	s_delay_alu instid0(VALU_DEP_1)
	v_sub_f32_e32 v2, v55, v30
	scratch_store_b64 off, v[1:2], off offset:48
	v_cmpx_lt_u32_e32 5, v0
	s_cbranch_execz .LBB12_81
; %bb.80:
	scratch_load_b64 v[1:2], off, off offset:40
	v_mov_b32_e32 v30, 0
	s_delay_alu instid0(VALU_DEP_1)
	v_mov_b32_e32 v31, v30
	scratch_store_b64 off, v[30:31], off offset:40
	s_wait_loadcnt 0x0
	ds_store_b64 v3, v[1:2]
.LBB12_81:
	s_wait_alu 0xfffe
	s_or_b32 exec_lo, exec_lo, s0
	s_wait_storecnt_dscnt 0x0
	s_barrier_signal -1
	s_barrier_wait -1
	global_inv scope:SCOPE_SE
	s_clause 0x4
	scratch_load_b128 v[30:33], off, off offset:48
	scratch_load_b128 v[34:37], off, off offset:64
	;; [unrolled: 1-line block ×3, first 2 shown]
	scratch_load_b64 v[54:55], off, off offset:96
	scratch_load_b64 v[56:57], off, off offset:40
	v_mov_b32_e32 v1, 0
	ds_load_b128 v[42:45], v1 offset:160
	ds_load_b128 v[46:49], v1 offset:176
	;; [unrolled: 1-line block ×3, first 2 shown]
	ds_load_b64 v[58:59], v1 offset:208
	s_mov_b32 s0, exec_lo
	s_wait_loadcnt_dscnt 0x403
	v_mul_f32_e32 v2, v42, v31
	s_wait_loadcnt_dscnt 0x302
	v_dual_mul_f32 v60, v44, v33 :: v_dual_mul_f32 v61, v46, v35
	v_dual_mul_f32 v62, v48, v37 :: v_dual_mul_f32 v31, v43, v31
	s_wait_loadcnt_dscnt 0x100
	v_dual_mul_f32 v65, v58, v55 :: v_dual_fmac_f32 v2, v43, v30
	v_mul_f32_e32 v33, v45, v33
	v_dual_mul_f32 v63, v50, v39 :: v_dual_mul_f32 v64, v52, v41
	v_fma_f32 v31, v42, v30, -v31
	v_fmac_f32_e32 v60, v45, v32
	v_add_f32_e32 v2, 0, v2
	v_mul_f32_e32 v30, v47, v35
	v_fma_f32 v32, v44, v32, -v33
	v_add_f32_e32 v31, 0, v31
	v_mul_f32_e32 v33, v49, v37
	v_dual_fmac_f32 v61, v47, v34 :: v_dual_add_f32 v2, v2, v60
	v_dual_fmac_f32 v62, v49, v36 :: v_dual_fmac_f32 v63, v51, v38
	s_delay_alu instid0(VALU_DEP_4) | instskip(SKIP_1) | instid1(VALU_DEP_4)
	v_add_f32_e32 v31, v31, v32
	v_fma_f32 v30, v46, v34, -v30
	v_add_f32_e32 v2, v2, v61
	v_mul_f32_e32 v32, v51, v39
	v_fma_f32 v33, v48, v36, -v33
	v_dual_fmac_f32 v64, v53, v40 :: v_dual_fmac_f32 v65, v59, v54
	s_delay_alu instid0(VALU_DEP_4) | instskip(SKIP_2) | instid1(VALU_DEP_3)
	v_add_f32_e32 v2, v2, v62
	v_dual_add_f32 v30, v31, v30 :: v_dual_mul_f32 v31, v53, v41
	v_fma_f32 v32, v50, v38, -v32
	v_add_f32_e32 v2, v2, v63
	s_delay_alu instid0(VALU_DEP_3) | instskip(NEXT) | instid1(VALU_DEP_4)
	v_dual_add_f32 v30, v30, v33 :: v_dual_mul_f32 v33, v59, v55
	v_fma_f32 v31, v52, v40, -v31
	s_delay_alu instid0(VALU_DEP_3) | instskip(NEXT) | instid1(VALU_DEP_1)
	v_add_f32_e32 v2, v2, v64
	v_add_f32_e32 v2, v2, v65
	s_delay_alu instid0(VALU_DEP_4) | instskip(SKIP_2) | instid1(VALU_DEP_2)
	v_add_f32_e32 v30, v30, v32
	v_fma_f32 v32, v58, v54, -v33
	s_wait_loadcnt 0x0
	v_dual_add_f32 v30, v30, v31 :: v_dual_sub_f32 v31, v57, v2
	s_delay_alu instid0(VALU_DEP_1) | instskip(NEXT) | instid1(VALU_DEP_1)
	v_add_f32_e32 v30, v30, v32
	v_sub_f32_e32 v30, v56, v30
	scratch_store_b64 off, v[30:31], off offset:40
	v_cmpx_lt_u32_e32 4, v0
	s_cbranch_execz .LBB12_83
; %bb.82:
	scratch_load_b64 v[30:31], off, off offset:32
	v_mov_b32_e32 v2, v1
	scratch_store_b64 off, v[1:2], off offset:32
	s_wait_loadcnt 0x0
	ds_store_b64 v3, v[30:31]
.LBB12_83:
	s_wait_alu 0xfffe
	s_or_b32 exec_lo, exec_lo, s0
	s_wait_storecnt_dscnt 0x0
	s_barrier_signal -1
	s_barrier_wait -1
	global_inv scope:SCOPE_SE
	s_clause 0x4
	scratch_load_b128 v[30:33], off, off offset:40
	scratch_load_b128 v[34:37], off, off offset:56
	;; [unrolled: 1-line block ×4, first 2 shown]
	scratch_load_b64 v[62:63], off, off offset:32
	ds_load_2addr_b64 v[46:49], v1 offset0:19 offset1:20
	ds_load_2addr_b64 v[50:53], v1 offset0:21 offset1:22
	;; [unrolled: 1-line block ×4, first 2 shown]
	s_mov_b32 s0, exec_lo
	s_wait_loadcnt_dscnt 0x403
	v_dual_mul_f32 v1, v46, v31 :: v_dual_mul_f32 v2, v48, v33
	v_mul_f32_e32 v31, v47, v31
	s_wait_loadcnt_dscnt 0x302
	v_dual_mul_f32 v33, v49, v33 :: v_dual_mul_f32 v64, v50, v35
	s_delay_alu instid0(VALU_DEP_3) | instskip(NEXT) | instid1(VALU_DEP_3)
	v_dual_mul_f32 v65, v52, v37 :: v_dual_fmac_f32 v2, v49, v32
	v_fma_f32 v31, v46, v30, -v31
	v_fmac_f32_e32 v1, v47, v30
	v_mul_f32_e32 v30, v51, v35
	v_fma_f32 v32, v48, v32, -v33
	s_delay_alu instid0(VALU_DEP_4)
	v_dual_fmac_f32 v64, v51, v34 :: v_dual_add_f32 v31, 0, v31
	s_wait_loadcnt_dscnt 0x201
	v_dual_mul_f32 v66, v54, v39 :: v_dual_mul_f32 v67, v56, v41
	v_fma_f32 v30, v50, v34, -v30
	s_wait_loadcnt_dscnt 0x100
	v_dual_mul_f32 v68, v58, v43 :: v_dual_mul_f32 v69, v60, v45
	v_add_f32_e32 v31, v31, v32
	v_mul_f32_e32 v33, v53, v37
	v_dual_fmac_f32 v65, v53, v36 :: v_dual_fmac_f32 v66, v55, v38
	s_delay_alu instid0(VALU_DEP_3) | instskip(NEXT) | instid1(VALU_DEP_3)
	v_dual_fmac_f32 v69, v61, v44 :: v_dual_add_f32 v30, v31, v30
	v_fma_f32 v32, v52, v36, -v33
	v_fmac_f32_e32 v68, v59, v42
	s_delay_alu instid0(VALU_DEP_2) | instskip(NEXT) | instid1(VALU_DEP_1)
	v_dual_add_f32 v30, v30, v32 :: v_dual_add_f32 v1, 0, v1
	v_dual_mul_f32 v32, v59, v43 :: v_dual_add_f32 v1, v1, v2
	v_mul_f32_e32 v2, v55, v39
	s_delay_alu instid0(VALU_DEP_2) | instskip(SKIP_1) | instid1(VALU_DEP_4)
	v_fma_f32 v32, v58, v42, -v32
	v_mul_f32_e32 v31, v57, v41
	v_add_f32_e32 v1, v1, v64
	s_delay_alu instid0(VALU_DEP_4) | instskip(NEXT) | instid1(VALU_DEP_3)
	v_fma_f32 v2, v54, v38, -v2
	v_fma_f32 v31, v56, v40, -v31
	s_delay_alu instid0(VALU_DEP_2) | instskip(SKIP_1) | instid1(VALU_DEP_2)
	v_dual_add_f32 v2, v30, v2 :: v_dual_add_f32 v1, v1, v65
	v_mul_f32_e32 v30, v61, v45
	v_dual_add_f32 v2, v2, v31 :: v_dual_add_f32 v1, v1, v66
	s_delay_alu instid0(VALU_DEP_2) | instskip(NEXT) | instid1(VALU_DEP_2)
	v_fma_f32 v30, v60, v44, -v30
	v_add_f32_e32 v2, v2, v32
	s_delay_alu instid0(VALU_DEP_1) | instskip(NEXT) | instid1(VALU_DEP_1)
	v_dual_fmac_f32 v67, v57, v40 :: v_dual_add_f32 v2, v2, v30
	v_add_f32_e32 v1, v1, v67
	s_delay_alu instid0(VALU_DEP_1) | instskip(SKIP_1) | instid1(VALU_DEP_1)
	v_add_f32_e32 v1, v1, v68
	s_wait_loadcnt 0x0
	v_dual_add_f32 v30, v1, v69 :: v_dual_sub_f32 v1, v62, v2
	s_delay_alu instid0(VALU_DEP_1)
	v_sub_f32_e32 v2, v63, v30
	scratch_store_b64 off, v[1:2], off offset:32
	v_cmpx_lt_u32_e32 3, v0
	s_cbranch_execz .LBB12_85
; %bb.84:
	scratch_load_b64 v[1:2], off, off offset:24
	v_mov_b32_e32 v30, 0
	s_delay_alu instid0(VALU_DEP_1)
	v_mov_b32_e32 v31, v30
	scratch_store_b64 off, v[30:31], off offset:24
	s_wait_loadcnt 0x0
	ds_store_b64 v3, v[1:2]
.LBB12_85:
	s_wait_alu 0xfffe
	s_or_b32 exec_lo, exec_lo, s0
	s_wait_storecnt_dscnt 0x0
	s_barrier_signal -1
	s_barrier_wait -1
	global_inv scope:SCOPE_SE
	s_clause 0x5
	scratch_load_b128 v[30:33], off, off offset:32
	scratch_load_b128 v[34:37], off, off offset:48
	;; [unrolled: 1-line block ×4, first 2 shown]
	scratch_load_b64 v[62:63], off, off offset:96
	scratch_load_b64 v[64:65], off, off offset:24
	v_mov_b32_e32 v1, 0
	ds_load_b128 v[46:49], v1 offset:144
	ds_load_b128 v[50:53], v1 offset:160
	;; [unrolled: 1-line block ×4, first 2 shown]
	ds_load_b64 v[66:67], v1 offset:208
	s_mov_b32 s0, exec_lo
	s_wait_loadcnt_dscnt 0x504
	v_mul_f32_e32 v2, v46, v31
	s_wait_loadcnt_dscnt 0x302
	v_dual_mul_f32 v31, v47, v31 :: v_dual_mul_f32 v72, v56, v41
	v_dual_mul_f32 v68, v48, v33 :: v_dual_mul_f32 v69, v50, v35
	s_wait_loadcnt_dscnt 0x100
	v_dual_mul_f32 v75, v66, v63 :: v_dual_fmac_f32 v2, v47, v30
	v_mul_f32_e32 v33, v49, v33
	v_fma_f32 v31, v46, v30, -v31
	v_mul_f32_e32 v30, v51, v35
	v_fmac_f32_e32 v68, v49, v32
	v_add_f32_e32 v2, 0, v2
	v_fma_f32 v32, v48, v32, -v33
	v_add_f32_e32 v31, 0, v31
	v_mul_f32_e32 v33, v53, v37
	s_delay_alu instid0(VALU_DEP_4) | instskip(SKIP_1) | instid1(VALU_DEP_4)
	v_dual_fmac_f32 v69, v51, v34 :: v_dual_add_f32 v2, v2, v68
	v_fma_f32 v30, v50, v34, -v30
	v_dual_add_f32 v31, v31, v32 :: v_dual_mul_f32 v70, v52, v37
	v_mul_f32_e32 v71, v54, v39
	v_mul_f32_e32 v32, v55, v39
	v_fma_f32 v33, v52, v36, -v33
	v_add_f32_e32 v2, v2, v69
	v_add_f32_e32 v30, v31, v30
	v_dual_fmac_f32 v70, v53, v36 :: v_dual_fmac_f32 v71, v55, v38
	v_mul_f32_e32 v31, v57, v41
	v_fma_f32 v32, v54, v38, -v32
	s_delay_alu instid0(VALU_DEP_4) | instskip(NEXT) | instid1(VALU_DEP_4)
	v_dual_add_f32 v30, v30, v33 :: v_dual_mul_f32 v33, v59, v43
	v_add_f32_e32 v2, v2, v70
	s_delay_alu instid0(VALU_DEP_4) | instskip(SKIP_1) | instid1(VALU_DEP_4)
	v_fma_f32 v31, v56, v40, -v31
	v_dual_mul_f32 v73, v58, v43 :: v_dual_mul_f32 v74, v60, v45
	v_dual_add_f32 v30, v30, v32 :: v_dual_fmac_f32 v75, v67, v62
	s_delay_alu instid0(VALU_DEP_2) | instskip(SKIP_1) | instid1(VALU_DEP_3)
	v_dual_fmac_f32 v72, v57, v40 :: v_dual_fmac_f32 v73, v59, v42
	v_mul_f32_e32 v32, v61, v45
	v_add_f32_e32 v30, v30, v31
	v_mul_f32_e32 v31, v67, v63
	v_add_f32_e32 v2, v2, v71
	v_fma_f32 v33, v58, v42, -v33
	v_fmac_f32_e32 v74, v61, v44
	v_fma_f32 v32, v60, v44, -v32
	v_fma_f32 v31, v66, v62, -v31
	v_add_f32_e32 v2, v2, v72
	v_add_f32_e32 v30, v30, v33
	s_delay_alu instid0(VALU_DEP_2) | instskip(NEXT) | instid1(VALU_DEP_2)
	v_add_f32_e32 v2, v2, v73
	v_add_f32_e32 v30, v30, v32
	s_delay_alu instid0(VALU_DEP_2) | instskip(NEXT) | instid1(VALU_DEP_2)
	v_add_f32_e32 v2, v2, v74
	v_add_f32_e32 v30, v30, v31
	s_delay_alu instid0(VALU_DEP_2) | instskip(SKIP_1) | instid1(VALU_DEP_2)
	v_add_f32_e32 v2, v2, v75
	s_wait_loadcnt 0x0
	v_sub_f32_e32 v30, v64, v30
	s_delay_alu instid0(VALU_DEP_2)
	v_sub_f32_e32 v31, v65, v2
	scratch_store_b64 off, v[30:31], off offset:24
	v_cmpx_lt_u32_e32 2, v0
	s_cbranch_execz .LBB12_87
; %bb.86:
	scratch_load_b64 v[30:31], off, off offset:16
	v_mov_b32_e32 v2, v1
	scratch_store_b64 off, v[1:2], off offset:16
	s_wait_loadcnt 0x0
	ds_store_b64 v3, v[30:31]
.LBB12_87:
	s_wait_alu 0xfffe
	s_or_b32 exec_lo, exec_lo, s0
	s_wait_storecnt_dscnt 0x0
	s_barrier_signal -1
	s_barrier_wait -1
	global_inv scope:SCOPE_SE
	s_clause 0x5
	scratch_load_b128 v[30:33], off, off offset:24
	scratch_load_b128 v[34:37], off, off offset:40
	;; [unrolled: 1-line block ×5, first 2 shown]
	scratch_load_b64 v[70:71], off, off offset:16
	ds_load_2addr_b64 v[50:53], v1 offset0:17 offset1:18
	ds_load_2addr_b64 v[54:57], v1 offset0:19 offset1:20
	;; [unrolled: 1-line block ×5, first 2 shown]
	s_mov_b32 s0, exec_lo
	s_wait_loadcnt_dscnt 0x504
	v_dual_mul_f32 v1, v50, v31 :: v_dual_mul_f32 v2, v52, v33
	v_mul_f32_e32 v31, v51, v31
	s_wait_loadcnt_dscnt 0x403
	v_dual_mul_f32 v33, v53, v33 :: v_dual_mul_f32 v72, v54, v35
	s_delay_alu instid0(VALU_DEP_3) | instskip(NEXT) | instid1(VALU_DEP_3)
	v_dual_mul_f32 v73, v56, v37 :: v_dual_fmac_f32 v2, v53, v32
	v_fma_f32 v31, v50, v30, -v31
	v_fmac_f32_e32 v1, v51, v30
	v_mul_f32_e32 v30, v55, v35
	v_fma_f32 v32, v52, v32, -v33
	s_delay_alu instid0(VALU_DEP_4)
	v_dual_fmac_f32 v72, v55, v34 :: v_dual_add_f32 v31, 0, v31
	s_wait_loadcnt_dscnt 0x302
	v_dual_mul_f32 v74, v58, v39 :: v_dual_mul_f32 v75, v60, v41
	v_fma_f32 v30, v54, v34, -v30
	s_wait_loadcnt_dscnt 0x201
	v_dual_mul_f32 v76, v62, v43 :: v_dual_mul_f32 v77, v64, v45
	v_add_f32_e32 v31, v31, v32
	v_mul_f32_e32 v33, v57, v37
	v_dual_fmac_f32 v73, v57, v36 :: v_dual_fmac_f32 v74, v59, v38
	s_wait_loadcnt_dscnt 0x100
	v_dual_mul_f32 v78, v66, v47 :: v_dual_mul_f32 v79, v68, v49
	v_add_f32_e32 v30, v31, v30
	v_fma_f32 v32, v56, v36, -v33
	s_delay_alu instid0(VALU_DEP_3) | instskip(NEXT) | instid1(VALU_DEP_4)
	v_dual_fmac_f32 v75, v61, v40 :: v_dual_fmac_f32 v78, v67, v46
	v_dual_fmac_f32 v79, v69, v48 :: v_dual_fmac_f32 v76, v63, v42
	s_delay_alu instid0(VALU_DEP_3) | instskip(NEXT) | instid1(VALU_DEP_1)
	v_dual_add_f32 v30, v30, v32 :: v_dual_add_f32 v1, 0, v1
	v_dual_mul_f32 v32, v63, v43 :: v_dual_add_f32 v1, v1, v2
	v_mul_f32_e32 v2, v59, v39
	s_delay_alu instid0(VALU_DEP_2) | instskip(SKIP_1) | instid1(VALU_DEP_4)
	v_fma_f32 v32, v62, v42, -v32
	v_mul_f32_e32 v31, v61, v41
	v_add_f32_e32 v1, v1, v72
	s_delay_alu instid0(VALU_DEP_4) | instskip(NEXT) | instid1(VALU_DEP_3)
	v_fma_f32 v2, v58, v38, -v2
	v_fma_f32 v31, v60, v40, -v31
	s_delay_alu instid0(VALU_DEP_2) | instskip(SKIP_1) | instid1(VALU_DEP_2)
	v_dual_add_f32 v2, v30, v2 :: v_dual_add_f32 v1, v1, v73
	v_mul_f32_e32 v30, v65, v45
	v_add_f32_e32 v2, v2, v31
	v_mul_f32_e32 v31, v67, v47
	s_delay_alu instid0(VALU_DEP_3) | instskip(NEXT) | instid1(VALU_DEP_3)
	v_fma_f32 v30, v64, v44, -v30
	v_add_f32_e32 v2, v2, v32
	v_fmac_f32_e32 v77, v65, v44
	v_mul_f32_e32 v32, v69, v49
	v_fma_f32 v31, v66, v46, -v31
	s_delay_alu instid0(VALU_DEP_4) | instskip(SKIP_1) | instid1(VALU_DEP_4)
	v_add_f32_e32 v2, v2, v30
	v_add_f32_e32 v1, v1, v74
	v_fma_f32 v30, v68, v48, -v32
	s_delay_alu instid0(VALU_DEP_3) | instskip(NEXT) | instid1(VALU_DEP_1)
	v_add_f32_e32 v2, v2, v31
	v_dual_add_f32 v1, v1, v75 :: v_dual_add_f32 v2, v2, v30
	s_delay_alu instid0(VALU_DEP_1) | instskip(NEXT) | instid1(VALU_DEP_1)
	v_add_f32_e32 v1, v1, v76
	v_add_f32_e32 v1, v1, v77
	s_delay_alu instid0(VALU_DEP_1) | instskip(SKIP_1) | instid1(VALU_DEP_1)
	v_add_f32_e32 v1, v1, v78
	s_wait_loadcnt 0x0
	v_dual_add_f32 v30, v1, v79 :: v_dual_sub_f32 v1, v70, v2
	s_delay_alu instid0(VALU_DEP_1)
	v_sub_f32_e32 v2, v71, v30
	scratch_store_b64 off, v[1:2], off offset:16
	v_cmpx_lt_u32_e32 1, v0
	s_cbranch_execz .LBB12_89
; %bb.88:
	scratch_load_b64 v[1:2], off, off offset:8
	v_mov_b32_e32 v30, 0
	s_delay_alu instid0(VALU_DEP_1)
	v_mov_b32_e32 v31, v30
	scratch_store_b64 off, v[30:31], off offset:8
	s_wait_loadcnt 0x0
	ds_store_b64 v3, v[1:2]
.LBB12_89:
	s_wait_alu 0xfffe
	s_or_b32 exec_lo, exec_lo, s0
	s_wait_storecnt_dscnt 0x0
	s_barrier_signal -1
	s_barrier_wait -1
	global_inv scope:SCOPE_SE
	s_clause 0x6
	scratch_load_b128 v[31:34], off, off offset:16
	scratch_load_b128 v[35:38], off, off offset:32
	scratch_load_b128 v[39:42], off, off offset:48
	scratch_load_b128 v[43:46], off, off offset:64
	scratch_load_b128 v[47:50], off, off offset:80
	scratch_load_b64 v[1:2], off, off offset:96
	scratch_load_b64 v[71:72], off, off offset:8
	v_mov_b32_e32 v30, 0
	ds_load_b128 v[51:54], v30 offset:128
	ds_load_b128 v[55:58], v30 offset:144
	;; [unrolled: 1-line block ×5, first 2 shown]
	ds_load_b64 v[73:74], v30 offset:208
	s_mov_b32 s0, exec_lo
	s_wait_loadcnt_dscnt 0x605
	v_mul_f32_e32 v75, v51, v32
	v_mul_f32_e32 v32, v52, v32
	s_wait_loadcnt_dscnt 0x504
	v_dual_mul_f32 v76, v53, v34 :: v_dual_mul_f32 v77, v55, v36
	v_mul_f32_e32 v34, v54, v34
	s_wait_loadcnt_dscnt 0x100
	v_mul_f32_e32 v85, v73, v2
	v_fma_f32 v32, v51, v31, -v32
	v_dual_mul_f32 v84, v69, v50 :: v_dual_fmac_f32 v75, v52, v31
	v_dual_mul_f32 v31, v56, v36 :: v_dual_fmac_f32 v76, v54, v33
	v_fmac_f32_e32 v77, v56, v35
	v_fma_f32 v33, v53, v33, -v34
	v_add_f32_e32 v32, 0, v32
	v_add_f32_e32 v34, 0, v75
	v_fma_f32 v31, v55, v35, -v31
	v_dual_mul_f32 v78, v57, v38 :: v_dual_mul_f32 v79, v59, v40
	s_delay_alu instid0(VALU_DEP_4) | instskip(SKIP_2) | instid1(VALU_DEP_4)
	v_add_f32_e32 v32, v32, v33
	v_mul_f32_e32 v36, v58, v38
	v_dual_mul_f32 v80, v61, v42 :: v_dual_mul_f32 v81, v63, v44
	v_dual_fmac_f32 v78, v58, v37 :: v_dual_fmac_f32 v79, v60, v39
	s_delay_alu instid0(VALU_DEP_4) | instskip(NEXT) | instid1(VALU_DEP_4)
	v_add_f32_e32 v31, v32, v31
	v_fma_f32 v35, v57, v37, -v36
	v_dual_mul_f32 v82, v65, v46 :: v_dual_mul_f32 v83, v67, v48
	v_dual_fmac_f32 v80, v62, v41 :: v_dual_fmac_f32 v81, v64, v43
	s_delay_alu instid0(VALU_DEP_3) | instskip(SKIP_4) | instid1(VALU_DEP_4)
	v_add_f32_e32 v31, v31, v35
	v_mul_f32_e32 v35, v64, v44
	v_add_f32_e32 v33, v34, v76
	v_dual_fmac_f32 v83, v68, v47 :: v_dual_mul_f32 v2, v74, v2
	v_fmac_f32_e32 v84, v70, v49
	v_fma_f32 v35, v63, v43, -v35
	s_delay_alu instid0(VALU_DEP_4) | instskip(SKIP_2) | instid1(VALU_DEP_3)
	v_dual_add_f32 v32, v33, v77 :: v_dual_mul_f32 v33, v62, v42
	v_fmac_f32_e32 v85, v74, v1
	v_fma_f32 v1, v73, v1, -v2
	v_fma_f32 v33, v61, v41, -v33
	v_mul_f32_e32 v34, v60, v40
	s_delay_alu instid0(VALU_DEP_1) | instskip(NEXT) | instid1(VALU_DEP_1)
	v_fma_f32 v34, v59, v39, -v34
	v_add_f32_e32 v31, v31, v34
	v_add_f32_e32 v32, v32, v78
	s_delay_alu instid0(VALU_DEP_2) | instskip(NEXT) | instid1(VALU_DEP_2)
	v_dual_mul_f32 v34, v66, v46 :: v_dual_add_f32 v31, v31, v33
	v_add_f32_e32 v32, v32, v79
	v_dual_mul_f32 v33, v68, v48 :: v_dual_fmac_f32 v82, v66, v45
	s_delay_alu instid0(VALU_DEP_3) | instskip(NEXT) | instid1(VALU_DEP_4)
	v_fma_f32 v34, v65, v45, -v34
	v_add_f32_e32 v31, v31, v35
	s_delay_alu instid0(VALU_DEP_4) | instskip(NEXT) | instid1(VALU_DEP_4)
	v_dual_mul_f32 v35, v70, v50 :: v_dual_add_f32 v32, v32, v80
	v_fma_f32 v33, v67, v47, -v33
	s_delay_alu instid0(VALU_DEP_3) | instskip(NEXT) | instid1(VALU_DEP_3)
	v_add_f32_e32 v31, v31, v34
	v_fma_f32 v34, v69, v49, -v35
	s_delay_alu instid0(VALU_DEP_4) | instskip(NEXT) | instid1(VALU_DEP_1)
	v_add_f32_e32 v32, v32, v81
	v_dual_add_f32 v31, v31, v33 :: v_dual_add_f32 v32, v32, v82
	s_delay_alu instid0(VALU_DEP_1) | instskip(NEXT) | instid1(VALU_DEP_1)
	v_add_f32_e32 v32, v32, v83
	v_dual_add_f32 v2, v31, v34 :: v_dual_add_f32 v31, v32, v84
	s_delay_alu instid0(VALU_DEP_1) | instskip(NEXT) | instid1(VALU_DEP_2)
	v_add_f32_e32 v1, v2, v1
	v_add_f32_e32 v2, v31, v85
	s_wait_loadcnt 0x0
	s_delay_alu instid0(VALU_DEP_1)
	v_dual_sub_f32 v2, v72, v2 :: v_dual_sub_f32 v1, v71, v1
	scratch_store_b64 off, v[1:2], off offset:8
	v_cmpx_ne_u32_e32 0, v0
	s_cbranch_execz .LBB12_91
; %bb.90:
	scratch_load_b64 v[0:1], off, off
	v_mov_b32_e32 v31, v30
	scratch_store_b64 off, v[30:31], off
	s_wait_loadcnt 0x0
	ds_store_b64 v3, v[0:1]
.LBB12_91:
	s_wait_alu 0xfffe
	s_or_b32 exec_lo, exec_lo, s0
	s_wait_storecnt_dscnt 0x0
	s_barrier_signal -1
	s_barrier_wait -1
	global_inv scope:SCOPE_SE
	s_clause 0x6
	scratch_load_b128 v[31:34], off, off offset:8
	scratch_load_b128 v[35:38], off, off offset:24
	scratch_load_b128 v[39:42], off, off offset:40
	scratch_load_b128 v[43:46], off, off offset:56
	scratch_load_b128 v[47:50], off, off offset:72
	scratch_load_b128 v[0:3], off, off offset:88
	scratch_load_b64 v[75:76], off, off
	ds_load_2addr_b64 v[51:54], v30 offset0:15 offset1:16
	ds_load_2addr_b64 v[55:58], v30 offset0:17 offset1:18
	;; [unrolled: 1-line block ×6, first 2 shown]
	s_and_b32 vcc_lo, exec_lo, s18
	s_wait_loadcnt_dscnt 0x605
	v_dual_mul_f32 v30, v51, v32 :: v_dual_mul_f32 v77, v53, v34
	v_mul_f32_e32 v32, v52, v32
	v_mul_f32_e32 v34, v54, v34
	s_wait_loadcnt_dscnt 0x504
	v_dual_mul_f32 v78, v55, v36 :: v_dual_mul_f32 v79, v57, v38
	s_wait_loadcnt_dscnt 0x100
	v_mul_f32_e32 v87, v73, v3
	v_fma_f32 v32, v51, v31, -v32
	v_dual_fmac_f32 v30, v52, v31 :: v_dual_fmac_f32 v77, v54, v33
	v_fma_f32 v33, v53, v33, -v34
	v_dual_mul_f32 v86, v71, v1 :: v_dual_mul_f32 v31, v56, v36
	s_delay_alu instid0(VALU_DEP_4) | instskip(SKIP_1) | instid1(VALU_DEP_3)
	v_dual_add_f32 v32, 0, v32 :: v_dual_fmac_f32 v79, v58, v37
	v_dual_mul_f32 v82, v63, v44 :: v_dual_mul_f32 v83, v65, v46
	v_fma_f32 v31, v55, v35, -v31
	s_delay_alu instid0(VALU_DEP_3) | instskip(SKIP_2) | instid1(VALU_DEP_3)
	v_add_f32_e32 v32, v32, v33
	v_dual_mul_f32 v33, v60, v40 :: v_dual_add_f32 v30, 0, v30
	v_dual_mul_f32 v80, v59, v40 :: v_dual_mul_f32 v81, v61, v42
	v_add_f32_e32 v31, v32, v31
	s_delay_alu instid0(VALU_DEP_3) | instskip(SKIP_4) | instid1(VALU_DEP_4)
	v_fma_f32 v33, v59, v39, -v33
	v_mul_f32_e32 v34, v58, v38
	v_mul_f32_e32 v32, v62, v42
	v_dual_fmac_f32 v83, v66, v45 :: v_dual_mul_f32 v84, v67, v48
	v_mul_f32_e32 v85, v69, v50
	v_fma_f32 v34, v57, v37, -v34
	v_fmac_f32_e32 v78, v56, v35
	v_fma_f32 v32, v61, v41, -v32
	v_dual_fmac_f32 v80, v60, v39 :: v_dual_fmac_f32 v81, v62, v41
	s_delay_alu instid0(VALU_DEP_4) | instskip(SKIP_2) | instid1(VALU_DEP_3)
	v_dual_add_f32 v31, v31, v34 :: v_dual_mul_f32 v34, v64, v44
	v_fmac_f32_e32 v85, v70, v49
	v_dual_mul_f32 v3, v74, v3 :: v_dual_fmac_f32 v86, v72, v0
	v_add_f32_e32 v31, v31, v33
	v_add_f32_e32 v30, v30, v77
	v_mul_f32_e32 v33, v66, v46
	v_fma_f32 v34, v63, v43, -v34
	v_dual_fmac_f32 v84, v68, v47 :: v_dual_fmac_f32 v87, v74, v2
	v_dual_add_f32 v31, v31, v32 :: v_dual_fmac_f32 v82, v64, v43
	v_mul_f32_e32 v32, v68, v48
	v_fma_f32 v33, v65, v45, -v33
	v_fma_f32 v2, v73, v2, -v3
	s_delay_alu instid0(VALU_DEP_4) | instskip(SKIP_3) | instid1(VALU_DEP_3)
	v_add_f32_e32 v31, v31, v34
	v_add_f32_e32 v30, v30, v78
	v_mul_f32_e32 v34, v70, v50
	v_fma_f32 v32, v67, v47, -v32
	v_dual_add_f32 v31, v31, v33 :: v_dual_add_f32 v30, v30, v79
	v_mul_f32_e32 v33, v72, v1
	s_delay_alu instid0(VALU_DEP_4) | instskip(NEXT) | instid1(VALU_DEP_3)
	v_fma_f32 v34, v69, v49, -v34
	v_add_f32_e32 v31, v31, v32
	s_delay_alu instid0(VALU_DEP_4) | instskip(NEXT) | instid1(VALU_DEP_4)
	v_add_f32_e32 v30, v30, v80
	v_fma_f32 v32, v71, v0, -v33
	s_delay_alu instid0(VALU_DEP_2) | instskip(NEXT) | instid1(VALU_DEP_1)
	v_dual_add_f32 v31, v31, v34 :: v_dual_add_f32 v30, v30, v81
	v_dual_add_f32 v3, v31, v32 :: v_dual_add_f32 v30, v30, v82
	s_delay_alu instid0(VALU_DEP_1) | instskip(NEXT) | instid1(VALU_DEP_1)
	v_add_f32_e32 v30, v30, v83
	v_add_f32_e32 v30, v30, v84
	s_delay_alu instid0(VALU_DEP_1) | instskip(NEXT) | instid1(VALU_DEP_1)
	v_add_f32_e32 v30, v30, v85
	v_add_f32_e32 v30, v30, v86
	s_delay_alu instid0(VALU_DEP_1) | instskip(SKIP_1) | instid1(VALU_DEP_1)
	v_dual_add_f32 v2, v3, v2 :: v_dual_add_f32 v3, v30, v87
	s_wait_loadcnt 0x0
	v_dual_sub_f32 v2, v75, v2 :: v_dual_sub_f32 v3, v76, v3
	scratch_store_b64 off, v[2:3], off
	s_wait_alu 0xfffe
	s_cbranch_vccz .LBB12_116
; %bb.92:
	v_mov_b32_e32 v2, 0
	global_load_b32 v3, v2, s[2:3] offset:44
	s_wait_loadcnt 0x0
	v_cmp_ne_u32_e32 vcc_lo, 12, v3
	s_cbranch_vccz .LBB12_94
; %bb.93:
	v_lshlrev_b32_e32 v3, 3, v3
	scratch_load_b64 v[30:31], v3, off offset:-8
	s_wait_loadcnt 0x0
	scratch_store_b64 off, v[30:31], off offset:88
	scratch_store_b64 v3, v[0:1], off offset:-8
.LBB12_94:
	global_load_b32 v0, v2, s[2:3] offset:40
	s_wait_loadcnt 0x0
	v_cmp_eq_u32_e32 vcc_lo, 11, v0
	s_cbranch_vccnz .LBB12_96
; %bb.95:
	v_lshlrev_b32_e32 v0, 3, v0
	s_delay_alu instid0(VALU_DEP_1)
	v_mov_b32_e32 v30, v0
	scratch_load_b64 v[0:1], v30, off offset:-8
	scratch_load_b64 v[2:3], off, off offset:80
	s_wait_loadcnt 0x1
	scratch_store_b64 off, v[0:1], off offset:80
	s_wait_loadcnt 0x0
	scratch_store_b64 v30, v[2:3], off offset:-8
.LBB12_96:
	v_mov_b32_e32 v0, 0
	global_load_b32 v1, v0, s[2:3] offset:36
	s_wait_loadcnt 0x0
	v_cmp_eq_u32_e32 vcc_lo, 10, v1
	s_cbranch_vccnz .LBB12_98
; %bb.97:
	v_lshlrev_b32_e32 v1, 3, v1
	s_delay_alu instid0(VALU_DEP_1)
	v_mov_b32_e32 v3, v1
	scratch_load_b64 v[1:2], v3, off offset:-8
	scratch_load_b64 v[30:31], off, off offset:72
	s_wait_loadcnt 0x1
	scratch_store_b64 off, v[1:2], off offset:72
	s_wait_loadcnt 0x0
	scratch_store_b64 v3, v[30:31], off offset:-8
.LBB12_98:
	global_load_b32 v0, v0, s[2:3] offset:32
	s_wait_loadcnt 0x0
	v_cmp_eq_u32_e32 vcc_lo, 9, v0
	s_cbranch_vccnz .LBB12_100
; %bb.99:
	v_lshlrev_b32_e32 v0, 3, v0
	s_delay_alu instid0(VALU_DEP_1)
	v_mov_b32_e32 v30, v0
	scratch_load_b64 v[0:1], v30, off offset:-8
	scratch_load_b64 v[2:3], off, off offset:64
	s_wait_loadcnt 0x1
	scratch_store_b64 off, v[0:1], off offset:64
	s_wait_loadcnt 0x0
	scratch_store_b64 v30, v[2:3], off offset:-8
.LBB12_100:
	v_mov_b32_e32 v0, 0
	global_load_b32 v1, v0, s[2:3] offset:28
	s_wait_loadcnt 0x0
	v_cmp_eq_u32_e32 vcc_lo, 8, v1
	s_cbranch_vccnz .LBB12_102
; %bb.101:
	v_lshlrev_b32_e32 v1, 3, v1
	s_delay_alu instid0(VALU_DEP_1)
	v_mov_b32_e32 v3, v1
	scratch_load_b64 v[1:2], v3, off offset:-8
	scratch_load_b64 v[30:31], off, off offset:56
	s_wait_loadcnt 0x1
	scratch_store_b64 off, v[1:2], off offset:56
	s_wait_loadcnt 0x0
	scratch_store_b64 v3, v[30:31], off offset:-8
.LBB12_102:
	;; [unrolled: 31-line block ×5, first 2 shown]
	global_load_b32 v0, v0, s[2:3]
	s_wait_loadcnt 0x0
	v_cmp_eq_u32_e32 vcc_lo, 1, v0
	s_cbranch_vccnz .LBB12_116
; %bb.115:
	v_lshlrev_b32_e32 v0, 3, v0
	s_delay_alu instid0(VALU_DEP_1)
	v_mov_b32_e32 v30, v0
	scratch_load_b64 v[0:1], v30, off offset:-8
	scratch_load_b64 v[2:3], off, off
	s_wait_loadcnt 0x1
	scratch_store_b64 off, v[0:1], off
	s_wait_loadcnt 0x0
	scratch_store_b64 v30, v[2:3], off offset:-8
.LBB12_116:
	s_clause 0x6
	scratch_load_b128 v[0:3], off, off
	scratch_load_b128 v[30:33], off, off offset:16
	scratch_load_b128 v[34:37], off, off offset:32
	;; [unrolled: 1-line block ×5, first 2 shown]
	scratch_load_b64 v[50:51], off, off offset:96
	s_wait_loadcnt 0x6
	s_clause 0x1
	global_store_b64 v[4:5], v[0:1], off
	global_store_b64 v[6:7], v[2:3], off
	s_wait_loadcnt 0x5
	s_clause 0x1
	global_store_b64 v[8:9], v[30:31], off
	global_store_b64 v[10:11], v[32:33], off
	;; [unrolled: 4-line block ×6, first 2 shown]
	s_wait_loadcnt 0x0
	global_store_b64 v[28:29], v[50:51], off
	s_endpgm
	.section	.rodata,"a",@progbits
	.p2align	6, 0x0
	.amdhsa_kernel _ZN9rocsolver6v33100L18getri_kernel_smallILi13E19rocblas_complex_numIfEPS3_EEvT1_iilPiilS6_bb
		.amdhsa_group_segment_fixed_size 216
		.amdhsa_private_segment_fixed_size 112
		.amdhsa_kernarg_size 60
		.amdhsa_user_sgpr_count 2
		.amdhsa_user_sgpr_dispatch_ptr 0
		.amdhsa_user_sgpr_queue_ptr 0
		.amdhsa_user_sgpr_kernarg_segment_ptr 1
		.amdhsa_user_sgpr_dispatch_id 0
		.amdhsa_user_sgpr_private_segment_size 0
		.amdhsa_wavefront_size32 1
		.amdhsa_uses_dynamic_stack 0
		.amdhsa_enable_private_segment 1
		.amdhsa_system_sgpr_workgroup_id_x 1
		.amdhsa_system_sgpr_workgroup_id_y 0
		.amdhsa_system_sgpr_workgroup_id_z 0
		.amdhsa_system_sgpr_workgroup_info 0
		.amdhsa_system_vgpr_workitem_id 0
		.amdhsa_next_free_vgpr 88
		.amdhsa_next_free_sgpr 19
		.amdhsa_reserve_vcc 1
		.amdhsa_float_round_mode_32 0
		.amdhsa_float_round_mode_16_64 0
		.amdhsa_float_denorm_mode_32 3
		.amdhsa_float_denorm_mode_16_64 3
		.amdhsa_fp16_overflow 0
		.amdhsa_workgroup_processor_mode 1
		.amdhsa_memory_ordered 1
		.amdhsa_forward_progress 1
		.amdhsa_inst_pref_size 91
		.amdhsa_round_robin_scheduling 0
		.amdhsa_exception_fp_ieee_invalid_op 0
		.amdhsa_exception_fp_denorm_src 0
		.amdhsa_exception_fp_ieee_div_zero 0
		.amdhsa_exception_fp_ieee_overflow 0
		.amdhsa_exception_fp_ieee_underflow 0
		.amdhsa_exception_fp_ieee_inexact 0
		.amdhsa_exception_int_div_zero 0
	.end_amdhsa_kernel
	.section	.text._ZN9rocsolver6v33100L18getri_kernel_smallILi13E19rocblas_complex_numIfEPS3_EEvT1_iilPiilS6_bb,"axG",@progbits,_ZN9rocsolver6v33100L18getri_kernel_smallILi13E19rocblas_complex_numIfEPS3_EEvT1_iilPiilS6_bb,comdat
.Lfunc_end12:
	.size	_ZN9rocsolver6v33100L18getri_kernel_smallILi13E19rocblas_complex_numIfEPS3_EEvT1_iilPiilS6_bb, .Lfunc_end12-_ZN9rocsolver6v33100L18getri_kernel_smallILi13E19rocblas_complex_numIfEPS3_EEvT1_iilPiilS6_bb
                                        ; -- End function
	.set _ZN9rocsolver6v33100L18getri_kernel_smallILi13E19rocblas_complex_numIfEPS3_EEvT1_iilPiilS6_bb.num_vgpr, 88
	.set _ZN9rocsolver6v33100L18getri_kernel_smallILi13E19rocblas_complex_numIfEPS3_EEvT1_iilPiilS6_bb.num_agpr, 0
	.set _ZN9rocsolver6v33100L18getri_kernel_smallILi13E19rocblas_complex_numIfEPS3_EEvT1_iilPiilS6_bb.numbered_sgpr, 19
	.set _ZN9rocsolver6v33100L18getri_kernel_smallILi13E19rocblas_complex_numIfEPS3_EEvT1_iilPiilS6_bb.num_named_barrier, 0
	.set _ZN9rocsolver6v33100L18getri_kernel_smallILi13E19rocblas_complex_numIfEPS3_EEvT1_iilPiilS6_bb.private_seg_size, 112
	.set _ZN9rocsolver6v33100L18getri_kernel_smallILi13E19rocblas_complex_numIfEPS3_EEvT1_iilPiilS6_bb.uses_vcc, 1
	.set _ZN9rocsolver6v33100L18getri_kernel_smallILi13E19rocblas_complex_numIfEPS3_EEvT1_iilPiilS6_bb.uses_flat_scratch, 1
	.set _ZN9rocsolver6v33100L18getri_kernel_smallILi13E19rocblas_complex_numIfEPS3_EEvT1_iilPiilS6_bb.has_dyn_sized_stack, 0
	.set _ZN9rocsolver6v33100L18getri_kernel_smallILi13E19rocblas_complex_numIfEPS3_EEvT1_iilPiilS6_bb.has_recursion, 0
	.set _ZN9rocsolver6v33100L18getri_kernel_smallILi13E19rocblas_complex_numIfEPS3_EEvT1_iilPiilS6_bb.has_indirect_call, 0
	.section	.AMDGPU.csdata,"",@progbits
; Kernel info:
; codeLenInByte = 11604
; TotalNumSgprs: 21
; NumVgprs: 88
; ScratchSize: 112
; MemoryBound: 0
; FloatMode: 240
; IeeeMode: 1
; LDSByteSize: 216 bytes/workgroup (compile time only)
; SGPRBlocks: 0
; VGPRBlocks: 10
; NumSGPRsForWavesPerEU: 21
; NumVGPRsForWavesPerEU: 88
; Occupancy: 16
; WaveLimiterHint : 1
; COMPUTE_PGM_RSRC2:SCRATCH_EN: 1
; COMPUTE_PGM_RSRC2:USER_SGPR: 2
; COMPUTE_PGM_RSRC2:TRAP_HANDLER: 0
; COMPUTE_PGM_RSRC2:TGID_X_EN: 1
; COMPUTE_PGM_RSRC2:TGID_Y_EN: 0
; COMPUTE_PGM_RSRC2:TGID_Z_EN: 0
; COMPUTE_PGM_RSRC2:TIDIG_COMP_CNT: 0
	.section	.text._ZN9rocsolver6v33100L18getri_kernel_smallILi14E19rocblas_complex_numIfEPS3_EEvT1_iilPiilS6_bb,"axG",@progbits,_ZN9rocsolver6v33100L18getri_kernel_smallILi14E19rocblas_complex_numIfEPS3_EEvT1_iilPiilS6_bb,comdat
	.globl	_ZN9rocsolver6v33100L18getri_kernel_smallILi14E19rocblas_complex_numIfEPS3_EEvT1_iilPiilS6_bb ; -- Begin function _ZN9rocsolver6v33100L18getri_kernel_smallILi14E19rocblas_complex_numIfEPS3_EEvT1_iilPiilS6_bb
	.p2align	8
	.type	_ZN9rocsolver6v33100L18getri_kernel_smallILi14E19rocblas_complex_numIfEPS3_EEvT1_iilPiilS6_bb,@function
_ZN9rocsolver6v33100L18getri_kernel_smallILi14E19rocblas_complex_numIfEPS3_EEvT1_iilPiilS6_bb: ; @_ZN9rocsolver6v33100L18getri_kernel_smallILi14E19rocblas_complex_numIfEPS3_EEvT1_iilPiilS6_bb
; %bb.0:
	s_mov_b32 s2, exec_lo
	v_cmpx_gt_u32_e32 14, v0
	s_cbranch_execz .LBB13_70
; %bb.1:
	s_clause 0x2
	s_load_b32 s2, s[0:1], 0x38
	s_load_b128 s[12:15], s[0:1], 0x10
	s_load_b128 s[4:7], s[0:1], 0x28
	s_mov_b32 s16, ttmp9
	s_wait_kmcnt 0x0
	s_bitcmp1_b32 s2, 8
	s_cselect_b32 s18, -1, 0
	s_bfe_u32 s2, s2, 0x10008
	s_ashr_i32 s17, ttmp9, 31
	s_cmp_eq_u32 s2, 0
                                        ; implicit-def: $sgpr2_sgpr3
	s_cbranch_scc1 .LBB13_3
; %bb.2:
	s_load_b32 s2, s[0:1], 0x20
	s_mul_u64 s[4:5], s[4:5], s[16:17]
	s_delay_alu instid0(SALU_CYCLE_1) | instskip(NEXT) | instid1(SALU_CYCLE_1)
	s_lshl_b64 s[4:5], s[4:5], 2
	s_add_nc_u64 s[4:5], s[14:15], s[4:5]
	s_wait_kmcnt 0x0
	s_ashr_i32 s3, s2, 31
	s_delay_alu instid0(SALU_CYCLE_1) | instskip(NEXT) | instid1(SALU_CYCLE_1)
	s_lshl_b64 s[2:3], s[2:3], 2
	s_add_nc_u64 s[2:3], s[4:5], s[2:3]
.LBB13_3:
	s_clause 0x1
	s_load_b128 s[8:11], s[0:1], 0x0
	s_load_b32 s4, s[0:1], 0x38
	s_mul_u64 s[0:1], s[12:13], s[16:17]
	v_lshlrev_b32_e32 v3, 3, v0
	s_lshl_b64 s[0:1], s[0:1], 3
	s_wait_kmcnt 0x0
	v_add3_u32 v1, s11, s11, v0
	s_ashr_i32 s13, s10, 31
	s_mov_b32 s12, s10
	s_add_nc_u64 s[0:1], s[8:9], s[0:1]
	s_lshl_b64 s[12:13], s[12:13], 3
	v_add_nc_u32_e32 v8, s11, v1
	v_ashrrev_i32_e32 v2, 31, v1
	s_add_nc_u64 s[0:1], s[0:1], s[12:13]
	s_ashr_i32 s9, s11, 31
	v_add_co_u32 v4, s5, s0, v3
	v_add_nc_u32_e32 v10, s11, v8
	s_mov_b32 s8, s11
	v_lshlrev_b64_e32 v[1:2], 3, v[1:2]
	v_add_co_ci_u32_e64 v5, null, s1, 0, s5
	v_ashrrev_i32_e32 v9, 31, v8
	s_lshl_b64 s[8:9], s[8:9], 3
	v_ashrrev_i32_e32 v11, 31, v10
	v_add_co_u32 v6, vcc_lo, v4, s8
	v_add_nc_u32_e32 v14, s11, v10
	v_add_co_ci_u32_e64 v7, null, s9, v5, vcc_lo
	v_lshlrev_b64_e32 v[12:13], 3, v[8:9]
	v_add_co_u32 v8, vcc_lo, s0, v1
	s_wait_alu 0xfffd
	v_add_co_ci_u32_e64 v9, null, s1, v2, vcc_lo
	v_lshlrev_b64_e32 v[1:2], 3, v[10:11]
	v_add_nc_u32_e32 v16, s11, v14
	v_add_co_u32 v10, vcc_lo, s0, v12
	s_wait_alu 0xfffd
	v_add_co_ci_u32_e64 v11, null, s1, v13, vcc_lo
	s_delay_alu instid0(VALU_DEP_4)
	v_add_co_u32 v12, vcc_lo, s0, v1
	v_add_nc_u32_e32 v1, s11, v16
	v_ashrrev_i32_e32 v15, 31, v14
	v_ashrrev_i32_e32 v17, 31, v16
	s_wait_alu 0xfffd
	v_add_co_ci_u32_e64 v13, null, s1, v2, vcc_lo
	v_ashrrev_i32_e32 v2, 31, v1
	v_lshlrev_b64_e32 v[14:15], 3, v[14:15]
	v_add_nc_u32_e32 v18, s11, v1
	v_lshlrev_b64_e32 v[16:17], 3, v[16:17]
	global_load_b64 v[32:33], v3, s[0:1]
	v_lshlrev_b64_e32 v[1:2], 3, v[1:2]
	s_clause 0x3
	global_load_b64 v[34:35], v[6:7], off
	global_load_b64 v[36:37], v[8:9], off
	global_load_b64 v[38:39], v[10:11], off
	global_load_b64 v[40:41], v[12:13], off
	v_ashrrev_i32_e32 v19, 31, v18
	v_add_nc_u32_e32 v22, s11, v18
	v_add_co_u32 v14, vcc_lo, s0, v14
	s_wait_alu 0xfffd
	v_add_co_ci_u32_e64 v15, null, s1, v15, vcc_lo
	v_add_co_u32 v16, vcc_lo, s0, v16
	s_wait_alu 0xfffd
	v_add_co_ci_u32_e64 v17, null, s1, v17, vcc_lo
	v_lshlrev_b64_e32 v[20:21], 3, v[18:19]
	v_add_co_u32 v18, vcc_lo, s0, v1
	v_add_nc_u32_e32 v1, s11, v22
	v_ashrrev_i32_e32 v23, 31, v22
	s_wait_alu 0xfffd
	v_add_co_ci_u32_e64 v19, null, s1, v2, vcc_lo
	v_add_co_u32 v20, vcc_lo, s0, v20
	v_add_nc_u32_e32 v24, s11, v1
	v_ashrrev_i32_e32 v2, 31, v1
	v_lshlrev_b64_e32 v[22:23], 3, v[22:23]
	s_wait_alu 0xfffd
	v_add_co_ci_u32_e64 v21, null, s1, v21, vcc_lo
	v_add_nc_u32_e32 v26, s11, v24
	v_lshlrev_b64_e32 v[1:2], 3, v[1:2]
	v_ashrrev_i32_e32 v25, 31, v24
	v_add_co_u32 v22, vcc_lo, s0, v22
	s_delay_alu instid0(VALU_DEP_4)
	v_add_nc_u32_e32 v30, s11, v26
	v_ashrrev_i32_e32 v27, 31, v26
	s_wait_alu 0xfffd
	v_add_co_ci_u32_e64 v23, null, s1, v23, vcc_lo
	v_lshlrev_b64_e32 v[28:29], 3, v[24:25]
	v_ashrrev_i32_e32 v31, 31, v30
	v_add_co_u32 v24, vcc_lo, s0, v1
	s_wait_alu 0xfffd
	v_add_co_ci_u32_e64 v25, null, s1, v2, vcc_lo
	v_lshlrev_b64_e32 v[1:2], 3, v[26:27]
	v_lshlrev_b64_e32 v[30:31], 3, v[30:31]
	v_add_co_u32 v26, vcc_lo, s0, v28
	s_wait_alu 0xfffd
	v_add_co_ci_u32_e64 v27, null, s1, v29, vcc_lo
	s_delay_alu instid0(VALU_DEP_4)
	v_add_co_u32 v28, vcc_lo, s0, v1
	s_wait_alu 0xfffd
	v_add_co_ci_u32_e64 v29, null, s1, v2, vcc_lo
	v_add_co_u32 v30, vcc_lo, s0, v30
	s_wait_alu 0xfffd
	v_add_co_ci_u32_e64 v31, null, s1, v31, vcc_lo
	s_clause 0x8
	global_load_b64 v[42:43], v[14:15], off
	global_load_b64 v[44:45], v[16:17], off
	;; [unrolled: 1-line block ×9, first 2 shown]
	s_bitcmp0_b32 s4, 0
	s_mov_b32 s1, -1
	s_wait_loadcnt 0xc
	scratch_store_b128 off, v[32:35], off
	s_wait_loadcnt 0xa
	scratch_store_b128 off, v[36:39], off offset:16
	s_wait_loadcnt 0x8
	scratch_store_b128 off, v[40:43], off offset:32
	;; [unrolled: 2-line block ×6, first 2 shown]
	s_cbranch_scc1 .LBB13_68
; %bb.4:
	v_cmp_eq_u32_e64 s0, 0, v0
	s_and_saveexec_b32 s1, s0
; %bb.5:
	v_mov_b32_e32 v1, 0
	ds_store_b32 v1, v1 offset:224
; %bb.6:
	s_wait_alu 0xfffe
	s_or_b32 exec_lo, exec_lo, s1
	s_wait_storecnt_dscnt 0x0
	s_barrier_signal -1
	s_barrier_wait -1
	global_inv scope:SCOPE_SE
	scratch_load_b64 v[1:2], v3, off
	s_wait_loadcnt 0x0
	v_cmp_eq_f32_e32 vcc_lo, 0, v1
	v_cmp_eq_f32_e64 s1, 0, v2
	s_and_b32 s1, vcc_lo, s1
	s_wait_alu 0xfffe
	s_and_saveexec_b32 s4, s1
	s_cbranch_execz .LBB13_10
; %bb.7:
	v_mov_b32_e32 v1, 0
	s_mov_b32 s5, 0
	ds_load_b32 v2, v1 offset:224
	s_wait_dscnt 0x0
	v_readfirstlane_b32 s1, v2
	v_add_nc_u32_e32 v2, 1, v0
	s_cmp_eq_u32 s1, 0
	s_delay_alu instid0(VALU_DEP_1)
	v_cmp_gt_i32_e32 vcc_lo, s1, v2
	s_cselect_b32 s8, -1, 0
	s_wait_alu 0xfffe
	s_or_b32 s8, s8, vcc_lo
	s_wait_alu 0xfffe
	s_and_b32 exec_lo, exec_lo, s8
	s_cbranch_execz .LBB13_10
; %bb.8:
	v_mov_b32_e32 v32, s1
.LBB13_9:                               ; =>This Inner Loop Header: Depth=1
	ds_cmpstore_rtn_b32 v32, v1, v2, v32 offset:224
	s_wait_dscnt 0x0
	v_cmp_ne_u32_e32 vcc_lo, 0, v32
	v_cmp_le_i32_e64 s1, v32, v2
	s_and_b32 s1, vcc_lo, s1
	s_wait_alu 0xfffe
	s_and_b32 s1, exec_lo, s1
	s_wait_alu 0xfffe
	s_or_b32 s5, s1, s5
	s_wait_alu 0xfffe
	s_and_not1_b32 exec_lo, exec_lo, s5
	s_cbranch_execnz .LBB13_9
.LBB13_10:
	s_wait_alu 0xfffe
	s_or_b32 exec_lo, exec_lo, s4
	v_mov_b32_e32 v1, 0
	s_barrier_signal -1
	s_barrier_wait -1
	global_inv scope:SCOPE_SE
	ds_load_b32 v2, v1 offset:224
	s_and_saveexec_b32 s1, s0
	s_cbranch_execz .LBB13_12
; %bb.11:
	s_lshl_b64 s[4:5], s[16:17], 2
	s_wait_alu 0xfffe
	s_add_nc_u64 s[4:5], s[6:7], s[4:5]
	s_wait_dscnt 0x0
	global_store_b32 v1, v2, s[4:5]
.LBB13_12:
	s_wait_alu 0xfffe
	s_or_b32 exec_lo, exec_lo, s1
	s_wait_dscnt 0x0
	v_cmp_ne_u32_e32 vcc_lo, 0, v2
	s_mov_b32 s1, 0
	s_cbranch_vccnz .LBB13_68
; %bb.13:
	v_mov_b32_e32 v36, v3
                                        ; implicit-def: $vgpr32
                                        ; implicit-def: $vgpr34
	scratch_load_b64 v[1:2], v36, off
	s_wait_loadcnt 0x0
	v_cmp_ngt_f32_e64 s1, |v1|, |v2|
	s_wait_alu 0xfffe
	s_and_saveexec_b32 s4, s1
	s_wait_alu 0xfffe
	s_xor_b32 s1, exec_lo, s4
	s_cbranch_execz .LBB13_15
; %bb.14:
	v_div_scale_f32 v32, null, v2, v2, v1
	v_div_scale_f32 v35, vcc_lo, v1, v2, v1
	s_delay_alu instid0(VALU_DEP_2) | instskip(NEXT) | instid1(TRANS32_DEP_1)
	v_rcp_f32_e32 v33, v32
	v_fma_f32 v34, -v32, v33, 1.0
	s_delay_alu instid0(VALU_DEP_1) | instskip(NEXT) | instid1(VALU_DEP_1)
	v_fmac_f32_e32 v33, v34, v33
	v_mul_f32_e32 v34, v35, v33
	s_delay_alu instid0(VALU_DEP_1) | instskip(NEXT) | instid1(VALU_DEP_1)
	v_fma_f32 v37, -v32, v34, v35
	v_fmac_f32_e32 v34, v37, v33
	s_delay_alu instid0(VALU_DEP_1) | instskip(SKIP_1) | instid1(VALU_DEP_1)
	v_fma_f32 v32, -v32, v34, v35
	s_wait_alu 0xfffd
	v_div_fmas_f32 v32, v32, v33, v34
	s_delay_alu instid0(VALU_DEP_1) | instskip(NEXT) | instid1(VALU_DEP_1)
	v_div_fixup_f32 v32, v32, v2, v1
	v_fmac_f32_e32 v2, v1, v32
	s_delay_alu instid0(VALU_DEP_1) | instskip(NEXT) | instid1(VALU_DEP_1)
	v_div_scale_f32 v1, null, v2, v2, 1.0
	v_rcp_f32_e32 v33, v1
	s_delay_alu instid0(TRANS32_DEP_1) | instskip(NEXT) | instid1(VALU_DEP_1)
	v_fma_f32 v34, -v1, v33, 1.0
	v_fmac_f32_e32 v33, v34, v33
	v_div_scale_f32 v34, vcc_lo, 1.0, v2, 1.0
	s_delay_alu instid0(VALU_DEP_1) | instskip(NEXT) | instid1(VALU_DEP_1)
	v_mul_f32_e32 v35, v34, v33
	v_fma_f32 v37, -v1, v35, v34
	s_delay_alu instid0(VALU_DEP_1) | instskip(NEXT) | instid1(VALU_DEP_1)
	v_fmac_f32_e32 v35, v37, v33
	v_fma_f32 v1, -v1, v35, v34
	s_wait_alu 0xfffd
	s_delay_alu instid0(VALU_DEP_1) | instskip(NEXT) | instid1(VALU_DEP_1)
	v_div_fmas_f32 v1, v1, v33, v35
	v_div_fixup_f32 v1, v1, v2, 1.0
	s_delay_alu instid0(VALU_DEP_1) | instskip(SKIP_1) | instid1(VALU_DEP_2)
	v_mul_f32_e32 v32, v32, v1
	v_xor_b32_e32 v33, 0x80000000, v1
                                        ; implicit-def: $vgpr1_vgpr2
	v_xor_b32_e32 v34, 0x80000000, v32
.LBB13_15:
	s_wait_alu 0xfffe
	s_and_not1_saveexec_b32 s1, s1
	s_cbranch_execz .LBB13_17
; %bb.16:
	v_div_scale_f32 v32, null, v1, v1, v2
	v_div_scale_f32 v35, vcc_lo, v2, v1, v2
	s_delay_alu instid0(VALU_DEP_2) | instskip(NEXT) | instid1(TRANS32_DEP_1)
	v_rcp_f32_e32 v33, v32
	v_fma_f32 v34, -v32, v33, 1.0
	s_delay_alu instid0(VALU_DEP_1) | instskip(NEXT) | instid1(VALU_DEP_1)
	v_fmac_f32_e32 v33, v34, v33
	v_mul_f32_e32 v34, v35, v33
	s_delay_alu instid0(VALU_DEP_1) | instskip(NEXT) | instid1(VALU_DEP_1)
	v_fma_f32 v37, -v32, v34, v35
	v_fmac_f32_e32 v34, v37, v33
	s_delay_alu instid0(VALU_DEP_1) | instskip(SKIP_1) | instid1(VALU_DEP_1)
	v_fma_f32 v32, -v32, v34, v35
	s_wait_alu 0xfffd
	v_div_fmas_f32 v32, v32, v33, v34
	s_delay_alu instid0(VALU_DEP_1) | instskip(NEXT) | instid1(VALU_DEP_1)
	v_div_fixup_f32 v33, v32, v1, v2
	v_fmac_f32_e32 v1, v2, v33
	s_delay_alu instid0(VALU_DEP_1) | instskip(SKIP_1) | instid1(VALU_DEP_2)
	v_div_scale_f32 v2, null, v1, v1, 1.0
	v_div_scale_f32 v35, vcc_lo, 1.0, v1, 1.0
	v_rcp_f32_e32 v32, v2
	s_delay_alu instid0(TRANS32_DEP_1) | instskip(NEXT) | instid1(VALU_DEP_1)
	v_fma_f32 v34, -v2, v32, 1.0
	v_fmac_f32_e32 v32, v34, v32
	s_delay_alu instid0(VALU_DEP_1) | instskip(NEXT) | instid1(VALU_DEP_1)
	v_mul_f32_e32 v34, v35, v32
	v_fma_f32 v37, -v2, v34, v35
	s_delay_alu instid0(VALU_DEP_1) | instskip(NEXT) | instid1(VALU_DEP_1)
	v_fmac_f32_e32 v34, v37, v32
	v_fma_f32 v2, -v2, v34, v35
	s_wait_alu 0xfffd
	s_delay_alu instid0(VALU_DEP_1) | instskip(NEXT) | instid1(VALU_DEP_1)
	v_div_fmas_f32 v2, v2, v32, v34
	v_div_fixup_f32 v32, v2, v1, 1.0
	s_delay_alu instid0(VALU_DEP_1)
	v_xor_b32_e32 v34, 0x80000000, v32
	v_mul_f32_e64 v33, v33, -v32
.LBB13_17:
	s_wait_alu 0xfffe
	s_or_b32 exec_lo, exec_lo, s1
	scratch_store_b64 v36, v[32:33], off
	scratch_load_b64 v[37:38], off, off offset:8
	v_xor_b32_e32 v35, 0x80000000, v33
	v_add_nc_u32_e32 v1, 0x70, v3
	s_wait_loadcnt 0x0
	ds_store_2addr_b64 v3, v[34:35], v[37:38] offset1:14
	s_wait_storecnt_dscnt 0x0
	s_barrier_signal -1
	s_barrier_wait -1
	global_inv scope:SCOPE_SE
	s_and_saveexec_b32 s1, s0
	s_cbranch_execz .LBB13_19
; %bb.18:
	scratch_load_b64 v[32:33], v36, off
	ds_load_b64 v[34:35], v1
	v_mov_b32_e32 v2, 0
	ds_load_b64 v[37:38], v2 offset:8
	s_wait_loadcnt_dscnt 0x1
	v_mul_f32_e32 v2, v34, v33
	v_mul_f32_e32 v33, v35, v33
	s_delay_alu instid0(VALU_DEP_2) | instskip(NEXT) | instid1(VALU_DEP_2)
	v_fmac_f32_e32 v2, v35, v32
	v_fma_f32 v32, v34, v32, -v33
	s_delay_alu instid0(VALU_DEP_2) | instskip(NEXT) | instid1(VALU_DEP_2)
	v_add_f32_e32 v2, 0, v2
	v_add_f32_e32 v32, 0, v32
	s_wait_dscnt 0x0
	s_delay_alu instid0(VALU_DEP_2) | instskip(NEXT) | instid1(VALU_DEP_2)
	v_mul_f32_e32 v34, v2, v38
	v_mul_f32_e32 v33, v32, v38
	s_delay_alu instid0(VALU_DEP_1) | instskip(NEXT) | instid1(VALU_DEP_3)
	v_fmac_f32_e32 v33, v2, v37
	v_fma_f32 v32, v32, v37, -v34
	scratch_store_b64 off, v[32:33], off offset:8
.LBB13_19:
	s_wait_alu 0xfffe
	s_or_b32 exec_lo, exec_lo, s1
	s_wait_loadcnt 0x0
	s_wait_storecnt 0x0
	s_barrier_signal -1
	s_barrier_wait -1
	global_inv scope:SCOPE_SE
	scratch_load_b64 v[32:33], off, off offset:16
	s_mov_b32 s1, exec_lo
	s_wait_loadcnt 0x0
	ds_store_b64 v1, v[32:33]
	s_wait_dscnt 0x0
	s_barrier_signal -1
	s_barrier_wait -1
	global_inv scope:SCOPE_SE
	v_cmpx_gt_u32_e32 2, v0
	s_cbranch_execz .LBB13_23
; %bb.20:
	scratch_load_b64 v[32:33], v36, off
	ds_load_b64 v[34:35], v1
	s_wait_loadcnt_dscnt 0x0
	v_mul_f32_e32 v2, v35, v33
	s_delay_alu instid0(VALU_DEP_1) | instskip(SKIP_1) | instid1(VALU_DEP_1)
	v_fma_f32 v2, v34, v32, -v2
	v_mul_f32_e32 v33, v34, v33
	v_dual_fmac_f32 v33, v35, v32 :: v_dual_add_f32 v32, 0, v2
	s_delay_alu instid0(VALU_DEP_1)
	v_add_f32_e32 v2, 0, v33
	s_and_saveexec_b32 s4, s0
	s_cbranch_execz .LBB13_22
; %bb.21:
	scratch_load_b64 v[33:34], off, off offset:8
	v_mov_b32_e32 v35, 0
	ds_load_b64 v[37:38], v35 offset:120
	s_wait_loadcnt_dscnt 0x0
	v_mul_f32_e32 v35, v37, v34
	v_mul_f32_e32 v34, v38, v34
	s_delay_alu instid0(VALU_DEP_2) | instskip(NEXT) | instid1(VALU_DEP_2)
	v_fmac_f32_e32 v35, v38, v33
	v_fma_f32 v33, v37, v33, -v34
	s_delay_alu instid0(VALU_DEP_2) | instskip(NEXT) | instid1(VALU_DEP_2)
	v_add_f32_e32 v2, v2, v35
	v_add_f32_e32 v32, v32, v33
.LBB13_22:
	s_wait_alu 0xfffe
	s_or_b32 exec_lo, exec_lo, s4
	v_mov_b32_e32 v33, 0
	ds_load_b64 v[33:34], v33 offset:16
	s_wait_dscnt 0x0
	v_mul_f32_e32 v37, v2, v34
	v_mul_f32_e32 v35, v32, v34
	s_delay_alu instid0(VALU_DEP_2) | instskip(NEXT) | instid1(VALU_DEP_2)
	v_fma_f32 v34, v32, v33, -v37
	v_fmac_f32_e32 v35, v2, v33
	scratch_store_b64 off, v[34:35], off offset:16
.LBB13_23:
	s_wait_alu 0xfffe
	s_or_b32 exec_lo, exec_lo, s1
	s_wait_loadcnt 0x0
	s_wait_storecnt 0x0
	s_barrier_signal -1
	s_barrier_wait -1
	global_inv scope:SCOPE_SE
	scratch_load_b64 v[32:33], off, off offset:24
	v_add_nc_u32_e32 v2, -1, v0
	s_mov_b32 s0, exec_lo
	s_wait_loadcnt 0x0
	ds_store_b64 v1, v[32:33]
	s_wait_dscnt 0x0
	s_barrier_signal -1
	s_barrier_wait -1
	global_inv scope:SCOPE_SE
	v_cmpx_gt_u32_e32 3, v0
	s_cbranch_execz .LBB13_27
; %bb.24:
	v_dual_mov_b32 v32, 0 :: v_dual_add_nc_u32 v33, -1, v0
	v_dual_mov_b32 v35, v3 :: v_dual_add_nc_u32 v34, 0x70, v3
	v_mov_b32_e32 v37, 0
	s_mov_b32 s1, 0
.LBB13_25:                              ; =>This Inner Loop Header: Depth=1
	scratch_load_b64 v[38:39], v35, off
	ds_load_b64 v[40:41], v34
	v_add_nc_u32_e32 v35, 8, v35
	v_add_nc_u32_e32 v33, 1, v33
	v_add_nc_u32_e32 v34, 8, v34
	s_delay_alu instid0(VALU_DEP_2)
	v_cmp_lt_u32_e32 vcc_lo, 1, v33
	s_wait_alu 0xfffe
	s_or_b32 s1, vcc_lo, s1
	s_wait_loadcnt_dscnt 0x0
	v_mul_f32_e32 v42, v41, v39
	v_mul_f32_e32 v39, v40, v39
	s_delay_alu instid0(VALU_DEP_2) | instskip(NEXT) | instid1(VALU_DEP_2)
	v_fma_f32 v40, v40, v38, -v42
	v_fmac_f32_e32 v39, v41, v38
	s_delay_alu instid0(VALU_DEP_1)
	v_dual_add_f32 v37, v37, v40 :: v_dual_add_f32 v32, v32, v39
	s_wait_alu 0xfffe
	s_and_not1_b32 exec_lo, exec_lo, s1
	s_cbranch_execnz .LBB13_25
; %bb.26:
	s_or_b32 exec_lo, exec_lo, s1
	v_mov_b32_e32 v33, 0
	ds_load_b64 v[33:34], v33 offset:24
	s_wait_dscnt 0x0
	v_mul_f32_e32 v38, v32, v34
	v_mul_f32_e32 v35, v37, v34
	s_delay_alu instid0(VALU_DEP_2) | instskip(NEXT) | instid1(VALU_DEP_2)
	v_fma_f32 v34, v37, v33, -v38
	v_fmac_f32_e32 v35, v32, v33
	scratch_store_b64 off, v[34:35], off offset:24
.LBB13_27:
	s_wait_alu 0xfffe
	s_or_b32 exec_lo, exec_lo, s0
	s_wait_loadcnt 0x0
	s_wait_storecnt 0x0
	s_barrier_signal -1
	s_barrier_wait -1
	global_inv scope:SCOPE_SE
	scratch_load_b64 v[32:33], off, off offset:32
	s_mov_b32 s0, exec_lo
	s_wait_loadcnt 0x0
	ds_store_b64 v1, v[32:33]
	s_wait_dscnt 0x0
	s_barrier_signal -1
	s_barrier_wait -1
	global_inv scope:SCOPE_SE
	v_cmpx_gt_u32_e32 4, v0
	s_cbranch_execz .LBB13_31
; %bb.28:
	v_dual_mov_b32 v32, 0 :: v_dual_add_nc_u32 v33, -1, v0
	v_dual_mov_b32 v35, v3 :: v_dual_add_nc_u32 v34, 0x70, v3
	v_mov_b32_e32 v37, 0
	s_mov_b32 s1, 0
.LBB13_29:                              ; =>This Inner Loop Header: Depth=1
	scratch_load_b64 v[38:39], v35, off
	ds_load_b64 v[40:41], v34
	v_add_nc_u32_e32 v35, 8, v35
	v_add_nc_u32_e32 v33, 1, v33
	v_add_nc_u32_e32 v34, 8, v34
	s_delay_alu instid0(VALU_DEP_2)
	v_cmp_lt_u32_e32 vcc_lo, 2, v33
	s_wait_alu 0xfffe
	s_or_b32 s1, vcc_lo, s1
	s_wait_loadcnt_dscnt 0x0
	v_mul_f32_e32 v42, v41, v39
	v_mul_f32_e32 v39, v40, v39
	s_delay_alu instid0(VALU_DEP_2) | instskip(NEXT) | instid1(VALU_DEP_2)
	v_fma_f32 v40, v40, v38, -v42
	v_fmac_f32_e32 v39, v41, v38
	s_delay_alu instid0(VALU_DEP_1)
	v_dual_add_f32 v37, v37, v40 :: v_dual_add_f32 v32, v32, v39
	s_wait_alu 0xfffe
	s_and_not1_b32 exec_lo, exec_lo, s1
	s_cbranch_execnz .LBB13_29
; %bb.30:
	s_or_b32 exec_lo, exec_lo, s1
	v_mov_b32_e32 v33, 0
	ds_load_b64 v[33:34], v33 offset:32
	s_wait_dscnt 0x0
	v_mul_f32_e32 v38, v32, v34
	v_mul_f32_e32 v35, v37, v34
	s_delay_alu instid0(VALU_DEP_2) | instskip(NEXT) | instid1(VALU_DEP_2)
	v_fma_f32 v34, v37, v33, -v38
	v_fmac_f32_e32 v35, v32, v33
	scratch_store_b64 off, v[34:35], off offset:32
.LBB13_31:
	s_wait_alu 0xfffe
	s_or_b32 exec_lo, exec_lo, s0
	s_wait_loadcnt 0x0
	s_wait_storecnt 0x0
	s_barrier_signal -1
	s_barrier_wait -1
	global_inv scope:SCOPE_SE
	scratch_load_b64 v[32:33], off, off offset:40
	;; [unrolled: 55-line block ×9, first 2 shown]
	s_mov_b32 s0, exec_lo
	s_wait_loadcnt 0x0
	ds_store_b64 v1, v[32:33]
	s_wait_dscnt 0x0
	s_barrier_signal -1
	s_barrier_wait -1
	global_inv scope:SCOPE_SE
	v_cmpx_gt_u32_e32 12, v0
	s_cbranch_execz .LBB13_63
; %bb.60:
	v_add_nc_u32_e32 v32, -1, v0
	v_dual_mov_b32 v34, v3 :: v_dual_add_nc_u32 v33, 0x70, v3
	v_mov_b32_e32 v3, 0
	v_mov_b32_e32 v35, 0
	s_mov_b32 s1, 0
.LBB13_61:                              ; =>This Inner Loop Header: Depth=1
	scratch_load_b64 v[37:38], v34, off
	ds_load_b64 v[39:40], v33
	v_add_nc_u32_e32 v34, 8, v34
	v_add_nc_u32_e32 v32, 1, v32
	;; [unrolled: 1-line block ×3, first 2 shown]
	s_delay_alu instid0(VALU_DEP_2)
	v_cmp_lt_u32_e32 vcc_lo, 10, v32
	s_wait_alu 0xfffe
	s_or_b32 s1, vcc_lo, s1
	s_wait_loadcnt_dscnt 0x0
	v_mul_f32_e32 v41, v40, v38
	v_mul_f32_e32 v38, v39, v38
	s_delay_alu instid0(VALU_DEP_2) | instskip(NEXT) | instid1(VALU_DEP_1)
	v_fma_f32 v39, v39, v37, -v41
	v_dual_fmac_f32 v38, v40, v37 :: v_dual_add_f32 v35, v35, v39
	s_delay_alu instid0(VALU_DEP_1)
	v_add_f32_e32 v3, v3, v38
	s_wait_alu 0xfffe
	s_and_not1_b32 exec_lo, exec_lo, s1
	s_cbranch_execnz .LBB13_61
; %bb.62:
	s_or_b32 exec_lo, exec_lo, s1
	v_mov_b32_e32 v32, 0
	ds_load_b64 v[32:33], v32 offset:96
	s_wait_dscnt 0x0
	v_mul_f32_e32 v37, v3, v33
	v_mul_f32_e32 v34, v35, v33
	s_delay_alu instid0(VALU_DEP_2) | instskip(NEXT) | instid1(VALU_DEP_2)
	v_fma_f32 v33, v35, v32, -v37
	v_fmac_f32_e32 v34, v3, v32
	scratch_store_b64 off, v[33:34], off offset:96
.LBB13_63:
	s_wait_alu 0xfffe
	s_or_b32 exec_lo, exec_lo, s0
	s_wait_loadcnt 0x0
	s_wait_storecnt 0x0
	s_barrier_signal -1
	s_barrier_wait -1
	global_inv scope:SCOPE_SE
	scratch_load_b64 v[32:33], off, off offset:104
	s_mov_b32 s0, exec_lo
	s_wait_loadcnt 0x0
	ds_store_b64 v1, v[32:33]
	s_wait_dscnt 0x0
	s_barrier_signal -1
	s_barrier_wait -1
	global_inv scope:SCOPE_SE
	v_cmpx_ne_u32_e32 13, v0
	s_cbranch_execz .LBB13_67
; %bb.64:
	v_dual_mov_b32 v3, 0 :: v_dual_mov_b32 v32, 0
	s_mov_b32 s1, 0
.LBB13_65:                              ; =>This Inner Loop Header: Depth=1
	scratch_load_b64 v[33:34], v36, off
	ds_load_b64 v[37:38], v1
	v_add_nc_u32_e32 v2, 1, v2
	v_add_nc_u32_e32 v1, 8, v1
	;; [unrolled: 1-line block ×3, first 2 shown]
	s_delay_alu instid0(VALU_DEP_3)
	v_cmp_lt_u32_e32 vcc_lo, 11, v2
	s_wait_alu 0xfffe
	s_or_b32 s1, vcc_lo, s1
	s_wait_loadcnt_dscnt 0x0
	v_mul_f32_e32 v35, v38, v34
	v_mul_f32_e32 v34, v37, v34
	s_delay_alu instid0(VALU_DEP_2) | instskip(NEXT) | instid1(VALU_DEP_2)
	v_fma_f32 v35, v37, v33, -v35
	v_fmac_f32_e32 v34, v38, v33
	s_delay_alu instid0(VALU_DEP_1)
	v_dual_add_f32 v32, v32, v35 :: v_dual_add_f32 v3, v3, v34
	s_wait_alu 0xfffe
	s_and_not1_b32 exec_lo, exec_lo, s1
	s_cbranch_execnz .LBB13_65
; %bb.66:
	s_or_b32 exec_lo, exec_lo, s1
	v_mov_b32_e32 v1, 0
	ds_load_b64 v[1:2], v1 offset:104
	s_wait_dscnt 0x0
	v_mul_f32_e32 v34, v3, v2
	v_mul_f32_e32 v33, v32, v2
	s_delay_alu instid0(VALU_DEP_2) | instskip(NEXT) | instid1(VALU_DEP_2)
	v_fma_f32 v32, v32, v1, -v34
	v_fmac_f32_e32 v33, v3, v1
	scratch_store_b64 off, v[32:33], off offset:104
.LBB13_67:
	s_wait_alu 0xfffe
	s_or_b32 exec_lo, exec_lo, s0
	s_mov_b32 s1, -1
	s_wait_loadcnt 0x0
	s_wait_storecnt 0x0
	s_barrier_signal -1
	s_barrier_wait -1
	global_inv scope:SCOPE_SE
.LBB13_68:
	s_wait_alu 0xfffe
	s_and_b32 vcc_lo, exec_lo, s1
	s_wait_alu 0xfffe
	s_cbranch_vccz .LBB13_70
; %bb.69:
	v_mov_b32_e32 v1, 0
	s_lshl_b64 s[0:1], s[16:17], 2
	s_wait_alu 0xfffe
	s_add_nc_u64 s[0:1], s[6:7], s[0:1]
	global_load_b32 v1, v1, s[0:1]
	s_wait_loadcnt 0x0
	v_cmp_ne_u32_e32 vcc_lo, 0, v1
	s_cbranch_vccz .LBB13_71
.LBB13_70:
	s_endpgm
.LBB13_71:
	v_lshl_add_u32 v3, v0, 3, 0x70
	s_mov_b32 s0, exec_lo
	v_cmpx_eq_u32_e32 13, v0
	s_cbranch_execz .LBB13_73
; %bb.72:
	scratch_load_b64 v[1:2], off, off offset:96
	v_mov_b32_e32 v32, 0
	s_delay_alu instid0(VALU_DEP_1)
	v_mov_b32_e32 v33, v32
	scratch_store_b64 off, v[32:33], off offset:96
	s_wait_loadcnt 0x0
	ds_store_b64 v3, v[1:2]
.LBB13_73:
	s_wait_alu 0xfffe
	s_or_b32 exec_lo, exec_lo, s0
	s_wait_storecnt_dscnt 0x0
	s_barrier_signal -1
	s_barrier_wait -1
	global_inv scope:SCOPE_SE
	s_clause 0x1
	scratch_load_b64 v[32:33], off, off offset:104
	scratch_load_b64 v[34:35], off, off offset:96
	v_mov_b32_e32 v1, 0
	s_mov_b32 s0, exec_lo
	ds_load_b64 v[36:37], v1 offset:216
	s_wait_loadcnt_dscnt 0x100
	v_mul_f32_e32 v2, v37, v33
	s_delay_alu instid0(VALU_DEP_1) | instskip(NEXT) | instid1(VALU_DEP_1)
	v_fma_f32 v2, v36, v32, -v2
	v_dual_mul_f32 v33, v36, v33 :: v_dual_add_f32 v2, 0, v2
	s_wait_loadcnt 0x0
	s_delay_alu instid0(VALU_DEP_1) | instskip(NEXT) | instid1(VALU_DEP_1)
	v_dual_fmac_f32 v33, v37, v32 :: v_dual_sub_f32 v32, v34, v2
	v_add_f32_e32 v33, 0, v33
	s_delay_alu instid0(VALU_DEP_1)
	v_sub_f32_e32 v33, v35, v33
	scratch_store_b64 off, v[32:33], off offset:96
	v_cmpx_lt_u32_e32 11, v0
	s_cbranch_execz .LBB13_75
; %bb.74:
	scratch_load_b64 v[32:33], off, off offset:88
	v_mov_b32_e32 v2, v1
	scratch_store_b64 off, v[1:2], off offset:88
	s_wait_loadcnt 0x0
	ds_store_b64 v3, v[32:33]
.LBB13_75:
	s_wait_alu 0xfffe
	s_or_b32 exec_lo, exec_lo, s0
	s_wait_storecnt_dscnt 0x0
	s_barrier_signal -1
	s_barrier_wait -1
	global_inv scope:SCOPE_SE
	s_clause 0x1
	scratch_load_b128 v[32:35], off, off offset:96
	scratch_load_b64 v[40:41], off, off offset:88
	ds_load_b128 v[36:39], v1 offset:208
	s_mov_b32 s0, exec_lo
	s_wait_loadcnt_dscnt 0x100
	v_mul_f32_e32 v2, v36, v33
	s_delay_alu instid0(VALU_DEP_1) | instskip(SKIP_2) | instid1(VALU_DEP_1)
	v_fmac_f32_e32 v2, v37, v32
	v_mul_f32_e32 v1, v37, v33
	v_mul_f32_e32 v33, v38, v35
	v_fmac_f32_e32 v33, v39, v34
	s_delay_alu instid0(VALU_DEP_4) | instskip(NEXT) | instid1(VALU_DEP_4)
	v_dual_add_f32 v2, 0, v2 :: v_dual_mul_f32 v35, v39, v35
	v_fma_f32 v1, v36, v32, -v1
	s_delay_alu instid0(VALU_DEP_2) | instskip(NEXT) | instid1(VALU_DEP_3)
	v_add_f32_e32 v2, v2, v33
	v_fma_f32 v32, v38, v34, -v35
	s_wait_loadcnt 0x0
	s_delay_alu instid0(VALU_DEP_2) | instskip(NEXT) | instid1(VALU_DEP_1)
	v_dual_add_f32 v1, 0, v1 :: v_dual_sub_f32 v2, v41, v2
	v_add_f32_e32 v1, v1, v32
	s_delay_alu instid0(VALU_DEP_1)
	v_sub_f32_e32 v1, v40, v1
	scratch_store_b64 off, v[1:2], off offset:88
	v_cmpx_lt_u32_e32 10, v0
	s_cbranch_execz .LBB13_77
; %bb.76:
	scratch_load_b64 v[1:2], off, off offset:80
	v_mov_b32_e32 v32, 0
	s_delay_alu instid0(VALU_DEP_1)
	v_mov_b32_e32 v33, v32
	scratch_store_b64 off, v[32:33], off offset:80
	s_wait_loadcnt 0x0
	ds_store_b64 v3, v[1:2]
.LBB13_77:
	s_wait_alu 0xfffe
	s_or_b32 exec_lo, exec_lo, s0
	s_wait_storecnt_dscnt 0x0
	s_barrier_signal -1
	s_barrier_wait -1
	global_inv scope:SCOPE_SE
	s_clause 0x2
	scratch_load_b128 v[32:35], off, off offset:88
	scratch_load_b64 v[40:41], off, off offset:104
	scratch_load_b64 v[42:43], off, off offset:80
	v_mov_b32_e32 v1, 0
	ds_load_2addr_b64 v[36:39], v1 offset0:25 offset1:26
	ds_load_b64 v[44:45], v1 offset:216
	s_mov_b32 s0, exec_lo
	s_wait_loadcnt_dscnt 0x201
	v_mul_f32_e32 v2, v37, v33
	v_dual_mul_f32 v33, v36, v33 :: v_dual_mul_f32 v46, v38, v35
	v_mul_f32_e32 v35, v39, v35
	s_wait_loadcnt_dscnt 0x100
	v_mul_f32_e32 v47, v44, v41
	v_fma_f32 v2, v36, v32, -v2
	v_fmac_f32_e32 v33, v37, v32
	v_mul_f32_e32 v32, v45, v41
	v_fmac_f32_e32 v46, v39, v34
	v_fma_f32 v34, v38, v34, -v35
	s_delay_alu instid0(VALU_DEP_4) | instskip(NEXT) | instid1(VALU_DEP_4)
	v_dual_add_f32 v2, 0, v2 :: v_dual_add_f32 v33, 0, v33
	v_fma_f32 v32, v44, v40, -v32
	s_delay_alu instid0(VALU_DEP_2) | instskip(NEXT) | instid1(VALU_DEP_1)
	v_add_f32_e32 v2, v2, v34
	v_dual_add_f32 v33, v33, v46 :: v_dual_add_f32 v2, v2, v32
	s_wait_loadcnt 0x0
	s_delay_alu instid0(VALU_DEP_1) | instskip(NEXT) | instid1(VALU_DEP_1)
	v_dual_fmac_f32 v47, v45, v40 :: v_dual_sub_f32 v32, v42, v2
	v_add_f32_e32 v33, v33, v47
	s_delay_alu instid0(VALU_DEP_1)
	v_sub_f32_e32 v33, v43, v33
	scratch_store_b64 off, v[32:33], off offset:80
	v_cmpx_lt_u32_e32 9, v0
	s_cbranch_execz .LBB13_79
; %bb.78:
	scratch_load_b64 v[32:33], off, off offset:72
	v_mov_b32_e32 v2, v1
	scratch_store_b64 off, v[1:2], off offset:72
	s_wait_loadcnt 0x0
	ds_store_b64 v3, v[32:33]
.LBB13_79:
	s_wait_alu 0xfffe
	s_or_b32 exec_lo, exec_lo, s0
	s_wait_storecnt_dscnt 0x0
	s_barrier_signal -1
	s_barrier_wait -1
	global_inv scope:SCOPE_SE
	s_clause 0x2
	scratch_load_b128 v[32:35], off, off offset:80
	scratch_load_b128 v[36:39], off, off offset:96
	scratch_load_b64 v[48:49], off, off offset:72
	ds_load_b128 v[40:43], v1 offset:192
	ds_load_b128 v[44:47], v1 offset:208
	s_mov_b32 s0, exec_lo
	s_wait_loadcnt_dscnt 0x201
	v_mul_f32_e32 v2, v41, v33
	s_wait_loadcnt_dscnt 0x100
	v_dual_mul_f32 v50, v44, v37 :: v_dual_mul_f32 v51, v46, v39
	s_delay_alu instid0(VALU_DEP_2) | instskip(SKIP_2) | instid1(VALU_DEP_4)
	v_fma_f32 v2, v40, v32, -v2
	v_mul_f32_e32 v1, v40, v33
	v_mul_f32_e32 v33, v42, v35
	v_dual_mul_f32 v35, v43, v35 :: v_dual_fmac_f32 v50, v45, v36
	s_delay_alu instid0(VALU_DEP_3) | instskip(NEXT) | instid1(VALU_DEP_3)
	v_dual_add_f32 v2, 0, v2 :: v_dual_fmac_f32 v1, v41, v32
	v_dual_mul_f32 v32, v45, v37 :: v_dual_fmac_f32 v33, v43, v34
	s_delay_alu instid0(VALU_DEP_3) | instskip(SKIP_1) | instid1(VALU_DEP_3)
	v_fma_f32 v34, v42, v34, -v35
	v_fmac_f32_e32 v51, v47, v38
	v_fma_f32 v32, v44, v36, -v32
	s_delay_alu instid0(VALU_DEP_3) | instskip(NEXT) | instid1(VALU_DEP_1)
	v_dual_add_f32 v2, v2, v34 :: v_dual_add_f32 v1, 0, v1
	v_dual_add_f32 v2, v2, v32 :: v_dual_mul_f32 v35, v47, v39
	s_delay_alu instid0(VALU_DEP_2) | instskip(NEXT) | instid1(VALU_DEP_2)
	v_add_f32_e32 v1, v1, v33
	v_fma_f32 v33, v46, v38, -v35
	s_delay_alu instid0(VALU_DEP_1) | instskip(SKIP_1) | instid1(VALU_DEP_1)
	v_dual_add_f32 v1, v1, v50 :: v_dual_add_f32 v2, v2, v33
	s_wait_loadcnt 0x0
	v_dual_add_f32 v32, v1, v51 :: v_dual_sub_f32 v1, v48, v2
	s_delay_alu instid0(VALU_DEP_1)
	v_sub_f32_e32 v2, v49, v32
	scratch_store_b64 off, v[1:2], off offset:72
	v_cmpx_lt_u32_e32 8, v0
	s_cbranch_execz .LBB13_81
; %bb.80:
	scratch_load_b64 v[1:2], off, off offset:64
	v_mov_b32_e32 v32, 0
	s_delay_alu instid0(VALU_DEP_1)
	v_mov_b32_e32 v33, v32
	scratch_store_b64 off, v[32:33], off offset:64
	s_wait_loadcnt 0x0
	ds_store_b64 v3, v[1:2]
.LBB13_81:
	s_wait_alu 0xfffe
	s_or_b32 exec_lo, exec_lo, s0
	s_wait_storecnt_dscnt 0x0
	s_barrier_signal -1
	s_barrier_wait -1
	global_inv scope:SCOPE_SE
	s_clause 0x3
	scratch_load_b128 v[32:35], off, off offset:72
	scratch_load_b128 v[36:39], off, off offset:88
	scratch_load_b64 v[48:49], off, off offset:104
	scratch_load_b64 v[50:51], off, off offset:64
	v_mov_b32_e32 v1, 0
	ds_load_2addr_b64 v[40:43], v1 offset0:23 offset1:24
	ds_load_2addr_b64 v[44:47], v1 offset0:25 offset1:26
	ds_load_b64 v[52:53], v1 offset:216
	s_mov_b32 s0, exec_lo
	s_wait_loadcnt_dscnt 0x302
	v_mul_f32_e32 v2, v40, v33
	v_dual_mul_f32 v54, v42, v35 :: v_dual_mul_f32 v33, v41, v33
	s_wait_loadcnt_dscnt 0x100
	v_mul_f32_e32 v57, v52, v49
	v_dual_mul_f32 v55, v44, v37 :: v_dual_mul_f32 v56, v46, v39
	v_dual_fmac_f32 v2, v41, v32 :: v_dual_mul_f32 v35, v43, v35
	v_fma_f32 v33, v40, v32, -v33
	v_fmac_f32_e32 v54, v43, v34
	v_mul_f32_e32 v32, v45, v37
	s_delay_alu instid0(VALU_DEP_4) | instskip(SKIP_3) | instid1(VALU_DEP_4)
	v_add_f32_e32 v2, 0, v2
	v_fma_f32 v34, v42, v34, -v35
	v_add_f32_e32 v33, 0, v33
	v_mul_f32_e32 v35, v47, v39
	v_dual_fmac_f32 v55, v45, v36 :: v_dual_add_f32 v2, v2, v54
	v_dual_fmac_f32 v56, v47, v38 :: v_dual_fmac_f32 v57, v53, v48
	s_delay_alu instid0(VALU_DEP_4) | instskip(SKIP_1) | instid1(VALU_DEP_4)
	v_add_f32_e32 v33, v33, v34
	v_fma_f32 v32, v44, v36, -v32
	v_add_f32_e32 v2, v2, v55
	v_fma_f32 v35, v46, v38, -v35
	s_delay_alu instid0(VALU_DEP_3) | instskip(NEXT) | instid1(VALU_DEP_3)
	v_add_f32_e32 v32, v33, v32
	v_add_f32_e32 v2, v2, v56
	s_delay_alu instid0(VALU_DEP_2) | instskip(NEXT) | instid1(VALU_DEP_2)
	v_add_f32_e32 v32, v32, v35
	v_add_f32_e32 v2, v2, v57
	v_mul_f32_e32 v34, v53, v49
	s_delay_alu instid0(VALU_DEP_1) | instskip(SKIP_1) | instid1(VALU_DEP_1)
	v_fma_f32 v33, v52, v48, -v34
	s_wait_loadcnt 0x0
	v_dual_add_f32 v32, v32, v33 :: v_dual_sub_f32 v33, v51, v2
	s_delay_alu instid0(VALU_DEP_1)
	v_sub_f32_e32 v32, v50, v32
	scratch_store_b64 off, v[32:33], off offset:64
	v_cmpx_lt_u32_e32 7, v0
	s_cbranch_execz .LBB13_83
; %bb.82:
	scratch_load_b64 v[32:33], off, off offset:56
	v_mov_b32_e32 v2, v1
	scratch_store_b64 off, v[1:2], off offset:56
	s_wait_loadcnt 0x0
	ds_store_b64 v3, v[32:33]
.LBB13_83:
	s_wait_alu 0xfffe
	s_or_b32 exec_lo, exec_lo, s0
	s_wait_storecnt_dscnt 0x0
	s_barrier_signal -1
	s_barrier_wait -1
	global_inv scope:SCOPE_SE
	s_clause 0x3
	scratch_load_b128 v[32:35], off, off offset:64
	scratch_load_b128 v[36:39], off, off offset:80
	;; [unrolled: 1-line block ×3, first 2 shown]
	scratch_load_b64 v[56:57], off, off offset:56
	ds_load_b128 v[44:47], v1 offset:176
	ds_load_b128 v[48:51], v1 offset:192
	;; [unrolled: 1-line block ×3, first 2 shown]
	s_mov_b32 s0, exec_lo
	s_wait_loadcnt_dscnt 0x302
	v_dual_mul_f32 v1, v44, v33 :: v_dual_mul_f32 v2, v46, v35
	v_mul_f32_e32 v33, v45, v33
	s_wait_loadcnt_dscnt 0x201
	v_dual_mul_f32 v35, v47, v35 :: v_dual_mul_f32 v58, v48, v37
	s_delay_alu instid0(VALU_DEP_3) | instskip(NEXT) | instid1(VALU_DEP_3)
	v_dual_mul_f32 v59, v50, v39 :: v_dual_fmac_f32 v2, v47, v34
	v_fma_f32 v33, v44, v32, -v33
	v_fmac_f32_e32 v1, v45, v32
	v_mul_f32_e32 v32, v49, v37
	v_fma_f32 v34, v46, v34, -v35
	v_mul_f32_e32 v35, v51, v39
	v_dual_add_f32 v33, 0, v33 :: v_dual_fmac_f32 v58, v49, v36
	s_delay_alu instid0(VALU_DEP_4) | instskip(SKIP_2) | instid1(VALU_DEP_3)
	v_fma_f32 v32, v48, v36, -v32
	s_wait_loadcnt_dscnt 0x100
	v_dual_mul_f32 v60, v52, v41 :: v_dual_mul_f32 v61, v54, v43
	v_add_f32_e32 v33, v33, v34
	v_fmac_f32_e32 v59, v51, v38
	v_fma_f32 v34, v50, v38, -v35
	s_delay_alu instid0(VALU_DEP_4) | instskip(NEXT) | instid1(VALU_DEP_4)
	v_dual_fmac_f32 v60, v53, v40 :: v_dual_fmac_f32 v61, v55, v42
	v_add_f32_e32 v32, v33, v32
	s_delay_alu instid0(VALU_DEP_1) | instskip(SKIP_1) | instid1(VALU_DEP_1)
	v_dual_add_f32 v32, v32, v34 :: v_dual_add_f32 v1, 0, v1
	v_mul_f32_e32 v33, v55, v43
	v_fma_f32 v33, v54, v42, -v33
	s_delay_alu instid0(VALU_DEP_3) | instskip(SKIP_1) | instid1(VALU_DEP_1)
	v_add_f32_e32 v1, v1, v2
	v_mul_f32_e32 v2, v53, v41
	v_fma_f32 v2, v52, v40, -v2
	s_delay_alu instid0(VALU_DEP_1) | instskip(NEXT) | instid1(VALU_DEP_1)
	v_add_f32_e32 v2, v32, v2
	v_dual_add_f32 v2, v2, v33 :: v_dual_add_f32 v1, v1, v58
	s_delay_alu instid0(VALU_DEP_1) | instskip(NEXT) | instid1(VALU_DEP_1)
	v_add_f32_e32 v1, v1, v59
	v_add_f32_e32 v1, v1, v60
	s_wait_loadcnt 0x0
	s_delay_alu instid0(VALU_DEP_1) | instskip(NEXT) | instid1(VALU_DEP_1)
	v_dual_add_f32 v32, v1, v61 :: v_dual_sub_f32 v1, v56, v2
	v_sub_f32_e32 v2, v57, v32
	scratch_store_b64 off, v[1:2], off offset:56
	v_cmpx_lt_u32_e32 6, v0
	s_cbranch_execz .LBB13_85
; %bb.84:
	scratch_load_b64 v[1:2], off, off offset:48
	v_mov_b32_e32 v32, 0
	s_delay_alu instid0(VALU_DEP_1)
	v_mov_b32_e32 v33, v32
	scratch_store_b64 off, v[32:33], off offset:48
	s_wait_loadcnt 0x0
	ds_store_b64 v3, v[1:2]
.LBB13_85:
	s_wait_alu 0xfffe
	s_or_b32 exec_lo, exec_lo, s0
	s_wait_storecnt_dscnt 0x0
	s_barrier_signal -1
	s_barrier_wait -1
	global_inv scope:SCOPE_SE
	s_clause 0x4
	scratch_load_b128 v[32:35], off, off offset:56
	scratch_load_b128 v[36:39], off, off offset:72
	;; [unrolled: 1-line block ×3, first 2 shown]
	scratch_load_b64 v[56:57], off, off offset:104
	scratch_load_b64 v[58:59], off, off offset:48
	v_mov_b32_e32 v1, 0
	ds_load_2addr_b64 v[44:47], v1 offset0:21 offset1:22
	ds_load_2addr_b64 v[48:51], v1 offset0:23 offset1:24
	;; [unrolled: 1-line block ×3, first 2 shown]
	ds_load_b64 v[60:61], v1 offset:216
	s_mov_b32 s0, exec_lo
	s_wait_loadcnt_dscnt 0x403
	v_mul_f32_e32 v2, v44, v33
	s_wait_loadcnt_dscnt 0x302
	v_dual_mul_f32 v62, v46, v35 :: v_dual_mul_f32 v63, v48, v37
	v_dual_mul_f32 v64, v50, v39 :: v_dual_mul_f32 v33, v45, v33
	s_wait_loadcnt_dscnt 0x100
	v_dual_mul_f32 v67, v60, v57 :: v_dual_fmac_f32 v2, v45, v32
	v_mul_f32_e32 v35, v47, v35
	v_dual_mul_f32 v65, v52, v41 :: v_dual_mul_f32 v66, v54, v43
	v_fma_f32 v33, v44, v32, -v33
	v_fmac_f32_e32 v62, v47, v34
	v_add_f32_e32 v2, 0, v2
	v_mul_f32_e32 v32, v49, v37
	v_fma_f32 v34, v46, v34, -v35
	v_add_f32_e32 v33, 0, v33
	v_mul_f32_e32 v35, v51, v39
	v_dual_fmac_f32 v63, v49, v36 :: v_dual_add_f32 v2, v2, v62
	v_dual_fmac_f32 v64, v51, v38 :: v_dual_fmac_f32 v65, v53, v40
	s_delay_alu instid0(VALU_DEP_4) | instskip(SKIP_1) | instid1(VALU_DEP_4)
	v_add_f32_e32 v33, v33, v34
	v_dual_fmac_f32 v66, v55, v42 :: v_dual_fmac_f32 v67, v61, v56
	v_add_f32_e32 v2, v2, v63
	v_fma_f32 v32, v48, v36, -v32
	v_mul_f32_e32 v34, v53, v41
	v_fma_f32 v35, v50, v38, -v35
	s_delay_alu instid0(VALU_DEP_4) | instskip(NEXT) | instid1(VALU_DEP_1)
	v_add_f32_e32 v2, v2, v64
	v_add_f32_e32 v2, v2, v65
	s_delay_alu instid0(VALU_DEP_1) | instskip(NEXT) | instid1(VALU_DEP_1)
	v_add_f32_e32 v2, v2, v66
	v_add_f32_e32 v2, v2, v67
	v_dual_add_f32 v32, v33, v32 :: v_dual_mul_f32 v33, v55, v43
	v_fma_f32 v34, v52, v40, -v34
	s_delay_alu instid0(VALU_DEP_2) | instskip(NEXT) | instid1(VALU_DEP_3)
	v_dual_add_f32 v32, v32, v35 :: v_dual_mul_f32 v35, v61, v57
	v_fma_f32 v33, v54, v42, -v33
	s_delay_alu instid0(VALU_DEP_2) | instskip(NEXT) | instid1(VALU_DEP_3)
	v_add_f32_e32 v32, v32, v34
	v_fma_f32 v34, v60, v56, -v35
	s_wait_loadcnt 0x0
	s_delay_alu instid0(VALU_DEP_2) | instskip(NEXT) | instid1(VALU_DEP_1)
	v_dual_add_f32 v32, v32, v33 :: v_dual_sub_f32 v33, v59, v2
	v_add_f32_e32 v32, v32, v34
	s_delay_alu instid0(VALU_DEP_1)
	v_sub_f32_e32 v32, v58, v32
	scratch_store_b64 off, v[32:33], off offset:48
	v_cmpx_lt_u32_e32 5, v0
	s_cbranch_execz .LBB13_87
; %bb.86:
	scratch_load_b64 v[32:33], off, off offset:40
	v_mov_b32_e32 v2, v1
	scratch_store_b64 off, v[1:2], off offset:40
	s_wait_loadcnt 0x0
	ds_store_b64 v3, v[32:33]
.LBB13_87:
	s_wait_alu 0xfffe
	s_or_b32 exec_lo, exec_lo, s0
	s_wait_storecnt_dscnt 0x0
	s_barrier_signal -1
	s_barrier_wait -1
	global_inv scope:SCOPE_SE
	s_clause 0x4
	scratch_load_b128 v[32:35], off, off offset:48
	scratch_load_b128 v[36:39], off, off offset:64
	;; [unrolled: 1-line block ×4, first 2 shown]
	scratch_load_b64 v[64:65], off, off offset:40
	ds_load_b128 v[48:51], v1 offset:160
	ds_load_b128 v[52:55], v1 offset:176
	;; [unrolled: 1-line block ×4, first 2 shown]
	s_mov_b32 s0, exec_lo
	s_wait_loadcnt_dscnt 0x403
	v_dual_mul_f32 v1, v48, v33 :: v_dual_mul_f32 v2, v50, v35
	v_mul_f32_e32 v33, v49, v33
	s_wait_loadcnt_dscnt 0x302
	v_dual_mul_f32 v35, v51, v35 :: v_dual_mul_f32 v66, v52, v37
	s_delay_alu instid0(VALU_DEP_3) | instskip(NEXT) | instid1(VALU_DEP_3)
	v_dual_mul_f32 v67, v54, v39 :: v_dual_fmac_f32 v2, v51, v34
	v_fma_f32 v33, v48, v32, -v33
	v_fmac_f32_e32 v1, v49, v32
	v_mul_f32_e32 v32, v53, v37
	v_fma_f32 v34, v50, v34, -v35
	v_mul_f32_e32 v35, v55, v39
	v_dual_add_f32 v33, 0, v33 :: v_dual_fmac_f32 v66, v53, v36
	s_delay_alu instid0(VALU_DEP_4) | instskip(SKIP_2) | instid1(VALU_DEP_3)
	v_fma_f32 v32, v52, v36, -v32
	s_wait_loadcnt_dscnt 0x201
	v_dual_mul_f32 v68, v56, v41 :: v_dual_mul_f32 v69, v58, v43
	v_add_f32_e32 v33, v33, v34
	v_fmac_f32_e32 v67, v55, v38
	v_fma_f32 v34, v54, v38, -v35
	s_wait_loadcnt_dscnt 0x100
	v_dual_mul_f32 v70, v60, v45 :: v_dual_mul_f32 v71, v62, v47
	v_dual_add_f32 v32, v33, v32 :: v_dual_mul_f32 v33, v59, v43
	v_dual_fmac_f32 v68, v57, v40 :: v_dual_fmac_f32 v69, v59, v42
	s_delay_alu instid0(VALU_DEP_3) | instskip(NEXT) | instid1(VALU_DEP_3)
	v_fmac_f32_e32 v70, v61, v44
	v_dual_add_f32 v32, v32, v34 :: v_dual_add_f32 v1, 0, v1
	v_mul_f32_e32 v34, v61, v45
	v_fma_f32 v33, v58, v42, -v33
	v_fmac_f32_e32 v71, v63, v46
	s_delay_alu instid0(VALU_DEP_4) | instskip(SKIP_2) | instid1(VALU_DEP_2)
	v_add_f32_e32 v1, v1, v2
	v_mul_f32_e32 v2, v57, v41
	v_fma_f32 v34, v60, v44, -v34
	v_fma_f32 v2, v56, v40, -v2
	s_delay_alu instid0(VALU_DEP_1) | instskip(SKIP_1) | instid1(VALU_DEP_2)
	v_add_f32_e32 v2, v32, v2
	v_mul_f32_e32 v32, v63, v47
	v_add_f32_e32 v2, v2, v33
	s_delay_alu instid0(VALU_DEP_2) | instskip(NEXT) | instid1(VALU_DEP_2)
	v_fma_f32 v32, v62, v46, -v32
	v_add_f32_e32 v2, v2, v34
	s_delay_alu instid0(VALU_DEP_1) | instskip(NEXT) | instid1(VALU_DEP_1)
	v_dual_add_f32 v1, v1, v66 :: v_dual_add_f32 v2, v2, v32
	v_add_f32_e32 v1, v1, v67
	s_delay_alu instid0(VALU_DEP_1) | instskip(NEXT) | instid1(VALU_DEP_1)
	v_add_f32_e32 v1, v1, v68
	v_add_f32_e32 v1, v1, v69
	s_delay_alu instid0(VALU_DEP_1) | instskip(SKIP_1) | instid1(VALU_DEP_1)
	v_add_f32_e32 v1, v1, v70
	s_wait_loadcnt 0x0
	v_dual_add_f32 v32, v1, v71 :: v_dual_sub_f32 v1, v64, v2
	s_delay_alu instid0(VALU_DEP_1)
	v_sub_f32_e32 v2, v65, v32
	scratch_store_b64 off, v[1:2], off offset:40
	v_cmpx_lt_u32_e32 4, v0
	s_cbranch_execz .LBB13_89
; %bb.88:
	scratch_load_b64 v[1:2], off, off offset:32
	v_mov_b32_e32 v32, 0
	s_delay_alu instid0(VALU_DEP_1)
	v_mov_b32_e32 v33, v32
	scratch_store_b64 off, v[32:33], off offset:32
	s_wait_loadcnt 0x0
	ds_store_b64 v3, v[1:2]
.LBB13_89:
	s_wait_alu 0xfffe
	s_or_b32 exec_lo, exec_lo, s0
	s_wait_storecnt_dscnt 0x0
	s_barrier_signal -1
	s_barrier_wait -1
	global_inv scope:SCOPE_SE
	s_clause 0x5
	scratch_load_b128 v[32:35], off, off offset:40
	scratch_load_b128 v[36:39], off, off offset:56
	;; [unrolled: 1-line block ×4, first 2 shown]
	scratch_load_b64 v[64:65], off, off offset:104
	scratch_load_b64 v[66:67], off, off offset:32
	v_mov_b32_e32 v1, 0
	ds_load_2addr_b64 v[48:51], v1 offset0:19 offset1:20
	ds_load_2addr_b64 v[52:55], v1 offset0:21 offset1:22
	;; [unrolled: 1-line block ×4, first 2 shown]
	ds_load_b64 v[68:69], v1 offset:216
	s_mov_b32 s0, exec_lo
	s_wait_loadcnt_dscnt 0x504
	v_mul_f32_e32 v2, v48, v33
	s_wait_loadcnt_dscnt 0x403
	v_dual_mul_f32 v70, v50, v35 :: v_dual_mul_f32 v71, v52, v37
	s_wait_loadcnt_dscnt 0x302
	v_dual_mul_f32 v74, v58, v43 :: v_dual_mul_f32 v33, v49, v33
	s_wait_loadcnt_dscnt 0x100
	v_dual_mul_f32 v77, v68, v65 :: v_dual_fmac_f32 v2, v49, v32
	v_mul_f32_e32 v35, v51, v35
	v_dual_mul_f32 v72, v54, v39 :: v_dual_mul_f32 v73, v56, v41
	v_fma_f32 v33, v48, v32, -v33
	v_fmac_f32_e32 v70, v51, v34
	v_add_f32_e32 v2, 0, v2
	v_mul_f32_e32 v32, v53, v37
	v_fma_f32 v34, v50, v34, -v35
	v_add_f32_e32 v33, 0, v33
	v_mul_f32_e32 v35, v55, v39
	v_dual_fmac_f32 v71, v53, v36 :: v_dual_add_f32 v2, v2, v70
	v_dual_fmac_f32 v72, v55, v38 :: v_dual_fmac_f32 v73, v57, v40
	s_delay_alu instid0(VALU_DEP_4) | instskip(SKIP_1) | instid1(VALU_DEP_4)
	v_add_f32_e32 v33, v33, v34
	v_dual_mul_f32 v75, v60, v45 :: v_dual_mul_f32 v76, v62, v47
	v_add_f32_e32 v2, v2, v71
	v_dual_fmac_f32 v74, v59, v42 :: v_dual_fmac_f32 v77, v69, v64
	s_delay_alu instid0(VALU_DEP_3) | instskip(NEXT) | instid1(VALU_DEP_3)
	v_dual_fmac_f32 v75, v61, v44 :: v_dual_fmac_f32 v76, v63, v46
	v_add_f32_e32 v2, v2, v72
	v_fma_f32 v32, v52, v36, -v32
	v_mul_f32_e32 v34, v57, v41
	v_fma_f32 v35, v54, v38, -v35
	s_delay_alu instid0(VALU_DEP_4) | instskip(NEXT) | instid1(VALU_DEP_1)
	v_add_f32_e32 v2, v2, v73
	v_add_f32_e32 v2, v2, v74
	s_delay_alu instid0(VALU_DEP_1) | instskip(NEXT) | instid1(VALU_DEP_1)
	v_add_f32_e32 v2, v2, v75
	v_add_f32_e32 v2, v2, v76
	s_delay_alu instid0(VALU_DEP_1) | instskip(SKIP_2) | instid1(VALU_DEP_2)
	v_add_f32_e32 v2, v2, v77
	v_dual_add_f32 v32, v33, v32 :: v_dual_mul_f32 v33, v59, v43
	v_fma_f32 v34, v56, v40, -v34
	v_dual_add_f32 v32, v32, v35 :: v_dual_mul_f32 v35, v61, v45
	s_delay_alu instid0(VALU_DEP_3) | instskip(NEXT) | instid1(VALU_DEP_2)
	v_fma_f32 v33, v58, v42, -v33
	v_add_f32_e32 v32, v32, v34
	v_mul_f32_e32 v34, v63, v47
	s_delay_alu instid0(VALU_DEP_4) | instskip(NEXT) | instid1(VALU_DEP_3)
	v_fma_f32 v35, v60, v44, -v35
	v_add_f32_e32 v32, v32, v33
	v_mul_f32_e32 v33, v69, v65
	s_delay_alu instid0(VALU_DEP_4) | instskip(NEXT) | instid1(VALU_DEP_3)
	v_fma_f32 v34, v62, v46, -v34
	v_add_f32_e32 v32, v32, v35
	s_delay_alu instid0(VALU_DEP_3) | instskip(NEXT) | instid1(VALU_DEP_2)
	v_fma_f32 v33, v68, v64, -v33
	v_add_f32_e32 v32, v32, v34
	s_wait_loadcnt 0x0
	s_delay_alu instid0(VALU_DEP_1) | instskip(NEXT) | instid1(VALU_DEP_1)
	v_dual_add_f32 v32, v32, v33 :: v_dual_sub_f32 v33, v67, v2
	v_sub_f32_e32 v32, v66, v32
	scratch_store_b64 off, v[32:33], off offset:32
	v_cmpx_lt_u32_e32 3, v0
	s_cbranch_execz .LBB13_91
; %bb.90:
	scratch_load_b64 v[32:33], off, off offset:24
	v_mov_b32_e32 v2, v1
	scratch_store_b64 off, v[1:2], off offset:24
	s_wait_loadcnt 0x0
	ds_store_b64 v3, v[32:33]
.LBB13_91:
	s_wait_alu 0xfffe
	s_or_b32 exec_lo, exec_lo, s0
	s_wait_storecnt_dscnt 0x0
	s_barrier_signal -1
	s_barrier_wait -1
	global_inv scope:SCOPE_SE
	s_clause 0x5
	scratch_load_b128 v[32:35], off, off offset:32
	scratch_load_b128 v[36:39], off, off offset:48
	;; [unrolled: 1-line block ×5, first 2 shown]
	scratch_load_b64 v[72:73], off, off offset:24
	ds_load_b128 v[52:55], v1 offset:144
	ds_load_b128 v[56:59], v1 offset:160
	;; [unrolled: 1-line block ×5, first 2 shown]
	s_mov_b32 s0, exec_lo
	s_wait_loadcnt_dscnt 0x504
	v_dual_mul_f32 v1, v52, v33 :: v_dual_mul_f32 v2, v54, v35
	v_mul_f32_e32 v33, v53, v33
	s_wait_loadcnt_dscnt 0x403
	v_dual_mul_f32 v35, v55, v35 :: v_dual_mul_f32 v74, v56, v37
	s_delay_alu instid0(VALU_DEP_3) | instskip(NEXT) | instid1(VALU_DEP_3)
	v_dual_mul_f32 v75, v58, v39 :: v_dual_fmac_f32 v2, v55, v34
	v_fma_f32 v33, v52, v32, -v33
	v_fmac_f32_e32 v1, v53, v32
	v_mul_f32_e32 v32, v57, v37
	v_fma_f32 v34, v54, v34, -v35
	v_mul_f32_e32 v35, v59, v39
	v_dual_add_f32 v33, 0, v33 :: v_dual_fmac_f32 v74, v57, v36
	s_delay_alu instid0(VALU_DEP_4) | instskip(SKIP_2) | instid1(VALU_DEP_3)
	v_fma_f32 v32, v56, v36, -v32
	s_wait_loadcnt_dscnt 0x302
	v_dual_mul_f32 v76, v60, v41 :: v_dual_mul_f32 v77, v62, v43
	v_add_f32_e32 v33, v33, v34
	v_fmac_f32_e32 v75, v59, v38
	v_fma_f32 v34, v58, v38, -v35
	s_wait_loadcnt_dscnt 0x201
	v_dual_mul_f32 v78, v64, v45 :: v_dual_mul_f32 v79, v66, v47
	v_dual_add_f32 v32, v33, v32 :: v_dual_mul_f32 v33, v63, v43
	v_fmac_f32_e32 v76, v61, v40
	s_wait_loadcnt_dscnt 0x100
	v_dual_mul_f32 v80, v68, v49 :: v_dual_mul_f32 v81, v70, v51
	s_delay_alu instid0(VALU_DEP_3) | instskip(SKIP_3) | instid1(VALU_DEP_4)
	v_dual_add_f32 v32, v32, v34 :: v_dual_add_f32 v1, 0, v1
	v_mul_f32_e32 v34, v65, v45
	v_fma_f32 v33, v62, v42, -v33
	v_dual_fmac_f32 v77, v63, v42 :: v_dual_fmac_f32 v78, v65, v44
	v_add_f32_e32 v1, v1, v2
	v_mul_f32_e32 v2, v61, v41
	v_fma_f32 v34, v64, v44, -v34
	v_dual_fmac_f32 v79, v67, v46 :: v_dual_fmac_f32 v80, v69, v48
	s_delay_alu instid0(VALU_DEP_3) | instskip(NEXT) | instid1(VALU_DEP_1)
	v_fma_f32 v2, v60, v40, -v2
	v_add_f32_e32 v2, v32, v2
	v_mul_f32_e32 v32, v67, v47
	s_delay_alu instid0(VALU_DEP_2) | instskip(SKIP_1) | instid1(VALU_DEP_3)
	v_dual_add_f32 v2, v2, v33 :: v_dual_add_f32 v1, v1, v74
	v_mul_f32_e32 v33, v69, v49
	v_fma_f32 v32, v66, v46, -v32
	s_delay_alu instid0(VALU_DEP_3) | instskip(SKIP_3) | instid1(VALU_DEP_4)
	v_add_f32_e32 v2, v2, v34
	v_mul_f32_e32 v34, v71, v51
	v_add_f32_e32 v1, v1, v75
	v_fma_f32 v33, v68, v48, -v33
	v_dual_add_f32 v2, v2, v32 :: v_dual_fmac_f32 v81, v71, v50
	s_delay_alu instid0(VALU_DEP_3) | instskip(SKIP_1) | instid1(VALU_DEP_3)
	v_add_f32_e32 v1, v1, v76
	v_fma_f32 v32, v70, v50, -v34
	v_add_f32_e32 v2, v2, v33
	s_delay_alu instid0(VALU_DEP_1) | instskip(NEXT) | instid1(VALU_DEP_1)
	v_dual_add_f32 v1, v1, v77 :: v_dual_add_f32 v2, v2, v32
	v_add_f32_e32 v1, v1, v78
	s_delay_alu instid0(VALU_DEP_1) | instskip(NEXT) | instid1(VALU_DEP_1)
	v_add_f32_e32 v1, v1, v79
	v_add_f32_e32 v1, v1, v80
	s_wait_loadcnt 0x0
	s_delay_alu instid0(VALU_DEP_1) | instskip(NEXT) | instid1(VALU_DEP_1)
	v_dual_add_f32 v32, v1, v81 :: v_dual_sub_f32 v1, v72, v2
	v_sub_f32_e32 v2, v73, v32
	scratch_store_b64 off, v[1:2], off offset:24
	v_cmpx_lt_u32_e32 2, v0
	s_cbranch_execz .LBB13_93
; %bb.92:
	scratch_load_b64 v[1:2], off, off offset:16
	v_mov_b32_e32 v32, 0
	s_delay_alu instid0(VALU_DEP_1)
	v_mov_b32_e32 v33, v32
	scratch_store_b64 off, v[32:33], off offset:16
	s_wait_loadcnt 0x0
	ds_store_b64 v3, v[1:2]
.LBB13_93:
	s_wait_alu 0xfffe
	s_or_b32 exec_lo, exec_lo, s0
	s_wait_storecnt_dscnt 0x0
	s_barrier_signal -1
	s_barrier_wait -1
	global_inv scope:SCOPE_SE
	s_clause 0x6
	scratch_load_b128 v[32:35], off, off offset:24
	scratch_load_b128 v[36:39], off, off offset:40
	;; [unrolled: 1-line block ×5, first 2 shown]
	scratch_load_b64 v[72:73], off, off offset:104
	scratch_load_b64 v[74:75], off, off offset:16
	v_mov_b32_e32 v1, 0
	ds_load_2addr_b64 v[52:55], v1 offset0:17 offset1:18
	ds_load_2addr_b64 v[56:59], v1 offset0:19 offset1:20
	;; [unrolled: 1-line block ×5, first 2 shown]
	ds_load_b64 v[76:77], v1 offset:216
	s_mov_b32 s0, exec_lo
	s_wait_loadcnt_dscnt 0x605
	v_mul_f32_e32 v2, v52, v33
	v_dual_mul_f32 v33, v53, v33 :: v_dual_mul_f32 v78, v54, v35
	s_wait_loadcnt_dscnt 0x302
	v_dual_mul_f32 v79, v56, v37 :: v_dual_mul_f32 v84, v66, v47
	s_wait_loadcnt_dscnt 0x100
	v_dual_mul_f32 v87, v76, v73 :: v_dual_fmac_f32 v2, v53, v32
	v_mul_f32_e32 v35, v55, v35
	v_fma_f32 v33, v52, v32, -v33
	v_mul_f32_e32 v32, v57, v37
	v_fmac_f32_e32 v78, v55, v34
	v_add_f32_e32 v2, 0, v2
	v_fma_f32 v34, v54, v34, -v35
	v_add_f32_e32 v33, 0, v33
	v_mul_f32_e32 v35, v59, v39
	s_delay_alu instid0(VALU_DEP_4) | instskip(SKIP_1) | instid1(VALU_DEP_4)
	v_dual_fmac_f32 v79, v57, v36 :: v_dual_add_f32 v2, v2, v78
	v_fma_f32 v32, v56, v36, -v32
	v_dual_add_f32 v33, v33, v34 :: v_dual_mul_f32 v80, v58, v39
	v_mul_f32_e32 v81, v60, v41
	v_mul_f32_e32 v34, v61, v41
	v_fma_f32 v35, v58, v38, -v35
	v_add_f32_e32 v2, v2, v79
	v_add_f32_e32 v32, v33, v32
	v_dual_fmac_f32 v80, v59, v38 :: v_dual_fmac_f32 v81, v61, v40
	v_mul_f32_e32 v33, v63, v43
	v_fma_f32 v34, v60, v40, -v34
	s_delay_alu instid0(VALU_DEP_4) | instskip(SKIP_4) | instid1(VALU_DEP_3)
	v_dual_add_f32 v32, v32, v35 :: v_dual_mul_f32 v35, v65, v45
	v_dual_mul_f32 v82, v62, v43 :: v_dual_mul_f32 v83, v64, v45
	v_dual_mul_f32 v85, v68, v49 :: v_dual_mul_f32 v86, v70, v51
	v_add_f32_e32 v2, v2, v80
	v_fma_f32 v33, v62, v42, -v33
	v_dual_add_f32 v32, v32, v34 :: v_dual_fmac_f32 v85, v69, v48
	v_dual_fmac_f32 v82, v63, v42 :: v_dual_fmac_f32 v83, v65, v44
	v_mul_f32_e32 v34, v67, v47
	s_delay_alu instid0(VALU_DEP_3)
	v_add_f32_e32 v32, v32, v33
	v_mul_f32_e32 v33, v69, v49
	v_dual_add_f32 v2, v2, v81 :: v_dual_fmac_f32 v87, v77, v72
	v_fma_f32 v35, v64, v44, -v35
	v_fmac_f32_e32 v84, v67, v46
	v_fma_f32 v34, v66, v46, -v34
	s_delay_alu instid0(VALU_DEP_4)
	v_add_f32_e32 v2, v2, v82
	v_fma_f32 v33, v68, v48, -v33
	v_add_f32_e32 v32, v32, v35
	v_mul_f32_e32 v35, v71, v51
	v_fmac_f32_e32 v86, v71, v50
	v_add_f32_e32 v2, v2, v83
	s_delay_alu instid0(VALU_DEP_4) | instskip(SKIP_2) | instid1(VALU_DEP_4)
	v_add_f32_e32 v32, v32, v34
	v_mul_f32_e32 v34, v77, v73
	v_fma_f32 v35, v70, v50, -v35
	v_add_f32_e32 v2, v2, v84
	s_delay_alu instid0(VALU_DEP_4) | instskip(NEXT) | instid1(VALU_DEP_4)
	v_add_f32_e32 v32, v32, v33
	v_fma_f32 v33, v76, v72, -v34
	s_delay_alu instid0(VALU_DEP_3) | instskip(NEXT) | instid1(VALU_DEP_3)
	v_add_f32_e32 v2, v2, v85
	v_add_f32_e32 v32, v32, v35
	s_delay_alu instid0(VALU_DEP_2) | instskip(NEXT) | instid1(VALU_DEP_2)
	v_add_f32_e32 v2, v2, v86
	v_add_f32_e32 v32, v32, v33
	s_delay_alu instid0(VALU_DEP_2) | instskip(SKIP_1) | instid1(VALU_DEP_1)
	v_add_f32_e32 v2, v2, v87
	s_wait_loadcnt 0x0
	v_dual_sub_f32 v32, v74, v32 :: v_dual_sub_f32 v33, v75, v2
	scratch_store_b64 off, v[32:33], off offset:16
	v_cmpx_lt_u32_e32 1, v0
	s_cbranch_execz .LBB13_95
; %bb.94:
	scratch_load_b64 v[32:33], off, off offset:8
	v_mov_b32_e32 v2, v1
	scratch_store_b64 off, v[1:2], off offset:8
	s_wait_loadcnt 0x0
	ds_store_b64 v3, v[32:33]
.LBB13_95:
	s_wait_alu 0xfffe
	s_or_b32 exec_lo, exec_lo, s0
	s_wait_storecnt_dscnt 0x0
	s_barrier_signal -1
	s_barrier_wait -1
	global_inv scope:SCOPE_SE
	s_clause 0x6
	scratch_load_b128 v[32:35], off, off offset:16
	scratch_load_b128 v[36:39], off, off offset:32
	;; [unrolled: 1-line block ×6, first 2 shown]
	scratch_load_b64 v[80:81], off, off offset:8
	ds_load_b128 v[56:59], v1 offset:128
	ds_load_b128 v[60:63], v1 offset:144
	;; [unrolled: 1-line block ×6, first 2 shown]
	s_mov_b32 s0, exec_lo
	s_wait_loadcnt_dscnt 0x605
	v_dual_mul_f32 v1, v56, v33 :: v_dual_mul_f32 v2, v58, v35
	v_mul_f32_e32 v33, v57, v33
	s_wait_loadcnt_dscnt 0x504
	v_dual_mul_f32 v35, v59, v35 :: v_dual_mul_f32 v82, v60, v37
	s_delay_alu instid0(VALU_DEP_3) | instskip(NEXT) | instid1(VALU_DEP_3)
	v_dual_mul_f32 v83, v62, v39 :: v_dual_fmac_f32 v2, v59, v34
	v_fma_f32 v33, v56, v32, -v33
	v_fmac_f32_e32 v1, v57, v32
	v_mul_f32_e32 v32, v61, v37
	v_fma_f32 v34, v58, v34, -v35
	v_mul_f32_e32 v35, v63, v39
	v_dual_add_f32 v33, 0, v33 :: v_dual_fmac_f32 v82, v61, v36
	s_delay_alu instid0(VALU_DEP_4) | instskip(SKIP_2) | instid1(VALU_DEP_3)
	v_fma_f32 v32, v60, v36, -v32
	s_wait_loadcnt_dscnt 0x403
	v_dual_mul_f32 v84, v64, v41 :: v_dual_mul_f32 v85, v66, v43
	v_add_f32_e32 v33, v33, v34
	v_fmac_f32_e32 v83, v63, v38
	v_fma_f32 v34, v62, v38, -v35
	s_wait_loadcnt_dscnt 0x302
	v_dual_mul_f32 v86, v68, v45 :: v_dual_mul_f32 v87, v70, v47
	v_dual_add_f32 v32, v33, v32 :: v_dual_mul_f32 v33, v67, v43
	v_fmac_f32_e32 v84, v65, v40
	s_wait_loadcnt_dscnt 0x201
	v_dual_mul_f32 v88, v72, v49 :: v_dual_mul_f32 v89, v74, v51
	s_delay_alu instid0(VALU_DEP_3) | instskip(SKIP_3) | instid1(VALU_DEP_4)
	v_dual_add_f32 v32, v32, v34 :: v_dual_add_f32 v1, 0, v1
	v_mul_f32_e32 v34, v69, v45
	v_fma_f32 v33, v66, v42, -v33
	v_dual_fmac_f32 v85, v67, v42 :: v_dual_fmac_f32 v86, v69, v44
	v_add_f32_e32 v1, v1, v2
	v_mul_f32_e32 v2, v65, v41
	v_fma_f32 v34, v68, v44, -v34
	v_dual_fmac_f32 v87, v71, v46 :: v_dual_fmac_f32 v88, v73, v48
	s_wait_loadcnt_dscnt 0x100
	v_dual_mul_f32 v90, v76, v53 :: v_dual_mul_f32 v91, v78, v55
	v_fma_f32 v2, v64, v40, -v2
	s_delay_alu instid0(VALU_DEP_2) | instskip(NEXT) | instid1(VALU_DEP_3)
	v_dual_fmac_f32 v89, v75, v50 :: v_dual_fmac_f32 v90, v77, v52
	v_fmac_f32_e32 v91, v79, v54
	s_delay_alu instid0(VALU_DEP_3) | instskip(SKIP_1) | instid1(VALU_DEP_2)
	v_add_f32_e32 v2, v32, v2
	v_mul_f32_e32 v32, v71, v47
	v_dual_add_f32 v2, v2, v33 :: v_dual_add_f32 v1, v1, v82
	v_mul_f32_e32 v33, v73, v49
	s_delay_alu instid0(VALU_DEP_3) | instskip(NEXT) | instid1(VALU_DEP_3)
	v_fma_f32 v32, v70, v46, -v32
	v_add_f32_e32 v2, v2, v34
	v_mul_f32_e32 v34, v75, v51
	v_add_f32_e32 v1, v1, v83
	v_fma_f32 v33, v72, v48, -v33
	s_delay_alu instid0(VALU_DEP_4) | instskip(SKIP_1) | instid1(VALU_DEP_4)
	v_add_f32_e32 v2, v2, v32
	v_mul_f32_e32 v32, v77, v53
	v_add_f32_e32 v1, v1, v84
	v_fma_f32 v34, v74, v50, -v34
	s_delay_alu instid0(VALU_DEP_4) | instskip(NEXT) | instid1(VALU_DEP_3)
	v_dual_add_f32 v2, v2, v33 :: v_dual_mul_f32 v33, v79, v55
	v_add_f32_e32 v1, v1, v85
	v_fma_f32 v32, v76, v52, -v32
	s_delay_alu instid0(VALU_DEP_3) | instskip(NEXT) | instid1(VALU_DEP_4)
	v_add_f32_e32 v2, v2, v34
	v_fma_f32 v33, v78, v54, -v33
	s_delay_alu instid0(VALU_DEP_2) | instskip(NEXT) | instid1(VALU_DEP_1)
	v_dual_add_f32 v1, v1, v86 :: v_dual_add_f32 v2, v2, v32
	v_dual_add_f32 v1, v1, v87 :: v_dual_add_f32 v2, v2, v33
	s_delay_alu instid0(VALU_DEP_1) | instskip(NEXT) | instid1(VALU_DEP_1)
	v_add_f32_e32 v1, v1, v88
	v_add_f32_e32 v1, v1, v89
	s_delay_alu instid0(VALU_DEP_1) | instskip(SKIP_1) | instid1(VALU_DEP_1)
	v_add_f32_e32 v1, v1, v90
	s_wait_loadcnt 0x0
	v_dual_add_f32 v32, v1, v91 :: v_dual_sub_f32 v1, v80, v2
	s_delay_alu instid0(VALU_DEP_1)
	v_sub_f32_e32 v2, v81, v32
	scratch_store_b64 off, v[1:2], off offset:8
	v_cmpx_ne_u32_e32 0, v0
	s_cbranch_execz .LBB13_97
; %bb.96:
	scratch_load_b64 v[0:1], off, off
	v_mov_b32_e32 v32, 0
	s_delay_alu instid0(VALU_DEP_1)
	v_mov_b32_e32 v33, v32
	scratch_store_b64 off, v[32:33], off
	s_wait_loadcnt 0x0
	ds_store_b64 v3, v[0:1]
.LBB13_97:
	s_wait_alu 0xfffe
	s_or_b32 exec_lo, exec_lo, s0
	s_wait_storecnt_dscnt 0x0
	s_barrier_signal -1
	s_barrier_wait -1
	global_inv scope:SCOPE_SE
	s_clause 0x7
	scratch_load_b128 v[33:36], off, off offset:8
	scratch_load_b128 v[37:40], off, off offset:24
	;; [unrolled: 1-line block ×6, first 2 shown]
	scratch_load_b64 v[77:78], off, off offset:104
	scratch_load_b64 v[79:80], off, off
	v_mov_b32_e32 v32, 0
	ds_load_2addr_b64 v[53:56], v32 offset0:15 offset1:16
	ds_load_2addr_b64 v[57:60], v32 offset0:17 offset1:18
	;; [unrolled: 1-line block ×6, first 2 shown]
	ds_load_b64 v[81:82], v32 offset:216
	s_and_b32 vcc_lo, exec_lo, s18
	s_wait_loadcnt_dscnt 0x706
	v_dual_mul_f32 v83, v53, v34 :: v_dual_mul_f32 v84, v55, v36
	s_wait_loadcnt_dscnt 0x605
	v_dual_mul_f32 v85, v57, v38 :: v_dual_mul_f32 v36, v56, v36
	;; [unrolled: 2-line block ×3, first 2 shown]
	v_dual_fmac_f32 v83, v54, v33 :: v_dual_fmac_f32 v84, v56, v35
	s_delay_alu instid0(VALU_DEP_3) | instskip(SKIP_1) | instid1(VALU_DEP_4)
	v_fmac_f32_e32 v85, v58, v37
	v_fma_f32 v35, v55, v35, -v36
	v_dual_fmac_f32 v86, v60, v39 :: v_dual_fmac_f32 v87, v62, v41
	s_delay_alu instid0(VALU_DEP_4)
	v_add_f32_e32 v36, 0, v83
	v_mul_f32_e32 v34, v54, v34
	s_wait_loadcnt_dscnt 0x403
	v_dual_mul_f32 v88, v63, v44 :: v_dual_mul_f32 v89, v65, v46
	s_wait_loadcnt_dscnt 0x302
	v_dual_mul_f32 v90, v67, v48 :: v_dual_mul_f32 v91, v69, v50
	v_fma_f32 v34, v53, v33, -v34
	v_dual_mul_f32 v33, v58, v38 :: v_dual_mul_f32 v38, v60, v40
	v_dual_fmac_f32 v88, v64, v43 :: v_dual_fmac_f32 v89, v66, v45
	s_delay_alu instid0(VALU_DEP_3) | instskip(NEXT) | instid1(VALU_DEP_3)
	v_add_f32_e32 v34, 0, v34
	v_fma_f32 v33, v57, v37, -v33
	s_delay_alu instid0(VALU_DEP_4) | instskip(SKIP_1) | instid1(VALU_DEP_4)
	v_fma_f32 v37, v59, v39, -v38
	v_dual_fmac_f32 v90, v68, v47 :: v_dual_fmac_f32 v91, v70, v49
	v_add_f32_e32 v34, v34, v35
	s_wait_loadcnt_dscnt 0x201
	v_dual_mul_f32 v92, v71, v52 :: v_dual_mul_f32 v93, v73, v1
	v_dual_mul_f32 v1, v74, v1 :: v_dual_mul_f32 v94, v75, v3
	s_wait_loadcnt_dscnt 0x100
	v_mul_f32_e32 v95, v81, v78
	v_add_f32_e32 v33, v34, v33
	v_add_f32_e32 v35, v36, v84
	v_dual_fmac_f32 v92, v72, v51 :: v_dual_fmac_f32 v93, v74, v0
	s_delay_alu instid0(VALU_DEP_3) | instskip(NEXT) | instid1(VALU_DEP_3)
	v_dual_fmac_f32 v94, v76, v2 :: v_dual_add_f32 v33, v33, v37
	v_dual_add_f32 v34, v35, v85 :: v_dual_mul_f32 v37, v66, v46
	v_mul_f32_e32 v35, v64, v44
	v_fma_f32 v0, v73, v0, -v1
	v_fmac_f32_e32 v95, v82, v77
	s_delay_alu instid0(VALU_DEP_4) | instskip(NEXT) | instid1(VALU_DEP_4)
	v_fma_f32 v37, v65, v45, -v37
	v_fma_f32 v35, v63, v43, -v35
	v_mul_f32_e32 v36, v62, v42
	s_delay_alu instid0(VALU_DEP_1) | instskip(NEXT) | instid1(VALU_DEP_1)
	v_fma_f32 v36, v61, v41, -v36
	v_dual_add_f32 v34, v34, v86 :: v_dual_add_f32 v33, v33, v36
	s_delay_alu instid0(VALU_DEP_1) | instskip(NEXT) | instid1(VALU_DEP_2)
	v_dual_mul_f32 v36, v68, v48 :: v_dual_add_f32 v33, v33, v35
	v_add_f32_e32 v34, v34, v87
	v_mul_f32_e32 v35, v70, v50
	s_delay_alu instid0(VALU_DEP_3) | instskip(NEXT) | instid1(VALU_DEP_4)
	v_fma_f32 v36, v67, v47, -v36
	v_add_f32_e32 v33, v33, v37
	v_mul_f32_e32 v37, v72, v52
	s_delay_alu instid0(VALU_DEP_4) | instskip(NEXT) | instid1(VALU_DEP_3)
	v_fma_f32 v35, v69, v49, -v35
	v_add_f32_e32 v33, v33, v36
	v_add_f32_e32 v34, v34, v88
	s_delay_alu instid0(VALU_DEP_4) | instskip(NEXT) | instid1(VALU_DEP_2)
	v_fma_f32 v36, v71, v51, -v37
	v_dual_add_f32 v33, v33, v35 :: v_dual_add_f32 v34, v34, v89
	v_mul_f32_e32 v35, v76, v3
	s_delay_alu instid0(VALU_DEP_2) | instskip(NEXT) | instid1(VALU_DEP_1)
	v_dual_add_f32 v1, v33, v36 :: v_dual_add_f32 v34, v34, v90
	v_add_f32_e32 v0, v1, v0
	s_delay_alu instid0(VALU_DEP_2) | instskip(NEXT) | instid1(VALU_DEP_1)
	v_add_f32_e32 v34, v34, v91
	v_add_f32_e32 v33, v34, v92
	v_mul_f32_e32 v34, v82, v78
	v_fma_f32 v35, v75, v2, -v35
	s_delay_alu instid0(VALU_DEP_1) | instskip(NEXT) | instid1(VALU_DEP_3)
	v_dual_add_f32 v0, v0, v35 :: v_dual_add_f32 v1, v33, v93
	v_fma_f32 v33, v81, v77, -v34
	s_delay_alu instid0(VALU_DEP_1) | instskip(SKIP_1) | instid1(VALU_DEP_1)
	v_add_f32_e32 v0, v0, v33
	s_wait_loadcnt 0x0
	v_dual_sub_f32 v0, v79, v0 :: v_dual_add_f32 v1, v1, v94
	s_delay_alu instid0(VALU_DEP_1) | instskip(NEXT) | instid1(VALU_DEP_1)
	v_add_f32_e32 v1, v1, v95
	v_sub_f32_e32 v1, v80, v1
	scratch_store_b64 off, v[0:1], off
	s_wait_alu 0xfffe
	s_cbranch_vccz .LBB13_124
; %bb.98:
	global_load_b32 v0, v32, s[2:3] offset:48
	s_wait_loadcnt 0x0
	v_cmp_ne_u32_e32 vcc_lo, 13, v0
	s_cbranch_vccz .LBB13_100
; %bb.99:
	v_lshlrev_b32_e32 v0, 3, v0
	s_delay_alu instid0(VALU_DEP_1)
	v_mov_b32_e32 v32, v0
	scratch_load_b64 v[0:1], v32, off offset:-8
	s_wait_loadcnt 0x0
	scratch_store_b64 off, v[0:1], off offset:96
	scratch_store_b64 v32, v[2:3], off offset:-8
.LBB13_100:
	v_mov_b32_e32 v0, 0
	global_load_b32 v1, v0, s[2:3] offset:44
	s_wait_loadcnt 0x0
	v_cmp_eq_u32_e32 vcc_lo, 12, v1
	s_cbranch_vccnz .LBB13_102
; %bb.101:
	v_lshlrev_b32_e32 v1, 3, v1
	s_delay_alu instid0(VALU_DEP_1)
	v_mov_b32_e32 v3, v1
	scratch_load_b64 v[1:2], v3, off offset:-8
	scratch_load_b64 v[32:33], off, off offset:88
	s_wait_loadcnt 0x1
	scratch_store_b64 off, v[1:2], off offset:88
	s_wait_loadcnt 0x0
	scratch_store_b64 v3, v[32:33], off offset:-8
.LBB13_102:
	global_load_b32 v0, v0, s[2:3] offset:40
	s_wait_loadcnt 0x0
	v_cmp_eq_u32_e32 vcc_lo, 11, v0
	s_cbranch_vccnz .LBB13_104
; %bb.103:
	v_lshlrev_b32_e32 v0, 3, v0
	s_delay_alu instid0(VALU_DEP_1)
	v_mov_b32_e32 v32, v0
	scratch_load_b64 v[0:1], v32, off offset:-8
	scratch_load_b64 v[2:3], off, off offset:80
	s_wait_loadcnt 0x1
	scratch_store_b64 off, v[0:1], off offset:80
	s_wait_loadcnt 0x0
	scratch_store_b64 v32, v[2:3], off offset:-8
.LBB13_104:
	v_mov_b32_e32 v0, 0
	global_load_b32 v1, v0, s[2:3] offset:36
	s_wait_loadcnt 0x0
	v_cmp_eq_u32_e32 vcc_lo, 10, v1
	s_cbranch_vccnz .LBB13_106
; %bb.105:
	v_lshlrev_b32_e32 v1, 3, v1
	s_delay_alu instid0(VALU_DEP_1)
	v_mov_b32_e32 v3, v1
	scratch_load_b64 v[1:2], v3, off offset:-8
	scratch_load_b64 v[32:33], off, off offset:72
	s_wait_loadcnt 0x1
	scratch_store_b64 off, v[1:2], off offset:72
	s_wait_loadcnt 0x0
	scratch_store_b64 v3, v[32:33], off offset:-8
.LBB13_106:
	global_load_b32 v0, v0, s[2:3] offset:32
	s_wait_loadcnt 0x0
	v_cmp_eq_u32_e32 vcc_lo, 9, v0
	s_cbranch_vccnz .LBB13_108
; %bb.107:
	v_lshlrev_b32_e32 v0, 3, v0
	s_delay_alu instid0(VALU_DEP_1)
	v_mov_b32_e32 v32, v0
	scratch_load_b64 v[0:1], v32, off offset:-8
	scratch_load_b64 v[2:3], off, off offset:64
	s_wait_loadcnt 0x1
	scratch_store_b64 off, v[0:1], off offset:64
	s_wait_loadcnt 0x0
	scratch_store_b64 v32, v[2:3], off offset:-8
.LBB13_108:
	;; [unrolled: 31-line block ×5, first 2 shown]
	v_mov_b32_e32 v0, 0
	global_load_b32 v1, v0, s[2:3] offset:4
	s_wait_loadcnt 0x0
	v_cmp_eq_u32_e32 vcc_lo, 2, v1
	s_cbranch_vccnz .LBB13_122
; %bb.121:
	v_lshlrev_b32_e32 v1, 3, v1
	s_delay_alu instid0(VALU_DEP_1)
	v_mov_b32_e32 v3, v1
	scratch_load_b64 v[1:2], v3, off offset:-8
	scratch_load_b64 v[32:33], off, off offset:8
	s_wait_loadcnt 0x1
	scratch_store_b64 off, v[1:2], off offset:8
	s_wait_loadcnt 0x0
	scratch_store_b64 v3, v[32:33], off offset:-8
.LBB13_122:
	global_load_b32 v0, v0, s[2:3]
	s_wait_loadcnt 0x0
	v_cmp_eq_u32_e32 vcc_lo, 1, v0
	s_cbranch_vccnz .LBB13_124
; %bb.123:
	v_lshlrev_b32_e32 v0, 3, v0
	s_delay_alu instid0(VALU_DEP_1)
	v_mov_b32_e32 v32, v0
	scratch_load_b64 v[0:1], v32, off offset:-8
	scratch_load_b64 v[2:3], off, off
	s_wait_loadcnt 0x1
	scratch_store_b64 off, v[0:1], off
	s_wait_loadcnt 0x0
	scratch_store_b64 v32, v[2:3], off offset:-8
.LBB13_124:
	s_clause 0x6
	scratch_load_b128 v[0:3], off, off
	scratch_load_b128 v[32:35], off, off offset:16
	scratch_load_b128 v[36:39], off, off offset:32
	;; [unrolled: 1-line block ×6, first 2 shown]
	s_wait_loadcnt 0x6
	s_clause 0x1
	global_store_b64 v[4:5], v[0:1], off
	global_store_b64 v[6:7], v[2:3], off
	s_wait_loadcnt 0x5
	s_clause 0x1
	global_store_b64 v[8:9], v[32:33], off
	global_store_b64 v[10:11], v[34:35], off
	;; [unrolled: 4-line block ×7, first 2 shown]
	s_endpgm
	.section	.rodata,"a",@progbits
	.p2align	6, 0x0
	.amdhsa_kernel _ZN9rocsolver6v33100L18getri_kernel_smallILi14E19rocblas_complex_numIfEPS3_EEvT1_iilPiilS6_bb
		.amdhsa_group_segment_fixed_size 228
		.amdhsa_private_segment_fixed_size 128
		.amdhsa_kernarg_size 60
		.amdhsa_user_sgpr_count 2
		.amdhsa_user_sgpr_dispatch_ptr 0
		.amdhsa_user_sgpr_queue_ptr 0
		.amdhsa_user_sgpr_kernarg_segment_ptr 1
		.amdhsa_user_sgpr_dispatch_id 0
		.amdhsa_user_sgpr_private_segment_size 0
		.amdhsa_wavefront_size32 1
		.amdhsa_uses_dynamic_stack 0
		.amdhsa_enable_private_segment 1
		.amdhsa_system_sgpr_workgroup_id_x 1
		.amdhsa_system_sgpr_workgroup_id_y 0
		.amdhsa_system_sgpr_workgroup_id_z 0
		.amdhsa_system_sgpr_workgroup_info 0
		.amdhsa_system_vgpr_workitem_id 0
		.amdhsa_next_free_vgpr 96
		.amdhsa_next_free_sgpr 19
		.amdhsa_reserve_vcc 1
		.amdhsa_float_round_mode_32 0
		.amdhsa_float_round_mode_16_64 0
		.amdhsa_float_denorm_mode_32 3
		.amdhsa_float_denorm_mode_16_64 3
		.amdhsa_fp16_overflow 0
		.amdhsa_workgroup_processor_mode 1
		.amdhsa_memory_ordered 1
		.amdhsa_forward_progress 1
		.amdhsa_inst_pref_size 100
		.amdhsa_round_robin_scheduling 0
		.amdhsa_exception_fp_ieee_invalid_op 0
		.amdhsa_exception_fp_denorm_src 0
		.amdhsa_exception_fp_ieee_div_zero 0
		.amdhsa_exception_fp_ieee_overflow 0
		.amdhsa_exception_fp_ieee_underflow 0
		.amdhsa_exception_fp_ieee_inexact 0
		.amdhsa_exception_int_div_zero 0
	.end_amdhsa_kernel
	.section	.text._ZN9rocsolver6v33100L18getri_kernel_smallILi14E19rocblas_complex_numIfEPS3_EEvT1_iilPiilS6_bb,"axG",@progbits,_ZN9rocsolver6v33100L18getri_kernel_smallILi14E19rocblas_complex_numIfEPS3_EEvT1_iilPiilS6_bb,comdat
.Lfunc_end13:
	.size	_ZN9rocsolver6v33100L18getri_kernel_smallILi14E19rocblas_complex_numIfEPS3_EEvT1_iilPiilS6_bb, .Lfunc_end13-_ZN9rocsolver6v33100L18getri_kernel_smallILi14E19rocblas_complex_numIfEPS3_EEvT1_iilPiilS6_bb
                                        ; -- End function
	.set _ZN9rocsolver6v33100L18getri_kernel_smallILi14E19rocblas_complex_numIfEPS3_EEvT1_iilPiilS6_bb.num_vgpr, 96
	.set _ZN9rocsolver6v33100L18getri_kernel_smallILi14E19rocblas_complex_numIfEPS3_EEvT1_iilPiilS6_bb.num_agpr, 0
	.set _ZN9rocsolver6v33100L18getri_kernel_smallILi14E19rocblas_complex_numIfEPS3_EEvT1_iilPiilS6_bb.numbered_sgpr, 19
	.set _ZN9rocsolver6v33100L18getri_kernel_smallILi14E19rocblas_complex_numIfEPS3_EEvT1_iilPiilS6_bb.num_named_barrier, 0
	.set _ZN9rocsolver6v33100L18getri_kernel_smallILi14E19rocblas_complex_numIfEPS3_EEvT1_iilPiilS6_bb.private_seg_size, 128
	.set _ZN9rocsolver6v33100L18getri_kernel_smallILi14E19rocblas_complex_numIfEPS3_EEvT1_iilPiilS6_bb.uses_vcc, 1
	.set _ZN9rocsolver6v33100L18getri_kernel_smallILi14E19rocblas_complex_numIfEPS3_EEvT1_iilPiilS6_bb.uses_flat_scratch, 1
	.set _ZN9rocsolver6v33100L18getri_kernel_smallILi14E19rocblas_complex_numIfEPS3_EEvT1_iilPiilS6_bb.has_dyn_sized_stack, 0
	.set _ZN9rocsolver6v33100L18getri_kernel_smallILi14E19rocblas_complex_numIfEPS3_EEvT1_iilPiilS6_bb.has_recursion, 0
	.set _ZN9rocsolver6v33100L18getri_kernel_smallILi14E19rocblas_complex_numIfEPS3_EEvT1_iilPiilS6_bb.has_indirect_call, 0
	.section	.AMDGPU.csdata,"",@progbits
; Kernel info:
; codeLenInByte = 12776
; TotalNumSgprs: 21
; NumVgprs: 96
; ScratchSize: 128
; MemoryBound: 0
; FloatMode: 240
; IeeeMode: 1
; LDSByteSize: 228 bytes/workgroup (compile time only)
; SGPRBlocks: 0
; VGPRBlocks: 11
; NumSGPRsForWavesPerEU: 21
; NumVGPRsForWavesPerEU: 96
; Occupancy: 16
; WaveLimiterHint : 1
; COMPUTE_PGM_RSRC2:SCRATCH_EN: 1
; COMPUTE_PGM_RSRC2:USER_SGPR: 2
; COMPUTE_PGM_RSRC2:TRAP_HANDLER: 0
; COMPUTE_PGM_RSRC2:TGID_X_EN: 1
; COMPUTE_PGM_RSRC2:TGID_Y_EN: 0
; COMPUTE_PGM_RSRC2:TGID_Z_EN: 0
; COMPUTE_PGM_RSRC2:TIDIG_COMP_CNT: 0
	.section	.text._ZN9rocsolver6v33100L18getri_kernel_smallILi15E19rocblas_complex_numIfEPS3_EEvT1_iilPiilS6_bb,"axG",@progbits,_ZN9rocsolver6v33100L18getri_kernel_smallILi15E19rocblas_complex_numIfEPS3_EEvT1_iilPiilS6_bb,comdat
	.globl	_ZN9rocsolver6v33100L18getri_kernel_smallILi15E19rocblas_complex_numIfEPS3_EEvT1_iilPiilS6_bb ; -- Begin function _ZN9rocsolver6v33100L18getri_kernel_smallILi15E19rocblas_complex_numIfEPS3_EEvT1_iilPiilS6_bb
	.p2align	8
	.type	_ZN9rocsolver6v33100L18getri_kernel_smallILi15E19rocblas_complex_numIfEPS3_EEvT1_iilPiilS6_bb,@function
_ZN9rocsolver6v33100L18getri_kernel_smallILi15E19rocblas_complex_numIfEPS3_EEvT1_iilPiilS6_bb: ; @_ZN9rocsolver6v33100L18getri_kernel_smallILi15E19rocblas_complex_numIfEPS3_EEvT1_iilPiilS6_bb
; %bb.0:
	s_mov_b32 s2, exec_lo
	v_cmpx_gt_u32_e32 15, v0
	s_cbranch_execz .LBB14_74
; %bb.1:
	s_clause 0x2
	s_load_b32 s2, s[0:1], 0x38
	s_load_b128 s[12:15], s[0:1], 0x10
	s_load_b128 s[4:7], s[0:1], 0x28
	s_mov_b32 s16, ttmp9
	s_wait_kmcnt 0x0
	s_bitcmp1_b32 s2, 8
	s_cselect_b32 s18, -1, 0
	s_bfe_u32 s2, s2, 0x10008
	s_ashr_i32 s17, ttmp9, 31
	s_cmp_eq_u32 s2, 0
                                        ; implicit-def: $sgpr2_sgpr3
	s_cbranch_scc1 .LBB14_3
; %bb.2:
	s_load_b32 s2, s[0:1], 0x20
	s_mul_u64 s[4:5], s[4:5], s[16:17]
	s_delay_alu instid0(SALU_CYCLE_1) | instskip(NEXT) | instid1(SALU_CYCLE_1)
	s_lshl_b64 s[4:5], s[4:5], 2
	s_add_nc_u64 s[4:5], s[14:15], s[4:5]
	s_wait_kmcnt 0x0
	s_ashr_i32 s3, s2, 31
	s_delay_alu instid0(SALU_CYCLE_1) | instskip(NEXT) | instid1(SALU_CYCLE_1)
	s_lshl_b64 s[2:3], s[2:3], 2
	s_add_nc_u64 s[2:3], s[4:5], s[2:3]
.LBB14_3:
	s_clause 0x1
	s_load_b128 s[8:11], s[0:1], 0x0
	s_load_b32 s4, s[0:1], 0x38
	s_mul_u64 s[0:1], s[12:13], s[16:17]
	v_lshlrev_b32_e32 v3, 3, v0
	s_lshl_b64 s[0:1], s[0:1], 3
	s_wait_kmcnt 0x0
	v_add3_u32 v1, s11, s11, v0
	s_ashr_i32 s13, s10, 31
	s_mov_b32 s12, s10
	s_add_nc_u64 s[0:1], s[8:9], s[0:1]
	s_lshl_b64 s[12:13], s[12:13], 3
	v_add_nc_u32_e32 v8, s11, v1
	v_ashrrev_i32_e32 v2, 31, v1
	s_add_nc_u64 s[0:1], s[0:1], s[12:13]
	s_ashr_i32 s9, s11, 31
	v_add_co_u32 v4, s5, s0, v3
	v_add_nc_u32_e32 v10, s11, v8
	s_mov_b32 s8, s11
	v_lshlrev_b64_e32 v[1:2], 3, v[1:2]
	v_add_co_ci_u32_e64 v5, null, s1, 0, s5
	v_ashrrev_i32_e32 v9, 31, v8
	s_lshl_b64 s[8:9], s[8:9], 3
	v_ashrrev_i32_e32 v11, 31, v10
	v_add_co_u32 v6, vcc_lo, v4, s8
	v_add_nc_u32_e32 v14, s11, v10
	v_add_co_ci_u32_e64 v7, null, s9, v5, vcc_lo
	v_lshlrev_b64_e32 v[12:13], 3, v[8:9]
	v_add_co_u32 v8, vcc_lo, s0, v1
	s_wait_alu 0xfffd
	v_add_co_ci_u32_e64 v9, null, s1, v2, vcc_lo
	v_lshlrev_b64_e32 v[1:2], 3, v[10:11]
	v_add_nc_u32_e32 v16, s11, v14
	v_add_co_u32 v10, vcc_lo, s0, v12
	s_wait_alu 0xfffd
	v_add_co_ci_u32_e64 v11, null, s1, v13, vcc_lo
	s_delay_alu instid0(VALU_DEP_4)
	v_add_co_u32 v12, vcc_lo, s0, v1
	v_add_nc_u32_e32 v1, s11, v16
	v_ashrrev_i32_e32 v15, 31, v14
	v_ashrrev_i32_e32 v17, 31, v16
	s_wait_alu 0xfffd
	v_add_co_ci_u32_e64 v13, null, s1, v2, vcc_lo
	v_ashrrev_i32_e32 v2, 31, v1
	v_lshlrev_b64_e32 v[14:15], 3, v[14:15]
	v_add_nc_u32_e32 v18, s11, v1
	v_lshlrev_b64_e32 v[16:17], 3, v[16:17]
	global_load_b64 v[34:35], v3, s[0:1]
	v_lshlrev_b64_e32 v[1:2], 3, v[1:2]
	s_clause 0x3
	global_load_b64 v[36:37], v[6:7], off
	global_load_b64 v[38:39], v[8:9], off
	;; [unrolled: 1-line block ×4, first 2 shown]
	v_ashrrev_i32_e32 v19, 31, v18
	v_add_nc_u32_e32 v22, s11, v18
	v_add_co_u32 v14, vcc_lo, s0, v14
	s_wait_alu 0xfffd
	v_add_co_ci_u32_e64 v15, null, s1, v15, vcc_lo
	v_add_co_u32 v16, vcc_lo, s0, v16
	s_wait_alu 0xfffd
	v_add_co_ci_u32_e64 v17, null, s1, v17, vcc_lo
	v_lshlrev_b64_e32 v[20:21], 3, v[18:19]
	v_add_co_u32 v18, vcc_lo, s0, v1
	v_add_nc_u32_e32 v1, s11, v22
	v_ashrrev_i32_e32 v23, 31, v22
	s_wait_alu 0xfffd
	v_add_co_ci_u32_e64 v19, null, s1, v2, vcc_lo
	v_add_co_u32 v20, vcc_lo, s0, v20
	v_add_nc_u32_e32 v24, s11, v1
	v_ashrrev_i32_e32 v2, 31, v1
	v_lshlrev_b64_e32 v[22:23], 3, v[22:23]
	s_wait_alu 0xfffd
	v_add_co_ci_u32_e64 v21, null, s1, v21, vcc_lo
	v_add_nc_u32_e32 v26, s11, v24
	v_lshlrev_b64_e32 v[1:2], 3, v[1:2]
	v_ashrrev_i32_e32 v25, 31, v24
	v_add_co_u32 v22, vcc_lo, s0, v22
	s_delay_alu instid0(VALU_DEP_4)
	v_add_nc_u32_e32 v30, s11, v26
	v_ashrrev_i32_e32 v27, 31, v26
	s_wait_alu 0xfffd
	v_add_co_ci_u32_e64 v23, null, s1, v23, vcc_lo
	v_lshlrev_b64_e32 v[28:29], 3, v[24:25]
	v_add_co_u32 v24, vcc_lo, s0, v1
	v_add_nc_u32_e32 v32, s11, v30
	s_wait_alu 0xfffd
	v_add_co_ci_u32_e64 v25, null, s1, v2, vcc_lo
	v_lshlrev_b64_e32 v[1:2], 3, v[26:27]
	v_ashrrev_i32_e32 v31, 31, v30
	v_ashrrev_i32_e32 v33, 31, v32
	v_add_co_u32 v26, vcc_lo, s0, v28
	s_wait_alu 0xfffd
	v_add_co_ci_u32_e64 v27, null, s1, v29, vcc_lo
	v_lshlrev_b64_e32 v[30:31], 3, v[30:31]
	v_add_co_u32 v28, vcc_lo, s0, v1
	s_wait_alu 0xfffd
	v_add_co_ci_u32_e64 v29, null, s1, v2, vcc_lo
	v_lshlrev_b64_e32 v[1:2], 3, v[32:33]
	s_delay_alu instid0(VALU_DEP_4)
	v_add_co_u32 v30, vcc_lo, s0, v30
	s_wait_alu 0xfffd
	v_add_co_ci_u32_e64 v31, null, s1, v31, vcc_lo
	s_clause 0x3
	global_load_b64 v[44:45], v[14:15], off
	global_load_b64 v[46:47], v[16:17], off
	;; [unrolled: 1-line block ×4, first 2 shown]
	v_add_co_u32 v32, vcc_lo, s0, v1
	s_wait_alu 0xfffd
	v_add_co_ci_u32_e64 v33, null, s1, v2, vcc_lo
	s_clause 0x5
	global_load_b64 v[52:53], v[22:23], off
	global_load_b64 v[54:55], v[24:25], off
	;; [unrolled: 1-line block ×6, first 2 shown]
	s_mov_b32 s1, -1
	s_bitcmp0_b32 s4, 0
	s_wait_loadcnt 0xd
	scratch_store_b128 off, v[34:37], off
	s_wait_loadcnt 0xb
	scratch_store_b128 off, v[38:41], off offset:16
	s_wait_loadcnt 0x9
	scratch_store_b128 off, v[42:45], off offset:32
	;; [unrolled: 2-line block ×6, first 2 shown]
	s_wait_loadcnt 0x0
	scratch_store_b64 off, v[1:2], off offset:112
	s_cbranch_scc1 .LBB14_72
; %bb.4:
	v_cmp_eq_u32_e64 s0, 0, v0
	s_and_saveexec_b32 s1, s0
; %bb.5:
	v_mov_b32_e32 v1, 0
	ds_store_b32 v1, v1 offset:120
; %bb.6:
	s_wait_alu 0xfffe
	s_or_b32 exec_lo, exec_lo, s1
	s_wait_storecnt_dscnt 0x0
	s_barrier_signal -1
	s_barrier_wait -1
	global_inv scope:SCOPE_SE
	scratch_load_b64 v[1:2], v3, off
	s_wait_loadcnt 0x0
	v_cmp_eq_f32_e32 vcc_lo, 0, v1
	v_cmp_eq_f32_e64 s1, 0, v2
	s_and_b32 s1, vcc_lo, s1
	s_wait_alu 0xfffe
	s_and_saveexec_b32 s4, s1
	s_cbranch_execz .LBB14_10
; %bb.7:
	v_mov_b32_e32 v1, 0
	s_mov_b32 s5, 0
	ds_load_b32 v2, v1 offset:120
	s_wait_dscnt 0x0
	v_readfirstlane_b32 s1, v2
	v_add_nc_u32_e32 v2, 1, v0
	s_cmp_eq_u32 s1, 0
	s_delay_alu instid0(VALU_DEP_1)
	v_cmp_gt_i32_e32 vcc_lo, s1, v2
	s_cselect_b32 s8, -1, 0
	s_wait_alu 0xfffe
	s_or_b32 s8, s8, vcc_lo
	s_wait_alu 0xfffe
	s_and_b32 exec_lo, exec_lo, s8
	s_cbranch_execz .LBB14_10
; %bb.8:
	v_mov_b32_e32 v34, s1
.LBB14_9:                               ; =>This Inner Loop Header: Depth=1
	ds_cmpstore_rtn_b32 v34, v1, v2, v34 offset:120
	s_wait_dscnt 0x0
	v_cmp_ne_u32_e32 vcc_lo, 0, v34
	v_cmp_le_i32_e64 s1, v34, v2
	s_and_b32 s1, vcc_lo, s1
	s_wait_alu 0xfffe
	s_and_b32 s1, exec_lo, s1
	s_wait_alu 0xfffe
	s_or_b32 s5, s1, s5
	s_wait_alu 0xfffe
	s_and_not1_b32 exec_lo, exec_lo, s5
	s_cbranch_execnz .LBB14_9
.LBB14_10:
	s_wait_alu 0xfffe
	s_or_b32 exec_lo, exec_lo, s4
	v_mov_b32_e32 v1, 0
	s_barrier_signal -1
	s_barrier_wait -1
	global_inv scope:SCOPE_SE
	ds_load_b32 v2, v1 offset:120
	s_and_saveexec_b32 s1, s0
	s_cbranch_execz .LBB14_12
; %bb.11:
	s_lshl_b64 s[4:5], s[16:17], 2
	s_wait_alu 0xfffe
	s_add_nc_u64 s[4:5], s[6:7], s[4:5]
	s_wait_dscnt 0x0
	global_store_b32 v1, v2, s[4:5]
.LBB14_12:
	s_wait_alu 0xfffe
	s_or_b32 exec_lo, exec_lo, s1
	s_wait_dscnt 0x0
	v_cmp_ne_u32_e32 vcc_lo, 0, v2
	s_mov_b32 s1, 0
	s_cbranch_vccnz .LBB14_72
; %bb.13:
	v_mov_b32_e32 v38, v3
                                        ; implicit-def: $vgpr34
                                        ; implicit-def: $vgpr36
	scratch_load_b64 v[1:2], v38, off
	s_wait_loadcnt 0x0
	v_cmp_ngt_f32_e64 s1, |v1|, |v2|
	s_wait_alu 0xfffe
	s_and_saveexec_b32 s4, s1
	s_wait_alu 0xfffe
	s_xor_b32 s1, exec_lo, s4
	s_cbranch_execz .LBB14_15
; %bb.14:
	v_div_scale_f32 v34, null, v2, v2, v1
	v_div_scale_f32 v37, vcc_lo, v1, v2, v1
	s_delay_alu instid0(VALU_DEP_2) | instskip(NEXT) | instid1(TRANS32_DEP_1)
	v_rcp_f32_e32 v35, v34
	v_fma_f32 v36, -v34, v35, 1.0
	s_delay_alu instid0(VALU_DEP_1) | instskip(NEXT) | instid1(VALU_DEP_1)
	v_fmac_f32_e32 v35, v36, v35
	v_mul_f32_e32 v36, v37, v35
	s_delay_alu instid0(VALU_DEP_1) | instskip(NEXT) | instid1(VALU_DEP_1)
	v_fma_f32 v39, -v34, v36, v37
	v_fmac_f32_e32 v36, v39, v35
	s_delay_alu instid0(VALU_DEP_1) | instskip(SKIP_1) | instid1(VALU_DEP_1)
	v_fma_f32 v34, -v34, v36, v37
	s_wait_alu 0xfffd
	v_div_fmas_f32 v34, v34, v35, v36
	s_delay_alu instid0(VALU_DEP_1) | instskip(NEXT) | instid1(VALU_DEP_1)
	v_div_fixup_f32 v34, v34, v2, v1
	v_fmac_f32_e32 v2, v1, v34
	s_delay_alu instid0(VALU_DEP_1) | instskip(NEXT) | instid1(VALU_DEP_1)
	v_div_scale_f32 v1, null, v2, v2, 1.0
	v_rcp_f32_e32 v35, v1
	s_delay_alu instid0(TRANS32_DEP_1) | instskip(NEXT) | instid1(VALU_DEP_1)
	v_fma_f32 v36, -v1, v35, 1.0
	v_fmac_f32_e32 v35, v36, v35
	v_div_scale_f32 v36, vcc_lo, 1.0, v2, 1.0
	s_delay_alu instid0(VALU_DEP_1) | instskip(NEXT) | instid1(VALU_DEP_1)
	v_mul_f32_e32 v37, v36, v35
	v_fma_f32 v39, -v1, v37, v36
	s_delay_alu instid0(VALU_DEP_1) | instskip(NEXT) | instid1(VALU_DEP_1)
	v_fmac_f32_e32 v37, v39, v35
	v_fma_f32 v1, -v1, v37, v36
	s_wait_alu 0xfffd
	s_delay_alu instid0(VALU_DEP_1) | instskip(NEXT) | instid1(VALU_DEP_1)
	v_div_fmas_f32 v1, v1, v35, v37
	v_div_fixup_f32 v1, v1, v2, 1.0
	s_delay_alu instid0(VALU_DEP_1) | instskip(SKIP_1) | instid1(VALU_DEP_2)
	v_mul_f32_e32 v34, v34, v1
	v_xor_b32_e32 v35, 0x80000000, v1
                                        ; implicit-def: $vgpr1_vgpr2
	v_xor_b32_e32 v36, 0x80000000, v34
.LBB14_15:
	s_wait_alu 0xfffe
	s_and_not1_saveexec_b32 s1, s1
	s_cbranch_execz .LBB14_17
; %bb.16:
	v_div_scale_f32 v34, null, v1, v1, v2
	v_div_scale_f32 v37, vcc_lo, v2, v1, v2
	s_delay_alu instid0(VALU_DEP_2) | instskip(NEXT) | instid1(TRANS32_DEP_1)
	v_rcp_f32_e32 v35, v34
	v_fma_f32 v36, -v34, v35, 1.0
	s_delay_alu instid0(VALU_DEP_1) | instskip(NEXT) | instid1(VALU_DEP_1)
	v_fmac_f32_e32 v35, v36, v35
	v_mul_f32_e32 v36, v37, v35
	s_delay_alu instid0(VALU_DEP_1) | instskip(NEXT) | instid1(VALU_DEP_1)
	v_fma_f32 v39, -v34, v36, v37
	v_fmac_f32_e32 v36, v39, v35
	s_delay_alu instid0(VALU_DEP_1) | instskip(SKIP_1) | instid1(VALU_DEP_1)
	v_fma_f32 v34, -v34, v36, v37
	s_wait_alu 0xfffd
	v_div_fmas_f32 v34, v34, v35, v36
	s_delay_alu instid0(VALU_DEP_1) | instskip(NEXT) | instid1(VALU_DEP_1)
	v_div_fixup_f32 v35, v34, v1, v2
	v_fmac_f32_e32 v1, v2, v35
	s_delay_alu instid0(VALU_DEP_1) | instskip(NEXT) | instid1(VALU_DEP_1)
	v_div_scale_f32 v2, null, v1, v1, 1.0
	v_rcp_f32_e32 v34, v2
	s_delay_alu instid0(TRANS32_DEP_1) | instskip(NEXT) | instid1(VALU_DEP_1)
	v_fma_f32 v36, -v2, v34, 1.0
	v_fmac_f32_e32 v34, v36, v34
	v_div_scale_f32 v37, vcc_lo, 1.0, v1, 1.0
	s_delay_alu instid0(VALU_DEP_1) | instskip(NEXT) | instid1(VALU_DEP_1)
	v_mul_f32_e32 v36, v37, v34
	v_fma_f32 v39, -v2, v36, v37
	s_delay_alu instid0(VALU_DEP_1) | instskip(NEXT) | instid1(VALU_DEP_1)
	v_fmac_f32_e32 v36, v39, v34
	v_fma_f32 v2, -v2, v36, v37
	s_wait_alu 0xfffd
	s_delay_alu instid0(VALU_DEP_1) | instskip(NEXT) | instid1(VALU_DEP_1)
	v_div_fmas_f32 v2, v2, v34, v36
	v_div_fixup_f32 v34, v2, v1, 1.0
	s_delay_alu instid0(VALU_DEP_1)
	v_xor_b32_e32 v36, 0x80000000, v34
	v_mul_f32_e64 v35, v35, -v34
.LBB14_17:
	s_wait_alu 0xfffe
	s_or_b32 exec_lo, exec_lo, s1
	scratch_store_b64 v38, v[34:35], off
	scratch_load_b64 v[39:40], off, off offset:8
	v_xor_b32_e32 v37, 0x80000000, v35
	v_add_nc_u32_e32 v1, 0x80, v3
	s_wait_loadcnt 0x0
	ds_store_2addr_b64 v3, v[36:37], v[39:40] offset1:16
	s_wait_storecnt_dscnt 0x0
	s_barrier_signal -1
	s_barrier_wait -1
	global_inv scope:SCOPE_SE
	s_and_saveexec_b32 s1, s0
	s_cbranch_execz .LBB14_19
; %bb.18:
	scratch_load_b64 v[34:35], v38, off
	ds_load_b64 v[36:37], v1
	v_mov_b32_e32 v2, 0
	ds_load_b64 v[39:40], v2 offset:8
	s_wait_loadcnt_dscnt 0x1
	v_mul_f32_e32 v2, v36, v35
	v_mul_f32_e32 v35, v37, v35
	s_delay_alu instid0(VALU_DEP_2) | instskip(NEXT) | instid1(VALU_DEP_2)
	v_fmac_f32_e32 v2, v37, v34
	v_fma_f32 v34, v36, v34, -v35
	s_delay_alu instid0(VALU_DEP_2) | instskip(NEXT) | instid1(VALU_DEP_2)
	v_add_f32_e32 v2, 0, v2
	v_add_f32_e32 v34, 0, v34
	s_wait_dscnt 0x0
	s_delay_alu instid0(VALU_DEP_2) | instskip(NEXT) | instid1(VALU_DEP_2)
	v_mul_f32_e32 v36, v2, v40
	v_mul_f32_e32 v35, v34, v40
	s_delay_alu instid0(VALU_DEP_1) | instskip(NEXT) | instid1(VALU_DEP_3)
	v_fmac_f32_e32 v35, v2, v39
	v_fma_f32 v34, v34, v39, -v36
	scratch_store_b64 off, v[34:35], off offset:8
.LBB14_19:
	s_wait_alu 0xfffe
	s_or_b32 exec_lo, exec_lo, s1
	s_wait_loadcnt 0x0
	s_wait_storecnt 0x0
	s_barrier_signal -1
	s_barrier_wait -1
	global_inv scope:SCOPE_SE
	scratch_load_b64 v[34:35], off, off offset:16
	s_mov_b32 s1, exec_lo
	s_wait_loadcnt 0x0
	ds_store_b64 v1, v[34:35]
	s_wait_dscnt 0x0
	s_barrier_signal -1
	s_barrier_wait -1
	global_inv scope:SCOPE_SE
	v_cmpx_gt_u32_e32 2, v0
	s_cbranch_execz .LBB14_23
; %bb.20:
	scratch_load_b64 v[34:35], v38, off
	ds_load_b64 v[36:37], v1
	s_wait_loadcnt_dscnt 0x0
	v_mul_f32_e32 v2, v37, v35
	s_delay_alu instid0(VALU_DEP_1) | instskip(SKIP_1) | instid1(VALU_DEP_1)
	v_fma_f32 v2, v36, v34, -v2
	v_mul_f32_e32 v35, v36, v35
	v_fmac_f32_e32 v35, v37, v34
	s_delay_alu instid0(VALU_DEP_3) | instskip(NEXT) | instid1(VALU_DEP_2)
	v_add_f32_e32 v34, 0, v2
	v_add_f32_e32 v2, 0, v35
	s_and_saveexec_b32 s4, s0
	s_cbranch_execz .LBB14_22
; %bb.21:
	scratch_load_b64 v[35:36], off, off offset:8
	v_mov_b32_e32 v37, 0
	ds_load_b64 v[39:40], v37 offset:136
	s_wait_loadcnt_dscnt 0x0
	v_mul_f32_e32 v37, v39, v36
	v_mul_f32_e32 v36, v40, v36
	s_delay_alu instid0(VALU_DEP_2) | instskip(NEXT) | instid1(VALU_DEP_2)
	v_fmac_f32_e32 v37, v40, v35
	v_fma_f32 v35, v39, v35, -v36
	s_delay_alu instid0(VALU_DEP_2) | instskip(NEXT) | instid1(VALU_DEP_2)
	v_add_f32_e32 v2, v2, v37
	v_add_f32_e32 v34, v34, v35
.LBB14_22:
	s_wait_alu 0xfffe
	s_or_b32 exec_lo, exec_lo, s4
	v_mov_b32_e32 v35, 0
	ds_load_b64 v[35:36], v35 offset:16
	s_wait_dscnt 0x0
	v_mul_f32_e32 v39, v2, v36
	v_mul_f32_e32 v37, v34, v36
	s_delay_alu instid0(VALU_DEP_2) | instskip(NEXT) | instid1(VALU_DEP_2)
	v_fma_f32 v36, v34, v35, -v39
	v_fmac_f32_e32 v37, v2, v35
	scratch_store_b64 off, v[36:37], off offset:16
.LBB14_23:
	s_wait_alu 0xfffe
	s_or_b32 exec_lo, exec_lo, s1
	s_wait_loadcnt 0x0
	s_wait_storecnt 0x0
	s_barrier_signal -1
	s_barrier_wait -1
	global_inv scope:SCOPE_SE
	scratch_load_b64 v[34:35], off, off offset:24
	v_add_nc_u32_e32 v2, -1, v0
	s_mov_b32 s0, exec_lo
	s_wait_loadcnt 0x0
	ds_store_b64 v1, v[34:35]
	s_wait_dscnt 0x0
	s_barrier_signal -1
	s_barrier_wait -1
	global_inv scope:SCOPE_SE
	v_cmpx_gt_u32_e32 3, v0
	s_cbranch_execz .LBB14_27
; %bb.24:
	v_dual_mov_b32 v34, 0 :: v_dual_add_nc_u32 v35, -1, v0
	v_dual_mov_b32 v37, v3 :: v_dual_add_nc_u32 v36, 0x80, v3
	v_mov_b32_e32 v39, 0
	s_mov_b32 s1, 0
.LBB14_25:                              ; =>This Inner Loop Header: Depth=1
	scratch_load_b64 v[40:41], v37, off
	ds_load_b64 v[42:43], v36
	v_add_nc_u32_e32 v37, 8, v37
	v_add_nc_u32_e32 v35, 1, v35
	v_add_nc_u32_e32 v36, 8, v36
	s_delay_alu instid0(VALU_DEP_2)
	v_cmp_lt_u32_e32 vcc_lo, 1, v35
	s_wait_alu 0xfffe
	s_or_b32 s1, vcc_lo, s1
	s_wait_loadcnt_dscnt 0x0
	v_mul_f32_e32 v44, v43, v41
	v_mul_f32_e32 v41, v42, v41
	s_delay_alu instid0(VALU_DEP_2) | instskip(NEXT) | instid1(VALU_DEP_2)
	v_fma_f32 v42, v42, v40, -v44
	v_fmac_f32_e32 v41, v43, v40
	s_delay_alu instid0(VALU_DEP_1)
	v_dual_add_f32 v39, v39, v42 :: v_dual_add_f32 v34, v34, v41
	s_wait_alu 0xfffe
	s_and_not1_b32 exec_lo, exec_lo, s1
	s_cbranch_execnz .LBB14_25
; %bb.26:
	s_or_b32 exec_lo, exec_lo, s1
	v_mov_b32_e32 v35, 0
	ds_load_b64 v[35:36], v35 offset:24
	s_wait_dscnt 0x0
	v_mul_f32_e32 v40, v34, v36
	v_mul_f32_e32 v37, v39, v36
	s_delay_alu instid0(VALU_DEP_2) | instskip(NEXT) | instid1(VALU_DEP_2)
	v_fma_f32 v36, v39, v35, -v40
	v_fmac_f32_e32 v37, v34, v35
	scratch_store_b64 off, v[36:37], off offset:24
.LBB14_27:
	s_wait_alu 0xfffe
	s_or_b32 exec_lo, exec_lo, s0
	s_wait_loadcnt 0x0
	s_wait_storecnt 0x0
	s_barrier_signal -1
	s_barrier_wait -1
	global_inv scope:SCOPE_SE
	scratch_load_b64 v[34:35], off, off offset:32
	s_mov_b32 s0, exec_lo
	s_wait_loadcnt 0x0
	ds_store_b64 v1, v[34:35]
	s_wait_dscnt 0x0
	s_barrier_signal -1
	s_barrier_wait -1
	global_inv scope:SCOPE_SE
	v_cmpx_gt_u32_e32 4, v0
	s_cbranch_execz .LBB14_31
; %bb.28:
	v_dual_mov_b32 v34, 0 :: v_dual_add_nc_u32 v35, -1, v0
	v_dual_mov_b32 v37, v3 :: v_dual_add_nc_u32 v36, 0x80, v3
	v_mov_b32_e32 v39, 0
	s_mov_b32 s1, 0
.LBB14_29:                              ; =>This Inner Loop Header: Depth=1
	scratch_load_b64 v[40:41], v37, off
	ds_load_b64 v[42:43], v36
	v_add_nc_u32_e32 v37, 8, v37
	v_add_nc_u32_e32 v35, 1, v35
	v_add_nc_u32_e32 v36, 8, v36
	s_delay_alu instid0(VALU_DEP_2)
	v_cmp_lt_u32_e32 vcc_lo, 2, v35
	s_wait_alu 0xfffe
	s_or_b32 s1, vcc_lo, s1
	s_wait_loadcnt_dscnt 0x0
	v_mul_f32_e32 v44, v43, v41
	v_mul_f32_e32 v41, v42, v41
	s_delay_alu instid0(VALU_DEP_2) | instskip(NEXT) | instid1(VALU_DEP_2)
	v_fma_f32 v42, v42, v40, -v44
	v_fmac_f32_e32 v41, v43, v40
	s_delay_alu instid0(VALU_DEP_1)
	v_dual_add_f32 v39, v39, v42 :: v_dual_add_f32 v34, v34, v41
	s_wait_alu 0xfffe
	s_and_not1_b32 exec_lo, exec_lo, s1
	s_cbranch_execnz .LBB14_29
; %bb.30:
	s_or_b32 exec_lo, exec_lo, s1
	v_mov_b32_e32 v35, 0
	ds_load_b64 v[35:36], v35 offset:32
	s_wait_dscnt 0x0
	v_mul_f32_e32 v40, v34, v36
	v_mul_f32_e32 v37, v39, v36
	s_delay_alu instid0(VALU_DEP_2) | instskip(NEXT) | instid1(VALU_DEP_2)
	v_fma_f32 v36, v39, v35, -v40
	v_fmac_f32_e32 v37, v34, v35
	scratch_store_b64 off, v[36:37], off offset:32
.LBB14_31:
	s_wait_alu 0xfffe
	s_or_b32 exec_lo, exec_lo, s0
	s_wait_loadcnt 0x0
	s_wait_storecnt 0x0
	s_barrier_signal -1
	s_barrier_wait -1
	global_inv scope:SCOPE_SE
	scratch_load_b64 v[34:35], off, off offset:40
	;; [unrolled: 55-line block ×10, first 2 shown]
	s_mov_b32 s0, exec_lo
	s_wait_loadcnt 0x0
	ds_store_b64 v1, v[34:35]
	s_wait_dscnt 0x0
	s_barrier_signal -1
	s_barrier_wait -1
	global_inv scope:SCOPE_SE
	v_cmpx_gt_u32_e32 13, v0
	s_cbranch_execz .LBB14_67
; %bb.64:
	v_add_nc_u32_e32 v34, -1, v0
	v_dual_mov_b32 v36, v3 :: v_dual_add_nc_u32 v35, 0x80, v3
	v_mov_b32_e32 v3, 0
	v_mov_b32_e32 v37, 0
	s_mov_b32 s1, 0
.LBB14_65:                              ; =>This Inner Loop Header: Depth=1
	scratch_load_b64 v[39:40], v36, off
	ds_load_b64 v[41:42], v35
	v_add_nc_u32_e32 v36, 8, v36
	v_add_nc_u32_e32 v34, 1, v34
	;; [unrolled: 1-line block ×3, first 2 shown]
	s_delay_alu instid0(VALU_DEP_2)
	v_cmp_lt_u32_e32 vcc_lo, 11, v34
	s_wait_alu 0xfffe
	s_or_b32 s1, vcc_lo, s1
	s_wait_loadcnt_dscnt 0x0
	v_mul_f32_e32 v43, v42, v40
	v_mul_f32_e32 v40, v41, v40
	s_delay_alu instid0(VALU_DEP_2) | instskip(NEXT) | instid1(VALU_DEP_1)
	v_fma_f32 v41, v41, v39, -v43
	v_dual_fmac_f32 v40, v42, v39 :: v_dual_add_f32 v37, v37, v41
	s_delay_alu instid0(VALU_DEP_1)
	v_add_f32_e32 v3, v3, v40
	s_wait_alu 0xfffe
	s_and_not1_b32 exec_lo, exec_lo, s1
	s_cbranch_execnz .LBB14_65
; %bb.66:
	s_or_b32 exec_lo, exec_lo, s1
	v_mov_b32_e32 v34, 0
	ds_load_b64 v[34:35], v34 offset:104
	s_wait_dscnt 0x0
	v_mul_f32_e32 v39, v3, v35
	v_mul_f32_e32 v36, v37, v35
	s_delay_alu instid0(VALU_DEP_2) | instskip(NEXT) | instid1(VALU_DEP_2)
	v_fma_f32 v35, v37, v34, -v39
	v_fmac_f32_e32 v36, v3, v34
	scratch_store_b64 off, v[35:36], off offset:104
.LBB14_67:
	s_wait_alu 0xfffe
	s_or_b32 exec_lo, exec_lo, s0
	s_wait_loadcnt 0x0
	s_wait_storecnt 0x0
	s_barrier_signal -1
	s_barrier_wait -1
	global_inv scope:SCOPE_SE
	scratch_load_b64 v[34:35], off, off offset:112
	s_mov_b32 s0, exec_lo
	s_wait_loadcnt 0x0
	ds_store_b64 v1, v[34:35]
	s_wait_dscnt 0x0
	s_barrier_signal -1
	s_barrier_wait -1
	global_inv scope:SCOPE_SE
	v_cmpx_ne_u32_e32 14, v0
	s_cbranch_execz .LBB14_71
; %bb.68:
	v_dual_mov_b32 v3, 0 :: v_dual_mov_b32 v34, 0
	s_mov_b32 s1, 0
.LBB14_69:                              ; =>This Inner Loop Header: Depth=1
	scratch_load_b64 v[35:36], v38, off
	ds_load_b64 v[39:40], v1
	v_add_nc_u32_e32 v2, 1, v2
	v_add_nc_u32_e32 v1, 8, v1
	s_delay_alu instid0(VALU_DEP_2)
	v_cmp_lt_u32_e32 vcc_lo, 12, v2
	s_wait_alu 0xfffe
	s_or_b32 s1, vcc_lo, s1
	s_wait_loadcnt_dscnt 0x0
	v_mul_f32_e32 v37, v40, v36
	v_mul_f32_e32 v36, v39, v36
	s_delay_alu instid0(VALU_DEP_2) | instskip(NEXT) | instid1(VALU_DEP_2)
	v_fma_f32 v37, v39, v35, -v37
	v_fmac_f32_e32 v36, v40, v35
	v_add_nc_u32_e32 v38, 8, v38
	s_delay_alu instid0(VALU_DEP_2)
	v_dual_add_f32 v34, v34, v37 :: v_dual_add_f32 v3, v3, v36
	s_wait_alu 0xfffe
	s_and_not1_b32 exec_lo, exec_lo, s1
	s_cbranch_execnz .LBB14_69
; %bb.70:
	s_or_b32 exec_lo, exec_lo, s1
	v_mov_b32_e32 v1, 0
	ds_load_b64 v[1:2], v1 offset:112
	s_wait_dscnt 0x0
	v_mul_f32_e32 v36, v3, v2
	v_mul_f32_e32 v35, v34, v2
	s_delay_alu instid0(VALU_DEP_2) | instskip(NEXT) | instid1(VALU_DEP_2)
	v_fma_f32 v34, v34, v1, -v36
	v_fmac_f32_e32 v35, v3, v1
	scratch_store_b64 off, v[34:35], off offset:112
.LBB14_71:
	s_wait_alu 0xfffe
	s_or_b32 exec_lo, exec_lo, s0
	s_mov_b32 s1, -1
	s_wait_loadcnt 0x0
	s_wait_storecnt 0x0
	s_barrier_signal -1
	s_barrier_wait -1
	global_inv scope:SCOPE_SE
.LBB14_72:
	s_wait_alu 0xfffe
	s_and_b32 vcc_lo, exec_lo, s1
	s_wait_alu 0xfffe
	s_cbranch_vccz .LBB14_74
; %bb.73:
	v_mov_b32_e32 v1, 0
	s_lshl_b64 s[0:1], s[16:17], 2
	s_wait_alu 0xfffe
	s_add_nc_u64 s[0:1], s[6:7], s[0:1]
	global_load_b32 v1, v1, s[0:1]
	s_wait_loadcnt 0x0
	v_cmp_ne_u32_e32 vcc_lo, 0, v1
	s_cbranch_vccz .LBB14_75
.LBB14_74:
	s_nop 0
	s_sendmsg sendmsg(MSG_DEALLOC_VGPRS)
	s_endpgm
.LBB14_75:
	v_lshl_add_u32 v3, v0, 3, 0x80
	s_mov_b32 s0, exec_lo
	v_cmpx_eq_u32_e32 14, v0
	s_cbranch_execz .LBB14_77
; %bb.76:
	scratch_load_b64 v[1:2], off, off offset:104
	v_mov_b32_e32 v34, 0
	s_delay_alu instid0(VALU_DEP_1)
	v_mov_b32_e32 v35, v34
	scratch_store_b64 off, v[34:35], off offset:104
	s_wait_loadcnt 0x0
	ds_store_b64 v3, v[1:2]
.LBB14_77:
	s_wait_alu 0xfffe
	s_or_b32 exec_lo, exec_lo, s0
	s_wait_storecnt_dscnt 0x0
	s_barrier_signal -1
	s_barrier_wait -1
	global_inv scope:SCOPE_SE
	s_clause 0x1
	scratch_load_b64 v[34:35], off, off offset:112
	scratch_load_b64 v[36:37], off, off offset:104
	v_mov_b32_e32 v1, 0
	s_mov_b32 s0, exec_lo
	ds_load_b64 v[38:39], v1 offset:240
	s_wait_loadcnt_dscnt 0x100
	v_mul_f32_e32 v2, v39, v35
	s_delay_alu instid0(VALU_DEP_1) | instskip(NEXT) | instid1(VALU_DEP_1)
	v_fma_f32 v2, v38, v34, -v2
	v_dual_mul_f32 v35, v38, v35 :: v_dual_add_f32 v2, 0, v2
	s_delay_alu instid0(VALU_DEP_1) | instskip(SKIP_1) | instid1(VALU_DEP_1)
	v_fmac_f32_e32 v35, v39, v34
	s_wait_loadcnt 0x0
	v_dual_sub_f32 v34, v36, v2 :: v_dual_add_f32 v35, 0, v35
	s_delay_alu instid0(VALU_DEP_1)
	v_sub_f32_e32 v35, v37, v35
	scratch_store_b64 off, v[34:35], off offset:104
	v_cmpx_lt_u32_e32 12, v0
	s_cbranch_execz .LBB14_79
; %bb.78:
	scratch_load_b64 v[34:35], off, off offset:96
	v_mov_b32_e32 v2, v1
	scratch_store_b64 off, v[1:2], off offset:96
	s_wait_loadcnt 0x0
	ds_store_b64 v3, v[34:35]
.LBB14_79:
	s_wait_alu 0xfffe
	s_or_b32 exec_lo, exec_lo, s0
	s_wait_storecnt_dscnt 0x0
	s_barrier_signal -1
	s_barrier_wait -1
	global_inv scope:SCOPE_SE
	s_clause 0x1
	scratch_load_b128 v[34:37], off, off offset:104
	scratch_load_b64 v[42:43], off, off offset:96
	ds_load_2addr_b64 v[38:41], v1 offset0:29 offset1:30
	s_mov_b32 s0, exec_lo
	s_wait_loadcnt_dscnt 0x100
	v_mul_f32_e32 v2, v38, v35
	s_delay_alu instid0(VALU_DEP_1) | instskip(SKIP_2) | instid1(VALU_DEP_1)
	v_fmac_f32_e32 v2, v39, v34
	v_mul_f32_e32 v1, v39, v35
	v_mul_f32_e32 v35, v40, v37
	v_dual_fmac_f32 v35, v41, v36 :: v_dual_add_f32 v2, 0, v2
	v_mul_f32_e32 v37, v41, v37
	s_delay_alu instid0(VALU_DEP_4) | instskip(NEXT) | instid1(VALU_DEP_3)
	v_fma_f32 v1, v38, v34, -v1
	v_add_f32_e32 v2, v2, v35
	s_delay_alu instid0(VALU_DEP_3) | instskip(SKIP_1) | instid1(VALU_DEP_2)
	v_fma_f32 v34, v40, v36, -v37
	s_wait_loadcnt 0x0
	v_dual_add_f32 v1, 0, v1 :: v_dual_sub_f32 v2, v43, v2
	s_delay_alu instid0(VALU_DEP_1) | instskip(NEXT) | instid1(VALU_DEP_1)
	v_add_f32_e32 v1, v1, v34
	v_sub_f32_e32 v1, v42, v1
	scratch_store_b64 off, v[1:2], off offset:96
	v_cmpx_lt_u32_e32 11, v0
	s_cbranch_execz .LBB14_81
; %bb.80:
	scratch_load_b64 v[1:2], off, off offset:88
	v_mov_b32_e32 v34, 0
	s_delay_alu instid0(VALU_DEP_1)
	v_mov_b32_e32 v35, v34
	scratch_store_b64 off, v[34:35], off offset:88
	s_wait_loadcnt 0x0
	ds_store_b64 v3, v[1:2]
.LBB14_81:
	s_wait_alu 0xfffe
	s_or_b32 exec_lo, exec_lo, s0
	s_wait_storecnt_dscnt 0x0
	s_barrier_signal -1
	s_barrier_wait -1
	global_inv scope:SCOPE_SE
	s_clause 0x2
	scratch_load_b128 v[34:37], off, off offset:96
	scratch_load_b64 v[42:43], off, off offset:112
	scratch_load_b64 v[44:45], off, off offset:88
	v_mov_b32_e32 v1, 0
	ds_load_b128 v[38:41], v1 offset:224
	ds_load_b64 v[46:47], v1 offset:240
	s_mov_b32 s0, exec_lo
	s_wait_loadcnt_dscnt 0x201
	v_mul_f32_e32 v2, v39, v35
	v_dual_mul_f32 v35, v38, v35 :: v_dual_mul_f32 v48, v40, v37
	v_mul_f32_e32 v37, v41, v37
	s_wait_loadcnt_dscnt 0x100
	v_mul_f32_e32 v49, v46, v43
	v_fma_f32 v2, v38, v34, -v2
	s_delay_alu instid0(VALU_DEP_2) | instskip(NEXT) | instid1(VALU_DEP_2)
	v_dual_fmac_f32 v48, v41, v36 :: v_dual_fmac_f32 v49, v47, v42
	v_add_f32_e32 v2, 0, v2
	v_fmac_f32_e32 v35, v39, v34
	v_mul_f32_e32 v34, v47, v43
	v_fma_f32 v36, v40, v36, -v37
	s_delay_alu instid0(VALU_DEP_2) | instskip(NEXT) | instid1(VALU_DEP_2)
	v_fma_f32 v34, v46, v42, -v34
	v_dual_add_f32 v2, v2, v36 :: v_dual_add_f32 v35, 0, v35
	s_delay_alu instid0(VALU_DEP_1) | instskip(SKIP_1) | instid1(VALU_DEP_1)
	v_dual_add_f32 v2, v2, v34 :: v_dual_add_f32 v35, v35, v48
	s_wait_loadcnt 0x0
	v_dual_sub_f32 v34, v44, v2 :: v_dual_add_f32 v35, v35, v49
	s_delay_alu instid0(VALU_DEP_1)
	v_sub_f32_e32 v35, v45, v35
	scratch_store_b64 off, v[34:35], off offset:88
	v_cmpx_lt_u32_e32 10, v0
	s_cbranch_execz .LBB14_83
; %bb.82:
	scratch_load_b64 v[34:35], off, off offset:80
	v_mov_b32_e32 v2, v1
	scratch_store_b64 off, v[1:2], off offset:80
	s_wait_loadcnt 0x0
	ds_store_b64 v3, v[34:35]
.LBB14_83:
	s_wait_alu 0xfffe
	s_or_b32 exec_lo, exec_lo, s0
	s_wait_storecnt_dscnt 0x0
	s_barrier_signal -1
	s_barrier_wait -1
	global_inv scope:SCOPE_SE
	s_clause 0x2
	scratch_load_b128 v[34:37], off, off offset:88
	scratch_load_b128 v[38:41], off, off offset:104
	scratch_load_b64 v[50:51], off, off offset:80
	ds_load_2addr_b64 v[42:45], v1 offset0:27 offset1:28
	ds_load_2addr_b64 v[46:49], v1 offset0:29 offset1:30
	s_mov_b32 s0, exec_lo
	s_wait_loadcnt_dscnt 0x201
	v_mul_f32_e32 v2, v43, v35
	s_wait_loadcnt_dscnt 0x100
	v_dual_mul_f32 v52, v46, v39 :: v_dual_mul_f32 v53, v48, v41
	s_delay_alu instid0(VALU_DEP_2) | instskip(SKIP_2) | instid1(VALU_DEP_4)
	v_fma_f32 v2, v42, v34, -v2
	v_mul_f32_e32 v1, v42, v35
	v_mul_f32_e32 v35, v44, v37
	v_dual_mul_f32 v37, v45, v37 :: v_dual_fmac_f32 v52, v47, v38
	s_delay_alu instid0(VALU_DEP_4) | instskip(NEXT) | instid1(VALU_DEP_4)
	v_add_f32_e32 v2, 0, v2
	v_fmac_f32_e32 v1, v43, v34
	s_delay_alu instid0(VALU_DEP_4) | instskip(NEXT) | instid1(VALU_DEP_4)
	v_dual_mul_f32 v34, v47, v39 :: v_dual_fmac_f32 v35, v45, v36
	v_fma_f32 v36, v44, v36, -v37
	v_fmac_f32_e32 v53, v49, v40
	s_delay_alu instid0(VALU_DEP_3) | instskip(NEXT) | instid1(VALU_DEP_3)
	v_fma_f32 v34, v46, v38, -v34
	v_dual_add_f32 v2, v2, v36 :: v_dual_add_f32 v1, 0, v1
	s_delay_alu instid0(VALU_DEP_1) | instskip(NEXT) | instid1(VALU_DEP_2)
	v_dual_add_f32 v2, v2, v34 :: v_dual_mul_f32 v37, v49, v41
	v_add_f32_e32 v1, v1, v35
	s_delay_alu instid0(VALU_DEP_2) | instskip(NEXT) | instid1(VALU_DEP_1)
	v_fma_f32 v35, v48, v40, -v37
	v_dual_add_f32 v1, v1, v52 :: v_dual_add_f32 v2, v2, v35
	s_wait_loadcnt 0x0
	s_delay_alu instid0(VALU_DEP_1) | instskip(NEXT) | instid1(VALU_DEP_1)
	v_dual_add_f32 v34, v1, v53 :: v_dual_sub_f32 v1, v50, v2
	v_sub_f32_e32 v2, v51, v34
	scratch_store_b64 off, v[1:2], off offset:80
	v_cmpx_lt_u32_e32 9, v0
	s_cbranch_execz .LBB14_85
; %bb.84:
	scratch_load_b64 v[1:2], off, off offset:72
	v_mov_b32_e32 v34, 0
	s_delay_alu instid0(VALU_DEP_1)
	v_mov_b32_e32 v35, v34
	scratch_store_b64 off, v[34:35], off offset:72
	s_wait_loadcnt 0x0
	ds_store_b64 v3, v[1:2]
.LBB14_85:
	s_wait_alu 0xfffe
	s_or_b32 exec_lo, exec_lo, s0
	s_wait_storecnt_dscnt 0x0
	s_barrier_signal -1
	s_barrier_wait -1
	global_inv scope:SCOPE_SE
	s_clause 0x3
	scratch_load_b128 v[34:37], off, off offset:80
	scratch_load_b128 v[38:41], off, off offset:96
	scratch_load_b64 v[50:51], off, off offset:112
	scratch_load_b64 v[52:53], off, off offset:72
	v_mov_b32_e32 v1, 0
	ds_load_b128 v[42:45], v1 offset:208
	ds_load_b128 v[46:49], v1 offset:224
	ds_load_b64 v[54:55], v1 offset:240
	s_mov_b32 s0, exec_lo
	s_wait_loadcnt_dscnt 0x302
	v_mul_f32_e32 v2, v42, v35
	v_dual_mul_f32 v56, v44, v37 :: v_dual_mul_f32 v35, v43, v35
	s_wait_loadcnt_dscnt 0x100
	v_mul_f32_e32 v59, v54, v51
	v_dual_mul_f32 v57, v46, v39 :: v_dual_mul_f32 v58, v48, v41
	v_dual_fmac_f32 v2, v43, v34 :: v_dual_mul_f32 v37, v45, v37
	v_fma_f32 v35, v42, v34, -v35
	v_fmac_f32_e32 v56, v45, v36
	v_mul_f32_e32 v34, v47, v39
	s_delay_alu instid0(VALU_DEP_4) | instskip(SKIP_3) | instid1(VALU_DEP_4)
	v_add_f32_e32 v2, 0, v2
	v_fma_f32 v36, v44, v36, -v37
	v_add_f32_e32 v35, 0, v35
	v_mul_f32_e32 v37, v49, v41
	v_dual_fmac_f32 v57, v47, v38 :: v_dual_add_f32 v2, v2, v56
	v_dual_fmac_f32 v58, v49, v40 :: v_dual_fmac_f32 v59, v55, v50
	s_delay_alu instid0(VALU_DEP_4) | instskip(SKIP_1) | instid1(VALU_DEP_4)
	v_add_f32_e32 v35, v35, v36
	v_fma_f32 v34, v46, v38, -v34
	v_add_f32_e32 v2, v2, v57
	v_fma_f32 v37, v48, v40, -v37
	s_delay_alu instid0(VALU_DEP_3) | instskip(NEXT) | instid1(VALU_DEP_3)
	v_add_f32_e32 v34, v35, v34
	v_add_f32_e32 v2, v2, v58
	s_delay_alu instid0(VALU_DEP_2) | instskip(NEXT) | instid1(VALU_DEP_2)
	v_add_f32_e32 v34, v34, v37
	v_add_f32_e32 v2, v2, v59
	v_mul_f32_e32 v36, v55, v51
	s_delay_alu instid0(VALU_DEP_1) | instskip(SKIP_1) | instid1(VALU_DEP_1)
	v_fma_f32 v35, v54, v50, -v36
	s_wait_loadcnt 0x0
	v_dual_add_f32 v34, v34, v35 :: v_dual_sub_f32 v35, v53, v2
	s_delay_alu instid0(VALU_DEP_1)
	v_sub_f32_e32 v34, v52, v34
	scratch_store_b64 off, v[34:35], off offset:72
	v_cmpx_lt_u32_e32 8, v0
	s_cbranch_execz .LBB14_87
; %bb.86:
	scratch_load_b64 v[34:35], off, off offset:64
	v_mov_b32_e32 v2, v1
	scratch_store_b64 off, v[1:2], off offset:64
	s_wait_loadcnt 0x0
	ds_store_b64 v3, v[34:35]
.LBB14_87:
	s_wait_alu 0xfffe
	s_or_b32 exec_lo, exec_lo, s0
	s_wait_storecnt_dscnt 0x0
	s_barrier_signal -1
	s_barrier_wait -1
	global_inv scope:SCOPE_SE
	s_clause 0x3
	scratch_load_b128 v[34:37], off, off offset:72
	scratch_load_b128 v[38:41], off, off offset:88
	;; [unrolled: 1-line block ×3, first 2 shown]
	scratch_load_b64 v[58:59], off, off offset:64
	ds_load_2addr_b64 v[46:49], v1 offset0:25 offset1:26
	ds_load_2addr_b64 v[50:53], v1 offset0:27 offset1:28
	;; [unrolled: 1-line block ×3, first 2 shown]
	s_mov_b32 s0, exec_lo
	s_wait_loadcnt_dscnt 0x302
	v_dual_mul_f32 v1, v46, v35 :: v_dual_mul_f32 v2, v48, v37
	v_mul_f32_e32 v35, v47, v35
	s_wait_loadcnt_dscnt 0x201
	v_dual_mul_f32 v37, v49, v37 :: v_dual_mul_f32 v60, v50, v39
	s_delay_alu instid0(VALU_DEP_3) | instskip(NEXT) | instid1(VALU_DEP_3)
	v_dual_mul_f32 v61, v52, v41 :: v_dual_fmac_f32 v2, v49, v36
	v_fma_f32 v35, v46, v34, -v35
	v_fmac_f32_e32 v1, v47, v34
	v_mul_f32_e32 v34, v51, v39
	v_fma_f32 v36, v48, v36, -v37
	s_delay_alu instid0(VALU_DEP_4)
	v_dual_fmac_f32 v60, v51, v38 :: v_dual_add_f32 v35, 0, v35
	s_wait_loadcnt_dscnt 0x100
	v_dual_mul_f32 v62, v54, v43 :: v_dual_mul_f32 v63, v56, v45
	v_fma_f32 v34, v50, v38, -v34
	v_fmac_f32_e32 v61, v53, v40
	v_add_f32_e32 v35, v35, v36
	s_delay_alu instid0(VALU_DEP_4) | instskip(NEXT) | instid1(VALU_DEP_2)
	v_dual_mul_f32 v37, v53, v41 :: v_dual_fmac_f32 v62, v55, v42
	v_dual_fmac_f32 v63, v57, v44 :: v_dual_add_f32 v34, v35, v34
	s_delay_alu instid0(VALU_DEP_2) | instskip(NEXT) | instid1(VALU_DEP_1)
	v_fma_f32 v36, v52, v40, -v37
	v_dual_mul_f32 v35, v57, v45 :: v_dual_add_f32 v34, v34, v36
	v_add_f32_e32 v1, 0, v1
	s_delay_alu instid0(VALU_DEP_2) | instskip(NEXT) | instid1(VALU_DEP_2)
	v_fma_f32 v35, v56, v44, -v35
	v_dual_add_f32 v1, v1, v2 :: v_dual_mul_f32 v2, v55, v43
	s_delay_alu instid0(VALU_DEP_1) | instskip(NEXT) | instid1(VALU_DEP_1)
	v_fma_f32 v2, v54, v42, -v2
	v_add_f32_e32 v2, v34, v2
	s_delay_alu instid0(VALU_DEP_1) | instskip(NEXT) | instid1(VALU_DEP_1)
	v_dual_add_f32 v2, v2, v35 :: v_dual_add_f32 v1, v1, v60
	v_add_f32_e32 v1, v1, v61
	s_delay_alu instid0(VALU_DEP_1) | instskip(SKIP_1) | instid1(VALU_DEP_1)
	v_add_f32_e32 v1, v1, v62
	s_wait_loadcnt 0x0
	v_dual_add_f32 v34, v1, v63 :: v_dual_sub_f32 v1, v58, v2
	s_delay_alu instid0(VALU_DEP_1)
	v_sub_f32_e32 v2, v59, v34
	scratch_store_b64 off, v[1:2], off offset:64
	v_cmpx_lt_u32_e32 7, v0
	s_cbranch_execz .LBB14_89
; %bb.88:
	scratch_load_b64 v[1:2], off, off offset:56
	v_mov_b32_e32 v34, 0
	s_delay_alu instid0(VALU_DEP_1)
	v_mov_b32_e32 v35, v34
	scratch_store_b64 off, v[34:35], off offset:56
	s_wait_loadcnt 0x0
	ds_store_b64 v3, v[1:2]
.LBB14_89:
	s_wait_alu 0xfffe
	s_or_b32 exec_lo, exec_lo, s0
	s_wait_storecnt_dscnt 0x0
	s_barrier_signal -1
	s_barrier_wait -1
	global_inv scope:SCOPE_SE
	s_clause 0x4
	scratch_load_b128 v[34:37], off, off offset:64
	scratch_load_b128 v[38:41], off, off offset:80
	;; [unrolled: 1-line block ×3, first 2 shown]
	scratch_load_b64 v[58:59], off, off offset:112
	scratch_load_b64 v[60:61], off, off offset:56
	v_mov_b32_e32 v1, 0
	ds_load_b128 v[46:49], v1 offset:192
	ds_load_b128 v[50:53], v1 offset:208
	;; [unrolled: 1-line block ×3, first 2 shown]
	ds_load_b64 v[62:63], v1 offset:240
	s_mov_b32 s0, exec_lo
	s_wait_loadcnt_dscnt 0x403
	v_mul_f32_e32 v2, v46, v35
	s_wait_loadcnt_dscnt 0x302
	v_dual_mul_f32 v64, v48, v37 :: v_dual_mul_f32 v65, v50, v39
	v_dual_mul_f32 v66, v52, v41 :: v_dual_mul_f32 v35, v47, v35
	s_wait_loadcnt_dscnt 0x100
	v_dual_mul_f32 v69, v62, v59 :: v_dual_fmac_f32 v2, v47, v34
	v_mul_f32_e32 v37, v49, v37
	v_dual_mul_f32 v67, v54, v43 :: v_dual_mul_f32 v68, v56, v45
	v_fma_f32 v35, v46, v34, -v35
	v_fmac_f32_e32 v64, v49, v36
	v_add_f32_e32 v2, 0, v2
	v_mul_f32_e32 v34, v51, v39
	v_fma_f32 v36, v48, v36, -v37
	v_add_f32_e32 v35, 0, v35
	v_mul_f32_e32 v37, v53, v41
	v_dual_fmac_f32 v65, v51, v38 :: v_dual_add_f32 v2, v2, v64
	v_dual_fmac_f32 v66, v53, v40 :: v_dual_fmac_f32 v67, v55, v42
	s_delay_alu instid0(VALU_DEP_4) | instskip(SKIP_1) | instid1(VALU_DEP_4)
	v_add_f32_e32 v35, v35, v36
	v_fma_f32 v34, v50, v38, -v34
	v_add_f32_e32 v2, v2, v65
	v_mul_f32_e32 v36, v55, v43
	v_fma_f32 v37, v52, v40, -v37
	v_dual_fmac_f32 v68, v57, v44 :: v_dual_fmac_f32 v69, v63, v58
	s_delay_alu instid0(VALU_DEP_4) | instskip(SKIP_2) | instid1(VALU_DEP_3)
	v_add_f32_e32 v2, v2, v66
	v_dual_add_f32 v34, v35, v34 :: v_dual_mul_f32 v35, v57, v45
	v_fma_f32 v36, v54, v42, -v36
	v_add_f32_e32 v2, v2, v67
	s_delay_alu instid0(VALU_DEP_3) | instskip(NEXT) | instid1(VALU_DEP_4)
	v_dual_add_f32 v34, v34, v37 :: v_dual_mul_f32 v37, v63, v59
	v_fma_f32 v35, v56, v44, -v35
	s_delay_alu instid0(VALU_DEP_3) | instskip(NEXT) | instid1(VALU_DEP_1)
	v_add_f32_e32 v2, v2, v68
	v_add_f32_e32 v2, v2, v69
	s_delay_alu instid0(VALU_DEP_4) | instskip(SKIP_2) | instid1(VALU_DEP_2)
	v_add_f32_e32 v34, v34, v36
	v_fma_f32 v36, v62, v58, -v37
	s_wait_loadcnt 0x0
	v_dual_add_f32 v34, v34, v35 :: v_dual_sub_f32 v35, v61, v2
	s_delay_alu instid0(VALU_DEP_1) | instskip(NEXT) | instid1(VALU_DEP_1)
	v_add_f32_e32 v34, v34, v36
	v_sub_f32_e32 v34, v60, v34
	scratch_store_b64 off, v[34:35], off offset:56
	v_cmpx_lt_u32_e32 6, v0
	s_cbranch_execz .LBB14_91
; %bb.90:
	scratch_load_b64 v[34:35], off, off offset:48
	v_mov_b32_e32 v2, v1
	scratch_store_b64 off, v[1:2], off offset:48
	s_wait_loadcnt 0x0
	ds_store_b64 v3, v[34:35]
.LBB14_91:
	s_wait_alu 0xfffe
	s_or_b32 exec_lo, exec_lo, s0
	s_wait_storecnt_dscnt 0x0
	s_barrier_signal -1
	s_barrier_wait -1
	global_inv scope:SCOPE_SE
	s_clause 0x4
	scratch_load_b128 v[34:37], off, off offset:56
	scratch_load_b128 v[38:41], off, off offset:72
	scratch_load_b128 v[42:45], off, off offset:88
	scratch_load_b128 v[46:49], off, off offset:104
	scratch_load_b64 v[66:67], off, off offset:48
	ds_load_2addr_b64 v[50:53], v1 offset0:23 offset1:24
	ds_load_2addr_b64 v[54:57], v1 offset0:25 offset1:26
	;; [unrolled: 1-line block ×4, first 2 shown]
	s_mov_b32 s0, exec_lo
	s_wait_loadcnt_dscnt 0x403
	v_dual_mul_f32 v1, v50, v35 :: v_dual_mul_f32 v2, v52, v37
	v_mul_f32_e32 v35, v51, v35
	s_wait_loadcnt_dscnt 0x302
	v_dual_mul_f32 v37, v53, v37 :: v_dual_mul_f32 v68, v54, v39
	s_delay_alu instid0(VALU_DEP_3) | instskip(NEXT) | instid1(VALU_DEP_3)
	v_dual_mul_f32 v69, v56, v41 :: v_dual_fmac_f32 v2, v53, v36
	v_fma_f32 v35, v50, v34, -v35
	v_fmac_f32_e32 v1, v51, v34
	v_mul_f32_e32 v34, v55, v39
	v_fma_f32 v36, v52, v36, -v37
	s_delay_alu instid0(VALU_DEP_4)
	v_dual_fmac_f32 v68, v55, v38 :: v_dual_add_f32 v35, 0, v35
	s_wait_loadcnt_dscnt 0x201
	v_dual_mul_f32 v70, v58, v43 :: v_dual_mul_f32 v71, v60, v45
	v_fma_f32 v34, v54, v38, -v34
	s_wait_loadcnt_dscnt 0x100
	v_dual_mul_f32 v72, v62, v47 :: v_dual_mul_f32 v73, v64, v49
	v_add_f32_e32 v35, v35, v36
	v_mul_f32_e32 v37, v57, v41
	v_dual_fmac_f32 v69, v57, v40 :: v_dual_fmac_f32 v70, v59, v42
	s_delay_alu instid0(VALU_DEP_3) | instskip(NEXT) | instid1(VALU_DEP_3)
	v_dual_fmac_f32 v73, v65, v48 :: v_dual_add_f32 v34, v35, v34
	v_fma_f32 v36, v56, v40, -v37
	v_fmac_f32_e32 v72, v63, v46
	s_delay_alu instid0(VALU_DEP_2) | instskip(NEXT) | instid1(VALU_DEP_1)
	v_dual_add_f32 v34, v34, v36 :: v_dual_add_f32 v1, 0, v1
	v_dual_mul_f32 v36, v63, v47 :: v_dual_add_f32 v1, v1, v2
	v_mul_f32_e32 v2, v59, v43
	s_delay_alu instid0(VALU_DEP_2) | instskip(SKIP_1) | instid1(VALU_DEP_4)
	v_fma_f32 v36, v62, v46, -v36
	v_mul_f32_e32 v35, v61, v45
	v_add_f32_e32 v1, v1, v68
	s_delay_alu instid0(VALU_DEP_4) | instskip(NEXT) | instid1(VALU_DEP_3)
	v_fma_f32 v2, v58, v42, -v2
	v_fma_f32 v35, v60, v44, -v35
	s_delay_alu instid0(VALU_DEP_2) | instskip(SKIP_1) | instid1(VALU_DEP_2)
	v_dual_add_f32 v2, v34, v2 :: v_dual_add_f32 v1, v1, v69
	v_mul_f32_e32 v34, v65, v49
	v_dual_add_f32 v2, v2, v35 :: v_dual_add_f32 v1, v1, v70
	s_delay_alu instid0(VALU_DEP_2) | instskip(NEXT) | instid1(VALU_DEP_2)
	v_fma_f32 v34, v64, v48, -v34
	v_add_f32_e32 v2, v2, v36
	s_delay_alu instid0(VALU_DEP_1) | instskip(NEXT) | instid1(VALU_DEP_1)
	v_dual_fmac_f32 v71, v61, v44 :: v_dual_add_f32 v2, v2, v34
	v_add_f32_e32 v1, v1, v71
	s_delay_alu instid0(VALU_DEP_1) | instskip(SKIP_1) | instid1(VALU_DEP_1)
	v_add_f32_e32 v1, v1, v72
	s_wait_loadcnt 0x0
	v_dual_add_f32 v34, v1, v73 :: v_dual_sub_f32 v1, v66, v2
	s_delay_alu instid0(VALU_DEP_1)
	v_sub_f32_e32 v2, v67, v34
	scratch_store_b64 off, v[1:2], off offset:48
	v_cmpx_lt_u32_e32 5, v0
	s_cbranch_execz .LBB14_93
; %bb.92:
	scratch_load_b64 v[1:2], off, off offset:40
	v_mov_b32_e32 v34, 0
	s_delay_alu instid0(VALU_DEP_1)
	v_mov_b32_e32 v35, v34
	scratch_store_b64 off, v[34:35], off offset:40
	s_wait_loadcnt 0x0
	ds_store_b64 v3, v[1:2]
.LBB14_93:
	s_wait_alu 0xfffe
	s_or_b32 exec_lo, exec_lo, s0
	s_wait_storecnt_dscnt 0x0
	s_barrier_signal -1
	s_barrier_wait -1
	global_inv scope:SCOPE_SE
	s_clause 0x5
	scratch_load_b128 v[34:37], off, off offset:48
	scratch_load_b128 v[38:41], off, off offset:64
	;; [unrolled: 1-line block ×4, first 2 shown]
	scratch_load_b64 v[66:67], off, off offset:112
	scratch_load_b64 v[68:69], off, off offset:40
	v_mov_b32_e32 v1, 0
	ds_load_b128 v[50:53], v1 offset:176
	ds_load_b128 v[54:57], v1 offset:192
	;; [unrolled: 1-line block ×4, first 2 shown]
	ds_load_b64 v[70:71], v1 offset:240
	s_mov_b32 s0, exec_lo
	s_wait_loadcnt_dscnt 0x504
	v_mul_f32_e32 v2, v50, v35
	s_wait_loadcnt_dscnt 0x302
	v_dual_mul_f32 v35, v51, v35 :: v_dual_mul_f32 v76, v60, v45
	v_dual_mul_f32 v72, v52, v37 :: v_dual_mul_f32 v73, v54, v39
	s_wait_loadcnt_dscnt 0x100
	v_dual_mul_f32 v79, v70, v67 :: v_dual_fmac_f32 v2, v51, v34
	v_mul_f32_e32 v37, v53, v37
	v_fma_f32 v35, v50, v34, -v35
	v_mul_f32_e32 v34, v55, v39
	v_fmac_f32_e32 v72, v53, v36
	v_add_f32_e32 v2, 0, v2
	v_fma_f32 v36, v52, v36, -v37
	v_add_f32_e32 v35, 0, v35
	v_mul_f32_e32 v37, v57, v41
	s_delay_alu instid0(VALU_DEP_4) | instskip(SKIP_1) | instid1(VALU_DEP_4)
	v_dual_fmac_f32 v73, v55, v38 :: v_dual_add_f32 v2, v2, v72
	v_fma_f32 v34, v54, v38, -v34
	v_dual_add_f32 v35, v35, v36 :: v_dual_mul_f32 v74, v56, v41
	v_mul_f32_e32 v75, v58, v43
	v_mul_f32_e32 v36, v59, v43
	v_fma_f32 v37, v56, v40, -v37
	v_add_f32_e32 v2, v2, v73
	v_add_f32_e32 v34, v35, v34
	v_dual_fmac_f32 v74, v57, v40 :: v_dual_fmac_f32 v75, v59, v42
	v_mul_f32_e32 v35, v61, v45
	v_fma_f32 v36, v58, v42, -v36
	s_delay_alu instid0(VALU_DEP_4) | instskip(NEXT) | instid1(VALU_DEP_4)
	v_dual_add_f32 v34, v34, v37 :: v_dual_mul_f32 v37, v63, v47
	v_add_f32_e32 v2, v2, v74
	s_delay_alu instid0(VALU_DEP_4) | instskip(SKIP_1) | instid1(VALU_DEP_4)
	v_fma_f32 v35, v60, v44, -v35
	v_dual_mul_f32 v77, v62, v47 :: v_dual_mul_f32 v78, v64, v49
	v_dual_add_f32 v34, v34, v36 :: v_dual_fmac_f32 v79, v71, v66
	s_delay_alu instid0(VALU_DEP_2) | instskip(SKIP_1) | instid1(VALU_DEP_3)
	v_dual_fmac_f32 v76, v61, v44 :: v_dual_fmac_f32 v77, v63, v46
	v_mul_f32_e32 v36, v65, v49
	v_add_f32_e32 v34, v34, v35
	v_mul_f32_e32 v35, v71, v67
	v_add_f32_e32 v2, v2, v75
	v_fma_f32 v37, v62, v46, -v37
	v_fmac_f32_e32 v78, v65, v48
	v_fma_f32 v36, v64, v48, -v36
	v_fma_f32 v35, v70, v66, -v35
	v_add_f32_e32 v2, v2, v76
	v_add_f32_e32 v34, v34, v37
	s_delay_alu instid0(VALU_DEP_2) | instskip(NEXT) | instid1(VALU_DEP_2)
	v_add_f32_e32 v2, v2, v77
	v_add_f32_e32 v34, v34, v36
	s_delay_alu instid0(VALU_DEP_2) | instskip(NEXT) | instid1(VALU_DEP_2)
	v_add_f32_e32 v2, v2, v78
	v_add_f32_e32 v34, v34, v35
	s_delay_alu instid0(VALU_DEP_2) | instskip(SKIP_1) | instid1(VALU_DEP_2)
	v_add_f32_e32 v2, v2, v79
	s_wait_loadcnt 0x0
	v_sub_f32_e32 v34, v68, v34
	s_delay_alu instid0(VALU_DEP_2)
	v_sub_f32_e32 v35, v69, v2
	scratch_store_b64 off, v[34:35], off offset:40
	v_cmpx_lt_u32_e32 4, v0
	s_cbranch_execz .LBB14_95
; %bb.94:
	scratch_load_b64 v[34:35], off, off offset:32
	v_mov_b32_e32 v2, v1
	scratch_store_b64 off, v[1:2], off offset:32
	s_wait_loadcnt 0x0
	ds_store_b64 v3, v[34:35]
.LBB14_95:
	s_wait_alu 0xfffe
	s_or_b32 exec_lo, exec_lo, s0
	s_wait_storecnt_dscnt 0x0
	s_barrier_signal -1
	s_barrier_wait -1
	global_inv scope:SCOPE_SE
	s_clause 0x5
	scratch_load_b128 v[34:37], off, off offset:40
	scratch_load_b128 v[38:41], off, off offset:56
	;; [unrolled: 1-line block ×5, first 2 shown]
	scratch_load_b64 v[74:75], off, off offset:32
	ds_load_2addr_b64 v[54:57], v1 offset0:21 offset1:22
	ds_load_2addr_b64 v[58:61], v1 offset0:23 offset1:24
	;; [unrolled: 1-line block ×5, first 2 shown]
	s_mov_b32 s0, exec_lo
	s_wait_loadcnt_dscnt 0x504
	v_dual_mul_f32 v1, v54, v35 :: v_dual_mul_f32 v2, v56, v37
	v_mul_f32_e32 v35, v55, v35
	s_wait_loadcnt_dscnt 0x403
	v_dual_mul_f32 v37, v57, v37 :: v_dual_mul_f32 v76, v58, v39
	s_delay_alu instid0(VALU_DEP_3) | instskip(NEXT) | instid1(VALU_DEP_3)
	v_dual_mul_f32 v77, v60, v41 :: v_dual_fmac_f32 v2, v57, v36
	v_fma_f32 v35, v54, v34, -v35
	v_fmac_f32_e32 v1, v55, v34
	v_mul_f32_e32 v34, v59, v39
	v_fma_f32 v36, v56, v36, -v37
	s_delay_alu instid0(VALU_DEP_4)
	v_dual_fmac_f32 v76, v59, v38 :: v_dual_add_f32 v35, 0, v35
	s_wait_loadcnt_dscnt 0x302
	v_dual_mul_f32 v78, v62, v43 :: v_dual_mul_f32 v79, v64, v45
	v_fma_f32 v34, v58, v38, -v34
	s_wait_loadcnt_dscnt 0x201
	v_dual_mul_f32 v80, v66, v47 :: v_dual_mul_f32 v81, v68, v49
	v_add_f32_e32 v35, v35, v36
	v_mul_f32_e32 v37, v61, v41
	v_dual_fmac_f32 v77, v61, v40 :: v_dual_fmac_f32 v78, v63, v42
	s_wait_loadcnt_dscnt 0x100
	v_dual_mul_f32 v82, v70, v51 :: v_dual_mul_f32 v83, v72, v53
	v_add_f32_e32 v34, v35, v34
	v_fma_f32 v36, v60, v40, -v37
	s_delay_alu instid0(VALU_DEP_3) | instskip(NEXT) | instid1(VALU_DEP_4)
	v_dual_fmac_f32 v79, v65, v44 :: v_dual_fmac_f32 v82, v71, v50
	v_dual_fmac_f32 v83, v73, v52 :: v_dual_fmac_f32 v80, v67, v46
	s_delay_alu instid0(VALU_DEP_3) | instskip(NEXT) | instid1(VALU_DEP_1)
	v_dual_add_f32 v34, v34, v36 :: v_dual_add_f32 v1, 0, v1
	v_dual_mul_f32 v36, v67, v47 :: v_dual_add_f32 v1, v1, v2
	v_mul_f32_e32 v2, v63, v43
	s_delay_alu instid0(VALU_DEP_2) | instskip(SKIP_1) | instid1(VALU_DEP_4)
	v_fma_f32 v36, v66, v46, -v36
	v_mul_f32_e32 v35, v65, v45
	v_add_f32_e32 v1, v1, v76
	s_delay_alu instid0(VALU_DEP_4) | instskip(NEXT) | instid1(VALU_DEP_3)
	v_fma_f32 v2, v62, v42, -v2
	v_fma_f32 v35, v64, v44, -v35
	s_delay_alu instid0(VALU_DEP_2) | instskip(SKIP_1) | instid1(VALU_DEP_2)
	v_dual_add_f32 v2, v34, v2 :: v_dual_add_f32 v1, v1, v77
	v_mul_f32_e32 v34, v69, v49
	v_add_f32_e32 v2, v2, v35
	v_mul_f32_e32 v35, v71, v51
	s_delay_alu instid0(VALU_DEP_3) | instskip(NEXT) | instid1(VALU_DEP_3)
	v_fma_f32 v34, v68, v48, -v34
	v_add_f32_e32 v2, v2, v36
	v_fmac_f32_e32 v81, v69, v48
	v_mul_f32_e32 v36, v73, v53
	v_fma_f32 v35, v70, v50, -v35
	s_delay_alu instid0(VALU_DEP_4) | instskip(SKIP_1) | instid1(VALU_DEP_4)
	v_add_f32_e32 v2, v2, v34
	v_add_f32_e32 v1, v1, v78
	v_fma_f32 v34, v72, v52, -v36
	s_delay_alu instid0(VALU_DEP_3) | instskip(NEXT) | instid1(VALU_DEP_1)
	v_add_f32_e32 v2, v2, v35
	v_dual_add_f32 v1, v1, v79 :: v_dual_add_f32 v2, v2, v34
	s_delay_alu instid0(VALU_DEP_1) | instskip(NEXT) | instid1(VALU_DEP_1)
	v_add_f32_e32 v1, v1, v80
	v_add_f32_e32 v1, v1, v81
	s_delay_alu instid0(VALU_DEP_1) | instskip(SKIP_1) | instid1(VALU_DEP_1)
	v_add_f32_e32 v1, v1, v82
	s_wait_loadcnt 0x0
	v_dual_add_f32 v34, v1, v83 :: v_dual_sub_f32 v1, v74, v2
	s_delay_alu instid0(VALU_DEP_1)
	v_sub_f32_e32 v2, v75, v34
	scratch_store_b64 off, v[1:2], off offset:32
	v_cmpx_lt_u32_e32 3, v0
	s_cbranch_execz .LBB14_97
; %bb.96:
	scratch_load_b64 v[1:2], off, off offset:24
	v_mov_b32_e32 v34, 0
	s_delay_alu instid0(VALU_DEP_1)
	v_mov_b32_e32 v35, v34
	scratch_store_b64 off, v[34:35], off offset:24
	s_wait_loadcnt 0x0
	ds_store_b64 v3, v[1:2]
.LBB14_97:
	s_wait_alu 0xfffe
	s_or_b32 exec_lo, exec_lo, s0
	s_wait_storecnt_dscnt 0x0
	s_barrier_signal -1
	s_barrier_wait -1
	global_inv scope:SCOPE_SE
	s_clause 0x6
	scratch_load_b128 v[34:37], off, off offset:32
	scratch_load_b128 v[38:41], off, off offset:48
	;; [unrolled: 1-line block ×5, first 2 shown]
	scratch_load_b64 v[74:75], off, off offset:112
	scratch_load_b64 v[76:77], off, off offset:24
	v_mov_b32_e32 v1, 0
	ds_load_b128 v[54:57], v1 offset:160
	ds_load_b128 v[58:61], v1 offset:176
	;; [unrolled: 1-line block ×5, first 2 shown]
	ds_load_b64 v[78:79], v1 offset:240
	s_mov_b32 s0, exec_lo
	s_wait_loadcnt_dscnt 0x605
	v_mul_f32_e32 v2, v54, v35
	v_dual_mul_f32 v35, v55, v35 :: v_dual_mul_f32 v80, v56, v37
	s_wait_loadcnt_dscnt 0x302
	v_dual_mul_f32 v81, v58, v39 :: v_dual_mul_f32 v86, v68, v49
	s_wait_loadcnt_dscnt 0x100
	v_dual_mul_f32 v89, v78, v75 :: v_dual_fmac_f32 v2, v55, v34
	v_mul_f32_e32 v37, v57, v37
	v_fma_f32 v35, v54, v34, -v35
	v_mul_f32_e32 v34, v59, v39
	v_fmac_f32_e32 v80, v57, v36
	v_add_f32_e32 v2, 0, v2
	v_fma_f32 v36, v56, v36, -v37
	v_add_f32_e32 v35, 0, v35
	v_mul_f32_e32 v37, v61, v41
	s_delay_alu instid0(VALU_DEP_4) | instskip(SKIP_1) | instid1(VALU_DEP_4)
	v_dual_fmac_f32 v81, v59, v38 :: v_dual_add_f32 v2, v2, v80
	v_fma_f32 v34, v58, v38, -v34
	v_dual_add_f32 v35, v35, v36 :: v_dual_mul_f32 v82, v60, v41
	v_mul_f32_e32 v83, v62, v43
	v_mul_f32_e32 v36, v63, v43
	v_fma_f32 v37, v60, v40, -v37
	v_add_f32_e32 v2, v2, v81
	v_add_f32_e32 v34, v35, v34
	v_dual_fmac_f32 v82, v61, v40 :: v_dual_fmac_f32 v83, v63, v42
	v_mul_f32_e32 v35, v65, v45
	v_fma_f32 v36, v62, v42, -v36
	s_delay_alu instid0(VALU_DEP_4) | instskip(SKIP_4) | instid1(VALU_DEP_3)
	v_dual_add_f32 v34, v34, v37 :: v_dual_mul_f32 v37, v67, v47
	v_dual_mul_f32 v84, v64, v45 :: v_dual_mul_f32 v85, v66, v47
	v_dual_mul_f32 v87, v70, v51 :: v_dual_mul_f32 v88, v72, v53
	v_add_f32_e32 v2, v2, v82
	v_fma_f32 v35, v64, v44, -v35
	v_dual_add_f32 v34, v34, v36 :: v_dual_fmac_f32 v87, v71, v50
	v_dual_fmac_f32 v84, v65, v44 :: v_dual_fmac_f32 v85, v67, v46
	v_mul_f32_e32 v36, v69, v49
	s_delay_alu instid0(VALU_DEP_3)
	v_add_f32_e32 v34, v34, v35
	v_mul_f32_e32 v35, v71, v51
	v_dual_add_f32 v2, v2, v83 :: v_dual_fmac_f32 v89, v79, v74
	v_fma_f32 v37, v66, v46, -v37
	v_fmac_f32_e32 v86, v69, v48
	v_fma_f32 v36, v68, v48, -v36
	s_delay_alu instid0(VALU_DEP_4)
	v_add_f32_e32 v2, v2, v84
	v_fma_f32 v35, v70, v50, -v35
	v_add_f32_e32 v34, v34, v37
	v_mul_f32_e32 v37, v73, v53
	v_fmac_f32_e32 v88, v73, v52
	v_add_f32_e32 v2, v2, v85
	s_delay_alu instid0(VALU_DEP_4) | instskip(SKIP_2) | instid1(VALU_DEP_4)
	v_add_f32_e32 v34, v34, v36
	v_mul_f32_e32 v36, v79, v75
	v_fma_f32 v37, v72, v52, -v37
	v_add_f32_e32 v2, v2, v86
	s_delay_alu instid0(VALU_DEP_4) | instskip(NEXT) | instid1(VALU_DEP_4)
	v_add_f32_e32 v34, v34, v35
	v_fma_f32 v35, v78, v74, -v36
	s_delay_alu instid0(VALU_DEP_3) | instskip(NEXT) | instid1(VALU_DEP_3)
	v_add_f32_e32 v2, v2, v87
	v_add_f32_e32 v34, v34, v37
	s_delay_alu instid0(VALU_DEP_2) | instskip(NEXT) | instid1(VALU_DEP_2)
	v_add_f32_e32 v2, v2, v88
	v_add_f32_e32 v34, v34, v35
	s_delay_alu instid0(VALU_DEP_2) | instskip(SKIP_1) | instid1(VALU_DEP_2)
	v_add_f32_e32 v2, v2, v89
	s_wait_loadcnt 0x0
	v_sub_f32_e32 v34, v76, v34
	s_delay_alu instid0(VALU_DEP_2)
	v_sub_f32_e32 v35, v77, v2
	scratch_store_b64 off, v[34:35], off offset:24
	v_cmpx_lt_u32_e32 2, v0
	s_cbranch_execz .LBB14_99
; %bb.98:
	scratch_load_b64 v[34:35], off, off offset:16
	v_mov_b32_e32 v2, v1
	scratch_store_b64 off, v[1:2], off offset:16
	s_wait_loadcnt 0x0
	ds_store_b64 v3, v[34:35]
.LBB14_99:
	s_wait_alu 0xfffe
	s_or_b32 exec_lo, exec_lo, s0
	s_wait_storecnt_dscnt 0x0
	s_barrier_signal -1
	s_barrier_wait -1
	global_inv scope:SCOPE_SE
	s_clause 0x6
	scratch_load_b128 v[34:37], off, off offset:24
	scratch_load_b128 v[38:41], off, off offset:40
	;; [unrolled: 1-line block ×6, first 2 shown]
	scratch_load_b64 v[82:83], off, off offset:16
	ds_load_2addr_b64 v[58:61], v1 offset0:19 offset1:20
	ds_load_2addr_b64 v[62:65], v1 offset0:21 offset1:22
	;; [unrolled: 1-line block ×6, first 2 shown]
	s_mov_b32 s0, exec_lo
	s_wait_loadcnt_dscnt 0x605
	v_dual_mul_f32 v1, v58, v35 :: v_dual_mul_f32 v2, v60, v37
	v_mul_f32_e32 v35, v59, v35
	s_wait_loadcnt_dscnt 0x504
	v_dual_mul_f32 v37, v61, v37 :: v_dual_mul_f32 v84, v62, v39
	s_delay_alu instid0(VALU_DEP_3) | instskip(NEXT) | instid1(VALU_DEP_3)
	v_dual_mul_f32 v85, v64, v41 :: v_dual_fmac_f32 v2, v61, v36
	v_fma_f32 v35, v58, v34, -v35
	v_fmac_f32_e32 v1, v59, v34
	v_mul_f32_e32 v34, v63, v39
	v_fma_f32 v36, v60, v36, -v37
	s_delay_alu instid0(VALU_DEP_4)
	v_dual_fmac_f32 v84, v63, v38 :: v_dual_add_f32 v35, 0, v35
	s_wait_loadcnt_dscnt 0x403
	v_dual_mul_f32 v86, v66, v43 :: v_dual_mul_f32 v87, v68, v45
	v_fma_f32 v34, v62, v38, -v34
	s_wait_loadcnt_dscnt 0x302
	v_dual_mul_f32 v88, v70, v47 :: v_dual_mul_f32 v89, v72, v49
	v_add_f32_e32 v35, v35, v36
	v_mul_f32_e32 v37, v65, v41
	v_dual_fmac_f32 v85, v65, v40 :: v_dual_fmac_f32 v86, v67, v42
	s_wait_loadcnt_dscnt 0x201
	v_dual_mul_f32 v90, v74, v51 :: v_dual_mul_f32 v91, v76, v53
	v_add_f32_e32 v34, v35, v34
	v_fma_f32 v36, v64, v40, -v37
	s_delay_alu instid0(VALU_DEP_3) | instskip(SKIP_2) | instid1(VALU_DEP_3)
	v_dual_fmac_f32 v87, v69, v44 :: v_dual_fmac_f32 v90, v75, v50
	s_wait_loadcnt_dscnt 0x100
	v_dual_mul_f32 v92, v78, v55 :: v_dual_mul_f32 v93, v80, v57
	v_dual_add_f32 v34, v34, v36 :: v_dual_add_f32 v1, 0, v1
	v_mul_f32_e32 v36, v71, v47
	s_delay_alu instid0(VALU_DEP_3) | instskip(NEXT) | instid1(VALU_DEP_4)
	v_dual_fmac_f32 v88, v71, v46 :: v_dual_fmac_f32 v93, v81, v56
	v_fmac_f32_e32 v92, v79, v54
	s_delay_alu instid0(VALU_DEP_4) | instskip(NEXT) | instid1(VALU_DEP_4)
	v_dual_add_f32 v1, v1, v2 :: v_dual_mul_f32 v2, v67, v43
	v_fma_f32 v36, v70, v46, -v36
	v_mul_f32_e32 v35, v69, v45
	s_delay_alu instid0(VALU_DEP_3) | instskip(NEXT) | instid1(VALU_DEP_4)
	v_add_f32_e32 v1, v1, v84
	v_fma_f32 v2, v66, v42, -v2
	s_delay_alu instid0(VALU_DEP_3) | instskip(NEXT) | instid1(VALU_DEP_2)
	v_fma_f32 v35, v68, v44, -v35
	v_dual_add_f32 v2, v34, v2 :: v_dual_add_f32 v1, v1, v85
	v_mul_f32_e32 v34, v73, v49
	s_delay_alu instid0(VALU_DEP_2) | instskip(SKIP_1) | instid1(VALU_DEP_3)
	v_dual_add_f32 v2, v2, v35 :: v_dual_add_f32 v1, v1, v86
	v_mul_f32_e32 v35, v75, v51
	v_fma_f32 v34, v72, v48, -v34
	s_delay_alu instid0(VALU_DEP_3) | instskip(SKIP_3) | instid1(VALU_DEP_4)
	v_add_f32_e32 v2, v2, v36
	v_fmac_f32_e32 v89, v73, v48
	v_mul_f32_e32 v36, v77, v53
	v_fma_f32 v35, v74, v50, -v35
	v_add_f32_e32 v2, v2, v34
	v_mul_f32_e32 v34, v79, v55
	v_add_f32_e32 v1, v1, v87
	v_fma_f32 v36, v76, v52, -v36
	s_delay_alu instid0(VALU_DEP_4) | instskip(NEXT) | instid1(VALU_DEP_3)
	v_dual_add_f32 v2, v2, v35 :: v_dual_mul_f32 v35, v81, v57
	v_add_f32_e32 v1, v1, v88
	v_fma_f32 v34, v78, v54, -v34
	s_delay_alu instid0(VALU_DEP_3) | instskip(SKIP_1) | instid1(VALU_DEP_4)
	v_add_f32_e32 v2, v2, v36
	v_fmac_f32_e32 v91, v77, v52
	v_add_f32_e32 v1, v1, v89
	v_fma_f32 v35, v80, v56, -v35
	s_delay_alu instid0(VALU_DEP_4) | instskip(NEXT) | instid1(VALU_DEP_1)
	v_add_f32_e32 v2, v2, v34
	v_dual_add_f32 v1, v1, v90 :: v_dual_add_f32 v2, v2, v35
	s_delay_alu instid0(VALU_DEP_1) | instskip(NEXT) | instid1(VALU_DEP_1)
	v_add_f32_e32 v1, v1, v91
	v_add_f32_e32 v1, v1, v92
	s_wait_loadcnt 0x0
	s_delay_alu instid0(VALU_DEP_1) | instskip(NEXT) | instid1(VALU_DEP_1)
	v_dual_add_f32 v34, v1, v93 :: v_dual_sub_f32 v1, v82, v2
	v_sub_f32_e32 v2, v83, v34
	scratch_store_b64 off, v[1:2], off offset:16
	v_cmpx_lt_u32_e32 1, v0
	s_cbranch_execz .LBB14_101
; %bb.100:
	scratch_load_b64 v[1:2], off, off offset:8
	v_mov_b32_e32 v34, 0
	s_delay_alu instid0(VALU_DEP_1)
	v_mov_b32_e32 v35, v34
	scratch_store_b64 off, v[34:35], off offset:8
	s_wait_loadcnt 0x0
	ds_store_b64 v3, v[1:2]
.LBB14_101:
	s_wait_alu 0xfffe
	s_or_b32 exec_lo, exec_lo, s0
	s_wait_storecnt_dscnt 0x0
	s_barrier_signal -1
	s_barrier_wait -1
	global_inv scope:SCOPE_SE
	s_clause 0x7
	scratch_load_b128 v[35:38], off, off offset:16
	scratch_load_b128 v[39:42], off, off offset:32
	;; [unrolled: 1-line block ×6, first 2 shown]
	scratch_load_b64 v[1:2], off, off offset:112
	scratch_load_b64 v[83:84], off, off offset:8
	v_mov_b32_e32 v34, 0
	ds_load_b128 v[59:62], v34 offset:144
	ds_load_b128 v[63:66], v34 offset:160
	;; [unrolled: 1-line block ×6, first 2 shown]
	ds_load_b64 v[85:86], v34 offset:240
	s_mov_b32 s0, exec_lo
	s_wait_loadcnt_dscnt 0x706
	v_mul_f32_e32 v87, v59, v36
	v_mul_f32_e32 v36, v60, v36
	s_wait_loadcnt_dscnt 0x605
	v_dual_mul_f32 v88, v61, v38 :: v_dual_mul_f32 v89, v63, v40
	v_mul_f32_e32 v38, v62, v38
	s_wait_loadcnt_dscnt 0x201
	v_dual_mul_f32 v98, v81, v58 :: v_dual_fmac_f32 v87, v60, v35
	s_wait_loadcnt_dscnt 0x100
	v_mul_f32_e32 v99, v85, v2
	v_fma_f32 v36, v59, v35, -v36
	v_dual_mul_f32 v35, v64, v40 :: v_dual_fmac_f32 v88, v62, v37
	v_fmac_f32_e32 v89, v64, v39
	v_fma_f32 v37, v61, v37, -v38
	s_delay_alu instid0(VALU_DEP_4) | instskip(SKIP_3) | instid1(VALU_DEP_4)
	v_add_f32_e32 v36, 0, v36
	v_add_f32_e32 v38, 0, v87
	v_fma_f32 v35, v63, v39, -v35
	v_dual_mul_f32 v90, v65, v42 :: v_dual_mul_f32 v91, v67, v44
	v_add_f32_e32 v36, v36, v37
	v_mul_f32_e32 v40, v66, v42
	v_dual_mul_f32 v92, v69, v46 :: v_dual_mul_f32 v93, v71, v48
	s_delay_alu instid0(VALU_DEP_4) | instskip(NEXT) | instid1(VALU_DEP_4)
	v_dual_fmac_f32 v90, v66, v41 :: v_dual_fmac_f32 v91, v68, v43
	v_add_f32_e32 v35, v36, v35
	s_delay_alu instid0(VALU_DEP_4) | instskip(SKIP_2) | instid1(VALU_DEP_3)
	v_fma_f32 v39, v65, v41, -v40
	v_dual_mul_f32 v94, v73, v50 :: v_dual_mul_f32 v95, v75, v52
	v_dual_fmac_f32 v92, v70, v45 :: v_dual_fmac_f32 v93, v72, v47
	v_add_f32_e32 v35, v35, v39
	v_mul_f32_e32 v39, v72, v48
	v_dual_add_f32 v37, v38, v88 :: v_dual_mul_f32 v96, v77, v54
	v_mul_f32_e32 v97, v79, v56
	v_fmac_f32_e32 v95, v76, v51
	s_delay_alu instid0(VALU_DEP_4) | instskip(NEXT) | instid1(VALU_DEP_4)
	v_fma_f32 v39, v71, v47, -v39
	v_dual_add_f32 v36, v37, v89 :: v_dual_mul_f32 v37, v70, v46
	s_delay_alu instid0(VALU_DEP_4) | instskip(SKIP_2) | instid1(VALU_DEP_4)
	v_dual_fmac_f32 v96, v78, v53 :: v_dual_fmac_f32 v97, v80, v55
	v_mul_f32_e32 v2, v86, v2
	v_fmac_f32_e32 v98, v82, v57
	v_fma_f32 v37, v69, v45, -v37
	v_dual_mul_f32 v38, v68, v44 :: v_dual_fmac_f32 v99, v86, v1
	s_delay_alu instid0(VALU_DEP_4) | instskip(NEXT) | instid1(VALU_DEP_2)
	v_fma_f32 v1, v85, v1, -v2
	v_fma_f32 v38, v67, v43, -v38
	s_delay_alu instid0(VALU_DEP_1) | instskip(SKIP_1) | instid1(VALU_DEP_2)
	v_add_f32_e32 v35, v35, v38
	v_add_f32_e32 v36, v36, v90
	v_dual_mul_f32 v38, v74, v50 :: v_dual_add_f32 v35, v35, v37
	s_delay_alu instid0(VALU_DEP_2) | instskip(SKIP_1) | instid1(VALU_DEP_3)
	v_add_f32_e32 v36, v36, v91
	v_dual_mul_f32 v37, v76, v52 :: v_dual_fmac_f32 v94, v74, v49
	v_fma_f32 v38, v73, v49, -v38
	s_delay_alu instid0(VALU_DEP_4) | instskip(NEXT) | instid1(VALU_DEP_4)
	v_add_f32_e32 v35, v35, v39
	v_dual_mul_f32 v39, v78, v54 :: v_dual_add_f32 v36, v36, v92
	s_delay_alu instid0(VALU_DEP_4) | instskip(NEXT) | instid1(VALU_DEP_3)
	v_fma_f32 v37, v75, v51, -v37
	v_dual_add_f32 v35, v35, v38 :: v_dual_mul_f32 v38, v80, v56
	s_delay_alu instid0(VALU_DEP_3) | instskip(NEXT) | instid1(VALU_DEP_4)
	v_add_f32_e32 v36, v36, v93
	v_fma_f32 v39, v77, v53, -v39
	s_delay_alu instid0(VALU_DEP_3) | instskip(SKIP_1) | instid1(VALU_DEP_4)
	v_add_f32_e32 v35, v35, v37
	v_mul_f32_e32 v37, v82, v58
	v_add_f32_e32 v36, v36, v94
	v_fma_f32 v38, v79, v55, -v38
	s_delay_alu instid0(VALU_DEP_4) | instskip(NEXT) | instid1(VALU_DEP_4)
	v_add_f32_e32 v35, v35, v39
	v_fma_f32 v37, v81, v57, -v37
	s_delay_alu instid0(VALU_DEP_2) | instskip(NEXT) | instid1(VALU_DEP_1)
	v_dual_add_f32 v36, v36, v95 :: v_dual_add_f32 v35, v35, v38
	v_add_f32_e32 v36, v36, v96
	s_delay_alu instid0(VALU_DEP_1) | instskip(NEXT) | instid1(VALU_DEP_1)
	v_add_f32_e32 v36, v36, v97
	v_dual_add_f32 v2, v35, v37 :: v_dual_add_f32 v35, v36, v98
	s_delay_alu instid0(VALU_DEP_1) | instskip(SKIP_1) | instid1(VALU_DEP_1)
	v_dual_add_f32 v1, v2, v1 :: v_dual_add_f32 v2, v35, v99
	s_wait_loadcnt 0x0
	v_dual_sub_f32 v1, v83, v1 :: v_dual_sub_f32 v2, v84, v2
	scratch_store_b64 off, v[1:2], off offset:8
	v_cmpx_ne_u32_e32 0, v0
	s_cbranch_execz .LBB14_103
; %bb.102:
	scratch_load_b64 v[0:1], off, off
	v_mov_b32_e32 v35, v34
	scratch_store_b64 off, v[34:35], off
	s_wait_loadcnt 0x0
	ds_store_b64 v3, v[0:1]
.LBB14_103:
	s_wait_alu 0xfffe
	s_or_b32 exec_lo, exec_lo, s0
	s_wait_storecnt_dscnt 0x0
	s_barrier_signal -1
	s_barrier_wait -1
	global_inv scope:SCOPE_SE
	s_clause 0x7
	scratch_load_b128 v[35:38], off, off offset:8
	scratch_load_b128 v[39:42], off, off offset:24
	;; [unrolled: 1-line block ×7, first 2 shown]
	scratch_load_b64 v[87:88], off, off
	ds_load_2addr_b64 v[59:62], v34 offset0:17 offset1:18
	ds_load_2addr_b64 v[63:66], v34 offset0:19 offset1:20
	;; [unrolled: 1-line block ×7, first 2 shown]
	s_and_b32 vcc_lo, exec_lo, s18
	s_wait_loadcnt_dscnt 0x706
	v_dual_mul_f32 v34, v59, v36 :: v_dual_mul_f32 v89, v61, v38
	v_mul_f32_e32 v36, v60, v36
	v_mul_f32_e32 v38, v62, v38
	s_wait_loadcnt_dscnt 0x605
	v_dual_mul_f32 v90, v63, v40 :: v_dual_mul_f32 v91, v65, v42
	s_wait_loadcnt_dscnt 0x100
	v_mul_f32_e32 v101, v85, v3
	v_fma_f32 v36, v59, v35, -v36
	v_dual_fmac_f32 v34, v60, v35 :: v_dual_fmac_f32 v89, v62, v37
	v_fma_f32 v37, v61, v37, -v38
	v_dual_mul_f32 v100, v83, v1 :: v_dual_mul_f32 v35, v64, v40
	s_delay_alu instid0(VALU_DEP_4) | instskip(SKIP_1) | instid1(VALU_DEP_3)
	v_dual_add_f32 v36, 0, v36 :: v_dual_fmac_f32 v91, v66, v41
	v_dual_mul_f32 v94, v71, v48 :: v_dual_mul_f32 v95, v73, v50
	v_fma_f32 v35, v63, v39, -v35
	s_delay_alu instid0(VALU_DEP_3) | instskip(SKIP_2) | instid1(VALU_DEP_3)
	v_add_f32_e32 v36, v36, v37
	v_dual_mul_f32 v37, v68, v44 :: v_dual_add_f32 v34, 0, v34
	v_dual_mul_f32 v96, v75, v52 :: v_dual_mul_f32 v97, v77, v54
	v_add_f32_e32 v35, v36, v35
	s_delay_alu instid0(VALU_DEP_3) | instskip(SKIP_4) | instid1(VALU_DEP_4)
	v_fma_f32 v37, v67, v43, -v37
	v_mul_f32_e32 v38, v66, v42
	v_mul_f32_e32 v36, v70, v46
	v_dual_fmac_f32 v95, v74, v49 :: v_dual_mul_f32 v92, v67, v44
	v_mul_f32_e32 v93, v69, v46
	v_fma_f32 v38, v65, v41, -v38
	v_fmac_f32_e32 v90, v64, v39
	v_fma_f32 v36, v69, v45, -v36
	s_delay_alu instid0(VALU_DEP_4) | instskip(NEXT) | instid1(VALU_DEP_4)
	v_dual_fmac_f32 v92, v68, v43 :: v_dual_fmac_f32 v93, v70, v45
	v_dual_add_f32 v35, v35, v38 :: v_dual_mul_f32 v38, v72, v48
	v_dual_fmac_f32 v97, v78, v53 :: v_dual_mul_f32 v98, v79, v56
	v_mul_f32_e32 v99, v81, v58
	s_delay_alu instid0(VALU_DEP_3)
	v_add_f32_e32 v35, v35, v37
	v_add_f32_e32 v34, v34, v89
	v_mul_f32_e32 v37, v74, v50
	v_fma_f32 v38, v71, v47, -v38
	v_dual_fmac_f32 v96, v76, v51 :: v_dual_fmac_f32 v99, v82, v57
	v_dual_add_f32 v35, v35, v36 :: v_dual_fmac_f32 v94, v72, v47
	s_delay_alu instid0(VALU_DEP_4) | instskip(SKIP_2) | instid1(VALU_DEP_4)
	v_fma_f32 v37, v73, v49, -v37
	v_mul_f32_e32 v36, v76, v52
	v_dual_fmac_f32 v98, v80, v55 :: v_dual_fmac_f32 v101, v86, v2
	v_add_f32_e32 v35, v35, v38
	v_add_f32_e32 v34, v34, v90
	s_delay_alu instid0(VALU_DEP_4) | instskip(SKIP_1) | instid1(VALU_DEP_4)
	v_fma_f32 v36, v75, v51, -v36
	v_dual_fmac_f32 v100, v84, v0 :: v_dual_mul_f32 v3, v86, v3
	v_add_f32_e32 v35, v35, v37
	s_delay_alu instid0(VALU_DEP_4) | instskip(NEXT) | instid1(VALU_DEP_3)
	v_dual_mul_f32 v37, v80, v56 :: v_dual_add_f32 v34, v34, v91
	v_fma_f32 v2, v85, v2, -v3
	s_delay_alu instid0(VALU_DEP_3) | instskip(NEXT) | instid1(VALU_DEP_3)
	v_add_f32_e32 v35, v35, v36
	v_fma_f32 v37, v79, v55, -v37
	v_mul_f32_e32 v38, v78, v54
	v_mul_f32_e32 v36, v82, v58
	s_delay_alu instid0(VALU_DEP_2) | instskip(SKIP_1) | instid1(VALU_DEP_3)
	v_fma_f32 v38, v77, v53, -v38
	v_add_f32_e32 v34, v34, v92
	v_fma_f32 v36, v81, v57, -v36
	s_delay_alu instid0(VALU_DEP_3) | instskip(NEXT) | instid1(VALU_DEP_1)
	v_dual_add_f32 v35, v35, v38 :: v_dual_mul_f32 v38, v84, v1
	v_add_f32_e32 v35, v35, v37
	s_delay_alu instid0(VALU_DEP_4) | instskip(NEXT) | instid1(VALU_DEP_3)
	v_add_f32_e32 v34, v34, v93
	v_fma_f32 v37, v83, v0, -v38
	s_delay_alu instid0(VALU_DEP_2) | instskip(NEXT) | instid1(VALU_DEP_1)
	v_dual_add_f32 v35, v35, v36 :: v_dual_add_f32 v34, v34, v94
	v_dual_add_f32 v3, v35, v37 :: v_dual_add_f32 v34, v34, v95
	s_delay_alu instid0(VALU_DEP_1) | instskip(NEXT) | instid1(VALU_DEP_2)
	v_add_f32_e32 v2, v3, v2
	v_add_f32_e32 v34, v34, v96
	s_wait_loadcnt 0x0
	s_delay_alu instid0(VALU_DEP_2) | instskip(NEXT) | instid1(VALU_DEP_2)
	v_sub_f32_e32 v2, v87, v2
	v_add_f32_e32 v34, v34, v97
	s_delay_alu instid0(VALU_DEP_1) | instskip(NEXT) | instid1(VALU_DEP_1)
	v_add_f32_e32 v34, v34, v98
	v_add_f32_e32 v34, v34, v99
	s_delay_alu instid0(VALU_DEP_1) | instskip(NEXT) | instid1(VALU_DEP_1)
	v_add_f32_e32 v34, v34, v100
	v_add_f32_e32 v3, v34, v101
	s_delay_alu instid0(VALU_DEP_1)
	v_sub_f32_e32 v3, v88, v3
	scratch_store_b64 off, v[2:3], off
	s_wait_alu 0xfffe
	s_cbranch_vccz .LBB14_132
; %bb.104:
	v_mov_b32_e32 v2, 0
	global_load_b32 v3, v2, s[2:3] offset:52
	s_wait_loadcnt 0x0
	v_cmp_ne_u32_e32 vcc_lo, 14, v3
	s_cbranch_vccz .LBB14_106
; %bb.105:
	v_lshlrev_b32_e32 v3, 3, v3
	scratch_load_b64 v[34:35], v3, off offset:-8
	s_wait_loadcnt 0x0
	scratch_store_b64 off, v[34:35], off offset:104
	scratch_store_b64 v3, v[0:1], off offset:-8
.LBB14_106:
	global_load_b32 v0, v2, s[2:3] offset:48
	s_wait_loadcnt 0x0
	v_cmp_eq_u32_e32 vcc_lo, 13, v0
	s_cbranch_vccnz .LBB14_108
; %bb.107:
	v_lshlrev_b32_e32 v0, 3, v0
	s_delay_alu instid0(VALU_DEP_1)
	v_mov_b32_e32 v34, v0
	scratch_load_b64 v[0:1], v34, off offset:-8
	scratch_load_b64 v[2:3], off, off offset:96
	s_wait_loadcnt 0x1
	scratch_store_b64 off, v[0:1], off offset:96
	s_wait_loadcnt 0x0
	scratch_store_b64 v34, v[2:3], off offset:-8
.LBB14_108:
	v_mov_b32_e32 v0, 0
	global_load_b32 v1, v0, s[2:3] offset:44
	s_wait_loadcnt 0x0
	v_cmp_eq_u32_e32 vcc_lo, 12, v1
	s_cbranch_vccnz .LBB14_110
; %bb.109:
	v_lshlrev_b32_e32 v1, 3, v1
	s_delay_alu instid0(VALU_DEP_1)
	v_mov_b32_e32 v3, v1
	scratch_load_b64 v[1:2], v3, off offset:-8
	scratch_load_b64 v[34:35], off, off offset:88
	s_wait_loadcnt 0x1
	scratch_store_b64 off, v[1:2], off offset:88
	s_wait_loadcnt 0x0
	scratch_store_b64 v3, v[34:35], off offset:-8
.LBB14_110:
	global_load_b32 v0, v0, s[2:3] offset:40
	s_wait_loadcnt 0x0
	v_cmp_eq_u32_e32 vcc_lo, 11, v0
	s_cbranch_vccnz .LBB14_112
; %bb.111:
	v_lshlrev_b32_e32 v0, 3, v0
	s_delay_alu instid0(VALU_DEP_1)
	v_mov_b32_e32 v34, v0
	scratch_load_b64 v[0:1], v34, off offset:-8
	scratch_load_b64 v[2:3], off, off offset:80
	s_wait_loadcnt 0x1
	scratch_store_b64 off, v[0:1], off offset:80
	s_wait_loadcnt 0x0
	scratch_store_b64 v34, v[2:3], off offset:-8
.LBB14_112:
	v_mov_b32_e32 v0, 0
	global_load_b32 v1, v0, s[2:3] offset:36
	s_wait_loadcnt 0x0
	v_cmp_eq_u32_e32 vcc_lo, 10, v1
	s_cbranch_vccnz .LBB14_114
; %bb.113:
	v_lshlrev_b32_e32 v1, 3, v1
	s_delay_alu instid0(VALU_DEP_1)
	v_mov_b32_e32 v3, v1
	scratch_load_b64 v[1:2], v3, off offset:-8
	scratch_load_b64 v[34:35], off, off offset:72
	s_wait_loadcnt 0x1
	scratch_store_b64 off, v[1:2], off offset:72
	s_wait_loadcnt 0x0
	scratch_store_b64 v3, v[34:35], off offset:-8
.LBB14_114:
	;; [unrolled: 31-line block ×6, first 2 shown]
	global_load_b32 v0, v0, s[2:3]
	s_wait_loadcnt 0x0
	v_cmp_eq_u32_e32 vcc_lo, 1, v0
	s_cbranch_vccnz .LBB14_132
; %bb.131:
	v_lshlrev_b32_e32 v0, 3, v0
	s_delay_alu instid0(VALU_DEP_1)
	v_mov_b32_e32 v34, v0
	scratch_load_b64 v[0:1], v34, off offset:-8
	scratch_load_b64 v[2:3], off, off
	s_wait_loadcnt 0x1
	scratch_store_b64 off, v[0:1], off
	s_wait_loadcnt 0x0
	scratch_store_b64 v34, v[2:3], off offset:-8
.LBB14_132:
	s_clause 0x7
	scratch_load_b128 v[0:3], off, off
	scratch_load_b128 v[34:37], off, off offset:16
	scratch_load_b128 v[38:41], off, off offset:32
	;; [unrolled: 1-line block ×6, first 2 shown]
	scratch_load_b64 v[58:59], off, off offset:112
	s_wait_loadcnt 0x7
	s_clause 0x1
	global_store_b64 v[4:5], v[0:1], off
	global_store_b64 v[6:7], v[2:3], off
	s_wait_loadcnt 0x6
	s_clause 0x1
	global_store_b64 v[8:9], v[34:35], off
	global_store_b64 v[10:11], v[36:37], off
	;; [unrolled: 4-line block ×7, first 2 shown]
	s_wait_loadcnt 0x0
	global_store_b64 v[32:33], v[58:59], off
	s_nop 0
	s_sendmsg sendmsg(MSG_DEALLOC_VGPRS)
	s_endpgm
	.section	.rodata,"a",@progbits
	.p2align	6, 0x0
	.amdhsa_kernel _ZN9rocsolver6v33100L18getri_kernel_smallILi15E19rocblas_complex_numIfEPS3_EEvT1_iilPiilS6_bb
		.amdhsa_group_segment_fixed_size 248
		.amdhsa_private_segment_fixed_size 128
		.amdhsa_kernarg_size 60
		.amdhsa_user_sgpr_count 2
		.amdhsa_user_sgpr_dispatch_ptr 0
		.amdhsa_user_sgpr_queue_ptr 0
		.amdhsa_user_sgpr_kernarg_segment_ptr 1
		.amdhsa_user_sgpr_dispatch_id 0
		.amdhsa_user_sgpr_private_segment_size 0
		.amdhsa_wavefront_size32 1
		.amdhsa_uses_dynamic_stack 0
		.amdhsa_enable_private_segment 1
		.amdhsa_system_sgpr_workgroup_id_x 1
		.amdhsa_system_sgpr_workgroup_id_y 0
		.amdhsa_system_sgpr_workgroup_id_z 0
		.amdhsa_system_sgpr_workgroup_info 0
		.amdhsa_system_vgpr_workitem_id 0
		.amdhsa_next_free_vgpr 102
		.amdhsa_next_free_sgpr 19
		.amdhsa_reserve_vcc 1
		.amdhsa_float_round_mode_32 0
		.amdhsa_float_round_mode_16_64 0
		.amdhsa_float_denorm_mode_32 3
		.amdhsa_float_denorm_mode_16_64 3
		.amdhsa_fp16_overflow 0
		.amdhsa_workgroup_processor_mode 1
		.amdhsa_memory_ordered 1
		.amdhsa_forward_progress 1
		.amdhsa_inst_pref_size 110
		.amdhsa_round_robin_scheduling 0
		.amdhsa_exception_fp_ieee_invalid_op 0
		.amdhsa_exception_fp_denorm_src 0
		.amdhsa_exception_fp_ieee_div_zero 0
		.amdhsa_exception_fp_ieee_overflow 0
		.amdhsa_exception_fp_ieee_underflow 0
		.amdhsa_exception_fp_ieee_inexact 0
		.amdhsa_exception_int_div_zero 0
	.end_amdhsa_kernel
	.section	.text._ZN9rocsolver6v33100L18getri_kernel_smallILi15E19rocblas_complex_numIfEPS3_EEvT1_iilPiilS6_bb,"axG",@progbits,_ZN9rocsolver6v33100L18getri_kernel_smallILi15E19rocblas_complex_numIfEPS3_EEvT1_iilPiilS6_bb,comdat
.Lfunc_end14:
	.size	_ZN9rocsolver6v33100L18getri_kernel_smallILi15E19rocblas_complex_numIfEPS3_EEvT1_iilPiilS6_bb, .Lfunc_end14-_ZN9rocsolver6v33100L18getri_kernel_smallILi15E19rocblas_complex_numIfEPS3_EEvT1_iilPiilS6_bb
                                        ; -- End function
	.set _ZN9rocsolver6v33100L18getri_kernel_smallILi15E19rocblas_complex_numIfEPS3_EEvT1_iilPiilS6_bb.num_vgpr, 102
	.set _ZN9rocsolver6v33100L18getri_kernel_smallILi15E19rocblas_complex_numIfEPS3_EEvT1_iilPiilS6_bb.num_agpr, 0
	.set _ZN9rocsolver6v33100L18getri_kernel_smallILi15E19rocblas_complex_numIfEPS3_EEvT1_iilPiilS6_bb.numbered_sgpr, 19
	.set _ZN9rocsolver6v33100L18getri_kernel_smallILi15E19rocblas_complex_numIfEPS3_EEvT1_iilPiilS6_bb.num_named_barrier, 0
	.set _ZN9rocsolver6v33100L18getri_kernel_smallILi15E19rocblas_complex_numIfEPS3_EEvT1_iilPiilS6_bb.private_seg_size, 128
	.set _ZN9rocsolver6v33100L18getri_kernel_smallILi15E19rocblas_complex_numIfEPS3_EEvT1_iilPiilS6_bb.uses_vcc, 1
	.set _ZN9rocsolver6v33100L18getri_kernel_smallILi15E19rocblas_complex_numIfEPS3_EEvT1_iilPiilS6_bb.uses_flat_scratch, 1
	.set _ZN9rocsolver6v33100L18getri_kernel_smallILi15E19rocblas_complex_numIfEPS3_EEvT1_iilPiilS6_bb.has_dyn_sized_stack, 0
	.set _ZN9rocsolver6v33100L18getri_kernel_smallILi15E19rocblas_complex_numIfEPS3_EEvT1_iilPiilS6_bb.has_recursion, 0
	.set _ZN9rocsolver6v33100L18getri_kernel_smallILi15E19rocblas_complex_numIfEPS3_EEvT1_iilPiilS6_bb.has_indirect_call, 0
	.section	.AMDGPU.csdata,"",@progbits
; Kernel info:
; codeLenInByte = 13988
; TotalNumSgprs: 21
; NumVgprs: 102
; ScratchSize: 128
; MemoryBound: 0
; FloatMode: 240
; IeeeMode: 1
; LDSByteSize: 248 bytes/workgroup (compile time only)
; SGPRBlocks: 0
; VGPRBlocks: 12
; NumSGPRsForWavesPerEU: 21
; NumVGPRsForWavesPerEU: 102
; Occupancy: 12
; WaveLimiterHint : 1
; COMPUTE_PGM_RSRC2:SCRATCH_EN: 1
; COMPUTE_PGM_RSRC2:USER_SGPR: 2
; COMPUTE_PGM_RSRC2:TRAP_HANDLER: 0
; COMPUTE_PGM_RSRC2:TGID_X_EN: 1
; COMPUTE_PGM_RSRC2:TGID_Y_EN: 0
; COMPUTE_PGM_RSRC2:TGID_Z_EN: 0
; COMPUTE_PGM_RSRC2:TIDIG_COMP_CNT: 0
	.section	.text._ZN9rocsolver6v33100L18getri_kernel_smallILi16E19rocblas_complex_numIfEPS3_EEvT1_iilPiilS6_bb,"axG",@progbits,_ZN9rocsolver6v33100L18getri_kernel_smallILi16E19rocblas_complex_numIfEPS3_EEvT1_iilPiilS6_bb,comdat
	.globl	_ZN9rocsolver6v33100L18getri_kernel_smallILi16E19rocblas_complex_numIfEPS3_EEvT1_iilPiilS6_bb ; -- Begin function _ZN9rocsolver6v33100L18getri_kernel_smallILi16E19rocblas_complex_numIfEPS3_EEvT1_iilPiilS6_bb
	.p2align	8
	.type	_ZN9rocsolver6v33100L18getri_kernel_smallILi16E19rocblas_complex_numIfEPS3_EEvT1_iilPiilS6_bb,@function
_ZN9rocsolver6v33100L18getri_kernel_smallILi16E19rocblas_complex_numIfEPS3_EEvT1_iilPiilS6_bb: ; @_ZN9rocsolver6v33100L18getri_kernel_smallILi16E19rocblas_complex_numIfEPS3_EEvT1_iilPiilS6_bb
; %bb.0:
	s_mov_b32 s2, exec_lo
	v_cmpx_gt_u32_e32 16, v0
	s_cbranch_execz .LBB15_78
; %bb.1:
	s_clause 0x2
	s_load_b32 s2, s[0:1], 0x38
	s_load_b128 s[12:15], s[0:1], 0x10
	s_load_b128 s[4:7], s[0:1], 0x28
	s_mov_b32 s16, ttmp9
	s_wait_kmcnt 0x0
	s_bitcmp1_b32 s2, 8
	s_cselect_b32 s18, -1, 0
	s_bfe_u32 s2, s2, 0x10008
	s_ashr_i32 s17, ttmp9, 31
	s_cmp_eq_u32 s2, 0
                                        ; implicit-def: $sgpr2_sgpr3
	s_cbranch_scc1 .LBB15_3
; %bb.2:
	s_load_b32 s2, s[0:1], 0x20
	s_mul_u64 s[4:5], s[4:5], s[16:17]
	s_delay_alu instid0(SALU_CYCLE_1) | instskip(NEXT) | instid1(SALU_CYCLE_1)
	s_lshl_b64 s[4:5], s[4:5], 2
	s_add_nc_u64 s[4:5], s[14:15], s[4:5]
	s_wait_kmcnt 0x0
	s_ashr_i32 s3, s2, 31
	s_delay_alu instid0(SALU_CYCLE_1) | instskip(NEXT) | instid1(SALU_CYCLE_1)
	s_lshl_b64 s[2:3], s[2:3], 2
	s_add_nc_u64 s[2:3], s[4:5], s[2:3]
.LBB15_3:
	s_clause 0x1
	s_load_b128 s[8:11], s[0:1], 0x0
	s_load_b32 s4, s[0:1], 0x38
	s_mul_u64 s[0:1], s[12:13], s[16:17]
	v_lshlrev_b32_e32 v3, 3, v0
	s_lshl_b64 s[0:1], s[0:1], 3
	s_wait_kmcnt 0x0
	v_add3_u32 v1, s11, s11, v0
	s_ashr_i32 s13, s10, 31
	s_mov_b32 s12, s10
	s_add_nc_u64 s[0:1], s[8:9], s[0:1]
	s_lshl_b64 s[12:13], s[12:13], 3
	v_add_nc_u32_e32 v8, s11, v1
	v_ashrrev_i32_e32 v2, 31, v1
	s_add_nc_u64 s[0:1], s[0:1], s[12:13]
	s_ashr_i32 s9, s11, 31
	v_add_co_u32 v4, s5, s0, v3
	v_add_nc_u32_e32 v10, s11, v8
	s_mov_b32 s8, s11
	v_lshlrev_b64_e32 v[1:2], 3, v[1:2]
	v_add_co_ci_u32_e64 v5, null, s1, 0, s5
	v_ashrrev_i32_e32 v9, 31, v8
	s_lshl_b64 s[8:9], s[8:9], 3
	v_ashrrev_i32_e32 v11, 31, v10
	v_add_co_u32 v6, vcc_lo, v4, s8
	v_add_nc_u32_e32 v14, s11, v10
	v_add_co_ci_u32_e64 v7, null, s9, v5, vcc_lo
	v_lshlrev_b64_e32 v[12:13], 3, v[8:9]
	v_add_co_u32 v8, vcc_lo, s0, v1
	s_wait_alu 0xfffd
	v_add_co_ci_u32_e64 v9, null, s1, v2, vcc_lo
	v_lshlrev_b64_e32 v[1:2], 3, v[10:11]
	v_add_nc_u32_e32 v16, s11, v14
	v_add_co_u32 v10, vcc_lo, s0, v12
	s_wait_alu 0xfffd
	v_add_co_ci_u32_e64 v11, null, s1, v13, vcc_lo
	s_delay_alu instid0(VALU_DEP_4)
	v_add_co_u32 v12, vcc_lo, s0, v1
	v_add_nc_u32_e32 v1, s11, v16
	v_ashrrev_i32_e32 v15, 31, v14
	v_ashrrev_i32_e32 v17, 31, v16
	s_wait_alu 0xfffd
	v_add_co_ci_u32_e64 v13, null, s1, v2, vcc_lo
	v_ashrrev_i32_e32 v2, 31, v1
	v_lshlrev_b64_e32 v[14:15], 3, v[14:15]
	v_add_nc_u32_e32 v18, s11, v1
	v_lshlrev_b64_e32 v[16:17], 3, v[16:17]
	global_load_b64 v[36:37], v3, s[0:1]
	v_lshlrev_b64_e32 v[1:2], 3, v[1:2]
	s_clause 0x3
	global_load_b64 v[38:39], v[6:7], off
	global_load_b64 v[40:41], v[8:9], off
	;; [unrolled: 1-line block ×4, first 2 shown]
	v_ashrrev_i32_e32 v19, 31, v18
	v_add_nc_u32_e32 v22, s11, v18
	v_add_co_u32 v14, vcc_lo, s0, v14
	s_wait_alu 0xfffd
	v_add_co_ci_u32_e64 v15, null, s1, v15, vcc_lo
	v_add_co_u32 v16, vcc_lo, s0, v16
	s_wait_alu 0xfffd
	v_add_co_ci_u32_e64 v17, null, s1, v17, vcc_lo
	v_lshlrev_b64_e32 v[20:21], 3, v[18:19]
	v_add_co_u32 v18, vcc_lo, s0, v1
	v_add_nc_u32_e32 v1, s11, v22
	v_ashrrev_i32_e32 v23, 31, v22
	s_wait_alu 0xfffd
	v_add_co_ci_u32_e64 v19, null, s1, v2, vcc_lo
	v_add_co_u32 v20, vcc_lo, s0, v20
	v_add_nc_u32_e32 v24, s11, v1
	v_ashrrev_i32_e32 v2, 31, v1
	v_lshlrev_b64_e32 v[22:23], 3, v[22:23]
	s_wait_alu 0xfffd
	v_add_co_ci_u32_e64 v21, null, s1, v21, vcc_lo
	v_add_nc_u32_e32 v26, s11, v24
	v_lshlrev_b64_e32 v[1:2], 3, v[1:2]
	v_ashrrev_i32_e32 v25, 31, v24
	v_add_co_u32 v22, vcc_lo, s0, v22
	s_delay_alu instid0(VALU_DEP_4)
	v_add_nc_u32_e32 v30, s11, v26
	v_ashrrev_i32_e32 v27, 31, v26
	s_wait_alu 0xfffd
	v_add_co_ci_u32_e64 v23, null, s1, v23, vcc_lo
	v_lshlrev_b64_e32 v[28:29], 3, v[24:25]
	v_add_nc_u32_e32 v32, s11, v30
	v_add_co_u32 v24, vcc_lo, s0, v1
	s_wait_alu 0xfffd
	v_add_co_ci_u32_e64 v25, null, s1, v2, vcc_lo
	v_lshlrev_b64_e32 v[1:2], 3, v[26:27]
	v_add_nc_u32_e32 v34, s11, v32
	v_ashrrev_i32_e32 v31, 31, v30
	v_ashrrev_i32_e32 v33, 31, v32
	v_add_co_u32 v26, vcc_lo, s0, v28
	s_delay_alu instid0(VALU_DEP_4)
	v_ashrrev_i32_e32 v35, 31, v34
	s_wait_alu 0xfffd
	v_add_co_ci_u32_e64 v27, null, s1, v29, vcc_lo
	v_lshlrev_b64_e32 v[30:31], 3, v[30:31]
	v_add_co_u32 v28, vcc_lo, s0, v1
	s_wait_alu 0xfffd
	v_add_co_ci_u32_e64 v29, null, s1, v2, vcc_lo
	v_lshlrev_b64_e32 v[1:2], 3, v[32:33]
	v_lshlrev_b64_e32 v[34:35], 3, v[34:35]
	v_add_co_u32 v30, vcc_lo, s0, v30
	s_wait_alu 0xfffd
	v_add_co_ci_u32_e64 v31, null, s1, v31, vcc_lo
	s_delay_alu instid0(VALU_DEP_4)
	v_add_co_u32 v32, vcc_lo, s0, v1
	s_wait_alu 0xfffd
	v_add_co_ci_u32_e64 v33, null, s1, v2, vcc_lo
	v_add_co_u32 v34, vcc_lo, s0, v34
	s_clause 0x3
	global_load_b64 v[46:47], v[14:15], off
	global_load_b64 v[48:49], v[16:17], off
	;; [unrolled: 1-line block ×4, first 2 shown]
	s_wait_alu 0xfffd
	v_add_co_ci_u32_e64 v35, null, s1, v35, vcc_lo
	s_clause 0x6
	global_load_b64 v[54:55], v[22:23], off
	global_load_b64 v[56:57], v[24:25], off
	;; [unrolled: 1-line block ×7, first 2 shown]
	s_mov_b32 s1, -1
	s_bitcmp0_b32 s4, 0
	s_wait_loadcnt 0xe
	scratch_store_b128 off, v[36:39], off
	s_wait_loadcnt 0xc
	scratch_store_b128 off, v[40:43], off offset:16
	s_wait_loadcnt 0xa
	scratch_store_b128 off, v[44:47], off offset:32
	s_wait_loadcnt 0x8
	scratch_store_b128 off, v[48:51], off offset:48
	s_wait_loadcnt 0x6
	scratch_store_b128 off, v[52:55], off offset:64
	s_wait_loadcnt 0x4
	scratch_store_b128 off, v[56:59], off offset:80
	s_wait_loadcnt 0x2
	scratch_store_b128 off, v[60:63], off offset:96
	s_wait_loadcnt 0x0
	scratch_store_b128 off, v[64:67], off offset:112
	s_cbranch_scc1 .LBB15_76
; %bb.4:
	v_cmp_eq_u32_e64 s0, 0, v0
	s_and_saveexec_b32 s1, s0
; %bb.5:
	v_mov_b32_e32 v1, 0
	ds_store_b32 v1, v1 offset:256
; %bb.6:
	s_wait_alu 0xfffe
	s_or_b32 exec_lo, exec_lo, s1
	s_wait_storecnt_dscnt 0x0
	s_barrier_signal -1
	s_barrier_wait -1
	global_inv scope:SCOPE_SE
	scratch_load_b64 v[1:2], v3, off
	s_wait_loadcnt 0x0
	v_cmp_eq_f32_e32 vcc_lo, 0, v1
	v_cmp_eq_f32_e64 s1, 0, v2
	s_and_b32 s1, vcc_lo, s1
	s_wait_alu 0xfffe
	s_and_saveexec_b32 s4, s1
	s_cbranch_execz .LBB15_10
; %bb.7:
	v_mov_b32_e32 v1, 0
	s_mov_b32 s5, 0
	ds_load_b32 v2, v1 offset:256
	s_wait_dscnt 0x0
	v_readfirstlane_b32 s1, v2
	v_add_nc_u32_e32 v2, 1, v0
	s_cmp_eq_u32 s1, 0
	s_delay_alu instid0(VALU_DEP_1)
	v_cmp_gt_i32_e32 vcc_lo, s1, v2
	s_cselect_b32 s8, -1, 0
	s_wait_alu 0xfffe
	s_or_b32 s8, s8, vcc_lo
	s_wait_alu 0xfffe
	s_and_b32 exec_lo, exec_lo, s8
	s_cbranch_execz .LBB15_10
; %bb.8:
	v_mov_b32_e32 v36, s1
.LBB15_9:                               ; =>This Inner Loop Header: Depth=1
	ds_cmpstore_rtn_b32 v36, v1, v2, v36 offset:256
	s_wait_dscnt 0x0
	v_cmp_ne_u32_e32 vcc_lo, 0, v36
	v_cmp_le_i32_e64 s1, v36, v2
	s_and_b32 s1, vcc_lo, s1
	s_wait_alu 0xfffe
	s_and_b32 s1, exec_lo, s1
	s_wait_alu 0xfffe
	s_or_b32 s5, s1, s5
	s_wait_alu 0xfffe
	s_and_not1_b32 exec_lo, exec_lo, s5
	s_cbranch_execnz .LBB15_9
.LBB15_10:
	s_wait_alu 0xfffe
	s_or_b32 exec_lo, exec_lo, s4
	v_mov_b32_e32 v1, 0
	s_barrier_signal -1
	s_barrier_wait -1
	global_inv scope:SCOPE_SE
	ds_load_b32 v2, v1 offset:256
	s_and_saveexec_b32 s1, s0
	s_cbranch_execz .LBB15_12
; %bb.11:
	s_lshl_b64 s[4:5], s[16:17], 2
	s_wait_alu 0xfffe
	s_add_nc_u64 s[4:5], s[6:7], s[4:5]
	s_wait_dscnt 0x0
	global_store_b32 v1, v2, s[4:5]
.LBB15_12:
	s_wait_alu 0xfffe
	s_or_b32 exec_lo, exec_lo, s1
	s_wait_dscnt 0x0
	v_cmp_ne_u32_e32 vcc_lo, 0, v2
	s_mov_b32 s1, 0
	s_cbranch_vccnz .LBB15_76
; %bb.13:
	v_mov_b32_e32 v40, v3
                                        ; implicit-def: $vgpr36
                                        ; implicit-def: $vgpr38
	scratch_load_b64 v[1:2], v40, off
	s_wait_loadcnt 0x0
	v_cmp_ngt_f32_e64 s1, |v1|, |v2|
	s_wait_alu 0xfffe
	s_and_saveexec_b32 s4, s1
	s_wait_alu 0xfffe
	s_xor_b32 s1, exec_lo, s4
	s_cbranch_execz .LBB15_15
; %bb.14:
	v_div_scale_f32 v36, null, v2, v2, v1
	v_div_scale_f32 v39, vcc_lo, v1, v2, v1
	s_delay_alu instid0(VALU_DEP_2) | instskip(NEXT) | instid1(TRANS32_DEP_1)
	v_rcp_f32_e32 v37, v36
	v_fma_f32 v38, -v36, v37, 1.0
	s_delay_alu instid0(VALU_DEP_1) | instskip(NEXT) | instid1(VALU_DEP_1)
	v_fmac_f32_e32 v37, v38, v37
	v_mul_f32_e32 v38, v39, v37
	s_delay_alu instid0(VALU_DEP_1) | instskip(NEXT) | instid1(VALU_DEP_1)
	v_fma_f32 v41, -v36, v38, v39
	v_fmac_f32_e32 v38, v41, v37
	s_delay_alu instid0(VALU_DEP_1) | instskip(SKIP_1) | instid1(VALU_DEP_1)
	v_fma_f32 v36, -v36, v38, v39
	s_wait_alu 0xfffd
	v_div_fmas_f32 v36, v36, v37, v38
	s_delay_alu instid0(VALU_DEP_1) | instskip(NEXT) | instid1(VALU_DEP_1)
	v_div_fixup_f32 v36, v36, v2, v1
	v_fmac_f32_e32 v2, v1, v36
	s_delay_alu instid0(VALU_DEP_1) | instskip(NEXT) | instid1(VALU_DEP_1)
	v_div_scale_f32 v1, null, v2, v2, 1.0
	v_rcp_f32_e32 v37, v1
	s_delay_alu instid0(TRANS32_DEP_1) | instskip(NEXT) | instid1(VALU_DEP_1)
	v_fma_f32 v38, -v1, v37, 1.0
	v_fmac_f32_e32 v37, v38, v37
	v_div_scale_f32 v38, vcc_lo, 1.0, v2, 1.0
	s_delay_alu instid0(VALU_DEP_1) | instskip(NEXT) | instid1(VALU_DEP_1)
	v_mul_f32_e32 v39, v38, v37
	v_fma_f32 v41, -v1, v39, v38
	s_delay_alu instid0(VALU_DEP_1) | instskip(NEXT) | instid1(VALU_DEP_1)
	v_fmac_f32_e32 v39, v41, v37
	v_fma_f32 v1, -v1, v39, v38
	s_wait_alu 0xfffd
	s_delay_alu instid0(VALU_DEP_1) | instskip(NEXT) | instid1(VALU_DEP_1)
	v_div_fmas_f32 v1, v1, v37, v39
	v_div_fixup_f32 v1, v1, v2, 1.0
	s_delay_alu instid0(VALU_DEP_1) | instskip(SKIP_1) | instid1(VALU_DEP_2)
	v_mul_f32_e32 v36, v36, v1
	v_xor_b32_e32 v37, 0x80000000, v1
                                        ; implicit-def: $vgpr1_vgpr2
	v_xor_b32_e32 v38, 0x80000000, v36
.LBB15_15:
	s_wait_alu 0xfffe
	s_and_not1_saveexec_b32 s1, s1
	s_cbranch_execz .LBB15_17
; %bb.16:
	v_div_scale_f32 v36, null, v1, v1, v2
	v_div_scale_f32 v39, vcc_lo, v2, v1, v2
	s_delay_alu instid0(VALU_DEP_2) | instskip(NEXT) | instid1(TRANS32_DEP_1)
	v_rcp_f32_e32 v37, v36
	v_fma_f32 v38, -v36, v37, 1.0
	s_delay_alu instid0(VALU_DEP_1) | instskip(NEXT) | instid1(VALU_DEP_1)
	v_fmac_f32_e32 v37, v38, v37
	v_mul_f32_e32 v38, v39, v37
	s_delay_alu instid0(VALU_DEP_1) | instskip(NEXT) | instid1(VALU_DEP_1)
	v_fma_f32 v41, -v36, v38, v39
	v_fmac_f32_e32 v38, v41, v37
	s_delay_alu instid0(VALU_DEP_1) | instskip(SKIP_1) | instid1(VALU_DEP_1)
	v_fma_f32 v36, -v36, v38, v39
	s_wait_alu 0xfffd
	v_div_fmas_f32 v36, v36, v37, v38
	s_delay_alu instid0(VALU_DEP_1) | instskip(NEXT) | instid1(VALU_DEP_1)
	v_div_fixup_f32 v37, v36, v1, v2
	v_fmac_f32_e32 v1, v2, v37
	s_delay_alu instid0(VALU_DEP_1) | instskip(SKIP_1) | instid1(VALU_DEP_2)
	v_div_scale_f32 v2, null, v1, v1, 1.0
	v_div_scale_f32 v39, vcc_lo, 1.0, v1, 1.0
	v_rcp_f32_e32 v36, v2
	s_delay_alu instid0(TRANS32_DEP_1) | instskip(NEXT) | instid1(VALU_DEP_1)
	v_fma_f32 v38, -v2, v36, 1.0
	v_fmac_f32_e32 v36, v38, v36
	s_delay_alu instid0(VALU_DEP_1) | instskip(NEXT) | instid1(VALU_DEP_1)
	v_mul_f32_e32 v38, v39, v36
	v_fma_f32 v41, -v2, v38, v39
	s_delay_alu instid0(VALU_DEP_1) | instskip(NEXT) | instid1(VALU_DEP_1)
	v_fmac_f32_e32 v38, v41, v36
	v_fma_f32 v2, -v2, v38, v39
	s_wait_alu 0xfffd
	s_delay_alu instid0(VALU_DEP_1) | instskip(NEXT) | instid1(VALU_DEP_1)
	v_div_fmas_f32 v2, v2, v36, v38
	v_div_fixup_f32 v36, v2, v1, 1.0
	s_delay_alu instid0(VALU_DEP_1)
	v_xor_b32_e32 v38, 0x80000000, v36
	v_mul_f32_e64 v37, v37, -v36
.LBB15_17:
	s_wait_alu 0xfffe
	s_or_b32 exec_lo, exec_lo, s1
	scratch_store_b64 v40, v[36:37], off
	scratch_load_b64 v[41:42], off, off offset:8
	v_xor_b32_e32 v39, 0x80000000, v37
	v_add_nc_u32_e32 v1, 0x80, v3
	s_wait_loadcnt 0x0
	ds_store_2addr_b64 v3, v[38:39], v[41:42] offset1:16
	s_wait_storecnt_dscnt 0x0
	s_barrier_signal -1
	s_barrier_wait -1
	global_inv scope:SCOPE_SE
	s_and_saveexec_b32 s1, s0
	s_cbranch_execz .LBB15_19
; %bb.18:
	scratch_load_b64 v[36:37], v40, off
	ds_load_b64 v[38:39], v1
	v_mov_b32_e32 v2, 0
	ds_load_b64 v[41:42], v2 offset:8
	s_wait_loadcnt_dscnt 0x1
	v_mul_f32_e32 v2, v38, v37
	v_mul_f32_e32 v37, v39, v37
	s_delay_alu instid0(VALU_DEP_2) | instskip(NEXT) | instid1(VALU_DEP_2)
	v_fmac_f32_e32 v2, v39, v36
	v_fma_f32 v36, v38, v36, -v37
	s_delay_alu instid0(VALU_DEP_2) | instskip(NEXT) | instid1(VALU_DEP_2)
	v_add_f32_e32 v2, 0, v2
	v_add_f32_e32 v36, 0, v36
	s_wait_dscnt 0x0
	s_delay_alu instid0(VALU_DEP_2) | instskip(NEXT) | instid1(VALU_DEP_2)
	v_mul_f32_e32 v38, v2, v42
	v_mul_f32_e32 v37, v36, v42
	s_delay_alu instid0(VALU_DEP_1) | instskip(NEXT) | instid1(VALU_DEP_3)
	v_fmac_f32_e32 v37, v2, v41
	v_fma_f32 v36, v36, v41, -v38
	scratch_store_b64 off, v[36:37], off offset:8
.LBB15_19:
	s_wait_alu 0xfffe
	s_or_b32 exec_lo, exec_lo, s1
	s_wait_loadcnt 0x0
	s_wait_storecnt 0x0
	s_barrier_signal -1
	s_barrier_wait -1
	global_inv scope:SCOPE_SE
	scratch_load_b64 v[36:37], off, off offset:16
	s_mov_b32 s1, exec_lo
	s_wait_loadcnt 0x0
	ds_store_b64 v1, v[36:37]
	s_wait_dscnt 0x0
	s_barrier_signal -1
	s_barrier_wait -1
	global_inv scope:SCOPE_SE
	v_cmpx_gt_u32_e32 2, v0
	s_cbranch_execz .LBB15_23
; %bb.20:
	scratch_load_b64 v[36:37], v40, off
	ds_load_b64 v[38:39], v1
	s_wait_loadcnt_dscnt 0x0
	v_mul_f32_e32 v2, v39, v37
	s_delay_alu instid0(VALU_DEP_1) | instskip(SKIP_1) | instid1(VALU_DEP_1)
	v_fma_f32 v2, v38, v36, -v2
	v_mul_f32_e32 v37, v38, v37
	v_dual_fmac_f32 v37, v39, v36 :: v_dual_add_f32 v36, 0, v2
	s_delay_alu instid0(VALU_DEP_1)
	v_add_f32_e32 v2, 0, v37
	s_and_saveexec_b32 s4, s0
	s_cbranch_execz .LBB15_22
; %bb.21:
	scratch_load_b64 v[37:38], off, off offset:8
	v_mov_b32_e32 v39, 0
	ds_load_b64 v[41:42], v39 offset:136
	s_wait_loadcnt_dscnt 0x0
	v_mul_f32_e32 v39, v41, v38
	v_mul_f32_e32 v38, v42, v38
	s_delay_alu instid0(VALU_DEP_2) | instskip(NEXT) | instid1(VALU_DEP_2)
	v_fmac_f32_e32 v39, v42, v37
	v_fma_f32 v37, v41, v37, -v38
	s_delay_alu instid0(VALU_DEP_2) | instskip(NEXT) | instid1(VALU_DEP_2)
	v_add_f32_e32 v2, v2, v39
	v_add_f32_e32 v36, v36, v37
.LBB15_22:
	s_wait_alu 0xfffe
	s_or_b32 exec_lo, exec_lo, s4
	v_mov_b32_e32 v37, 0
	ds_load_b64 v[37:38], v37 offset:16
	s_wait_dscnt 0x0
	v_mul_f32_e32 v41, v2, v38
	v_mul_f32_e32 v39, v36, v38
	s_delay_alu instid0(VALU_DEP_2) | instskip(NEXT) | instid1(VALU_DEP_2)
	v_fma_f32 v38, v36, v37, -v41
	v_fmac_f32_e32 v39, v2, v37
	scratch_store_b64 off, v[38:39], off offset:16
.LBB15_23:
	s_wait_alu 0xfffe
	s_or_b32 exec_lo, exec_lo, s1
	s_wait_loadcnt 0x0
	s_wait_storecnt 0x0
	s_barrier_signal -1
	s_barrier_wait -1
	global_inv scope:SCOPE_SE
	scratch_load_b64 v[36:37], off, off offset:24
	v_add_nc_u32_e32 v2, -1, v0
	s_mov_b32 s0, exec_lo
	s_wait_loadcnt 0x0
	ds_store_b64 v1, v[36:37]
	s_wait_dscnt 0x0
	s_barrier_signal -1
	s_barrier_wait -1
	global_inv scope:SCOPE_SE
	v_cmpx_gt_u32_e32 3, v0
	s_cbranch_execz .LBB15_27
; %bb.24:
	v_dual_mov_b32 v36, 0 :: v_dual_add_nc_u32 v37, -1, v0
	v_dual_mov_b32 v39, v3 :: v_dual_add_nc_u32 v38, 0x80, v3
	v_mov_b32_e32 v41, 0
	s_mov_b32 s1, 0
.LBB15_25:                              ; =>This Inner Loop Header: Depth=1
	scratch_load_b64 v[42:43], v39, off
	ds_load_b64 v[44:45], v38
	v_add_nc_u32_e32 v39, 8, v39
	v_add_nc_u32_e32 v37, 1, v37
	v_add_nc_u32_e32 v38, 8, v38
	s_delay_alu instid0(VALU_DEP_2)
	v_cmp_lt_u32_e32 vcc_lo, 1, v37
	s_wait_alu 0xfffe
	s_or_b32 s1, vcc_lo, s1
	s_wait_loadcnt_dscnt 0x0
	v_mul_f32_e32 v46, v45, v43
	v_mul_f32_e32 v43, v44, v43
	s_delay_alu instid0(VALU_DEP_2) | instskip(NEXT) | instid1(VALU_DEP_2)
	v_fma_f32 v44, v44, v42, -v46
	v_fmac_f32_e32 v43, v45, v42
	s_delay_alu instid0(VALU_DEP_1)
	v_dual_add_f32 v41, v41, v44 :: v_dual_add_f32 v36, v36, v43
	s_wait_alu 0xfffe
	s_and_not1_b32 exec_lo, exec_lo, s1
	s_cbranch_execnz .LBB15_25
; %bb.26:
	s_or_b32 exec_lo, exec_lo, s1
	v_mov_b32_e32 v37, 0
	ds_load_b64 v[37:38], v37 offset:24
	s_wait_dscnt 0x0
	v_mul_f32_e32 v42, v36, v38
	v_mul_f32_e32 v39, v41, v38
	s_delay_alu instid0(VALU_DEP_2) | instskip(NEXT) | instid1(VALU_DEP_2)
	v_fma_f32 v38, v41, v37, -v42
	v_fmac_f32_e32 v39, v36, v37
	scratch_store_b64 off, v[38:39], off offset:24
.LBB15_27:
	s_wait_alu 0xfffe
	s_or_b32 exec_lo, exec_lo, s0
	s_wait_loadcnt 0x0
	s_wait_storecnt 0x0
	s_barrier_signal -1
	s_barrier_wait -1
	global_inv scope:SCOPE_SE
	scratch_load_b64 v[36:37], off, off offset:32
	s_mov_b32 s0, exec_lo
	s_wait_loadcnt 0x0
	ds_store_b64 v1, v[36:37]
	s_wait_dscnt 0x0
	s_barrier_signal -1
	s_barrier_wait -1
	global_inv scope:SCOPE_SE
	v_cmpx_gt_u32_e32 4, v0
	s_cbranch_execz .LBB15_31
; %bb.28:
	v_dual_mov_b32 v36, 0 :: v_dual_add_nc_u32 v37, -1, v0
	v_dual_mov_b32 v39, v3 :: v_dual_add_nc_u32 v38, 0x80, v3
	v_mov_b32_e32 v41, 0
	s_mov_b32 s1, 0
.LBB15_29:                              ; =>This Inner Loop Header: Depth=1
	scratch_load_b64 v[42:43], v39, off
	ds_load_b64 v[44:45], v38
	v_add_nc_u32_e32 v39, 8, v39
	v_add_nc_u32_e32 v37, 1, v37
	v_add_nc_u32_e32 v38, 8, v38
	s_delay_alu instid0(VALU_DEP_2)
	v_cmp_lt_u32_e32 vcc_lo, 2, v37
	s_wait_alu 0xfffe
	s_or_b32 s1, vcc_lo, s1
	s_wait_loadcnt_dscnt 0x0
	v_mul_f32_e32 v46, v45, v43
	v_mul_f32_e32 v43, v44, v43
	s_delay_alu instid0(VALU_DEP_2) | instskip(NEXT) | instid1(VALU_DEP_2)
	v_fma_f32 v44, v44, v42, -v46
	v_fmac_f32_e32 v43, v45, v42
	s_delay_alu instid0(VALU_DEP_1)
	v_dual_add_f32 v41, v41, v44 :: v_dual_add_f32 v36, v36, v43
	s_wait_alu 0xfffe
	s_and_not1_b32 exec_lo, exec_lo, s1
	s_cbranch_execnz .LBB15_29
; %bb.30:
	s_or_b32 exec_lo, exec_lo, s1
	v_mov_b32_e32 v37, 0
	ds_load_b64 v[37:38], v37 offset:32
	s_wait_dscnt 0x0
	v_mul_f32_e32 v42, v36, v38
	v_mul_f32_e32 v39, v41, v38
	s_delay_alu instid0(VALU_DEP_2) | instskip(NEXT) | instid1(VALU_DEP_2)
	v_fma_f32 v38, v41, v37, -v42
	v_fmac_f32_e32 v39, v36, v37
	scratch_store_b64 off, v[38:39], off offset:32
.LBB15_31:
	s_wait_alu 0xfffe
	s_or_b32 exec_lo, exec_lo, s0
	s_wait_loadcnt 0x0
	s_wait_storecnt 0x0
	s_barrier_signal -1
	s_barrier_wait -1
	global_inv scope:SCOPE_SE
	scratch_load_b64 v[36:37], off, off offset:40
	;; [unrolled: 55-line block ×11, first 2 shown]
	s_mov_b32 s0, exec_lo
	s_wait_loadcnt 0x0
	ds_store_b64 v1, v[36:37]
	s_wait_dscnt 0x0
	s_barrier_signal -1
	s_barrier_wait -1
	global_inv scope:SCOPE_SE
	v_cmpx_gt_u32_e32 14, v0
	s_cbranch_execz .LBB15_71
; %bb.68:
	v_add_nc_u32_e32 v36, -1, v0
	v_dual_mov_b32 v38, v3 :: v_dual_add_nc_u32 v37, 0x80, v3
	v_mov_b32_e32 v3, 0
	v_mov_b32_e32 v39, 0
	s_mov_b32 s1, 0
.LBB15_69:                              ; =>This Inner Loop Header: Depth=1
	scratch_load_b64 v[41:42], v38, off
	ds_load_b64 v[43:44], v37
	v_add_nc_u32_e32 v38, 8, v38
	v_add_nc_u32_e32 v36, 1, v36
	;; [unrolled: 1-line block ×3, first 2 shown]
	s_delay_alu instid0(VALU_DEP_2)
	v_cmp_lt_u32_e32 vcc_lo, 12, v36
	s_wait_alu 0xfffe
	s_or_b32 s1, vcc_lo, s1
	s_wait_loadcnt_dscnt 0x0
	v_mul_f32_e32 v45, v44, v42
	v_mul_f32_e32 v42, v43, v42
	s_delay_alu instid0(VALU_DEP_2) | instskip(NEXT) | instid1(VALU_DEP_1)
	v_fma_f32 v43, v43, v41, -v45
	v_dual_fmac_f32 v42, v44, v41 :: v_dual_add_f32 v39, v39, v43
	s_delay_alu instid0(VALU_DEP_1)
	v_add_f32_e32 v3, v3, v42
	s_wait_alu 0xfffe
	s_and_not1_b32 exec_lo, exec_lo, s1
	s_cbranch_execnz .LBB15_69
; %bb.70:
	s_or_b32 exec_lo, exec_lo, s1
	v_mov_b32_e32 v36, 0
	ds_load_b64 v[36:37], v36 offset:112
	s_wait_dscnt 0x0
	v_mul_f32_e32 v41, v3, v37
	v_mul_f32_e32 v38, v39, v37
	s_delay_alu instid0(VALU_DEP_2) | instskip(NEXT) | instid1(VALU_DEP_2)
	v_fma_f32 v37, v39, v36, -v41
	v_fmac_f32_e32 v38, v3, v36
	scratch_store_b64 off, v[37:38], off offset:112
.LBB15_71:
	s_wait_alu 0xfffe
	s_or_b32 exec_lo, exec_lo, s0
	s_wait_loadcnt 0x0
	s_wait_storecnt 0x0
	s_barrier_signal -1
	s_barrier_wait -1
	global_inv scope:SCOPE_SE
	scratch_load_b64 v[36:37], off, off offset:120
	s_mov_b32 s0, exec_lo
	s_wait_loadcnt 0x0
	ds_store_b64 v1, v[36:37]
	s_wait_dscnt 0x0
	s_barrier_signal -1
	s_barrier_wait -1
	global_inv scope:SCOPE_SE
	v_cmpx_ne_u32_e32 15, v0
	s_cbranch_execz .LBB15_75
; %bb.72:
	v_dual_mov_b32 v3, 0 :: v_dual_mov_b32 v36, 0
	s_mov_b32 s1, 0
.LBB15_73:                              ; =>This Inner Loop Header: Depth=1
	scratch_load_b64 v[37:38], v40, off
	ds_load_b64 v[41:42], v1
	v_add_nc_u32_e32 v2, 1, v2
	v_add_nc_u32_e32 v1, 8, v1
	;; [unrolled: 1-line block ×3, first 2 shown]
	s_delay_alu instid0(VALU_DEP_3)
	v_cmp_lt_u32_e32 vcc_lo, 13, v2
	s_wait_alu 0xfffe
	s_or_b32 s1, vcc_lo, s1
	s_wait_loadcnt_dscnt 0x0
	v_mul_f32_e32 v39, v42, v38
	v_mul_f32_e32 v38, v41, v38
	s_delay_alu instid0(VALU_DEP_2) | instskip(NEXT) | instid1(VALU_DEP_2)
	v_fma_f32 v39, v41, v37, -v39
	v_fmac_f32_e32 v38, v42, v37
	s_delay_alu instid0(VALU_DEP_1)
	v_dual_add_f32 v36, v36, v39 :: v_dual_add_f32 v3, v3, v38
	s_wait_alu 0xfffe
	s_and_not1_b32 exec_lo, exec_lo, s1
	s_cbranch_execnz .LBB15_73
; %bb.74:
	s_or_b32 exec_lo, exec_lo, s1
	v_mov_b32_e32 v1, 0
	ds_load_b64 v[1:2], v1 offset:120
	s_wait_dscnt 0x0
	v_mul_f32_e32 v38, v3, v2
	v_mul_f32_e32 v37, v36, v2
	s_delay_alu instid0(VALU_DEP_2) | instskip(NEXT) | instid1(VALU_DEP_2)
	v_fma_f32 v36, v36, v1, -v38
	v_fmac_f32_e32 v37, v3, v1
	scratch_store_b64 off, v[36:37], off offset:120
.LBB15_75:
	s_wait_alu 0xfffe
	s_or_b32 exec_lo, exec_lo, s0
	s_mov_b32 s1, -1
	s_wait_loadcnt 0x0
	s_wait_storecnt 0x0
	s_barrier_signal -1
	s_barrier_wait -1
	global_inv scope:SCOPE_SE
.LBB15_76:
	s_wait_alu 0xfffe
	s_and_b32 vcc_lo, exec_lo, s1
	s_wait_alu 0xfffe
	s_cbranch_vccz .LBB15_78
; %bb.77:
	v_mov_b32_e32 v1, 0
	s_lshl_b64 s[0:1], s[16:17], 2
	s_wait_alu 0xfffe
	s_add_nc_u64 s[0:1], s[6:7], s[0:1]
	global_load_b32 v1, v1, s[0:1]
	s_wait_loadcnt 0x0
	v_cmp_ne_u32_e32 vcc_lo, 0, v1
	s_cbranch_vccz .LBB15_79
.LBB15_78:
	s_nop 0
	s_sendmsg sendmsg(MSG_DEALLOC_VGPRS)
	s_endpgm
.LBB15_79:
	v_lshl_add_u32 v3, v0, 3, 0x80
	s_mov_b32 s0, exec_lo
	v_cmpx_eq_u32_e32 15, v0
	s_cbranch_execz .LBB15_81
; %bb.80:
	scratch_load_b64 v[1:2], off, off offset:112
	v_mov_b32_e32 v36, 0
	s_delay_alu instid0(VALU_DEP_1)
	v_mov_b32_e32 v37, v36
	scratch_store_b64 off, v[36:37], off offset:112
	s_wait_loadcnt 0x0
	ds_store_b64 v3, v[1:2]
.LBB15_81:
	s_wait_alu 0xfffe
	s_or_b32 exec_lo, exec_lo, s0
	s_wait_storecnt_dscnt 0x0
	s_barrier_signal -1
	s_barrier_wait -1
	global_inv scope:SCOPE_SE
	s_clause 0x1
	scratch_load_b64 v[36:37], off, off offset:120
	scratch_load_b64 v[38:39], off, off offset:112
	v_mov_b32_e32 v1, 0
	s_mov_b32 s0, exec_lo
	ds_load_b64 v[40:41], v1 offset:248
	s_wait_loadcnt_dscnt 0x100
	v_mul_f32_e32 v2, v41, v37
	s_delay_alu instid0(VALU_DEP_1) | instskip(NEXT) | instid1(VALU_DEP_1)
	v_fma_f32 v2, v40, v36, -v2
	v_dual_mul_f32 v37, v40, v37 :: v_dual_add_f32 v2, 0, v2
	s_wait_loadcnt 0x0
	s_delay_alu instid0(VALU_DEP_1) | instskip(NEXT) | instid1(VALU_DEP_1)
	v_dual_fmac_f32 v37, v41, v36 :: v_dual_sub_f32 v36, v38, v2
	v_add_f32_e32 v37, 0, v37
	s_delay_alu instid0(VALU_DEP_1)
	v_sub_f32_e32 v37, v39, v37
	scratch_store_b64 off, v[36:37], off offset:112
	v_cmpx_lt_u32_e32 13, v0
	s_cbranch_execz .LBB15_83
; %bb.82:
	scratch_load_b64 v[36:37], off, off offset:104
	v_mov_b32_e32 v2, v1
	scratch_store_b64 off, v[1:2], off offset:104
	s_wait_loadcnt 0x0
	ds_store_b64 v3, v[36:37]
.LBB15_83:
	s_wait_alu 0xfffe
	s_or_b32 exec_lo, exec_lo, s0
	s_wait_storecnt_dscnt 0x0
	s_barrier_signal -1
	s_barrier_wait -1
	global_inv scope:SCOPE_SE
	s_clause 0x1
	scratch_load_b128 v[36:39], off, off offset:112
	scratch_load_b64 v[44:45], off, off offset:104
	ds_load_b128 v[40:43], v1 offset:240
	s_mov_b32 s0, exec_lo
	s_wait_loadcnt_dscnt 0x100
	v_mul_f32_e32 v2, v40, v37
	s_delay_alu instid0(VALU_DEP_1) | instskip(SKIP_2) | instid1(VALU_DEP_1)
	v_fmac_f32_e32 v2, v41, v36
	v_mul_f32_e32 v1, v41, v37
	v_mul_f32_e32 v37, v42, v39
	v_fmac_f32_e32 v37, v43, v38
	s_delay_alu instid0(VALU_DEP_4) | instskip(NEXT) | instid1(VALU_DEP_4)
	v_dual_add_f32 v2, 0, v2 :: v_dual_mul_f32 v39, v43, v39
	v_fma_f32 v1, v40, v36, -v1
	s_delay_alu instid0(VALU_DEP_2) | instskip(NEXT) | instid1(VALU_DEP_3)
	v_add_f32_e32 v2, v2, v37
	v_fma_f32 v36, v42, v38, -v39
	s_wait_loadcnt 0x0
	s_delay_alu instid0(VALU_DEP_2) | instskip(NEXT) | instid1(VALU_DEP_1)
	v_dual_add_f32 v1, 0, v1 :: v_dual_sub_f32 v2, v45, v2
	v_add_f32_e32 v1, v1, v36
	s_delay_alu instid0(VALU_DEP_1)
	v_sub_f32_e32 v1, v44, v1
	scratch_store_b64 off, v[1:2], off offset:104
	v_cmpx_lt_u32_e32 12, v0
	s_cbranch_execz .LBB15_85
; %bb.84:
	scratch_load_b64 v[1:2], off, off offset:96
	v_mov_b32_e32 v36, 0
	s_delay_alu instid0(VALU_DEP_1)
	v_mov_b32_e32 v37, v36
	scratch_store_b64 off, v[36:37], off offset:96
	s_wait_loadcnt 0x0
	ds_store_b64 v3, v[1:2]
.LBB15_85:
	s_wait_alu 0xfffe
	s_or_b32 exec_lo, exec_lo, s0
	s_wait_storecnt_dscnt 0x0
	s_barrier_signal -1
	s_barrier_wait -1
	global_inv scope:SCOPE_SE
	s_clause 0x2
	scratch_load_b128 v[36:39], off, off offset:104
	scratch_load_b64 v[44:45], off, off offset:120
	scratch_load_b64 v[46:47], off, off offset:96
	v_mov_b32_e32 v1, 0
	ds_load_2addr_b64 v[40:43], v1 offset0:29 offset1:30
	ds_load_b64 v[48:49], v1 offset:248
	s_mov_b32 s0, exec_lo
	s_wait_loadcnt_dscnt 0x201
	v_mul_f32_e32 v2, v41, v37
	v_dual_mul_f32 v37, v40, v37 :: v_dual_mul_f32 v50, v42, v39
	v_mul_f32_e32 v39, v43, v39
	s_wait_loadcnt_dscnt 0x100
	v_mul_f32_e32 v51, v48, v45
	v_fma_f32 v2, v40, v36, -v2
	v_fmac_f32_e32 v37, v41, v36
	v_mul_f32_e32 v36, v49, v45
	v_fmac_f32_e32 v50, v43, v38
	v_fma_f32 v38, v42, v38, -v39
	s_delay_alu instid0(VALU_DEP_4) | instskip(NEXT) | instid1(VALU_DEP_4)
	v_dual_add_f32 v2, 0, v2 :: v_dual_add_f32 v37, 0, v37
	v_fma_f32 v36, v48, v44, -v36
	s_delay_alu instid0(VALU_DEP_2) | instskip(NEXT) | instid1(VALU_DEP_1)
	v_add_f32_e32 v2, v2, v38
	v_dual_add_f32 v37, v37, v50 :: v_dual_add_f32 v2, v2, v36
	s_wait_loadcnt 0x0
	s_delay_alu instid0(VALU_DEP_1) | instskip(NEXT) | instid1(VALU_DEP_1)
	v_dual_fmac_f32 v51, v49, v44 :: v_dual_sub_f32 v36, v46, v2
	v_add_f32_e32 v37, v37, v51
	s_delay_alu instid0(VALU_DEP_1)
	v_sub_f32_e32 v37, v47, v37
	scratch_store_b64 off, v[36:37], off offset:96
	v_cmpx_lt_u32_e32 11, v0
	s_cbranch_execz .LBB15_87
; %bb.86:
	scratch_load_b64 v[36:37], off, off offset:88
	v_mov_b32_e32 v2, v1
	scratch_store_b64 off, v[1:2], off offset:88
	s_wait_loadcnt 0x0
	ds_store_b64 v3, v[36:37]
.LBB15_87:
	s_wait_alu 0xfffe
	s_or_b32 exec_lo, exec_lo, s0
	s_wait_storecnt_dscnt 0x0
	s_barrier_signal -1
	s_barrier_wait -1
	global_inv scope:SCOPE_SE
	s_clause 0x2
	scratch_load_b128 v[36:39], off, off offset:96
	scratch_load_b128 v[40:43], off, off offset:112
	scratch_load_b64 v[52:53], off, off offset:88
	ds_load_b128 v[44:47], v1 offset:224
	ds_load_b128 v[48:51], v1 offset:240
	s_mov_b32 s0, exec_lo
	s_wait_loadcnt_dscnt 0x201
	v_mul_f32_e32 v2, v45, v37
	s_wait_loadcnt_dscnt 0x100
	v_dual_mul_f32 v54, v48, v41 :: v_dual_mul_f32 v55, v50, v43
	s_delay_alu instid0(VALU_DEP_2) | instskip(SKIP_2) | instid1(VALU_DEP_4)
	v_fma_f32 v2, v44, v36, -v2
	v_mul_f32_e32 v1, v44, v37
	v_mul_f32_e32 v37, v46, v39
	v_dual_mul_f32 v39, v47, v39 :: v_dual_fmac_f32 v54, v49, v40
	s_delay_alu instid0(VALU_DEP_3) | instskip(NEXT) | instid1(VALU_DEP_3)
	v_dual_add_f32 v2, 0, v2 :: v_dual_fmac_f32 v1, v45, v36
	v_dual_mul_f32 v36, v49, v41 :: v_dual_fmac_f32 v37, v47, v38
	s_delay_alu instid0(VALU_DEP_3) | instskip(SKIP_1) | instid1(VALU_DEP_3)
	v_fma_f32 v38, v46, v38, -v39
	v_fmac_f32_e32 v55, v51, v42
	v_fma_f32 v36, v48, v40, -v36
	s_delay_alu instid0(VALU_DEP_3) | instskip(NEXT) | instid1(VALU_DEP_1)
	v_dual_add_f32 v2, v2, v38 :: v_dual_add_f32 v1, 0, v1
	v_dual_add_f32 v2, v2, v36 :: v_dual_mul_f32 v39, v51, v43
	s_delay_alu instid0(VALU_DEP_2) | instskip(NEXT) | instid1(VALU_DEP_2)
	v_add_f32_e32 v1, v1, v37
	v_fma_f32 v37, v50, v42, -v39
	s_delay_alu instid0(VALU_DEP_1) | instskip(SKIP_1) | instid1(VALU_DEP_1)
	v_dual_add_f32 v1, v1, v54 :: v_dual_add_f32 v2, v2, v37
	s_wait_loadcnt 0x0
	v_dual_add_f32 v36, v1, v55 :: v_dual_sub_f32 v1, v52, v2
	s_delay_alu instid0(VALU_DEP_1)
	v_sub_f32_e32 v2, v53, v36
	scratch_store_b64 off, v[1:2], off offset:88
	v_cmpx_lt_u32_e32 10, v0
	s_cbranch_execz .LBB15_89
; %bb.88:
	scratch_load_b64 v[1:2], off, off offset:80
	v_mov_b32_e32 v36, 0
	s_delay_alu instid0(VALU_DEP_1)
	v_mov_b32_e32 v37, v36
	scratch_store_b64 off, v[36:37], off offset:80
	s_wait_loadcnt 0x0
	ds_store_b64 v3, v[1:2]
.LBB15_89:
	s_wait_alu 0xfffe
	s_or_b32 exec_lo, exec_lo, s0
	s_wait_storecnt_dscnt 0x0
	s_barrier_signal -1
	s_barrier_wait -1
	global_inv scope:SCOPE_SE
	s_clause 0x3
	scratch_load_b128 v[36:39], off, off offset:88
	scratch_load_b128 v[40:43], off, off offset:104
	scratch_load_b64 v[52:53], off, off offset:120
	scratch_load_b64 v[54:55], off, off offset:80
	v_mov_b32_e32 v1, 0
	ds_load_2addr_b64 v[44:47], v1 offset0:27 offset1:28
	ds_load_2addr_b64 v[48:51], v1 offset0:29 offset1:30
	ds_load_b64 v[56:57], v1 offset:248
	s_mov_b32 s0, exec_lo
	s_wait_loadcnt_dscnt 0x302
	v_mul_f32_e32 v2, v44, v37
	v_dual_mul_f32 v58, v46, v39 :: v_dual_mul_f32 v37, v45, v37
	s_wait_loadcnt_dscnt 0x100
	v_mul_f32_e32 v61, v56, v53
	v_dual_mul_f32 v59, v48, v41 :: v_dual_mul_f32 v60, v50, v43
	v_dual_fmac_f32 v2, v45, v36 :: v_dual_mul_f32 v39, v47, v39
	v_fma_f32 v37, v44, v36, -v37
	v_fmac_f32_e32 v58, v47, v38
	v_mul_f32_e32 v36, v49, v41
	s_delay_alu instid0(VALU_DEP_4) | instskip(SKIP_3) | instid1(VALU_DEP_4)
	v_add_f32_e32 v2, 0, v2
	v_fma_f32 v38, v46, v38, -v39
	v_add_f32_e32 v37, 0, v37
	v_mul_f32_e32 v39, v51, v43
	v_dual_fmac_f32 v59, v49, v40 :: v_dual_add_f32 v2, v2, v58
	v_dual_fmac_f32 v60, v51, v42 :: v_dual_fmac_f32 v61, v57, v52
	s_delay_alu instid0(VALU_DEP_4) | instskip(SKIP_1) | instid1(VALU_DEP_4)
	v_add_f32_e32 v37, v37, v38
	v_fma_f32 v36, v48, v40, -v36
	v_add_f32_e32 v2, v2, v59
	v_fma_f32 v39, v50, v42, -v39
	s_delay_alu instid0(VALU_DEP_3) | instskip(NEXT) | instid1(VALU_DEP_3)
	v_add_f32_e32 v36, v37, v36
	v_add_f32_e32 v2, v2, v60
	s_delay_alu instid0(VALU_DEP_2) | instskip(NEXT) | instid1(VALU_DEP_2)
	v_add_f32_e32 v36, v36, v39
	v_add_f32_e32 v2, v2, v61
	v_mul_f32_e32 v38, v57, v53
	s_delay_alu instid0(VALU_DEP_1) | instskip(SKIP_1) | instid1(VALU_DEP_1)
	v_fma_f32 v37, v56, v52, -v38
	s_wait_loadcnt 0x0
	v_dual_add_f32 v36, v36, v37 :: v_dual_sub_f32 v37, v55, v2
	s_delay_alu instid0(VALU_DEP_1)
	v_sub_f32_e32 v36, v54, v36
	scratch_store_b64 off, v[36:37], off offset:80
	v_cmpx_lt_u32_e32 9, v0
	s_cbranch_execz .LBB15_91
; %bb.90:
	scratch_load_b64 v[36:37], off, off offset:72
	v_mov_b32_e32 v2, v1
	scratch_store_b64 off, v[1:2], off offset:72
	s_wait_loadcnt 0x0
	ds_store_b64 v3, v[36:37]
.LBB15_91:
	s_wait_alu 0xfffe
	s_or_b32 exec_lo, exec_lo, s0
	s_wait_storecnt_dscnt 0x0
	s_barrier_signal -1
	s_barrier_wait -1
	global_inv scope:SCOPE_SE
	s_clause 0x3
	scratch_load_b128 v[36:39], off, off offset:80
	scratch_load_b128 v[40:43], off, off offset:96
	;; [unrolled: 1-line block ×3, first 2 shown]
	scratch_load_b64 v[60:61], off, off offset:72
	ds_load_b128 v[48:51], v1 offset:208
	ds_load_b128 v[52:55], v1 offset:224
	;; [unrolled: 1-line block ×3, first 2 shown]
	s_mov_b32 s0, exec_lo
	s_wait_loadcnt_dscnt 0x302
	v_dual_mul_f32 v1, v48, v37 :: v_dual_mul_f32 v2, v50, v39
	v_mul_f32_e32 v37, v49, v37
	s_wait_loadcnt_dscnt 0x201
	v_dual_mul_f32 v39, v51, v39 :: v_dual_mul_f32 v62, v52, v41
	s_delay_alu instid0(VALU_DEP_3) | instskip(NEXT) | instid1(VALU_DEP_3)
	v_dual_mul_f32 v63, v54, v43 :: v_dual_fmac_f32 v2, v51, v38
	v_fma_f32 v37, v48, v36, -v37
	v_fmac_f32_e32 v1, v49, v36
	v_mul_f32_e32 v36, v53, v41
	v_fma_f32 v38, v50, v38, -v39
	v_mul_f32_e32 v39, v55, v43
	v_dual_add_f32 v37, 0, v37 :: v_dual_fmac_f32 v62, v53, v40
	s_delay_alu instid0(VALU_DEP_4) | instskip(SKIP_2) | instid1(VALU_DEP_3)
	v_fma_f32 v36, v52, v40, -v36
	s_wait_loadcnt_dscnt 0x100
	v_dual_mul_f32 v64, v56, v45 :: v_dual_mul_f32 v65, v58, v47
	v_add_f32_e32 v37, v37, v38
	v_fmac_f32_e32 v63, v55, v42
	v_fma_f32 v38, v54, v42, -v39
	s_delay_alu instid0(VALU_DEP_4) | instskip(NEXT) | instid1(VALU_DEP_4)
	v_dual_fmac_f32 v64, v57, v44 :: v_dual_fmac_f32 v65, v59, v46
	v_add_f32_e32 v36, v37, v36
	s_delay_alu instid0(VALU_DEP_1) | instskip(SKIP_1) | instid1(VALU_DEP_1)
	v_dual_add_f32 v36, v36, v38 :: v_dual_add_f32 v1, 0, v1
	v_mul_f32_e32 v37, v59, v47
	v_fma_f32 v37, v58, v46, -v37
	s_delay_alu instid0(VALU_DEP_3) | instskip(SKIP_1) | instid1(VALU_DEP_1)
	v_add_f32_e32 v1, v1, v2
	v_mul_f32_e32 v2, v57, v45
	v_fma_f32 v2, v56, v44, -v2
	s_delay_alu instid0(VALU_DEP_1) | instskip(NEXT) | instid1(VALU_DEP_1)
	v_add_f32_e32 v2, v36, v2
	v_dual_add_f32 v2, v2, v37 :: v_dual_add_f32 v1, v1, v62
	s_delay_alu instid0(VALU_DEP_1) | instskip(NEXT) | instid1(VALU_DEP_1)
	v_add_f32_e32 v1, v1, v63
	v_add_f32_e32 v1, v1, v64
	s_wait_loadcnt 0x0
	s_delay_alu instid0(VALU_DEP_1) | instskip(NEXT) | instid1(VALU_DEP_1)
	v_dual_add_f32 v36, v1, v65 :: v_dual_sub_f32 v1, v60, v2
	v_sub_f32_e32 v2, v61, v36
	scratch_store_b64 off, v[1:2], off offset:72
	v_cmpx_lt_u32_e32 8, v0
	s_cbranch_execz .LBB15_93
; %bb.92:
	scratch_load_b64 v[1:2], off, off offset:64
	v_mov_b32_e32 v36, 0
	s_delay_alu instid0(VALU_DEP_1)
	v_mov_b32_e32 v37, v36
	scratch_store_b64 off, v[36:37], off offset:64
	s_wait_loadcnt 0x0
	ds_store_b64 v3, v[1:2]
.LBB15_93:
	s_wait_alu 0xfffe
	s_or_b32 exec_lo, exec_lo, s0
	s_wait_storecnt_dscnt 0x0
	s_barrier_signal -1
	s_barrier_wait -1
	global_inv scope:SCOPE_SE
	s_clause 0x4
	scratch_load_b128 v[36:39], off, off offset:72
	scratch_load_b128 v[40:43], off, off offset:88
	;; [unrolled: 1-line block ×3, first 2 shown]
	scratch_load_b64 v[60:61], off, off offset:120
	scratch_load_b64 v[62:63], off, off offset:64
	v_mov_b32_e32 v1, 0
	ds_load_2addr_b64 v[48:51], v1 offset0:25 offset1:26
	ds_load_2addr_b64 v[52:55], v1 offset0:27 offset1:28
	;; [unrolled: 1-line block ×3, first 2 shown]
	ds_load_b64 v[64:65], v1 offset:248
	s_mov_b32 s0, exec_lo
	s_wait_loadcnt_dscnt 0x403
	v_mul_f32_e32 v2, v48, v37
	s_wait_loadcnt_dscnt 0x302
	v_dual_mul_f32 v66, v50, v39 :: v_dual_mul_f32 v67, v52, v41
	v_dual_mul_f32 v68, v54, v43 :: v_dual_mul_f32 v37, v49, v37
	s_wait_loadcnt_dscnt 0x100
	v_dual_mul_f32 v71, v64, v61 :: v_dual_fmac_f32 v2, v49, v36
	v_mul_f32_e32 v39, v51, v39
	v_dual_mul_f32 v69, v56, v45 :: v_dual_mul_f32 v70, v58, v47
	v_fma_f32 v37, v48, v36, -v37
	v_fmac_f32_e32 v66, v51, v38
	v_add_f32_e32 v2, 0, v2
	v_mul_f32_e32 v36, v53, v41
	v_fma_f32 v38, v50, v38, -v39
	v_add_f32_e32 v37, 0, v37
	v_mul_f32_e32 v39, v55, v43
	v_dual_fmac_f32 v67, v53, v40 :: v_dual_add_f32 v2, v2, v66
	v_dual_fmac_f32 v68, v55, v42 :: v_dual_fmac_f32 v69, v57, v44
	s_delay_alu instid0(VALU_DEP_4) | instskip(SKIP_1) | instid1(VALU_DEP_4)
	v_add_f32_e32 v37, v37, v38
	v_dual_fmac_f32 v70, v59, v46 :: v_dual_fmac_f32 v71, v65, v60
	v_add_f32_e32 v2, v2, v67
	v_fma_f32 v36, v52, v40, -v36
	v_mul_f32_e32 v38, v57, v45
	v_fma_f32 v39, v54, v42, -v39
	s_delay_alu instid0(VALU_DEP_4) | instskip(NEXT) | instid1(VALU_DEP_1)
	v_add_f32_e32 v2, v2, v68
	v_add_f32_e32 v2, v2, v69
	s_delay_alu instid0(VALU_DEP_1) | instskip(NEXT) | instid1(VALU_DEP_1)
	v_add_f32_e32 v2, v2, v70
	v_add_f32_e32 v2, v2, v71
	v_dual_add_f32 v36, v37, v36 :: v_dual_mul_f32 v37, v59, v47
	v_fma_f32 v38, v56, v44, -v38
	s_delay_alu instid0(VALU_DEP_2) | instskip(NEXT) | instid1(VALU_DEP_3)
	v_dual_add_f32 v36, v36, v39 :: v_dual_mul_f32 v39, v65, v61
	v_fma_f32 v37, v58, v46, -v37
	s_delay_alu instid0(VALU_DEP_2) | instskip(NEXT) | instid1(VALU_DEP_3)
	v_add_f32_e32 v36, v36, v38
	v_fma_f32 v38, v64, v60, -v39
	s_wait_loadcnt 0x0
	s_delay_alu instid0(VALU_DEP_2) | instskip(NEXT) | instid1(VALU_DEP_1)
	v_dual_add_f32 v36, v36, v37 :: v_dual_sub_f32 v37, v63, v2
	v_add_f32_e32 v36, v36, v38
	s_delay_alu instid0(VALU_DEP_1)
	v_sub_f32_e32 v36, v62, v36
	scratch_store_b64 off, v[36:37], off offset:64
	v_cmpx_lt_u32_e32 7, v0
	s_cbranch_execz .LBB15_95
; %bb.94:
	scratch_load_b64 v[36:37], off, off offset:56
	v_mov_b32_e32 v2, v1
	scratch_store_b64 off, v[1:2], off offset:56
	s_wait_loadcnt 0x0
	ds_store_b64 v3, v[36:37]
.LBB15_95:
	s_wait_alu 0xfffe
	s_or_b32 exec_lo, exec_lo, s0
	s_wait_storecnt_dscnt 0x0
	s_barrier_signal -1
	s_barrier_wait -1
	global_inv scope:SCOPE_SE
	s_clause 0x4
	scratch_load_b128 v[36:39], off, off offset:64
	scratch_load_b128 v[40:43], off, off offset:80
	;; [unrolled: 1-line block ×4, first 2 shown]
	scratch_load_b64 v[68:69], off, off offset:56
	ds_load_b128 v[52:55], v1 offset:192
	ds_load_b128 v[56:59], v1 offset:208
	ds_load_b128 v[60:63], v1 offset:224
	ds_load_b128 v[64:67], v1 offset:240
	s_mov_b32 s0, exec_lo
	s_wait_loadcnt_dscnt 0x403
	v_dual_mul_f32 v1, v52, v37 :: v_dual_mul_f32 v2, v54, v39
	v_mul_f32_e32 v37, v53, v37
	s_wait_loadcnt_dscnt 0x302
	v_dual_mul_f32 v39, v55, v39 :: v_dual_mul_f32 v70, v56, v41
	s_delay_alu instid0(VALU_DEP_3) | instskip(NEXT) | instid1(VALU_DEP_3)
	v_dual_mul_f32 v71, v58, v43 :: v_dual_fmac_f32 v2, v55, v38
	v_fma_f32 v37, v52, v36, -v37
	v_fmac_f32_e32 v1, v53, v36
	v_mul_f32_e32 v36, v57, v41
	v_fma_f32 v38, v54, v38, -v39
	v_mul_f32_e32 v39, v59, v43
	v_dual_add_f32 v37, 0, v37 :: v_dual_fmac_f32 v70, v57, v40
	s_delay_alu instid0(VALU_DEP_4) | instskip(SKIP_2) | instid1(VALU_DEP_3)
	v_fma_f32 v36, v56, v40, -v36
	s_wait_loadcnt_dscnt 0x201
	v_dual_mul_f32 v72, v60, v45 :: v_dual_mul_f32 v73, v62, v47
	v_add_f32_e32 v37, v37, v38
	v_fmac_f32_e32 v71, v59, v42
	v_fma_f32 v38, v58, v42, -v39
	s_wait_loadcnt_dscnt 0x100
	v_dual_mul_f32 v74, v64, v49 :: v_dual_mul_f32 v75, v66, v51
	v_dual_add_f32 v36, v37, v36 :: v_dual_mul_f32 v37, v63, v47
	v_dual_fmac_f32 v72, v61, v44 :: v_dual_fmac_f32 v73, v63, v46
	s_delay_alu instid0(VALU_DEP_3) | instskip(NEXT) | instid1(VALU_DEP_3)
	v_fmac_f32_e32 v74, v65, v48
	v_dual_add_f32 v36, v36, v38 :: v_dual_add_f32 v1, 0, v1
	v_mul_f32_e32 v38, v65, v49
	v_fma_f32 v37, v62, v46, -v37
	v_fmac_f32_e32 v75, v67, v50
	s_delay_alu instid0(VALU_DEP_4) | instskip(SKIP_2) | instid1(VALU_DEP_2)
	v_add_f32_e32 v1, v1, v2
	v_mul_f32_e32 v2, v61, v45
	v_fma_f32 v38, v64, v48, -v38
	v_fma_f32 v2, v60, v44, -v2
	s_delay_alu instid0(VALU_DEP_1) | instskip(SKIP_1) | instid1(VALU_DEP_2)
	v_add_f32_e32 v2, v36, v2
	v_mul_f32_e32 v36, v67, v51
	v_add_f32_e32 v2, v2, v37
	s_delay_alu instid0(VALU_DEP_2) | instskip(NEXT) | instid1(VALU_DEP_2)
	v_fma_f32 v36, v66, v50, -v36
	v_add_f32_e32 v2, v2, v38
	s_delay_alu instid0(VALU_DEP_1) | instskip(NEXT) | instid1(VALU_DEP_1)
	v_dual_add_f32 v1, v1, v70 :: v_dual_add_f32 v2, v2, v36
	v_add_f32_e32 v1, v1, v71
	s_delay_alu instid0(VALU_DEP_1) | instskip(NEXT) | instid1(VALU_DEP_1)
	v_add_f32_e32 v1, v1, v72
	v_add_f32_e32 v1, v1, v73
	s_delay_alu instid0(VALU_DEP_1) | instskip(SKIP_1) | instid1(VALU_DEP_1)
	v_add_f32_e32 v1, v1, v74
	s_wait_loadcnt 0x0
	v_dual_add_f32 v36, v1, v75 :: v_dual_sub_f32 v1, v68, v2
	s_delay_alu instid0(VALU_DEP_1)
	v_sub_f32_e32 v2, v69, v36
	scratch_store_b64 off, v[1:2], off offset:56
	v_cmpx_lt_u32_e32 6, v0
	s_cbranch_execz .LBB15_97
; %bb.96:
	scratch_load_b64 v[1:2], off, off offset:48
	v_mov_b32_e32 v36, 0
	s_delay_alu instid0(VALU_DEP_1)
	v_mov_b32_e32 v37, v36
	scratch_store_b64 off, v[36:37], off offset:48
	s_wait_loadcnt 0x0
	ds_store_b64 v3, v[1:2]
.LBB15_97:
	s_wait_alu 0xfffe
	s_or_b32 exec_lo, exec_lo, s0
	s_wait_storecnt_dscnt 0x0
	s_barrier_signal -1
	s_barrier_wait -1
	global_inv scope:SCOPE_SE
	s_clause 0x5
	scratch_load_b128 v[36:39], off, off offset:56
	scratch_load_b128 v[40:43], off, off offset:72
	;; [unrolled: 1-line block ×4, first 2 shown]
	scratch_load_b64 v[68:69], off, off offset:120
	scratch_load_b64 v[70:71], off, off offset:48
	v_mov_b32_e32 v1, 0
	ds_load_2addr_b64 v[52:55], v1 offset0:23 offset1:24
	ds_load_2addr_b64 v[56:59], v1 offset0:25 offset1:26
	ds_load_2addr_b64 v[60:63], v1 offset0:27 offset1:28
	ds_load_2addr_b64 v[64:67], v1 offset0:29 offset1:30
	ds_load_b64 v[72:73], v1 offset:248
	s_mov_b32 s0, exec_lo
	s_wait_loadcnt_dscnt 0x504
	v_mul_f32_e32 v2, v52, v37
	s_wait_loadcnt_dscnt 0x403
	v_dual_mul_f32 v74, v54, v39 :: v_dual_mul_f32 v75, v56, v41
	s_wait_loadcnt_dscnt 0x302
	v_dual_mul_f32 v78, v62, v47 :: v_dual_mul_f32 v37, v53, v37
	s_wait_loadcnt_dscnt 0x100
	v_dual_mul_f32 v81, v72, v69 :: v_dual_fmac_f32 v2, v53, v36
	v_mul_f32_e32 v39, v55, v39
	v_dual_mul_f32 v76, v58, v43 :: v_dual_mul_f32 v77, v60, v45
	v_fma_f32 v37, v52, v36, -v37
	v_fmac_f32_e32 v74, v55, v38
	v_add_f32_e32 v2, 0, v2
	v_mul_f32_e32 v36, v57, v41
	v_fma_f32 v38, v54, v38, -v39
	v_add_f32_e32 v37, 0, v37
	v_mul_f32_e32 v39, v59, v43
	v_dual_fmac_f32 v75, v57, v40 :: v_dual_add_f32 v2, v2, v74
	v_dual_fmac_f32 v76, v59, v42 :: v_dual_fmac_f32 v77, v61, v44
	s_delay_alu instid0(VALU_DEP_4) | instskip(SKIP_1) | instid1(VALU_DEP_4)
	v_add_f32_e32 v37, v37, v38
	v_dual_mul_f32 v79, v64, v49 :: v_dual_mul_f32 v80, v66, v51
	v_add_f32_e32 v2, v2, v75
	v_dual_fmac_f32 v78, v63, v46 :: v_dual_fmac_f32 v81, v73, v68
	s_delay_alu instid0(VALU_DEP_3) | instskip(NEXT) | instid1(VALU_DEP_3)
	v_dual_fmac_f32 v79, v65, v48 :: v_dual_fmac_f32 v80, v67, v50
	v_add_f32_e32 v2, v2, v76
	v_fma_f32 v36, v56, v40, -v36
	v_mul_f32_e32 v38, v61, v45
	v_fma_f32 v39, v58, v42, -v39
	s_delay_alu instid0(VALU_DEP_4) | instskip(NEXT) | instid1(VALU_DEP_1)
	v_add_f32_e32 v2, v2, v77
	v_add_f32_e32 v2, v2, v78
	s_delay_alu instid0(VALU_DEP_1) | instskip(NEXT) | instid1(VALU_DEP_1)
	v_add_f32_e32 v2, v2, v79
	v_add_f32_e32 v2, v2, v80
	s_delay_alu instid0(VALU_DEP_1) | instskip(SKIP_2) | instid1(VALU_DEP_2)
	v_add_f32_e32 v2, v2, v81
	v_dual_add_f32 v36, v37, v36 :: v_dual_mul_f32 v37, v63, v47
	v_fma_f32 v38, v60, v44, -v38
	v_dual_add_f32 v36, v36, v39 :: v_dual_mul_f32 v39, v65, v49
	s_delay_alu instid0(VALU_DEP_3) | instskip(NEXT) | instid1(VALU_DEP_2)
	v_fma_f32 v37, v62, v46, -v37
	v_add_f32_e32 v36, v36, v38
	v_mul_f32_e32 v38, v67, v51
	s_delay_alu instid0(VALU_DEP_4) | instskip(NEXT) | instid1(VALU_DEP_3)
	v_fma_f32 v39, v64, v48, -v39
	v_add_f32_e32 v36, v36, v37
	v_mul_f32_e32 v37, v73, v69
	s_delay_alu instid0(VALU_DEP_4) | instskip(NEXT) | instid1(VALU_DEP_3)
	v_fma_f32 v38, v66, v50, -v38
	v_add_f32_e32 v36, v36, v39
	s_delay_alu instid0(VALU_DEP_3) | instskip(NEXT) | instid1(VALU_DEP_2)
	v_fma_f32 v37, v72, v68, -v37
	v_add_f32_e32 v36, v36, v38
	s_wait_loadcnt 0x0
	s_delay_alu instid0(VALU_DEP_1) | instskip(NEXT) | instid1(VALU_DEP_1)
	v_dual_add_f32 v36, v36, v37 :: v_dual_sub_f32 v37, v71, v2
	v_sub_f32_e32 v36, v70, v36
	scratch_store_b64 off, v[36:37], off offset:48
	v_cmpx_lt_u32_e32 5, v0
	s_cbranch_execz .LBB15_99
; %bb.98:
	scratch_load_b64 v[36:37], off, off offset:40
	v_mov_b32_e32 v2, v1
	scratch_store_b64 off, v[1:2], off offset:40
	s_wait_loadcnt 0x0
	ds_store_b64 v3, v[36:37]
.LBB15_99:
	s_wait_alu 0xfffe
	s_or_b32 exec_lo, exec_lo, s0
	s_wait_storecnt_dscnt 0x0
	s_barrier_signal -1
	s_barrier_wait -1
	global_inv scope:SCOPE_SE
	s_clause 0x5
	scratch_load_b128 v[36:39], off, off offset:48
	scratch_load_b128 v[40:43], off, off offset:64
	;; [unrolled: 1-line block ×5, first 2 shown]
	scratch_load_b64 v[76:77], off, off offset:40
	ds_load_b128 v[56:59], v1 offset:176
	ds_load_b128 v[60:63], v1 offset:192
	;; [unrolled: 1-line block ×5, first 2 shown]
	s_mov_b32 s0, exec_lo
	s_wait_loadcnt_dscnt 0x504
	v_dual_mul_f32 v1, v56, v37 :: v_dual_mul_f32 v2, v58, v39
	v_mul_f32_e32 v37, v57, v37
	s_wait_loadcnt_dscnt 0x403
	v_dual_mul_f32 v39, v59, v39 :: v_dual_mul_f32 v78, v60, v41
	s_delay_alu instid0(VALU_DEP_3) | instskip(NEXT) | instid1(VALU_DEP_3)
	v_dual_mul_f32 v79, v62, v43 :: v_dual_fmac_f32 v2, v59, v38
	v_fma_f32 v37, v56, v36, -v37
	v_fmac_f32_e32 v1, v57, v36
	v_mul_f32_e32 v36, v61, v41
	v_fma_f32 v38, v58, v38, -v39
	v_mul_f32_e32 v39, v63, v43
	v_dual_add_f32 v37, 0, v37 :: v_dual_fmac_f32 v78, v61, v40
	s_delay_alu instid0(VALU_DEP_4) | instskip(SKIP_2) | instid1(VALU_DEP_3)
	v_fma_f32 v36, v60, v40, -v36
	s_wait_loadcnt_dscnt 0x302
	v_dual_mul_f32 v80, v64, v45 :: v_dual_mul_f32 v81, v66, v47
	v_add_f32_e32 v37, v37, v38
	v_fmac_f32_e32 v79, v63, v42
	v_fma_f32 v38, v62, v42, -v39
	s_wait_loadcnt_dscnt 0x201
	v_dual_mul_f32 v82, v68, v49 :: v_dual_mul_f32 v83, v70, v51
	v_dual_add_f32 v36, v37, v36 :: v_dual_mul_f32 v37, v67, v47
	v_fmac_f32_e32 v80, v65, v44
	s_wait_loadcnt_dscnt 0x100
	v_dual_mul_f32 v84, v72, v53 :: v_dual_mul_f32 v85, v74, v55
	s_delay_alu instid0(VALU_DEP_3) | instskip(SKIP_3) | instid1(VALU_DEP_4)
	v_dual_add_f32 v36, v36, v38 :: v_dual_add_f32 v1, 0, v1
	v_mul_f32_e32 v38, v69, v49
	v_fma_f32 v37, v66, v46, -v37
	v_dual_fmac_f32 v81, v67, v46 :: v_dual_fmac_f32 v82, v69, v48
	v_add_f32_e32 v1, v1, v2
	v_mul_f32_e32 v2, v65, v45
	v_fma_f32 v38, v68, v48, -v38
	v_dual_fmac_f32 v83, v71, v50 :: v_dual_fmac_f32 v84, v73, v52
	s_delay_alu instid0(VALU_DEP_3) | instskip(NEXT) | instid1(VALU_DEP_1)
	v_fma_f32 v2, v64, v44, -v2
	v_add_f32_e32 v2, v36, v2
	v_mul_f32_e32 v36, v71, v51
	s_delay_alu instid0(VALU_DEP_2) | instskip(SKIP_1) | instid1(VALU_DEP_3)
	v_dual_add_f32 v2, v2, v37 :: v_dual_add_f32 v1, v1, v78
	v_mul_f32_e32 v37, v73, v53
	v_fma_f32 v36, v70, v50, -v36
	s_delay_alu instid0(VALU_DEP_3) | instskip(SKIP_3) | instid1(VALU_DEP_4)
	v_add_f32_e32 v2, v2, v38
	v_mul_f32_e32 v38, v75, v55
	v_add_f32_e32 v1, v1, v79
	v_fma_f32 v37, v72, v52, -v37
	v_dual_add_f32 v2, v2, v36 :: v_dual_fmac_f32 v85, v75, v54
	s_delay_alu instid0(VALU_DEP_3) | instskip(SKIP_1) | instid1(VALU_DEP_3)
	v_add_f32_e32 v1, v1, v80
	v_fma_f32 v36, v74, v54, -v38
	v_add_f32_e32 v2, v2, v37
	s_delay_alu instid0(VALU_DEP_1) | instskip(NEXT) | instid1(VALU_DEP_1)
	v_dual_add_f32 v1, v1, v81 :: v_dual_add_f32 v2, v2, v36
	v_add_f32_e32 v1, v1, v82
	s_delay_alu instid0(VALU_DEP_1) | instskip(NEXT) | instid1(VALU_DEP_1)
	v_add_f32_e32 v1, v1, v83
	v_add_f32_e32 v1, v1, v84
	s_wait_loadcnt 0x0
	s_delay_alu instid0(VALU_DEP_1) | instskip(NEXT) | instid1(VALU_DEP_1)
	v_dual_add_f32 v36, v1, v85 :: v_dual_sub_f32 v1, v76, v2
	v_sub_f32_e32 v2, v77, v36
	scratch_store_b64 off, v[1:2], off offset:40
	v_cmpx_lt_u32_e32 4, v0
	s_cbranch_execz .LBB15_101
; %bb.100:
	scratch_load_b64 v[1:2], off, off offset:32
	v_mov_b32_e32 v36, 0
	s_delay_alu instid0(VALU_DEP_1)
	v_mov_b32_e32 v37, v36
	scratch_store_b64 off, v[36:37], off offset:32
	s_wait_loadcnt 0x0
	ds_store_b64 v3, v[1:2]
.LBB15_101:
	s_wait_alu 0xfffe
	s_or_b32 exec_lo, exec_lo, s0
	s_wait_storecnt_dscnt 0x0
	s_barrier_signal -1
	s_barrier_wait -1
	global_inv scope:SCOPE_SE
	s_clause 0x6
	scratch_load_b128 v[36:39], off, off offset:40
	scratch_load_b128 v[40:43], off, off offset:56
	scratch_load_b128 v[44:47], off, off offset:72
	scratch_load_b128 v[48:51], off, off offset:88
	scratch_load_b128 v[52:55], off, off offset:104
	scratch_load_b64 v[76:77], off, off offset:120
	scratch_load_b64 v[78:79], off, off offset:32
	v_mov_b32_e32 v1, 0
	ds_load_2addr_b64 v[56:59], v1 offset0:21 offset1:22
	ds_load_2addr_b64 v[60:63], v1 offset0:23 offset1:24
	;; [unrolled: 1-line block ×5, first 2 shown]
	ds_load_b64 v[80:81], v1 offset:248
	s_mov_b32 s0, exec_lo
	s_wait_loadcnt_dscnt 0x605
	v_mul_f32_e32 v2, v56, v37
	v_dual_mul_f32 v37, v57, v37 :: v_dual_mul_f32 v82, v58, v39
	s_wait_loadcnt_dscnt 0x302
	v_dual_mul_f32 v83, v60, v41 :: v_dual_mul_f32 v88, v70, v51
	s_wait_loadcnt_dscnt 0x100
	v_dual_mul_f32 v91, v80, v77 :: v_dual_fmac_f32 v2, v57, v36
	v_mul_f32_e32 v39, v59, v39
	v_fma_f32 v37, v56, v36, -v37
	v_mul_f32_e32 v36, v61, v41
	v_fmac_f32_e32 v82, v59, v38
	v_add_f32_e32 v2, 0, v2
	v_fma_f32 v38, v58, v38, -v39
	v_add_f32_e32 v37, 0, v37
	v_mul_f32_e32 v39, v63, v43
	s_delay_alu instid0(VALU_DEP_4) | instskip(SKIP_1) | instid1(VALU_DEP_4)
	v_dual_fmac_f32 v83, v61, v40 :: v_dual_add_f32 v2, v2, v82
	v_fma_f32 v36, v60, v40, -v36
	v_dual_add_f32 v37, v37, v38 :: v_dual_mul_f32 v84, v62, v43
	v_mul_f32_e32 v85, v64, v45
	v_mul_f32_e32 v38, v65, v45
	v_fma_f32 v39, v62, v42, -v39
	v_add_f32_e32 v2, v2, v83
	v_add_f32_e32 v36, v37, v36
	v_dual_fmac_f32 v84, v63, v42 :: v_dual_fmac_f32 v85, v65, v44
	v_mul_f32_e32 v37, v67, v47
	v_fma_f32 v38, v64, v44, -v38
	s_delay_alu instid0(VALU_DEP_4) | instskip(SKIP_4) | instid1(VALU_DEP_3)
	v_dual_add_f32 v36, v36, v39 :: v_dual_mul_f32 v39, v69, v49
	v_dual_mul_f32 v86, v66, v47 :: v_dual_mul_f32 v87, v68, v49
	v_dual_mul_f32 v89, v72, v53 :: v_dual_mul_f32 v90, v74, v55
	v_add_f32_e32 v2, v2, v84
	v_fma_f32 v37, v66, v46, -v37
	v_dual_add_f32 v36, v36, v38 :: v_dual_fmac_f32 v89, v73, v52
	v_dual_fmac_f32 v86, v67, v46 :: v_dual_fmac_f32 v87, v69, v48
	v_mul_f32_e32 v38, v71, v51
	s_delay_alu instid0(VALU_DEP_3)
	v_add_f32_e32 v36, v36, v37
	v_mul_f32_e32 v37, v73, v53
	v_dual_add_f32 v2, v2, v85 :: v_dual_fmac_f32 v91, v81, v76
	v_fma_f32 v39, v68, v48, -v39
	v_fmac_f32_e32 v88, v71, v50
	v_fma_f32 v38, v70, v50, -v38
	s_delay_alu instid0(VALU_DEP_4)
	v_add_f32_e32 v2, v2, v86
	v_fma_f32 v37, v72, v52, -v37
	v_add_f32_e32 v36, v36, v39
	v_mul_f32_e32 v39, v75, v55
	v_fmac_f32_e32 v90, v75, v54
	v_add_f32_e32 v2, v2, v87
	s_delay_alu instid0(VALU_DEP_4) | instskip(SKIP_2) | instid1(VALU_DEP_4)
	v_add_f32_e32 v36, v36, v38
	v_mul_f32_e32 v38, v81, v77
	v_fma_f32 v39, v74, v54, -v39
	v_add_f32_e32 v2, v2, v88
	s_delay_alu instid0(VALU_DEP_4) | instskip(NEXT) | instid1(VALU_DEP_4)
	v_add_f32_e32 v36, v36, v37
	v_fma_f32 v37, v80, v76, -v38
	s_delay_alu instid0(VALU_DEP_3) | instskip(NEXT) | instid1(VALU_DEP_3)
	v_add_f32_e32 v2, v2, v89
	v_add_f32_e32 v36, v36, v39
	s_delay_alu instid0(VALU_DEP_2) | instskip(NEXT) | instid1(VALU_DEP_2)
	v_add_f32_e32 v2, v2, v90
	v_add_f32_e32 v36, v36, v37
	s_delay_alu instid0(VALU_DEP_2) | instskip(SKIP_1) | instid1(VALU_DEP_1)
	v_add_f32_e32 v2, v2, v91
	s_wait_loadcnt 0x0
	v_dual_sub_f32 v36, v78, v36 :: v_dual_sub_f32 v37, v79, v2
	scratch_store_b64 off, v[36:37], off offset:32
	v_cmpx_lt_u32_e32 3, v0
	s_cbranch_execz .LBB15_103
; %bb.102:
	scratch_load_b64 v[36:37], off, off offset:24
	v_mov_b32_e32 v2, v1
	scratch_store_b64 off, v[1:2], off offset:24
	s_wait_loadcnt 0x0
	ds_store_b64 v3, v[36:37]
.LBB15_103:
	s_wait_alu 0xfffe
	s_or_b32 exec_lo, exec_lo, s0
	s_wait_storecnt_dscnt 0x0
	s_barrier_signal -1
	s_barrier_wait -1
	global_inv scope:SCOPE_SE
	s_clause 0x6
	scratch_load_b128 v[36:39], off, off offset:32
	scratch_load_b128 v[40:43], off, off offset:48
	;; [unrolled: 1-line block ×6, first 2 shown]
	scratch_load_b64 v[84:85], off, off offset:24
	ds_load_b128 v[60:63], v1 offset:160
	ds_load_b128 v[64:67], v1 offset:176
	ds_load_b128 v[68:71], v1 offset:192
	ds_load_b128 v[72:75], v1 offset:208
	ds_load_b128 v[76:79], v1 offset:224
	ds_load_b128 v[80:83], v1 offset:240
	s_mov_b32 s0, exec_lo
	s_wait_loadcnt_dscnt 0x605
	v_dual_mul_f32 v1, v60, v37 :: v_dual_mul_f32 v2, v62, v39
	v_mul_f32_e32 v37, v61, v37
	s_wait_loadcnt_dscnt 0x504
	v_dual_mul_f32 v39, v63, v39 :: v_dual_mul_f32 v86, v64, v41
	s_delay_alu instid0(VALU_DEP_3) | instskip(NEXT) | instid1(VALU_DEP_3)
	v_dual_mul_f32 v87, v66, v43 :: v_dual_fmac_f32 v2, v63, v38
	v_fma_f32 v37, v60, v36, -v37
	v_fmac_f32_e32 v1, v61, v36
	v_mul_f32_e32 v36, v65, v41
	v_fma_f32 v38, v62, v38, -v39
	v_mul_f32_e32 v39, v67, v43
	v_dual_add_f32 v37, 0, v37 :: v_dual_fmac_f32 v86, v65, v40
	s_delay_alu instid0(VALU_DEP_4) | instskip(SKIP_2) | instid1(VALU_DEP_3)
	v_fma_f32 v36, v64, v40, -v36
	s_wait_loadcnt_dscnt 0x403
	v_dual_mul_f32 v88, v68, v45 :: v_dual_mul_f32 v89, v70, v47
	v_add_f32_e32 v37, v37, v38
	v_fmac_f32_e32 v87, v67, v42
	v_fma_f32 v38, v66, v42, -v39
	s_wait_loadcnt_dscnt 0x302
	v_dual_mul_f32 v90, v72, v49 :: v_dual_mul_f32 v91, v74, v51
	v_dual_add_f32 v36, v37, v36 :: v_dual_mul_f32 v37, v71, v47
	v_fmac_f32_e32 v88, v69, v44
	s_wait_loadcnt_dscnt 0x201
	v_dual_mul_f32 v92, v76, v53 :: v_dual_mul_f32 v93, v78, v55
	s_delay_alu instid0(VALU_DEP_3) | instskip(SKIP_3) | instid1(VALU_DEP_4)
	v_dual_add_f32 v36, v36, v38 :: v_dual_add_f32 v1, 0, v1
	v_mul_f32_e32 v38, v73, v49
	v_fma_f32 v37, v70, v46, -v37
	v_dual_fmac_f32 v89, v71, v46 :: v_dual_fmac_f32 v90, v73, v48
	v_add_f32_e32 v1, v1, v2
	v_mul_f32_e32 v2, v69, v45
	v_fma_f32 v38, v72, v48, -v38
	v_dual_fmac_f32 v91, v75, v50 :: v_dual_fmac_f32 v92, v77, v52
	s_wait_loadcnt_dscnt 0x100
	v_dual_mul_f32 v94, v80, v57 :: v_dual_mul_f32 v95, v82, v59
	v_fma_f32 v2, v68, v44, -v2
	s_delay_alu instid0(VALU_DEP_2) | instskip(NEXT) | instid1(VALU_DEP_3)
	v_dual_fmac_f32 v93, v79, v54 :: v_dual_fmac_f32 v94, v81, v56
	v_fmac_f32_e32 v95, v83, v58
	s_delay_alu instid0(VALU_DEP_3) | instskip(SKIP_1) | instid1(VALU_DEP_2)
	v_add_f32_e32 v2, v36, v2
	v_mul_f32_e32 v36, v75, v51
	v_dual_add_f32 v2, v2, v37 :: v_dual_add_f32 v1, v1, v86
	v_mul_f32_e32 v37, v77, v53
	s_delay_alu instid0(VALU_DEP_3) | instskip(NEXT) | instid1(VALU_DEP_3)
	v_fma_f32 v36, v74, v50, -v36
	v_add_f32_e32 v2, v2, v38
	v_mul_f32_e32 v38, v79, v55
	v_add_f32_e32 v1, v1, v87
	v_fma_f32 v37, v76, v52, -v37
	s_delay_alu instid0(VALU_DEP_4) | instskip(SKIP_1) | instid1(VALU_DEP_4)
	v_add_f32_e32 v2, v2, v36
	v_mul_f32_e32 v36, v81, v57
	v_add_f32_e32 v1, v1, v88
	v_fma_f32 v38, v78, v54, -v38
	s_delay_alu instid0(VALU_DEP_4) | instskip(NEXT) | instid1(VALU_DEP_3)
	v_dual_add_f32 v2, v2, v37 :: v_dual_mul_f32 v37, v83, v59
	v_add_f32_e32 v1, v1, v89
	v_fma_f32 v36, v80, v56, -v36
	s_delay_alu instid0(VALU_DEP_3) | instskip(NEXT) | instid1(VALU_DEP_4)
	v_add_f32_e32 v2, v2, v38
	v_fma_f32 v37, v82, v58, -v37
	s_delay_alu instid0(VALU_DEP_2) | instskip(NEXT) | instid1(VALU_DEP_1)
	v_dual_add_f32 v1, v1, v90 :: v_dual_add_f32 v2, v2, v36
	v_dual_add_f32 v1, v1, v91 :: v_dual_add_f32 v2, v2, v37
	s_delay_alu instid0(VALU_DEP_1) | instskip(NEXT) | instid1(VALU_DEP_1)
	v_add_f32_e32 v1, v1, v92
	v_add_f32_e32 v1, v1, v93
	s_delay_alu instid0(VALU_DEP_1) | instskip(SKIP_1) | instid1(VALU_DEP_1)
	v_add_f32_e32 v1, v1, v94
	s_wait_loadcnt 0x0
	v_dual_add_f32 v36, v1, v95 :: v_dual_sub_f32 v1, v84, v2
	s_delay_alu instid0(VALU_DEP_1)
	v_sub_f32_e32 v2, v85, v36
	scratch_store_b64 off, v[1:2], off offset:24
	v_cmpx_lt_u32_e32 2, v0
	s_cbranch_execz .LBB15_105
; %bb.104:
	scratch_load_b64 v[1:2], off, off offset:16
	v_mov_b32_e32 v36, 0
	s_delay_alu instid0(VALU_DEP_1)
	v_mov_b32_e32 v37, v36
	scratch_store_b64 off, v[36:37], off offset:16
	s_wait_loadcnt 0x0
	ds_store_b64 v3, v[1:2]
.LBB15_105:
	s_wait_alu 0xfffe
	s_or_b32 exec_lo, exec_lo, s0
	s_wait_storecnt_dscnt 0x0
	s_barrier_signal -1
	s_barrier_wait -1
	global_inv scope:SCOPE_SE
	s_clause 0x7
	scratch_load_b128 v[36:39], off, off offset:24
	scratch_load_b128 v[40:43], off, off offset:40
	;; [unrolled: 1-line block ×6, first 2 shown]
	scratch_load_b64 v[84:85], off, off offset:120
	scratch_load_b64 v[86:87], off, off offset:16
	v_mov_b32_e32 v1, 0
	ds_load_2addr_b64 v[60:63], v1 offset0:19 offset1:20
	ds_load_2addr_b64 v[64:67], v1 offset0:21 offset1:22
	;; [unrolled: 1-line block ×6, first 2 shown]
	ds_load_b64 v[88:89], v1 offset:248
	s_mov_b32 s0, exec_lo
	s_wait_loadcnt_dscnt 0x706
	v_mul_f32_e32 v2, v60, v37
	v_dual_mul_f32 v37, v61, v37 :: v_dual_mul_f32 v90, v62, v39
	s_wait_loadcnt_dscnt 0x302
	v_dual_mul_f32 v91, v64, v41 :: v_dual_mul_f32 v98, v78, v55
	v_mul_f32_e32 v39, v63, v39
	s_wait_loadcnt_dscnt 0x100
	v_dual_mul_f32 v101, v88, v85 :: v_dual_fmac_f32 v2, v61, v36
	v_fma_f32 v37, v60, v36, -v37
	v_mul_f32_e32 v36, v65, v41
	v_fmac_f32_e32 v90, v63, v38
	v_fma_f32 v38, v62, v38, -v39
	v_dual_add_f32 v2, 0, v2 :: v_dual_mul_f32 v39, v67, v43
	v_add_f32_e32 v37, 0, v37
	v_fmac_f32_e32 v91, v65, v40
	v_fma_f32 v36, v64, v40, -v36
	s_delay_alu instid0(VALU_DEP_4)
	v_add_f32_e32 v2, v2, v90
	v_fma_f32 v39, v66, v42, -v39
	v_add_f32_e32 v37, v37, v38
	v_mul_f32_e32 v38, v69, v45
	v_dual_mul_f32 v92, v66, v43 :: v_dual_mul_f32 v93, v68, v45
	v_add_f32_e32 v2, v2, v91
	s_delay_alu instid0(VALU_DEP_4) | instskip(NEXT) | instid1(VALU_DEP_4)
	v_dual_add_f32 v36, v37, v36 :: v_dual_mul_f32 v37, v71, v47
	v_fma_f32 v38, v68, v44, -v38
	v_dual_mul_f32 v96, v74, v51 :: v_dual_mul_f32 v97, v76, v53
	s_delay_alu instid0(VALU_DEP_3) | instskip(NEXT) | instid1(VALU_DEP_4)
	v_dual_add_f32 v36, v36, v39 :: v_dual_mul_f32 v39, v73, v49
	v_fma_f32 v37, v70, v46, -v37
	v_dual_mul_f32 v99, v80, v57 :: v_dual_mul_f32 v100, v82, v59
	s_delay_alu instid0(VALU_DEP_3) | instskip(SKIP_1) | instid1(VALU_DEP_3)
	v_dual_add_f32 v36, v36, v38 :: v_dual_fmac_f32 v97, v77, v52
	v_dual_fmac_f32 v92, v67, v42 :: v_dual_fmac_f32 v93, v69, v44
	v_dual_mul_f32 v38, v75, v51 :: v_dual_fmac_f32 v99, v81, v56
	v_fma_f32 v39, v72, v48, -v39
	s_delay_alu instid0(VALU_DEP_4) | instskip(SKIP_3) | instid1(VALU_DEP_4)
	v_dual_add_f32 v36, v36, v37 :: v_dual_fmac_f32 v101, v89, v84
	v_dual_mul_f32 v94, v70, v47 :: v_dual_mul_f32 v95, v72, v49
	v_dual_add_f32 v2, v2, v92 :: v_dual_mul_f32 v37, v77, v53
	v_fma_f32 v38, v74, v50, -v38
	v_add_f32_e32 v36, v36, v39
	s_delay_alu instid0(VALU_DEP_4) | instskip(NEXT) | instid1(VALU_DEP_4)
	v_dual_fmac_f32 v94, v71, v46 :: v_dual_fmac_f32 v95, v73, v48
	v_dual_add_f32 v2, v2, v93 :: v_dual_mul_f32 v39, v79, v55
	v_fma_f32 v37, v76, v52, -v37
	s_delay_alu instid0(VALU_DEP_4)
	v_add_f32_e32 v36, v36, v38
	v_fmac_f32_e32 v96, v75, v50
	v_mul_f32_e32 v38, v81, v57
	v_fma_f32 v39, v78, v54, -v39
	v_fmac_f32_e32 v98, v79, v54
	v_dual_add_f32 v36, v36, v37 :: v_dual_mul_f32 v37, v83, v59
	v_add_f32_e32 v2, v2, v94
	v_fma_f32 v38, v80, v56, -v38
	v_fmac_f32_e32 v100, v83, v58
	s_delay_alu instid0(VALU_DEP_4) | instskip(NEXT) | instid1(VALU_DEP_4)
	v_dual_add_f32 v36, v36, v39 :: v_dual_mul_f32 v39, v89, v85
	v_add_f32_e32 v2, v2, v95
	v_fma_f32 v37, v82, v58, -v37
	s_delay_alu instid0(VALU_DEP_3) | instskip(NEXT) | instid1(VALU_DEP_4)
	v_add_f32_e32 v36, v36, v38
	v_fma_f32 v38, v88, v84, -v39
	s_delay_alu instid0(VALU_DEP_4) | instskip(NEXT) | instid1(VALU_DEP_3)
	v_add_f32_e32 v2, v2, v96
	v_add_f32_e32 v36, v36, v37
	s_delay_alu instid0(VALU_DEP_2) | instskip(NEXT) | instid1(VALU_DEP_2)
	v_add_f32_e32 v2, v2, v97
	v_add_f32_e32 v36, v36, v38
	s_delay_alu instid0(VALU_DEP_2) | instskip(SKIP_1) | instid1(VALU_DEP_2)
	v_add_f32_e32 v2, v2, v98
	s_wait_loadcnt 0x0
	v_sub_f32_e32 v36, v86, v36
	s_delay_alu instid0(VALU_DEP_2) | instskip(NEXT) | instid1(VALU_DEP_1)
	v_add_f32_e32 v2, v2, v99
	v_add_f32_e32 v2, v2, v100
	s_delay_alu instid0(VALU_DEP_1) | instskip(NEXT) | instid1(VALU_DEP_1)
	v_add_f32_e32 v2, v2, v101
	v_sub_f32_e32 v37, v87, v2
	scratch_store_b64 off, v[36:37], off offset:16
	v_cmpx_lt_u32_e32 1, v0
	s_cbranch_execz .LBB15_107
; %bb.106:
	scratch_load_b64 v[36:37], off, off offset:8
	v_mov_b32_e32 v2, v1
	scratch_store_b64 off, v[1:2], off offset:8
	s_wait_loadcnt 0x0
	ds_store_b64 v3, v[36:37]
.LBB15_107:
	s_wait_alu 0xfffe
	s_or_b32 exec_lo, exec_lo, s0
	s_wait_storecnt_dscnt 0x0
	s_barrier_signal -1
	s_barrier_wait -1
	global_inv scope:SCOPE_SE
	s_clause 0x7
	scratch_load_b128 v[36:39], off, off offset:16
	scratch_load_b128 v[40:43], off, off offset:32
	;; [unrolled: 1-line block ×7, first 2 shown]
	scratch_load_b64 v[92:93], off, off offset:8
	ds_load_b128 v[64:67], v1 offset:144
	ds_load_b128 v[68:71], v1 offset:160
	;; [unrolled: 1-line block ×7, first 2 shown]
	s_mov_b32 s0, exec_lo
	s_wait_loadcnt_dscnt 0x706
	v_dual_mul_f32 v1, v64, v37 :: v_dual_mul_f32 v2, v66, v39
	v_mul_f32_e32 v37, v65, v37
	s_wait_loadcnt_dscnt 0x605
	v_dual_mul_f32 v39, v67, v39 :: v_dual_mul_f32 v94, v68, v41
	s_delay_alu instid0(VALU_DEP_3) | instskip(NEXT) | instid1(VALU_DEP_3)
	v_dual_mul_f32 v95, v70, v43 :: v_dual_fmac_f32 v2, v67, v38
	v_fma_f32 v37, v64, v36, -v37
	v_fmac_f32_e32 v1, v65, v36
	v_mul_f32_e32 v36, v69, v41
	v_fma_f32 v38, v66, v38, -v39
	v_mul_f32_e32 v39, v71, v43
	v_dual_add_f32 v37, 0, v37 :: v_dual_fmac_f32 v94, v69, v40
	s_delay_alu instid0(VALU_DEP_4) | instskip(SKIP_2) | instid1(VALU_DEP_3)
	v_fma_f32 v36, v68, v40, -v36
	s_wait_loadcnt_dscnt 0x504
	v_dual_mul_f32 v96, v72, v45 :: v_dual_mul_f32 v97, v74, v47
	v_add_f32_e32 v37, v37, v38
	v_fmac_f32_e32 v95, v71, v42
	v_fma_f32 v38, v70, v42, -v39
	s_wait_loadcnt_dscnt 0x403
	v_dual_mul_f32 v98, v76, v49 :: v_dual_mul_f32 v99, v78, v51
	v_dual_add_f32 v36, v37, v36 :: v_dual_mul_f32 v37, v75, v47
	v_fmac_f32_e32 v96, v73, v44
	s_wait_loadcnt_dscnt 0x302
	v_dual_mul_f32 v100, v80, v53 :: v_dual_mul_f32 v101, v82, v55
	s_delay_alu instid0(VALU_DEP_3) | instskip(SKIP_3) | instid1(VALU_DEP_4)
	v_dual_add_f32 v36, v36, v38 :: v_dual_add_f32 v1, 0, v1
	v_mul_f32_e32 v38, v77, v49
	v_fma_f32 v37, v74, v46, -v37
	v_dual_fmac_f32 v97, v75, v46 :: v_dual_fmac_f32 v98, v77, v48
	v_add_f32_e32 v1, v1, v2
	v_mul_f32_e32 v2, v73, v45
	v_fma_f32 v38, v76, v48, -v38
	v_dual_fmac_f32 v99, v79, v50 :: v_dual_fmac_f32 v100, v81, v52
	s_wait_loadcnt_dscnt 0x201
	v_dual_mul_f32 v102, v84, v57 :: v_dual_mul_f32 v103, v86, v59
	v_fma_f32 v2, v72, v44, -v2
	s_wait_loadcnt_dscnt 0x100
	v_dual_mul_f32 v104, v88, v61 :: v_dual_mul_f32 v105, v90, v63
	s_delay_alu instid0(VALU_DEP_3) | instskip(NEXT) | instid1(VALU_DEP_3)
	v_dual_fmac_f32 v101, v83, v54 :: v_dual_fmac_f32 v102, v85, v56
	v_add_f32_e32 v2, v36, v2
	v_mul_f32_e32 v36, v79, v51
	s_delay_alu instid0(VALU_DEP_4) | instskip(NEXT) | instid1(VALU_DEP_3)
	v_dual_fmac_f32 v104, v89, v60 :: v_dual_fmac_f32 v105, v91, v62
	v_dual_fmac_f32 v103, v87, v58 :: v_dual_add_f32 v2, v2, v37
	v_add_f32_e32 v1, v1, v94
	v_mul_f32_e32 v37, v81, v53
	v_fma_f32 v36, v78, v50, -v36
	s_delay_alu instid0(VALU_DEP_4) | instskip(SKIP_3) | instid1(VALU_DEP_4)
	v_add_f32_e32 v2, v2, v38
	v_mul_f32_e32 v38, v83, v55
	v_add_f32_e32 v1, v1, v95
	v_fma_f32 v37, v80, v52, -v37
	v_add_f32_e32 v2, v2, v36
	v_mul_f32_e32 v36, v85, v57
	s_delay_alu instid0(VALU_DEP_4) | instskip(SKIP_1) | instid1(VALU_DEP_4)
	v_add_f32_e32 v1, v1, v96
	v_fma_f32 v38, v82, v54, -v38
	v_dual_add_f32 v2, v2, v37 :: v_dual_mul_f32 v37, v87, v59
	s_delay_alu instid0(VALU_DEP_3) | instskip(SKIP_1) | instid1(VALU_DEP_3)
	v_add_f32_e32 v1, v1, v97
	v_fma_f32 v36, v84, v56, -v36
	v_add_f32_e32 v2, v2, v38
	s_delay_alu instid0(VALU_DEP_4) | instskip(NEXT) | instid1(VALU_DEP_4)
	v_fma_f32 v37, v86, v58, -v37
	v_add_f32_e32 v1, v1, v98
	v_mul_f32_e32 v38, v89, v61
	s_delay_alu instid0(VALU_DEP_4) | instskip(SKIP_1) | instid1(VALU_DEP_4)
	v_add_f32_e32 v2, v2, v36
	v_mul_f32_e32 v36, v91, v63
	v_add_f32_e32 v1, v1, v99
	s_delay_alu instid0(VALU_DEP_4) | instskip(NEXT) | instid1(VALU_DEP_4)
	v_fma_f32 v38, v88, v60, -v38
	v_add_f32_e32 v2, v2, v37
	s_delay_alu instid0(VALU_DEP_4) | instskip(NEXT) | instid1(VALU_DEP_2)
	v_fma_f32 v36, v90, v62, -v36
	v_dual_add_f32 v1, v1, v100 :: v_dual_add_f32 v2, v2, v38
	s_delay_alu instid0(VALU_DEP_1) | instskip(NEXT) | instid1(VALU_DEP_1)
	v_dual_add_f32 v1, v1, v101 :: v_dual_add_f32 v2, v2, v36
	v_add_f32_e32 v1, v1, v102
	s_delay_alu instid0(VALU_DEP_1) | instskip(NEXT) | instid1(VALU_DEP_1)
	v_add_f32_e32 v1, v1, v103
	v_add_f32_e32 v1, v1, v104
	s_wait_loadcnt 0x0
	s_delay_alu instid0(VALU_DEP_1) | instskip(NEXT) | instid1(VALU_DEP_1)
	v_dual_add_f32 v36, v1, v105 :: v_dual_sub_f32 v1, v92, v2
	v_sub_f32_e32 v2, v93, v36
	scratch_store_b64 off, v[1:2], off offset:8
	v_cmpx_ne_u32_e32 0, v0
	s_cbranch_execz .LBB15_109
; %bb.108:
	scratch_load_b64 v[0:1], off, off
	v_mov_b32_e32 v36, 0
	s_delay_alu instid0(VALU_DEP_1)
	v_mov_b32_e32 v37, v36
	scratch_store_b64 off, v[36:37], off
	s_wait_loadcnt 0x0
	ds_store_b64 v3, v[0:1]
.LBB15_109:
	s_wait_alu 0xfffe
	s_or_b32 exec_lo, exec_lo, s0
	s_wait_storecnt_dscnt 0x0
	s_barrier_signal -1
	s_barrier_wait -1
	global_inv scope:SCOPE_SE
	s_clause 0x8
	scratch_load_b128 v[37:40], off, off offset:8
	scratch_load_b128 v[41:44], off, off offset:24
	;; [unrolled: 1-line block ×7, first 2 shown]
	scratch_load_b64 v[89:90], off, off offset:120
	scratch_load_b64 v[91:92], off, off
	v_mov_b32_e32 v36, 0
	ds_load_2addr_b64 v[61:64], v36 offset0:17 offset1:18
	ds_load_2addr_b64 v[65:68], v36 offset0:19 offset1:20
	;; [unrolled: 1-line block ×7, first 2 shown]
	ds_load_b64 v[93:94], v36 offset:248
	s_and_b32 vcc_lo, exec_lo, s18
	s_wait_loadcnt_dscnt 0x807
	v_dual_mul_f32 v95, v61, v38 :: v_dual_mul_f32 v96, v63, v40
	s_wait_loadcnt_dscnt 0x706
	v_dual_mul_f32 v97, v65, v42 :: v_dual_mul_f32 v40, v64, v40
	;; [unrolled: 2-line block ×3, first 2 shown]
	v_dual_fmac_f32 v95, v62, v37 :: v_dual_fmac_f32 v96, v64, v39
	s_delay_alu instid0(VALU_DEP_3) | instskip(SKIP_1) | instid1(VALU_DEP_4)
	v_fmac_f32_e32 v97, v66, v41
	v_fma_f32 v39, v63, v39, -v40
	v_dual_fmac_f32 v98, v68, v43 :: v_dual_fmac_f32 v99, v70, v45
	s_delay_alu instid0(VALU_DEP_4)
	v_add_f32_e32 v40, 0, v95
	v_mul_f32_e32 v38, v62, v38
	s_wait_loadcnt_dscnt 0x504
	v_dual_mul_f32 v100, v71, v48 :: v_dual_mul_f32 v101, v73, v50
	s_wait_loadcnt_dscnt 0x403
	v_dual_mul_f32 v102, v75, v52 :: v_dual_mul_f32 v103, v77, v54
	v_fma_f32 v38, v61, v37, -v38
	v_dual_mul_f32 v37, v66, v42 :: v_dual_mul_f32 v42, v68, v44
	v_dual_fmac_f32 v100, v72, v47 :: v_dual_fmac_f32 v101, v74, v49
	s_delay_alu instid0(VALU_DEP_3) | instskip(NEXT) | instid1(VALU_DEP_3)
	v_add_f32_e32 v38, 0, v38
	v_fma_f32 v37, v65, v41, -v37
	s_delay_alu instid0(VALU_DEP_4) | instskip(SKIP_1) | instid1(VALU_DEP_4)
	v_fma_f32 v41, v67, v43, -v42
	v_dual_fmac_f32 v102, v76, v51 :: v_dual_fmac_f32 v103, v78, v53
	v_add_f32_e32 v38, v38, v39
	s_wait_loadcnt_dscnt 0x302
	v_dual_mul_f32 v104, v79, v56 :: v_dual_mul_f32 v105, v81, v58
	s_wait_loadcnt_dscnt 0x201
	v_dual_mul_f32 v106, v83, v60 :: v_dual_mul_f32 v107, v85, v1
	v_add_f32_e32 v37, v38, v37
	v_add_f32_e32 v39, v40, v96
	v_dual_fmac_f32 v104, v80, v55 :: v_dual_fmac_f32 v105, v82, v57
	s_delay_alu instid0(VALU_DEP_4) | instskip(NEXT) | instid1(VALU_DEP_3)
	v_dual_mul_f32 v1, v86, v1 :: v_dual_fmac_f32 v106, v84, v59
	v_dual_add_f32 v38, v39, v97 :: v_dual_mul_f32 v39, v72, v48
	v_add_f32_e32 v37, v37, v41
	v_dual_mul_f32 v41, v74, v50 :: v_dual_mul_f32 v108, v87, v3
	s_wait_loadcnt_dscnt 0x100
	v_mul_f32_e32 v109, v93, v90
	v_fma_f32 v39, v71, v47, -v39
	v_mul_f32_e32 v40, v70, v46
	v_fma_f32 v41, v73, v49, -v41
	s_delay_alu instid0(VALU_DEP_4) | instskip(SKIP_1) | instid1(VALU_DEP_4)
	v_dual_fmac_f32 v108, v88, v2 :: v_dual_fmac_f32 v109, v94, v89
	v_fmac_f32_e32 v107, v86, v0
	v_fma_f32 v40, v69, v45, -v40
	v_add_f32_e32 v38, v38, v98
	v_fma_f32 v0, v85, v0, -v1
	s_delay_alu instid0(VALU_DEP_3) | instskip(NEXT) | instid1(VALU_DEP_1)
	v_add_f32_e32 v37, v37, v40
	v_dual_mul_f32 v40, v76, v52 :: v_dual_add_f32 v37, v37, v39
	s_delay_alu instid0(VALU_DEP_4) | instskip(SKIP_1) | instid1(VALU_DEP_3)
	v_add_f32_e32 v38, v38, v99
	v_mul_f32_e32 v39, v78, v54
	v_fma_f32 v40, v75, v51, -v40
	s_delay_alu instid0(VALU_DEP_4) | instskip(SKIP_1) | instid1(VALU_DEP_4)
	v_add_f32_e32 v37, v37, v41
	v_mul_f32_e32 v41, v80, v56
	v_fma_f32 v39, v77, v53, -v39
	s_delay_alu instid0(VALU_DEP_3) | instskip(SKIP_3) | instid1(VALU_DEP_3)
	v_add_f32_e32 v37, v37, v40
	v_add_f32_e32 v38, v38, v100
	v_mul_f32_e32 v40, v82, v58
	v_fma_f32 v41, v79, v55, -v41
	v_dual_add_f32 v37, v37, v39 :: v_dual_add_f32 v38, v38, v101
	v_mul_f32_e32 v39, v84, v60
	s_delay_alu instid0(VALU_DEP_4) | instskip(NEXT) | instid1(VALU_DEP_3)
	v_fma_f32 v40, v81, v57, -v40
	v_dual_add_f32 v37, v37, v41 :: v_dual_add_f32 v38, v38, v102
	s_delay_alu instid0(VALU_DEP_3) | instskip(NEXT) | instid1(VALU_DEP_2)
	v_fma_f32 v39, v83, v59, -v39
	v_dual_add_f32 v37, v37, v40 :: v_dual_add_f32 v38, v38, v103
	v_mul_f32_e32 v40, v88, v3
	s_delay_alu instid0(VALU_DEP_2) | instskip(NEXT) | instid1(VALU_DEP_2)
	v_dual_add_f32 v1, v37, v39 :: v_dual_add_f32 v38, v38, v104
	v_fma_f32 v39, v87, v2, -v40
	s_delay_alu instid0(VALU_DEP_2) | instskip(NEXT) | instid1(VALU_DEP_3)
	v_add_f32_e32 v0, v1, v0
	v_add_f32_e32 v38, v38, v105
	s_delay_alu instid0(VALU_DEP_1) | instskip(NEXT) | instid1(VALU_DEP_1)
	v_add_f32_e32 v37, v38, v106
	v_dual_mul_f32 v38, v94, v90 :: v_dual_add_f32 v1, v37, v107
	s_delay_alu instid0(VALU_DEP_1) | instskip(NEXT) | instid1(VALU_DEP_2)
	v_fma_f32 v37, v93, v89, -v38
	v_dual_add_f32 v0, v0, v39 :: v_dual_add_f32 v1, v1, v108
	s_delay_alu instid0(VALU_DEP_1) | instskip(SKIP_1) | instid1(VALU_DEP_1)
	v_add_f32_e32 v0, v0, v37
	s_wait_loadcnt 0x0
	v_dual_add_f32 v1, v1, v109 :: v_dual_sub_f32 v0, v91, v0
	s_delay_alu instid0(VALU_DEP_1)
	v_sub_f32_e32 v1, v92, v1
	scratch_store_b64 off, v[0:1], off
	s_wait_alu 0xfffe
	s_cbranch_vccz .LBB15_140
; %bb.110:
	global_load_b32 v0, v36, s[2:3] offset:56
	s_wait_loadcnt 0x0
	v_cmp_ne_u32_e32 vcc_lo, 15, v0
	s_cbranch_vccz .LBB15_112
; %bb.111:
	v_lshlrev_b32_e32 v0, 3, v0
	s_delay_alu instid0(VALU_DEP_1)
	v_mov_b32_e32 v36, v0
	scratch_load_b64 v[0:1], v36, off offset:-8
	s_wait_loadcnt 0x0
	scratch_store_b64 off, v[0:1], off offset:112
	scratch_store_b64 v36, v[2:3], off offset:-8
.LBB15_112:
	v_mov_b32_e32 v0, 0
	global_load_b32 v1, v0, s[2:3] offset:52
	s_wait_loadcnt 0x0
	v_cmp_eq_u32_e32 vcc_lo, 14, v1
	s_cbranch_vccnz .LBB15_114
; %bb.113:
	v_lshlrev_b32_e32 v1, 3, v1
	s_delay_alu instid0(VALU_DEP_1)
	v_mov_b32_e32 v3, v1
	scratch_load_b64 v[1:2], v3, off offset:-8
	scratch_load_b64 v[36:37], off, off offset:104
	s_wait_loadcnt 0x1
	scratch_store_b64 off, v[1:2], off offset:104
	s_wait_loadcnt 0x0
	scratch_store_b64 v3, v[36:37], off offset:-8
.LBB15_114:
	global_load_b32 v0, v0, s[2:3] offset:48
	s_wait_loadcnt 0x0
	v_cmp_eq_u32_e32 vcc_lo, 13, v0
	s_cbranch_vccnz .LBB15_116
; %bb.115:
	v_lshlrev_b32_e32 v0, 3, v0
	s_delay_alu instid0(VALU_DEP_1)
	v_mov_b32_e32 v36, v0
	scratch_load_b64 v[0:1], v36, off offset:-8
	scratch_load_b64 v[2:3], off, off offset:96
	s_wait_loadcnt 0x1
	scratch_store_b64 off, v[0:1], off offset:96
	s_wait_loadcnt 0x0
	scratch_store_b64 v36, v[2:3], off offset:-8
.LBB15_116:
	v_mov_b32_e32 v0, 0
	global_load_b32 v1, v0, s[2:3] offset:44
	s_wait_loadcnt 0x0
	v_cmp_eq_u32_e32 vcc_lo, 12, v1
	s_cbranch_vccnz .LBB15_118
; %bb.117:
	v_lshlrev_b32_e32 v1, 3, v1
	s_delay_alu instid0(VALU_DEP_1)
	v_mov_b32_e32 v3, v1
	scratch_load_b64 v[1:2], v3, off offset:-8
	scratch_load_b64 v[36:37], off, off offset:88
	s_wait_loadcnt 0x1
	scratch_store_b64 off, v[1:2], off offset:88
	s_wait_loadcnt 0x0
	scratch_store_b64 v3, v[36:37], off offset:-8
.LBB15_118:
	global_load_b32 v0, v0, s[2:3] offset:40
	s_wait_loadcnt 0x0
	v_cmp_eq_u32_e32 vcc_lo, 11, v0
	s_cbranch_vccnz .LBB15_120
; %bb.119:
	v_lshlrev_b32_e32 v0, 3, v0
	s_delay_alu instid0(VALU_DEP_1)
	v_mov_b32_e32 v36, v0
	scratch_load_b64 v[0:1], v36, off offset:-8
	scratch_load_b64 v[2:3], off, off offset:80
	s_wait_loadcnt 0x1
	scratch_store_b64 off, v[0:1], off offset:80
	s_wait_loadcnt 0x0
	scratch_store_b64 v36, v[2:3], off offset:-8
.LBB15_120:
	;; [unrolled: 31-line block ×6, first 2 shown]
	v_mov_b32_e32 v0, 0
	global_load_b32 v1, v0, s[2:3] offset:4
	s_wait_loadcnt 0x0
	v_cmp_eq_u32_e32 vcc_lo, 2, v1
	s_cbranch_vccnz .LBB15_138
; %bb.137:
	v_lshlrev_b32_e32 v1, 3, v1
	s_delay_alu instid0(VALU_DEP_1)
	v_mov_b32_e32 v3, v1
	scratch_load_b64 v[1:2], v3, off offset:-8
	scratch_load_b64 v[36:37], off, off offset:8
	s_wait_loadcnt 0x1
	scratch_store_b64 off, v[1:2], off offset:8
	s_wait_loadcnt 0x0
	scratch_store_b64 v3, v[36:37], off offset:-8
.LBB15_138:
	global_load_b32 v0, v0, s[2:3]
	s_wait_loadcnt 0x0
	v_cmp_eq_u32_e32 vcc_lo, 1, v0
	s_cbranch_vccnz .LBB15_140
; %bb.139:
	v_lshlrev_b32_e32 v0, 3, v0
	s_delay_alu instid0(VALU_DEP_1)
	v_mov_b32_e32 v36, v0
	scratch_load_b64 v[0:1], v36, off offset:-8
	scratch_load_b64 v[2:3], off, off
	s_wait_loadcnt 0x1
	scratch_store_b64 off, v[0:1], off
	s_wait_loadcnt 0x0
	scratch_store_b64 v36, v[2:3], off offset:-8
.LBB15_140:
	s_clause 0x7
	scratch_load_b128 v[0:3], off, off
	scratch_load_b128 v[36:39], off, off offset:16
	scratch_load_b128 v[40:43], off, off offset:32
	;; [unrolled: 1-line block ×7, first 2 shown]
	s_wait_loadcnt 0x7
	s_clause 0x1
	global_store_b64 v[4:5], v[0:1], off
	global_store_b64 v[6:7], v[2:3], off
	s_wait_loadcnt 0x6
	s_clause 0x1
	global_store_b64 v[8:9], v[36:37], off
	global_store_b64 v[10:11], v[38:39], off
	;; [unrolled: 4-line block ×8, first 2 shown]
	s_nop 0
	s_sendmsg sendmsg(MSG_DEALLOC_VGPRS)
	s_endpgm
	.section	.rodata,"a",@progbits
	.p2align	6, 0x0
	.amdhsa_kernel _ZN9rocsolver6v33100L18getri_kernel_smallILi16E19rocblas_complex_numIfEPS3_EEvT1_iilPiilS6_bb
		.amdhsa_group_segment_fixed_size 260
		.amdhsa_private_segment_fixed_size 144
		.amdhsa_kernarg_size 60
		.amdhsa_user_sgpr_count 2
		.amdhsa_user_sgpr_dispatch_ptr 0
		.amdhsa_user_sgpr_queue_ptr 0
		.amdhsa_user_sgpr_kernarg_segment_ptr 1
		.amdhsa_user_sgpr_dispatch_id 0
		.amdhsa_user_sgpr_private_segment_size 0
		.amdhsa_wavefront_size32 1
		.amdhsa_uses_dynamic_stack 0
		.amdhsa_enable_private_segment 1
		.amdhsa_system_sgpr_workgroup_id_x 1
		.amdhsa_system_sgpr_workgroup_id_y 0
		.amdhsa_system_sgpr_workgroup_id_z 0
		.amdhsa_system_sgpr_workgroup_info 0
		.amdhsa_system_vgpr_workitem_id 0
		.amdhsa_next_free_vgpr 110
		.amdhsa_next_free_sgpr 19
		.amdhsa_reserve_vcc 1
		.amdhsa_float_round_mode_32 0
		.amdhsa_float_round_mode_16_64 0
		.amdhsa_float_denorm_mode_32 3
		.amdhsa_float_denorm_mode_16_64 3
		.amdhsa_fp16_overflow 0
		.amdhsa_workgroup_processor_mode 1
		.amdhsa_memory_ordered 1
		.amdhsa_forward_progress 1
		.amdhsa_inst_pref_size 120
		.amdhsa_round_robin_scheduling 0
		.amdhsa_exception_fp_ieee_invalid_op 0
		.amdhsa_exception_fp_denorm_src 0
		.amdhsa_exception_fp_ieee_div_zero 0
		.amdhsa_exception_fp_ieee_overflow 0
		.amdhsa_exception_fp_ieee_underflow 0
		.amdhsa_exception_fp_ieee_inexact 0
		.amdhsa_exception_int_div_zero 0
	.end_amdhsa_kernel
	.section	.text._ZN9rocsolver6v33100L18getri_kernel_smallILi16E19rocblas_complex_numIfEPS3_EEvT1_iilPiilS6_bb,"axG",@progbits,_ZN9rocsolver6v33100L18getri_kernel_smallILi16E19rocblas_complex_numIfEPS3_EEvT1_iilPiilS6_bb,comdat
.Lfunc_end15:
	.size	_ZN9rocsolver6v33100L18getri_kernel_smallILi16E19rocblas_complex_numIfEPS3_EEvT1_iilPiilS6_bb, .Lfunc_end15-_ZN9rocsolver6v33100L18getri_kernel_smallILi16E19rocblas_complex_numIfEPS3_EEvT1_iilPiilS6_bb
                                        ; -- End function
	.set _ZN9rocsolver6v33100L18getri_kernel_smallILi16E19rocblas_complex_numIfEPS3_EEvT1_iilPiilS6_bb.num_vgpr, 110
	.set _ZN9rocsolver6v33100L18getri_kernel_smallILi16E19rocblas_complex_numIfEPS3_EEvT1_iilPiilS6_bb.num_agpr, 0
	.set _ZN9rocsolver6v33100L18getri_kernel_smallILi16E19rocblas_complex_numIfEPS3_EEvT1_iilPiilS6_bb.numbered_sgpr, 19
	.set _ZN9rocsolver6v33100L18getri_kernel_smallILi16E19rocblas_complex_numIfEPS3_EEvT1_iilPiilS6_bb.num_named_barrier, 0
	.set _ZN9rocsolver6v33100L18getri_kernel_smallILi16E19rocblas_complex_numIfEPS3_EEvT1_iilPiilS6_bb.private_seg_size, 144
	.set _ZN9rocsolver6v33100L18getri_kernel_smallILi16E19rocblas_complex_numIfEPS3_EEvT1_iilPiilS6_bb.uses_vcc, 1
	.set _ZN9rocsolver6v33100L18getri_kernel_smallILi16E19rocblas_complex_numIfEPS3_EEvT1_iilPiilS6_bb.uses_flat_scratch, 1
	.set _ZN9rocsolver6v33100L18getri_kernel_smallILi16E19rocblas_complex_numIfEPS3_EEvT1_iilPiilS6_bb.has_dyn_sized_stack, 0
	.set _ZN9rocsolver6v33100L18getri_kernel_smallILi16E19rocblas_complex_numIfEPS3_EEvT1_iilPiilS6_bb.has_recursion, 0
	.set _ZN9rocsolver6v33100L18getri_kernel_smallILi16E19rocblas_complex_numIfEPS3_EEvT1_iilPiilS6_bb.has_indirect_call, 0
	.section	.AMDGPU.csdata,"",@progbits
; Kernel info:
; codeLenInByte = 15236
; TotalNumSgprs: 21
; NumVgprs: 110
; ScratchSize: 144
; MemoryBound: 0
; FloatMode: 240
; IeeeMode: 1
; LDSByteSize: 260 bytes/workgroup (compile time only)
; SGPRBlocks: 0
; VGPRBlocks: 13
; NumSGPRsForWavesPerEU: 21
; NumVGPRsForWavesPerEU: 110
; Occupancy: 12
; WaveLimiterHint : 1
; COMPUTE_PGM_RSRC2:SCRATCH_EN: 1
; COMPUTE_PGM_RSRC2:USER_SGPR: 2
; COMPUTE_PGM_RSRC2:TRAP_HANDLER: 0
; COMPUTE_PGM_RSRC2:TGID_X_EN: 1
; COMPUTE_PGM_RSRC2:TGID_Y_EN: 0
; COMPUTE_PGM_RSRC2:TGID_Z_EN: 0
; COMPUTE_PGM_RSRC2:TIDIG_COMP_CNT: 0
	.section	.text._ZN9rocsolver6v33100L18getri_kernel_smallILi17E19rocblas_complex_numIfEPS3_EEvT1_iilPiilS6_bb,"axG",@progbits,_ZN9rocsolver6v33100L18getri_kernel_smallILi17E19rocblas_complex_numIfEPS3_EEvT1_iilPiilS6_bb,comdat
	.globl	_ZN9rocsolver6v33100L18getri_kernel_smallILi17E19rocblas_complex_numIfEPS3_EEvT1_iilPiilS6_bb ; -- Begin function _ZN9rocsolver6v33100L18getri_kernel_smallILi17E19rocblas_complex_numIfEPS3_EEvT1_iilPiilS6_bb
	.p2align	8
	.type	_ZN9rocsolver6v33100L18getri_kernel_smallILi17E19rocblas_complex_numIfEPS3_EEvT1_iilPiilS6_bb,@function
_ZN9rocsolver6v33100L18getri_kernel_smallILi17E19rocblas_complex_numIfEPS3_EEvT1_iilPiilS6_bb: ; @_ZN9rocsolver6v33100L18getri_kernel_smallILi17E19rocblas_complex_numIfEPS3_EEvT1_iilPiilS6_bb
; %bb.0:
	s_mov_b32 s2, exec_lo
	v_cmpx_gt_u32_e32 17, v0
	s_cbranch_execz .LBB16_82
; %bb.1:
	s_clause 0x2
	s_load_b32 s2, s[0:1], 0x38
	s_load_b128 s[12:15], s[0:1], 0x10
	s_load_b128 s[4:7], s[0:1], 0x28
	s_mov_b32 s16, ttmp9
	s_wait_kmcnt 0x0
	s_bitcmp1_b32 s2, 8
	s_cselect_b32 s18, -1, 0
	s_bfe_u32 s2, s2, 0x10008
	s_ashr_i32 s17, ttmp9, 31
	s_cmp_eq_u32 s2, 0
                                        ; implicit-def: $sgpr2_sgpr3
	s_cbranch_scc1 .LBB16_3
; %bb.2:
	s_load_b32 s2, s[0:1], 0x20
	s_mul_u64 s[4:5], s[4:5], s[16:17]
	s_delay_alu instid0(SALU_CYCLE_1) | instskip(NEXT) | instid1(SALU_CYCLE_1)
	s_lshl_b64 s[4:5], s[4:5], 2
	s_add_nc_u64 s[4:5], s[14:15], s[4:5]
	s_wait_kmcnt 0x0
	s_ashr_i32 s3, s2, 31
	s_delay_alu instid0(SALU_CYCLE_1) | instskip(NEXT) | instid1(SALU_CYCLE_1)
	s_lshl_b64 s[2:3], s[2:3], 2
	s_add_nc_u64 s[2:3], s[4:5], s[2:3]
.LBB16_3:
	s_clause 0x1
	s_load_b128 s[8:11], s[0:1], 0x0
	s_load_b32 s4, s[0:1], 0x38
	s_mul_u64 s[0:1], s[12:13], s[16:17]
	v_lshlrev_b32_e32 v3, 3, v0
	s_lshl_b64 s[0:1], s[0:1], 3
	s_wait_kmcnt 0x0
	v_add3_u32 v1, s11, s11, v0
	s_ashr_i32 s13, s10, 31
	s_mov_b32 s12, s10
	s_add_nc_u64 s[0:1], s[8:9], s[0:1]
	s_lshl_b64 s[12:13], s[12:13], 3
	v_add_nc_u32_e32 v8, s11, v1
	v_ashrrev_i32_e32 v2, 31, v1
	s_add_nc_u64 s[0:1], s[0:1], s[12:13]
	s_ashr_i32 s9, s11, 31
	v_add_co_u32 v4, s5, s0, v3
	v_add_nc_u32_e32 v10, s11, v8
	s_mov_b32 s8, s11
	v_lshlrev_b64_e32 v[1:2], 3, v[1:2]
	v_add_co_ci_u32_e64 v5, null, s1, 0, s5
	v_ashrrev_i32_e32 v9, 31, v8
	s_lshl_b64 s[8:9], s[8:9], 3
	v_ashrrev_i32_e32 v11, 31, v10
	v_add_co_u32 v6, vcc_lo, v4, s8
	v_add_nc_u32_e32 v14, s11, v10
	v_add_co_ci_u32_e64 v7, null, s9, v5, vcc_lo
	v_lshlrev_b64_e32 v[12:13], 3, v[8:9]
	v_add_co_u32 v8, vcc_lo, s0, v1
	s_wait_alu 0xfffd
	v_add_co_ci_u32_e64 v9, null, s1, v2, vcc_lo
	v_lshlrev_b64_e32 v[1:2], 3, v[10:11]
	v_add_nc_u32_e32 v16, s11, v14
	v_add_co_u32 v10, vcc_lo, s0, v12
	s_wait_alu 0xfffd
	v_add_co_ci_u32_e64 v11, null, s1, v13, vcc_lo
	s_delay_alu instid0(VALU_DEP_4)
	v_add_co_u32 v12, vcc_lo, s0, v1
	v_add_nc_u32_e32 v1, s11, v16
	v_ashrrev_i32_e32 v15, 31, v14
	v_ashrrev_i32_e32 v17, 31, v16
	s_wait_alu 0xfffd
	v_add_co_ci_u32_e64 v13, null, s1, v2, vcc_lo
	v_ashrrev_i32_e32 v2, 31, v1
	v_lshlrev_b64_e32 v[14:15], 3, v[14:15]
	v_add_nc_u32_e32 v18, s11, v1
	v_lshlrev_b64_e32 v[16:17], 3, v[16:17]
	global_load_b64 v[38:39], v3, s[0:1]
	v_lshlrev_b64_e32 v[1:2], 3, v[1:2]
	s_clause 0x3
	global_load_b64 v[40:41], v[6:7], off
	global_load_b64 v[42:43], v[8:9], off
	;; [unrolled: 1-line block ×4, first 2 shown]
	v_ashrrev_i32_e32 v19, 31, v18
	v_add_nc_u32_e32 v22, s11, v18
	v_add_co_u32 v14, vcc_lo, s0, v14
	s_wait_alu 0xfffd
	v_add_co_ci_u32_e64 v15, null, s1, v15, vcc_lo
	v_add_co_u32 v16, vcc_lo, s0, v16
	s_wait_alu 0xfffd
	v_add_co_ci_u32_e64 v17, null, s1, v17, vcc_lo
	v_lshlrev_b64_e32 v[20:21], 3, v[18:19]
	v_add_co_u32 v18, vcc_lo, s0, v1
	v_add_nc_u32_e32 v1, s11, v22
	v_ashrrev_i32_e32 v23, 31, v22
	s_wait_alu 0xfffd
	v_add_co_ci_u32_e64 v19, null, s1, v2, vcc_lo
	v_add_co_u32 v20, vcc_lo, s0, v20
	v_add_nc_u32_e32 v24, s11, v1
	v_ashrrev_i32_e32 v2, 31, v1
	v_lshlrev_b64_e32 v[22:23], 3, v[22:23]
	s_wait_alu 0xfffd
	v_add_co_ci_u32_e64 v21, null, s1, v21, vcc_lo
	v_add_nc_u32_e32 v26, s11, v24
	v_lshlrev_b64_e32 v[1:2], 3, v[1:2]
	v_ashrrev_i32_e32 v25, 31, v24
	v_add_co_u32 v22, vcc_lo, s0, v22
	s_delay_alu instid0(VALU_DEP_4)
	v_add_nc_u32_e32 v30, s11, v26
	v_ashrrev_i32_e32 v27, 31, v26
	s_wait_alu 0xfffd
	v_add_co_ci_u32_e64 v23, null, s1, v23, vcc_lo
	v_lshlrev_b64_e32 v[28:29], 3, v[24:25]
	v_add_co_u32 v24, vcc_lo, s0, v1
	v_add_nc_u32_e32 v32, s11, v30
	s_wait_alu 0xfffd
	v_add_co_ci_u32_e64 v25, null, s1, v2, vcc_lo
	v_lshlrev_b64_e32 v[1:2], 3, v[26:27]
	v_ashrrev_i32_e32 v31, 31, v30
	v_add_nc_u32_e32 v34, s11, v32
	v_add_co_u32 v26, vcc_lo, s0, v28
	s_wait_alu 0xfffd
	v_add_co_ci_u32_e64 v27, null, s1, v29, vcc_lo
	v_add_co_u32 v28, vcc_lo, s0, v1
	s_wait_alu 0xfffd
	v_add_co_ci_u32_e64 v29, null, s1, v2, vcc_lo
	v_lshlrev_b64_e32 v[1:2], 3, v[30:31]
	v_add_nc_u32_e32 v36, s11, v34
	v_ashrrev_i32_e32 v33, 31, v32
	v_ashrrev_i32_e32 v35, 31, v34
	s_clause 0x7
	global_load_b64 v[48:49], v[14:15], off
	global_load_b64 v[50:51], v[16:17], off
	;; [unrolled: 1-line block ×8, first 2 shown]
	v_ashrrev_i32_e32 v37, 31, v36
	v_lshlrev_b64_e32 v[32:33], 3, v[32:33]
	v_add_co_u32 v30, vcc_lo, s0, v1
	s_wait_alu 0xfffd
	v_add_co_ci_u32_e64 v31, null, s1, v2, vcc_lo
	v_lshlrev_b64_e32 v[1:2], 3, v[34:35]
	v_lshlrev_b64_e32 v[36:37], 3, v[36:37]
	v_add_co_u32 v32, vcc_lo, s0, v32
	s_wait_alu 0xfffd
	v_add_co_ci_u32_e64 v33, null, s1, v33, vcc_lo
	s_delay_alu instid0(VALU_DEP_4)
	v_add_co_u32 v34, vcc_lo, s0, v1
	s_wait_alu 0xfffd
	v_add_co_ci_u32_e64 v35, null, s1, v2, vcc_lo
	v_add_co_u32 v36, vcc_lo, s0, v36
	s_wait_alu 0xfffd
	v_add_co_ci_u32_e64 v37, null, s1, v37, vcc_lo
	s_clause 0x3
	global_load_b64 v[64:65], v[30:31], off
	global_load_b64 v[66:67], v[32:33], off
	;; [unrolled: 1-line block ×4, first 2 shown]
	s_bitcmp0_b32 s4, 0
	s_mov_b32 s1, -1
	s_wait_loadcnt 0xf
	scratch_store_b128 off, v[38:41], off
	s_wait_loadcnt 0xd
	scratch_store_b128 off, v[42:45], off offset:16
	s_wait_loadcnt 0xb
	scratch_store_b128 off, v[46:49], off offset:32
	s_wait_loadcnt 0x9
	scratch_store_b128 off, v[50:53], off offset:48
	s_wait_loadcnt 0x7
	scratch_store_b128 off, v[54:57], off offset:64
	s_wait_loadcnt 0x5
	scratch_store_b128 off, v[58:61], off offset:80
	s_wait_loadcnt 0x3
	scratch_store_b128 off, v[62:65], off offset:96
	s_wait_loadcnt 0x1
	scratch_store_b128 off, v[66:69], off offset:112
	s_wait_loadcnt 0x0
	scratch_store_b64 off, v[1:2], off offset:128
	s_cbranch_scc1 .LBB16_80
; %bb.4:
	v_cmp_eq_u32_e64 s0, 0, v0
	s_and_saveexec_b32 s1, s0
; %bb.5:
	v_mov_b32_e32 v1, 0
	ds_store_b32 v1, v1 offset:136
; %bb.6:
	s_wait_alu 0xfffe
	s_or_b32 exec_lo, exec_lo, s1
	s_wait_storecnt_dscnt 0x0
	s_barrier_signal -1
	s_barrier_wait -1
	global_inv scope:SCOPE_SE
	scratch_load_b64 v[1:2], v3, off
	s_wait_loadcnt 0x0
	v_cmp_eq_f32_e32 vcc_lo, 0, v1
	v_cmp_eq_f32_e64 s1, 0, v2
	s_and_b32 s1, vcc_lo, s1
	s_wait_alu 0xfffe
	s_and_saveexec_b32 s4, s1
	s_cbranch_execz .LBB16_10
; %bb.7:
	v_mov_b32_e32 v1, 0
	s_mov_b32 s5, 0
	ds_load_b32 v2, v1 offset:136
	s_wait_dscnt 0x0
	v_readfirstlane_b32 s1, v2
	v_add_nc_u32_e32 v2, 1, v0
	s_cmp_eq_u32 s1, 0
	s_delay_alu instid0(VALU_DEP_1)
	v_cmp_gt_i32_e32 vcc_lo, s1, v2
	s_cselect_b32 s8, -1, 0
	s_wait_alu 0xfffe
	s_or_b32 s8, s8, vcc_lo
	s_wait_alu 0xfffe
	s_and_b32 exec_lo, exec_lo, s8
	s_cbranch_execz .LBB16_10
; %bb.8:
	v_mov_b32_e32 v38, s1
.LBB16_9:                               ; =>This Inner Loop Header: Depth=1
	ds_cmpstore_rtn_b32 v38, v1, v2, v38 offset:136
	s_wait_dscnt 0x0
	v_cmp_ne_u32_e32 vcc_lo, 0, v38
	v_cmp_le_i32_e64 s1, v38, v2
	s_and_b32 s1, vcc_lo, s1
	s_wait_alu 0xfffe
	s_and_b32 s1, exec_lo, s1
	s_wait_alu 0xfffe
	s_or_b32 s5, s1, s5
	s_wait_alu 0xfffe
	s_and_not1_b32 exec_lo, exec_lo, s5
	s_cbranch_execnz .LBB16_9
.LBB16_10:
	s_wait_alu 0xfffe
	s_or_b32 exec_lo, exec_lo, s4
	v_mov_b32_e32 v1, 0
	s_barrier_signal -1
	s_barrier_wait -1
	global_inv scope:SCOPE_SE
	ds_load_b32 v2, v1 offset:136
	s_and_saveexec_b32 s1, s0
	s_cbranch_execz .LBB16_12
; %bb.11:
	s_lshl_b64 s[4:5], s[16:17], 2
	s_wait_alu 0xfffe
	s_add_nc_u64 s[4:5], s[6:7], s[4:5]
	s_wait_dscnt 0x0
	global_store_b32 v1, v2, s[4:5]
.LBB16_12:
	s_wait_alu 0xfffe
	s_or_b32 exec_lo, exec_lo, s1
	s_wait_dscnt 0x0
	v_cmp_ne_u32_e32 vcc_lo, 0, v2
	s_mov_b32 s1, 0
	s_cbranch_vccnz .LBB16_80
; %bb.13:
	v_mov_b32_e32 v42, v3
                                        ; implicit-def: $vgpr38
                                        ; implicit-def: $vgpr40
	scratch_load_b64 v[1:2], v42, off
	s_wait_loadcnt 0x0
	v_cmp_ngt_f32_e64 s1, |v1|, |v2|
	s_wait_alu 0xfffe
	s_and_saveexec_b32 s4, s1
	s_wait_alu 0xfffe
	s_xor_b32 s1, exec_lo, s4
	s_cbranch_execz .LBB16_15
; %bb.14:
	v_div_scale_f32 v38, null, v2, v2, v1
	v_div_scale_f32 v41, vcc_lo, v1, v2, v1
	s_delay_alu instid0(VALU_DEP_2) | instskip(NEXT) | instid1(TRANS32_DEP_1)
	v_rcp_f32_e32 v39, v38
	v_fma_f32 v40, -v38, v39, 1.0
	s_delay_alu instid0(VALU_DEP_1) | instskip(NEXT) | instid1(VALU_DEP_1)
	v_fmac_f32_e32 v39, v40, v39
	v_mul_f32_e32 v40, v41, v39
	s_delay_alu instid0(VALU_DEP_1) | instskip(NEXT) | instid1(VALU_DEP_1)
	v_fma_f32 v43, -v38, v40, v41
	v_fmac_f32_e32 v40, v43, v39
	s_delay_alu instid0(VALU_DEP_1) | instskip(SKIP_1) | instid1(VALU_DEP_1)
	v_fma_f32 v38, -v38, v40, v41
	s_wait_alu 0xfffd
	v_div_fmas_f32 v38, v38, v39, v40
	s_delay_alu instid0(VALU_DEP_1) | instskip(NEXT) | instid1(VALU_DEP_1)
	v_div_fixup_f32 v38, v38, v2, v1
	v_fmac_f32_e32 v2, v1, v38
	s_delay_alu instid0(VALU_DEP_1) | instskip(NEXT) | instid1(VALU_DEP_1)
	v_div_scale_f32 v1, null, v2, v2, 1.0
	v_rcp_f32_e32 v39, v1
	s_delay_alu instid0(TRANS32_DEP_1) | instskip(NEXT) | instid1(VALU_DEP_1)
	v_fma_f32 v40, -v1, v39, 1.0
	v_fmac_f32_e32 v39, v40, v39
	v_div_scale_f32 v40, vcc_lo, 1.0, v2, 1.0
	s_delay_alu instid0(VALU_DEP_1) | instskip(NEXT) | instid1(VALU_DEP_1)
	v_mul_f32_e32 v41, v40, v39
	v_fma_f32 v43, -v1, v41, v40
	s_delay_alu instid0(VALU_DEP_1) | instskip(NEXT) | instid1(VALU_DEP_1)
	v_fmac_f32_e32 v41, v43, v39
	v_fma_f32 v1, -v1, v41, v40
	s_wait_alu 0xfffd
	s_delay_alu instid0(VALU_DEP_1) | instskip(NEXT) | instid1(VALU_DEP_1)
	v_div_fmas_f32 v1, v1, v39, v41
	v_div_fixup_f32 v1, v1, v2, 1.0
	s_delay_alu instid0(VALU_DEP_1) | instskip(SKIP_1) | instid1(VALU_DEP_2)
	v_mul_f32_e32 v38, v38, v1
	v_xor_b32_e32 v39, 0x80000000, v1
                                        ; implicit-def: $vgpr1_vgpr2
	v_xor_b32_e32 v40, 0x80000000, v38
.LBB16_15:
	s_wait_alu 0xfffe
	s_and_not1_saveexec_b32 s1, s1
	s_cbranch_execz .LBB16_17
; %bb.16:
	v_div_scale_f32 v38, null, v1, v1, v2
	v_div_scale_f32 v41, vcc_lo, v2, v1, v2
	s_delay_alu instid0(VALU_DEP_2) | instskip(NEXT) | instid1(TRANS32_DEP_1)
	v_rcp_f32_e32 v39, v38
	v_fma_f32 v40, -v38, v39, 1.0
	s_delay_alu instid0(VALU_DEP_1) | instskip(NEXT) | instid1(VALU_DEP_1)
	v_fmac_f32_e32 v39, v40, v39
	v_mul_f32_e32 v40, v41, v39
	s_delay_alu instid0(VALU_DEP_1) | instskip(NEXT) | instid1(VALU_DEP_1)
	v_fma_f32 v43, -v38, v40, v41
	v_fmac_f32_e32 v40, v43, v39
	s_delay_alu instid0(VALU_DEP_1) | instskip(SKIP_1) | instid1(VALU_DEP_1)
	v_fma_f32 v38, -v38, v40, v41
	s_wait_alu 0xfffd
	v_div_fmas_f32 v38, v38, v39, v40
	s_delay_alu instid0(VALU_DEP_1) | instskip(NEXT) | instid1(VALU_DEP_1)
	v_div_fixup_f32 v39, v38, v1, v2
	v_fmac_f32_e32 v1, v2, v39
	s_delay_alu instid0(VALU_DEP_1) | instskip(NEXT) | instid1(VALU_DEP_1)
	v_div_scale_f32 v2, null, v1, v1, 1.0
	v_rcp_f32_e32 v38, v2
	s_delay_alu instid0(TRANS32_DEP_1) | instskip(NEXT) | instid1(VALU_DEP_1)
	v_fma_f32 v40, -v2, v38, 1.0
	v_fmac_f32_e32 v38, v40, v38
	v_div_scale_f32 v41, vcc_lo, 1.0, v1, 1.0
	s_delay_alu instid0(VALU_DEP_1) | instskip(NEXT) | instid1(VALU_DEP_1)
	v_mul_f32_e32 v40, v41, v38
	v_fma_f32 v43, -v2, v40, v41
	s_delay_alu instid0(VALU_DEP_1) | instskip(NEXT) | instid1(VALU_DEP_1)
	v_fmac_f32_e32 v40, v43, v38
	v_fma_f32 v2, -v2, v40, v41
	s_wait_alu 0xfffd
	s_delay_alu instid0(VALU_DEP_1) | instskip(NEXT) | instid1(VALU_DEP_1)
	v_div_fmas_f32 v2, v2, v38, v40
	v_div_fixup_f32 v38, v2, v1, 1.0
	s_delay_alu instid0(VALU_DEP_1)
	v_xor_b32_e32 v40, 0x80000000, v38
	v_mul_f32_e64 v39, v39, -v38
.LBB16_17:
	s_wait_alu 0xfffe
	s_or_b32 exec_lo, exec_lo, s1
	scratch_store_b64 v42, v[38:39], off
	scratch_load_b64 v[43:44], off, off offset:8
	v_xor_b32_e32 v41, 0x80000000, v39
	v_add_nc_u32_e32 v1, 0x90, v3
	s_wait_loadcnt 0x0
	ds_store_2addr_b64 v3, v[40:41], v[43:44] offset1:18
	s_wait_storecnt_dscnt 0x0
	s_barrier_signal -1
	s_barrier_wait -1
	global_inv scope:SCOPE_SE
	s_and_saveexec_b32 s1, s0
	s_cbranch_execz .LBB16_19
; %bb.18:
	scratch_load_b64 v[38:39], v42, off
	ds_load_b64 v[40:41], v1
	v_mov_b32_e32 v2, 0
	ds_load_b64 v[43:44], v2 offset:8
	s_wait_loadcnt_dscnt 0x1
	v_mul_f32_e32 v2, v40, v39
	v_mul_f32_e32 v39, v41, v39
	s_delay_alu instid0(VALU_DEP_2) | instskip(NEXT) | instid1(VALU_DEP_2)
	v_fmac_f32_e32 v2, v41, v38
	v_fma_f32 v38, v40, v38, -v39
	s_delay_alu instid0(VALU_DEP_2) | instskip(NEXT) | instid1(VALU_DEP_2)
	v_add_f32_e32 v2, 0, v2
	v_add_f32_e32 v38, 0, v38
	s_wait_dscnt 0x0
	s_delay_alu instid0(VALU_DEP_2) | instskip(NEXT) | instid1(VALU_DEP_2)
	v_mul_f32_e32 v40, v2, v44
	v_mul_f32_e32 v39, v38, v44
	s_delay_alu instid0(VALU_DEP_1) | instskip(NEXT) | instid1(VALU_DEP_3)
	v_fmac_f32_e32 v39, v2, v43
	v_fma_f32 v38, v38, v43, -v40
	scratch_store_b64 off, v[38:39], off offset:8
.LBB16_19:
	s_wait_alu 0xfffe
	s_or_b32 exec_lo, exec_lo, s1
	s_wait_loadcnt 0x0
	s_wait_storecnt 0x0
	s_barrier_signal -1
	s_barrier_wait -1
	global_inv scope:SCOPE_SE
	scratch_load_b64 v[38:39], off, off offset:16
	s_mov_b32 s1, exec_lo
	s_wait_loadcnt 0x0
	ds_store_b64 v1, v[38:39]
	s_wait_dscnt 0x0
	s_barrier_signal -1
	s_barrier_wait -1
	global_inv scope:SCOPE_SE
	v_cmpx_gt_u32_e32 2, v0
	s_cbranch_execz .LBB16_23
; %bb.20:
	scratch_load_b64 v[38:39], v42, off
	ds_load_b64 v[40:41], v1
	s_wait_loadcnt_dscnt 0x0
	v_mul_f32_e32 v2, v41, v39
	s_delay_alu instid0(VALU_DEP_1) | instskip(SKIP_1) | instid1(VALU_DEP_1)
	v_fma_f32 v2, v40, v38, -v2
	v_mul_f32_e32 v39, v40, v39
	v_fmac_f32_e32 v39, v41, v38
	s_delay_alu instid0(VALU_DEP_3) | instskip(NEXT) | instid1(VALU_DEP_2)
	v_add_f32_e32 v38, 0, v2
	v_add_f32_e32 v2, 0, v39
	s_and_saveexec_b32 s4, s0
	s_cbranch_execz .LBB16_22
; %bb.21:
	scratch_load_b64 v[39:40], off, off offset:8
	v_mov_b32_e32 v41, 0
	ds_load_b64 v[43:44], v41 offset:152
	s_wait_loadcnt_dscnt 0x0
	v_mul_f32_e32 v41, v43, v40
	v_mul_f32_e32 v40, v44, v40
	s_delay_alu instid0(VALU_DEP_2) | instskip(NEXT) | instid1(VALU_DEP_2)
	v_fmac_f32_e32 v41, v44, v39
	v_fma_f32 v39, v43, v39, -v40
	s_delay_alu instid0(VALU_DEP_2) | instskip(NEXT) | instid1(VALU_DEP_2)
	v_add_f32_e32 v2, v2, v41
	v_add_f32_e32 v38, v38, v39
.LBB16_22:
	s_wait_alu 0xfffe
	s_or_b32 exec_lo, exec_lo, s4
	v_mov_b32_e32 v39, 0
	ds_load_b64 v[39:40], v39 offset:16
	s_wait_dscnt 0x0
	v_mul_f32_e32 v43, v2, v40
	v_mul_f32_e32 v41, v38, v40
	s_delay_alu instid0(VALU_DEP_2) | instskip(NEXT) | instid1(VALU_DEP_2)
	v_fma_f32 v40, v38, v39, -v43
	v_fmac_f32_e32 v41, v2, v39
	scratch_store_b64 off, v[40:41], off offset:16
.LBB16_23:
	s_wait_alu 0xfffe
	s_or_b32 exec_lo, exec_lo, s1
	s_wait_loadcnt 0x0
	s_wait_storecnt 0x0
	s_barrier_signal -1
	s_barrier_wait -1
	global_inv scope:SCOPE_SE
	scratch_load_b64 v[38:39], off, off offset:24
	v_add_nc_u32_e32 v2, -1, v0
	s_mov_b32 s0, exec_lo
	s_wait_loadcnt 0x0
	ds_store_b64 v1, v[38:39]
	s_wait_dscnt 0x0
	s_barrier_signal -1
	s_barrier_wait -1
	global_inv scope:SCOPE_SE
	v_cmpx_gt_u32_e32 3, v0
	s_cbranch_execz .LBB16_27
; %bb.24:
	v_dual_mov_b32 v38, 0 :: v_dual_add_nc_u32 v39, -1, v0
	v_dual_mov_b32 v41, v3 :: v_dual_add_nc_u32 v40, 0x90, v3
	v_mov_b32_e32 v43, 0
	s_mov_b32 s1, 0
.LBB16_25:                              ; =>This Inner Loop Header: Depth=1
	scratch_load_b64 v[44:45], v41, off
	ds_load_b64 v[46:47], v40
	v_add_nc_u32_e32 v41, 8, v41
	v_add_nc_u32_e32 v39, 1, v39
	v_add_nc_u32_e32 v40, 8, v40
	s_delay_alu instid0(VALU_DEP_2)
	v_cmp_lt_u32_e32 vcc_lo, 1, v39
	s_wait_alu 0xfffe
	s_or_b32 s1, vcc_lo, s1
	s_wait_loadcnt_dscnt 0x0
	v_mul_f32_e32 v48, v47, v45
	v_mul_f32_e32 v45, v46, v45
	s_delay_alu instid0(VALU_DEP_2) | instskip(NEXT) | instid1(VALU_DEP_2)
	v_fma_f32 v46, v46, v44, -v48
	v_fmac_f32_e32 v45, v47, v44
	s_delay_alu instid0(VALU_DEP_1)
	v_dual_add_f32 v43, v43, v46 :: v_dual_add_f32 v38, v38, v45
	s_wait_alu 0xfffe
	s_and_not1_b32 exec_lo, exec_lo, s1
	s_cbranch_execnz .LBB16_25
; %bb.26:
	s_or_b32 exec_lo, exec_lo, s1
	v_mov_b32_e32 v39, 0
	ds_load_b64 v[39:40], v39 offset:24
	s_wait_dscnt 0x0
	v_mul_f32_e32 v44, v38, v40
	v_mul_f32_e32 v41, v43, v40
	s_delay_alu instid0(VALU_DEP_2) | instskip(NEXT) | instid1(VALU_DEP_2)
	v_fma_f32 v40, v43, v39, -v44
	v_fmac_f32_e32 v41, v38, v39
	scratch_store_b64 off, v[40:41], off offset:24
.LBB16_27:
	s_wait_alu 0xfffe
	s_or_b32 exec_lo, exec_lo, s0
	s_wait_loadcnt 0x0
	s_wait_storecnt 0x0
	s_barrier_signal -1
	s_barrier_wait -1
	global_inv scope:SCOPE_SE
	scratch_load_b64 v[38:39], off, off offset:32
	s_mov_b32 s0, exec_lo
	s_wait_loadcnt 0x0
	ds_store_b64 v1, v[38:39]
	s_wait_dscnt 0x0
	s_barrier_signal -1
	s_barrier_wait -1
	global_inv scope:SCOPE_SE
	v_cmpx_gt_u32_e32 4, v0
	s_cbranch_execz .LBB16_31
; %bb.28:
	v_dual_mov_b32 v38, 0 :: v_dual_add_nc_u32 v39, -1, v0
	v_dual_mov_b32 v41, v3 :: v_dual_add_nc_u32 v40, 0x90, v3
	v_mov_b32_e32 v43, 0
	s_mov_b32 s1, 0
.LBB16_29:                              ; =>This Inner Loop Header: Depth=1
	scratch_load_b64 v[44:45], v41, off
	ds_load_b64 v[46:47], v40
	v_add_nc_u32_e32 v41, 8, v41
	v_add_nc_u32_e32 v39, 1, v39
	v_add_nc_u32_e32 v40, 8, v40
	s_delay_alu instid0(VALU_DEP_2)
	v_cmp_lt_u32_e32 vcc_lo, 2, v39
	s_wait_alu 0xfffe
	s_or_b32 s1, vcc_lo, s1
	s_wait_loadcnt_dscnt 0x0
	v_mul_f32_e32 v48, v47, v45
	v_mul_f32_e32 v45, v46, v45
	s_delay_alu instid0(VALU_DEP_2) | instskip(NEXT) | instid1(VALU_DEP_2)
	v_fma_f32 v46, v46, v44, -v48
	v_fmac_f32_e32 v45, v47, v44
	s_delay_alu instid0(VALU_DEP_1)
	v_dual_add_f32 v43, v43, v46 :: v_dual_add_f32 v38, v38, v45
	s_wait_alu 0xfffe
	s_and_not1_b32 exec_lo, exec_lo, s1
	s_cbranch_execnz .LBB16_29
; %bb.30:
	s_or_b32 exec_lo, exec_lo, s1
	v_mov_b32_e32 v39, 0
	ds_load_b64 v[39:40], v39 offset:32
	s_wait_dscnt 0x0
	v_mul_f32_e32 v44, v38, v40
	v_mul_f32_e32 v41, v43, v40
	s_delay_alu instid0(VALU_DEP_2) | instskip(NEXT) | instid1(VALU_DEP_2)
	v_fma_f32 v40, v43, v39, -v44
	v_fmac_f32_e32 v41, v38, v39
	scratch_store_b64 off, v[40:41], off offset:32
.LBB16_31:
	s_wait_alu 0xfffe
	s_or_b32 exec_lo, exec_lo, s0
	s_wait_loadcnt 0x0
	s_wait_storecnt 0x0
	s_barrier_signal -1
	s_barrier_wait -1
	global_inv scope:SCOPE_SE
	scratch_load_b64 v[38:39], off, off offset:40
	;; [unrolled: 55-line block ×12, first 2 shown]
	s_mov_b32 s0, exec_lo
	s_wait_loadcnt 0x0
	ds_store_b64 v1, v[38:39]
	s_wait_dscnt 0x0
	s_barrier_signal -1
	s_barrier_wait -1
	global_inv scope:SCOPE_SE
	v_cmpx_gt_u32_e32 15, v0
	s_cbranch_execz .LBB16_75
; %bb.72:
	v_add_nc_u32_e32 v38, -1, v0
	v_dual_mov_b32 v40, v3 :: v_dual_add_nc_u32 v39, 0x90, v3
	v_mov_b32_e32 v3, 0
	v_mov_b32_e32 v41, 0
	s_mov_b32 s1, 0
.LBB16_73:                              ; =>This Inner Loop Header: Depth=1
	scratch_load_b64 v[43:44], v40, off
	ds_load_b64 v[45:46], v39
	v_add_nc_u32_e32 v40, 8, v40
	v_add_nc_u32_e32 v38, 1, v38
	;; [unrolled: 1-line block ×3, first 2 shown]
	s_delay_alu instid0(VALU_DEP_2)
	v_cmp_lt_u32_e32 vcc_lo, 13, v38
	s_wait_alu 0xfffe
	s_or_b32 s1, vcc_lo, s1
	s_wait_loadcnt_dscnt 0x0
	v_mul_f32_e32 v47, v46, v44
	v_mul_f32_e32 v44, v45, v44
	s_delay_alu instid0(VALU_DEP_2) | instskip(NEXT) | instid1(VALU_DEP_1)
	v_fma_f32 v45, v45, v43, -v47
	v_dual_fmac_f32 v44, v46, v43 :: v_dual_add_f32 v41, v41, v45
	s_delay_alu instid0(VALU_DEP_1)
	v_add_f32_e32 v3, v3, v44
	s_wait_alu 0xfffe
	s_and_not1_b32 exec_lo, exec_lo, s1
	s_cbranch_execnz .LBB16_73
; %bb.74:
	s_or_b32 exec_lo, exec_lo, s1
	v_mov_b32_e32 v38, 0
	ds_load_b64 v[38:39], v38 offset:120
	s_wait_dscnt 0x0
	v_mul_f32_e32 v43, v3, v39
	v_mul_f32_e32 v40, v41, v39
	s_delay_alu instid0(VALU_DEP_2) | instskip(NEXT) | instid1(VALU_DEP_2)
	v_fma_f32 v39, v41, v38, -v43
	v_fmac_f32_e32 v40, v3, v38
	scratch_store_b64 off, v[39:40], off offset:120
.LBB16_75:
	s_wait_alu 0xfffe
	s_or_b32 exec_lo, exec_lo, s0
	s_wait_loadcnt 0x0
	s_wait_storecnt 0x0
	s_barrier_signal -1
	s_barrier_wait -1
	global_inv scope:SCOPE_SE
	scratch_load_b64 v[38:39], off, off offset:128
	s_mov_b32 s0, exec_lo
	s_wait_loadcnt 0x0
	ds_store_b64 v1, v[38:39]
	s_wait_dscnt 0x0
	s_barrier_signal -1
	s_barrier_wait -1
	global_inv scope:SCOPE_SE
	v_cmpx_ne_u32_e32 16, v0
	s_cbranch_execz .LBB16_79
; %bb.76:
	v_dual_mov_b32 v3, 0 :: v_dual_mov_b32 v38, 0
	s_mov_b32 s1, 0
.LBB16_77:                              ; =>This Inner Loop Header: Depth=1
	scratch_load_b64 v[39:40], v42, off
	ds_load_b64 v[43:44], v1
	v_add_nc_u32_e32 v2, 1, v2
	v_add_nc_u32_e32 v1, 8, v1
	s_delay_alu instid0(VALU_DEP_2)
	v_cmp_lt_u32_e32 vcc_lo, 14, v2
	s_wait_alu 0xfffe
	s_or_b32 s1, vcc_lo, s1
	s_wait_loadcnt_dscnt 0x0
	v_mul_f32_e32 v41, v44, v40
	v_mul_f32_e32 v40, v43, v40
	s_delay_alu instid0(VALU_DEP_2) | instskip(NEXT) | instid1(VALU_DEP_2)
	v_fma_f32 v41, v43, v39, -v41
	v_fmac_f32_e32 v40, v44, v39
	v_add_nc_u32_e32 v42, 8, v42
	s_delay_alu instid0(VALU_DEP_2)
	v_dual_add_f32 v38, v38, v41 :: v_dual_add_f32 v3, v3, v40
	s_wait_alu 0xfffe
	s_and_not1_b32 exec_lo, exec_lo, s1
	s_cbranch_execnz .LBB16_77
; %bb.78:
	s_or_b32 exec_lo, exec_lo, s1
	v_mov_b32_e32 v1, 0
	ds_load_b64 v[1:2], v1 offset:128
	s_wait_dscnt 0x0
	v_mul_f32_e32 v40, v3, v2
	v_mul_f32_e32 v39, v38, v2
	s_delay_alu instid0(VALU_DEP_2) | instskip(NEXT) | instid1(VALU_DEP_2)
	v_fma_f32 v38, v38, v1, -v40
	v_fmac_f32_e32 v39, v3, v1
	scratch_store_b64 off, v[38:39], off offset:128
.LBB16_79:
	s_wait_alu 0xfffe
	s_or_b32 exec_lo, exec_lo, s0
	s_mov_b32 s1, -1
	s_wait_loadcnt 0x0
	s_wait_storecnt 0x0
	s_barrier_signal -1
	s_barrier_wait -1
	global_inv scope:SCOPE_SE
.LBB16_80:
	s_wait_alu 0xfffe
	s_and_b32 vcc_lo, exec_lo, s1
	s_wait_alu 0xfffe
	s_cbranch_vccz .LBB16_82
; %bb.81:
	v_mov_b32_e32 v1, 0
	s_lshl_b64 s[0:1], s[16:17], 2
	s_wait_alu 0xfffe
	s_add_nc_u64 s[0:1], s[6:7], s[0:1]
	global_load_b32 v1, v1, s[0:1]
	s_wait_loadcnt 0x0
	v_cmp_ne_u32_e32 vcc_lo, 0, v1
	s_cbranch_vccz .LBB16_83
.LBB16_82:
	s_nop 0
	s_sendmsg sendmsg(MSG_DEALLOC_VGPRS)
	s_endpgm
.LBB16_83:
	v_lshl_add_u32 v3, v0, 3, 0x90
	s_mov_b32 s0, exec_lo
	v_cmpx_eq_u32_e32 16, v0
	s_cbranch_execz .LBB16_85
; %bb.84:
	scratch_load_b64 v[1:2], off, off offset:120
	v_mov_b32_e32 v38, 0
	s_delay_alu instid0(VALU_DEP_1)
	v_mov_b32_e32 v39, v38
	scratch_store_b64 off, v[38:39], off offset:120
	s_wait_loadcnt 0x0
	ds_store_b64 v3, v[1:2]
.LBB16_85:
	s_wait_alu 0xfffe
	s_or_b32 exec_lo, exec_lo, s0
	s_wait_storecnt_dscnt 0x0
	s_barrier_signal -1
	s_barrier_wait -1
	global_inv scope:SCOPE_SE
	s_clause 0x1
	scratch_load_b64 v[38:39], off, off offset:128
	scratch_load_b64 v[40:41], off, off offset:120
	v_mov_b32_e32 v1, 0
	s_mov_b32 s0, exec_lo
	ds_load_b64 v[42:43], v1 offset:272
	s_wait_loadcnt_dscnt 0x100
	v_mul_f32_e32 v2, v43, v39
	s_delay_alu instid0(VALU_DEP_1) | instskip(NEXT) | instid1(VALU_DEP_1)
	v_fma_f32 v2, v42, v38, -v2
	v_dual_mul_f32 v39, v42, v39 :: v_dual_add_f32 v2, 0, v2
	s_delay_alu instid0(VALU_DEP_1) | instskip(SKIP_1) | instid1(VALU_DEP_1)
	v_fmac_f32_e32 v39, v43, v38
	s_wait_loadcnt 0x0
	v_dual_sub_f32 v38, v40, v2 :: v_dual_add_f32 v39, 0, v39
	s_delay_alu instid0(VALU_DEP_1)
	v_sub_f32_e32 v39, v41, v39
	scratch_store_b64 off, v[38:39], off offset:120
	v_cmpx_lt_u32_e32 14, v0
	s_cbranch_execz .LBB16_87
; %bb.86:
	scratch_load_b64 v[38:39], off, off offset:112
	v_mov_b32_e32 v2, v1
	scratch_store_b64 off, v[1:2], off offset:112
	s_wait_loadcnt 0x0
	ds_store_b64 v3, v[38:39]
.LBB16_87:
	s_wait_alu 0xfffe
	s_or_b32 exec_lo, exec_lo, s0
	s_wait_storecnt_dscnt 0x0
	s_barrier_signal -1
	s_barrier_wait -1
	global_inv scope:SCOPE_SE
	s_clause 0x1
	scratch_load_b128 v[38:41], off, off offset:120
	scratch_load_b64 v[46:47], off, off offset:112
	ds_load_2addr_b64 v[42:45], v1 offset0:33 offset1:34
	s_mov_b32 s0, exec_lo
	s_wait_loadcnt_dscnt 0x100
	v_mul_f32_e32 v2, v42, v39
	s_delay_alu instid0(VALU_DEP_1) | instskip(SKIP_2) | instid1(VALU_DEP_1)
	v_fmac_f32_e32 v2, v43, v38
	v_mul_f32_e32 v1, v43, v39
	v_mul_f32_e32 v39, v44, v41
	v_dual_fmac_f32 v39, v45, v40 :: v_dual_add_f32 v2, 0, v2
	v_mul_f32_e32 v41, v45, v41
	s_delay_alu instid0(VALU_DEP_4) | instskip(NEXT) | instid1(VALU_DEP_3)
	v_fma_f32 v1, v42, v38, -v1
	v_add_f32_e32 v2, v2, v39
	s_delay_alu instid0(VALU_DEP_3) | instskip(SKIP_1) | instid1(VALU_DEP_2)
	v_fma_f32 v38, v44, v40, -v41
	s_wait_loadcnt 0x0
	v_dual_add_f32 v1, 0, v1 :: v_dual_sub_f32 v2, v47, v2
	s_delay_alu instid0(VALU_DEP_1) | instskip(NEXT) | instid1(VALU_DEP_1)
	v_add_f32_e32 v1, v1, v38
	v_sub_f32_e32 v1, v46, v1
	scratch_store_b64 off, v[1:2], off offset:112
	v_cmpx_lt_u32_e32 13, v0
	s_cbranch_execz .LBB16_89
; %bb.88:
	scratch_load_b64 v[1:2], off, off offset:104
	v_mov_b32_e32 v38, 0
	s_delay_alu instid0(VALU_DEP_1)
	v_mov_b32_e32 v39, v38
	scratch_store_b64 off, v[38:39], off offset:104
	s_wait_loadcnt 0x0
	ds_store_b64 v3, v[1:2]
.LBB16_89:
	s_wait_alu 0xfffe
	s_or_b32 exec_lo, exec_lo, s0
	s_wait_storecnt_dscnt 0x0
	s_barrier_signal -1
	s_barrier_wait -1
	global_inv scope:SCOPE_SE
	s_clause 0x2
	scratch_load_b128 v[38:41], off, off offset:112
	scratch_load_b64 v[46:47], off, off offset:128
	scratch_load_b64 v[48:49], off, off offset:104
	v_mov_b32_e32 v1, 0
	ds_load_b128 v[42:45], v1 offset:256
	ds_load_b64 v[50:51], v1 offset:272
	s_mov_b32 s0, exec_lo
	s_wait_loadcnt_dscnt 0x201
	v_mul_f32_e32 v2, v43, v39
	v_dual_mul_f32 v39, v42, v39 :: v_dual_mul_f32 v52, v44, v41
	v_mul_f32_e32 v41, v45, v41
	s_wait_loadcnt_dscnt 0x100
	v_mul_f32_e32 v53, v50, v47
	v_fma_f32 v2, v42, v38, -v2
	s_delay_alu instid0(VALU_DEP_2) | instskip(NEXT) | instid1(VALU_DEP_2)
	v_dual_fmac_f32 v52, v45, v40 :: v_dual_fmac_f32 v53, v51, v46
	v_add_f32_e32 v2, 0, v2
	v_fmac_f32_e32 v39, v43, v38
	v_mul_f32_e32 v38, v51, v47
	v_fma_f32 v40, v44, v40, -v41
	s_delay_alu instid0(VALU_DEP_2) | instskip(NEXT) | instid1(VALU_DEP_2)
	v_fma_f32 v38, v50, v46, -v38
	v_dual_add_f32 v2, v2, v40 :: v_dual_add_f32 v39, 0, v39
	s_delay_alu instid0(VALU_DEP_1) | instskip(SKIP_1) | instid1(VALU_DEP_1)
	v_dual_add_f32 v2, v2, v38 :: v_dual_add_f32 v39, v39, v52
	s_wait_loadcnt 0x0
	v_dual_sub_f32 v38, v48, v2 :: v_dual_add_f32 v39, v39, v53
	s_delay_alu instid0(VALU_DEP_1)
	v_sub_f32_e32 v39, v49, v39
	scratch_store_b64 off, v[38:39], off offset:104
	v_cmpx_lt_u32_e32 12, v0
	s_cbranch_execz .LBB16_91
; %bb.90:
	scratch_load_b64 v[38:39], off, off offset:96
	v_mov_b32_e32 v2, v1
	scratch_store_b64 off, v[1:2], off offset:96
	s_wait_loadcnt 0x0
	ds_store_b64 v3, v[38:39]
.LBB16_91:
	s_wait_alu 0xfffe
	s_or_b32 exec_lo, exec_lo, s0
	s_wait_storecnt_dscnt 0x0
	s_barrier_signal -1
	s_barrier_wait -1
	global_inv scope:SCOPE_SE
	s_clause 0x2
	scratch_load_b128 v[38:41], off, off offset:104
	scratch_load_b128 v[42:45], off, off offset:120
	scratch_load_b64 v[54:55], off, off offset:96
	ds_load_2addr_b64 v[46:49], v1 offset0:31 offset1:32
	ds_load_2addr_b64 v[50:53], v1 offset0:33 offset1:34
	s_mov_b32 s0, exec_lo
	s_wait_loadcnt_dscnt 0x201
	v_mul_f32_e32 v2, v47, v39
	s_wait_loadcnt_dscnt 0x100
	v_dual_mul_f32 v56, v50, v43 :: v_dual_mul_f32 v57, v52, v45
	s_delay_alu instid0(VALU_DEP_2) | instskip(SKIP_2) | instid1(VALU_DEP_4)
	v_fma_f32 v2, v46, v38, -v2
	v_mul_f32_e32 v1, v46, v39
	v_mul_f32_e32 v39, v48, v41
	v_dual_mul_f32 v41, v49, v41 :: v_dual_fmac_f32 v56, v51, v42
	s_delay_alu instid0(VALU_DEP_4) | instskip(NEXT) | instid1(VALU_DEP_4)
	v_add_f32_e32 v2, 0, v2
	v_fmac_f32_e32 v1, v47, v38
	s_delay_alu instid0(VALU_DEP_4) | instskip(NEXT) | instid1(VALU_DEP_4)
	v_dual_mul_f32 v38, v51, v43 :: v_dual_fmac_f32 v39, v49, v40
	v_fma_f32 v40, v48, v40, -v41
	v_fmac_f32_e32 v57, v53, v44
	s_delay_alu instid0(VALU_DEP_3) | instskip(NEXT) | instid1(VALU_DEP_3)
	v_fma_f32 v38, v50, v42, -v38
	v_dual_add_f32 v2, v2, v40 :: v_dual_add_f32 v1, 0, v1
	s_delay_alu instid0(VALU_DEP_1) | instskip(NEXT) | instid1(VALU_DEP_2)
	v_dual_add_f32 v2, v2, v38 :: v_dual_mul_f32 v41, v53, v45
	v_add_f32_e32 v1, v1, v39
	s_delay_alu instid0(VALU_DEP_2) | instskip(NEXT) | instid1(VALU_DEP_1)
	v_fma_f32 v39, v52, v44, -v41
	v_dual_add_f32 v1, v1, v56 :: v_dual_add_f32 v2, v2, v39
	s_wait_loadcnt 0x0
	s_delay_alu instid0(VALU_DEP_1) | instskip(NEXT) | instid1(VALU_DEP_1)
	v_dual_add_f32 v38, v1, v57 :: v_dual_sub_f32 v1, v54, v2
	v_sub_f32_e32 v2, v55, v38
	scratch_store_b64 off, v[1:2], off offset:96
	v_cmpx_lt_u32_e32 11, v0
	s_cbranch_execz .LBB16_93
; %bb.92:
	scratch_load_b64 v[1:2], off, off offset:88
	v_mov_b32_e32 v38, 0
	s_delay_alu instid0(VALU_DEP_1)
	v_mov_b32_e32 v39, v38
	scratch_store_b64 off, v[38:39], off offset:88
	s_wait_loadcnt 0x0
	ds_store_b64 v3, v[1:2]
.LBB16_93:
	s_wait_alu 0xfffe
	s_or_b32 exec_lo, exec_lo, s0
	s_wait_storecnt_dscnt 0x0
	s_barrier_signal -1
	s_barrier_wait -1
	global_inv scope:SCOPE_SE
	s_clause 0x3
	scratch_load_b128 v[38:41], off, off offset:96
	scratch_load_b128 v[42:45], off, off offset:112
	scratch_load_b64 v[54:55], off, off offset:128
	scratch_load_b64 v[56:57], off, off offset:88
	v_mov_b32_e32 v1, 0
	ds_load_b128 v[46:49], v1 offset:240
	ds_load_b128 v[50:53], v1 offset:256
	ds_load_b64 v[58:59], v1 offset:272
	s_mov_b32 s0, exec_lo
	s_wait_loadcnt_dscnt 0x302
	v_mul_f32_e32 v2, v46, v39
	v_dual_mul_f32 v60, v48, v41 :: v_dual_mul_f32 v39, v47, v39
	s_wait_loadcnt_dscnt 0x100
	v_mul_f32_e32 v63, v58, v55
	v_dual_mul_f32 v61, v50, v43 :: v_dual_mul_f32 v62, v52, v45
	v_dual_fmac_f32 v2, v47, v38 :: v_dual_mul_f32 v41, v49, v41
	v_fma_f32 v39, v46, v38, -v39
	v_fmac_f32_e32 v60, v49, v40
	v_mul_f32_e32 v38, v51, v43
	s_delay_alu instid0(VALU_DEP_4) | instskip(SKIP_3) | instid1(VALU_DEP_4)
	v_add_f32_e32 v2, 0, v2
	v_fma_f32 v40, v48, v40, -v41
	v_add_f32_e32 v39, 0, v39
	v_mul_f32_e32 v41, v53, v45
	v_dual_fmac_f32 v61, v51, v42 :: v_dual_add_f32 v2, v2, v60
	v_dual_fmac_f32 v62, v53, v44 :: v_dual_fmac_f32 v63, v59, v54
	s_delay_alu instid0(VALU_DEP_4) | instskip(SKIP_1) | instid1(VALU_DEP_4)
	v_add_f32_e32 v39, v39, v40
	v_fma_f32 v38, v50, v42, -v38
	v_add_f32_e32 v2, v2, v61
	v_fma_f32 v41, v52, v44, -v41
	s_delay_alu instid0(VALU_DEP_3) | instskip(NEXT) | instid1(VALU_DEP_3)
	v_add_f32_e32 v38, v39, v38
	v_add_f32_e32 v2, v2, v62
	s_delay_alu instid0(VALU_DEP_2) | instskip(NEXT) | instid1(VALU_DEP_2)
	v_add_f32_e32 v38, v38, v41
	v_add_f32_e32 v2, v2, v63
	v_mul_f32_e32 v40, v59, v55
	s_delay_alu instid0(VALU_DEP_1) | instskip(SKIP_1) | instid1(VALU_DEP_1)
	v_fma_f32 v39, v58, v54, -v40
	s_wait_loadcnt 0x0
	v_dual_add_f32 v38, v38, v39 :: v_dual_sub_f32 v39, v57, v2
	s_delay_alu instid0(VALU_DEP_1)
	v_sub_f32_e32 v38, v56, v38
	scratch_store_b64 off, v[38:39], off offset:88
	v_cmpx_lt_u32_e32 10, v0
	s_cbranch_execz .LBB16_95
; %bb.94:
	scratch_load_b64 v[38:39], off, off offset:80
	v_mov_b32_e32 v2, v1
	scratch_store_b64 off, v[1:2], off offset:80
	s_wait_loadcnt 0x0
	ds_store_b64 v3, v[38:39]
.LBB16_95:
	s_wait_alu 0xfffe
	s_or_b32 exec_lo, exec_lo, s0
	s_wait_storecnt_dscnt 0x0
	s_barrier_signal -1
	s_barrier_wait -1
	global_inv scope:SCOPE_SE
	s_clause 0x3
	scratch_load_b128 v[38:41], off, off offset:88
	scratch_load_b128 v[42:45], off, off offset:104
	scratch_load_b128 v[46:49], off, off offset:120
	scratch_load_b64 v[62:63], off, off offset:80
	ds_load_2addr_b64 v[50:53], v1 offset0:29 offset1:30
	ds_load_2addr_b64 v[54:57], v1 offset0:31 offset1:32
	;; [unrolled: 1-line block ×3, first 2 shown]
	s_mov_b32 s0, exec_lo
	s_wait_loadcnt_dscnt 0x302
	v_dual_mul_f32 v1, v50, v39 :: v_dual_mul_f32 v2, v52, v41
	v_mul_f32_e32 v39, v51, v39
	s_wait_loadcnt_dscnt 0x201
	v_dual_mul_f32 v41, v53, v41 :: v_dual_mul_f32 v64, v54, v43
	s_delay_alu instid0(VALU_DEP_3) | instskip(NEXT) | instid1(VALU_DEP_3)
	v_dual_mul_f32 v65, v56, v45 :: v_dual_fmac_f32 v2, v53, v40
	v_fma_f32 v39, v50, v38, -v39
	v_fmac_f32_e32 v1, v51, v38
	v_mul_f32_e32 v38, v55, v43
	v_fma_f32 v40, v52, v40, -v41
	s_delay_alu instid0(VALU_DEP_4)
	v_dual_fmac_f32 v64, v55, v42 :: v_dual_add_f32 v39, 0, v39
	s_wait_loadcnt_dscnt 0x100
	v_dual_mul_f32 v66, v58, v47 :: v_dual_mul_f32 v67, v60, v49
	v_fma_f32 v38, v54, v42, -v38
	v_fmac_f32_e32 v65, v57, v44
	v_add_f32_e32 v39, v39, v40
	s_delay_alu instid0(VALU_DEP_4) | instskip(NEXT) | instid1(VALU_DEP_2)
	v_dual_mul_f32 v41, v57, v45 :: v_dual_fmac_f32 v66, v59, v46
	v_dual_fmac_f32 v67, v61, v48 :: v_dual_add_f32 v38, v39, v38
	s_delay_alu instid0(VALU_DEP_2) | instskip(NEXT) | instid1(VALU_DEP_1)
	v_fma_f32 v40, v56, v44, -v41
	v_dual_mul_f32 v39, v61, v49 :: v_dual_add_f32 v38, v38, v40
	v_add_f32_e32 v1, 0, v1
	s_delay_alu instid0(VALU_DEP_2) | instskip(NEXT) | instid1(VALU_DEP_2)
	v_fma_f32 v39, v60, v48, -v39
	v_dual_add_f32 v1, v1, v2 :: v_dual_mul_f32 v2, v59, v47
	s_delay_alu instid0(VALU_DEP_1) | instskip(NEXT) | instid1(VALU_DEP_1)
	v_fma_f32 v2, v58, v46, -v2
	v_add_f32_e32 v2, v38, v2
	s_delay_alu instid0(VALU_DEP_1) | instskip(NEXT) | instid1(VALU_DEP_1)
	v_dual_add_f32 v2, v2, v39 :: v_dual_add_f32 v1, v1, v64
	v_add_f32_e32 v1, v1, v65
	s_delay_alu instid0(VALU_DEP_1) | instskip(SKIP_1) | instid1(VALU_DEP_1)
	v_add_f32_e32 v1, v1, v66
	s_wait_loadcnt 0x0
	v_dual_add_f32 v38, v1, v67 :: v_dual_sub_f32 v1, v62, v2
	s_delay_alu instid0(VALU_DEP_1)
	v_sub_f32_e32 v2, v63, v38
	scratch_store_b64 off, v[1:2], off offset:80
	v_cmpx_lt_u32_e32 9, v0
	s_cbranch_execz .LBB16_97
; %bb.96:
	scratch_load_b64 v[1:2], off, off offset:72
	v_mov_b32_e32 v38, 0
	s_delay_alu instid0(VALU_DEP_1)
	v_mov_b32_e32 v39, v38
	scratch_store_b64 off, v[38:39], off offset:72
	s_wait_loadcnt 0x0
	ds_store_b64 v3, v[1:2]
.LBB16_97:
	s_wait_alu 0xfffe
	s_or_b32 exec_lo, exec_lo, s0
	s_wait_storecnt_dscnt 0x0
	s_barrier_signal -1
	s_barrier_wait -1
	global_inv scope:SCOPE_SE
	s_clause 0x4
	scratch_load_b128 v[38:41], off, off offset:80
	scratch_load_b128 v[42:45], off, off offset:96
	;; [unrolled: 1-line block ×3, first 2 shown]
	scratch_load_b64 v[62:63], off, off offset:128
	scratch_load_b64 v[64:65], off, off offset:72
	v_mov_b32_e32 v1, 0
	ds_load_b128 v[50:53], v1 offset:224
	ds_load_b128 v[54:57], v1 offset:240
	;; [unrolled: 1-line block ×3, first 2 shown]
	ds_load_b64 v[66:67], v1 offset:272
	s_mov_b32 s0, exec_lo
	s_wait_loadcnt_dscnt 0x403
	v_mul_f32_e32 v2, v50, v39
	s_wait_loadcnt_dscnt 0x302
	v_dual_mul_f32 v68, v52, v41 :: v_dual_mul_f32 v69, v54, v43
	v_dual_mul_f32 v70, v56, v45 :: v_dual_mul_f32 v39, v51, v39
	s_wait_loadcnt_dscnt 0x100
	v_dual_mul_f32 v73, v66, v63 :: v_dual_fmac_f32 v2, v51, v38
	v_mul_f32_e32 v41, v53, v41
	v_dual_mul_f32 v71, v58, v47 :: v_dual_mul_f32 v72, v60, v49
	v_fma_f32 v39, v50, v38, -v39
	v_fmac_f32_e32 v68, v53, v40
	v_add_f32_e32 v2, 0, v2
	v_mul_f32_e32 v38, v55, v43
	v_fma_f32 v40, v52, v40, -v41
	v_add_f32_e32 v39, 0, v39
	v_mul_f32_e32 v41, v57, v45
	v_dual_fmac_f32 v69, v55, v42 :: v_dual_add_f32 v2, v2, v68
	v_dual_fmac_f32 v70, v57, v44 :: v_dual_fmac_f32 v71, v59, v46
	s_delay_alu instid0(VALU_DEP_4) | instskip(SKIP_1) | instid1(VALU_DEP_4)
	v_add_f32_e32 v39, v39, v40
	v_fma_f32 v38, v54, v42, -v38
	v_add_f32_e32 v2, v2, v69
	v_mul_f32_e32 v40, v59, v47
	v_fma_f32 v41, v56, v44, -v41
	v_dual_fmac_f32 v72, v61, v48 :: v_dual_fmac_f32 v73, v67, v62
	s_delay_alu instid0(VALU_DEP_4) | instskip(SKIP_2) | instid1(VALU_DEP_3)
	v_add_f32_e32 v2, v2, v70
	v_dual_add_f32 v38, v39, v38 :: v_dual_mul_f32 v39, v61, v49
	v_fma_f32 v40, v58, v46, -v40
	v_add_f32_e32 v2, v2, v71
	s_delay_alu instid0(VALU_DEP_3) | instskip(NEXT) | instid1(VALU_DEP_4)
	v_dual_add_f32 v38, v38, v41 :: v_dual_mul_f32 v41, v67, v63
	v_fma_f32 v39, v60, v48, -v39
	s_delay_alu instid0(VALU_DEP_3) | instskip(NEXT) | instid1(VALU_DEP_1)
	v_add_f32_e32 v2, v2, v72
	v_add_f32_e32 v2, v2, v73
	s_delay_alu instid0(VALU_DEP_4) | instskip(SKIP_2) | instid1(VALU_DEP_2)
	v_add_f32_e32 v38, v38, v40
	v_fma_f32 v40, v66, v62, -v41
	s_wait_loadcnt 0x0
	v_dual_add_f32 v38, v38, v39 :: v_dual_sub_f32 v39, v65, v2
	s_delay_alu instid0(VALU_DEP_1) | instskip(NEXT) | instid1(VALU_DEP_1)
	v_add_f32_e32 v38, v38, v40
	v_sub_f32_e32 v38, v64, v38
	scratch_store_b64 off, v[38:39], off offset:72
	v_cmpx_lt_u32_e32 8, v0
	s_cbranch_execz .LBB16_99
; %bb.98:
	scratch_load_b64 v[38:39], off, off offset:64
	v_mov_b32_e32 v2, v1
	scratch_store_b64 off, v[1:2], off offset:64
	s_wait_loadcnt 0x0
	ds_store_b64 v3, v[38:39]
.LBB16_99:
	s_wait_alu 0xfffe
	s_or_b32 exec_lo, exec_lo, s0
	s_wait_storecnt_dscnt 0x0
	s_barrier_signal -1
	s_barrier_wait -1
	global_inv scope:SCOPE_SE
	s_clause 0x4
	scratch_load_b128 v[38:41], off, off offset:72
	scratch_load_b128 v[42:45], off, off offset:88
	;; [unrolled: 1-line block ×4, first 2 shown]
	scratch_load_b64 v[70:71], off, off offset:64
	ds_load_2addr_b64 v[54:57], v1 offset0:27 offset1:28
	ds_load_2addr_b64 v[58:61], v1 offset0:29 offset1:30
	;; [unrolled: 1-line block ×4, first 2 shown]
	s_mov_b32 s0, exec_lo
	s_wait_loadcnt_dscnt 0x403
	v_dual_mul_f32 v1, v54, v39 :: v_dual_mul_f32 v2, v56, v41
	v_mul_f32_e32 v39, v55, v39
	s_wait_loadcnt_dscnt 0x302
	v_dual_mul_f32 v41, v57, v41 :: v_dual_mul_f32 v72, v58, v43
	s_delay_alu instid0(VALU_DEP_3) | instskip(NEXT) | instid1(VALU_DEP_3)
	v_dual_mul_f32 v73, v60, v45 :: v_dual_fmac_f32 v2, v57, v40
	v_fma_f32 v39, v54, v38, -v39
	v_fmac_f32_e32 v1, v55, v38
	v_mul_f32_e32 v38, v59, v43
	v_fma_f32 v40, v56, v40, -v41
	s_delay_alu instid0(VALU_DEP_4)
	v_dual_fmac_f32 v72, v59, v42 :: v_dual_add_f32 v39, 0, v39
	s_wait_loadcnt_dscnt 0x201
	v_dual_mul_f32 v74, v62, v47 :: v_dual_mul_f32 v75, v64, v49
	v_fma_f32 v38, v58, v42, -v38
	s_wait_loadcnt_dscnt 0x100
	v_dual_mul_f32 v76, v66, v51 :: v_dual_mul_f32 v77, v68, v53
	v_add_f32_e32 v39, v39, v40
	v_mul_f32_e32 v41, v61, v45
	v_dual_fmac_f32 v73, v61, v44 :: v_dual_fmac_f32 v74, v63, v46
	s_delay_alu instid0(VALU_DEP_3) | instskip(NEXT) | instid1(VALU_DEP_3)
	v_dual_fmac_f32 v77, v69, v52 :: v_dual_add_f32 v38, v39, v38
	v_fma_f32 v40, v60, v44, -v41
	v_fmac_f32_e32 v76, v67, v50
	s_delay_alu instid0(VALU_DEP_2) | instskip(NEXT) | instid1(VALU_DEP_1)
	v_dual_add_f32 v38, v38, v40 :: v_dual_add_f32 v1, 0, v1
	v_dual_mul_f32 v40, v67, v51 :: v_dual_add_f32 v1, v1, v2
	v_mul_f32_e32 v2, v63, v47
	s_delay_alu instid0(VALU_DEP_2) | instskip(SKIP_1) | instid1(VALU_DEP_4)
	v_fma_f32 v40, v66, v50, -v40
	v_mul_f32_e32 v39, v65, v49
	v_add_f32_e32 v1, v1, v72
	s_delay_alu instid0(VALU_DEP_4) | instskip(NEXT) | instid1(VALU_DEP_3)
	v_fma_f32 v2, v62, v46, -v2
	v_fma_f32 v39, v64, v48, -v39
	s_delay_alu instid0(VALU_DEP_2) | instskip(SKIP_1) | instid1(VALU_DEP_2)
	v_dual_add_f32 v2, v38, v2 :: v_dual_add_f32 v1, v1, v73
	v_mul_f32_e32 v38, v69, v53
	v_dual_add_f32 v2, v2, v39 :: v_dual_add_f32 v1, v1, v74
	s_delay_alu instid0(VALU_DEP_2) | instskip(NEXT) | instid1(VALU_DEP_2)
	v_fma_f32 v38, v68, v52, -v38
	v_add_f32_e32 v2, v2, v40
	s_delay_alu instid0(VALU_DEP_1) | instskip(NEXT) | instid1(VALU_DEP_1)
	v_dual_fmac_f32 v75, v65, v48 :: v_dual_add_f32 v2, v2, v38
	v_add_f32_e32 v1, v1, v75
	s_delay_alu instid0(VALU_DEP_1) | instskip(SKIP_1) | instid1(VALU_DEP_1)
	v_add_f32_e32 v1, v1, v76
	s_wait_loadcnt 0x0
	v_dual_add_f32 v38, v1, v77 :: v_dual_sub_f32 v1, v70, v2
	s_delay_alu instid0(VALU_DEP_1)
	v_sub_f32_e32 v2, v71, v38
	scratch_store_b64 off, v[1:2], off offset:64
	v_cmpx_lt_u32_e32 7, v0
	s_cbranch_execz .LBB16_101
; %bb.100:
	scratch_load_b64 v[1:2], off, off offset:56
	v_mov_b32_e32 v38, 0
	s_delay_alu instid0(VALU_DEP_1)
	v_mov_b32_e32 v39, v38
	scratch_store_b64 off, v[38:39], off offset:56
	s_wait_loadcnt 0x0
	ds_store_b64 v3, v[1:2]
.LBB16_101:
	s_wait_alu 0xfffe
	s_or_b32 exec_lo, exec_lo, s0
	s_wait_storecnt_dscnt 0x0
	s_barrier_signal -1
	s_barrier_wait -1
	global_inv scope:SCOPE_SE
	s_clause 0x5
	scratch_load_b128 v[38:41], off, off offset:64
	scratch_load_b128 v[42:45], off, off offset:80
	;; [unrolled: 1-line block ×4, first 2 shown]
	scratch_load_b64 v[70:71], off, off offset:128
	scratch_load_b64 v[72:73], off, off offset:56
	v_mov_b32_e32 v1, 0
	ds_load_b128 v[54:57], v1 offset:208
	ds_load_b128 v[58:61], v1 offset:224
	;; [unrolled: 1-line block ×4, first 2 shown]
	ds_load_b64 v[74:75], v1 offset:272
	s_mov_b32 s0, exec_lo
	s_wait_loadcnt_dscnt 0x504
	v_mul_f32_e32 v2, v54, v39
	s_wait_loadcnt_dscnt 0x302
	v_dual_mul_f32 v39, v55, v39 :: v_dual_mul_f32 v80, v64, v49
	v_dual_mul_f32 v76, v56, v41 :: v_dual_mul_f32 v77, v58, v43
	s_wait_loadcnt_dscnt 0x100
	v_dual_mul_f32 v83, v74, v71 :: v_dual_fmac_f32 v2, v55, v38
	v_mul_f32_e32 v41, v57, v41
	v_fma_f32 v39, v54, v38, -v39
	v_mul_f32_e32 v38, v59, v43
	v_fmac_f32_e32 v76, v57, v40
	v_add_f32_e32 v2, 0, v2
	v_fma_f32 v40, v56, v40, -v41
	v_add_f32_e32 v39, 0, v39
	v_mul_f32_e32 v41, v61, v45
	s_delay_alu instid0(VALU_DEP_4) | instskip(SKIP_1) | instid1(VALU_DEP_4)
	v_dual_fmac_f32 v77, v59, v42 :: v_dual_add_f32 v2, v2, v76
	v_fma_f32 v38, v58, v42, -v38
	v_dual_add_f32 v39, v39, v40 :: v_dual_mul_f32 v78, v60, v45
	v_mul_f32_e32 v79, v62, v47
	v_mul_f32_e32 v40, v63, v47
	v_fma_f32 v41, v60, v44, -v41
	v_add_f32_e32 v2, v2, v77
	v_add_f32_e32 v38, v39, v38
	v_dual_fmac_f32 v78, v61, v44 :: v_dual_fmac_f32 v79, v63, v46
	v_mul_f32_e32 v39, v65, v49
	v_fma_f32 v40, v62, v46, -v40
	s_delay_alu instid0(VALU_DEP_4) | instskip(NEXT) | instid1(VALU_DEP_4)
	v_dual_add_f32 v38, v38, v41 :: v_dual_mul_f32 v41, v67, v51
	v_add_f32_e32 v2, v2, v78
	s_delay_alu instid0(VALU_DEP_4) | instskip(SKIP_1) | instid1(VALU_DEP_4)
	v_fma_f32 v39, v64, v48, -v39
	v_dual_mul_f32 v81, v66, v51 :: v_dual_mul_f32 v82, v68, v53
	v_dual_add_f32 v38, v38, v40 :: v_dual_fmac_f32 v83, v75, v70
	s_delay_alu instid0(VALU_DEP_2) | instskip(SKIP_1) | instid1(VALU_DEP_3)
	v_dual_fmac_f32 v80, v65, v48 :: v_dual_fmac_f32 v81, v67, v50
	v_mul_f32_e32 v40, v69, v53
	v_add_f32_e32 v38, v38, v39
	v_mul_f32_e32 v39, v75, v71
	v_add_f32_e32 v2, v2, v79
	v_fma_f32 v41, v66, v50, -v41
	v_fmac_f32_e32 v82, v69, v52
	v_fma_f32 v40, v68, v52, -v40
	v_fma_f32 v39, v74, v70, -v39
	v_add_f32_e32 v2, v2, v80
	v_add_f32_e32 v38, v38, v41
	s_delay_alu instid0(VALU_DEP_2) | instskip(NEXT) | instid1(VALU_DEP_2)
	v_add_f32_e32 v2, v2, v81
	v_add_f32_e32 v38, v38, v40
	s_delay_alu instid0(VALU_DEP_2) | instskip(NEXT) | instid1(VALU_DEP_2)
	v_add_f32_e32 v2, v2, v82
	v_add_f32_e32 v38, v38, v39
	s_delay_alu instid0(VALU_DEP_2) | instskip(SKIP_1) | instid1(VALU_DEP_2)
	v_add_f32_e32 v2, v2, v83
	s_wait_loadcnt 0x0
	v_sub_f32_e32 v38, v72, v38
	s_delay_alu instid0(VALU_DEP_2)
	v_sub_f32_e32 v39, v73, v2
	scratch_store_b64 off, v[38:39], off offset:56
	v_cmpx_lt_u32_e32 6, v0
	s_cbranch_execz .LBB16_103
; %bb.102:
	scratch_load_b64 v[38:39], off, off offset:48
	v_mov_b32_e32 v2, v1
	scratch_store_b64 off, v[1:2], off offset:48
	s_wait_loadcnt 0x0
	ds_store_b64 v3, v[38:39]
.LBB16_103:
	s_wait_alu 0xfffe
	s_or_b32 exec_lo, exec_lo, s0
	s_wait_storecnt_dscnt 0x0
	s_barrier_signal -1
	s_barrier_wait -1
	global_inv scope:SCOPE_SE
	s_clause 0x5
	scratch_load_b128 v[38:41], off, off offset:56
	scratch_load_b128 v[42:45], off, off offset:72
	;; [unrolled: 1-line block ×5, first 2 shown]
	scratch_load_b64 v[78:79], off, off offset:48
	ds_load_2addr_b64 v[58:61], v1 offset0:25 offset1:26
	ds_load_2addr_b64 v[62:65], v1 offset0:27 offset1:28
	;; [unrolled: 1-line block ×5, first 2 shown]
	s_mov_b32 s0, exec_lo
	s_wait_loadcnt_dscnt 0x504
	v_dual_mul_f32 v1, v58, v39 :: v_dual_mul_f32 v2, v60, v41
	v_mul_f32_e32 v39, v59, v39
	s_wait_loadcnt_dscnt 0x403
	v_dual_mul_f32 v41, v61, v41 :: v_dual_mul_f32 v80, v62, v43
	s_delay_alu instid0(VALU_DEP_3) | instskip(NEXT) | instid1(VALU_DEP_3)
	v_dual_mul_f32 v81, v64, v45 :: v_dual_fmac_f32 v2, v61, v40
	v_fma_f32 v39, v58, v38, -v39
	v_fmac_f32_e32 v1, v59, v38
	v_mul_f32_e32 v38, v63, v43
	v_fma_f32 v40, v60, v40, -v41
	s_delay_alu instid0(VALU_DEP_4)
	v_dual_fmac_f32 v80, v63, v42 :: v_dual_add_f32 v39, 0, v39
	s_wait_loadcnt_dscnt 0x302
	v_dual_mul_f32 v82, v66, v47 :: v_dual_mul_f32 v83, v68, v49
	v_fma_f32 v38, v62, v42, -v38
	s_wait_loadcnt_dscnt 0x201
	v_dual_mul_f32 v84, v70, v51 :: v_dual_mul_f32 v85, v72, v53
	v_add_f32_e32 v39, v39, v40
	v_mul_f32_e32 v41, v65, v45
	v_dual_fmac_f32 v81, v65, v44 :: v_dual_fmac_f32 v82, v67, v46
	s_wait_loadcnt_dscnt 0x100
	v_dual_mul_f32 v86, v74, v55 :: v_dual_mul_f32 v87, v76, v57
	v_add_f32_e32 v38, v39, v38
	v_fma_f32 v40, v64, v44, -v41
	s_delay_alu instid0(VALU_DEP_3) | instskip(NEXT) | instid1(VALU_DEP_4)
	v_dual_fmac_f32 v83, v69, v48 :: v_dual_fmac_f32 v86, v75, v54
	v_dual_fmac_f32 v87, v77, v56 :: v_dual_fmac_f32 v84, v71, v50
	s_delay_alu instid0(VALU_DEP_3) | instskip(NEXT) | instid1(VALU_DEP_1)
	v_dual_add_f32 v38, v38, v40 :: v_dual_add_f32 v1, 0, v1
	v_dual_mul_f32 v40, v71, v51 :: v_dual_add_f32 v1, v1, v2
	v_mul_f32_e32 v2, v67, v47
	s_delay_alu instid0(VALU_DEP_2) | instskip(SKIP_1) | instid1(VALU_DEP_4)
	v_fma_f32 v40, v70, v50, -v40
	v_mul_f32_e32 v39, v69, v49
	v_add_f32_e32 v1, v1, v80
	s_delay_alu instid0(VALU_DEP_4) | instskip(NEXT) | instid1(VALU_DEP_3)
	v_fma_f32 v2, v66, v46, -v2
	v_fma_f32 v39, v68, v48, -v39
	s_delay_alu instid0(VALU_DEP_2) | instskip(SKIP_1) | instid1(VALU_DEP_2)
	v_dual_add_f32 v2, v38, v2 :: v_dual_add_f32 v1, v1, v81
	v_mul_f32_e32 v38, v73, v53
	v_add_f32_e32 v2, v2, v39
	v_mul_f32_e32 v39, v75, v55
	s_delay_alu instid0(VALU_DEP_3) | instskip(NEXT) | instid1(VALU_DEP_3)
	v_fma_f32 v38, v72, v52, -v38
	v_add_f32_e32 v2, v2, v40
	v_fmac_f32_e32 v85, v73, v52
	v_mul_f32_e32 v40, v77, v57
	v_fma_f32 v39, v74, v54, -v39
	s_delay_alu instid0(VALU_DEP_4) | instskip(SKIP_1) | instid1(VALU_DEP_4)
	v_add_f32_e32 v2, v2, v38
	v_add_f32_e32 v1, v1, v82
	v_fma_f32 v38, v76, v56, -v40
	s_delay_alu instid0(VALU_DEP_3) | instskip(NEXT) | instid1(VALU_DEP_1)
	v_add_f32_e32 v2, v2, v39
	v_dual_add_f32 v1, v1, v83 :: v_dual_add_f32 v2, v2, v38
	s_delay_alu instid0(VALU_DEP_1) | instskip(NEXT) | instid1(VALU_DEP_1)
	v_add_f32_e32 v1, v1, v84
	v_add_f32_e32 v1, v1, v85
	s_delay_alu instid0(VALU_DEP_1) | instskip(SKIP_1) | instid1(VALU_DEP_1)
	v_add_f32_e32 v1, v1, v86
	s_wait_loadcnt 0x0
	v_dual_add_f32 v38, v1, v87 :: v_dual_sub_f32 v1, v78, v2
	s_delay_alu instid0(VALU_DEP_1)
	v_sub_f32_e32 v2, v79, v38
	scratch_store_b64 off, v[1:2], off offset:48
	v_cmpx_lt_u32_e32 5, v0
	s_cbranch_execz .LBB16_105
; %bb.104:
	scratch_load_b64 v[1:2], off, off offset:40
	v_mov_b32_e32 v38, 0
	s_delay_alu instid0(VALU_DEP_1)
	v_mov_b32_e32 v39, v38
	scratch_store_b64 off, v[38:39], off offset:40
	s_wait_loadcnt 0x0
	ds_store_b64 v3, v[1:2]
.LBB16_105:
	s_wait_alu 0xfffe
	s_or_b32 exec_lo, exec_lo, s0
	s_wait_storecnt_dscnt 0x0
	s_barrier_signal -1
	s_barrier_wait -1
	global_inv scope:SCOPE_SE
	s_clause 0x6
	scratch_load_b128 v[38:41], off, off offset:48
	scratch_load_b128 v[42:45], off, off offset:64
	;; [unrolled: 1-line block ×5, first 2 shown]
	scratch_load_b64 v[78:79], off, off offset:128
	scratch_load_b64 v[80:81], off, off offset:40
	v_mov_b32_e32 v1, 0
	ds_load_b128 v[58:61], v1 offset:192
	ds_load_b128 v[62:65], v1 offset:208
	;; [unrolled: 1-line block ×5, first 2 shown]
	ds_load_b64 v[82:83], v1 offset:272
	s_mov_b32 s0, exec_lo
	s_wait_loadcnt_dscnt 0x605
	v_mul_f32_e32 v2, v58, v39
	v_dual_mul_f32 v39, v59, v39 :: v_dual_mul_f32 v84, v60, v41
	s_wait_loadcnt_dscnt 0x302
	v_dual_mul_f32 v85, v62, v43 :: v_dual_mul_f32 v90, v72, v53
	s_wait_loadcnt_dscnt 0x100
	v_dual_mul_f32 v93, v82, v79 :: v_dual_fmac_f32 v2, v59, v38
	v_mul_f32_e32 v41, v61, v41
	v_fma_f32 v39, v58, v38, -v39
	v_mul_f32_e32 v38, v63, v43
	v_fmac_f32_e32 v84, v61, v40
	v_add_f32_e32 v2, 0, v2
	v_fma_f32 v40, v60, v40, -v41
	v_add_f32_e32 v39, 0, v39
	v_mul_f32_e32 v41, v65, v45
	s_delay_alu instid0(VALU_DEP_4) | instskip(SKIP_1) | instid1(VALU_DEP_4)
	v_dual_fmac_f32 v85, v63, v42 :: v_dual_add_f32 v2, v2, v84
	v_fma_f32 v38, v62, v42, -v38
	v_dual_add_f32 v39, v39, v40 :: v_dual_mul_f32 v86, v64, v45
	v_mul_f32_e32 v87, v66, v47
	v_mul_f32_e32 v40, v67, v47
	v_fma_f32 v41, v64, v44, -v41
	v_add_f32_e32 v2, v2, v85
	v_add_f32_e32 v38, v39, v38
	v_dual_fmac_f32 v86, v65, v44 :: v_dual_fmac_f32 v87, v67, v46
	v_mul_f32_e32 v39, v69, v49
	v_fma_f32 v40, v66, v46, -v40
	s_delay_alu instid0(VALU_DEP_4) | instskip(SKIP_4) | instid1(VALU_DEP_3)
	v_dual_add_f32 v38, v38, v41 :: v_dual_mul_f32 v41, v71, v51
	v_dual_mul_f32 v88, v68, v49 :: v_dual_mul_f32 v89, v70, v51
	v_dual_mul_f32 v91, v74, v55 :: v_dual_mul_f32 v92, v76, v57
	v_add_f32_e32 v2, v2, v86
	v_fma_f32 v39, v68, v48, -v39
	v_dual_add_f32 v38, v38, v40 :: v_dual_fmac_f32 v91, v75, v54
	v_dual_fmac_f32 v88, v69, v48 :: v_dual_fmac_f32 v89, v71, v50
	v_mul_f32_e32 v40, v73, v53
	s_delay_alu instid0(VALU_DEP_3)
	v_add_f32_e32 v38, v38, v39
	v_mul_f32_e32 v39, v75, v55
	v_dual_add_f32 v2, v2, v87 :: v_dual_fmac_f32 v93, v83, v78
	v_fma_f32 v41, v70, v50, -v41
	v_fmac_f32_e32 v90, v73, v52
	v_fma_f32 v40, v72, v52, -v40
	s_delay_alu instid0(VALU_DEP_4)
	v_add_f32_e32 v2, v2, v88
	v_fma_f32 v39, v74, v54, -v39
	v_add_f32_e32 v38, v38, v41
	v_mul_f32_e32 v41, v77, v57
	v_fmac_f32_e32 v92, v77, v56
	v_add_f32_e32 v2, v2, v89
	s_delay_alu instid0(VALU_DEP_4) | instskip(SKIP_2) | instid1(VALU_DEP_4)
	v_add_f32_e32 v38, v38, v40
	v_mul_f32_e32 v40, v83, v79
	v_fma_f32 v41, v76, v56, -v41
	v_add_f32_e32 v2, v2, v90
	s_delay_alu instid0(VALU_DEP_4) | instskip(NEXT) | instid1(VALU_DEP_4)
	v_add_f32_e32 v38, v38, v39
	v_fma_f32 v39, v82, v78, -v40
	s_delay_alu instid0(VALU_DEP_3) | instskip(NEXT) | instid1(VALU_DEP_3)
	v_add_f32_e32 v2, v2, v91
	v_add_f32_e32 v38, v38, v41
	s_delay_alu instid0(VALU_DEP_2) | instskip(NEXT) | instid1(VALU_DEP_2)
	v_add_f32_e32 v2, v2, v92
	v_add_f32_e32 v38, v38, v39
	s_delay_alu instid0(VALU_DEP_2) | instskip(SKIP_1) | instid1(VALU_DEP_2)
	v_add_f32_e32 v2, v2, v93
	s_wait_loadcnt 0x0
	v_sub_f32_e32 v38, v80, v38
	s_delay_alu instid0(VALU_DEP_2)
	v_sub_f32_e32 v39, v81, v2
	scratch_store_b64 off, v[38:39], off offset:40
	v_cmpx_lt_u32_e32 4, v0
	s_cbranch_execz .LBB16_107
; %bb.106:
	scratch_load_b64 v[38:39], off, off offset:32
	v_mov_b32_e32 v2, v1
	scratch_store_b64 off, v[1:2], off offset:32
	s_wait_loadcnt 0x0
	ds_store_b64 v3, v[38:39]
.LBB16_107:
	s_wait_alu 0xfffe
	s_or_b32 exec_lo, exec_lo, s0
	s_wait_storecnt_dscnt 0x0
	s_barrier_signal -1
	s_barrier_wait -1
	global_inv scope:SCOPE_SE
	s_clause 0x6
	scratch_load_b128 v[38:41], off, off offset:40
	scratch_load_b128 v[42:45], off, off offset:56
	;; [unrolled: 1-line block ×6, first 2 shown]
	scratch_load_b64 v[86:87], off, off offset:32
	ds_load_2addr_b64 v[62:65], v1 offset0:23 offset1:24
	ds_load_2addr_b64 v[66:69], v1 offset0:25 offset1:26
	;; [unrolled: 1-line block ×6, first 2 shown]
	s_mov_b32 s0, exec_lo
	s_wait_loadcnt_dscnt 0x605
	v_dual_mul_f32 v1, v62, v39 :: v_dual_mul_f32 v2, v64, v41
	v_mul_f32_e32 v39, v63, v39
	s_wait_loadcnt_dscnt 0x504
	v_dual_mul_f32 v41, v65, v41 :: v_dual_mul_f32 v88, v66, v43
	s_delay_alu instid0(VALU_DEP_3) | instskip(NEXT) | instid1(VALU_DEP_3)
	v_dual_mul_f32 v89, v68, v45 :: v_dual_fmac_f32 v2, v65, v40
	v_fma_f32 v39, v62, v38, -v39
	v_fmac_f32_e32 v1, v63, v38
	v_mul_f32_e32 v38, v67, v43
	v_fma_f32 v40, v64, v40, -v41
	s_delay_alu instid0(VALU_DEP_4)
	v_dual_fmac_f32 v88, v67, v42 :: v_dual_add_f32 v39, 0, v39
	s_wait_loadcnt_dscnt 0x403
	v_dual_mul_f32 v90, v70, v47 :: v_dual_mul_f32 v91, v72, v49
	v_fma_f32 v38, v66, v42, -v38
	s_wait_loadcnt_dscnt 0x302
	v_dual_mul_f32 v92, v74, v51 :: v_dual_mul_f32 v93, v76, v53
	v_add_f32_e32 v39, v39, v40
	v_mul_f32_e32 v41, v69, v45
	v_dual_fmac_f32 v89, v69, v44 :: v_dual_fmac_f32 v90, v71, v46
	s_wait_loadcnt_dscnt 0x201
	v_dual_mul_f32 v94, v78, v55 :: v_dual_mul_f32 v95, v80, v57
	v_add_f32_e32 v38, v39, v38
	v_fma_f32 v40, v68, v44, -v41
	s_delay_alu instid0(VALU_DEP_3) | instskip(SKIP_2) | instid1(VALU_DEP_3)
	v_dual_fmac_f32 v91, v73, v48 :: v_dual_fmac_f32 v94, v79, v54
	s_wait_loadcnt_dscnt 0x100
	v_dual_mul_f32 v96, v82, v59 :: v_dual_mul_f32 v97, v84, v61
	v_dual_add_f32 v38, v38, v40 :: v_dual_add_f32 v1, 0, v1
	v_mul_f32_e32 v40, v75, v51
	s_delay_alu instid0(VALU_DEP_3) | instskip(NEXT) | instid1(VALU_DEP_4)
	v_dual_fmac_f32 v92, v75, v50 :: v_dual_fmac_f32 v97, v85, v60
	v_fmac_f32_e32 v96, v83, v58
	s_delay_alu instid0(VALU_DEP_4) | instskip(NEXT) | instid1(VALU_DEP_4)
	v_dual_add_f32 v1, v1, v2 :: v_dual_mul_f32 v2, v71, v47
	v_fma_f32 v40, v74, v50, -v40
	v_mul_f32_e32 v39, v73, v49
	s_delay_alu instid0(VALU_DEP_3) | instskip(NEXT) | instid1(VALU_DEP_4)
	v_add_f32_e32 v1, v1, v88
	v_fma_f32 v2, v70, v46, -v2
	s_delay_alu instid0(VALU_DEP_3) | instskip(NEXT) | instid1(VALU_DEP_2)
	v_fma_f32 v39, v72, v48, -v39
	v_dual_add_f32 v2, v38, v2 :: v_dual_add_f32 v1, v1, v89
	v_mul_f32_e32 v38, v77, v53
	s_delay_alu instid0(VALU_DEP_2) | instskip(SKIP_1) | instid1(VALU_DEP_3)
	v_dual_add_f32 v2, v2, v39 :: v_dual_add_f32 v1, v1, v90
	v_mul_f32_e32 v39, v79, v55
	v_fma_f32 v38, v76, v52, -v38
	s_delay_alu instid0(VALU_DEP_3) | instskip(SKIP_3) | instid1(VALU_DEP_4)
	v_add_f32_e32 v2, v2, v40
	v_fmac_f32_e32 v93, v77, v52
	v_mul_f32_e32 v40, v81, v57
	v_fma_f32 v39, v78, v54, -v39
	v_add_f32_e32 v2, v2, v38
	v_mul_f32_e32 v38, v83, v59
	v_add_f32_e32 v1, v1, v91
	v_fma_f32 v40, v80, v56, -v40
	s_delay_alu instid0(VALU_DEP_4) | instskip(NEXT) | instid1(VALU_DEP_3)
	v_dual_add_f32 v2, v2, v39 :: v_dual_mul_f32 v39, v85, v61
	v_add_f32_e32 v1, v1, v92
	v_fma_f32 v38, v82, v58, -v38
	s_delay_alu instid0(VALU_DEP_3) | instskip(SKIP_1) | instid1(VALU_DEP_4)
	v_add_f32_e32 v2, v2, v40
	v_fmac_f32_e32 v95, v81, v56
	v_add_f32_e32 v1, v1, v93
	v_fma_f32 v39, v84, v60, -v39
	s_delay_alu instid0(VALU_DEP_4) | instskip(NEXT) | instid1(VALU_DEP_1)
	v_add_f32_e32 v2, v2, v38
	v_dual_add_f32 v1, v1, v94 :: v_dual_add_f32 v2, v2, v39
	s_delay_alu instid0(VALU_DEP_1) | instskip(NEXT) | instid1(VALU_DEP_1)
	v_add_f32_e32 v1, v1, v95
	v_add_f32_e32 v1, v1, v96
	s_wait_loadcnt 0x0
	s_delay_alu instid0(VALU_DEP_1) | instskip(NEXT) | instid1(VALU_DEP_1)
	v_dual_add_f32 v38, v1, v97 :: v_dual_sub_f32 v1, v86, v2
	v_sub_f32_e32 v2, v87, v38
	scratch_store_b64 off, v[1:2], off offset:32
	v_cmpx_lt_u32_e32 3, v0
	s_cbranch_execz .LBB16_109
; %bb.108:
	scratch_load_b64 v[1:2], off, off offset:24
	v_mov_b32_e32 v38, 0
	s_delay_alu instid0(VALU_DEP_1)
	v_mov_b32_e32 v39, v38
	scratch_store_b64 off, v[38:39], off offset:24
	s_wait_loadcnt 0x0
	ds_store_b64 v3, v[1:2]
.LBB16_109:
	s_wait_alu 0xfffe
	s_or_b32 exec_lo, exec_lo, s0
	s_wait_storecnt_dscnt 0x0
	s_barrier_signal -1
	s_barrier_wait -1
	global_inv scope:SCOPE_SE
	s_clause 0x7
	scratch_load_b128 v[38:41], off, off offset:32
	scratch_load_b128 v[42:45], off, off offset:48
	;; [unrolled: 1-line block ×6, first 2 shown]
	scratch_load_b64 v[86:87], off, off offset:128
	scratch_load_b64 v[88:89], off, off offset:24
	v_mov_b32_e32 v1, 0
	ds_load_b128 v[62:65], v1 offset:176
	ds_load_b128 v[66:69], v1 offset:192
	;; [unrolled: 1-line block ×6, first 2 shown]
	ds_load_b64 v[90:91], v1 offset:272
	s_mov_b32 s0, exec_lo
	s_wait_loadcnt_dscnt 0x706
	v_mul_f32_e32 v2, v62, v39
	v_dual_mul_f32 v39, v63, v39 :: v_dual_mul_f32 v92, v64, v41
	s_wait_loadcnt_dscnt 0x302
	v_dual_mul_f32 v93, v66, v43 :: v_dual_mul_f32 v100, v80, v57
	v_mul_f32_e32 v41, v65, v41
	s_wait_loadcnt_dscnt 0x100
	v_dual_mul_f32 v103, v90, v87 :: v_dual_fmac_f32 v2, v63, v38
	v_fma_f32 v39, v62, v38, -v39
	v_mul_f32_e32 v38, v67, v43
	v_fmac_f32_e32 v92, v65, v40
	v_fma_f32 v40, v64, v40, -v41
	v_dual_add_f32 v2, 0, v2 :: v_dual_mul_f32 v41, v69, v45
	v_add_f32_e32 v39, 0, v39
	v_fmac_f32_e32 v93, v67, v42
	v_fma_f32 v38, v66, v42, -v38
	s_delay_alu instid0(VALU_DEP_4)
	v_add_f32_e32 v2, v2, v92
	v_fma_f32 v41, v68, v44, -v41
	v_add_f32_e32 v39, v39, v40
	v_mul_f32_e32 v40, v71, v47
	v_dual_mul_f32 v94, v68, v45 :: v_dual_mul_f32 v95, v70, v47
	v_add_f32_e32 v2, v2, v93
	s_delay_alu instid0(VALU_DEP_4) | instskip(NEXT) | instid1(VALU_DEP_4)
	v_dual_add_f32 v38, v39, v38 :: v_dual_mul_f32 v39, v73, v49
	v_fma_f32 v40, v70, v46, -v40
	v_dual_mul_f32 v98, v76, v53 :: v_dual_mul_f32 v99, v78, v55
	s_delay_alu instid0(VALU_DEP_3) | instskip(NEXT) | instid1(VALU_DEP_4)
	v_dual_add_f32 v38, v38, v41 :: v_dual_mul_f32 v41, v75, v51
	v_fma_f32 v39, v72, v48, -v39
	v_dual_mul_f32 v101, v82, v59 :: v_dual_mul_f32 v102, v84, v61
	s_delay_alu instid0(VALU_DEP_3) | instskip(SKIP_1) | instid1(VALU_DEP_3)
	v_dual_add_f32 v38, v38, v40 :: v_dual_fmac_f32 v99, v79, v54
	v_dual_fmac_f32 v94, v69, v44 :: v_dual_fmac_f32 v95, v71, v46
	v_dual_mul_f32 v40, v77, v53 :: v_dual_fmac_f32 v101, v83, v58
	v_fma_f32 v41, v74, v50, -v41
	s_delay_alu instid0(VALU_DEP_4) | instskip(SKIP_3) | instid1(VALU_DEP_4)
	v_dual_add_f32 v38, v38, v39 :: v_dual_fmac_f32 v103, v91, v86
	v_dual_mul_f32 v96, v72, v49 :: v_dual_mul_f32 v97, v74, v51
	v_dual_add_f32 v2, v2, v94 :: v_dual_mul_f32 v39, v79, v55
	v_fma_f32 v40, v76, v52, -v40
	v_add_f32_e32 v38, v38, v41
	s_delay_alu instid0(VALU_DEP_4) | instskip(NEXT) | instid1(VALU_DEP_4)
	v_dual_fmac_f32 v96, v73, v48 :: v_dual_fmac_f32 v97, v75, v50
	v_dual_add_f32 v2, v2, v95 :: v_dual_mul_f32 v41, v81, v57
	v_fma_f32 v39, v78, v54, -v39
	s_delay_alu instid0(VALU_DEP_4)
	v_add_f32_e32 v38, v38, v40
	v_fmac_f32_e32 v98, v77, v52
	v_mul_f32_e32 v40, v83, v59
	v_fma_f32 v41, v80, v56, -v41
	v_fmac_f32_e32 v100, v81, v56
	v_dual_add_f32 v38, v38, v39 :: v_dual_mul_f32 v39, v85, v61
	v_add_f32_e32 v2, v2, v96
	v_fma_f32 v40, v82, v58, -v40
	v_fmac_f32_e32 v102, v85, v60
	s_delay_alu instid0(VALU_DEP_4) | instskip(NEXT) | instid1(VALU_DEP_4)
	v_dual_add_f32 v38, v38, v41 :: v_dual_mul_f32 v41, v91, v87
	v_add_f32_e32 v2, v2, v97
	v_fma_f32 v39, v84, v60, -v39
	s_delay_alu instid0(VALU_DEP_3) | instskip(NEXT) | instid1(VALU_DEP_4)
	v_add_f32_e32 v38, v38, v40
	v_fma_f32 v40, v90, v86, -v41
	s_delay_alu instid0(VALU_DEP_4) | instskip(NEXT) | instid1(VALU_DEP_3)
	v_add_f32_e32 v2, v2, v98
	v_add_f32_e32 v38, v38, v39
	s_delay_alu instid0(VALU_DEP_2) | instskip(NEXT) | instid1(VALU_DEP_2)
	v_add_f32_e32 v2, v2, v99
	v_add_f32_e32 v38, v38, v40
	s_delay_alu instid0(VALU_DEP_2) | instskip(SKIP_1) | instid1(VALU_DEP_2)
	v_add_f32_e32 v2, v2, v100
	s_wait_loadcnt 0x0
	v_sub_f32_e32 v38, v88, v38
	s_delay_alu instid0(VALU_DEP_2) | instskip(NEXT) | instid1(VALU_DEP_1)
	v_add_f32_e32 v2, v2, v101
	v_add_f32_e32 v2, v2, v102
	s_delay_alu instid0(VALU_DEP_1) | instskip(NEXT) | instid1(VALU_DEP_1)
	v_add_f32_e32 v2, v2, v103
	v_sub_f32_e32 v39, v89, v2
	scratch_store_b64 off, v[38:39], off offset:24
	v_cmpx_lt_u32_e32 2, v0
	s_cbranch_execz .LBB16_111
; %bb.110:
	scratch_load_b64 v[38:39], off, off offset:16
	v_mov_b32_e32 v2, v1
	scratch_store_b64 off, v[1:2], off offset:16
	s_wait_loadcnt 0x0
	ds_store_b64 v3, v[38:39]
.LBB16_111:
	s_wait_alu 0xfffe
	s_or_b32 exec_lo, exec_lo, s0
	s_wait_storecnt_dscnt 0x0
	s_barrier_signal -1
	s_barrier_wait -1
	global_inv scope:SCOPE_SE
	s_clause 0x7
	scratch_load_b128 v[38:41], off, off offset:24
	scratch_load_b128 v[42:45], off, off offset:40
	;; [unrolled: 1-line block ×7, first 2 shown]
	scratch_load_b64 v[94:95], off, off offset:16
	ds_load_2addr_b64 v[66:69], v1 offset0:21 offset1:22
	ds_load_2addr_b64 v[70:73], v1 offset0:23 offset1:24
	;; [unrolled: 1-line block ×7, first 2 shown]
	s_mov_b32 s0, exec_lo
	s_wait_loadcnt_dscnt 0x706
	v_dual_mul_f32 v1, v66, v39 :: v_dual_mul_f32 v2, v68, v41
	v_mul_f32_e32 v39, v67, v39
	s_wait_loadcnt_dscnt 0x605
	v_dual_mul_f32 v41, v69, v41 :: v_dual_mul_f32 v96, v70, v43
	s_delay_alu instid0(VALU_DEP_3) | instskip(NEXT) | instid1(VALU_DEP_3)
	v_dual_mul_f32 v97, v72, v45 :: v_dual_fmac_f32 v2, v69, v40
	v_fma_f32 v39, v66, v38, -v39
	v_fmac_f32_e32 v1, v67, v38
	v_mul_f32_e32 v38, v71, v43
	v_fma_f32 v40, v68, v40, -v41
	s_delay_alu instid0(VALU_DEP_4)
	v_dual_fmac_f32 v96, v71, v42 :: v_dual_add_f32 v39, 0, v39
	s_wait_loadcnt_dscnt 0x504
	v_dual_mul_f32 v98, v74, v47 :: v_dual_mul_f32 v99, v76, v49
	v_fma_f32 v38, v70, v42, -v38
	s_wait_loadcnt_dscnt 0x403
	v_dual_mul_f32 v100, v78, v51 :: v_dual_mul_f32 v101, v80, v53
	v_add_f32_e32 v39, v39, v40
	v_mul_f32_e32 v41, v73, v45
	v_dual_fmac_f32 v97, v73, v44 :: v_dual_fmac_f32 v98, v75, v46
	s_wait_loadcnt_dscnt 0x302
	v_dual_mul_f32 v102, v82, v55 :: v_dual_mul_f32 v103, v84, v57
	v_add_f32_e32 v38, v39, v38
	v_fma_f32 v40, v72, v44, -v41
	s_delay_alu instid0(VALU_DEP_3) | instskip(SKIP_2) | instid1(VALU_DEP_3)
	v_dual_fmac_f32 v99, v77, v48 :: v_dual_fmac_f32 v102, v83, v54
	s_wait_loadcnt_dscnt 0x201
	v_dual_mul_f32 v104, v86, v59 :: v_dual_mul_f32 v105, v88, v61
	v_dual_add_f32 v38, v38, v40 :: v_dual_add_f32 v1, 0, v1
	v_mul_f32_e32 v40, v79, v51
	v_dual_fmac_f32 v100, v79, v50 :: v_dual_fmac_f32 v103, v85, v56
	s_wait_loadcnt_dscnt 0x100
	v_dual_mul_f32 v106, v90, v63 :: v_dual_mul_f32 v107, v92, v65
	v_dual_add_f32 v1, v1, v2 :: v_dual_mul_f32 v2, v75, v47
	v_fma_f32 v40, v78, v50, -v40
	v_mul_f32_e32 v39, v77, v49
	s_delay_alu instid0(VALU_DEP_4) | instskip(NEXT) | instid1(VALU_DEP_4)
	v_fmac_f32_e32 v107, v93, v64
	v_add_f32_e32 v1, v1, v96
	v_fma_f32 v2, v74, v46, -v2
	v_fmac_f32_e32 v104, v87, v58
	v_fma_f32 v39, v76, v48, -v39
	v_fmac_f32_e32 v106, v91, v62
	s_delay_alu instid0(VALU_DEP_4) | instskip(SKIP_1) | instid1(VALU_DEP_2)
	v_dual_add_f32 v2, v38, v2 :: v_dual_add_f32 v1, v1, v97
	v_mul_f32_e32 v38, v81, v53
	v_dual_add_f32 v2, v2, v39 :: v_dual_add_f32 v1, v1, v98
	v_mul_f32_e32 v39, v83, v55
	s_delay_alu instid0(VALU_DEP_3) | instskip(NEXT) | instid1(VALU_DEP_3)
	v_fma_f32 v38, v80, v52, -v38
	v_add_f32_e32 v2, v2, v40
	v_fmac_f32_e32 v101, v81, v52
	v_mul_f32_e32 v40, v85, v57
	v_fma_f32 v39, v82, v54, -v39
	s_delay_alu instid0(VALU_DEP_4) | instskip(SKIP_3) | instid1(VALU_DEP_4)
	v_add_f32_e32 v2, v2, v38
	v_mul_f32_e32 v38, v87, v59
	v_add_f32_e32 v1, v1, v99
	v_fma_f32 v40, v84, v56, -v40
	v_add_f32_e32 v2, v2, v39
	s_delay_alu instid0(VALU_DEP_4) | instskip(NEXT) | instid1(VALU_DEP_4)
	v_fma_f32 v38, v86, v58, -v38
	v_add_f32_e32 v1, v1, v100
	s_delay_alu instid0(VALU_DEP_3) | instskip(NEXT) | instid1(VALU_DEP_2)
	v_dual_add_f32 v2, v2, v40 :: v_dual_mul_f32 v39, v89, v61
	v_dual_add_f32 v1, v1, v101 :: v_dual_mul_f32 v40, v91, v63
	s_delay_alu instid0(VALU_DEP_2) | instskip(NEXT) | instid1(VALU_DEP_3)
	v_add_f32_e32 v2, v2, v38
	v_fma_f32 v39, v88, v60, -v39
	s_delay_alu instid0(VALU_DEP_3) | instskip(SKIP_2) | instid1(VALU_DEP_4)
	v_add_f32_e32 v1, v1, v102
	v_mul_f32_e32 v38, v93, v65
	v_fma_f32 v40, v90, v62, -v40
	v_add_f32_e32 v2, v2, v39
	s_delay_alu instid0(VALU_DEP_4) | instskip(NEXT) | instid1(VALU_DEP_4)
	v_add_f32_e32 v1, v1, v103
	v_fma_f32 v38, v92, v64, -v38
	s_delay_alu instid0(VALU_DEP_3) | instskip(SKIP_1) | instid1(VALU_DEP_2)
	v_add_f32_e32 v2, v2, v40
	v_fmac_f32_e32 v105, v89, v60
	v_dual_add_f32 v1, v1, v104 :: v_dual_add_f32 v2, v2, v38
	s_delay_alu instid0(VALU_DEP_1) | instskip(NEXT) | instid1(VALU_DEP_1)
	v_add_f32_e32 v1, v1, v105
	v_add_f32_e32 v1, v1, v106
	s_wait_loadcnt 0x0
	s_delay_alu instid0(VALU_DEP_1) | instskip(NEXT) | instid1(VALU_DEP_1)
	v_dual_add_f32 v38, v1, v107 :: v_dual_sub_f32 v1, v94, v2
	v_sub_f32_e32 v2, v95, v38
	scratch_store_b64 off, v[1:2], off offset:16
	v_cmpx_lt_u32_e32 1, v0
	s_cbranch_execz .LBB16_113
; %bb.112:
	scratch_load_b64 v[1:2], off, off offset:8
	v_mov_b32_e32 v38, 0
	s_delay_alu instid0(VALU_DEP_1)
	v_mov_b32_e32 v39, v38
	scratch_store_b64 off, v[38:39], off offset:8
	s_wait_loadcnt 0x0
	ds_store_b64 v3, v[1:2]
.LBB16_113:
	s_wait_alu 0xfffe
	s_or_b32 exec_lo, exec_lo, s0
	s_wait_storecnt_dscnt 0x0
	s_barrier_signal -1
	s_barrier_wait -1
	global_inv scope:SCOPE_SE
	s_clause 0x8
	scratch_load_b128 v[39:42], off, off offset:16
	scratch_load_b128 v[43:46], off, off offset:32
	;; [unrolled: 1-line block ×7, first 2 shown]
	scratch_load_b64 v[1:2], off, off offset:128
	scratch_load_b64 v[95:96], off, off offset:8
	v_mov_b32_e32 v38, 0
	ds_load_b128 v[67:70], v38 offset:160
	ds_load_b128 v[71:74], v38 offset:176
	;; [unrolled: 1-line block ×7, first 2 shown]
	ds_load_b64 v[97:98], v38 offset:272
	s_mov_b32 s0, exec_lo
	s_wait_loadcnt_dscnt 0x807
	v_mul_f32_e32 v99, v67, v40
	v_mul_f32_e32 v40, v68, v40
	s_wait_loadcnt_dscnt 0x706
	v_dual_mul_f32 v100, v69, v42 :: v_dual_mul_f32 v101, v71, v44
	s_delay_alu instid0(VALU_DEP_3)
	v_dual_mul_f32 v42, v70, v42 :: v_dual_fmac_f32 v99, v68, v39
	s_wait_loadcnt_dscnt 0x201
	v_mul_f32_e32 v112, v93, v66
	s_wait_loadcnt_dscnt 0x100
	v_mul_f32_e32 v113, v97, v2
	v_fma_f32 v40, v67, v39, -v40
	v_dual_mul_f32 v39, v72, v44 :: v_dual_fmac_f32 v100, v70, v41
	v_fmac_f32_e32 v101, v72, v43
	v_fma_f32 v41, v69, v41, -v42
	s_delay_alu instid0(VALU_DEP_4) | instskip(SKIP_3) | instid1(VALU_DEP_4)
	v_add_f32_e32 v40, 0, v40
	v_add_f32_e32 v42, 0, v99
	v_fma_f32 v39, v71, v43, -v39
	v_dual_mul_f32 v102, v73, v46 :: v_dual_mul_f32 v103, v75, v48
	v_add_f32_e32 v40, v40, v41
	v_mul_f32_e32 v44, v74, v46
	v_dual_mul_f32 v104, v77, v50 :: v_dual_mul_f32 v105, v79, v52
	s_delay_alu instid0(VALU_DEP_4) | instskip(NEXT) | instid1(VALU_DEP_4)
	v_dual_fmac_f32 v102, v74, v45 :: v_dual_fmac_f32 v103, v76, v47
	v_add_f32_e32 v39, v40, v39
	s_delay_alu instid0(VALU_DEP_4) | instskip(SKIP_2) | instid1(VALU_DEP_3)
	v_fma_f32 v43, v73, v45, -v44
	v_dual_mul_f32 v106, v81, v54 :: v_dual_mul_f32 v107, v83, v56
	v_dual_fmac_f32 v104, v78, v49 :: v_dual_fmac_f32 v105, v80, v51
	v_add_f32_e32 v39, v39, v43
	v_mul_f32_e32 v43, v80, v52
	v_dual_add_f32 v41, v42, v100 :: v_dual_mul_f32 v108, v85, v58
	v_mul_f32_e32 v109, v87, v60
	v_fmac_f32_e32 v107, v84, v55
	s_delay_alu instid0(VALU_DEP_4) | instskip(NEXT) | instid1(VALU_DEP_4)
	v_fma_f32 v43, v79, v51, -v43
	v_dual_add_f32 v40, v41, v101 :: v_dual_mul_f32 v41, v78, v50
	v_fmac_f32_e32 v108, v86, v57
	v_dual_mul_f32 v110, v89, v62 :: v_dual_mul_f32 v111, v91, v64
	v_fmac_f32_e32 v109, v88, v59
	s_delay_alu instid0(VALU_DEP_4) | instskip(SKIP_1) | instid1(VALU_DEP_4)
	v_fma_f32 v41, v77, v49, -v41
	v_mul_f32_e32 v42, v76, v48
	v_dual_fmac_f32 v110, v90, v61 :: v_dual_fmac_f32 v111, v92, v63
	v_mul_f32_e32 v2, v98, v2
	v_fmac_f32_e32 v112, v94, v65
	s_delay_alu instid0(VALU_DEP_4) | instskip(SKIP_1) | instid1(VALU_DEP_4)
	v_fma_f32 v42, v75, v47, -v42
	v_fmac_f32_e32 v113, v98, v1
	v_fma_f32 v1, v97, v1, -v2
	s_delay_alu instid0(VALU_DEP_3) | instskip(SKIP_1) | instid1(VALU_DEP_2)
	v_add_f32_e32 v39, v39, v42
	v_add_f32_e32 v40, v40, v102
	v_dual_mul_f32 v42, v82, v54 :: v_dual_add_f32 v39, v39, v41
	s_delay_alu instid0(VALU_DEP_2) | instskip(SKIP_1) | instid1(VALU_DEP_3)
	v_add_f32_e32 v40, v40, v103
	v_dual_mul_f32 v41, v84, v56 :: v_dual_fmac_f32 v106, v82, v53
	v_fma_f32 v42, v81, v53, -v42
	s_delay_alu instid0(VALU_DEP_4) | instskip(NEXT) | instid1(VALU_DEP_4)
	v_add_f32_e32 v39, v39, v43
	v_dual_mul_f32 v43, v86, v58 :: v_dual_add_f32 v40, v40, v104
	s_delay_alu instid0(VALU_DEP_4) | instskip(NEXT) | instid1(VALU_DEP_3)
	v_fma_f32 v41, v83, v55, -v41
	v_dual_add_f32 v39, v39, v42 :: v_dual_mul_f32 v42, v88, v60
	s_delay_alu instid0(VALU_DEP_3) | instskip(NEXT) | instid1(VALU_DEP_4)
	v_add_f32_e32 v40, v40, v105
	v_fma_f32 v43, v85, v57, -v43
	s_delay_alu instid0(VALU_DEP_3) | instskip(SKIP_1) | instid1(VALU_DEP_4)
	v_add_f32_e32 v39, v39, v41
	v_mul_f32_e32 v41, v90, v62
	v_add_f32_e32 v40, v40, v106
	v_fma_f32 v42, v87, v59, -v42
	s_delay_alu instid0(VALU_DEP_4) | instskip(SKIP_1) | instid1(VALU_DEP_4)
	v_add_f32_e32 v39, v39, v43
	v_mul_f32_e32 v43, v92, v64
	v_add_f32_e32 v40, v40, v107
	v_fma_f32 v41, v89, v61, -v41
	s_delay_alu instid0(VALU_DEP_4) | instskip(SKIP_1) | instid1(VALU_DEP_4)
	v_add_f32_e32 v39, v39, v42
	v_mul_f32_e32 v42, v94, v66
	v_add_f32_e32 v40, v40, v108
	v_fma_f32 v43, v91, v63, -v43
	s_delay_alu instid0(VALU_DEP_4) | instskip(NEXT) | instid1(VALU_DEP_4)
	v_add_f32_e32 v39, v39, v41
	v_fma_f32 v41, v93, v65, -v42
	s_delay_alu instid0(VALU_DEP_2) | instskip(NEXT) | instid1(VALU_DEP_1)
	v_dual_add_f32 v40, v40, v109 :: v_dual_add_f32 v39, v39, v43
	v_add_f32_e32 v40, v40, v110
	s_delay_alu instid0(VALU_DEP_2) | instskip(NEXT) | instid1(VALU_DEP_1)
	v_add_f32_e32 v2, v39, v41
	v_dual_add_f32 v40, v40, v111 :: v_dual_add_f32 v1, v2, v1
	s_delay_alu instid0(VALU_DEP_1) | instskip(NEXT) | instid1(VALU_DEP_1)
	v_add_f32_e32 v39, v40, v112
	v_add_f32_e32 v2, v39, v113
	s_wait_loadcnt 0x0
	s_delay_alu instid0(VALU_DEP_1)
	v_dual_sub_f32 v1, v95, v1 :: v_dual_sub_f32 v2, v96, v2
	scratch_store_b64 off, v[1:2], off offset:8
	v_cmpx_ne_u32_e32 0, v0
	s_cbranch_execz .LBB16_115
; %bb.114:
	scratch_load_b64 v[0:1], off, off
	v_mov_b32_e32 v39, v38
	scratch_store_b64 off, v[38:39], off
	s_wait_loadcnt 0x0
	ds_store_b64 v3, v[0:1]
.LBB16_115:
	s_wait_alu 0xfffe
	s_or_b32 exec_lo, exec_lo, s0
	s_wait_storecnt_dscnt 0x0
	s_barrier_signal -1
	s_barrier_wait -1
	global_inv scope:SCOPE_SE
	s_clause 0x8
	scratch_load_b128 v[39:42], off, off offset:8
	scratch_load_b128 v[43:46], off, off offset:24
	;; [unrolled: 1-line block ×8, first 2 shown]
	scratch_load_b64 v[99:100], off, off
	ds_load_2addr_b64 v[67:70], v38 offset0:19 offset1:20
	ds_load_2addr_b64 v[71:74], v38 offset0:21 offset1:22
	ds_load_2addr_b64 v[75:78], v38 offset0:23 offset1:24
	ds_load_2addr_b64 v[79:82], v38 offset0:25 offset1:26
	ds_load_2addr_b64 v[83:86], v38 offset0:27 offset1:28
	ds_load_2addr_b64 v[87:90], v38 offset0:29 offset1:30
	ds_load_2addr_b64 v[91:94], v38 offset0:31 offset1:32
	ds_load_2addr_b64 v[95:98], v38 offset0:33 offset1:34
	s_and_b32 vcc_lo, exec_lo, s18
	s_wait_loadcnt_dscnt 0x807
	v_dual_mul_f32 v38, v67, v40 :: v_dual_mul_f32 v101, v69, v42
	v_mul_f32_e32 v40, v68, v40
	v_mul_f32_e32 v42, v70, v42
	s_wait_loadcnt_dscnt 0x706
	v_dual_mul_f32 v102, v71, v44 :: v_dual_mul_f32 v103, v73, v46
	v_dual_fmac_f32 v38, v68, v39 :: v_dual_fmac_f32 v101, v70, v41
	s_wait_loadcnt_dscnt 0x100
	v_mul_f32_e32 v115, v97, v3
	v_fma_f32 v40, v67, v39, -v40
	v_fma_f32 v41, v69, v41, -v42
	v_dual_mul_f32 v114, v95, v1 :: v_dual_mul_f32 v39, v72, v44
	s_delay_alu instid0(VALU_DEP_3) | instskip(SKIP_1) | instid1(VALU_DEP_3)
	v_dual_fmac_f32 v103, v74, v45 :: v_dual_add_f32 v40, 0, v40
	v_dual_mul_f32 v106, v79, v52 :: v_dual_mul_f32 v107, v81, v54
	v_fma_f32 v39, v71, v43, -v39
	v_dual_mul_f32 v108, v83, v56 :: v_dual_mul_f32 v109, v85, v58
	s_delay_alu instid0(VALU_DEP_4) | instskip(SKIP_2) | instid1(VALU_DEP_3)
	v_add_f32_e32 v40, v40, v41
	v_dual_mul_f32 v41, v76, v48 :: v_dual_add_f32 v38, 0, v38
	v_dual_mul_f32 v104, v75, v48 :: v_dual_mul_f32 v105, v77, v50
	v_add_f32_e32 v39, v40, v39
	s_delay_alu instid0(VALU_DEP_3) | instskip(SKIP_4) | instid1(VALU_DEP_4)
	v_fma_f32 v41, v75, v47, -v41
	v_mul_f32_e32 v42, v74, v46
	v_mul_f32_e32 v40, v78, v50
	v_dual_fmac_f32 v107, v82, v53 :: v_dual_fmac_f32 v104, v76, v47
	v_fmac_f32_e32 v105, v78, v49
	v_fma_f32 v42, v73, v45, -v42
	v_fmac_f32_e32 v102, v72, v43
	v_fma_f32 v40, v77, v49, -v40
	v_dual_mul_f32 v110, v87, v60 :: v_dual_mul_f32 v111, v89, v62
	s_delay_alu instid0(VALU_DEP_4) | instskip(SKIP_2) | instid1(VALU_DEP_3)
	v_dual_add_f32 v39, v39, v42 :: v_dual_mul_f32 v42, v80, v52
	v_dual_fmac_f32 v109, v86, v57 :: v_dual_mul_f32 v112, v91, v64
	v_mul_f32_e32 v113, v93, v66
	v_add_f32_e32 v39, v39, v41
	v_add_f32_e32 v38, v38, v101
	v_mul_f32_e32 v41, v82, v54
	v_fma_f32 v42, v79, v51, -v42
	s_delay_alu instid0(VALU_DEP_4) | instskip(SKIP_1) | instid1(VALU_DEP_4)
	v_dual_fmac_f32 v110, v88, v59 :: v_dual_add_f32 v39, v39, v40
	v_fmac_f32_e32 v106, v80, v51
	v_fma_f32 v41, v81, v53, -v41
	v_mul_f32_e32 v40, v84, v56
	v_dual_fmac_f32 v108, v84, v55 :: v_dual_fmac_f32 v111, v90, v61
	v_add_f32_e32 v39, v39, v42
	v_add_f32_e32 v38, v38, v102
	s_delay_alu instid0(VALU_DEP_4) | instskip(SKIP_1) | instid1(VALU_DEP_4)
	v_fma_f32 v40, v83, v55, -v40
	v_dual_fmac_f32 v114, v96, v0 :: v_dual_fmac_f32 v115, v98, v2
	v_add_f32_e32 v39, v39, v41
	s_delay_alu instid0(VALU_DEP_4) | instskip(SKIP_2) | instid1(VALU_DEP_4)
	v_dual_mul_f32 v41, v88, v60 :: v_dual_add_f32 v38, v38, v103
	v_fmac_f32_e32 v113, v94, v65
	v_mul_f32_e32 v3, v98, v3
	v_add_f32_e32 v39, v39, v40
	s_delay_alu instid0(VALU_DEP_4) | instskip(SKIP_3) | instid1(VALU_DEP_3)
	v_fma_f32 v41, v87, v59, -v41
	v_mul_f32_e32 v42, v86, v58
	v_mul_f32_e32 v40, v90, v62
	v_fma_f32 v2, v97, v2, -v3
	v_fma_f32 v42, v85, v57, -v42
	v_add_f32_e32 v38, v38, v104
	s_delay_alu instid0(VALU_DEP_4) | instskip(NEXT) | instid1(VALU_DEP_3)
	v_fma_f32 v40, v89, v61, -v40
	v_dual_add_f32 v39, v39, v42 :: v_dual_mul_f32 v42, v92, v64
	s_delay_alu instid0(VALU_DEP_1) | instskip(NEXT) | instid1(VALU_DEP_4)
	v_add_f32_e32 v39, v39, v41
	v_add_f32_e32 v38, v38, v105
	v_mul_f32_e32 v41, v94, v66
	s_delay_alu instid0(VALU_DEP_4) | instskip(NEXT) | instid1(VALU_DEP_4)
	v_fma_f32 v42, v91, v63, -v42
	v_dual_add_f32 v39, v39, v40 :: v_dual_fmac_f32 v112, v92, v63
	v_mul_f32_e32 v40, v96, v1
	s_delay_alu instid0(VALU_DEP_4) | instskip(NEXT) | instid1(VALU_DEP_3)
	v_fma_f32 v41, v93, v65, -v41
	v_add_f32_e32 v39, v39, v42
	v_add_f32_e32 v38, v38, v106
	s_delay_alu instid0(VALU_DEP_4) | instskip(NEXT) | instid1(VALU_DEP_2)
	v_fma_f32 v40, v95, v0, -v40
	v_dual_add_f32 v39, v39, v41 :: v_dual_add_f32 v38, v38, v107
	s_delay_alu instid0(VALU_DEP_1) | instskip(NEXT) | instid1(VALU_DEP_2)
	v_add_f32_e32 v3, v39, v40
	v_add_f32_e32 v38, v38, v108
	s_delay_alu instid0(VALU_DEP_1) | instskip(NEXT) | instid1(VALU_DEP_1)
	v_add_f32_e32 v38, v38, v109
	v_add_f32_e32 v38, v38, v110
	s_delay_alu instid0(VALU_DEP_1) | instskip(NEXT) | instid1(VALU_DEP_1)
	;; [unrolled: 3-line block ×3, first 2 shown]
	v_add_f32_e32 v38, v38, v113
	v_add_f32_e32 v38, v38, v114
	s_delay_alu instid0(VALU_DEP_1) | instskip(SKIP_1) | instid1(VALU_DEP_1)
	v_dual_add_f32 v2, v3, v2 :: v_dual_add_f32 v3, v38, v115
	s_wait_loadcnt 0x0
	v_dual_sub_f32 v2, v99, v2 :: v_dual_sub_f32 v3, v100, v3
	scratch_store_b64 off, v[2:3], off
	s_wait_alu 0xfffe
	s_cbranch_vccz .LBB16_148
; %bb.116:
	v_mov_b32_e32 v2, 0
	global_load_b32 v3, v2, s[2:3] offset:60
	s_wait_loadcnt 0x0
	v_cmp_ne_u32_e32 vcc_lo, 16, v3
	s_cbranch_vccz .LBB16_118
; %bb.117:
	v_lshlrev_b32_e32 v3, 3, v3
	scratch_load_b64 v[38:39], v3, off offset:-8
	s_wait_loadcnt 0x0
	scratch_store_b64 off, v[38:39], off offset:120
	scratch_store_b64 v3, v[0:1], off offset:-8
.LBB16_118:
	global_load_b32 v0, v2, s[2:3] offset:56
	s_wait_loadcnt 0x0
	v_cmp_eq_u32_e32 vcc_lo, 15, v0
	s_cbranch_vccnz .LBB16_120
; %bb.119:
	v_lshlrev_b32_e32 v0, 3, v0
	s_delay_alu instid0(VALU_DEP_1)
	v_mov_b32_e32 v38, v0
	scratch_load_b64 v[0:1], v38, off offset:-8
	scratch_load_b64 v[2:3], off, off offset:112
	s_wait_loadcnt 0x1
	scratch_store_b64 off, v[0:1], off offset:112
	s_wait_loadcnt 0x0
	scratch_store_b64 v38, v[2:3], off offset:-8
.LBB16_120:
	v_mov_b32_e32 v0, 0
	global_load_b32 v1, v0, s[2:3] offset:52
	s_wait_loadcnt 0x0
	v_cmp_eq_u32_e32 vcc_lo, 14, v1
	s_cbranch_vccnz .LBB16_122
; %bb.121:
	v_lshlrev_b32_e32 v1, 3, v1
	s_delay_alu instid0(VALU_DEP_1)
	v_mov_b32_e32 v3, v1
	scratch_load_b64 v[1:2], v3, off offset:-8
	scratch_load_b64 v[38:39], off, off offset:104
	s_wait_loadcnt 0x1
	scratch_store_b64 off, v[1:2], off offset:104
	s_wait_loadcnt 0x0
	scratch_store_b64 v3, v[38:39], off offset:-8
.LBB16_122:
	global_load_b32 v0, v0, s[2:3] offset:48
	s_wait_loadcnt 0x0
	v_cmp_eq_u32_e32 vcc_lo, 13, v0
	s_cbranch_vccnz .LBB16_124
; %bb.123:
	v_lshlrev_b32_e32 v0, 3, v0
	s_delay_alu instid0(VALU_DEP_1)
	v_mov_b32_e32 v38, v0
	scratch_load_b64 v[0:1], v38, off offset:-8
	scratch_load_b64 v[2:3], off, off offset:96
	s_wait_loadcnt 0x1
	scratch_store_b64 off, v[0:1], off offset:96
	s_wait_loadcnt 0x0
	scratch_store_b64 v38, v[2:3], off offset:-8
.LBB16_124:
	v_mov_b32_e32 v0, 0
	global_load_b32 v1, v0, s[2:3] offset:44
	s_wait_loadcnt 0x0
	v_cmp_eq_u32_e32 vcc_lo, 12, v1
	s_cbranch_vccnz .LBB16_126
; %bb.125:
	v_lshlrev_b32_e32 v1, 3, v1
	s_delay_alu instid0(VALU_DEP_1)
	v_mov_b32_e32 v3, v1
	scratch_load_b64 v[1:2], v3, off offset:-8
	scratch_load_b64 v[38:39], off, off offset:88
	s_wait_loadcnt 0x1
	scratch_store_b64 off, v[1:2], off offset:88
	s_wait_loadcnt 0x0
	scratch_store_b64 v3, v[38:39], off offset:-8
.LBB16_126:
	;; [unrolled: 31-line block ×7, first 2 shown]
	global_load_b32 v0, v0, s[2:3]
	s_wait_loadcnt 0x0
	v_cmp_eq_u32_e32 vcc_lo, 1, v0
	s_cbranch_vccnz .LBB16_148
; %bb.147:
	v_lshlrev_b32_e32 v0, 3, v0
	s_delay_alu instid0(VALU_DEP_1)
	v_mov_b32_e32 v38, v0
	scratch_load_b64 v[0:1], v38, off offset:-8
	scratch_load_b64 v[2:3], off, off
	s_wait_loadcnt 0x1
	scratch_store_b64 off, v[0:1], off
	s_wait_loadcnt 0x0
	scratch_store_b64 v38, v[2:3], off offset:-8
.LBB16_148:
	s_clause 0x8
	scratch_load_b128 v[0:3], off, off
	scratch_load_b128 v[38:41], off, off offset:16
	scratch_load_b128 v[42:45], off, off offset:32
	;; [unrolled: 1-line block ×7, first 2 shown]
	scratch_load_b64 v[66:67], off, off offset:128
	s_wait_loadcnt 0x8
	s_clause 0x1
	global_store_b64 v[4:5], v[0:1], off
	global_store_b64 v[6:7], v[2:3], off
	s_wait_loadcnt 0x7
	s_clause 0x1
	global_store_b64 v[8:9], v[38:39], off
	global_store_b64 v[10:11], v[40:41], off
	;; [unrolled: 4-line block ×8, first 2 shown]
	s_wait_loadcnt 0x0
	global_store_b64 v[36:37], v[66:67], off
	s_nop 0
	s_sendmsg sendmsg(MSG_DEALLOC_VGPRS)
	s_endpgm
	.section	.rodata,"a",@progbits
	.p2align	6, 0x0
	.amdhsa_kernel _ZN9rocsolver6v33100L18getri_kernel_smallILi17E19rocblas_complex_numIfEPS3_EEvT1_iilPiilS6_bb
		.amdhsa_group_segment_fixed_size 280
		.amdhsa_private_segment_fixed_size 144
		.amdhsa_kernarg_size 60
		.amdhsa_user_sgpr_count 2
		.amdhsa_user_sgpr_dispatch_ptr 0
		.amdhsa_user_sgpr_queue_ptr 0
		.amdhsa_user_sgpr_kernarg_segment_ptr 1
		.amdhsa_user_sgpr_dispatch_id 0
		.amdhsa_user_sgpr_private_segment_size 0
		.amdhsa_wavefront_size32 1
		.amdhsa_uses_dynamic_stack 0
		.amdhsa_enable_private_segment 1
		.amdhsa_system_sgpr_workgroup_id_x 1
		.amdhsa_system_sgpr_workgroup_id_y 0
		.amdhsa_system_sgpr_workgroup_id_z 0
		.amdhsa_system_sgpr_workgroup_info 0
		.amdhsa_system_vgpr_workitem_id 0
		.amdhsa_next_free_vgpr 116
		.amdhsa_next_free_sgpr 19
		.amdhsa_reserve_vcc 1
		.amdhsa_float_round_mode_32 0
		.amdhsa_float_round_mode_16_64 0
		.amdhsa_float_denorm_mode_32 3
		.amdhsa_float_denorm_mode_16_64 3
		.amdhsa_fp16_overflow 0
		.amdhsa_workgroup_processor_mode 1
		.amdhsa_memory_ordered 1
		.amdhsa_forward_progress 1
		.amdhsa_inst_pref_size 129
		.amdhsa_round_robin_scheduling 0
		.amdhsa_exception_fp_ieee_invalid_op 0
		.amdhsa_exception_fp_denorm_src 0
		.amdhsa_exception_fp_ieee_div_zero 0
		.amdhsa_exception_fp_ieee_overflow 0
		.amdhsa_exception_fp_ieee_underflow 0
		.amdhsa_exception_fp_ieee_inexact 0
		.amdhsa_exception_int_div_zero 0
	.end_amdhsa_kernel
	.section	.text._ZN9rocsolver6v33100L18getri_kernel_smallILi17E19rocblas_complex_numIfEPS3_EEvT1_iilPiilS6_bb,"axG",@progbits,_ZN9rocsolver6v33100L18getri_kernel_smallILi17E19rocblas_complex_numIfEPS3_EEvT1_iilPiilS6_bb,comdat
.Lfunc_end16:
	.size	_ZN9rocsolver6v33100L18getri_kernel_smallILi17E19rocblas_complex_numIfEPS3_EEvT1_iilPiilS6_bb, .Lfunc_end16-_ZN9rocsolver6v33100L18getri_kernel_smallILi17E19rocblas_complex_numIfEPS3_EEvT1_iilPiilS6_bb
                                        ; -- End function
	.set _ZN9rocsolver6v33100L18getri_kernel_smallILi17E19rocblas_complex_numIfEPS3_EEvT1_iilPiilS6_bb.num_vgpr, 116
	.set _ZN9rocsolver6v33100L18getri_kernel_smallILi17E19rocblas_complex_numIfEPS3_EEvT1_iilPiilS6_bb.num_agpr, 0
	.set _ZN9rocsolver6v33100L18getri_kernel_smallILi17E19rocblas_complex_numIfEPS3_EEvT1_iilPiilS6_bb.numbered_sgpr, 19
	.set _ZN9rocsolver6v33100L18getri_kernel_smallILi17E19rocblas_complex_numIfEPS3_EEvT1_iilPiilS6_bb.num_named_barrier, 0
	.set _ZN9rocsolver6v33100L18getri_kernel_smallILi17E19rocblas_complex_numIfEPS3_EEvT1_iilPiilS6_bb.private_seg_size, 144
	.set _ZN9rocsolver6v33100L18getri_kernel_smallILi17E19rocblas_complex_numIfEPS3_EEvT1_iilPiilS6_bb.uses_vcc, 1
	.set _ZN9rocsolver6v33100L18getri_kernel_smallILi17E19rocblas_complex_numIfEPS3_EEvT1_iilPiilS6_bb.uses_flat_scratch, 1
	.set _ZN9rocsolver6v33100L18getri_kernel_smallILi17E19rocblas_complex_numIfEPS3_EEvT1_iilPiilS6_bb.has_dyn_sized_stack, 0
	.set _ZN9rocsolver6v33100L18getri_kernel_smallILi17E19rocblas_complex_numIfEPS3_EEvT1_iilPiilS6_bb.has_recursion, 0
	.set _ZN9rocsolver6v33100L18getri_kernel_smallILi17E19rocblas_complex_numIfEPS3_EEvT1_iilPiilS6_bb.has_indirect_call, 0
	.section	.AMDGPU.csdata,"",@progbits
; Kernel info:
; codeLenInByte = 16504
; TotalNumSgprs: 21
; NumVgprs: 116
; ScratchSize: 144
; MemoryBound: 0
; FloatMode: 240
; IeeeMode: 1
; LDSByteSize: 280 bytes/workgroup (compile time only)
; SGPRBlocks: 0
; VGPRBlocks: 14
; NumSGPRsForWavesPerEU: 21
; NumVGPRsForWavesPerEU: 116
; Occupancy: 12
; WaveLimiterHint : 1
; COMPUTE_PGM_RSRC2:SCRATCH_EN: 1
; COMPUTE_PGM_RSRC2:USER_SGPR: 2
; COMPUTE_PGM_RSRC2:TRAP_HANDLER: 0
; COMPUTE_PGM_RSRC2:TGID_X_EN: 1
; COMPUTE_PGM_RSRC2:TGID_Y_EN: 0
; COMPUTE_PGM_RSRC2:TGID_Z_EN: 0
; COMPUTE_PGM_RSRC2:TIDIG_COMP_CNT: 0
	.section	.text._ZN9rocsolver6v33100L18getri_kernel_smallILi18E19rocblas_complex_numIfEPS3_EEvT1_iilPiilS6_bb,"axG",@progbits,_ZN9rocsolver6v33100L18getri_kernel_smallILi18E19rocblas_complex_numIfEPS3_EEvT1_iilPiilS6_bb,comdat
	.globl	_ZN9rocsolver6v33100L18getri_kernel_smallILi18E19rocblas_complex_numIfEPS3_EEvT1_iilPiilS6_bb ; -- Begin function _ZN9rocsolver6v33100L18getri_kernel_smallILi18E19rocblas_complex_numIfEPS3_EEvT1_iilPiilS6_bb
	.p2align	8
	.type	_ZN9rocsolver6v33100L18getri_kernel_smallILi18E19rocblas_complex_numIfEPS3_EEvT1_iilPiilS6_bb,@function
_ZN9rocsolver6v33100L18getri_kernel_smallILi18E19rocblas_complex_numIfEPS3_EEvT1_iilPiilS6_bb: ; @_ZN9rocsolver6v33100L18getri_kernel_smallILi18E19rocblas_complex_numIfEPS3_EEvT1_iilPiilS6_bb
; %bb.0:
	s_mov_b32 s2, exec_lo
	v_cmpx_gt_u32_e32 18, v0
	s_cbranch_execz .LBB17_86
; %bb.1:
	s_clause 0x2
	s_load_b32 s2, s[0:1], 0x38
	s_load_b128 s[12:15], s[0:1], 0x10
	s_load_b128 s[4:7], s[0:1], 0x28
	s_mov_b32 s16, ttmp9
	s_wait_kmcnt 0x0
	s_bitcmp1_b32 s2, 8
	s_cselect_b32 s18, -1, 0
	s_bfe_u32 s2, s2, 0x10008
	s_ashr_i32 s17, ttmp9, 31
	s_cmp_eq_u32 s2, 0
                                        ; implicit-def: $sgpr2_sgpr3
	s_cbranch_scc1 .LBB17_3
; %bb.2:
	s_load_b32 s2, s[0:1], 0x20
	s_mul_u64 s[4:5], s[4:5], s[16:17]
	s_delay_alu instid0(SALU_CYCLE_1) | instskip(NEXT) | instid1(SALU_CYCLE_1)
	s_lshl_b64 s[4:5], s[4:5], 2
	s_add_nc_u64 s[4:5], s[14:15], s[4:5]
	s_wait_kmcnt 0x0
	s_ashr_i32 s3, s2, 31
	s_delay_alu instid0(SALU_CYCLE_1) | instskip(NEXT) | instid1(SALU_CYCLE_1)
	s_lshl_b64 s[2:3], s[2:3], 2
	s_add_nc_u64 s[2:3], s[4:5], s[2:3]
.LBB17_3:
	s_clause 0x1
	s_load_b128 s[8:11], s[0:1], 0x0
	s_load_b32 s4, s[0:1], 0x38
	s_mul_u64 s[0:1], s[12:13], s[16:17]
	v_lshlrev_b32_e32 v3, 3, v0
	s_lshl_b64 s[0:1], s[0:1], 3
	s_wait_kmcnt 0x0
	v_add3_u32 v1, s11, s11, v0
	s_ashr_i32 s13, s10, 31
	s_mov_b32 s12, s10
	s_add_nc_u64 s[0:1], s[8:9], s[0:1]
	s_lshl_b64 s[12:13], s[12:13], 3
	v_add_nc_u32_e32 v8, s11, v1
	v_ashrrev_i32_e32 v2, 31, v1
	s_add_nc_u64 s[0:1], s[0:1], s[12:13]
	s_ashr_i32 s9, s11, 31
	v_add_co_u32 v4, s5, s0, v3
	v_add_nc_u32_e32 v10, s11, v8
	s_mov_b32 s8, s11
	v_lshlrev_b64_e32 v[1:2], 3, v[1:2]
	v_add_co_ci_u32_e64 v5, null, s1, 0, s5
	v_ashrrev_i32_e32 v9, 31, v8
	s_lshl_b64 s[8:9], s[8:9], 3
	v_ashrrev_i32_e32 v11, 31, v10
	v_add_co_u32 v6, vcc_lo, v4, s8
	v_add_nc_u32_e32 v14, s11, v10
	v_add_co_ci_u32_e64 v7, null, s9, v5, vcc_lo
	v_lshlrev_b64_e32 v[12:13], 3, v[8:9]
	v_add_co_u32 v8, vcc_lo, s0, v1
	s_wait_alu 0xfffd
	v_add_co_ci_u32_e64 v9, null, s1, v2, vcc_lo
	v_lshlrev_b64_e32 v[1:2], 3, v[10:11]
	v_add_nc_u32_e32 v16, s11, v14
	v_add_co_u32 v10, vcc_lo, s0, v12
	s_wait_alu 0xfffd
	v_add_co_ci_u32_e64 v11, null, s1, v13, vcc_lo
	s_delay_alu instid0(VALU_DEP_4)
	v_add_co_u32 v12, vcc_lo, s0, v1
	v_add_nc_u32_e32 v1, s11, v16
	v_ashrrev_i32_e32 v15, 31, v14
	v_ashrrev_i32_e32 v17, 31, v16
	s_wait_alu 0xfffd
	v_add_co_ci_u32_e64 v13, null, s1, v2, vcc_lo
	v_ashrrev_i32_e32 v2, 31, v1
	v_lshlrev_b64_e32 v[14:15], 3, v[14:15]
	v_add_nc_u32_e32 v18, s11, v1
	v_lshlrev_b64_e32 v[16:17], 3, v[16:17]
	global_load_b64 v[40:41], v3, s[0:1]
	v_lshlrev_b64_e32 v[1:2], 3, v[1:2]
	s_clause 0x3
	global_load_b64 v[42:43], v[6:7], off
	global_load_b64 v[44:45], v[8:9], off
	;; [unrolled: 1-line block ×4, first 2 shown]
	v_ashrrev_i32_e32 v19, 31, v18
	v_add_nc_u32_e32 v22, s11, v18
	v_add_co_u32 v14, vcc_lo, s0, v14
	s_wait_alu 0xfffd
	v_add_co_ci_u32_e64 v15, null, s1, v15, vcc_lo
	v_add_co_u32 v16, vcc_lo, s0, v16
	s_wait_alu 0xfffd
	v_add_co_ci_u32_e64 v17, null, s1, v17, vcc_lo
	v_lshlrev_b64_e32 v[20:21], 3, v[18:19]
	v_add_co_u32 v18, vcc_lo, s0, v1
	v_add_nc_u32_e32 v1, s11, v22
	v_ashrrev_i32_e32 v23, 31, v22
	s_wait_alu 0xfffd
	v_add_co_ci_u32_e64 v19, null, s1, v2, vcc_lo
	v_add_co_u32 v20, vcc_lo, s0, v20
	v_add_nc_u32_e32 v24, s11, v1
	v_ashrrev_i32_e32 v2, 31, v1
	v_lshlrev_b64_e32 v[22:23], 3, v[22:23]
	s_wait_alu 0xfffd
	v_add_co_ci_u32_e64 v21, null, s1, v21, vcc_lo
	v_add_nc_u32_e32 v26, s11, v24
	v_lshlrev_b64_e32 v[1:2], 3, v[1:2]
	v_ashrrev_i32_e32 v25, 31, v24
	v_add_co_u32 v22, vcc_lo, s0, v22
	s_delay_alu instid0(VALU_DEP_4)
	v_add_nc_u32_e32 v30, s11, v26
	v_ashrrev_i32_e32 v27, 31, v26
	s_wait_alu 0xfffd
	v_add_co_ci_u32_e64 v23, null, s1, v23, vcc_lo
	v_lshlrev_b64_e32 v[28:29], 3, v[24:25]
	v_add_co_u32 v24, vcc_lo, s0, v1
	v_add_nc_u32_e32 v32, s11, v30
	s_wait_alu 0xfffd
	v_add_co_ci_u32_e64 v25, null, s1, v2, vcc_lo
	v_lshlrev_b64_e32 v[1:2], 3, v[26:27]
	v_ashrrev_i32_e32 v31, 31, v30
	v_add_co_u32 v26, vcc_lo, s0, v28
	v_add_nc_u32_e32 v34, s11, v32
	s_wait_alu 0xfffd
	v_add_co_ci_u32_e64 v27, null, s1, v29, vcc_lo
	v_add_co_u32 v28, vcc_lo, s0, v1
	s_wait_alu 0xfffd
	v_add_co_ci_u32_e64 v29, null, s1, v2, vcc_lo
	v_lshlrev_b64_e32 v[1:2], 3, v[30:31]
	v_ashrrev_i32_e32 v33, 31, v32
	v_add_nc_u32_e32 v36, s11, v34
	v_ashrrev_i32_e32 v35, 31, v34
	s_clause 0x7
	global_load_b64 v[50:51], v[14:15], off
	global_load_b64 v[52:53], v[16:17], off
	;; [unrolled: 1-line block ×8, first 2 shown]
	v_lshlrev_b64_e32 v[32:33], 3, v[32:33]
	v_add_co_u32 v30, vcc_lo, s0, v1
	v_add_nc_u32_e32 v38, s11, v36
	s_wait_alu 0xfffd
	v_add_co_ci_u32_e64 v31, null, s1, v2, vcc_lo
	v_lshlrev_b64_e32 v[1:2], 3, v[34:35]
	v_ashrrev_i32_e32 v37, 31, v36
	v_ashrrev_i32_e32 v39, 31, v38
	v_add_co_u32 v32, vcc_lo, s0, v32
	s_wait_alu 0xfffd
	v_add_co_ci_u32_e64 v33, null, s1, v33, vcc_lo
	v_lshlrev_b64_e32 v[36:37], 3, v[36:37]
	v_add_co_u32 v34, vcc_lo, s0, v1
	s_wait_alu 0xfffd
	v_add_co_ci_u32_e64 v35, null, s1, v2, vcc_lo
	v_lshlrev_b64_e32 v[1:2], 3, v[38:39]
	s_delay_alu instid0(VALU_DEP_4)
	v_add_co_u32 v36, vcc_lo, s0, v36
	s_wait_alu 0xfffd
	v_add_co_ci_u32_e64 v37, null, s1, v37, vcc_lo
	s_bitcmp0_b32 s4, 0
	v_add_co_u32 v38, vcc_lo, s0, v1
	s_wait_alu 0xfffd
	v_add_co_ci_u32_e64 v39, null, s1, v2, vcc_lo
	s_clause 0x4
	global_load_b64 v[66:67], v[30:31], off
	global_load_b64 v[68:69], v[32:33], off
	;; [unrolled: 1-line block ×5, first 2 shown]
	s_mov_b32 s1, -1
	s_wait_loadcnt 0x10
	scratch_store_b128 off, v[40:43], off
	s_wait_loadcnt 0xe
	scratch_store_b128 off, v[44:47], off offset:16
	s_wait_loadcnt 0xc
	scratch_store_b128 off, v[48:51], off offset:32
	;; [unrolled: 2-line block ×8, first 2 shown]
	s_cbranch_scc1 .LBB17_84
; %bb.4:
	v_cmp_eq_u32_e64 s0, 0, v0
	s_and_saveexec_b32 s1, s0
; %bb.5:
	v_mov_b32_e32 v1, 0
	ds_store_b32 v1, v1 offset:288
; %bb.6:
	s_wait_alu 0xfffe
	s_or_b32 exec_lo, exec_lo, s1
	s_wait_storecnt_dscnt 0x0
	s_barrier_signal -1
	s_barrier_wait -1
	global_inv scope:SCOPE_SE
	scratch_load_b64 v[1:2], v3, off
	s_wait_loadcnt 0x0
	v_cmp_eq_f32_e32 vcc_lo, 0, v1
	v_cmp_eq_f32_e64 s1, 0, v2
	s_and_b32 s1, vcc_lo, s1
	s_wait_alu 0xfffe
	s_and_saveexec_b32 s4, s1
	s_cbranch_execz .LBB17_10
; %bb.7:
	v_mov_b32_e32 v1, 0
	s_mov_b32 s5, 0
	ds_load_b32 v2, v1 offset:288
	s_wait_dscnt 0x0
	v_readfirstlane_b32 s1, v2
	v_add_nc_u32_e32 v2, 1, v0
	s_cmp_eq_u32 s1, 0
	s_delay_alu instid0(VALU_DEP_1)
	v_cmp_gt_i32_e32 vcc_lo, s1, v2
	s_cselect_b32 s8, -1, 0
	s_wait_alu 0xfffe
	s_or_b32 s8, s8, vcc_lo
	s_wait_alu 0xfffe
	s_and_b32 exec_lo, exec_lo, s8
	s_cbranch_execz .LBB17_10
; %bb.8:
	v_mov_b32_e32 v40, s1
.LBB17_9:                               ; =>This Inner Loop Header: Depth=1
	ds_cmpstore_rtn_b32 v40, v1, v2, v40 offset:288
	s_wait_dscnt 0x0
	v_cmp_ne_u32_e32 vcc_lo, 0, v40
	v_cmp_le_i32_e64 s1, v40, v2
	s_and_b32 s1, vcc_lo, s1
	s_wait_alu 0xfffe
	s_and_b32 s1, exec_lo, s1
	s_wait_alu 0xfffe
	s_or_b32 s5, s1, s5
	s_wait_alu 0xfffe
	s_and_not1_b32 exec_lo, exec_lo, s5
	s_cbranch_execnz .LBB17_9
.LBB17_10:
	s_wait_alu 0xfffe
	s_or_b32 exec_lo, exec_lo, s4
	v_mov_b32_e32 v1, 0
	s_barrier_signal -1
	s_barrier_wait -1
	global_inv scope:SCOPE_SE
	ds_load_b32 v2, v1 offset:288
	s_and_saveexec_b32 s1, s0
	s_cbranch_execz .LBB17_12
; %bb.11:
	s_lshl_b64 s[4:5], s[16:17], 2
	s_wait_alu 0xfffe
	s_add_nc_u64 s[4:5], s[6:7], s[4:5]
	s_wait_dscnt 0x0
	global_store_b32 v1, v2, s[4:5]
.LBB17_12:
	s_wait_alu 0xfffe
	s_or_b32 exec_lo, exec_lo, s1
	s_wait_dscnt 0x0
	v_cmp_ne_u32_e32 vcc_lo, 0, v2
	s_mov_b32 s1, 0
	s_cbranch_vccnz .LBB17_84
; %bb.13:
	v_mov_b32_e32 v44, v3
                                        ; implicit-def: $vgpr40
                                        ; implicit-def: $vgpr42
	scratch_load_b64 v[1:2], v44, off
	s_wait_loadcnt 0x0
	v_cmp_ngt_f32_e64 s1, |v1|, |v2|
	s_wait_alu 0xfffe
	s_and_saveexec_b32 s4, s1
	s_wait_alu 0xfffe
	s_xor_b32 s1, exec_lo, s4
	s_cbranch_execz .LBB17_15
; %bb.14:
	v_div_scale_f32 v40, null, v2, v2, v1
	v_div_scale_f32 v43, vcc_lo, v1, v2, v1
	s_delay_alu instid0(VALU_DEP_2) | instskip(NEXT) | instid1(TRANS32_DEP_1)
	v_rcp_f32_e32 v41, v40
	v_fma_f32 v42, -v40, v41, 1.0
	s_delay_alu instid0(VALU_DEP_1) | instskip(NEXT) | instid1(VALU_DEP_1)
	v_fmac_f32_e32 v41, v42, v41
	v_mul_f32_e32 v42, v43, v41
	s_delay_alu instid0(VALU_DEP_1) | instskip(NEXT) | instid1(VALU_DEP_1)
	v_fma_f32 v45, -v40, v42, v43
	v_fmac_f32_e32 v42, v45, v41
	s_delay_alu instid0(VALU_DEP_1) | instskip(SKIP_1) | instid1(VALU_DEP_1)
	v_fma_f32 v40, -v40, v42, v43
	s_wait_alu 0xfffd
	v_div_fmas_f32 v40, v40, v41, v42
	s_delay_alu instid0(VALU_DEP_1) | instskip(NEXT) | instid1(VALU_DEP_1)
	v_div_fixup_f32 v40, v40, v2, v1
	v_fmac_f32_e32 v2, v1, v40
	s_delay_alu instid0(VALU_DEP_1) | instskip(NEXT) | instid1(VALU_DEP_1)
	v_div_scale_f32 v1, null, v2, v2, 1.0
	v_rcp_f32_e32 v41, v1
	s_delay_alu instid0(TRANS32_DEP_1) | instskip(NEXT) | instid1(VALU_DEP_1)
	v_fma_f32 v42, -v1, v41, 1.0
	v_fmac_f32_e32 v41, v42, v41
	v_div_scale_f32 v42, vcc_lo, 1.0, v2, 1.0
	s_delay_alu instid0(VALU_DEP_1) | instskip(NEXT) | instid1(VALU_DEP_1)
	v_mul_f32_e32 v43, v42, v41
	v_fma_f32 v45, -v1, v43, v42
	s_delay_alu instid0(VALU_DEP_1) | instskip(NEXT) | instid1(VALU_DEP_1)
	v_fmac_f32_e32 v43, v45, v41
	v_fma_f32 v1, -v1, v43, v42
	s_wait_alu 0xfffd
	s_delay_alu instid0(VALU_DEP_1) | instskip(NEXT) | instid1(VALU_DEP_1)
	v_div_fmas_f32 v1, v1, v41, v43
	v_div_fixup_f32 v1, v1, v2, 1.0
	s_delay_alu instid0(VALU_DEP_1) | instskip(SKIP_1) | instid1(VALU_DEP_2)
	v_mul_f32_e32 v40, v40, v1
	v_xor_b32_e32 v41, 0x80000000, v1
                                        ; implicit-def: $vgpr1_vgpr2
	v_xor_b32_e32 v42, 0x80000000, v40
.LBB17_15:
	s_wait_alu 0xfffe
	s_and_not1_saveexec_b32 s1, s1
	s_cbranch_execz .LBB17_17
; %bb.16:
	v_div_scale_f32 v40, null, v1, v1, v2
	v_div_scale_f32 v43, vcc_lo, v2, v1, v2
	s_delay_alu instid0(VALU_DEP_2) | instskip(NEXT) | instid1(TRANS32_DEP_1)
	v_rcp_f32_e32 v41, v40
	v_fma_f32 v42, -v40, v41, 1.0
	s_delay_alu instid0(VALU_DEP_1) | instskip(NEXT) | instid1(VALU_DEP_1)
	v_fmac_f32_e32 v41, v42, v41
	v_mul_f32_e32 v42, v43, v41
	s_delay_alu instid0(VALU_DEP_1) | instskip(NEXT) | instid1(VALU_DEP_1)
	v_fma_f32 v45, -v40, v42, v43
	v_fmac_f32_e32 v42, v45, v41
	s_delay_alu instid0(VALU_DEP_1) | instskip(SKIP_1) | instid1(VALU_DEP_1)
	v_fma_f32 v40, -v40, v42, v43
	s_wait_alu 0xfffd
	v_div_fmas_f32 v40, v40, v41, v42
	s_delay_alu instid0(VALU_DEP_1) | instskip(NEXT) | instid1(VALU_DEP_1)
	v_div_fixup_f32 v41, v40, v1, v2
	v_fmac_f32_e32 v1, v2, v41
	s_delay_alu instid0(VALU_DEP_1) | instskip(SKIP_1) | instid1(VALU_DEP_2)
	v_div_scale_f32 v2, null, v1, v1, 1.0
	v_div_scale_f32 v43, vcc_lo, 1.0, v1, 1.0
	v_rcp_f32_e32 v40, v2
	s_delay_alu instid0(TRANS32_DEP_1) | instskip(NEXT) | instid1(VALU_DEP_1)
	v_fma_f32 v42, -v2, v40, 1.0
	v_fmac_f32_e32 v40, v42, v40
	s_delay_alu instid0(VALU_DEP_1) | instskip(NEXT) | instid1(VALU_DEP_1)
	v_mul_f32_e32 v42, v43, v40
	v_fma_f32 v45, -v2, v42, v43
	s_delay_alu instid0(VALU_DEP_1) | instskip(NEXT) | instid1(VALU_DEP_1)
	v_fmac_f32_e32 v42, v45, v40
	v_fma_f32 v2, -v2, v42, v43
	s_wait_alu 0xfffd
	s_delay_alu instid0(VALU_DEP_1) | instskip(NEXT) | instid1(VALU_DEP_1)
	v_div_fmas_f32 v2, v2, v40, v42
	v_div_fixup_f32 v40, v2, v1, 1.0
	s_delay_alu instid0(VALU_DEP_1)
	v_xor_b32_e32 v42, 0x80000000, v40
	v_mul_f32_e64 v41, v41, -v40
.LBB17_17:
	s_wait_alu 0xfffe
	s_or_b32 exec_lo, exec_lo, s1
	scratch_store_b64 v44, v[40:41], off
	scratch_load_b64 v[45:46], off, off offset:8
	v_xor_b32_e32 v43, 0x80000000, v41
	v_add_nc_u32_e32 v1, 0x90, v3
	s_wait_loadcnt 0x0
	ds_store_2addr_b64 v3, v[42:43], v[45:46] offset1:18
	s_wait_storecnt_dscnt 0x0
	s_barrier_signal -1
	s_barrier_wait -1
	global_inv scope:SCOPE_SE
	s_and_saveexec_b32 s1, s0
	s_cbranch_execz .LBB17_19
; %bb.18:
	scratch_load_b64 v[40:41], v44, off
	ds_load_b64 v[42:43], v1
	v_mov_b32_e32 v2, 0
	ds_load_b64 v[45:46], v2 offset:8
	s_wait_loadcnt_dscnt 0x1
	v_mul_f32_e32 v2, v42, v41
	v_mul_f32_e32 v41, v43, v41
	s_delay_alu instid0(VALU_DEP_2) | instskip(NEXT) | instid1(VALU_DEP_2)
	v_fmac_f32_e32 v2, v43, v40
	v_fma_f32 v40, v42, v40, -v41
	s_delay_alu instid0(VALU_DEP_2) | instskip(NEXT) | instid1(VALU_DEP_2)
	v_add_f32_e32 v2, 0, v2
	v_add_f32_e32 v40, 0, v40
	s_wait_dscnt 0x0
	s_delay_alu instid0(VALU_DEP_2) | instskip(NEXT) | instid1(VALU_DEP_2)
	v_mul_f32_e32 v42, v2, v46
	v_mul_f32_e32 v41, v40, v46
	s_delay_alu instid0(VALU_DEP_1) | instskip(NEXT) | instid1(VALU_DEP_3)
	v_fmac_f32_e32 v41, v2, v45
	v_fma_f32 v40, v40, v45, -v42
	scratch_store_b64 off, v[40:41], off offset:8
.LBB17_19:
	s_wait_alu 0xfffe
	s_or_b32 exec_lo, exec_lo, s1
	s_wait_loadcnt 0x0
	s_wait_storecnt 0x0
	s_barrier_signal -1
	s_barrier_wait -1
	global_inv scope:SCOPE_SE
	scratch_load_b64 v[40:41], off, off offset:16
	s_mov_b32 s1, exec_lo
	s_wait_loadcnt 0x0
	ds_store_b64 v1, v[40:41]
	s_wait_dscnt 0x0
	s_barrier_signal -1
	s_barrier_wait -1
	global_inv scope:SCOPE_SE
	v_cmpx_gt_u32_e32 2, v0
	s_cbranch_execz .LBB17_23
; %bb.20:
	scratch_load_b64 v[40:41], v44, off
	ds_load_b64 v[42:43], v1
	s_wait_loadcnt_dscnt 0x0
	v_mul_f32_e32 v2, v43, v41
	s_delay_alu instid0(VALU_DEP_1) | instskip(SKIP_1) | instid1(VALU_DEP_1)
	v_fma_f32 v2, v42, v40, -v2
	v_mul_f32_e32 v41, v42, v41
	v_dual_fmac_f32 v41, v43, v40 :: v_dual_add_f32 v40, 0, v2
	s_delay_alu instid0(VALU_DEP_1)
	v_add_f32_e32 v2, 0, v41
	s_and_saveexec_b32 s4, s0
	s_cbranch_execz .LBB17_22
; %bb.21:
	scratch_load_b64 v[41:42], off, off offset:8
	v_mov_b32_e32 v43, 0
	ds_load_b64 v[45:46], v43 offset:152
	s_wait_loadcnt_dscnt 0x0
	v_mul_f32_e32 v43, v45, v42
	v_mul_f32_e32 v42, v46, v42
	s_delay_alu instid0(VALU_DEP_2) | instskip(NEXT) | instid1(VALU_DEP_2)
	v_fmac_f32_e32 v43, v46, v41
	v_fma_f32 v41, v45, v41, -v42
	s_delay_alu instid0(VALU_DEP_2) | instskip(NEXT) | instid1(VALU_DEP_2)
	v_add_f32_e32 v2, v2, v43
	v_add_f32_e32 v40, v40, v41
.LBB17_22:
	s_wait_alu 0xfffe
	s_or_b32 exec_lo, exec_lo, s4
	v_mov_b32_e32 v41, 0
	ds_load_b64 v[41:42], v41 offset:16
	s_wait_dscnt 0x0
	v_mul_f32_e32 v45, v2, v42
	v_mul_f32_e32 v43, v40, v42
	s_delay_alu instid0(VALU_DEP_2) | instskip(NEXT) | instid1(VALU_DEP_2)
	v_fma_f32 v42, v40, v41, -v45
	v_fmac_f32_e32 v43, v2, v41
	scratch_store_b64 off, v[42:43], off offset:16
.LBB17_23:
	s_wait_alu 0xfffe
	s_or_b32 exec_lo, exec_lo, s1
	s_wait_loadcnt 0x0
	s_wait_storecnt 0x0
	s_barrier_signal -1
	s_barrier_wait -1
	global_inv scope:SCOPE_SE
	scratch_load_b64 v[40:41], off, off offset:24
	v_add_nc_u32_e32 v2, -1, v0
	s_mov_b32 s0, exec_lo
	s_wait_loadcnt 0x0
	ds_store_b64 v1, v[40:41]
	s_wait_dscnt 0x0
	s_barrier_signal -1
	s_barrier_wait -1
	global_inv scope:SCOPE_SE
	v_cmpx_gt_u32_e32 3, v0
	s_cbranch_execz .LBB17_27
; %bb.24:
	v_dual_mov_b32 v40, 0 :: v_dual_add_nc_u32 v41, -1, v0
	v_dual_mov_b32 v43, v3 :: v_dual_add_nc_u32 v42, 0x90, v3
	v_mov_b32_e32 v45, 0
	s_mov_b32 s1, 0
.LBB17_25:                              ; =>This Inner Loop Header: Depth=1
	scratch_load_b64 v[46:47], v43, off
	ds_load_b64 v[48:49], v42
	v_add_nc_u32_e32 v43, 8, v43
	v_add_nc_u32_e32 v41, 1, v41
	v_add_nc_u32_e32 v42, 8, v42
	s_delay_alu instid0(VALU_DEP_2)
	v_cmp_lt_u32_e32 vcc_lo, 1, v41
	s_wait_alu 0xfffe
	s_or_b32 s1, vcc_lo, s1
	s_wait_loadcnt_dscnt 0x0
	v_mul_f32_e32 v50, v49, v47
	v_mul_f32_e32 v47, v48, v47
	s_delay_alu instid0(VALU_DEP_2) | instskip(NEXT) | instid1(VALU_DEP_2)
	v_fma_f32 v48, v48, v46, -v50
	v_fmac_f32_e32 v47, v49, v46
	s_delay_alu instid0(VALU_DEP_1)
	v_dual_add_f32 v45, v45, v48 :: v_dual_add_f32 v40, v40, v47
	s_wait_alu 0xfffe
	s_and_not1_b32 exec_lo, exec_lo, s1
	s_cbranch_execnz .LBB17_25
; %bb.26:
	s_or_b32 exec_lo, exec_lo, s1
	v_mov_b32_e32 v41, 0
	ds_load_b64 v[41:42], v41 offset:24
	s_wait_dscnt 0x0
	v_mul_f32_e32 v46, v40, v42
	v_mul_f32_e32 v43, v45, v42
	s_delay_alu instid0(VALU_DEP_2) | instskip(NEXT) | instid1(VALU_DEP_2)
	v_fma_f32 v42, v45, v41, -v46
	v_fmac_f32_e32 v43, v40, v41
	scratch_store_b64 off, v[42:43], off offset:24
.LBB17_27:
	s_wait_alu 0xfffe
	s_or_b32 exec_lo, exec_lo, s0
	s_wait_loadcnt 0x0
	s_wait_storecnt 0x0
	s_barrier_signal -1
	s_barrier_wait -1
	global_inv scope:SCOPE_SE
	scratch_load_b64 v[40:41], off, off offset:32
	s_mov_b32 s0, exec_lo
	s_wait_loadcnt 0x0
	ds_store_b64 v1, v[40:41]
	s_wait_dscnt 0x0
	s_barrier_signal -1
	s_barrier_wait -1
	global_inv scope:SCOPE_SE
	v_cmpx_gt_u32_e32 4, v0
	s_cbranch_execz .LBB17_31
; %bb.28:
	v_dual_mov_b32 v40, 0 :: v_dual_add_nc_u32 v41, -1, v0
	v_dual_mov_b32 v43, v3 :: v_dual_add_nc_u32 v42, 0x90, v3
	v_mov_b32_e32 v45, 0
	s_mov_b32 s1, 0
.LBB17_29:                              ; =>This Inner Loop Header: Depth=1
	scratch_load_b64 v[46:47], v43, off
	ds_load_b64 v[48:49], v42
	v_add_nc_u32_e32 v43, 8, v43
	v_add_nc_u32_e32 v41, 1, v41
	v_add_nc_u32_e32 v42, 8, v42
	s_delay_alu instid0(VALU_DEP_2)
	v_cmp_lt_u32_e32 vcc_lo, 2, v41
	s_wait_alu 0xfffe
	s_or_b32 s1, vcc_lo, s1
	s_wait_loadcnt_dscnt 0x0
	v_mul_f32_e32 v50, v49, v47
	v_mul_f32_e32 v47, v48, v47
	s_delay_alu instid0(VALU_DEP_2) | instskip(NEXT) | instid1(VALU_DEP_2)
	v_fma_f32 v48, v48, v46, -v50
	v_fmac_f32_e32 v47, v49, v46
	s_delay_alu instid0(VALU_DEP_1)
	v_dual_add_f32 v45, v45, v48 :: v_dual_add_f32 v40, v40, v47
	s_wait_alu 0xfffe
	s_and_not1_b32 exec_lo, exec_lo, s1
	s_cbranch_execnz .LBB17_29
; %bb.30:
	s_or_b32 exec_lo, exec_lo, s1
	v_mov_b32_e32 v41, 0
	ds_load_b64 v[41:42], v41 offset:32
	s_wait_dscnt 0x0
	v_mul_f32_e32 v46, v40, v42
	v_mul_f32_e32 v43, v45, v42
	s_delay_alu instid0(VALU_DEP_2) | instskip(NEXT) | instid1(VALU_DEP_2)
	v_fma_f32 v42, v45, v41, -v46
	v_fmac_f32_e32 v43, v40, v41
	scratch_store_b64 off, v[42:43], off offset:32
.LBB17_31:
	s_wait_alu 0xfffe
	s_or_b32 exec_lo, exec_lo, s0
	s_wait_loadcnt 0x0
	s_wait_storecnt 0x0
	s_barrier_signal -1
	s_barrier_wait -1
	global_inv scope:SCOPE_SE
	scratch_load_b64 v[40:41], off, off offset:40
	;; [unrolled: 55-line block ×13, first 2 shown]
	s_mov_b32 s0, exec_lo
	s_wait_loadcnt 0x0
	ds_store_b64 v1, v[40:41]
	s_wait_dscnt 0x0
	s_barrier_signal -1
	s_barrier_wait -1
	global_inv scope:SCOPE_SE
	v_cmpx_gt_u32_e32 16, v0
	s_cbranch_execz .LBB17_79
; %bb.76:
	v_add_nc_u32_e32 v40, -1, v0
	v_dual_mov_b32 v42, v3 :: v_dual_add_nc_u32 v41, 0x90, v3
	v_mov_b32_e32 v3, 0
	v_mov_b32_e32 v43, 0
	s_mov_b32 s1, 0
.LBB17_77:                              ; =>This Inner Loop Header: Depth=1
	scratch_load_b64 v[45:46], v42, off
	ds_load_b64 v[47:48], v41
	v_add_nc_u32_e32 v42, 8, v42
	v_add_nc_u32_e32 v40, 1, v40
	;; [unrolled: 1-line block ×3, first 2 shown]
	s_delay_alu instid0(VALU_DEP_2)
	v_cmp_lt_u32_e32 vcc_lo, 14, v40
	s_wait_alu 0xfffe
	s_or_b32 s1, vcc_lo, s1
	s_wait_loadcnt_dscnt 0x0
	v_mul_f32_e32 v49, v48, v46
	v_mul_f32_e32 v46, v47, v46
	s_delay_alu instid0(VALU_DEP_2) | instskip(NEXT) | instid1(VALU_DEP_1)
	v_fma_f32 v47, v47, v45, -v49
	v_dual_fmac_f32 v46, v48, v45 :: v_dual_add_f32 v43, v43, v47
	s_delay_alu instid0(VALU_DEP_1)
	v_add_f32_e32 v3, v3, v46
	s_wait_alu 0xfffe
	s_and_not1_b32 exec_lo, exec_lo, s1
	s_cbranch_execnz .LBB17_77
; %bb.78:
	s_or_b32 exec_lo, exec_lo, s1
	v_mov_b32_e32 v40, 0
	ds_load_b64 v[40:41], v40 offset:128
	s_wait_dscnt 0x0
	v_mul_f32_e32 v45, v3, v41
	v_mul_f32_e32 v42, v43, v41
	s_delay_alu instid0(VALU_DEP_2) | instskip(NEXT) | instid1(VALU_DEP_2)
	v_fma_f32 v41, v43, v40, -v45
	v_fmac_f32_e32 v42, v3, v40
	scratch_store_b64 off, v[41:42], off offset:128
.LBB17_79:
	s_wait_alu 0xfffe
	s_or_b32 exec_lo, exec_lo, s0
	s_wait_loadcnt 0x0
	s_wait_storecnt 0x0
	s_barrier_signal -1
	s_barrier_wait -1
	global_inv scope:SCOPE_SE
	scratch_load_b64 v[40:41], off, off offset:136
	s_mov_b32 s0, exec_lo
	s_wait_loadcnt 0x0
	ds_store_b64 v1, v[40:41]
	s_wait_dscnt 0x0
	s_barrier_signal -1
	s_barrier_wait -1
	global_inv scope:SCOPE_SE
	v_cmpx_ne_u32_e32 17, v0
	s_cbranch_execz .LBB17_83
; %bb.80:
	v_dual_mov_b32 v3, 0 :: v_dual_mov_b32 v40, 0
	s_mov_b32 s1, 0
.LBB17_81:                              ; =>This Inner Loop Header: Depth=1
	scratch_load_b64 v[41:42], v44, off
	ds_load_b64 v[45:46], v1
	v_add_nc_u32_e32 v2, 1, v2
	v_add_nc_u32_e32 v1, 8, v1
	;; [unrolled: 1-line block ×3, first 2 shown]
	s_delay_alu instid0(VALU_DEP_3)
	v_cmp_lt_u32_e32 vcc_lo, 15, v2
	s_wait_alu 0xfffe
	s_or_b32 s1, vcc_lo, s1
	s_wait_loadcnt_dscnt 0x0
	v_mul_f32_e32 v43, v46, v42
	v_mul_f32_e32 v42, v45, v42
	s_delay_alu instid0(VALU_DEP_2) | instskip(NEXT) | instid1(VALU_DEP_2)
	v_fma_f32 v43, v45, v41, -v43
	v_fmac_f32_e32 v42, v46, v41
	s_delay_alu instid0(VALU_DEP_1)
	v_dual_add_f32 v40, v40, v43 :: v_dual_add_f32 v3, v3, v42
	s_wait_alu 0xfffe
	s_and_not1_b32 exec_lo, exec_lo, s1
	s_cbranch_execnz .LBB17_81
; %bb.82:
	s_or_b32 exec_lo, exec_lo, s1
	v_mov_b32_e32 v1, 0
	ds_load_b64 v[1:2], v1 offset:136
	s_wait_dscnt 0x0
	v_mul_f32_e32 v42, v3, v2
	v_mul_f32_e32 v41, v40, v2
	s_delay_alu instid0(VALU_DEP_2) | instskip(NEXT) | instid1(VALU_DEP_2)
	v_fma_f32 v40, v40, v1, -v42
	v_fmac_f32_e32 v41, v3, v1
	scratch_store_b64 off, v[40:41], off offset:136
.LBB17_83:
	s_wait_alu 0xfffe
	s_or_b32 exec_lo, exec_lo, s0
	s_mov_b32 s1, -1
	s_wait_loadcnt 0x0
	s_wait_storecnt 0x0
	s_barrier_signal -1
	s_barrier_wait -1
	global_inv scope:SCOPE_SE
.LBB17_84:
	s_wait_alu 0xfffe
	s_and_b32 vcc_lo, exec_lo, s1
	s_wait_alu 0xfffe
	s_cbranch_vccz .LBB17_86
; %bb.85:
	v_mov_b32_e32 v1, 0
	s_lshl_b64 s[0:1], s[16:17], 2
	s_wait_alu 0xfffe
	s_add_nc_u64 s[0:1], s[6:7], s[0:1]
	global_load_b32 v1, v1, s[0:1]
	s_wait_loadcnt 0x0
	v_cmp_ne_u32_e32 vcc_lo, 0, v1
	s_cbranch_vccz .LBB17_87
.LBB17_86:
	s_nop 0
	s_sendmsg sendmsg(MSG_DEALLOC_VGPRS)
	s_endpgm
.LBB17_87:
	v_lshl_add_u32 v3, v0, 3, 0x90
	s_mov_b32 s0, exec_lo
	v_cmpx_eq_u32_e32 17, v0
	s_cbranch_execz .LBB17_89
; %bb.88:
	scratch_load_b64 v[1:2], off, off offset:128
	v_mov_b32_e32 v40, 0
	s_delay_alu instid0(VALU_DEP_1)
	v_mov_b32_e32 v41, v40
	scratch_store_b64 off, v[40:41], off offset:128
	s_wait_loadcnt 0x0
	ds_store_b64 v3, v[1:2]
.LBB17_89:
	s_wait_alu 0xfffe
	s_or_b32 exec_lo, exec_lo, s0
	s_wait_storecnt_dscnt 0x0
	s_barrier_signal -1
	s_barrier_wait -1
	global_inv scope:SCOPE_SE
	s_clause 0x1
	scratch_load_b64 v[40:41], off, off offset:136
	scratch_load_b64 v[42:43], off, off offset:128
	v_mov_b32_e32 v1, 0
	s_mov_b32 s0, exec_lo
	ds_load_b64 v[44:45], v1 offset:280
	s_wait_loadcnt_dscnt 0x100
	v_mul_f32_e32 v2, v45, v41
	s_delay_alu instid0(VALU_DEP_1) | instskip(NEXT) | instid1(VALU_DEP_1)
	v_fma_f32 v2, v44, v40, -v2
	v_dual_mul_f32 v41, v44, v41 :: v_dual_add_f32 v2, 0, v2
	s_wait_loadcnt 0x0
	s_delay_alu instid0(VALU_DEP_1) | instskip(NEXT) | instid1(VALU_DEP_1)
	v_dual_fmac_f32 v41, v45, v40 :: v_dual_sub_f32 v40, v42, v2
	v_add_f32_e32 v41, 0, v41
	s_delay_alu instid0(VALU_DEP_1)
	v_sub_f32_e32 v41, v43, v41
	scratch_store_b64 off, v[40:41], off offset:128
	v_cmpx_lt_u32_e32 15, v0
	s_cbranch_execz .LBB17_91
; %bb.90:
	scratch_load_b64 v[40:41], off, off offset:120
	v_mov_b32_e32 v2, v1
	scratch_store_b64 off, v[1:2], off offset:120
	s_wait_loadcnt 0x0
	ds_store_b64 v3, v[40:41]
.LBB17_91:
	s_wait_alu 0xfffe
	s_or_b32 exec_lo, exec_lo, s0
	s_wait_storecnt_dscnt 0x0
	s_barrier_signal -1
	s_barrier_wait -1
	global_inv scope:SCOPE_SE
	s_clause 0x1
	scratch_load_b128 v[40:43], off, off offset:128
	scratch_load_b64 v[48:49], off, off offset:120
	ds_load_b128 v[44:47], v1 offset:272
	s_mov_b32 s0, exec_lo
	s_wait_loadcnt_dscnt 0x100
	v_mul_f32_e32 v2, v44, v41
	s_delay_alu instid0(VALU_DEP_1) | instskip(SKIP_2) | instid1(VALU_DEP_1)
	v_fmac_f32_e32 v2, v45, v40
	v_mul_f32_e32 v1, v45, v41
	v_mul_f32_e32 v41, v46, v43
	v_fmac_f32_e32 v41, v47, v42
	s_delay_alu instid0(VALU_DEP_4) | instskip(NEXT) | instid1(VALU_DEP_4)
	v_dual_add_f32 v2, 0, v2 :: v_dual_mul_f32 v43, v47, v43
	v_fma_f32 v1, v44, v40, -v1
	s_delay_alu instid0(VALU_DEP_2) | instskip(NEXT) | instid1(VALU_DEP_3)
	v_add_f32_e32 v2, v2, v41
	v_fma_f32 v40, v46, v42, -v43
	s_wait_loadcnt 0x0
	s_delay_alu instid0(VALU_DEP_2) | instskip(NEXT) | instid1(VALU_DEP_1)
	v_dual_add_f32 v1, 0, v1 :: v_dual_sub_f32 v2, v49, v2
	v_add_f32_e32 v1, v1, v40
	s_delay_alu instid0(VALU_DEP_1)
	v_sub_f32_e32 v1, v48, v1
	scratch_store_b64 off, v[1:2], off offset:120
	v_cmpx_lt_u32_e32 14, v0
	s_cbranch_execz .LBB17_93
; %bb.92:
	scratch_load_b64 v[1:2], off, off offset:112
	v_mov_b32_e32 v40, 0
	s_delay_alu instid0(VALU_DEP_1)
	v_mov_b32_e32 v41, v40
	scratch_store_b64 off, v[40:41], off offset:112
	s_wait_loadcnt 0x0
	ds_store_b64 v3, v[1:2]
.LBB17_93:
	s_wait_alu 0xfffe
	s_or_b32 exec_lo, exec_lo, s0
	s_wait_storecnt_dscnt 0x0
	s_barrier_signal -1
	s_barrier_wait -1
	global_inv scope:SCOPE_SE
	s_clause 0x2
	scratch_load_b128 v[40:43], off, off offset:120
	scratch_load_b64 v[48:49], off, off offset:136
	scratch_load_b64 v[50:51], off, off offset:112
	v_mov_b32_e32 v1, 0
	ds_load_2addr_b64 v[44:47], v1 offset0:33 offset1:34
	ds_load_b64 v[52:53], v1 offset:280
	s_mov_b32 s0, exec_lo
	s_wait_loadcnt_dscnt 0x201
	v_mul_f32_e32 v2, v45, v41
	v_dual_mul_f32 v41, v44, v41 :: v_dual_mul_f32 v54, v46, v43
	v_mul_f32_e32 v43, v47, v43
	s_wait_loadcnt_dscnt 0x100
	v_mul_f32_e32 v55, v52, v49
	v_fma_f32 v2, v44, v40, -v2
	v_fmac_f32_e32 v41, v45, v40
	v_mul_f32_e32 v40, v53, v49
	v_fmac_f32_e32 v54, v47, v42
	v_fma_f32 v42, v46, v42, -v43
	s_delay_alu instid0(VALU_DEP_4) | instskip(NEXT) | instid1(VALU_DEP_4)
	v_dual_add_f32 v2, 0, v2 :: v_dual_add_f32 v41, 0, v41
	v_fma_f32 v40, v52, v48, -v40
	s_delay_alu instid0(VALU_DEP_2) | instskip(NEXT) | instid1(VALU_DEP_1)
	v_add_f32_e32 v2, v2, v42
	v_dual_add_f32 v41, v41, v54 :: v_dual_add_f32 v2, v2, v40
	s_wait_loadcnt 0x0
	s_delay_alu instid0(VALU_DEP_1) | instskip(NEXT) | instid1(VALU_DEP_1)
	v_dual_fmac_f32 v55, v53, v48 :: v_dual_sub_f32 v40, v50, v2
	v_add_f32_e32 v41, v41, v55
	s_delay_alu instid0(VALU_DEP_1)
	v_sub_f32_e32 v41, v51, v41
	scratch_store_b64 off, v[40:41], off offset:112
	v_cmpx_lt_u32_e32 13, v0
	s_cbranch_execz .LBB17_95
; %bb.94:
	scratch_load_b64 v[40:41], off, off offset:104
	v_mov_b32_e32 v2, v1
	scratch_store_b64 off, v[1:2], off offset:104
	s_wait_loadcnt 0x0
	ds_store_b64 v3, v[40:41]
.LBB17_95:
	s_wait_alu 0xfffe
	s_or_b32 exec_lo, exec_lo, s0
	s_wait_storecnt_dscnt 0x0
	s_barrier_signal -1
	s_barrier_wait -1
	global_inv scope:SCOPE_SE
	s_clause 0x2
	scratch_load_b128 v[40:43], off, off offset:112
	scratch_load_b128 v[44:47], off, off offset:128
	scratch_load_b64 v[56:57], off, off offset:104
	ds_load_b128 v[48:51], v1 offset:256
	ds_load_b128 v[52:55], v1 offset:272
	s_mov_b32 s0, exec_lo
	s_wait_loadcnt_dscnt 0x201
	v_mul_f32_e32 v2, v49, v41
	s_wait_loadcnt_dscnt 0x100
	v_dual_mul_f32 v58, v52, v45 :: v_dual_mul_f32 v59, v54, v47
	s_delay_alu instid0(VALU_DEP_2) | instskip(SKIP_2) | instid1(VALU_DEP_4)
	v_fma_f32 v2, v48, v40, -v2
	v_mul_f32_e32 v1, v48, v41
	v_mul_f32_e32 v41, v50, v43
	v_dual_mul_f32 v43, v51, v43 :: v_dual_fmac_f32 v58, v53, v44
	s_delay_alu instid0(VALU_DEP_3) | instskip(NEXT) | instid1(VALU_DEP_3)
	v_dual_add_f32 v2, 0, v2 :: v_dual_fmac_f32 v1, v49, v40
	v_dual_mul_f32 v40, v53, v45 :: v_dual_fmac_f32 v41, v51, v42
	s_delay_alu instid0(VALU_DEP_3) | instskip(SKIP_1) | instid1(VALU_DEP_3)
	v_fma_f32 v42, v50, v42, -v43
	v_fmac_f32_e32 v59, v55, v46
	v_fma_f32 v40, v52, v44, -v40
	s_delay_alu instid0(VALU_DEP_3) | instskip(NEXT) | instid1(VALU_DEP_1)
	v_dual_add_f32 v2, v2, v42 :: v_dual_add_f32 v1, 0, v1
	v_dual_add_f32 v2, v2, v40 :: v_dual_mul_f32 v43, v55, v47
	s_delay_alu instid0(VALU_DEP_2) | instskip(NEXT) | instid1(VALU_DEP_2)
	v_add_f32_e32 v1, v1, v41
	v_fma_f32 v41, v54, v46, -v43
	s_delay_alu instid0(VALU_DEP_1) | instskip(SKIP_1) | instid1(VALU_DEP_1)
	v_dual_add_f32 v1, v1, v58 :: v_dual_add_f32 v2, v2, v41
	s_wait_loadcnt 0x0
	v_dual_add_f32 v40, v1, v59 :: v_dual_sub_f32 v1, v56, v2
	s_delay_alu instid0(VALU_DEP_1)
	v_sub_f32_e32 v2, v57, v40
	scratch_store_b64 off, v[1:2], off offset:104
	v_cmpx_lt_u32_e32 12, v0
	s_cbranch_execz .LBB17_97
; %bb.96:
	scratch_load_b64 v[1:2], off, off offset:96
	v_mov_b32_e32 v40, 0
	s_delay_alu instid0(VALU_DEP_1)
	v_mov_b32_e32 v41, v40
	scratch_store_b64 off, v[40:41], off offset:96
	s_wait_loadcnt 0x0
	ds_store_b64 v3, v[1:2]
.LBB17_97:
	s_wait_alu 0xfffe
	s_or_b32 exec_lo, exec_lo, s0
	s_wait_storecnt_dscnt 0x0
	s_barrier_signal -1
	s_barrier_wait -1
	global_inv scope:SCOPE_SE
	s_clause 0x3
	scratch_load_b128 v[40:43], off, off offset:104
	scratch_load_b128 v[44:47], off, off offset:120
	scratch_load_b64 v[56:57], off, off offset:136
	scratch_load_b64 v[58:59], off, off offset:96
	v_mov_b32_e32 v1, 0
	ds_load_2addr_b64 v[48:51], v1 offset0:31 offset1:32
	ds_load_2addr_b64 v[52:55], v1 offset0:33 offset1:34
	ds_load_b64 v[60:61], v1 offset:280
	s_mov_b32 s0, exec_lo
	s_wait_loadcnt_dscnt 0x302
	v_mul_f32_e32 v2, v48, v41
	v_dual_mul_f32 v62, v50, v43 :: v_dual_mul_f32 v41, v49, v41
	s_wait_loadcnt_dscnt 0x100
	v_mul_f32_e32 v65, v60, v57
	v_dual_mul_f32 v63, v52, v45 :: v_dual_mul_f32 v64, v54, v47
	v_dual_fmac_f32 v2, v49, v40 :: v_dual_mul_f32 v43, v51, v43
	v_fma_f32 v41, v48, v40, -v41
	v_fmac_f32_e32 v62, v51, v42
	v_mul_f32_e32 v40, v53, v45
	s_delay_alu instid0(VALU_DEP_4) | instskip(SKIP_3) | instid1(VALU_DEP_4)
	v_add_f32_e32 v2, 0, v2
	v_fma_f32 v42, v50, v42, -v43
	v_add_f32_e32 v41, 0, v41
	v_mul_f32_e32 v43, v55, v47
	v_dual_fmac_f32 v63, v53, v44 :: v_dual_add_f32 v2, v2, v62
	v_dual_fmac_f32 v64, v55, v46 :: v_dual_fmac_f32 v65, v61, v56
	s_delay_alu instid0(VALU_DEP_4) | instskip(SKIP_1) | instid1(VALU_DEP_4)
	v_add_f32_e32 v41, v41, v42
	v_fma_f32 v40, v52, v44, -v40
	v_add_f32_e32 v2, v2, v63
	v_fma_f32 v43, v54, v46, -v43
	s_delay_alu instid0(VALU_DEP_3) | instskip(NEXT) | instid1(VALU_DEP_3)
	v_add_f32_e32 v40, v41, v40
	v_add_f32_e32 v2, v2, v64
	s_delay_alu instid0(VALU_DEP_2) | instskip(NEXT) | instid1(VALU_DEP_2)
	v_add_f32_e32 v40, v40, v43
	v_add_f32_e32 v2, v2, v65
	v_mul_f32_e32 v42, v61, v57
	s_delay_alu instid0(VALU_DEP_1) | instskip(SKIP_1) | instid1(VALU_DEP_1)
	v_fma_f32 v41, v60, v56, -v42
	s_wait_loadcnt 0x0
	v_dual_add_f32 v40, v40, v41 :: v_dual_sub_f32 v41, v59, v2
	s_delay_alu instid0(VALU_DEP_1)
	v_sub_f32_e32 v40, v58, v40
	scratch_store_b64 off, v[40:41], off offset:96
	v_cmpx_lt_u32_e32 11, v0
	s_cbranch_execz .LBB17_99
; %bb.98:
	scratch_load_b64 v[40:41], off, off offset:88
	v_mov_b32_e32 v2, v1
	scratch_store_b64 off, v[1:2], off offset:88
	s_wait_loadcnt 0x0
	ds_store_b64 v3, v[40:41]
.LBB17_99:
	s_wait_alu 0xfffe
	s_or_b32 exec_lo, exec_lo, s0
	s_wait_storecnt_dscnt 0x0
	s_barrier_signal -1
	s_barrier_wait -1
	global_inv scope:SCOPE_SE
	s_clause 0x3
	scratch_load_b128 v[40:43], off, off offset:96
	scratch_load_b128 v[44:47], off, off offset:112
	;; [unrolled: 1-line block ×3, first 2 shown]
	scratch_load_b64 v[64:65], off, off offset:88
	ds_load_b128 v[52:55], v1 offset:240
	ds_load_b128 v[56:59], v1 offset:256
	;; [unrolled: 1-line block ×3, first 2 shown]
	s_mov_b32 s0, exec_lo
	s_wait_loadcnt_dscnt 0x302
	v_dual_mul_f32 v1, v52, v41 :: v_dual_mul_f32 v2, v54, v43
	v_mul_f32_e32 v41, v53, v41
	s_wait_loadcnt_dscnt 0x201
	v_dual_mul_f32 v43, v55, v43 :: v_dual_mul_f32 v66, v56, v45
	s_delay_alu instid0(VALU_DEP_3) | instskip(NEXT) | instid1(VALU_DEP_3)
	v_dual_mul_f32 v67, v58, v47 :: v_dual_fmac_f32 v2, v55, v42
	v_fma_f32 v41, v52, v40, -v41
	v_fmac_f32_e32 v1, v53, v40
	v_mul_f32_e32 v40, v57, v45
	v_fma_f32 v42, v54, v42, -v43
	v_mul_f32_e32 v43, v59, v47
	v_dual_add_f32 v41, 0, v41 :: v_dual_fmac_f32 v66, v57, v44
	s_delay_alu instid0(VALU_DEP_4) | instskip(SKIP_2) | instid1(VALU_DEP_3)
	v_fma_f32 v40, v56, v44, -v40
	s_wait_loadcnt_dscnt 0x100
	v_dual_mul_f32 v68, v60, v49 :: v_dual_mul_f32 v69, v62, v51
	v_add_f32_e32 v41, v41, v42
	v_fmac_f32_e32 v67, v59, v46
	v_fma_f32 v42, v58, v46, -v43
	s_delay_alu instid0(VALU_DEP_4) | instskip(NEXT) | instid1(VALU_DEP_4)
	v_dual_fmac_f32 v68, v61, v48 :: v_dual_fmac_f32 v69, v63, v50
	v_add_f32_e32 v40, v41, v40
	s_delay_alu instid0(VALU_DEP_1) | instskip(SKIP_1) | instid1(VALU_DEP_1)
	v_dual_add_f32 v40, v40, v42 :: v_dual_add_f32 v1, 0, v1
	v_mul_f32_e32 v41, v63, v51
	v_fma_f32 v41, v62, v50, -v41
	s_delay_alu instid0(VALU_DEP_3) | instskip(SKIP_1) | instid1(VALU_DEP_1)
	v_add_f32_e32 v1, v1, v2
	v_mul_f32_e32 v2, v61, v49
	v_fma_f32 v2, v60, v48, -v2
	s_delay_alu instid0(VALU_DEP_1) | instskip(NEXT) | instid1(VALU_DEP_1)
	v_add_f32_e32 v2, v40, v2
	v_dual_add_f32 v2, v2, v41 :: v_dual_add_f32 v1, v1, v66
	s_delay_alu instid0(VALU_DEP_1) | instskip(NEXT) | instid1(VALU_DEP_1)
	v_add_f32_e32 v1, v1, v67
	v_add_f32_e32 v1, v1, v68
	s_wait_loadcnt 0x0
	s_delay_alu instid0(VALU_DEP_1) | instskip(NEXT) | instid1(VALU_DEP_1)
	v_dual_add_f32 v40, v1, v69 :: v_dual_sub_f32 v1, v64, v2
	v_sub_f32_e32 v2, v65, v40
	scratch_store_b64 off, v[1:2], off offset:88
	v_cmpx_lt_u32_e32 10, v0
	s_cbranch_execz .LBB17_101
; %bb.100:
	scratch_load_b64 v[1:2], off, off offset:80
	v_mov_b32_e32 v40, 0
	s_delay_alu instid0(VALU_DEP_1)
	v_mov_b32_e32 v41, v40
	scratch_store_b64 off, v[40:41], off offset:80
	s_wait_loadcnt 0x0
	ds_store_b64 v3, v[1:2]
.LBB17_101:
	s_wait_alu 0xfffe
	s_or_b32 exec_lo, exec_lo, s0
	s_wait_storecnt_dscnt 0x0
	s_barrier_signal -1
	s_barrier_wait -1
	global_inv scope:SCOPE_SE
	s_clause 0x4
	scratch_load_b128 v[40:43], off, off offset:88
	scratch_load_b128 v[44:47], off, off offset:104
	;; [unrolled: 1-line block ×3, first 2 shown]
	scratch_load_b64 v[64:65], off, off offset:136
	scratch_load_b64 v[66:67], off, off offset:80
	v_mov_b32_e32 v1, 0
	ds_load_2addr_b64 v[52:55], v1 offset0:29 offset1:30
	ds_load_2addr_b64 v[56:59], v1 offset0:31 offset1:32
	;; [unrolled: 1-line block ×3, first 2 shown]
	ds_load_b64 v[68:69], v1 offset:280
	s_mov_b32 s0, exec_lo
	s_wait_loadcnt_dscnt 0x403
	v_mul_f32_e32 v2, v52, v41
	s_wait_loadcnt_dscnt 0x302
	v_dual_mul_f32 v70, v54, v43 :: v_dual_mul_f32 v71, v56, v45
	v_dual_mul_f32 v72, v58, v47 :: v_dual_mul_f32 v41, v53, v41
	s_wait_loadcnt_dscnt 0x100
	v_dual_mul_f32 v75, v68, v65 :: v_dual_fmac_f32 v2, v53, v40
	v_mul_f32_e32 v43, v55, v43
	v_dual_mul_f32 v73, v60, v49 :: v_dual_mul_f32 v74, v62, v51
	v_fma_f32 v41, v52, v40, -v41
	v_fmac_f32_e32 v70, v55, v42
	v_add_f32_e32 v2, 0, v2
	v_mul_f32_e32 v40, v57, v45
	v_fma_f32 v42, v54, v42, -v43
	v_add_f32_e32 v41, 0, v41
	v_mul_f32_e32 v43, v59, v47
	v_dual_fmac_f32 v71, v57, v44 :: v_dual_add_f32 v2, v2, v70
	v_dual_fmac_f32 v72, v59, v46 :: v_dual_fmac_f32 v73, v61, v48
	s_delay_alu instid0(VALU_DEP_4) | instskip(SKIP_1) | instid1(VALU_DEP_4)
	v_add_f32_e32 v41, v41, v42
	v_dual_fmac_f32 v74, v63, v50 :: v_dual_fmac_f32 v75, v69, v64
	v_add_f32_e32 v2, v2, v71
	v_fma_f32 v40, v56, v44, -v40
	v_mul_f32_e32 v42, v61, v49
	v_fma_f32 v43, v58, v46, -v43
	s_delay_alu instid0(VALU_DEP_4) | instskip(NEXT) | instid1(VALU_DEP_1)
	v_add_f32_e32 v2, v2, v72
	v_add_f32_e32 v2, v2, v73
	s_delay_alu instid0(VALU_DEP_1) | instskip(NEXT) | instid1(VALU_DEP_1)
	v_add_f32_e32 v2, v2, v74
	v_add_f32_e32 v2, v2, v75
	v_dual_add_f32 v40, v41, v40 :: v_dual_mul_f32 v41, v63, v51
	v_fma_f32 v42, v60, v48, -v42
	s_delay_alu instid0(VALU_DEP_2) | instskip(NEXT) | instid1(VALU_DEP_3)
	v_dual_add_f32 v40, v40, v43 :: v_dual_mul_f32 v43, v69, v65
	v_fma_f32 v41, v62, v50, -v41
	s_delay_alu instid0(VALU_DEP_2) | instskip(NEXT) | instid1(VALU_DEP_3)
	v_add_f32_e32 v40, v40, v42
	v_fma_f32 v42, v68, v64, -v43
	s_wait_loadcnt 0x0
	s_delay_alu instid0(VALU_DEP_2) | instskip(NEXT) | instid1(VALU_DEP_1)
	v_dual_add_f32 v40, v40, v41 :: v_dual_sub_f32 v41, v67, v2
	v_add_f32_e32 v40, v40, v42
	s_delay_alu instid0(VALU_DEP_1)
	v_sub_f32_e32 v40, v66, v40
	scratch_store_b64 off, v[40:41], off offset:80
	v_cmpx_lt_u32_e32 9, v0
	s_cbranch_execz .LBB17_103
; %bb.102:
	scratch_load_b64 v[40:41], off, off offset:72
	v_mov_b32_e32 v2, v1
	scratch_store_b64 off, v[1:2], off offset:72
	s_wait_loadcnt 0x0
	ds_store_b64 v3, v[40:41]
.LBB17_103:
	s_wait_alu 0xfffe
	s_or_b32 exec_lo, exec_lo, s0
	s_wait_storecnt_dscnt 0x0
	s_barrier_signal -1
	s_barrier_wait -1
	global_inv scope:SCOPE_SE
	s_clause 0x4
	scratch_load_b128 v[40:43], off, off offset:80
	scratch_load_b128 v[44:47], off, off offset:96
	;; [unrolled: 1-line block ×4, first 2 shown]
	scratch_load_b64 v[72:73], off, off offset:72
	ds_load_b128 v[56:59], v1 offset:224
	ds_load_b128 v[60:63], v1 offset:240
	;; [unrolled: 1-line block ×4, first 2 shown]
	s_mov_b32 s0, exec_lo
	s_wait_loadcnt_dscnt 0x403
	v_dual_mul_f32 v1, v56, v41 :: v_dual_mul_f32 v2, v58, v43
	v_mul_f32_e32 v41, v57, v41
	s_wait_loadcnt_dscnt 0x302
	v_dual_mul_f32 v43, v59, v43 :: v_dual_mul_f32 v74, v60, v45
	s_delay_alu instid0(VALU_DEP_3) | instskip(NEXT) | instid1(VALU_DEP_3)
	v_dual_mul_f32 v75, v62, v47 :: v_dual_fmac_f32 v2, v59, v42
	v_fma_f32 v41, v56, v40, -v41
	v_fmac_f32_e32 v1, v57, v40
	v_mul_f32_e32 v40, v61, v45
	v_fma_f32 v42, v58, v42, -v43
	v_mul_f32_e32 v43, v63, v47
	v_dual_add_f32 v41, 0, v41 :: v_dual_fmac_f32 v74, v61, v44
	s_delay_alu instid0(VALU_DEP_4) | instskip(SKIP_2) | instid1(VALU_DEP_3)
	v_fma_f32 v40, v60, v44, -v40
	s_wait_loadcnt_dscnt 0x201
	v_dual_mul_f32 v76, v64, v49 :: v_dual_mul_f32 v77, v66, v51
	v_add_f32_e32 v41, v41, v42
	v_fmac_f32_e32 v75, v63, v46
	v_fma_f32 v42, v62, v46, -v43
	s_wait_loadcnt_dscnt 0x100
	v_dual_mul_f32 v78, v68, v53 :: v_dual_mul_f32 v79, v70, v55
	v_dual_add_f32 v40, v41, v40 :: v_dual_mul_f32 v41, v67, v51
	v_dual_fmac_f32 v76, v65, v48 :: v_dual_fmac_f32 v77, v67, v50
	s_delay_alu instid0(VALU_DEP_3) | instskip(NEXT) | instid1(VALU_DEP_3)
	v_fmac_f32_e32 v78, v69, v52
	v_dual_add_f32 v40, v40, v42 :: v_dual_add_f32 v1, 0, v1
	v_mul_f32_e32 v42, v69, v53
	v_fma_f32 v41, v66, v50, -v41
	v_fmac_f32_e32 v79, v71, v54
	s_delay_alu instid0(VALU_DEP_4) | instskip(SKIP_2) | instid1(VALU_DEP_2)
	v_add_f32_e32 v1, v1, v2
	v_mul_f32_e32 v2, v65, v49
	v_fma_f32 v42, v68, v52, -v42
	v_fma_f32 v2, v64, v48, -v2
	s_delay_alu instid0(VALU_DEP_1) | instskip(SKIP_1) | instid1(VALU_DEP_2)
	v_add_f32_e32 v2, v40, v2
	v_mul_f32_e32 v40, v71, v55
	v_add_f32_e32 v2, v2, v41
	s_delay_alu instid0(VALU_DEP_2) | instskip(NEXT) | instid1(VALU_DEP_2)
	v_fma_f32 v40, v70, v54, -v40
	v_add_f32_e32 v2, v2, v42
	s_delay_alu instid0(VALU_DEP_1) | instskip(NEXT) | instid1(VALU_DEP_1)
	v_dual_add_f32 v1, v1, v74 :: v_dual_add_f32 v2, v2, v40
	v_add_f32_e32 v1, v1, v75
	s_delay_alu instid0(VALU_DEP_1) | instskip(NEXT) | instid1(VALU_DEP_1)
	v_add_f32_e32 v1, v1, v76
	v_add_f32_e32 v1, v1, v77
	s_delay_alu instid0(VALU_DEP_1) | instskip(SKIP_1) | instid1(VALU_DEP_1)
	v_add_f32_e32 v1, v1, v78
	s_wait_loadcnt 0x0
	v_dual_add_f32 v40, v1, v79 :: v_dual_sub_f32 v1, v72, v2
	s_delay_alu instid0(VALU_DEP_1)
	v_sub_f32_e32 v2, v73, v40
	scratch_store_b64 off, v[1:2], off offset:72
	v_cmpx_lt_u32_e32 8, v0
	s_cbranch_execz .LBB17_105
; %bb.104:
	scratch_load_b64 v[1:2], off, off offset:64
	v_mov_b32_e32 v40, 0
	s_delay_alu instid0(VALU_DEP_1)
	v_mov_b32_e32 v41, v40
	scratch_store_b64 off, v[40:41], off offset:64
	s_wait_loadcnt 0x0
	ds_store_b64 v3, v[1:2]
.LBB17_105:
	s_wait_alu 0xfffe
	s_or_b32 exec_lo, exec_lo, s0
	s_wait_storecnt_dscnt 0x0
	s_barrier_signal -1
	s_barrier_wait -1
	global_inv scope:SCOPE_SE
	s_clause 0x5
	scratch_load_b128 v[40:43], off, off offset:72
	scratch_load_b128 v[44:47], off, off offset:88
	;; [unrolled: 1-line block ×4, first 2 shown]
	scratch_load_b64 v[72:73], off, off offset:136
	scratch_load_b64 v[74:75], off, off offset:64
	v_mov_b32_e32 v1, 0
	ds_load_2addr_b64 v[56:59], v1 offset0:27 offset1:28
	ds_load_2addr_b64 v[60:63], v1 offset0:29 offset1:30
	;; [unrolled: 1-line block ×4, first 2 shown]
	ds_load_b64 v[76:77], v1 offset:280
	s_mov_b32 s0, exec_lo
	s_wait_loadcnt_dscnt 0x504
	v_mul_f32_e32 v2, v56, v41
	s_wait_loadcnt_dscnt 0x403
	v_dual_mul_f32 v78, v58, v43 :: v_dual_mul_f32 v79, v60, v45
	s_wait_loadcnt_dscnt 0x302
	v_dual_mul_f32 v82, v66, v51 :: v_dual_mul_f32 v41, v57, v41
	s_wait_loadcnt_dscnt 0x100
	v_dual_mul_f32 v85, v76, v73 :: v_dual_fmac_f32 v2, v57, v40
	v_mul_f32_e32 v43, v59, v43
	v_dual_mul_f32 v80, v62, v47 :: v_dual_mul_f32 v81, v64, v49
	v_fma_f32 v41, v56, v40, -v41
	v_fmac_f32_e32 v78, v59, v42
	v_add_f32_e32 v2, 0, v2
	v_mul_f32_e32 v40, v61, v45
	v_fma_f32 v42, v58, v42, -v43
	v_add_f32_e32 v41, 0, v41
	v_mul_f32_e32 v43, v63, v47
	v_dual_fmac_f32 v79, v61, v44 :: v_dual_add_f32 v2, v2, v78
	v_dual_fmac_f32 v80, v63, v46 :: v_dual_fmac_f32 v81, v65, v48
	s_delay_alu instid0(VALU_DEP_4) | instskip(SKIP_1) | instid1(VALU_DEP_4)
	v_add_f32_e32 v41, v41, v42
	v_dual_mul_f32 v83, v68, v53 :: v_dual_mul_f32 v84, v70, v55
	v_add_f32_e32 v2, v2, v79
	v_dual_fmac_f32 v82, v67, v50 :: v_dual_fmac_f32 v85, v77, v72
	s_delay_alu instid0(VALU_DEP_3) | instskip(NEXT) | instid1(VALU_DEP_3)
	v_dual_fmac_f32 v83, v69, v52 :: v_dual_fmac_f32 v84, v71, v54
	v_add_f32_e32 v2, v2, v80
	v_fma_f32 v40, v60, v44, -v40
	v_mul_f32_e32 v42, v65, v49
	v_fma_f32 v43, v62, v46, -v43
	s_delay_alu instid0(VALU_DEP_4) | instskip(NEXT) | instid1(VALU_DEP_1)
	v_add_f32_e32 v2, v2, v81
	v_add_f32_e32 v2, v2, v82
	s_delay_alu instid0(VALU_DEP_1) | instskip(NEXT) | instid1(VALU_DEP_1)
	v_add_f32_e32 v2, v2, v83
	v_add_f32_e32 v2, v2, v84
	s_delay_alu instid0(VALU_DEP_1) | instskip(SKIP_2) | instid1(VALU_DEP_2)
	v_add_f32_e32 v2, v2, v85
	v_dual_add_f32 v40, v41, v40 :: v_dual_mul_f32 v41, v67, v51
	v_fma_f32 v42, v64, v48, -v42
	v_dual_add_f32 v40, v40, v43 :: v_dual_mul_f32 v43, v69, v53
	s_delay_alu instid0(VALU_DEP_3) | instskip(NEXT) | instid1(VALU_DEP_2)
	v_fma_f32 v41, v66, v50, -v41
	v_add_f32_e32 v40, v40, v42
	v_mul_f32_e32 v42, v71, v55
	s_delay_alu instid0(VALU_DEP_4) | instskip(NEXT) | instid1(VALU_DEP_3)
	v_fma_f32 v43, v68, v52, -v43
	v_add_f32_e32 v40, v40, v41
	v_mul_f32_e32 v41, v77, v73
	s_delay_alu instid0(VALU_DEP_4) | instskip(NEXT) | instid1(VALU_DEP_3)
	v_fma_f32 v42, v70, v54, -v42
	v_add_f32_e32 v40, v40, v43
	s_delay_alu instid0(VALU_DEP_3) | instskip(NEXT) | instid1(VALU_DEP_2)
	v_fma_f32 v41, v76, v72, -v41
	v_add_f32_e32 v40, v40, v42
	s_wait_loadcnt 0x0
	s_delay_alu instid0(VALU_DEP_1) | instskip(NEXT) | instid1(VALU_DEP_1)
	v_dual_add_f32 v40, v40, v41 :: v_dual_sub_f32 v41, v75, v2
	v_sub_f32_e32 v40, v74, v40
	scratch_store_b64 off, v[40:41], off offset:64
	v_cmpx_lt_u32_e32 7, v0
	s_cbranch_execz .LBB17_107
; %bb.106:
	scratch_load_b64 v[40:41], off, off offset:56
	v_mov_b32_e32 v2, v1
	scratch_store_b64 off, v[1:2], off offset:56
	s_wait_loadcnt 0x0
	ds_store_b64 v3, v[40:41]
.LBB17_107:
	s_wait_alu 0xfffe
	s_or_b32 exec_lo, exec_lo, s0
	s_wait_storecnt_dscnt 0x0
	s_barrier_signal -1
	s_barrier_wait -1
	global_inv scope:SCOPE_SE
	s_clause 0x5
	scratch_load_b128 v[40:43], off, off offset:64
	scratch_load_b128 v[44:47], off, off offset:80
	scratch_load_b128 v[48:51], off, off offset:96
	scratch_load_b128 v[52:55], off, off offset:112
	scratch_load_b128 v[56:59], off, off offset:128
	scratch_load_b64 v[80:81], off, off offset:56
	ds_load_b128 v[60:63], v1 offset:208
	ds_load_b128 v[64:67], v1 offset:224
	;; [unrolled: 1-line block ×5, first 2 shown]
	s_mov_b32 s0, exec_lo
	s_wait_loadcnt_dscnt 0x504
	v_dual_mul_f32 v1, v60, v41 :: v_dual_mul_f32 v2, v62, v43
	v_mul_f32_e32 v41, v61, v41
	s_wait_loadcnt_dscnt 0x403
	v_dual_mul_f32 v43, v63, v43 :: v_dual_mul_f32 v82, v64, v45
	s_delay_alu instid0(VALU_DEP_3) | instskip(NEXT) | instid1(VALU_DEP_3)
	v_dual_mul_f32 v83, v66, v47 :: v_dual_fmac_f32 v2, v63, v42
	v_fma_f32 v41, v60, v40, -v41
	v_fmac_f32_e32 v1, v61, v40
	v_mul_f32_e32 v40, v65, v45
	v_fma_f32 v42, v62, v42, -v43
	v_mul_f32_e32 v43, v67, v47
	v_dual_add_f32 v41, 0, v41 :: v_dual_fmac_f32 v82, v65, v44
	s_delay_alu instid0(VALU_DEP_4) | instskip(SKIP_2) | instid1(VALU_DEP_3)
	v_fma_f32 v40, v64, v44, -v40
	s_wait_loadcnt_dscnt 0x302
	v_dual_mul_f32 v84, v68, v49 :: v_dual_mul_f32 v85, v70, v51
	v_add_f32_e32 v41, v41, v42
	v_fmac_f32_e32 v83, v67, v46
	v_fma_f32 v42, v66, v46, -v43
	s_wait_loadcnt_dscnt 0x201
	v_dual_mul_f32 v86, v72, v53 :: v_dual_mul_f32 v87, v74, v55
	v_dual_add_f32 v40, v41, v40 :: v_dual_mul_f32 v41, v71, v51
	v_fmac_f32_e32 v84, v69, v48
	s_wait_loadcnt_dscnt 0x100
	v_dual_mul_f32 v88, v76, v57 :: v_dual_mul_f32 v89, v78, v59
	s_delay_alu instid0(VALU_DEP_3) | instskip(SKIP_3) | instid1(VALU_DEP_4)
	v_dual_add_f32 v40, v40, v42 :: v_dual_add_f32 v1, 0, v1
	v_mul_f32_e32 v42, v73, v53
	v_fma_f32 v41, v70, v50, -v41
	v_dual_fmac_f32 v85, v71, v50 :: v_dual_fmac_f32 v86, v73, v52
	v_add_f32_e32 v1, v1, v2
	v_mul_f32_e32 v2, v69, v49
	v_fma_f32 v42, v72, v52, -v42
	v_dual_fmac_f32 v87, v75, v54 :: v_dual_fmac_f32 v88, v77, v56
	s_delay_alu instid0(VALU_DEP_3) | instskip(NEXT) | instid1(VALU_DEP_1)
	v_fma_f32 v2, v68, v48, -v2
	v_add_f32_e32 v2, v40, v2
	v_mul_f32_e32 v40, v75, v55
	s_delay_alu instid0(VALU_DEP_2) | instskip(SKIP_1) | instid1(VALU_DEP_3)
	v_dual_add_f32 v2, v2, v41 :: v_dual_add_f32 v1, v1, v82
	v_mul_f32_e32 v41, v77, v57
	v_fma_f32 v40, v74, v54, -v40
	s_delay_alu instid0(VALU_DEP_3) | instskip(SKIP_3) | instid1(VALU_DEP_4)
	v_add_f32_e32 v2, v2, v42
	v_mul_f32_e32 v42, v79, v59
	v_add_f32_e32 v1, v1, v83
	v_fma_f32 v41, v76, v56, -v41
	v_dual_add_f32 v2, v2, v40 :: v_dual_fmac_f32 v89, v79, v58
	s_delay_alu instid0(VALU_DEP_3) | instskip(SKIP_1) | instid1(VALU_DEP_3)
	v_add_f32_e32 v1, v1, v84
	v_fma_f32 v40, v78, v58, -v42
	v_add_f32_e32 v2, v2, v41
	s_delay_alu instid0(VALU_DEP_1) | instskip(NEXT) | instid1(VALU_DEP_1)
	v_dual_add_f32 v1, v1, v85 :: v_dual_add_f32 v2, v2, v40
	v_add_f32_e32 v1, v1, v86
	s_delay_alu instid0(VALU_DEP_1) | instskip(NEXT) | instid1(VALU_DEP_1)
	v_add_f32_e32 v1, v1, v87
	v_add_f32_e32 v1, v1, v88
	s_wait_loadcnt 0x0
	s_delay_alu instid0(VALU_DEP_1) | instskip(NEXT) | instid1(VALU_DEP_1)
	v_dual_add_f32 v40, v1, v89 :: v_dual_sub_f32 v1, v80, v2
	v_sub_f32_e32 v2, v81, v40
	scratch_store_b64 off, v[1:2], off offset:56
	v_cmpx_lt_u32_e32 6, v0
	s_cbranch_execz .LBB17_109
; %bb.108:
	scratch_load_b64 v[1:2], off, off offset:48
	v_mov_b32_e32 v40, 0
	s_delay_alu instid0(VALU_DEP_1)
	v_mov_b32_e32 v41, v40
	scratch_store_b64 off, v[40:41], off offset:48
	s_wait_loadcnt 0x0
	ds_store_b64 v3, v[1:2]
.LBB17_109:
	s_wait_alu 0xfffe
	s_or_b32 exec_lo, exec_lo, s0
	s_wait_storecnt_dscnt 0x0
	s_barrier_signal -1
	s_barrier_wait -1
	global_inv scope:SCOPE_SE
	s_clause 0x6
	scratch_load_b128 v[40:43], off, off offset:56
	scratch_load_b128 v[44:47], off, off offset:72
	;; [unrolled: 1-line block ×5, first 2 shown]
	scratch_load_b64 v[80:81], off, off offset:136
	scratch_load_b64 v[82:83], off, off offset:48
	v_mov_b32_e32 v1, 0
	ds_load_2addr_b64 v[60:63], v1 offset0:25 offset1:26
	ds_load_2addr_b64 v[64:67], v1 offset0:27 offset1:28
	;; [unrolled: 1-line block ×5, first 2 shown]
	ds_load_b64 v[84:85], v1 offset:280
	s_mov_b32 s0, exec_lo
	s_wait_loadcnt_dscnt 0x605
	v_mul_f32_e32 v2, v60, v41
	v_dual_mul_f32 v41, v61, v41 :: v_dual_mul_f32 v86, v62, v43
	s_wait_loadcnt_dscnt 0x302
	v_dual_mul_f32 v87, v64, v45 :: v_dual_mul_f32 v92, v74, v55
	s_wait_loadcnt_dscnt 0x100
	v_dual_mul_f32 v95, v84, v81 :: v_dual_fmac_f32 v2, v61, v40
	v_mul_f32_e32 v43, v63, v43
	v_fma_f32 v41, v60, v40, -v41
	v_mul_f32_e32 v40, v65, v45
	v_fmac_f32_e32 v86, v63, v42
	v_add_f32_e32 v2, 0, v2
	v_fma_f32 v42, v62, v42, -v43
	v_add_f32_e32 v41, 0, v41
	v_mul_f32_e32 v43, v67, v47
	s_delay_alu instid0(VALU_DEP_4) | instskip(SKIP_1) | instid1(VALU_DEP_4)
	v_dual_fmac_f32 v87, v65, v44 :: v_dual_add_f32 v2, v2, v86
	v_fma_f32 v40, v64, v44, -v40
	v_dual_add_f32 v41, v41, v42 :: v_dual_mul_f32 v88, v66, v47
	v_mul_f32_e32 v89, v68, v49
	v_mul_f32_e32 v42, v69, v49
	v_fma_f32 v43, v66, v46, -v43
	v_add_f32_e32 v2, v2, v87
	v_add_f32_e32 v40, v41, v40
	v_dual_fmac_f32 v88, v67, v46 :: v_dual_fmac_f32 v89, v69, v48
	v_mul_f32_e32 v41, v71, v51
	v_fma_f32 v42, v68, v48, -v42
	s_delay_alu instid0(VALU_DEP_4) | instskip(SKIP_4) | instid1(VALU_DEP_3)
	v_dual_add_f32 v40, v40, v43 :: v_dual_mul_f32 v43, v73, v53
	v_dual_mul_f32 v90, v70, v51 :: v_dual_mul_f32 v91, v72, v53
	v_dual_mul_f32 v93, v76, v57 :: v_dual_mul_f32 v94, v78, v59
	v_add_f32_e32 v2, v2, v88
	v_fma_f32 v41, v70, v50, -v41
	v_dual_add_f32 v40, v40, v42 :: v_dual_fmac_f32 v93, v77, v56
	v_dual_fmac_f32 v90, v71, v50 :: v_dual_fmac_f32 v91, v73, v52
	v_mul_f32_e32 v42, v75, v55
	s_delay_alu instid0(VALU_DEP_3)
	v_add_f32_e32 v40, v40, v41
	v_mul_f32_e32 v41, v77, v57
	v_dual_add_f32 v2, v2, v89 :: v_dual_fmac_f32 v95, v85, v80
	v_fma_f32 v43, v72, v52, -v43
	v_fmac_f32_e32 v92, v75, v54
	v_fma_f32 v42, v74, v54, -v42
	s_delay_alu instid0(VALU_DEP_4)
	v_add_f32_e32 v2, v2, v90
	v_fma_f32 v41, v76, v56, -v41
	v_add_f32_e32 v40, v40, v43
	v_mul_f32_e32 v43, v79, v59
	v_fmac_f32_e32 v94, v79, v58
	v_add_f32_e32 v2, v2, v91
	s_delay_alu instid0(VALU_DEP_4) | instskip(SKIP_2) | instid1(VALU_DEP_4)
	v_add_f32_e32 v40, v40, v42
	v_mul_f32_e32 v42, v85, v81
	v_fma_f32 v43, v78, v58, -v43
	v_add_f32_e32 v2, v2, v92
	s_delay_alu instid0(VALU_DEP_4) | instskip(NEXT) | instid1(VALU_DEP_4)
	v_add_f32_e32 v40, v40, v41
	v_fma_f32 v41, v84, v80, -v42
	s_delay_alu instid0(VALU_DEP_3) | instskip(NEXT) | instid1(VALU_DEP_3)
	v_add_f32_e32 v2, v2, v93
	v_add_f32_e32 v40, v40, v43
	s_delay_alu instid0(VALU_DEP_2) | instskip(NEXT) | instid1(VALU_DEP_2)
	v_add_f32_e32 v2, v2, v94
	v_add_f32_e32 v40, v40, v41
	s_delay_alu instid0(VALU_DEP_2) | instskip(SKIP_1) | instid1(VALU_DEP_1)
	v_add_f32_e32 v2, v2, v95
	s_wait_loadcnt 0x0
	v_dual_sub_f32 v40, v82, v40 :: v_dual_sub_f32 v41, v83, v2
	scratch_store_b64 off, v[40:41], off offset:48
	v_cmpx_lt_u32_e32 5, v0
	s_cbranch_execz .LBB17_111
; %bb.110:
	scratch_load_b64 v[40:41], off, off offset:40
	v_mov_b32_e32 v2, v1
	scratch_store_b64 off, v[1:2], off offset:40
	s_wait_loadcnt 0x0
	ds_store_b64 v3, v[40:41]
.LBB17_111:
	s_wait_alu 0xfffe
	s_or_b32 exec_lo, exec_lo, s0
	s_wait_storecnt_dscnt 0x0
	s_barrier_signal -1
	s_barrier_wait -1
	global_inv scope:SCOPE_SE
	s_clause 0x6
	scratch_load_b128 v[40:43], off, off offset:48
	scratch_load_b128 v[44:47], off, off offset:64
	;; [unrolled: 1-line block ×6, first 2 shown]
	scratch_load_b64 v[88:89], off, off offset:40
	ds_load_b128 v[64:67], v1 offset:192
	ds_load_b128 v[68:71], v1 offset:208
	;; [unrolled: 1-line block ×6, first 2 shown]
	s_mov_b32 s0, exec_lo
	s_wait_loadcnt_dscnt 0x605
	v_dual_mul_f32 v1, v64, v41 :: v_dual_mul_f32 v2, v66, v43
	v_mul_f32_e32 v41, v65, v41
	s_wait_loadcnt_dscnt 0x504
	v_dual_mul_f32 v43, v67, v43 :: v_dual_mul_f32 v90, v68, v45
	s_delay_alu instid0(VALU_DEP_3) | instskip(NEXT) | instid1(VALU_DEP_3)
	v_dual_mul_f32 v91, v70, v47 :: v_dual_fmac_f32 v2, v67, v42
	v_fma_f32 v41, v64, v40, -v41
	v_fmac_f32_e32 v1, v65, v40
	v_mul_f32_e32 v40, v69, v45
	v_fma_f32 v42, v66, v42, -v43
	v_mul_f32_e32 v43, v71, v47
	v_dual_add_f32 v41, 0, v41 :: v_dual_fmac_f32 v90, v69, v44
	s_delay_alu instid0(VALU_DEP_4) | instskip(SKIP_2) | instid1(VALU_DEP_3)
	v_fma_f32 v40, v68, v44, -v40
	s_wait_loadcnt_dscnt 0x403
	v_dual_mul_f32 v92, v72, v49 :: v_dual_mul_f32 v93, v74, v51
	v_add_f32_e32 v41, v41, v42
	v_fmac_f32_e32 v91, v71, v46
	v_fma_f32 v42, v70, v46, -v43
	s_wait_loadcnt_dscnt 0x302
	v_dual_mul_f32 v94, v76, v53 :: v_dual_mul_f32 v95, v78, v55
	v_dual_add_f32 v40, v41, v40 :: v_dual_mul_f32 v41, v75, v51
	v_fmac_f32_e32 v92, v73, v48
	s_wait_loadcnt_dscnt 0x201
	v_dual_mul_f32 v96, v80, v57 :: v_dual_mul_f32 v97, v82, v59
	s_delay_alu instid0(VALU_DEP_3) | instskip(SKIP_3) | instid1(VALU_DEP_4)
	v_dual_add_f32 v40, v40, v42 :: v_dual_add_f32 v1, 0, v1
	v_mul_f32_e32 v42, v77, v53
	v_fma_f32 v41, v74, v50, -v41
	v_dual_fmac_f32 v93, v75, v50 :: v_dual_fmac_f32 v94, v77, v52
	v_add_f32_e32 v1, v1, v2
	v_mul_f32_e32 v2, v73, v49
	v_fma_f32 v42, v76, v52, -v42
	v_dual_fmac_f32 v95, v79, v54 :: v_dual_fmac_f32 v96, v81, v56
	s_wait_loadcnt_dscnt 0x100
	v_dual_mul_f32 v98, v84, v61 :: v_dual_mul_f32 v99, v86, v63
	v_fma_f32 v2, v72, v48, -v2
	s_delay_alu instid0(VALU_DEP_2) | instskip(NEXT) | instid1(VALU_DEP_3)
	v_dual_fmac_f32 v97, v83, v58 :: v_dual_fmac_f32 v98, v85, v60
	v_fmac_f32_e32 v99, v87, v62
	s_delay_alu instid0(VALU_DEP_3) | instskip(SKIP_1) | instid1(VALU_DEP_2)
	v_add_f32_e32 v2, v40, v2
	v_mul_f32_e32 v40, v79, v55
	v_dual_add_f32 v2, v2, v41 :: v_dual_add_f32 v1, v1, v90
	v_mul_f32_e32 v41, v81, v57
	s_delay_alu instid0(VALU_DEP_3) | instskip(NEXT) | instid1(VALU_DEP_3)
	v_fma_f32 v40, v78, v54, -v40
	v_add_f32_e32 v2, v2, v42
	v_mul_f32_e32 v42, v83, v59
	v_add_f32_e32 v1, v1, v91
	v_fma_f32 v41, v80, v56, -v41
	s_delay_alu instid0(VALU_DEP_4) | instskip(SKIP_1) | instid1(VALU_DEP_4)
	v_add_f32_e32 v2, v2, v40
	v_mul_f32_e32 v40, v85, v61
	v_add_f32_e32 v1, v1, v92
	v_fma_f32 v42, v82, v58, -v42
	s_delay_alu instid0(VALU_DEP_4) | instskip(NEXT) | instid1(VALU_DEP_3)
	v_dual_add_f32 v2, v2, v41 :: v_dual_mul_f32 v41, v87, v63
	v_add_f32_e32 v1, v1, v93
	v_fma_f32 v40, v84, v60, -v40
	s_delay_alu instid0(VALU_DEP_3) | instskip(NEXT) | instid1(VALU_DEP_4)
	v_add_f32_e32 v2, v2, v42
	v_fma_f32 v41, v86, v62, -v41
	s_delay_alu instid0(VALU_DEP_2) | instskip(NEXT) | instid1(VALU_DEP_1)
	v_dual_add_f32 v1, v1, v94 :: v_dual_add_f32 v2, v2, v40
	v_dual_add_f32 v1, v1, v95 :: v_dual_add_f32 v2, v2, v41
	s_delay_alu instid0(VALU_DEP_1) | instskip(NEXT) | instid1(VALU_DEP_1)
	v_add_f32_e32 v1, v1, v96
	v_add_f32_e32 v1, v1, v97
	s_delay_alu instid0(VALU_DEP_1) | instskip(SKIP_1) | instid1(VALU_DEP_1)
	v_add_f32_e32 v1, v1, v98
	s_wait_loadcnt 0x0
	v_dual_add_f32 v40, v1, v99 :: v_dual_sub_f32 v1, v88, v2
	s_delay_alu instid0(VALU_DEP_1)
	v_sub_f32_e32 v2, v89, v40
	scratch_store_b64 off, v[1:2], off offset:40
	v_cmpx_lt_u32_e32 4, v0
	s_cbranch_execz .LBB17_113
; %bb.112:
	scratch_load_b64 v[1:2], off, off offset:32
	v_mov_b32_e32 v40, 0
	s_delay_alu instid0(VALU_DEP_1)
	v_mov_b32_e32 v41, v40
	scratch_store_b64 off, v[40:41], off offset:32
	s_wait_loadcnt 0x0
	ds_store_b64 v3, v[1:2]
.LBB17_113:
	s_wait_alu 0xfffe
	s_or_b32 exec_lo, exec_lo, s0
	s_wait_storecnt_dscnt 0x0
	s_barrier_signal -1
	s_barrier_wait -1
	global_inv scope:SCOPE_SE
	s_clause 0x7
	scratch_load_b128 v[40:43], off, off offset:40
	scratch_load_b128 v[44:47], off, off offset:56
	;; [unrolled: 1-line block ×6, first 2 shown]
	scratch_load_b64 v[88:89], off, off offset:136
	scratch_load_b64 v[90:91], off, off offset:32
	v_mov_b32_e32 v1, 0
	ds_load_2addr_b64 v[64:67], v1 offset0:23 offset1:24
	ds_load_2addr_b64 v[68:71], v1 offset0:25 offset1:26
	ds_load_2addr_b64 v[72:75], v1 offset0:27 offset1:28
	ds_load_2addr_b64 v[76:79], v1 offset0:29 offset1:30
	ds_load_2addr_b64 v[80:83], v1 offset0:31 offset1:32
	ds_load_2addr_b64 v[84:87], v1 offset0:33 offset1:34
	ds_load_b64 v[92:93], v1 offset:280
	s_mov_b32 s0, exec_lo
	s_wait_loadcnt_dscnt 0x706
	v_mul_f32_e32 v2, v64, v41
	v_dual_mul_f32 v41, v65, v41 :: v_dual_mul_f32 v94, v66, v43
	s_wait_loadcnt_dscnt 0x302
	v_dual_mul_f32 v95, v68, v45 :: v_dual_mul_f32 v102, v82, v59
	v_mul_f32_e32 v43, v67, v43
	s_wait_loadcnt_dscnt 0x100
	v_dual_mul_f32 v105, v92, v89 :: v_dual_fmac_f32 v2, v65, v40
	v_fma_f32 v41, v64, v40, -v41
	v_mul_f32_e32 v40, v69, v45
	v_fmac_f32_e32 v94, v67, v42
	v_fma_f32 v42, v66, v42, -v43
	v_dual_add_f32 v2, 0, v2 :: v_dual_mul_f32 v43, v71, v47
	v_add_f32_e32 v41, 0, v41
	v_fmac_f32_e32 v95, v69, v44
	v_fma_f32 v40, v68, v44, -v40
	s_delay_alu instid0(VALU_DEP_4)
	v_add_f32_e32 v2, v2, v94
	v_fma_f32 v43, v70, v46, -v43
	v_add_f32_e32 v41, v41, v42
	v_mul_f32_e32 v42, v73, v49
	v_dual_mul_f32 v96, v70, v47 :: v_dual_mul_f32 v97, v72, v49
	v_add_f32_e32 v2, v2, v95
	s_delay_alu instid0(VALU_DEP_4) | instskip(NEXT) | instid1(VALU_DEP_4)
	v_dual_add_f32 v40, v41, v40 :: v_dual_mul_f32 v41, v75, v51
	v_fma_f32 v42, v72, v48, -v42
	v_dual_mul_f32 v100, v78, v55 :: v_dual_mul_f32 v101, v80, v57
	s_delay_alu instid0(VALU_DEP_3) | instskip(NEXT) | instid1(VALU_DEP_4)
	v_dual_add_f32 v40, v40, v43 :: v_dual_mul_f32 v43, v77, v53
	v_fma_f32 v41, v74, v50, -v41
	v_dual_mul_f32 v103, v84, v61 :: v_dual_mul_f32 v104, v86, v63
	s_delay_alu instid0(VALU_DEP_3) | instskip(SKIP_1) | instid1(VALU_DEP_3)
	v_dual_add_f32 v40, v40, v42 :: v_dual_fmac_f32 v101, v81, v56
	v_dual_fmac_f32 v96, v71, v46 :: v_dual_fmac_f32 v97, v73, v48
	v_dual_mul_f32 v42, v79, v55 :: v_dual_fmac_f32 v103, v85, v60
	v_fma_f32 v43, v76, v52, -v43
	s_delay_alu instid0(VALU_DEP_4) | instskip(SKIP_3) | instid1(VALU_DEP_4)
	v_dual_add_f32 v40, v40, v41 :: v_dual_fmac_f32 v105, v93, v88
	v_dual_mul_f32 v98, v74, v51 :: v_dual_mul_f32 v99, v76, v53
	v_dual_add_f32 v2, v2, v96 :: v_dual_mul_f32 v41, v81, v57
	v_fma_f32 v42, v78, v54, -v42
	v_add_f32_e32 v40, v40, v43
	s_delay_alu instid0(VALU_DEP_4) | instskip(NEXT) | instid1(VALU_DEP_4)
	v_dual_fmac_f32 v98, v75, v50 :: v_dual_fmac_f32 v99, v77, v52
	v_dual_add_f32 v2, v2, v97 :: v_dual_mul_f32 v43, v83, v59
	v_fma_f32 v41, v80, v56, -v41
	s_delay_alu instid0(VALU_DEP_4)
	v_add_f32_e32 v40, v40, v42
	v_fmac_f32_e32 v100, v79, v54
	v_mul_f32_e32 v42, v85, v61
	v_fma_f32 v43, v82, v58, -v43
	v_fmac_f32_e32 v102, v83, v58
	v_dual_add_f32 v40, v40, v41 :: v_dual_mul_f32 v41, v87, v63
	v_add_f32_e32 v2, v2, v98
	v_fma_f32 v42, v84, v60, -v42
	v_fmac_f32_e32 v104, v87, v62
	s_delay_alu instid0(VALU_DEP_4) | instskip(NEXT) | instid1(VALU_DEP_4)
	v_dual_add_f32 v40, v40, v43 :: v_dual_mul_f32 v43, v93, v89
	v_add_f32_e32 v2, v2, v99
	v_fma_f32 v41, v86, v62, -v41
	s_delay_alu instid0(VALU_DEP_3) | instskip(NEXT) | instid1(VALU_DEP_4)
	v_add_f32_e32 v40, v40, v42
	v_fma_f32 v42, v92, v88, -v43
	s_delay_alu instid0(VALU_DEP_4) | instskip(NEXT) | instid1(VALU_DEP_3)
	v_add_f32_e32 v2, v2, v100
	v_add_f32_e32 v40, v40, v41
	s_delay_alu instid0(VALU_DEP_2) | instskip(NEXT) | instid1(VALU_DEP_2)
	v_add_f32_e32 v2, v2, v101
	v_add_f32_e32 v40, v40, v42
	s_delay_alu instid0(VALU_DEP_2) | instskip(SKIP_1) | instid1(VALU_DEP_2)
	v_add_f32_e32 v2, v2, v102
	s_wait_loadcnt 0x0
	v_sub_f32_e32 v40, v90, v40
	s_delay_alu instid0(VALU_DEP_2) | instskip(NEXT) | instid1(VALU_DEP_1)
	v_add_f32_e32 v2, v2, v103
	v_add_f32_e32 v2, v2, v104
	s_delay_alu instid0(VALU_DEP_1) | instskip(NEXT) | instid1(VALU_DEP_1)
	v_add_f32_e32 v2, v2, v105
	v_sub_f32_e32 v41, v91, v2
	scratch_store_b64 off, v[40:41], off offset:32
	v_cmpx_lt_u32_e32 3, v0
	s_cbranch_execz .LBB17_115
; %bb.114:
	scratch_load_b64 v[40:41], off, off offset:24
	v_mov_b32_e32 v2, v1
	scratch_store_b64 off, v[1:2], off offset:24
	s_wait_loadcnt 0x0
	ds_store_b64 v3, v[40:41]
.LBB17_115:
	s_wait_alu 0xfffe
	s_or_b32 exec_lo, exec_lo, s0
	s_wait_storecnt_dscnt 0x0
	s_barrier_signal -1
	s_barrier_wait -1
	global_inv scope:SCOPE_SE
	s_clause 0x7
	scratch_load_b128 v[40:43], off, off offset:32
	scratch_load_b128 v[44:47], off, off offset:48
	;; [unrolled: 1-line block ×7, first 2 shown]
	scratch_load_b64 v[96:97], off, off offset:24
	ds_load_b128 v[68:71], v1 offset:176
	ds_load_b128 v[72:75], v1 offset:192
	;; [unrolled: 1-line block ×7, first 2 shown]
	s_mov_b32 s0, exec_lo
	s_wait_loadcnt_dscnt 0x706
	v_dual_mul_f32 v1, v68, v41 :: v_dual_mul_f32 v2, v70, v43
	v_mul_f32_e32 v41, v69, v41
	s_wait_loadcnt_dscnt 0x605
	v_dual_mul_f32 v43, v71, v43 :: v_dual_mul_f32 v98, v72, v45
	s_delay_alu instid0(VALU_DEP_3) | instskip(NEXT) | instid1(VALU_DEP_3)
	v_dual_mul_f32 v99, v74, v47 :: v_dual_fmac_f32 v2, v71, v42
	v_fma_f32 v41, v68, v40, -v41
	v_fmac_f32_e32 v1, v69, v40
	v_mul_f32_e32 v40, v73, v45
	v_fma_f32 v42, v70, v42, -v43
	v_mul_f32_e32 v43, v75, v47
	v_dual_add_f32 v41, 0, v41 :: v_dual_fmac_f32 v98, v73, v44
	s_delay_alu instid0(VALU_DEP_4) | instskip(SKIP_2) | instid1(VALU_DEP_3)
	v_fma_f32 v40, v72, v44, -v40
	s_wait_loadcnt_dscnt 0x504
	v_dual_mul_f32 v100, v76, v49 :: v_dual_mul_f32 v101, v78, v51
	v_add_f32_e32 v41, v41, v42
	v_fmac_f32_e32 v99, v75, v46
	v_fma_f32 v42, v74, v46, -v43
	s_wait_loadcnt_dscnt 0x403
	v_dual_mul_f32 v102, v80, v53 :: v_dual_mul_f32 v103, v82, v55
	v_dual_add_f32 v40, v41, v40 :: v_dual_mul_f32 v41, v79, v51
	v_fmac_f32_e32 v100, v77, v48
	s_wait_loadcnt_dscnt 0x302
	v_dual_mul_f32 v104, v84, v57 :: v_dual_mul_f32 v105, v86, v59
	s_delay_alu instid0(VALU_DEP_3) | instskip(SKIP_3) | instid1(VALU_DEP_4)
	v_dual_add_f32 v40, v40, v42 :: v_dual_add_f32 v1, 0, v1
	v_mul_f32_e32 v42, v81, v53
	v_fma_f32 v41, v78, v50, -v41
	v_dual_fmac_f32 v101, v79, v50 :: v_dual_fmac_f32 v102, v81, v52
	v_add_f32_e32 v1, v1, v2
	v_mul_f32_e32 v2, v77, v49
	v_fma_f32 v42, v80, v52, -v42
	v_dual_fmac_f32 v103, v83, v54 :: v_dual_fmac_f32 v104, v85, v56
	s_wait_loadcnt_dscnt 0x201
	v_dual_mul_f32 v106, v88, v61 :: v_dual_mul_f32 v107, v90, v63
	v_fma_f32 v2, v76, v48, -v2
	s_wait_loadcnt_dscnt 0x100
	v_dual_mul_f32 v108, v92, v65 :: v_dual_mul_f32 v109, v94, v67
	s_delay_alu instid0(VALU_DEP_3) | instskip(NEXT) | instid1(VALU_DEP_3)
	v_dual_fmac_f32 v105, v87, v58 :: v_dual_fmac_f32 v106, v89, v60
	v_add_f32_e32 v2, v40, v2
	v_mul_f32_e32 v40, v83, v55
	s_delay_alu instid0(VALU_DEP_4) | instskip(NEXT) | instid1(VALU_DEP_3)
	v_dual_fmac_f32 v108, v93, v64 :: v_dual_fmac_f32 v109, v95, v66
	v_dual_fmac_f32 v107, v91, v62 :: v_dual_add_f32 v2, v2, v41
	v_add_f32_e32 v1, v1, v98
	v_mul_f32_e32 v41, v85, v57
	v_fma_f32 v40, v82, v54, -v40
	s_delay_alu instid0(VALU_DEP_4) | instskip(SKIP_3) | instid1(VALU_DEP_4)
	v_add_f32_e32 v2, v2, v42
	v_mul_f32_e32 v42, v87, v59
	v_add_f32_e32 v1, v1, v99
	v_fma_f32 v41, v84, v56, -v41
	v_add_f32_e32 v2, v2, v40
	v_mul_f32_e32 v40, v89, v61
	s_delay_alu instid0(VALU_DEP_4) | instskip(SKIP_1) | instid1(VALU_DEP_4)
	v_add_f32_e32 v1, v1, v100
	v_fma_f32 v42, v86, v58, -v42
	v_dual_add_f32 v2, v2, v41 :: v_dual_mul_f32 v41, v91, v63
	s_delay_alu instid0(VALU_DEP_3) | instskip(SKIP_1) | instid1(VALU_DEP_3)
	v_add_f32_e32 v1, v1, v101
	v_fma_f32 v40, v88, v60, -v40
	v_add_f32_e32 v2, v2, v42
	s_delay_alu instid0(VALU_DEP_4) | instskip(NEXT) | instid1(VALU_DEP_4)
	v_fma_f32 v41, v90, v62, -v41
	v_add_f32_e32 v1, v1, v102
	v_mul_f32_e32 v42, v93, v65
	s_delay_alu instid0(VALU_DEP_4) | instskip(SKIP_1) | instid1(VALU_DEP_4)
	v_add_f32_e32 v2, v2, v40
	v_mul_f32_e32 v40, v95, v67
	v_add_f32_e32 v1, v1, v103
	s_delay_alu instid0(VALU_DEP_4) | instskip(NEXT) | instid1(VALU_DEP_4)
	v_fma_f32 v42, v92, v64, -v42
	v_add_f32_e32 v2, v2, v41
	s_delay_alu instid0(VALU_DEP_4) | instskip(NEXT) | instid1(VALU_DEP_2)
	v_fma_f32 v40, v94, v66, -v40
	v_dual_add_f32 v1, v1, v104 :: v_dual_add_f32 v2, v2, v42
	s_delay_alu instid0(VALU_DEP_1) | instskip(NEXT) | instid1(VALU_DEP_1)
	v_dual_add_f32 v1, v1, v105 :: v_dual_add_f32 v2, v2, v40
	v_add_f32_e32 v1, v1, v106
	s_delay_alu instid0(VALU_DEP_1) | instskip(NEXT) | instid1(VALU_DEP_1)
	v_add_f32_e32 v1, v1, v107
	v_add_f32_e32 v1, v1, v108
	s_wait_loadcnt 0x0
	s_delay_alu instid0(VALU_DEP_1) | instskip(NEXT) | instid1(VALU_DEP_1)
	v_dual_add_f32 v40, v1, v109 :: v_dual_sub_f32 v1, v96, v2
	v_sub_f32_e32 v2, v97, v40
	scratch_store_b64 off, v[1:2], off offset:24
	v_cmpx_lt_u32_e32 2, v0
	s_cbranch_execz .LBB17_117
; %bb.116:
	scratch_load_b64 v[1:2], off, off offset:16
	v_mov_b32_e32 v40, 0
	s_delay_alu instid0(VALU_DEP_1)
	v_mov_b32_e32 v41, v40
	scratch_store_b64 off, v[40:41], off offset:16
	s_wait_loadcnt 0x0
	ds_store_b64 v3, v[1:2]
.LBB17_117:
	s_wait_alu 0xfffe
	s_or_b32 exec_lo, exec_lo, s0
	s_wait_storecnt_dscnt 0x0
	s_barrier_signal -1
	s_barrier_wait -1
	global_inv scope:SCOPE_SE
	s_clause 0x8
	scratch_load_b128 v[40:43], off, off offset:24
	scratch_load_b128 v[44:47], off, off offset:40
	;; [unrolled: 1-line block ×7, first 2 shown]
	scratch_load_b64 v[96:97], off, off offset:136
	scratch_load_b64 v[98:99], off, off offset:16
	v_mov_b32_e32 v1, 0
	ds_load_2addr_b64 v[68:71], v1 offset0:21 offset1:22
	ds_load_2addr_b64 v[72:75], v1 offset0:23 offset1:24
	;; [unrolled: 1-line block ×7, first 2 shown]
	ds_load_b64 v[100:101], v1 offset:280
	s_mov_b32 s0, exec_lo
	s_wait_loadcnt_dscnt 0x807
	v_mul_f32_e32 v2, v68, v41
	v_dual_mul_f32 v41, v69, v41 :: v_dual_mul_f32 v102, v70, v43
	s_wait_loadcnt_dscnt 0x706
	v_mul_f32_e32 v103, v72, v45
	v_mul_f32_e32 v43, v71, v43
	s_wait_loadcnt_dscnt 0x302
	v_mul_f32_e32 v112, v90, v63
	v_fma_f32 v41, v68, v40, -v41
	s_wait_loadcnt_dscnt 0x100
	v_dual_mul_f32 v115, v100, v97 :: v_dual_fmac_f32 v2, v69, v40
	v_mul_f32_e32 v40, v73, v45
	s_delay_alu instid0(VALU_DEP_3) | instskip(SKIP_1) | instid1(VALU_DEP_4)
	v_dual_fmac_f32 v102, v71, v42 :: v_dual_add_f32 v41, 0, v41
	v_fma_f32 v42, v70, v42, -v43
	v_dual_add_f32 v2, 0, v2 :: v_dual_mul_f32 v43, v75, v47
	v_fmac_f32_e32 v103, v73, v44
	v_fma_f32 v40, v72, v44, -v40
	v_dual_mul_f32 v104, v74, v47 :: v_dual_mul_f32 v105, v76, v49
	s_delay_alu instid0(VALU_DEP_4)
	v_add_f32_e32 v2, v2, v102
	v_add_f32_e32 v41, v41, v42
	v_mul_f32_e32 v42, v77, v49
	v_fma_f32 v43, v74, v46, -v43
	v_dual_mul_f32 v108, v82, v55 :: v_dual_mul_f32 v109, v84, v57
	v_add_f32_e32 v2, v2, v103
	v_dual_add_f32 v40, v41, v40 :: v_dual_mul_f32 v41, v79, v51
	v_fma_f32 v42, v76, v48, -v42
	v_dual_mul_f32 v110, v86, v59 :: v_dual_mul_f32 v111, v88, v61
	s_delay_alu instid0(VALU_DEP_3) | instskip(NEXT) | instid1(VALU_DEP_4)
	v_dual_add_f32 v40, v40, v43 :: v_dual_mul_f32 v43, v81, v53
	v_fma_f32 v41, v78, v50, -v41
	v_dual_mul_f32 v113, v92, v65 :: v_dual_mul_f32 v114, v94, v67
	s_delay_alu instid0(VALU_DEP_3) | instskip(SKIP_3) | instid1(VALU_DEP_4)
	v_dual_add_f32 v40, v40, v42 :: v_dual_fmac_f32 v109, v85, v56
	v_dual_fmac_f32 v104, v75, v46 :: v_dual_fmac_f32 v105, v77, v48
	v_dual_mul_f32 v42, v83, v55 :: v_dual_fmac_f32 v111, v89, v60
	v_fma_f32 v43, v80, v52, -v43
	v_dual_add_f32 v40, v40, v41 :: v_dual_fmac_f32 v113, v93, v64
	s_delay_alu instid0(VALU_DEP_4) | instskip(NEXT) | instid1(VALU_DEP_4)
	v_dual_add_f32 v2, v2, v104 :: v_dual_mul_f32 v41, v85, v57
	v_fma_f32 v42, v82, v54, -v42
	s_delay_alu instid0(VALU_DEP_3) | instskip(SKIP_3) | instid1(VALU_DEP_4)
	v_dual_add_f32 v40, v40, v43 :: v_dual_fmac_f32 v115, v101, v96
	v_dual_mul_f32 v106, v78, v51 :: v_dual_mul_f32 v107, v80, v53
	v_mul_f32_e32 v43, v87, v59
	v_fma_f32 v41, v84, v56, -v41
	v_add_f32_e32 v40, v40, v42
	s_delay_alu instid0(VALU_DEP_4) | instskip(SKIP_4) | instid1(VALU_DEP_4)
	v_dual_fmac_f32 v106, v79, v50 :: v_dual_fmac_f32 v107, v81, v52
	v_add_f32_e32 v2, v2, v105
	v_mul_f32_e32 v42, v89, v61
	v_fma_f32 v43, v86, v58, -v43
	v_dual_add_f32 v40, v40, v41 :: v_dual_mul_f32 v41, v91, v63
	v_add_f32_e32 v2, v2, v106
	s_delay_alu instid0(VALU_DEP_4) | instskip(SKIP_1) | instid1(VALU_DEP_4)
	v_fma_f32 v42, v88, v60, -v42
	v_fmac_f32_e32 v108, v83, v54
	v_dual_add_f32 v40, v40, v43 :: v_dual_mul_f32 v43, v93, v65
	s_delay_alu instid0(VALU_DEP_4) | instskip(SKIP_2) | instid1(VALU_DEP_4)
	v_add_f32_e32 v2, v2, v107
	v_fma_f32 v41, v90, v62, -v41
	v_fmac_f32_e32 v110, v87, v58
	v_add_f32_e32 v40, v40, v42
	v_fmac_f32_e32 v112, v91, v62
	v_mul_f32_e32 v42, v95, v67
	v_fma_f32 v43, v92, v64, -v43
	v_fmac_f32_e32 v114, v95, v66
	v_add_f32_e32 v40, v40, v41
	v_dual_mul_f32 v41, v101, v97 :: v_dual_add_f32 v2, v2, v108
	v_fma_f32 v42, v94, v66, -v42
	s_delay_alu instid0(VALU_DEP_3) | instskip(NEXT) | instid1(VALU_DEP_3)
	v_add_f32_e32 v40, v40, v43
	v_fma_f32 v41, v100, v96, -v41
	s_delay_alu instid0(VALU_DEP_4) | instskip(NEXT) | instid1(VALU_DEP_3)
	v_add_f32_e32 v2, v2, v109
	v_add_f32_e32 v40, v40, v42
	s_delay_alu instid0(VALU_DEP_2) | instskip(NEXT) | instid1(VALU_DEP_2)
	v_add_f32_e32 v2, v2, v110
	v_add_f32_e32 v40, v40, v41
	s_delay_alu instid0(VALU_DEP_2) | instskip(SKIP_1) | instid1(VALU_DEP_2)
	v_add_f32_e32 v2, v2, v111
	s_wait_loadcnt 0x0
	v_sub_f32_e32 v40, v98, v40
	s_delay_alu instid0(VALU_DEP_2) | instskip(NEXT) | instid1(VALU_DEP_1)
	v_add_f32_e32 v2, v2, v112
	v_add_f32_e32 v2, v2, v113
	s_delay_alu instid0(VALU_DEP_1) | instskip(NEXT) | instid1(VALU_DEP_1)
	v_add_f32_e32 v2, v2, v114
	v_add_f32_e32 v2, v2, v115
	s_delay_alu instid0(VALU_DEP_1)
	v_sub_f32_e32 v41, v99, v2
	scratch_store_b64 off, v[40:41], off offset:16
	v_cmpx_lt_u32_e32 1, v0
	s_cbranch_execz .LBB17_119
; %bb.118:
	scratch_load_b64 v[40:41], off, off offset:8
	v_mov_b32_e32 v2, v1
	scratch_store_b64 off, v[1:2], off offset:8
	s_wait_loadcnt 0x0
	ds_store_b64 v3, v[40:41]
.LBB17_119:
	s_wait_alu 0xfffe
	s_or_b32 exec_lo, exec_lo, s0
	s_wait_storecnt_dscnt 0x0
	s_barrier_signal -1
	s_barrier_wait -1
	global_inv scope:SCOPE_SE
	s_clause 0x8
	scratch_load_b128 v[40:43], off, off offset:16
	scratch_load_b128 v[44:47], off, off offset:32
	;; [unrolled: 1-line block ×8, first 2 shown]
	scratch_load_b64 v[104:105], off, off offset:8
	ds_load_b128 v[72:75], v1 offset:160
	ds_load_b128 v[76:79], v1 offset:176
	;; [unrolled: 1-line block ×8, first 2 shown]
	s_mov_b32 s0, exec_lo
	s_wait_loadcnt_dscnt 0x807
	v_dual_mul_f32 v1, v72, v41 :: v_dual_mul_f32 v2, v74, v43
	v_mul_f32_e32 v41, v73, v41
	s_wait_loadcnt_dscnt 0x706
	v_dual_mul_f32 v43, v75, v43 :: v_dual_mul_f32 v106, v76, v45
	s_delay_alu instid0(VALU_DEP_3) | instskip(NEXT) | instid1(VALU_DEP_3)
	v_dual_mul_f32 v107, v78, v47 :: v_dual_fmac_f32 v2, v75, v42
	v_fma_f32 v41, v72, v40, -v41
	v_fmac_f32_e32 v1, v73, v40
	v_mul_f32_e32 v40, v77, v45
	v_fma_f32 v42, v74, v42, -v43
	v_mul_f32_e32 v43, v79, v47
	v_dual_add_f32 v41, 0, v41 :: v_dual_fmac_f32 v106, v77, v44
	s_delay_alu instid0(VALU_DEP_4) | instskip(SKIP_2) | instid1(VALU_DEP_3)
	v_fma_f32 v40, v76, v44, -v40
	s_wait_loadcnt_dscnt 0x605
	v_dual_mul_f32 v108, v80, v49 :: v_dual_mul_f32 v109, v82, v51
	v_add_f32_e32 v41, v41, v42
	v_fmac_f32_e32 v107, v79, v46
	v_fma_f32 v42, v78, v46, -v43
	s_wait_loadcnt_dscnt 0x504
	v_dual_mul_f32 v110, v84, v53 :: v_dual_mul_f32 v111, v86, v55
	v_dual_add_f32 v40, v41, v40 :: v_dual_mul_f32 v41, v83, v51
	v_fmac_f32_e32 v108, v81, v48
	s_wait_loadcnt_dscnt 0x403
	v_dual_mul_f32 v112, v88, v57 :: v_dual_mul_f32 v113, v90, v59
	s_delay_alu instid0(VALU_DEP_3) | instskip(SKIP_3) | instid1(VALU_DEP_4)
	v_dual_add_f32 v40, v40, v42 :: v_dual_add_f32 v1, 0, v1
	v_mul_f32_e32 v42, v85, v53
	v_fma_f32 v41, v82, v50, -v41
	v_dual_fmac_f32 v109, v83, v50 :: v_dual_fmac_f32 v110, v85, v52
	v_add_f32_e32 v1, v1, v2
	v_mul_f32_e32 v2, v81, v49
	v_fma_f32 v42, v84, v52, -v42
	v_dual_fmac_f32 v111, v87, v54 :: v_dual_fmac_f32 v112, v89, v56
	s_wait_loadcnt_dscnt 0x302
	v_dual_mul_f32 v114, v92, v61 :: v_dual_mul_f32 v115, v94, v63
	v_fma_f32 v2, v80, v48, -v2
	s_wait_loadcnt_dscnt 0x201
	v_dual_mul_f32 v116, v96, v65 :: v_dual_mul_f32 v117, v98, v67
	s_wait_loadcnt_dscnt 0x100
	v_dual_mul_f32 v118, v100, v69 :: v_dual_mul_f32 v119, v102, v71
	v_add_f32_e32 v2, v40, v2
	v_mul_f32_e32 v40, v87, v55
	v_dual_fmac_f32 v116, v97, v64 :: v_dual_fmac_f32 v117, v99, v66
	s_delay_alu instid0(VALU_DEP_4) | instskip(NEXT) | instid1(VALU_DEP_4)
	v_dual_fmac_f32 v118, v101, v68 :: v_dual_fmac_f32 v119, v103, v70
	v_dual_add_f32 v2, v2, v41 :: v_dual_add_f32 v1, v1, v106
	v_mul_f32_e32 v41, v89, v57
	v_fma_f32 v40, v86, v54, -v40
	v_fmac_f32_e32 v113, v91, v58
	s_delay_alu instid0(VALU_DEP_4)
	v_add_f32_e32 v2, v2, v42
	v_mul_f32_e32 v42, v91, v59
	v_add_f32_e32 v1, v1, v107
	v_fma_f32 v41, v88, v56, -v41
	v_fmac_f32_e32 v114, v93, v60
	v_add_f32_e32 v2, v2, v40
	v_mul_f32_e32 v40, v93, v61
	v_add_f32_e32 v1, v1, v108
	v_fma_f32 v42, v90, v58, -v42
	s_delay_alu instid0(VALU_DEP_4) | instskip(SKIP_1) | instid1(VALU_DEP_4)
	v_dual_fmac_f32 v115, v95, v62 :: v_dual_add_f32 v2, v2, v41
	v_mul_f32_e32 v41, v95, v63
	v_add_f32_e32 v1, v1, v109
	v_fma_f32 v40, v92, v60, -v40
	s_delay_alu instid0(VALU_DEP_4) | instskip(NEXT) | instid1(VALU_DEP_4)
	v_add_f32_e32 v2, v2, v42
	v_fma_f32 v41, v94, v62, -v41
	s_delay_alu instid0(VALU_DEP_4) | instskip(SKIP_1) | instid1(VALU_DEP_4)
	v_add_f32_e32 v1, v1, v110
	v_mul_f32_e32 v42, v97, v65
	v_add_f32_e32 v2, v2, v40
	v_mul_f32_e32 v40, v99, v67
	s_delay_alu instid0(VALU_DEP_4) | instskip(NEXT) | instid1(VALU_DEP_4)
	v_add_f32_e32 v1, v1, v111
	v_fma_f32 v42, v96, v64, -v42
	s_delay_alu instid0(VALU_DEP_4) | instskip(SKIP_1) | instid1(VALU_DEP_4)
	v_add_f32_e32 v2, v2, v41
	v_mul_f32_e32 v41, v101, v69
	v_add_f32_e32 v1, v1, v112
	v_fma_f32 v40, v98, v66, -v40
	s_delay_alu instid0(VALU_DEP_4) | instskip(NEXT) | instid1(VALU_DEP_3)
	v_add_f32_e32 v2, v2, v42
	v_dual_mul_f32 v42, v103, v71 :: v_dual_add_f32 v1, v1, v113
	v_fma_f32 v41, v100, v68, -v41
	s_delay_alu instid0(VALU_DEP_3) | instskip(NEXT) | instid1(VALU_DEP_3)
	v_add_f32_e32 v2, v2, v40
	v_fma_f32 v40, v102, v70, -v42
	s_delay_alu instid0(VALU_DEP_2) | instskip(NEXT) | instid1(VALU_DEP_1)
	v_dual_add_f32 v1, v1, v114 :: v_dual_add_f32 v2, v2, v41
	v_dual_add_f32 v1, v1, v115 :: v_dual_add_f32 v2, v2, v40
	s_delay_alu instid0(VALU_DEP_1) | instskip(NEXT) | instid1(VALU_DEP_1)
	v_add_f32_e32 v1, v1, v116
	v_add_f32_e32 v1, v1, v117
	s_delay_alu instid0(VALU_DEP_1) | instskip(SKIP_1) | instid1(VALU_DEP_1)
	v_add_f32_e32 v1, v1, v118
	s_wait_loadcnt 0x0
	v_dual_add_f32 v40, v1, v119 :: v_dual_sub_f32 v1, v104, v2
	s_delay_alu instid0(VALU_DEP_1)
	v_sub_f32_e32 v2, v105, v40
	scratch_store_b64 off, v[1:2], off offset:8
	v_cmpx_ne_u32_e32 0, v0
	s_cbranch_execz .LBB17_121
; %bb.120:
	scratch_load_b64 v[0:1], off, off
	v_mov_b32_e32 v40, 0
	s_delay_alu instid0(VALU_DEP_1)
	v_mov_b32_e32 v41, v40
	scratch_store_b64 off, v[40:41], off
	s_wait_loadcnt 0x0
	ds_store_b64 v3, v[0:1]
.LBB17_121:
	s_wait_alu 0xfffe
	s_or_b32 exec_lo, exec_lo, s0
	s_wait_storecnt_dscnt 0x0
	s_barrier_signal -1
	s_barrier_wait -1
	global_inv scope:SCOPE_SE
	s_clause 0x9
	scratch_load_b128 v[41:44], off, off offset:8
	scratch_load_b128 v[45:48], off, off offset:24
	;; [unrolled: 1-line block ×8, first 2 shown]
	scratch_load_b64 v[101:102], off, off offset:136
	scratch_load_b64 v[103:104], off, off
	v_mov_b32_e32 v40, 0
	ds_load_2addr_b64 v[69:72], v40 offset0:19 offset1:20
	ds_load_2addr_b64 v[73:76], v40 offset0:21 offset1:22
	;; [unrolled: 1-line block ×8, first 2 shown]
	ds_load_b64 v[105:106], v40 offset:280
	s_and_b32 vcc_lo, exec_lo, s18
	s_wait_loadcnt_dscnt 0x908
	v_dual_mul_f32 v107, v69, v42 :: v_dual_mul_f32 v108, v71, v44
	s_wait_loadcnt_dscnt 0x807
	v_dual_mul_f32 v109, v73, v46 :: v_dual_mul_f32 v44, v72, v44
	;; [unrolled: 2-line block ×3, first 2 shown]
	v_dual_fmac_f32 v107, v70, v41 :: v_dual_fmac_f32 v108, v72, v43
	s_delay_alu instid0(VALU_DEP_3) | instskip(SKIP_1) | instid1(VALU_DEP_4)
	v_fmac_f32_e32 v109, v74, v45
	v_fma_f32 v43, v71, v43, -v44
	v_dual_fmac_f32 v110, v76, v47 :: v_dual_fmac_f32 v111, v78, v49
	s_delay_alu instid0(VALU_DEP_4)
	v_add_f32_e32 v44, 0, v107
	v_mul_f32_e32 v42, v70, v42
	s_wait_loadcnt_dscnt 0x605
	v_dual_mul_f32 v112, v79, v52 :: v_dual_mul_f32 v113, v81, v54
	s_wait_loadcnt_dscnt 0x504
	v_dual_mul_f32 v114, v83, v56 :: v_dual_mul_f32 v115, v85, v58
	v_fma_f32 v42, v69, v41, -v42
	v_dual_mul_f32 v41, v74, v46 :: v_dual_mul_f32 v46, v76, v48
	v_dual_fmac_f32 v112, v80, v51 :: v_dual_fmac_f32 v113, v82, v53
	s_delay_alu instid0(VALU_DEP_3) | instskip(NEXT) | instid1(VALU_DEP_3)
	v_add_f32_e32 v42, 0, v42
	v_fma_f32 v41, v73, v45, -v41
	s_delay_alu instid0(VALU_DEP_4) | instskip(SKIP_1) | instid1(VALU_DEP_4)
	v_fma_f32 v45, v75, v47, -v46
	v_dual_fmac_f32 v114, v84, v55 :: v_dual_fmac_f32 v115, v86, v57
	v_add_f32_e32 v42, v42, v43
	s_wait_loadcnt_dscnt 0x403
	v_dual_mul_f32 v116, v87, v60 :: v_dual_mul_f32 v117, v89, v62
	s_wait_loadcnt_dscnt 0x302
	v_dual_mul_f32 v118, v91, v64 :: v_dual_mul_f32 v119, v93, v66
	v_add_f32_e32 v41, v42, v41
	v_add_f32_e32 v43, v44, v108
	v_dual_fmac_f32 v116, v88, v59 :: v_dual_fmac_f32 v117, v90, v61
	s_wait_loadcnt_dscnt 0x201
	v_dual_mul_f32 v120, v95, v68 :: v_dual_mul_f32 v121, v97, v1
	s_delay_alu instid0(VALU_DEP_3) | instskip(SKIP_2) | instid1(VALU_DEP_4)
	v_dual_add_f32 v42, v43, v109 :: v_dual_mul_f32 v43, v80, v52
	v_add_f32_e32 v41, v41, v45
	v_mul_f32_e32 v45, v82, v54
	v_dual_mul_f32 v1, v98, v1 :: v_dual_fmac_f32 v120, v96, v67
	s_delay_alu instid0(VALU_DEP_4) | instskip(SKIP_1) | instid1(VALU_DEP_4)
	v_fma_f32 v43, v79, v51, -v43
	v_mul_f32_e32 v44, v78, v50
	v_fma_f32 v45, v81, v53, -v45
	s_wait_loadcnt_dscnt 0x100
	v_dual_mul_f32 v122, v99, v3 :: v_dual_mul_f32 v123, v105, v102
	v_fmac_f32_e32 v118, v92, v63
	v_fma_f32 v44, v77, v49, -v44
	v_add_f32_e32 v42, v42, v110
	v_fmac_f32_e32 v119, v94, v65
	v_fmac_f32_e32 v121, v98, v0
	v_fma_f32 v0, v97, v0, -v1
	v_add_f32_e32 v41, v41, v44
	v_mul_f32_e32 v44, v84, v56
	v_dual_fmac_f32 v122, v100, v2 :: v_dual_fmac_f32 v123, v106, v101
	s_delay_alu instid0(VALU_DEP_3) | instskip(SKIP_3) | instid1(VALU_DEP_4)
	v_add_f32_e32 v41, v41, v43
	v_add_f32_e32 v42, v42, v111
	v_mul_f32_e32 v43, v86, v58
	v_fma_f32 v44, v83, v55, -v44
	v_add_f32_e32 v41, v41, v45
	v_mul_f32_e32 v45, v88, v60
	s_delay_alu instid0(VALU_DEP_4) | instskip(NEXT) | instid1(VALU_DEP_3)
	v_fma_f32 v43, v85, v57, -v43
	v_add_f32_e32 v41, v41, v44
	v_add_f32_e32 v42, v42, v112
	v_mul_f32_e32 v44, v90, v62
	v_fma_f32 v45, v87, v59, -v45
	s_delay_alu instid0(VALU_DEP_3) | instskip(SKIP_1) | instid1(VALU_DEP_4)
	v_dual_add_f32 v41, v41, v43 :: v_dual_add_f32 v42, v42, v113
	v_mul_f32_e32 v43, v92, v64
	v_fma_f32 v44, v89, v61, -v44
	s_delay_alu instid0(VALU_DEP_3) | instskip(NEXT) | instid1(VALU_DEP_3)
	v_dual_add_f32 v41, v41, v45 :: v_dual_add_f32 v42, v42, v114
	v_fma_f32 v43, v91, v63, -v43
	v_mul_f32_e32 v45, v94, v66
	s_delay_alu instid0(VALU_DEP_3) | instskip(SKIP_1) | instid1(VALU_DEP_3)
	v_dual_add_f32 v41, v41, v44 :: v_dual_add_f32 v42, v42, v115
	v_mul_f32_e32 v44, v96, v68
	v_fma_f32 v45, v93, v65, -v45
	s_delay_alu instid0(VALU_DEP_3) | instskip(NEXT) | instid1(VALU_DEP_3)
	v_dual_add_f32 v41, v41, v43 :: v_dual_add_f32 v42, v42, v116
	v_fma_f32 v43, v95, v67, -v44
	s_delay_alu instid0(VALU_DEP_2) | instskip(NEXT) | instid1(VALU_DEP_1)
	v_dual_mul_f32 v44, v100, v3 :: v_dual_add_f32 v41, v41, v45
	v_dual_add_f32 v42, v42, v117 :: v_dual_add_f32 v1, v41, v43
	s_delay_alu instid0(VALU_DEP_1) | instskip(NEXT) | instid1(VALU_DEP_3)
	v_add_f32_e32 v42, v42, v118
	v_fma_f32 v43, v99, v2, -v44
	s_delay_alu instid0(VALU_DEP_2) | instskip(NEXT) | instid1(VALU_DEP_1)
	v_add_f32_e32 v42, v42, v119
	v_add_f32_e32 v41, v42, v120
	v_mul_f32_e32 v42, v106, v102
	v_add_f32_e32 v0, v1, v0
	s_delay_alu instid0(VALU_DEP_3) | instskip(NEXT) | instid1(VALU_DEP_3)
	v_add_f32_e32 v1, v41, v121
	v_fma_f32 v41, v105, v101, -v42
	s_delay_alu instid0(VALU_DEP_2) | instskip(NEXT) | instid1(VALU_DEP_1)
	v_dual_add_f32 v0, v0, v43 :: v_dual_add_f32 v1, v1, v122
	v_dual_add_f32 v0, v0, v41 :: v_dual_add_f32 v1, v1, v123
	s_wait_loadcnt 0x0
	s_delay_alu instid0(VALU_DEP_1)
	v_dual_sub_f32 v0, v103, v0 :: v_dual_sub_f32 v1, v104, v1
	scratch_store_b64 off, v[0:1], off
	s_wait_alu 0xfffe
	s_cbranch_vccz .LBB17_156
; %bb.122:
	global_load_b32 v0, v40, s[2:3] offset:64
	s_wait_loadcnt 0x0
	v_cmp_ne_u32_e32 vcc_lo, 17, v0
	s_cbranch_vccz .LBB17_124
; %bb.123:
	v_lshlrev_b32_e32 v0, 3, v0
	s_delay_alu instid0(VALU_DEP_1)
	v_mov_b32_e32 v40, v0
	scratch_load_b64 v[0:1], v40, off offset:-8
	s_wait_loadcnt 0x0
	scratch_store_b64 off, v[0:1], off offset:128
	scratch_store_b64 v40, v[2:3], off offset:-8
.LBB17_124:
	v_mov_b32_e32 v0, 0
	global_load_b32 v1, v0, s[2:3] offset:60
	s_wait_loadcnt 0x0
	v_cmp_eq_u32_e32 vcc_lo, 16, v1
	s_cbranch_vccnz .LBB17_126
; %bb.125:
	v_lshlrev_b32_e32 v1, 3, v1
	s_delay_alu instid0(VALU_DEP_1)
	v_mov_b32_e32 v3, v1
	scratch_load_b64 v[1:2], v3, off offset:-8
	scratch_load_b64 v[40:41], off, off offset:120
	s_wait_loadcnt 0x1
	scratch_store_b64 off, v[1:2], off offset:120
	s_wait_loadcnt 0x0
	scratch_store_b64 v3, v[40:41], off offset:-8
.LBB17_126:
	global_load_b32 v0, v0, s[2:3] offset:56
	s_wait_loadcnt 0x0
	v_cmp_eq_u32_e32 vcc_lo, 15, v0
	s_cbranch_vccnz .LBB17_128
; %bb.127:
	v_lshlrev_b32_e32 v0, 3, v0
	s_delay_alu instid0(VALU_DEP_1)
	v_mov_b32_e32 v40, v0
	scratch_load_b64 v[0:1], v40, off offset:-8
	scratch_load_b64 v[2:3], off, off offset:112
	s_wait_loadcnt 0x1
	scratch_store_b64 off, v[0:1], off offset:112
	s_wait_loadcnt 0x0
	scratch_store_b64 v40, v[2:3], off offset:-8
.LBB17_128:
	v_mov_b32_e32 v0, 0
	global_load_b32 v1, v0, s[2:3] offset:52
	s_wait_loadcnt 0x0
	v_cmp_eq_u32_e32 vcc_lo, 14, v1
	s_cbranch_vccnz .LBB17_130
; %bb.129:
	v_lshlrev_b32_e32 v1, 3, v1
	s_delay_alu instid0(VALU_DEP_1)
	v_mov_b32_e32 v3, v1
	scratch_load_b64 v[1:2], v3, off offset:-8
	scratch_load_b64 v[40:41], off, off offset:104
	s_wait_loadcnt 0x1
	scratch_store_b64 off, v[1:2], off offset:104
	s_wait_loadcnt 0x0
	scratch_store_b64 v3, v[40:41], off offset:-8
.LBB17_130:
	global_load_b32 v0, v0, s[2:3] offset:48
	s_wait_loadcnt 0x0
	v_cmp_eq_u32_e32 vcc_lo, 13, v0
	s_cbranch_vccnz .LBB17_132
; %bb.131:
	v_lshlrev_b32_e32 v0, 3, v0
	s_delay_alu instid0(VALU_DEP_1)
	v_mov_b32_e32 v40, v0
	scratch_load_b64 v[0:1], v40, off offset:-8
	scratch_load_b64 v[2:3], off, off offset:96
	s_wait_loadcnt 0x1
	scratch_store_b64 off, v[0:1], off offset:96
	s_wait_loadcnt 0x0
	scratch_store_b64 v40, v[2:3], off offset:-8
.LBB17_132:
	;; [unrolled: 31-line block ×7, first 2 shown]
	v_mov_b32_e32 v0, 0
	global_load_b32 v1, v0, s[2:3] offset:4
	s_wait_loadcnt 0x0
	v_cmp_eq_u32_e32 vcc_lo, 2, v1
	s_cbranch_vccnz .LBB17_154
; %bb.153:
	v_lshlrev_b32_e32 v1, 3, v1
	s_delay_alu instid0(VALU_DEP_1)
	v_mov_b32_e32 v3, v1
	scratch_load_b64 v[1:2], v3, off offset:-8
	scratch_load_b64 v[40:41], off, off offset:8
	s_wait_loadcnt 0x1
	scratch_store_b64 off, v[1:2], off offset:8
	s_wait_loadcnt 0x0
	scratch_store_b64 v3, v[40:41], off offset:-8
.LBB17_154:
	global_load_b32 v0, v0, s[2:3]
	s_wait_loadcnt 0x0
	v_cmp_eq_u32_e32 vcc_lo, 1, v0
	s_cbranch_vccnz .LBB17_156
; %bb.155:
	v_lshlrev_b32_e32 v0, 3, v0
	s_delay_alu instid0(VALU_DEP_1)
	v_mov_b32_e32 v40, v0
	scratch_load_b64 v[0:1], v40, off offset:-8
	scratch_load_b64 v[2:3], off, off
	s_wait_loadcnt 0x1
	scratch_store_b64 off, v[0:1], off
	s_wait_loadcnt 0x0
	scratch_store_b64 v40, v[2:3], off offset:-8
.LBB17_156:
	s_clause 0x8
	scratch_load_b128 v[0:3], off, off
	scratch_load_b128 v[40:43], off, off offset:16
	scratch_load_b128 v[44:47], off, off offset:32
	;; [unrolled: 1-line block ×8, first 2 shown]
	s_wait_loadcnt 0x8
	s_clause 0x1
	global_store_b64 v[4:5], v[0:1], off
	global_store_b64 v[6:7], v[2:3], off
	s_wait_loadcnt 0x7
	s_clause 0x1
	global_store_b64 v[8:9], v[40:41], off
	global_store_b64 v[10:11], v[42:43], off
	;; [unrolled: 4-line block ×9, first 2 shown]
	s_nop 0
	s_sendmsg sendmsg(MSG_DEALLOC_VGPRS)
	s_endpgm
	.section	.rodata,"a",@progbits
	.p2align	6, 0x0
	.amdhsa_kernel _ZN9rocsolver6v33100L18getri_kernel_smallILi18E19rocblas_complex_numIfEPS3_EEvT1_iilPiilS6_bb
		.amdhsa_group_segment_fixed_size 292
		.amdhsa_private_segment_fixed_size 160
		.amdhsa_kernarg_size 60
		.amdhsa_user_sgpr_count 2
		.amdhsa_user_sgpr_dispatch_ptr 0
		.amdhsa_user_sgpr_queue_ptr 0
		.amdhsa_user_sgpr_kernarg_segment_ptr 1
		.amdhsa_user_sgpr_dispatch_id 0
		.amdhsa_user_sgpr_private_segment_size 0
		.amdhsa_wavefront_size32 1
		.amdhsa_uses_dynamic_stack 0
		.amdhsa_enable_private_segment 1
		.amdhsa_system_sgpr_workgroup_id_x 1
		.amdhsa_system_sgpr_workgroup_id_y 0
		.amdhsa_system_sgpr_workgroup_id_z 0
		.amdhsa_system_sgpr_workgroup_info 0
		.amdhsa_system_vgpr_workitem_id 0
		.amdhsa_next_free_vgpr 124
		.amdhsa_next_free_sgpr 19
		.amdhsa_reserve_vcc 1
		.amdhsa_float_round_mode_32 0
		.amdhsa_float_round_mode_16_64 0
		.amdhsa_float_denorm_mode_32 3
		.amdhsa_float_denorm_mode_16_64 3
		.amdhsa_fp16_overflow 0
		.amdhsa_workgroup_processor_mode 1
		.amdhsa_memory_ordered 1
		.amdhsa_forward_progress 1
		.amdhsa_inst_pref_size 140
		.amdhsa_round_robin_scheduling 0
		.amdhsa_exception_fp_ieee_invalid_op 0
		.amdhsa_exception_fp_denorm_src 0
		.amdhsa_exception_fp_ieee_div_zero 0
		.amdhsa_exception_fp_ieee_overflow 0
		.amdhsa_exception_fp_ieee_underflow 0
		.amdhsa_exception_fp_ieee_inexact 0
		.amdhsa_exception_int_div_zero 0
	.end_amdhsa_kernel
	.section	.text._ZN9rocsolver6v33100L18getri_kernel_smallILi18E19rocblas_complex_numIfEPS3_EEvT1_iilPiilS6_bb,"axG",@progbits,_ZN9rocsolver6v33100L18getri_kernel_smallILi18E19rocblas_complex_numIfEPS3_EEvT1_iilPiilS6_bb,comdat
.Lfunc_end17:
	.size	_ZN9rocsolver6v33100L18getri_kernel_smallILi18E19rocblas_complex_numIfEPS3_EEvT1_iilPiilS6_bb, .Lfunc_end17-_ZN9rocsolver6v33100L18getri_kernel_smallILi18E19rocblas_complex_numIfEPS3_EEvT1_iilPiilS6_bb
                                        ; -- End function
	.set _ZN9rocsolver6v33100L18getri_kernel_smallILi18E19rocblas_complex_numIfEPS3_EEvT1_iilPiilS6_bb.num_vgpr, 124
	.set _ZN9rocsolver6v33100L18getri_kernel_smallILi18E19rocblas_complex_numIfEPS3_EEvT1_iilPiilS6_bb.num_agpr, 0
	.set _ZN9rocsolver6v33100L18getri_kernel_smallILi18E19rocblas_complex_numIfEPS3_EEvT1_iilPiilS6_bb.numbered_sgpr, 19
	.set _ZN9rocsolver6v33100L18getri_kernel_smallILi18E19rocblas_complex_numIfEPS3_EEvT1_iilPiilS6_bb.num_named_barrier, 0
	.set _ZN9rocsolver6v33100L18getri_kernel_smallILi18E19rocblas_complex_numIfEPS3_EEvT1_iilPiilS6_bb.private_seg_size, 160
	.set _ZN9rocsolver6v33100L18getri_kernel_smallILi18E19rocblas_complex_numIfEPS3_EEvT1_iilPiilS6_bb.uses_vcc, 1
	.set _ZN9rocsolver6v33100L18getri_kernel_smallILi18E19rocblas_complex_numIfEPS3_EEvT1_iilPiilS6_bb.uses_flat_scratch, 1
	.set _ZN9rocsolver6v33100L18getri_kernel_smallILi18E19rocblas_complex_numIfEPS3_EEvT1_iilPiilS6_bb.has_dyn_sized_stack, 0
	.set _ZN9rocsolver6v33100L18getri_kernel_smallILi18E19rocblas_complex_numIfEPS3_EEvT1_iilPiilS6_bb.has_recursion, 0
	.set _ZN9rocsolver6v33100L18getri_kernel_smallILi18E19rocblas_complex_numIfEPS3_EEvT1_iilPiilS6_bb.has_indirect_call, 0
	.section	.AMDGPU.csdata,"",@progbits
; Kernel info:
; codeLenInByte = 17832
; TotalNumSgprs: 21
; NumVgprs: 124
; ScratchSize: 160
; MemoryBound: 0
; FloatMode: 240
; IeeeMode: 1
; LDSByteSize: 292 bytes/workgroup (compile time only)
; SGPRBlocks: 0
; VGPRBlocks: 15
; NumSGPRsForWavesPerEU: 21
; NumVGPRsForWavesPerEU: 124
; Occupancy: 10
; WaveLimiterHint : 1
; COMPUTE_PGM_RSRC2:SCRATCH_EN: 1
; COMPUTE_PGM_RSRC2:USER_SGPR: 2
; COMPUTE_PGM_RSRC2:TRAP_HANDLER: 0
; COMPUTE_PGM_RSRC2:TGID_X_EN: 1
; COMPUTE_PGM_RSRC2:TGID_Y_EN: 0
; COMPUTE_PGM_RSRC2:TGID_Z_EN: 0
; COMPUTE_PGM_RSRC2:TIDIG_COMP_CNT: 0
	.section	.text._ZN9rocsolver6v33100L18getri_kernel_smallILi19E19rocblas_complex_numIfEPS3_EEvT1_iilPiilS6_bb,"axG",@progbits,_ZN9rocsolver6v33100L18getri_kernel_smallILi19E19rocblas_complex_numIfEPS3_EEvT1_iilPiilS6_bb,comdat
	.globl	_ZN9rocsolver6v33100L18getri_kernel_smallILi19E19rocblas_complex_numIfEPS3_EEvT1_iilPiilS6_bb ; -- Begin function _ZN9rocsolver6v33100L18getri_kernel_smallILi19E19rocblas_complex_numIfEPS3_EEvT1_iilPiilS6_bb
	.p2align	8
	.type	_ZN9rocsolver6v33100L18getri_kernel_smallILi19E19rocblas_complex_numIfEPS3_EEvT1_iilPiilS6_bb,@function
_ZN9rocsolver6v33100L18getri_kernel_smallILi19E19rocblas_complex_numIfEPS3_EEvT1_iilPiilS6_bb: ; @_ZN9rocsolver6v33100L18getri_kernel_smallILi19E19rocblas_complex_numIfEPS3_EEvT1_iilPiilS6_bb
; %bb.0:
	s_mov_b32 s2, exec_lo
	v_cmpx_gt_u32_e32 19, v0
	s_cbranch_execz .LBB18_90
; %bb.1:
	s_clause 0x2
	s_load_b32 s2, s[0:1], 0x38
	s_load_b128 s[12:15], s[0:1], 0x10
	s_load_b128 s[4:7], s[0:1], 0x28
	s_mov_b32 s16, ttmp9
	s_wait_kmcnt 0x0
	s_bitcmp1_b32 s2, 8
	s_cselect_b32 s18, -1, 0
	s_bfe_u32 s2, s2, 0x10008
	s_ashr_i32 s17, ttmp9, 31
	s_cmp_eq_u32 s2, 0
                                        ; implicit-def: $sgpr2_sgpr3
	s_cbranch_scc1 .LBB18_3
; %bb.2:
	s_load_b32 s2, s[0:1], 0x20
	s_mul_u64 s[4:5], s[4:5], s[16:17]
	s_delay_alu instid0(SALU_CYCLE_1) | instskip(NEXT) | instid1(SALU_CYCLE_1)
	s_lshl_b64 s[4:5], s[4:5], 2
	s_add_nc_u64 s[4:5], s[14:15], s[4:5]
	s_wait_kmcnt 0x0
	s_ashr_i32 s3, s2, 31
	s_delay_alu instid0(SALU_CYCLE_1) | instskip(NEXT) | instid1(SALU_CYCLE_1)
	s_lshl_b64 s[2:3], s[2:3], 2
	s_add_nc_u64 s[2:3], s[4:5], s[2:3]
.LBB18_3:
	s_clause 0x1
	s_load_b128 s[8:11], s[0:1], 0x0
	s_load_b32 s4, s[0:1], 0x38
	s_mul_u64 s[0:1], s[12:13], s[16:17]
	v_lshlrev_b32_e32 v45, 3, v0
	s_lshl_b64 s[0:1], s[0:1], 3
	s_wait_kmcnt 0x0
	v_add3_u32 v3, s11, s11, v0
	s_ashr_i32 s13, s10, 31
	s_mov_b32 s12, s10
	s_add_nc_u64 s[0:1], s[8:9], s[0:1]
	s_lshl_b64 s[12:13], s[12:13], 3
	v_add_nc_u32_e32 v5, s11, v3
	v_ashrrev_i32_e32 v4, 31, v3
	s_add_nc_u64 s[0:1], s[0:1], s[12:13]
	s_ashr_i32 s9, s11, 31
	v_add_co_u32 v1, s5, s0, v45
	v_add_nc_u32_e32 v9, s11, v5
	v_ashrrev_i32_e32 v6, 31, v5
	s_mov_b32 s8, s11
	v_lshlrev_b64_e32 v[7:8], 3, v[3:4]
	v_add_co_ci_u32_e64 v2, null, s1, 0, s5
	v_add_nc_u32_e32 v13, s11, v9
	s_lshl_b64 s[8:9], s[8:9], 3
	v_lshlrev_b64_e32 v[11:12], 3, v[5:6]
	v_add_co_u32 v3, vcc_lo, v1, s8
	s_delay_alu instid0(VALU_DEP_3)
	v_ashrrev_i32_e32 v14, 31, v13
	v_add_nc_u32_e32 v15, s11, v13
	v_add_co_ci_u32_e64 v4, null, s9, v2, vcc_lo
	v_add_co_u32 v5, vcc_lo, s0, v7
	s_wait_alu 0xfffd
	v_add_co_ci_u32_e64 v6, null, s1, v8, vcc_lo
	v_add_co_u32 v7, vcc_lo, s0, v11
	s_wait_alu 0xfffd
	v_add_co_ci_u32_e64 v8, null, s1, v12, vcc_lo
	v_lshlrev_b64_e32 v[11:12], 3, v[13:14]
	v_add_nc_u32_e32 v13, s11, v15
	v_ashrrev_i32_e32 v10, 31, v9
	v_ashrrev_i32_e32 v16, 31, v15
	global_load_b64 v[39:40], v45, s[0:1]
	s_bitcmp0_b32 s4, 0
	v_add_nc_u32_e32 v17, s11, v13
	v_lshlrev_b64_e32 v[9:10], 3, v[9:10]
	v_ashrrev_i32_e32 v14, 31, v13
	v_lshlrev_b64_e32 v[15:16], 3, v[15:16]
	s_delay_alu instid0(VALU_DEP_4)
	v_ashrrev_i32_e32 v18, 31, v17
	v_add_nc_u32_e32 v23, s11, v17
	v_add_co_u32 v9, vcc_lo, s0, v9
	v_lshlrev_b64_e32 v[19:20], 3, v[13:14]
	s_wait_alu 0xfffd
	v_add_co_ci_u32_e64 v10, null, s1, v10, vcc_lo
	v_add_co_u32 v11, vcc_lo, s0, v11
	v_lshlrev_b64_e32 v[21:22], 3, v[17:18]
	s_wait_alu 0xfffd
	v_add_co_ci_u32_e64 v12, null, s1, v12, vcc_lo
	v_add_co_u32 v13, vcc_lo, s0, v15
	s_wait_alu 0xfffd
	v_add_co_ci_u32_e64 v14, null, s1, v16, vcc_lo
	v_add_co_u32 v15, vcc_lo, s0, v19
	v_ashrrev_i32_e32 v24, 31, v23
	v_add_nc_u32_e32 v19, s11, v23
	s_wait_alu 0xfffd
	v_add_co_ci_u32_e64 v16, null, s1, v20, vcc_lo
	v_add_co_u32 v17, vcc_lo, s0, v21
	s_wait_alu 0xfffd
	v_add_co_ci_u32_e64 v18, null, s1, v22, vcc_lo
	v_lshlrev_b64_e32 v[21:22], 3, v[23:24]
	v_add_nc_u32_e32 v23, s11, v19
	v_ashrrev_i32_e32 v20, 31, v19
	s_clause 0x7
	global_load_b64 v[41:42], v[3:4], off
	global_load_b64 v[46:47], v[5:6], off
	;; [unrolled: 1-line block ×8, first 2 shown]
	v_add_nc_u32_e32 v27, s11, v23
	v_lshlrev_b64_e32 v[25:26], 3, v[19:20]
	v_add_co_u32 v19, vcc_lo, s0, v21
	s_wait_alu 0xfffd
	v_add_co_ci_u32_e64 v20, null, s1, v22, vcc_lo
	v_ashrrev_i32_e32 v28, 31, v27
	s_delay_alu instid0(VALU_DEP_4) | instskip(SKIP_2) | instid1(VALU_DEP_3)
	v_add_co_u32 v21, vcc_lo, s0, v25
	s_wait_alu 0xfffd
	v_add_co_ci_u32_e64 v22, null, s1, v26, vcc_lo
	v_lshlrev_b64_e32 v[25:26], 3, v[27:28]
	v_add_nc_u32_e32 v27, s11, v27
	v_ashrrev_i32_e32 v24, 31, v23
	s_delay_alu instid0(VALU_DEP_2) | instskip(SKIP_1) | instid1(VALU_DEP_3)
	v_add_nc_u32_e32 v29, s11, v27
	v_ashrrev_i32_e32 v28, 31, v27
	v_lshlrev_b64_e32 v[23:24], 3, v[23:24]
	s_delay_alu instid0(VALU_DEP_3) | instskip(SKIP_1) | instid1(VALU_DEP_4)
	v_add_nc_u32_e32 v31, s11, v29
	v_ashrrev_i32_e32 v30, 31, v29
	v_lshlrev_b64_e32 v[27:28], 3, v[27:28]
	s_delay_alu instid0(VALU_DEP_4) | instskip(NEXT) | instid1(VALU_DEP_4)
	v_add_co_u32 v23, vcc_lo, s0, v23
	v_add_nc_u32_e32 v33, s11, v31
	v_ashrrev_i32_e32 v32, 31, v31
	v_lshlrev_b64_e32 v[29:30], 3, v[29:30]
	s_wait_alu 0xfffd
	v_add_co_ci_u32_e64 v24, null, s1, v24, vcc_lo
	v_add_nc_u32_e32 v35, s11, v33
	v_ashrrev_i32_e32 v34, 31, v33
	v_add_co_u32 v25, vcc_lo, s0, v25
	v_lshlrev_b64_e32 v[31:32], 3, v[31:32]
	s_delay_alu instid0(VALU_DEP_4)
	v_add_nc_u32_e32 v37, s11, v35
	v_ashrrev_i32_e32 v36, 31, v35
	s_wait_alu 0xfffd
	v_add_co_ci_u32_e64 v26, null, s1, v26, vcc_lo
	v_add_co_u32 v27, vcc_lo, s0, v27
	v_ashrrev_i32_e32 v38, 31, v37
	v_lshlrev_b64_e32 v[33:34], 3, v[33:34]
	s_wait_alu 0xfffd
	v_add_co_ci_u32_e64 v28, null, s1, v28, vcc_lo
	v_add_co_u32 v29, vcc_lo, s0, v29
	v_lshlrev_b64_e32 v[35:36], 3, v[35:36]
	s_wait_alu 0xfffd
	v_add_co_ci_u32_e64 v30, null, s1, v30, vcc_lo
	v_add_co_u32 v31, vcc_lo, s0, v31
	;; [unrolled: 4-line block ×3, first 2 shown]
	s_wait_alu 0xfffd
	v_add_co_ci_u32_e64 v34, null, s1, v34, vcc_lo
	v_add_co_u32 v35, vcc_lo, s0, v35
	s_wait_alu 0xfffd
	v_add_co_ci_u32_e64 v36, null, s1, v36, vcc_lo
	v_add_co_u32 v37, vcc_lo, s0, v37
	s_clause 0x3
	global_load_b64 v[60:61], v[19:20], off
	global_load_b64 v[62:63], v[21:22], off
	;; [unrolled: 1-line block ×4, first 2 shown]
	s_wait_alu 0xfffd
	v_add_co_ci_u32_e64 v38, null, s1, v38, vcc_lo
	s_clause 0x5
	global_load_b64 v[68:69], v[27:28], off
	global_load_b64 v[70:71], v[29:30], off
	;; [unrolled: 1-line block ×6, first 2 shown]
	s_mov_b32 s1, -1
	s_wait_loadcnt 0x11
	scratch_store_b128 off, v[39:42], off
	s_wait_loadcnt 0xf
	scratch_store_b128 off, v[46:49], off offset:16
	s_wait_loadcnt 0xd
	scratch_store_b128 off, v[50:53], off offset:32
	;; [unrolled: 2-line block ×8, first 2 shown]
	s_wait_loadcnt 0x0
	scratch_store_b64 off, v[43:44], off offset:144
	s_cbranch_scc1 .LBB18_88
; %bb.4:
	v_cmp_eq_u32_e64 s0, 0, v0
	s_and_saveexec_b32 s1, s0
; %bb.5:
	v_mov_b32_e32 v39, 0
	ds_store_b32 v39, v39 offset:152
; %bb.6:
	s_wait_alu 0xfffe
	s_or_b32 exec_lo, exec_lo, s1
	s_wait_storecnt_dscnt 0x0
	s_barrier_signal -1
	s_barrier_wait -1
	global_inv scope:SCOPE_SE
	scratch_load_b64 v[39:40], v45, off
	s_wait_loadcnt 0x0
	v_cmp_eq_f32_e32 vcc_lo, 0, v39
	v_cmp_eq_f32_e64 s1, 0, v40
	s_and_b32 s1, vcc_lo, s1
	s_wait_alu 0xfffe
	s_and_saveexec_b32 s4, s1
	s_cbranch_execz .LBB18_10
; %bb.7:
	v_mov_b32_e32 v39, 0
	s_mov_b32 s5, 0
	ds_load_b32 v40, v39 offset:152
	s_wait_dscnt 0x0
	v_readfirstlane_b32 s1, v40
	v_add_nc_u32_e32 v40, 1, v0
	s_cmp_eq_u32 s1, 0
	s_delay_alu instid0(VALU_DEP_1)
	v_cmp_gt_i32_e32 vcc_lo, s1, v40
	s_cselect_b32 s8, -1, 0
	s_wait_alu 0xfffe
	s_or_b32 s8, s8, vcc_lo
	s_wait_alu 0xfffe
	s_and_b32 exec_lo, exec_lo, s8
	s_cbranch_execz .LBB18_10
; %bb.8:
	v_mov_b32_e32 v41, s1
.LBB18_9:                               ; =>This Inner Loop Header: Depth=1
	ds_cmpstore_rtn_b32 v41, v39, v40, v41 offset:152
	s_wait_dscnt 0x0
	v_cmp_ne_u32_e32 vcc_lo, 0, v41
	v_cmp_le_i32_e64 s1, v41, v40
	s_and_b32 s1, vcc_lo, s1
	s_wait_alu 0xfffe
	s_and_b32 s1, exec_lo, s1
	s_wait_alu 0xfffe
	s_or_b32 s5, s1, s5
	s_wait_alu 0xfffe
	s_and_not1_b32 exec_lo, exec_lo, s5
	s_cbranch_execnz .LBB18_9
.LBB18_10:
	s_wait_alu 0xfffe
	s_or_b32 exec_lo, exec_lo, s4
	v_mov_b32_e32 v39, 0
	s_barrier_signal -1
	s_barrier_wait -1
	global_inv scope:SCOPE_SE
	ds_load_b32 v40, v39 offset:152
	s_and_saveexec_b32 s1, s0
	s_cbranch_execz .LBB18_12
; %bb.11:
	s_lshl_b64 s[4:5], s[16:17], 2
	s_wait_alu 0xfffe
	s_add_nc_u64 s[4:5], s[6:7], s[4:5]
	s_wait_dscnt 0x0
	global_store_b32 v39, v40, s[4:5]
.LBB18_12:
	s_wait_alu 0xfffe
	s_or_b32 exec_lo, exec_lo, s1
	s_wait_dscnt 0x0
	v_cmp_ne_u32_e32 vcc_lo, 0, v40
	s_mov_b32 s1, 0
	s_cbranch_vccnz .LBB18_88
; %bb.13:
	v_mov_b32_e32 v46, v45
                                        ; implicit-def: $vgpr41
                                        ; implicit-def: $vgpr43
	scratch_load_b64 v[39:40], v46, off
	s_wait_loadcnt 0x0
	v_cmp_ngt_f32_e64 s1, |v39|, |v40|
	s_wait_alu 0xfffe
	s_and_saveexec_b32 s4, s1
	s_wait_alu 0xfffe
	s_xor_b32 s1, exec_lo, s4
	s_cbranch_execz .LBB18_15
; %bb.14:
	v_div_scale_f32 v41, null, v40, v40, v39
	v_div_scale_f32 v44, vcc_lo, v39, v40, v39
	s_delay_alu instid0(VALU_DEP_2) | instskip(NEXT) | instid1(TRANS32_DEP_1)
	v_rcp_f32_e32 v42, v41
	v_fma_f32 v43, -v41, v42, 1.0
	s_delay_alu instid0(VALU_DEP_1) | instskip(NEXT) | instid1(VALU_DEP_1)
	v_fmac_f32_e32 v42, v43, v42
	v_mul_f32_e32 v43, v44, v42
	s_delay_alu instid0(VALU_DEP_1) | instskip(NEXT) | instid1(VALU_DEP_1)
	v_fma_f32 v47, -v41, v43, v44
	v_fmac_f32_e32 v43, v47, v42
	s_delay_alu instid0(VALU_DEP_1) | instskip(SKIP_1) | instid1(VALU_DEP_1)
	v_fma_f32 v41, -v41, v43, v44
	s_wait_alu 0xfffd
	v_div_fmas_f32 v41, v41, v42, v43
	s_delay_alu instid0(VALU_DEP_1) | instskip(NEXT) | instid1(VALU_DEP_1)
	v_div_fixup_f32 v41, v41, v40, v39
	v_fmac_f32_e32 v40, v39, v41
	s_delay_alu instid0(VALU_DEP_1) | instskip(NEXT) | instid1(VALU_DEP_1)
	v_div_scale_f32 v39, null, v40, v40, 1.0
	v_rcp_f32_e32 v42, v39
	s_delay_alu instid0(TRANS32_DEP_1) | instskip(NEXT) | instid1(VALU_DEP_1)
	v_fma_f32 v43, -v39, v42, 1.0
	v_fmac_f32_e32 v42, v43, v42
	v_div_scale_f32 v43, vcc_lo, 1.0, v40, 1.0
	s_delay_alu instid0(VALU_DEP_1) | instskip(NEXT) | instid1(VALU_DEP_1)
	v_mul_f32_e32 v44, v43, v42
	v_fma_f32 v47, -v39, v44, v43
	s_delay_alu instid0(VALU_DEP_1) | instskip(NEXT) | instid1(VALU_DEP_1)
	v_fmac_f32_e32 v44, v47, v42
	v_fma_f32 v39, -v39, v44, v43
	s_wait_alu 0xfffd
	s_delay_alu instid0(VALU_DEP_1) | instskip(NEXT) | instid1(VALU_DEP_1)
	v_div_fmas_f32 v39, v39, v42, v44
	v_div_fixup_f32 v39, v39, v40, 1.0
	s_delay_alu instid0(VALU_DEP_1) | instskip(SKIP_1) | instid1(VALU_DEP_2)
	v_mul_f32_e32 v41, v41, v39
	v_xor_b32_e32 v42, 0x80000000, v39
                                        ; implicit-def: $vgpr39_vgpr40
	v_xor_b32_e32 v43, 0x80000000, v41
.LBB18_15:
	s_wait_alu 0xfffe
	s_and_not1_saveexec_b32 s1, s1
	s_cbranch_execz .LBB18_17
; %bb.16:
	v_div_scale_f32 v41, null, v39, v39, v40
	v_div_scale_f32 v44, vcc_lo, v40, v39, v40
	s_delay_alu instid0(VALU_DEP_2) | instskip(NEXT) | instid1(TRANS32_DEP_1)
	v_rcp_f32_e32 v42, v41
	v_fma_f32 v43, -v41, v42, 1.0
	s_delay_alu instid0(VALU_DEP_1) | instskip(NEXT) | instid1(VALU_DEP_1)
	v_fmac_f32_e32 v42, v43, v42
	v_mul_f32_e32 v43, v44, v42
	s_delay_alu instid0(VALU_DEP_1) | instskip(NEXT) | instid1(VALU_DEP_1)
	v_fma_f32 v47, -v41, v43, v44
	v_fmac_f32_e32 v43, v47, v42
	s_delay_alu instid0(VALU_DEP_1) | instskip(SKIP_1) | instid1(VALU_DEP_1)
	v_fma_f32 v41, -v41, v43, v44
	s_wait_alu 0xfffd
	v_div_fmas_f32 v41, v41, v42, v43
	s_delay_alu instid0(VALU_DEP_1) | instskip(NEXT) | instid1(VALU_DEP_1)
	v_div_fixup_f32 v42, v41, v39, v40
	v_fmac_f32_e32 v39, v40, v42
	s_delay_alu instid0(VALU_DEP_1) | instskip(SKIP_1) | instid1(VALU_DEP_2)
	v_div_scale_f32 v40, null, v39, v39, 1.0
	v_div_scale_f32 v44, vcc_lo, 1.0, v39, 1.0
	v_rcp_f32_e32 v41, v40
	s_delay_alu instid0(TRANS32_DEP_1) | instskip(NEXT) | instid1(VALU_DEP_1)
	v_fma_f32 v43, -v40, v41, 1.0
	v_fmac_f32_e32 v41, v43, v41
	s_delay_alu instid0(VALU_DEP_1) | instskip(NEXT) | instid1(VALU_DEP_1)
	v_mul_f32_e32 v43, v44, v41
	v_fma_f32 v47, -v40, v43, v44
	s_delay_alu instid0(VALU_DEP_1) | instskip(NEXT) | instid1(VALU_DEP_1)
	v_fmac_f32_e32 v43, v47, v41
	v_fma_f32 v40, -v40, v43, v44
	s_wait_alu 0xfffd
	s_delay_alu instid0(VALU_DEP_1) | instskip(NEXT) | instid1(VALU_DEP_1)
	v_div_fmas_f32 v40, v40, v41, v43
	v_div_fixup_f32 v41, v40, v39, 1.0
	s_delay_alu instid0(VALU_DEP_1)
	v_xor_b32_e32 v43, 0x80000000, v41
	v_mul_f32_e64 v42, v42, -v41
.LBB18_17:
	s_wait_alu 0xfffe
	s_or_b32 exec_lo, exec_lo, s1
	scratch_store_b64 v46, v[41:42], off
	scratch_load_b64 v[40:41], off, off offset:8
	v_xor_b32_e32 v44, 0x80000000, v42
	v_add_nc_u32_e32 v39, 0xa0, v45
	s_wait_loadcnt 0x0
	ds_store_2addr_b64 v45, v[43:44], v[40:41] offset1:20
	s_wait_storecnt_dscnt 0x0
	s_barrier_signal -1
	s_barrier_wait -1
	global_inv scope:SCOPE_SE
	s_and_saveexec_b32 s1, s0
	s_cbranch_execz .LBB18_19
; %bb.18:
	scratch_load_b64 v[40:41], v46, off
	ds_load_b64 v[42:43], v39
	v_mov_b32_e32 v44, 0
	ds_load_b64 v[47:48], v44 offset:8
	s_wait_loadcnt_dscnt 0x1
	v_mul_f32_e32 v44, v42, v41
	v_mul_f32_e32 v41, v43, v41
	s_delay_alu instid0(VALU_DEP_2) | instskip(NEXT) | instid1(VALU_DEP_2)
	v_fmac_f32_e32 v44, v43, v40
	v_fma_f32 v40, v42, v40, -v41
	s_delay_alu instid0(VALU_DEP_2) | instskip(NEXT) | instid1(VALU_DEP_2)
	v_add_f32_e32 v42, 0, v44
	v_add_f32_e32 v40, 0, v40
	s_wait_dscnt 0x0
	s_delay_alu instid0(VALU_DEP_2) | instskip(NEXT) | instid1(VALU_DEP_2)
	v_mul_f32_e32 v43, v42, v48
	v_mul_f32_e32 v41, v40, v48
	s_delay_alu instid0(VALU_DEP_2) | instskip(NEXT) | instid1(VALU_DEP_2)
	v_fma_f32 v40, v40, v47, -v43
	v_fmac_f32_e32 v41, v42, v47
	scratch_store_b64 off, v[40:41], off offset:8
.LBB18_19:
	s_wait_alu 0xfffe
	s_or_b32 exec_lo, exec_lo, s1
	s_wait_loadcnt 0x0
	s_wait_storecnt 0x0
	s_barrier_signal -1
	s_barrier_wait -1
	global_inv scope:SCOPE_SE
	scratch_load_b64 v[40:41], off, off offset:16
	s_mov_b32 s1, exec_lo
	s_wait_loadcnt 0x0
	ds_store_b64 v39, v[40:41]
	s_wait_dscnt 0x0
	s_barrier_signal -1
	s_barrier_wait -1
	global_inv scope:SCOPE_SE
	v_cmpx_gt_u32_e32 2, v0
	s_cbranch_execz .LBB18_23
; %bb.20:
	scratch_load_b64 v[40:41], v46, off
	ds_load_b64 v[42:43], v39
	s_wait_loadcnt_dscnt 0x0
	v_mul_f32_e32 v44, v43, v41
	v_mul_f32_e32 v47, v42, v41
	s_delay_alu instid0(VALU_DEP_2) | instskip(NEXT) | instid1(VALU_DEP_2)
	v_fma_f32 v41, v42, v40, -v44
	v_fmac_f32_e32 v47, v43, v40
	s_delay_alu instid0(VALU_DEP_1)
	v_dual_add_f32 v41, 0, v41 :: v_dual_add_f32 v40, 0, v47
	s_and_saveexec_b32 s4, s0
	s_cbranch_execz .LBB18_22
; %bb.21:
	scratch_load_b64 v[42:43], off, off offset:8
	v_mov_b32_e32 v44, 0
	ds_load_b64 v[47:48], v44 offset:168
	s_wait_loadcnt_dscnt 0x0
	v_mul_f32_e32 v44, v47, v43
	v_mul_f32_e32 v43, v48, v43
	s_delay_alu instid0(VALU_DEP_2) | instskip(NEXT) | instid1(VALU_DEP_2)
	v_fmac_f32_e32 v44, v48, v42
	v_fma_f32 v42, v47, v42, -v43
	s_delay_alu instid0(VALU_DEP_1)
	v_dual_add_f32 v40, v40, v44 :: v_dual_add_f32 v41, v41, v42
.LBB18_22:
	s_wait_alu 0xfffe
	s_or_b32 exec_lo, exec_lo, s4
	v_mov_b32_e32 v42, 0
	ds_load_b64 v[42:43], v42 offset:16
	s_wait_dscnt 0x0
	v_mul_f32_e32 v47, v40, v43
	v_mul_f32_e32 v44, v41, v43
	s_delay_alu instid0(VALU_DEP_2) | instskip(NEXT) | instid1(VALU_DEP_2)
	v_fma_f32 v43, v41, v42, -v47
	v_fmac_f32_e32 v44, v40, v42
	scratch_store_b64 off, v[43:44], off offset:16
.LBB18_23:
	s_wait_alu 0xfffe
	s_or_b32 exec_lo, exec_lo, s1
	s_wait_loadcnt 0x0
	s_wait_storecnt 0x0
	s_barrier_signal -1
	s_barrier_wait -1
	global_inv scope:SCOPE_SE
	scratch_load_b64 v[41:42], off, off offset:24
	v_add_nc_u32_e32 v40, -1, v0
	s_mov_b32 s0, exec_lo
	s_wait_loadcnt 0x0
	ds_store_b64 v39, v[41:42]
	s_wait_dscnt 0x0
	s_barrier_signal -1
	s_barrier_wait -1
	global_inv scope:SCOPE_SE
	v_cmpx_gt_u32_e32 3, v0
	s_cbranch_execz .LBB18_27
; %bb.24:
	v_dual_mov_b32 v41, 0 :: v_dual_add_nc_u32 v42, -1, v0
	v_dual_mov_b32 v44, v45 :: v_dual_add_nc_u32 v43, 0xa0, v45
	v_mov_b32_e32 v47, 0
	s_mov_b32 s1, 0
.LBB18_25:                              ; =>This Inner Loop Header: Depth=1
	scratch_load_b64 v[48:49], v44, off
	ds_load_b64 v[50:51], v43
	v_add_nc_u32_e32 v42, 1, v42
	v_add_nc_u32_e32 v43, 8, v43
	s_delay_alu instid0(VALU_DEP_2)
	v_cmp_lt_u32_e32 vcc_lo, 1, v42
	s_wait_alu 0xfffe
	s_or_b32 s1, vcc_lo, s1
	s_wait_loadcnt_dscnt 0x0
	v_mul_f32_e32 v52, v51, v49
	v_mul_f32_e32 v49, v50, v49
	s_delay_alu instid0(VALU_DEP_2) | instskip(NEXT) | instid1(VALU_DEP_2)
	v_fma_f32 v50, v50, v48, -v52
	v_fmac_f32_e32 v49, v51, v48
	s_delay_alu instid0(VALU_DEP_2) | instskip(NEXT) | instid1(VALU_DEP_2)
	v_dual_add_f32 v47, v47, v50 :: v_dual_add_nc_u32 v44, 8, v44
	v_add_f32_e32 v41, v41, v49
	s_wait_alu 0xfffe
	s_and_not1_b32 exec_lo, exec_lo, s1
	s_cbranch_execnz .LBB18_25
; %bb.26:
	s_or_b32 exec_lo, exec_lo, s1
	v_mov_b32_e32 v42, 0
	ds_load_b64 v[42:43], v42 offset:24
	s_wait_dscnt 0x0
	v_mul_f32_e32 v48, v41, v43
	v_mul_f32_e32 v44, v47, v43
	s_delay_alu instid0(VALU_DEP_2) | instskip(NEXT) | instid1(VALU_DEP_2)
	v_fma_f32 v43, v47, v42, -v48
	v_fmac_f32_e32 v44, v41, v42
	scratch_store_b64 off, v[43:44], off offset:24
.LBB18_27:
	s_wait_alu 0xfffe
	s_or_b32 exec_lo, exec_lo, s0
	s_wait_loadcnt 0x0
	s_wait_storecnt 0x0
	s_barrier_signal -1
	s_barrier_wait -1
	global_inv scope:SCOPE_SE
	scratch_load_b64 v[41:42], off, off offset:32
	s_mov_b32 s0, exec_lo
	s_wait_loadcnt 0x0
	ds_store_b64 v39, v[41:42]
	s_wait_dscnt 0x0
	s_barrier_signal -1
	s_barrier_wait -1
	global_inv scope:SCOPE_SE
	v_cmpx_gt_u32_e32 4, v0
	s_cbranch_execz .LBB18_31
; %bb.28:
	v_dual_mov_b32 v41, 0 :: v_dual_add_nc_u32 v42, -1, v0
	v_dual_mov_b32 v44, v45 :: v_dual_add_nc_u32 v43, 0xa0, v45
	v_mov_b32_e32 v47, 0
	s_mov_b32 s1, 0
.LBB18_29:                              ; =>This Inner Loop Header: Depth=1
	scratch_load_b64 v[48:49], v44, off
	ds_load_b64 v[50:51], v43
	v_add_nc_u32_e32 v42, 1, v42
	v_add_nc_u32_e32 v43, 8, v43
	s_delay_alu instid0(VALU_DEP_2)
	v_cmp_lt_u32_e32 vcc_lo, 2, v42
	s_wait_alu 0xfffe
	s_or_b32 s1, vcc_lo, s1
	s_wait_loadcnt_dscnt 0x0
	v_mul_f32_e32 v52, v51, v49
	v_mul_f32_e32 v49, v50, v49
	s_delay_alu instid0(VALU_DEP_2) | instskip(NEXT) | instid1(VALU_DEP_2)
	v_fma_f32 v50, v50, v48, -v52
	v_fmac_f32_e32 v49, v51, v48
	s_delay_alu instid0(VALU_DEP_2) | instskip(NEXT) | instid1(VALU_DEP_2)
	v_dual_add_f32 v47, v47, v50 :: v_dual_add_nc_u32 v44, 8, v44
	v_add_f32_e32 v41, v41, v49
	s_wait_alu 0xfffe
	s_and_not1_b32 exec_lo, exec_lo, s1
	s_cbranch_execnz .LBB18_29
; %bb.30:
	s_or_b32 exec_lo, exec_lo, s1
	v_mov_b32_e32 v42, 0
	ds_load_b64 v[42:43], v42 offset:32
	s_wait_dscnt 0x0
	v_mul_f32_e32 v48, v41, v43
	v_mul_f32_e32 v44, v47, v43
	s_delay_alu instid0(VALU_DEP_2) | instskip(NEXT) | instid1(VALU_DEP_2)
	v_fma_f32 v43, v47, v42, -v48
	v_fmac_f32_e32 v44, v41, v42
	scratch_store_b64 off, v[43:44], off offset:32
.LBB18_31:
	s_wait_alu 0xfffe
	s_or_b32 exec_lo, exec_lo, s0
	s_wait_loadcnt 0x0
	s_wait_storecnt 0x0
	s_barrier_signal -1
	s_barrier_wait -1
	global_inv scope:SCOPE_SE
	scratch_load_b64 v[41:42], off, off offset:40
	;; [unrolled: 55-line block ×14, first 2 shown]
	s_mov_b32 s0, exec_lo
	s_wait_loadcnt 0x0
	ds_store_b64 v39, v[41:42]
	s_wait_dscnt 0x0
	s_barrier_signal -1
	s_barrier_wait -1
	global_inv scope:SCOPE_SE
	v_cmpx_gt_u32_e32 17, v0
	s_cbranch_execz .LBB18_83
; %bb.80:
	v_dual_mov_b32 v41, 0 :: v_dual_add_nc_u32 v42, -1, v0
	v_dual_mov_b32 v44, v45 :: v_dual_add_nc_u32 v43, 0xa0, v45
	v_mov_b32_e32 v45, 0
	s_mov_b32 s1, 0
.LBB18_81:                              ; =>This Inner Loop Header: Depth=1
	scratch_load_b64 v[47:48], v44, off
	ds_load_b64 v[49:50], v43
	v_add_nc_u32_e32 v44, 8, v44
	v_add_nc_u32_e32 v42, 1, v42
	;; [unrolled: 1-line block ×3, first 2 shown]
	s_delay_alu instid0(VALU_DEP_2)
	v_cmp_lt_u32_e32 vcc_lo, 15, v42
	s_wait_alu 0xfffe
	s_or_b32 s1, vcc_lo, s1
	s_wait_loadcnt_dscnt 0x0
	v_mul_f32_e32 v51, v50, v48
	v_mul_f32_e32 v48, v49, v48
	s_delay_alu instid0(VALU_DEP_2) | instskip(NEXT) | instid1(VALU_DEP_1)
	v_fma_f32 v49, v49, v47, -v51
	v_dual_fmac_f32 v48, v50, v47 :: v_dual_add_f32 v45, v45, v49
	s_delay_alu instid0(VALU_DEP_1)
	v_add_f32_e32 v41, v41, v48
	s_wait_alu 0xfffe
	s_and_not1_b32 exec_lo, exec_lo, s1
	s_cbranch_execnz .LBB18_81
; %bb.82:
	s_or_b32 exec_lo, exec_lo, s1
	v_mov_b32_e32 v42, 0
	ds_load_b64 v[42:43], v42 offset:136
	s_wait_dscnt 0x0
	v_mul_f32_e32 v47, v41, v43
	v_mul_f32_e32 v44, v45, v43
	s_delay_alu instid0(VALU_DEP_2) | instskip(NEXT) | instid1(VALU_DEP_2)
	v_fma_f32 v43, v45, v42, -v47
	v_fmac_f32_e32 v44, v41, v42
	scratch_store_b64 off, v[43:44], off offset:136
.LBB18_83:
	s_wait_alu 0xfffe
	s_or_b32 exec_lo, exec_lo, s0
	s_wait_loadcnt 0x0
	s_wait_storecnt 0x0
	s_barrier_signal -1
	s_barrier_wait -1
	global_inv scope:SCOPE_SE
	scratch_load_b64 v[41:42], off, off offset:144
	s_mov_b32 s0, exec_lo
	s_wait_loadcnt 0x0
	ds_store_b64 v39, v[41:42]
	s_wait_dscnt 0x0
	s_barrier_signal -1
	s_barrier_wait -1
	global_inv scope:SCOPE_SE
	v_cmpx_ne_u32_e32 18, v0
	s_cbranch_execz .LBB18_87
; %bb.84:
	v_dual_mov_b32 v41, 0 :: v_dual_mov_b32 v42, 0
	s_mov_b32 s1, 0
.LBB18_85:                              ; =>This Inner Loop Header: Depth=1
	scratch_load_b64 v[43:44], v46, off
	ds_load_b64 v[47:48], v39
	v_add_nc_u32_e32 v40, 1, v40
	v_add_nc_u32_e32 v39, 8, v39
	;; [unrolled: 1-line block ×3, first 2 shown]
	s_delay_alu instid0(VALU_DEP_3)
	v_cmp_lt_u32_e32 vcc_lo, 16, v40
	s_wait_alu 0xfffe
	s_or_b32 s1, vcc_lo, s1
	s_wait_loadcnt_dscnt 0x0
	v_mul_f32_e32 v45, v48, v44
	v_mul_f32_e32 v44, v47, v44
	s_delay_alu instid0(VALU_DEP_2) | instskip(NEXT) | instid1(VALU_DEP_2)
	v_fma_f32 v45, v47, v43, -v45
	v_fmac_f32_e32 v44, v48, v43
	s_delay_alu instid0(VALU_DEP_1)
	v_dual_add_f32 v42, v42, v45 :: v_dual_add_f32 v41, v41, v44
	s_wait_alu 0xfffe
	s_and_not1_b32 exec_lo, exec_lo, s1
	s_cbranch_execnz .LBB18_85
; %bb.86:
	s_or_b32 exec_lo, exec_lo, s1
	v_mov_b32_e32 v39, 0
	ds_load_b64 v[39:40], v39 offset:144
	s_wait_dscnt 0x0
	v_mul_f32_e32 v44, v41, v40
	v_mul_f32_e32 v43, v42, v40
	s_delay_alu instid0(VALU_DEP_2) | instskip(NEXT) | instid1(VALU_DEP_2)
	v_fma_f32 v42, v42, v39, -v44
	v_fmac_f32_e32 v43, v41, v39
	scratch_store_b64 off, v[42:43], off offset:144
.LBB18_87:
	s_wait_alu 0xfffe
	s_or_b32 exec_lo, exec_lo, s0
	s_mov_b32 s1, -1
	s_wait_loadcnt 0x0
	s_wait_storecnt 0x0
	s_barrier_signal -1
	s_barrier_wait -1
	global_inv scope:SCOPE_SE
.LBB18_88:
	s_wait_alu 0xfffe
	s_and_b32 vcc_lo, exec_lo, s1
	s_wait_alu 0xfffe
	s_cbranch_vccz .LBB18_90
; %bb.89:
	v_mov_b32_e32 v39, 0
	s_lshl_b64 s[0:1], s[16:17], 2
	s_wait_alu 0xfffe
	s_add_nc_u64 s[0:1], s[6:7], s[0:1]
	global_load_b32 v39, v39, s[0:1]
	s_wait_loadcnt 0x0
	v_cmp_ne_u32_e32 vcc_lo, 0, v39
	s_cbranch_vccz .LBB18_91
.LBB18_90:
	s_nop 0
	s_sendmsg sendmsg(MSG_DEALLOC_VGPRS)
	s_endpgm
.LBB18_91:
	v_lshl_add_u32 v41, v0, 3, 0xa0
	s_mov_b32 s0, exec_lo
	v_cmpx_eq_u32_e32 18, v0
	s_cbranch_execz .LBB18_93
; %bb.92:
	scratch_load_b64 v[39:40], off, off offset:136
	v_mov_b32_e32 v42, 0
	s_delay_alu instid0(VALU_DEP_1)
	v_mov_b32_e32 v43, v42
	scratch_store_b64 off, v[42:43], off offset:136
	s_wait_loadcnt 0x0
	ds_store_b64 v41, v[39:40]
.LBB18_93:
	s_wait_alu 0xfffe
	s_or_b32 exec_lo, exec_lo, s0
	s_wait_storecnt_dscnt 0x0
	s_barrier_signal -1
	s_barrier_wait -1
	global_inv scope:SCOPE_SE
	s_clause 0x1
	scratch_load_b64 v[42:43], off, off offset:144
	scratch_load_b64 v[44:45], off, off offset:136
	v_mov_b32_e32 v39, 0
	s_mov_b32 s0, exec_lo
	ds_load_b64 v[46:47], v39 offset:304
	s_wait_loadcnt_dscnt 0x100
	v_mul_f32_e32 v40, v47, v43
	s_delay_alu instid0(VALU_DEP_1) | instskip(NEXT) | instid1(VALU_DEP_1)
	v_fma_f32 v40, v46, v42, -v40
	v_dual_mul_f32 v43, v46, v43 :: v_dual_add_f32 v40, 0, v40
	s_wait_loadcnt 0x0
	s_delay_alu instid0(VALU_DEP_1) | instskip(NEXT) | instid1(VALU_DEP_1)
	v_dual_fmac_f32 v43, v47, v42 :: v_dual_sub_f32 v42, v44, v40
	v_add_f32_e32 v43, 0, v43
	s_delay_alu instid0(VALU_DEP_1)
	v_sub_f32_e32 v43, v45, v43
	scratch_store_b64 off, v[42:43], off offset:136
	v_cmpx_lt_u32_e32 16, v0
	s_cbranch_execz .LBB18_95
; %bb.94:
	scratch_load_b64 v[42:43], off, off offset:128
	v_mov_b32_e32 v40, v39
	scratch_store_b64 off, v[39:40], off offset:128
	s_wait_loadcnt 0x0
	ds_store_b64 v41, v[42:43]
.LBB18_95:
	s_wait_alu 0xfffe
	s_or_b32 exec_lo, exec_lo, s0
	s_wait_storecnt_dscnt 0x0
	s_barrier_signal -1
	s_barrier_wait -1
	global_inv scope:SCOPE_SE
	s_clause 0x1
	scratch_load_b128 v[42:45], off, off offset:136
	scratch_load_b64 v[50:51], off, off offset:128
	ds_load_2addr_b64 v[46:49], v39 offset0:37 offset1:38
	s_mov_b32 s0, exec_lo
	s_wait_loadcnt_dscnt 0x100
	v_mul_f32_e32 v40, v46, v43
	s_delay_alu instid0(VALU_DEP_1) | instskip(SKIP_2) | instid1(VALU_DEP_1)
	v_fmac_f32_e32 v40, v47, v42
	v_mul_f32_e32 v39, v47, v43
	v_mul_f32_e32 v43, v48, v45
	v_fmac_f32_e32 v43, v49, v44
	s_delay_alu instid0(VALU_DEP_4) | instskip(NEXT) | instid1(VALU_DEP_4)
	v_dual_add_f32 v40, 0, v40 :: v_dual_mul_f32 v45, v49, v45
	v_fma_f32 v39, v46, v42, -v39
	s_delay_alu instid0(VALU_DEP_2) | instskip(NEXT) | instid1(VALU_DEP_3)
	v_add_f32_e32 v40, v40, v43
	v_fma_f32 v42, v48, v44, -v45
	s_wait_loadcnt 0x0
	s_delay_alu instid0(VALU_DEP_2) | instskip(NEXT) | instid1(VALU_DEP_1)
	v_dual_add_f32 v39, 0, v39 :: v_dual_sub_f32 v40, v51, v40
	v_add_f32_e32 v39, v39, v42
	s_delay_alu instid0(VALU_DEP_1)
	v_sub_f32_e32 v39, v50, v39
	scratch_store_b64 off, v[39:40], off offset:128
	v_cmpx_lt_u32_e32 15, v0
	s_cbranch_execz .LBB18_97
; %bb.96:
	scratch_load_b64 v[39:40], off, off offset:120
	v_mov_b32_e32 v42, 0
	s_delay_alu instid0(VALU_DEP_1)
	v_mov_b32_e32 v43, v42
	scratch_store_b64 off, v[42:43], off offset:120
	s_wait_loadcnt 0x0
	ds_store_b64 v41, v[39:40]
.LBB18_97:
	s_wait_alu 0xfffe
	s_or_b32 exec_lo, exec_lo, s0
	s_wait_storecnt_dscnt 0x0
	s_barrier_signal -1
	s_barrier_wait -1
	global_inv scope:SCOPE_SE
	s_clause 0x2
	scratch_load_b128 v[42:45], off, off offset:128
	scratch_load_b64 v[50:51], off, off offset:144
	scratch_load_b64 v[52:53], off, off offset:120
	v_mov_b32_e32 v39, 0
	ds_load_b128 v[46:49], v39 offset:288
	ds_load_b64 v[54:55], v39 offset:304
	s_mov_b32 s0, exec_lo
	s_wait_loadcnt_dscnt 0x201
	v_mul_f32_e32 v40, v47, v43
	v_dual_mul_f32 v43, v46, v43 :: v_dual_mul_f32 v56, v48, v45
	v_mul_f32_e32 v45, v49, v45
	s_wait_loadcnt_dscnt 0x100
	v_mul_f32_e32 v57, v54, v51
	v_fma_f32 v40, v46, v42, -v40
	v_fmac_f32_e32 v43, v47, v42
	v_mul_f32_e32 v42, v55, v51
	v_fmac_f32_e32 v56, v49, v44
	v_fma_f32 v44, v48, v44, -v45
	s_delay_alu instid0(VALU_DEP_4) | instskip(NEXT) | instid1(VALU_DEP_4)
	v_dual_add_f32 v40, 0, v40 :: v_dual_add_f32 v43, 0, v43
	v_fma_f32 v42, v54, v50, -v42
	s_delay_alu instid0(VALU_DEP_2) | instskip(NEXT) | instid1(VALU_DEP_1)
	v_add_f32_e32 v40, v40, v44
	v_dual_add_f32 v43, v43, v56 :: v_dual_add_f32 v40, v40, v42
	s_wait_loadcnt 0x0
	s_delay_alu instid0(VALU_DEP_1) | instskip(NEXT) | instid1(VALU_DEP_1)
	v_dual_fmac_f32 v57, v55, v50 :: v_dual_sub_f32 v42, v52, v40
	v_add_f32_e32 v43, v43, v57
	s_delay_alu instid0(VALU_DEP_1)
	v_sub_f32_e32 v43, v53, v43
	scratch_store_b64 off, v[42:43], off offset:120
	v_cmpx_lt_u32_e32 14, v0
	s_cbranch_execz .LBB18_99
; %bb.98:
	scratch_load_b64 v[42:43], off, off offset:112
	v_mov_b32_e32 v40, v39
	scratch_store_b64 off, v[39:40], off offset:112
	s_wait_loadcnt 0x0
	ds_store_b64 v41, v[42:43]
.LBB18_99:
	s_wait_alu 0xfffe
	s_or_b32 exec_lo, exec_lo, s0
	s_wait_storecnt_dscnt 0x0
	s_barrier_signal -1
	s_barrier_wait -1
	global_inv scope:SCOPE_SE
	s_clause 0x2
	scratch_load_b128 v[42:45], off, off offset:120
	scratch_load_b128 v[46:49], off, off offset:136
	scratch_load_b64 v[58:59], off, off offset:112
	ds_load_2addr_b64 v[50:53], v39 offset0:35 offset1:36
	ds_load_2addr_b64 v[54:57], v39 offset0:37 offset1:38
	s_mov_b32 s0, exec_lo
	s_wait_loadcnt_dscnt 0x201
	v_mul_f32_e32 v40, v51, v43
	s_wait_loadcnt_dscnt 0x100
	v_dual_mul_f32 v60, v54, v47 :: v_dual_mul_f32 v61, v56, v49
	s_delay_alu instid0(VALU_DEP_2) | instskip(SKIP_2) | instid1(VALU_DEP_4)
	v_fma_f32 v40, v50, v42, -v40
	v_mul_f32_e32 v39, v50, v43
	v_mul_f32_e32 v43, v52, v45
	v_dual_mul_f32 v45, v53, v45 :: v_dual_fmac_f32 v60, v55, v46
	s_delay_alu instid0(VALU_DEP_3) | instskip(NEXT) | instid1(VALU_DEP_3)
	v_dual_add_f32 v40, 0, v40 :: v_dual_fmac_f32 v39, v51, v42
	v_dual_mul_f32 v42, v55, v47 :: v_dual_fmac_f32 v43, v53, v44
	s_delay_alu instid0(VALU_DEP_3) | instskip(SKIP_1) | instid1(VALU_DEP_3)
	v_fma_f32 v44, v52, v44, -v45
	v_fmac_f32_e32 v61, v57, v48
	v_fma_f32 v42, v54, v46, -v42
	s_delay_alu instid0(VALU_DEP_3) | instskip(NEXT) | instid1(VALU_DEP_1)
	v_dual_add_f32 v40, v40, v44 :: v_dual_add_f32 v39, 0, v39
	v_dual_add_f32 v40, v40, v42 :: v_dual_mul_f32 v45, v57, v49
	s_delay_alu instid0(VALU_DEP_2) | instskip(NEXT) | instid1(VALU_DEP_2)
	v_add_f32_e32 v39, v39, v43
	v_fma_f32 v43, v56, v48, -v45
	s_delay_alu instid0(VALU_DEP_1) | instskip(SKIP_1) | instid1(VALU_DEP_1)
	v_dual_add_f32 v39, v39, v60 :: v_dual_add_f32 v40, v40, v43
	s_wait_loadcnt 0x0
	v_dual_add_f32 v42, v39, v61 :: v_dual_sub_f32 v39, v58, v40
	s_delay_alu instid0(VALU_DEP_1)
	v_sub_f32_e32 v40, v59, v42
	scratch_store_b64 off, v[39:40], off offset:112
	v_cmpx_lt_u32_e32 13, v0
	s_cbranch_execz .LBB18_101
; %bb.100:
	scratch_load_b64 v[39:40], off, off offset:104
	v_mov_b32_e32 v42, 0
	s_delay_alu instid0(VALU_DEP_1)
	v_mov_b32_e32 v43, v42
	scratch_store_b64 off, v[42:43], off offset:104
	s_wait_loadcnt 0x0
	ds_store_b64 v41, v[39:40]
.LBB18_101:
	s_wait_alu 0xfffe
	s_or_b32 exec_lo, exec_lo, s0
	s_wait_storecnt_dscnt 0x0
	s_barrier_signal -1
	s_barrier_wait -1
	global_inv scope:SCOPE_SE
	s_clause 0x3
	scratch_load_b128 v[42:45], off, off offset:112
	scratch_load_b128 v[46:49], off, off offset:128
	scratch_load_b64 v[58:59], off, off offset:144
	scratch_load_b64 v[60:61], off, off offset:104
	v_mov_b32_e32 v39, 0
	ds_load_b128 v[50:53], v39 offset:272
	ds_load_b128 v[54:57], v39 offset:288
	ds_load_b64 v[62:63], v39 offset:304
	s_mov_b32 s0, exec_lo
	s_wait_loadcnt_dscnt 0x302
	v_mul_f32_e32 v40, v50, v43
	v_dual_mul_f32 v64, v52, v45 :: v_dual_mul_f32 v43, v51, v43
	s_wait_loadcnt_dscnt 0x100
	v_mul_f32_e32 v67, v62, v59
	v_dual_mul_f32 v65, v54, v47 :: v_dual_mul_f32 v66, v56, v49
	v_dual_fmac_f32 v40, v51, v42 :: v_dual_mul_f32 v45, v53, v45
	v_fma_f32 v43, v50, v42, -v43
	v_fmac_f32_e32 v64, v53, v44
	v_mul_f32_e32 v42, v55, v47
	s_delay_alu instid0(VALU_DEP_4) | instskip(SKIP_3) | instid1(VALU_DEP_4)
	v_add_f32_e32 v40, 0, v40
	v_fma_f32 v44, v52, v44, -v45
	v_add_f32_e32 v43, 0, v43
	v_mul_f32_e32 v45, v57, v49
	v_dual_fmac_f32 v65, v55, v46 :: v_dual_add_f32 v40, v40, v64
	v_dual_fmac_f32 v66, v57, v48 :: v_dual_fmac_f32 v67, v63, v58
	s_delay_alu instid0(VALU_DEP_4) | instskip(SKIP_1) | instid1(VALU_DEP_4)
	v_add_f32_e32 v43, v43, v44
	v_fma_f32 v42, v54, v46, -v42
	v_add_f32_e32 v40, v40, v65
	v_fma_f32 v45, v56, v48, -v45
	s_delay_alu instid0(VALU_DEP_3) | instskip(NEXT) | instid1(VALU_DEP_3)
	v_add_f32_e32 v42, v43, v42
	v_add_f32_e32 v40, v40, v66
	s_delay_alu instid0(VALU_DEP_2) | instskip(NEXT) | instid1(VALU_DEP_2)
	v_add_f32_e32 v42, v42, v45
	v_add_f32_e32 v40, v40, v67
	v_mul_f32_e32 v44, v63, v59
	s_delay_alu instid0(VALU_DEP_1) | instskip(SKIP_1) | instid1(VALU_DEP_1)
	v_fma_f32 v43, v62, v58, -v44
	s_wait_loadcnt 0x0
	v_dual_add_f32 v42, v42, v43 :: v_dual_sub_f32 v43, v61, v40
	s_delay_alu instid0(VALU_DEP_1)
	v_sub_f32_e32 v42, v60, v42
	scratch_store_b64 off, v[42:43], off offset:104
	v_cmpx_lt_u32_e32 12, v0
	s_cbranch_execz .LBB18_103
; %bb.102:
	scratch_load_b64 v[42:43], off, off offset:96
	v_mov_b32_e32 v40, v39
	scratch_store_b64 off, v[39:40], off offset:96
	s_wait_loadcnt 0x0
	ds_store_b64 v41, v[42:43]
.LBB18_103:
	s_wait_alu 0xfffe
	s_or_b32 exec_lo, exec_lo, s0
	s_wait_storecnt_dscnt 0x0
	s_barrier_signal -1
	s_barrier_wait -1
	global_inv scope:SCOPE_SE
	s_clause 0x3
	scratch_load_b128 v[42:45], off, off offset:104
	scratch_load_b128 v[46:49], off, off offset:120
	;; [unrolled: 1-line block ×3, first 2 shown]
	scratch_load_b64 v[66:67], off, off offset:96
	ds_load_2addr_b64 v[54:57], v39 offset0:33 offset1:34
	ds_load_2addr_b64 v[58:61], v39 offset0:35 offset1:36
	;; [unrolled: 1-line block ×3, first 2 shown]
	s_mov_b32 s0, exec_lo
	s_wait_loadcnt_dscnt 0x302
	v_dual_mul_f32 v39, v54, v43 :: v_dual_mul_f32 v40, v56, v45
	v_mul_f32_e32 v43, v55, v43
	s_wait_loadcnt_dscnt 0x201
	v_dual_mul_f32 v45, v57, v45 :: v_dual_mul_f32 v68, v58, v47
	s_delay_alu instid0(VALU_DEP_3) | instskip(NEXT) | instid1(VALU_DEP_3)
	v_dual_mul_f32 v69, v60, v49 :: v_dual_fmac_f32 v40, v57, v44
	v_fma_f32 v43, v54, v42, -v43
	v_fmac_f32_e32 v39, v55, v42
	v_mul_f32_e32 v42, v59, v47
	v_fma_f32 v44, v56, v44, -v45
	v_mul_f32_e32 v45, v61, v49
	v_dual_add_f32 v43, 0, v43 :: v_dual_fmac_f32 v68, v59, v46
	s_delay_alu instid0(VALU_DEP_4) | instskip(SKIP_2) | instid1(VALU_DEP_3)
	v_fma_f32 v42, v58, v46, -v42
	s_wait_loadcnt_dscnt 0x100
	v_dual_mul_f32 v70, v62, v51 :: v_dual_mul_f32 v71, v64, v53
	v_add_f32_e32 v43, v43, v44
	v_fmac_f32_e32 v69, v61, v48
	v_fma_f32 v44, v60, v48, -v45
	s_delay_alu instid0(VALU_DEP_4) | instskip(NEXT) | instid1(VALU_DEP_4)
	v_dual_fmac_f32 v70, v63, v50 :: v_dual_fmac_f32 v71, v65, v52
	v_add_f32_e32 v42, v43, v42
	s_delay_alu instid0(VALU_DEP_1) | instskip(SKIP_1) | instid1(VALU_DEP_1)
	v_dual_add_f32 v42, v42, v44 :: v_dual_add_f32 v39, 0, v39
	v_mul_f32_e32 v43, v65, v53
	v_fma_f32 v43, v64, v52, -v43
	s_delay_alu instid0(VALU_DEP_3) | instskip(SKIP_1) | instid1(VALU_DEP_1)
	v_add_f32_e32 v39, v39, v40
	v_mul_f32_e32 v40, v63, v51
	v_fma_f32 v40, v62, v50, -v40
	s_delay_alu instid0(VALU_DEP_1) | instskip(NEXT) | instid1(VALU_DEP_1)
	v_add_f32_e32 v40, v42, v40
	v_dual_add_f32 v40, v40, v43 :: v_dual_add_f32 v39, v39, v68
	s_delay_alu instid0(VALU_DEP_1) | instskip(NEXT) | instid1(VALU_DEP_1)
	v_add_f32_e32 v39, v39, v69
	v_add_f32_e32 v39, v39, v70
	s_wait_loadcnt 0x0
	s_delay_alu instid0(VALU_DEP_1) | instskip(NEXT) | instid1(VALU_DEP_1)
	v_dual_add_f32 v42, v39, v71 :: v_dual_sub_f32 v39, v66, v40
	v_sub_f32_e32 v40, v67, v42
	scratch_store_b64 off, v[39:40], off offset:96
	v_cmpx_lt_u32_e32 11, v0
	s_cbranch_execz .LBB18_105
; %bb.104:
	scratch_load_b64 v[39:40], off, off offset:88
	v_mov_b32_e32 v42, 0
	s_delay_alu instid0(VALU_DEP_1)
	v_mov_b32_e32 v43, v42
	scratch_store_b64 off, v[42:43], off offset:88
	s_wait_loadcnt 0x0
	ds_store_b64 v41, v[39:40]
.LBB18_105:
	s_wait_alu 0xfffe
	s_or_b32 exec_lo, exec_lo, s0
	s_wait_storecnt_dscnt 0x0
	s_barrier_signal -1
	s_barrier_wait -1
	global_inv scope:SCOPE_SE
	s_clause 0x4
	scratch_load_b128 v[42:45], off, off offset:96
	scratch_load_b128 v[46:49], off, off offset:112
	;; [unrolled: 1-line block ×3, first 2 shown]
	scratch_load_b64 v[66:67], off, off offset:144
	scratch_load_b64 v[68:69], off, off offset:88
	v_mov_b32_e32 v39, 0
	ds_load_b128 v[54:57], v39 offset:256
	ds_load_b128 v[58:61], v39 offset:272
	;; [unrolled: 1-line block ×3, first 2 shown]
	ds_load_b64 v[70:71], v39 offset:304
	s_mov_b32 s0, exec_lo
	s_wait_loadcnt_dscnt 0x403
	v_mul_f32_e32 v40, v54, v43
	s_wait_loadcnt_dscnt 0x302
	v_dual_mul_f32 v72, v56, v45 :: v_dual_mul_f32 v73, v58, v47
	v_dual_mul_f32 v74, v60, v49 :: v_dual_mul_f32 v43, v55, v43
	s_wait_loadcnt_dscnt 0x100
	v_dual_mul_f32 v77, v70, v67 :: v_dual_fmac_f32 v40, v55, v42
	v_mul_f32_e32 v45, v57, v45
	v_dual_mul_f32 v75, v62, v51 :: v_dual_mul_f32 v76, v64, v53
	v_fma_f32 v43, v54, v42, -v43
	v_fmac_f32_e32 v72, v57, v44
	v_add_f32_e32 v40, 0, v40
	v_mul_f32_e32 v42, v59, v47
	v_fma_f32 v44, v56, v44, -v45
	v_add_f32_e32 v43, 0, v43
	v_mul_f32_e32 v45, v61, v49
	v_dual_fmac_f32 v73, v59, v46 :: v_dual_add_f32 v40, v40, v72
	v_dual_fmac_f32 v74, v61, v48 :: v_dual_fmac_f32 v75, v63, v50
	s_delay_alu instid0(VALU_DEP_4) | instskip(SKIP_1) | instid1(VALU_DEP_4)
	v_add_f32_e32 v43, v43, v44
	v_dual_fmac_f32 v76, v65, v52 :: v_dual_fmac_f32 v77, v71, v66
	v_add_f32_e32 v40, v40, v73
	v_fma_f32 v42, v58, v46, -v42
	v_mul_f32_e32 v44, v63, v51
	v_fma_f32 v45, v60, v48, -v45
	s_delay_alu instid0(VALU_DEP_4) | instskip(NEXT) | instid1(VALU_DEP_1)
	v_add_f32_e32 v40, v40, v74
	v_add_f32_e32 v40, v40, v75
	s_delay_alu instid0(VALU_DEP_1) | instskip(NEXT) | instid1(VALU_DEP_1)
	v_add_f32_e32 v40, v40, v76
	v_add_f32_e32 v40, v40, v77
	v_dual_add_f32 v42, v43, v42 :: v_dual_mul_f32 v43, v65, v53
	v_fma_f32 v44, v62, v50, -v44
	s_delay_alu instid0(VALU_DEP_2) | instskip(NEXT) | instid1(VALU_DEP_3)
	v_dual_add_f32 v42, v42, v45 :: v_dual_mul_f32 v45, v71, v67
	v_fma_f32 v43, v64, v52, -v43
	s_delay_alu instid0(VALU_DEP_2) | instskip(NEXT) | instid1(VALU_DEP_3)
	v_add_f32_e32 v42, v42, v44
	v_fma_f32 v44, v70, v66, -v45
	s_wait_loadcnt 0x0
	s_delay_alu instid0(VALU_DEP_2) | instskip(NEXT) | instid1(VALU_DEP_1)
	v_dual_add_f32 v42, v42, v43 :: v_dual_sub_f32 v43, v69, v40
	v_add_f32_e32 v42, v42, v44
	s_delay_alu instid0(VALU_DEP_1)
	v_sub_f32_e32 v42, v68, v42
	scratch_store_b64 off, v[42:43], off offset:88
	v_cmpx_lt_u32_e32 10, v0
	s_cbranch_execz .LBB18_107
; %bb.106:
	scratch_load_b64 v[42:43], off, off offset:80
	v_mov_b32_e32 v40, v39
	scratch_store_b64 off, v[39:40], off offset:80
	s_wait_loadcnt 0x0
	ds_store_b64 v41, v[42:43]
.LBB18_107:
	s_wait_alu 0xfffe
	s_or_b32 exec_lo, exec_lo, s0
	s_wait_storecnt_dscnt 0x0
	s_barrier_signal -1
	s_barrier_wait -1
	global_inv scope:SCOPE_SE
	s_clause 0x4
	scratch_load_b128 v[42:45], off, off offset:88
	scratch_load_b128 v[46:49], off, off offset:104
	;; [unrolled: 1-line block ×4, first 2 shown]
	scratch_load_b64 v[74:75], off, off offset:80
	ds_load_2addr_b64 v[58:61], v39 offset0:31 offset1:32
	ds_load_2addr_b64 v[62:65], v39 offset0:33 offset1:34
	;; [unrolled: 1-line block ×4, first 2 shown]
	s_mov_b32 s0, exec_lo
	s_wait_loadcnt_dscnt 0x403
	v_dual_mul_f32 v39, v58, v43 :: v_dual_mul_f32 v40, v60, v45
	v_mul_f32_e32 v43, v59, v43
	s_wait_loadcnt_dscnt 0x302
	v_dual_mul_f32 v45, v61, v45 :: v_dual_mul_f32 v76, v62, v47
	s_delay_alu instid0(VALU_DEP_3) | instskip(NEXT) | instid1(VALU_DEP_3)
	v_dual_mul_f32 v77, v64, v49 :: v_dual_fmac_f32 v40, v61, v44
	v_fma_f32 v43, v58, v42, -v43
	v_fmac_f32_e32 v39, v59, v42
	v_mul_f32_e32 v42, v63, v47
	v_fma_f32 v44, v60, v44, -v45
	v_mul_f32_e32 v45, v65, v49
	v_dual_add_f32 v43, 0, v43 :: v_dual_fmac_f32 v76, v63, v46
	s_delay_alu instid0(VALU_DEP_4) | instskip(SKIP_2) | instid1(VALU_DEP_3)
	v_fma_f32 v42, v62, v46, -v42
	s_wait_loadcnt_dscnt 0x201
	v_dual_mul_f32 v78, v66, v51 :: v_dual_mul_f32 v79, v68, v53
	v_add_f32_e32 v43, v43, v44
	v_fmac_f32_e32 v77, v65, v48
	v_fma_f32 v44, v64, v48, -v45
	s_wait_loadcnt_dscnt 0x100
	v_dual_mul_f32 v80, v70, v55 :: v_dual_mul_f32 v81, v72, v57
	v_dual_add_f32 v42, v43, v42 :: v_dual_mul_f32 v43, v69, v53
	v_dual_fmac_f32 v78, v67, v50 :: v_dual_fmac_f32 v79, v69, v52
	s_delay_alu instid0(VALU_DEP_3) | instskip(NEXT) | instid1(VALU_DEP_3)
	v_fmac_f32_e32 v80, v71, v54
	v_dual_add_f32 v42, v42, v44 :: v_dual_add_f32 v39, 0, v39
	v_mul_f32_e32 v44, v71, v55
	v_fma_f32 v43, v68, v52, -v43
	v_fmac_f32_e32 v81, v73, v56
	s_delay_alu instid0(VALU_DEP_4) | instskip(SKIP_2) | instid1(VALU_DEP_2)
	v_add_f32_e32 v39, v39, v40
	v_mul_f32_e32 v40, v67, v51
	v_fma_f32 v44, v70, v54, -v44
	v_fma_f32 v40, v66, v50, -v40
	s_delay_alu instid0(VALU_DEP_1) | instskip(SKIP_1) | instid1(VALU_DEP_2)
	v_add_f32_e32 v40, v42, v40
	v_mul_f32_e32 v42, v73, v57
	v_add_f32_e32 v40, v40, v43
	s_delay_alu instid0(VALU_DEP_2) | instskip(NEXT) | instid1(VALU_DEP_2)
	v_fma_f32 v42, v72, v56, -v42
	v_add_f32_e32 v40, v40, v44
	s_delay_alu instid0(VALU_DEP_1) | instskip(NEXT) | instid1(VALU_DEP_1)
	v_dual_add_f32 v39, v39, v76 :: v_dual_add_f32 v40, v40, v42
	v_add_f32_e32 v39, v39, v77
	s_delay_alu instid0(VALU_DEP_1) | instskip(NEXT) | instid1(VALU_DEP_1)
	v_add_f32_e32 v39, v39, v78
	v_add_f32_e32 v39, v39, v79
	s_delay_alu instid0(VALU_DEP_1) | instskip(SKIP_1) | instid1(VALU_DEP_1)
	v_add_f32_e32 v39, v39, v80
	s_wait_loadcnt 0x0
	v_dual_add_f32 v42, v39, v81 :: v_dual_sub_f32 v39, v74, v40
	s_delay_alu instid0(VALU_DEP_1)
	v_sub_f32_e32 v40, v75, v42
	scratch_store_b64 off, v[39:40], off offset:80
	v_cmpx_lt_u32_e32 9, v0
	s_cbranch_execz .LBB18_109
; %bb.108:
	scratch_load_b64 v[39:40], off, off offset:72
	v_mov_b32_e32 v42, 0
	s_delay_alu instid0(VALU_DEP_1)
	v_mov_b32_e32 v43, v42
	scratch_store_b64 off, v[42:43], off offset:72
	s_wait_loadcnt 0x0
	ds_store_b64 v41, v[39:40]
.LBB18_109:
	s_wait_alu 0xfffe
	s_or_b32 exec_lo, exec_lo, s0
	s_wait_storecnt_dscnt 0x0
	s_barrier_signal -1
	s_barrier_wait -1
	global_inv scope:SCOPE_SE
	s_clause 0x5
	scratch_load_b128 v[42:45], off, off offset:80
	scratch_load_b128 v[46:49], off, off offset:96
	;; [unrolled: 1-line block ×4, first 2 shown]
	scratch_load_b64 v[74:75], off, off offset:144
	scratch_load_b64 v[76:77], off, off offset:72
	v_mov_b32_e32 v39, 0
	ds_load_b128 v[58:61], v39 offset:240
	ds_load_b128 v[62:65], v39 offset:256
	;; [unrolled: 1-line block ×4, first 2 shown]
	ds_load_b64 v[78:79], v39 offset:304
	s_mov_b32 s0, exec_lo
	s_wait_loadcnt_dscnt 0x504
	v_mul_f32_e32 v40, v58, v43
	s_wait_loadcnt_dscnt 0x403
	v_dual_mul_f32 v80, v60, v45 :: v_dual_mul_f32 v81, v62, v47
	s_wait_loadcnt_dscnt 0x302
	v_dual_mul_f32 v84, v68, v53 :: v_dual_mul_f32 v43, v59, v43
	s_wait_loadcnt_dscnt 0x100
	v_dual_mul_f32 v87, v78, v75 :: v_dual_fmac_f32 v40, v59, v42
	v_mul_f32_e32 v45, v61, v45
	v_dual_mul_f32 v82, v64, v49 :: v_dual_mul_f32 v83, v66, v51
	v_fma_f32 v43, v58, v42, -v43
	v_fmac_f32_e32 v80, v61, v44
	v_add_f32_e32 v40, 0, v40
	v_mul_f32_e32 v42, v63, v47
	v_fma_f32 v44, v60, v44, -v45
	v_add_f32_e32 v43, 0, v43
	v_mul_f32_e32 v45, v65, v49
	v_dual_fmac_f32 v81, v63, v46 :: v_dual_add_f32 v40, v40, v80
	v_dual_fmac_f32 v82, v65, v48 :: v_dual_fmac_f32 v83, v67, v50
	s_delay_alu instid0(VALU_DEP_4) | instskip(SKIP_1) | instid1(VALU_DEP_4)
	v_add_f32_e32 v43, v43, v44
	v_dual_mul_f32 v85, v70, v55 :: v_dual_mul_f32 v86, v72, v57
	v_add_f32_e32 v40, v40, v81
	v_dual_fmac_f32 v84, v69, v52 :: v_dual_fmac_f32 v87, v79, v74
	s_delay_alu instid0(VALU_DEP_3) | instskip(NEXT) | instid1(VALU_DEP_3)
	v_dual_fmac_f32 v85, v71, v54 :: v_dual_fmac_f32 v86, v73, v56
	v_add_f32_e32 v40, v40, v82
	v_fma_f32 v42, v62, v46, -v42
	v_mul_f32_e32 v44, v67, v51
	v_fma_f32 v45, v64, v48, -v45
	s_delay_alu instid0(VALU_DEP_4) | instskip(NEXT) | instid1(VALU_DEP_1)
	v_add_f32_e32 v40, v40, v83
	v_add_f32_e32 v40, v40, v84
	s_delay_alu instid0(VALU_DEP_1) | instskip(NEXT) | instid1(VALU_DEP_1)
	v_add_f32_e32 v40, v40, v85
	v_add_f32_e32 v40, v40, v86
	s_delay_alu instid0(VALU_DEP_1) | instskip(SKIP_2) | instid1(VALU_DEP_2)
	v_add_f32_e32 v40, v40, v87
	v_dual_add_f32 v42, v43, v42 :: v_dual_mul_f32 v43, v69, v53
	v_fma_f32 v44, v66, v50, -v44
	v_dual_add_f32 v42, v42, v45 :: v_dual_mul_f32 v45, v71, v55
	s_delay_alu instid0(VALU_DEP_3) | instskip(NEXT) | instid1(VALU_DEP_2)
	v_fma_f32 v43, v68, v52, -v43
	v_add_f32_e32 v42, v42, v44
	v_mul_f32_e32 v44, v73, v57
	s_delay_alu instid0(VALU_DEP_4) | instskip(NEXT) | instid1(VALU_DEP_3)
	v_fma_f32 v45, v70, v54, -v45
	v_add_f32_e32 v42, v42, v43
	v_mul_f32_e32 v43, v79, v75
	s_delay_alu instid0(VALU_DEP_4) | instskip(NEXT) | instid1(VALU_DEP_3)
	v_fma_f32 v44, v72, v56, -v44
	v_add_f32_e32 v42, v42, v45
	s_delay_alu instid0(VALU_DEP_3) | instskip(NEXT) | instid1(VALU_DEP_2)
	v_fma_f32 v43, v78, v74, -v43
	v_add_f32_e32 v42, v42, v44
	s_wait_loadcnt 0x0
	s_delay_alu instid0(VALU_DEP_1) | instskip(NEXT) | instid1(VALU_DEP_1)
	v_dual_add_f32 v42, v42, v43 :: v_dual_sub_f32 v43, v77, v40
	v_sub_f32_e32 v42, v76, v42
	scratch_store_b64 off, v[42:43], off offset:72
	v_cmpx_lt_u32_e32 8, v0
	s_cbranch_execz .LBB18_111
; %bb.110:
	scratch_load_b64 v[42:43], off, off offset:64
	v_mov_b32_e32 v40, v39
	scratch_store_b64 off, v[39:40], off offset:64
	s_wait_loadcnt 0x0
	ds_store_b64 v41, v[42:43]
.LBB18_111:
	s_wait_alu 0xfffe
	s_or_b32 exec_lo, exec_lo, s0
	s_wait_storecnt_dscnt 0x0
	s_barrier_signal -1
	s_barrier_wait -1
	global_inv scope:SCOPE_SE
	s_clause 0x5
	scratch_load_b128 v[42:45], off, off offset:72
	scratch_load_b128 v[46:49], off, off offset:88
	;; [unrolled: 1-line block ×5, first 2 shown]
	scratch_load_b64 v[82:83], off, off offset:64
	ds_load_2addr_b64 v[62:65], v39 offset0:29 offset1:30
	ds_load_2addr_b64 v[66:69], v39 offset0:31 offset1:32
	;; [unrolled: 1-line block ×5, first 2 shown]
	s_mov_b32 s0, exec_lo
	s_wait_loadcnt_dscnt 0x504
	v_dual_mul_f32 v39, v62, v43 :: v_dual_mul_f32 v40, v64, v45
	v_mul_f32_e32 v43, v63, v43
	s_wait_loadcnt_dscnt 0x403
	v_dual_mul_f32 v45, v65, v45 :: v_dual_mul_f32 v84, v66, v47
	s_delay_alu instid0(VALU_DEP_3) | instskip(NEXT) | instid1(VALU_DEP_3)
	v_dual_mul_f32 v85, v68, v49 :: v_dual_fmac_f32 v40, v65, v44
	v_fma_f32 v43, v62, v42, -v43
	v_fmac_f32_e32 v39, v63, v42
	v_mul_f32_e32 v42, v67, v47
	v_fma_f32 v44, v64, v44, -v45
	v_mul_f32_e32 v45, v69, v49
	v_dual_add_f32 v43, 0, v43 :: v_dual_fmac_f32 v84, v67, v46
	s_delay_alu instid0(VALU_DEP_4) | instskip(SKIP_2) | instid1(VALU_DEP_3)
	v_fma_f32 v42, v66, v46, -v42
	s_wait_loadcnt_dscnt 0x302
	v_dual_mul_f32 v86, v70, v51 :: v_dual_mul_f32 v87, v72, v53
	v_add_f32_e32 v43, v43, v44
	v_fmac_f32_e32 v85, v69, v48
	v_fma_f32 v44, v68, v48, -v45
	s_wait_loadcnt_dscnt 0x201
	v_dual_mul_f32 v88, v74, v55 :: v_dual_mul_f32 v89, v76, v57
	v_dual_add_f32 v42, v43, v42 :: v_dual_mul_f32 v43, v73, v53
	v_fmac_f32_e32 v86, v71, v50
	s_wait_loadcnt_dscnt 0x100
	v_dual_mul_f32 v90, v78, v59 :: v_dual_mul_f32 v91, v80, v61
	s_delay_alu instid0(VALU_DEP_3) | instskip(SKIP_3) | instid1(VALU_DEP_4)
	v_dual_add_f32 v42, v42, v44 :: v_dual_add_f32 v39, 0, v39
	v_mul_f32_e32 v44, v75, v55
	v_fma_f32 v43, v72, v52, -v43
	v_dual_fmac_f32 v87, v73, v52 :: v_dual_fmac_f32 v88, v75, v54
	v_add_f32_e32 v39, v39, v40
	v_mul_f32_e32 v40, v71, v51
	v_fma_f32 v44, v74, v54, -v44
	v_dual_fmac_f32 v89, v77, v56 :: v_dual_fmac_f32 v90, v79, v58
	s_delay_alu instid0(VALU_DEP_3) | instskip(NEXT) | instid1(VALU_DEP_1)
	v_fma_f32 v40, v70, v50, -v40
	v_add_f32_e32 v40, v42, v40
	v_mul_f32_e32 v42, v77, v57
	s_delay_alu instid0(VALU_DEP_2) | instskip(SKIP_1) | instid1(VALU_DEP_3)
	v_dual_add_f32 v40, v40, v43 :: v_dual_add_f32 v39, v39, v84
	v_mul_f32_e32 v43, v79, v59
	v_fma_f32 v42, v76, v56, -v42
	s_delay_alu instid0(VALU_DEP_3) | instskip(SKIP_3) | instid1(VALU_DEP_4)
	v_add_f32_e32 v40, v40, v44
	v_mul_f32_e32 v44, v81, v61
	v_add_f32_e32 v39, v39, v85
	v_fma_f32 v43, v78, v58, -v43
	v_dual_add_f32 v40, v40, v42 :: v_dual_fmac_f32 v91, v81, v60
	s_delay_alu instid0(VALU_DEP_3) | instskip(SKIP_1) | instid1(VALU_DEP_3)
	v_add_f32_e32 v39, v39, v86
	v_fma_f32 v42, v80, v60, -v44
	v_add_f32_e32 v40, v40, v43
	s_delay_alu instid0(VALU_DEP_1) | instskip(NEXT) | instid1(VALU_DEP_1)
	v_dual_add_f32 v39, v39, v87 :: v_dual_add_f32 v40, v40, v42
	v_add_f32_e32 v39, v39, v88
	s_delay_alu instid0(VALU_DEP_1) | instskip(NEXT) | instid1(VALU_DEP_1)
	v_add_f32_e32 v39, v39, v89
	v_add_f32_e32 v39, v39, v90
	s_wait_loadcnt 0x0
	s_delay_alu instid0(VALU_DEP_1) | instskip(NEXT) | instid1(VALU_DEP_1)
	v_dual_add_f32 v42, v39, v91 :: v_dual_sub_f32 v39, v82, v40
	v_sub_f32_e32 v40, v83, v42
	scratch_store_b64 off, v[39:40], off offset:64
	v_cmpx_lt_u32_e32 7, v0
	s_cbranch_execz .LBB18_113
; %bb.112:
	scratch_load_b64 v[39:40], off, off offset:56
	v_mov_b32_e32 v42, 0
	s_delay_alu instid0(VALU_DEP_1)
	v_mov_b32_e32 v43, v42
	scratch_store_b64 off, v[42:43], off offset:56
	s_wait_loadcnt 0x0
	ds_store_b64 v41, v[39:40]
.LBB18_113:
	s_wait_alu 0xfffe
	s_or_b32 exec_lo, exec_lo, s0
	s_wait_storecnt_dscnt 0x0
	s_barrier_signal -1
	s_barrier_wait -1
	global_inv scope:SCOPE_SE
	s_clause 0x6
	scratch_load_b128 v[42:45], off, off offset:64
	scratch_load_b128 v[46:49], off, off offset:80
	;; [unrolled: 1-line block ×5, first 2 shown]
	scratch_load_b64 v[82:83], off, off offset:144
	scratch_load_b64 v[84:85], off, off offset:56
	v_mov_b32_e32 v39, 0
	ds_load_b128 v[62:65], v39 offset:224
	ds_load_b128 v[66:69], v39 offset:240
	;; [unrolled: 1-line block ×5, first 2 shown]
	ds_load_b64 v[86:87], v39 offset:304
	s_mov_b32 s0, exec_lo
	s_wait_loadcnt_dscnt 0x605
	v_mul_f32_e32 v40, v62, v43
	v_dual_mul_f32 v43, v63, v43 :: v_dual_mul_f32 v88, v64, v45
	s_wait_loadcnt_dscnt 0x302
	v_dual_mul_f32 v89, v66, v47 :: v_dual_mul_f32 v94, v76, v57
	s_wait_loadcnt_dscnt 0x100
	v_dual_mul_f32 v97, v86, v83 :: v_dual_fmac_f32 v40, v63, v42
	v_mul_f32_e32 v45, v65, v45
	v_fma_f32 v43, v62, v42, -v43
	v_mul_f32_e32 v42, v67, v47
	v_fmac_f32_e32 v88, v65, v44
	v_add_f32_e32 v40, 0, v40
	v_fma_f32 v44, v64, v44, -v45
	v_add_f32_e32 v43, 0, v43
	v_mul_f32_e32 v45, v69, v49
	s_delay_alu instid0(VALU_DEP_4) | instskip(SKIP_1) | instid1(VALU_DEP_4)
	v_dual_fmac_f32 v89, v67, v46 :: v_dual_add_f32 v40, v40, v88
	v_fma_f32 v42, v66, v46, -v42
	v_dual_add_f32 v43, v43, v44 :: v_dual_mul_f32 v90, v68, v49
	v_mul_f32_e32 v91, v70, v51
	v_mul_f32_e32 v44, v71, v51
	v_fma_f32 v45, v68, v48, -v45
	v_add_f32_e32 v40, v40, v89
	v_add_f32_e32 v42, v43, v42
	v_dual_fmac_f32 v90, v69, v48 :: v_dual_fmac_f32 v91, v71, v50
	v_mul_f32_e32 v43, v73, v53
	v_fma_f32 v44, v70, v50, -v44
	s_delay_alu instid0(VALU_DEP_4) | instskip(SKIP_4) | instid1(VALU_DEP_3)
	v_dual_add_f32 v42, v42, v45 :: v_dual_mul_f32 v45, v75, v55
	v_dual_mul_f32 v92, v72, v53 :: v_dual_mul_f32 v93, v74, v55
	v_dual_mul_f32 v95, v78, v59 :: v_dual_mul_f32 v96, v80, v61
	v_add_f32_e32 v40, v40, v90
	v_fma_f32 v43, v72, v52, -v43
	v_dual_add_f32 v42, v42, v44 :: v_dual_fmac_f32 v95, v79, v58
	v_dual_fmac_f32 v92, v73, v52 :: v_dual_fmac_f32 v93, v75, v54
	v_mul_f32_e32 v44, v77, v57
	s_delay_alu instid0(VALU_DEP_3)
	v_add_f32_e32 v42, v42, v43
	v_mul_f32_e32 v43, v79, v59
	v_dual_add_f32 v40, v40, v91 :: v_dual_fmac_f32 v97, v87, v82
	v_fma_f32 v45, v74, v54, -v45
	v_fmac_f32_e32 v94, v77, v56
	v_fma_f32 v44, v76, v56, -v44
	s_delay_alu instid0(VALU_DEP_4)
	v_add_f32_e32 v40, v40, v92
	v_fma_f32 v43, v78, v58, -v43
	v_add_f32_e32 v42, v42, v45
	v_mul_f32_e32 v45, v81, v61
	v_fmac_f32_e32 v96, v81, v60
	v_add_f32_e32 v40, v40, v93
	s_delay_alu instid0(VALU_DEP_4) | instskip(SKIP_2) | instid1(VALU_DEP_4)
	v_add_f32_e32 v42, v42, v44
	v_mul_f32_e32 v44, v87, v83
	v_fma_f32 v45, v80, v60, -v45
	v_add_f32_e32 v40, v40, v94
	s_delay_alu instid0(VALU_DEP_4) | instskip(NEXT) | instid1(VALU_DEP_4)
	v_add_f32_e32 v42, v42, v43
	v_fma_f32 v43, v86, v82, -v44
	s_delay_alu instid0(VALU_DEP_3) | instskip(NEXT) | instid1(VALU_DEP_3)
	v_add_f32_e32 v40, v40, v95
	v_add_f32_e32 v42, v42, v45
	s_delay_alu instid0(VALU_DEP_2) | instskip(NEXT) | instid1(VALU_DEP_2)
	v_add_f32_e32 v40, v40, v96
	v_add_f32_e32 v42, v42, v43
	s_delay_alu instid0(VALU_DEP_2) | instskip(SKIP_1) | instid1(VALU_DEP_1)
	v_add_f32_e32 v40, v40, v97
	s_wait_loadcnt 0x0
	v_dual_sub_f32 v42, v84, v42 :: v_dual_sub_f32 v43, v85, v40
	scratch_store_b64 off, v[42:43], off offset:56
	v_cmpx_lt_u32_e32 6, v0
	s_cbranch_execz .LBB18_115
; %bb.114:
	scratch_load_b64 v[42:43], off, off offset:48
	v_mov_b32_e32 v40, v39
	scratch_store_b64 off, v[39:40], off offset:48
	s_wait_loadcnt 0x0
	ds_store_b64 v41, v[42:43]
.LBB18_115:
	s_wait_alu 0xfffe
	s_or_b32 exec_lo, exec_lo, s0
	s_wait_storecnt_dscnt 0x0
	s_barrier_signal -1
	s_barrier_wait -1
	global_inv scope:SCOPE_SE
	s_clause 0x6
	scratch_load_b128 v[42:45], off, off offset:56
	scratch_load_b128 v[46:49], off, off offset:72
	;; [unrolled: 1-line block ×6, first 2 shown]
	scratch_load_b64 v[90:91], off, off offset:48
	ds_load_2addr_b64 v[66:69], v39 offset0:27 offset1:28
	ds_load_2addr_b64 v[70:73], v39 offset0:29 offset1:30
	;; [unrolled: 1-line block ×6, first 2 shown]
	s_mov_b32 s0, exec_lo
	s_wait_loadcnt_dscnt 0x605
	v_dual_mul_f32 v39, v66, v43 :: v_dual_mul_f32 v40, v68, v45
	v_mul_f32_e32 v43, v67, v43
	s_wait_loadcnt_dscnt 0x504
	v_dual_mul_f32 v45, v69, v45 :: v_dual_mul_f32 v92, v70, v47
	s_delay_alu instid0(VALU_DEP_3) | instskip(NEXT) | instid1(VALU_DEP_3)
	v_dual_mul_f32 v93, v72, v49 :: v_dual_fmac_f32 v40, v69, v44
	v_fma_f32 v43, v66, v42, -v43
	v_fmac_f32_e32 v39, v67, v42
	v_mul_f32_e32 v42, v71, v47
	v_fma_f32 v44, v68, v44, -v45
	v_mul_f32_e32 v45, v73, v49
	v_dual_add_f32 v43, 0, v43 :: v_dual_fmac_f32 v92, v71, v46
	s_delay_alu instid0(VALU_DEP_4) | instskip(SKIP_2) | instid1(VALU_DEP_3)
	v_fma_f32 v42, v70, v46, -v42
	s_wait_loadcnt_dscnt 0x403
	v_dual_mul_f32 v94, v74, v51 :: v_dual_mul_f32 v95, v76, v53
	v_add_f32_e32 v43, v43, v44
	v_fmac_f32_e32 v93, v73, v48
	v_fma_f32 v44, v72, v48, -v45
	s_wait_loadcnt_dscnt 0x302
	v_dual_mul_f32 v96, v78, v55 :: v_dual_mul_f32 v97, v80, v57
	v_dual_add_f32 v42, v43, v42 :: v_dual_mul_f32 v43, v77, v53
	v_fmac_f32_e32 v94, v75, v50
	s_wait_loadcnt_dscnt 0x201
	v_dual_mul_f32 v98, v82, v59 :: v_dual_mul_f32 v99, v84, v61
	s_delay_alu instid0(VALU_DEP_3) | instskip(SKIP_3) | instid1(VALU_DEP_4)
	v_dual_add_f32 v42, v42, v44 :: v_dual_add_f32 v39, 0, v39
	v_mul_f32_e32 v44, v79, v55
	v_fma_f32 v43, v76, v52, -v43
	v_dual_fmac_f32 v95, v77, v52 :: v_dual_fmac_f32 v96, v79, v54
	v_add_f32_e32 v39, v39, v40
	v_mul_f32_e32 v40, v75, v51
	v_fma_f32 v44, v78, v54, -v44
	v_dual_fmac_f32 v97, v81, v56 :: v_dual_fmac_f32 v98, v83, v58
	s_wait_loadcnt_dscnt 0x100
	v_dual_mul_f32 v100, v86, v63 :: v_dual_mul_f32 v101, v88, v65
	v_fma_f32 v40, v74, v50, -v40
	s_delay_alu instid0(VALU_DEP_2) | instskip(NEXT) | instid1(VALU_DEP_3)
	v_dual_fmac_f32 v99, v85, v60 :: v_dual_fmac_f32 v100, v87, v62
	v_fmac_f32_e32 v101, v89, v64
	s_delay_alu instid0(VALU_DEP_3) | instskip(SKIP_1) | instid1(VALU_DEP_2)
	v_add_f32_e32 v40, v42, v40
	v_mul_f32_e32 v42, v81, v57
	v_dual_add_f32 v40, v40, v43 :: v_dual_add_f32 v39, v39, v92
	v_mul_f32_e32 v43, v83, v59
	s_delay_alu instid0(VALU_DEP_3) | instskip(NEXT) | instid1(VALU_DEP_3)
	v_fma_f32 v42, v80, v56, -v42
	v_add_f32_e32 v40, v40, v44
	v_mul_f32_e32 v44, v85, v61
	v_add_f32_e32 v39, v39, v93
	v_fma_f32 v43, v82, v58, -v43
	s_delay_alu instid0(VALU_DEP_4) | instskip(SKIP_1) | instid1(VALU_DEP_4)
	v_add_f32_e32 v40, v40, v42
	v_mul_f32_e32 v42, v87, v63
	v_add_f32_e32 v39, v39, v94
	v_fma_f32 v44, v84, v60, -v44
	s_delay_alu instid0(VALU_DEP_4) | instskip(NEXT) | instid1(VALU_DEP_3)
	v_dual_add_f32 v40, v40, v43 :: v_dual_mul_f32 v43, v89, v65
	v_add_f32_e32 v39, v39, v95
	v_fma_f32 v42, v86, v62, -v42
	s_delay_alu instid0(VALU_DEP_3) | instskip(NEXT) | instid1(VALU_DEP_4)
	v_add_f32_e32 v40, v40, v44
	v_fma_f32 v43, v88, v64, -v43
	s_delay_alu instid0(VALU_DEP_2) | instskip(NEXT) | instid1(VALU_DEP_1)
	v_dual_add_f32 v39, v39, v96 :: v_dual_add_f32 v40, v40, v42
	v_dual_add_f32 v39, v39, v97 :: v_dual_add_f32 v40, v40, v43
	s_delay_alu instid0(VALU_DEP_1) | instskip(NEXT) | instid1(VALU_DEP_1)
	v_add_f32_e32 v39, v39, v98
	v_add_f32_e32 v39, v39, v99
	s_delay_alu instid0(VALU_DEP_1) | instskip(SKIP_1) | instid1(VALU_DEP_1)
	v_add_f32_e32 v39, v39, v100
	s_wait_loadcnt 0x0
	v_dual_add_f32 v42, v39, v101 :: v_dual_sub_f32 v39, v90, v40
	s_delay_alu instid0(VALU_DEP_1)
	v_sub_f32_e32 v40, v91, v42
	scratch_store_b64 off, v[39:40], off offset:48
	v_cmpx_lt_u32_e32 5, v0
	s_cbranch_execz .LBB18_117
; %bb.116:
	scratch_load_b64 v[39:40], off, off offset:40
	v_mov_b32_e32 v42, 0
	s_delay_alu instid0(VALU_DEP_1)
	v_mov_b32_e32 v43, v42
	scratch_store_b64 off, v[42:43], off offset:40
	s_wait_loadcnt 0x0
	ds_store_b64 v41, v[39:40]
.LBB18_117:
	s_wait_alu 0xfffe
	s_or_b32 exec_lo, exec_lo, s0
	s_wait_storecnt_dscnt 0x0
	s_barrier_signal -1
	s_barrier_wait -1
	global_inv scope:SCOPE_SE
	s_clause 0x7
	scratch_load_b128 v[42:45], off, off offset:48
	scratch_load_b128 v[46:49], off, off offset:64
	;; [unrolled: 1-line block ×6, first 2 shown]
	scratch_load_b64 v[90:91], off, off offset:144
	scratch_load_b64 v[92:93], off, off offset:40
	v_mov_b32_e32 v39, 0
	ds_load_b128 v[66:69], v39 offset:208
	ds_load_b128 v[70:73], v39 offset:224
	;; [unrolled: 1-line block ×6, first 2 shown]
	ds_load_b64 v[94:95], v39 offset:304
	s_mov_b32 s0, exec_lo
	s_wait_loadcnt_dscnt 0x706
	v_mul_f32_e32 v40, v66, v43
	v_dual_mul_f32 v43, v67, v43 :: v_dual_mul_f32 v96, v68, v45
	s_wait_loadcnt_dscnt 0x302
	v_dual_mul_f32 v97, v70, v47 :: v_dual_mul_f32 v104, v84, v61
	v_mul_f32_e32 v45, v69, v45
	s_wait_loadcnt_dscnt 0x100
	v_dual_mul_f32 v107, v94, v91 :: v_dual_fmac_f32 v40, v67, v42
	v_fma_f32 v43, v66, v42, -v43
	v_mul_f32_e32 v42, v71, v47
	v_fmac_f32_e32 v96, v69, v44
	v_fma_f32 v44, v68, v44, -v45
	v_dual_add_f32 v40, 0, v40 :: v_dual_mul_f32 v45, v73, v49
	v_add_f32_e32 v43, 0, v43
	v_fmac_f32_e32 v97, v71, v46
	v_fma_f32 v42, v70, v46, -v42
	s_delay_alu instid0(VALU_DEP_4)
	v_add_f32_e32 v40, v40, v96
	v_fma_f32 v45, v72, v48, -v45
	v_add_f32_e32 v43, v43, v44
	v_mul_f32_e32 v44, v75, v51
	v_dual_mul_f32 v98, v72, v49 :: v_dual_mul_f32 v99, v74, v51
	v_add_f32_e32 v40, v40, v97
	s_delay_alu instid0(VALU_DEP_4) | instskip(NEXT) | instid1(VALU_DEP_4)
	v_dual_add_f32 v42, v43, v42 :: v_dual_mul_f32 v43, v77, v53
	v_fma_f32 v44, v74, v50, -v44
	v_dual_mul_f32 v102, v80, v57 :: v_dual_mul_f32 v103, v82, v59
	s_delay_alu instid0(VALU_DEP_3) | instskip(NEXT) | instid1(VALU_DEP_4)
	v_dual_add_f32 v42, v42, v45 :: v_dual_mul_f32 v45, v79, v55
	v_fma_f32 v43, v76, v52, -v43
	v_dual_mul_f32 v105, v86, v63 :: v_dual_mul_f32 v106, v88, v65
	s_delay_alu instid0(VALU_DEP_3) | instskip(SKIP_1) | instid1(VALU_DEP_3)
	v_dual_add_f32 v42, v42, v44 :: v_dual_fmac_f32 v103, v83, v58
	v_dual_fmac_f32 v98, v73, v48 :: v_dual_fmac_f32 v99, v75, v50
	v_dual_mul_f32 v44, v81, v57 :: v_dual_fmac_f32 v105, v87, v62
	v_fma_f32 v45, v78, v54, -v45
	s_delay_alu instid0(VALU_DEP_4) | instskip(SKIP_3) | instid1(VALU_DEP_4)
	v_dual_add_f32 v42, v42, v43 :: v_dual_fmac_f32 v107, v95, v90
	v_dual_mul_f32 v100, v76, v53 :: v_dual_mul_f32 v101, v78, v55
	v_dual_add_f32 v40, v40, v98 :: v_dual_mul_f32 v43, v83, v59
	v_fma_f32 v44, v80, v56, -v44
	v_add_f32_e32 v42, v42, v45
	s_delay_alu instid0(VALU_DEP_4) | instskip(NEXT) | instid1(VALU_DEP_4)
	v_dual_fmac_f32 v100, v77, v52 :: v_dual_fmac_f32 v101, v79, v54
	v_dual_add_f32 v40, v40, v99 :: v_dual_mul_f32 v45, v85, v61
	v_fma_f32 v43, v82, v58, -v43
	s_delay_alu instid0(VALU_DEP_4)
	v_add_f32_e32 v42, v42, v44
	v_fmac_f32_e32 v102, v81, v56
	v_mul_f32_e32 v44, v87, v63
	v_fma_f32 v45, v84, v60, -v45
	v_fmac_f32_e32 v104, v85, v60
	v_dual_add_f32 v42, v42, v43 :: v_dual_mul_f32 v43, v89, v65
	v_add_f32_e32 v40, v40, v100
	v_fma_f32 v44, v86, v62, -v44
	v_fmac_f32_e32 v106, v89, v64
	s_delay_alu instid0(VALU_DEP_4) | instskip(NEXT) | instid1(VALU_DEP_4)
	v_dual_add_f32 v42, v42, v45 :: v_dual_mul_f32 v45, v95, v91
	v_add_f32_e32 v40, v40, v101
	v_fma_f32 v43, v88, v64, -v43
	s_delay_alu instid0(VALU_DEP_3) | instskip(NEXT) | instid1(VALU_DEP_4)
	v_add_f32_e32 v42, v42, v44
	v_fma_f32 v44, v94, v90, -v45
	s_delay_alu instid0(VALU_DEP_4) | instskip(NEXT) | instid1(VALU_DEP_3)
	v_add_f32_e32 v40, v40, v102
	v_add_f32_e32 v42, v42, v43
	s_delay_alu instid0(VALU_DEP_2) | instskip(NEXT) | instid1(VALU_DEP_2)
	v_add_f32_e32 v40, v40, v103
	v_add_f32_e32 v42, v42, v44
	s_delay_alu instid0(VALU_DEP_2) | instskip(SKIP_1) | instid1(VALU_DEP_2)
	v_add_f32_e32 v40, v40, v104
	s_wait_loadcnt 0x0
	v_sub_f32_e32 v42, v92, v42
	s_delay_alu instid0(VALU_DEP_2) | instskip(NEXT) | instid1(VALU_DEP_1)
	v_add_f32_e32 v40, v40, v105
	v_add_f32_e32 v40, v40, v106
	s_delay_alu instid0(VALU_DEP_1) | instskip(NEXT) | instid1(VALU_DEP_1)
	v_add_f32_e32 v40, v40, v107
	v_sub_f32_e32 v43, v93, v40
	scratch_store_b64 off, v[42:43], off offset:40
	v_cmpx_lt_u32_e32 4, v0
	s_cbranch_execz .LBB18_119
; %bb.118:
	scratch_load_b64 v[42:43], off, off offset:32
	v_mov_b32_e32 v40, v39
	scratch_store_b64 off, v[39:40], off offset:32
	s_wait_loadcnt 0x0
	ds_store_b64 v41, v[42:43]
.LBB18_119:
	s_wait_alu 0xfffe
	s_or_b32 exec_lo, exec_lo, s0
	s_wait_storecnt_dscnt 0x0
	s_barrier_signal -1
	s_barrier_wait -1
	global_inv scope:SCOPE_SE
	s_clause 0x7
	scratch_load_b128 v[42:45], off, off offset:40
	scratch_load_b128 v[46:49], off, off offset:56
	;; [unrolled: 1-line block ×7, first 2 shown]
	scratch_load_b64 v[98:99], off, off offset:32
	ds_load_2addr_b64 v[70:73], v39 offset0:25 offset1:26
	ds_load_2addr_b64 v[74:77], v39 offset0:27 offset1:28
	ds_load_2addr_b64 v[78:81], v39 offset0:29 offset1:30
	ds_load_2addr_b64 v[82:85], v39 offset0:31 offset1:32
	ds_load_2addr_b64 v[86:89], v39 offset0:33 offset1:34
	ds_load_2addr_b64 v[90:93], v39 offset0:35 offset1:36
	ds_load_2addr_b64 v[94:97], v39 offset0:37 offset1:38
	s_mov_b32 s0, exec_lo
	s_wait_loadcnt_dscnt 0x706
	v_dual_mul_f32 v39, v70, v43 :: v_dual_mul_f32 v40, v72, v45
	v_mul_f32_e32 v43, v71, v43
	s_wait_loadcnt_dscnt 0x605
	v_dual_mul_f32 v45, v73, v45 :: v_dual_mul_f32 v100, v74, v47
	s_delay_alu instid0(VALU_DEP_3) | instskip(NEXT) | instid1(VALU_DEP_3)
	v_dual_mul_f32 v101, v76, v49 :: v_dual_fmac_f32 v40, v73, v44
	v_fma_f32 v43, v70, v42, -v43
	v_fmac_f32_e32 v39, v71, v42
	v_mul_f32_e32 v42, v75, v47
	v_fma_f32 v44, v72, v44, -v45
	v_mul_f32_e32 v45, v77, v49
	v_dual_add_f32 v43, 0, v43 :: v_dual_fmac_f32 v100, v75, v46
	s_delay_alu instid0(VALU_DEP_4) | instskip(SKIP_2) | instid1(VALU_DEP_3)
	v_fma_f32 v42, v74, v46, -v42
	s_wait_loadcnt_dscnt 0x504
	v_dual_mul_f32 v102, v78, v51 :: v_dual_mul_f32 v103, v80, v53
	v_add_f32_e32 v43, v43, v44
	v_fmac_f32_e32 v101, v77, v48
	v_fma_f32 v44, v76, v48, -v45
	s_wait_loadcnt_dscnt 0x403
	v_dual_mul_f32 v104, v82, v55 :: v_dual_mul_f32 v105, v84, v57
	v_dual_add_f32 v42, v43, v42 :: v_dual_mul_f32 v43, v81, v53
	v_fmac_f32_e32 v102, v79, v50
	s_wait_loadcnt_dscnt 0x302
	v_dual_mul_f32 v106, v86, v59 :: v_dual_mul_f32 v107, v88, v61
	s_delay_alu instid0(VALU_DEP_3) | instskip(SKIP_3) | instid1(VALU_DEP_4)
	v_dual_add_f32 v42, v42, v44 :: v_dual_add_f32 v39, 0, v39
	v_mul_f32_e32 v44, v83, v55
	v_fma_f32 v43, v80, v52, -v43
	v_dual_fmac_f32 v103, v81, v52 :: v_dual_fmac_f32 v104, v83, v54
	v_add_f32_e32 v39, v39, v40
	v_mul_f32_e32 v40, v79, v51
	v_fma_f32 v44, v82, v54, -v44
	v_dual_fmac_f32 v105, v85, v56 :: v_dual_fmac_f32 v106, v87, v58
	s_wait_loadcnt_dscnt 0x201
	v_dual_mul_f32 v108, v90, v63 :: v_dual_mul_f32 v109, v92, v65
	v_fma_f32 v40, v78, v50, -v40
	s_wait_loadcnt_dscnt 0x100
	v_dual_mul_f32 v110, v94, v67 :: v_dual_mul_f32 v111, v96, v69
	s_delay_alu instid0(VALU_DEP_3) | instskip(NEXT) | instid1(VALU_DEP_3)
	v_dual_fmac_f32 v107, v89, v60 :: v_dual_fmac_f32 v108, v91, v62
	v_add_f32_e32 v40, v42, v40
	v_mul_f32_e32 v42, v85, v57
	s_delay_alu instid0(VALU_DEP_4) | instskip(NEXT) | instid1(VALU_DEP_3)
	v_dual_fmac_f32 v110, v95, v66 :: v_dual_fmac_f32 v111, v97, v68
	v_dual_fmac_f32 v109, v93, v64 :: v_dual_add_f32 v40, v40, v43
	v_add_f32_e32 v39, v39, v100
	v_mul_f32_e32 v43, v87, v59
	v_fma_f32 v42, v84, v56, -v42
	s_delay_alu instid0(VALU_DEP_4) | instskip(SKIP_3) | instid1(VALU_DEP_4)
	v_add_f32_e32 v40, v40, v44
	v_mul_f32_e32 v44, v89, v61
	v_add_f32_e32 v39, v39, v101
	v_fma_f32 v43, v86, v58, -v43
	v_add_f32_e32 v40, v40, v42
	v_mul_f32_e32 v42, v91, v63
	s_delay_alu instid0(VALU_DEP_4) | instskip(SKIP_1) | instid1(VALU_DEP_4)
	v_add_f32_e32 v39, v39, v102
	v_fma_f32 v44, v88, v60, -v44
	v_dual_add_f32 v40, v40, v43 :: v_dual_mul_f32 v43, v93, v65
	s_delay_alu instid0(VALU_DEP_3) | instskip(SKIP_1) | instid1(VALU_DEP_3)
	v_add_f32_e32 v39, v39, v103
	v_fma_f32 v42, v90, v62, -v42
	v_add_f32_e32 v40, v40, v44
	s_delay_alu instid0(VALU_DEP_4) | instskip(NEXT) | instid1(VALU_DEP_4)
	v_fma_f32 v43, v92, v64, -v43
	v_add_f32_e32 v39, v39, v104
	v_mul_f32_e32 v44, v95, v67
	s_delay_alu instid0(VALU_DEP_4) | instskip(SKIP_1) | instid1(VALU_DEP_4)
	v_add_f32_e32 v40, v40, v42
	v_mul_f32_e32 v42, v97, v69
	v_add_f32_e32 v39, v39, v105
	s_delay_alu instid0(VALU_DEP_4) | instskip(NEXT) | instid1(VALU_DEP_4)
	v_fma_f32 v44, v94, v66, -v44
	v_add_f32_e32 v40, v40, v43
	s_delay_alu instid0(VALU_DEP_4) | instskip(NEXT) | instid1(VALU_DEP_2)
	v_fma_f32 v42, v96, v68, -v42
	v_dual_add_f32 v39, v39, v106 :: v_dual_add_f32 v40, v40, v44
	s_delay_alu instid0(VALU_DEP_1) | instskip(NEXT) | instid1(VALU_DEP_1)
	v_dual_add_f32 v39, v39, v107 :: v_dual_add_f32 v40, v40, v42
	v_add_f32_e32 v39, v39, v108
	s_delay_alu instid0(VALU_DEP_1) | instskip(NEXT) | instid1(VALU_DEP_1)
	v_add_f32_e32 v39, v39, v109
	v_add_f32_e32 v39, v39, v110
	s_wait_loadcnt 0x0
	s_delay_alu instid0(VALU_DEP_1) | instskip(NEXT) | instid1(VALU_DEP_1)
	v_dual_add_f32 v42, v39, v111 :: v_dual_sub_f32 v39, v98, v40
	v_sub_f32_e32 v40, v99, v42
	scratch_store_b64 off, v[39:40], off offset:32
	v_cmpx_lt_u32_e32 3, v0
	s_cbranch_execz .LBB18_121
; %bb.120:
	scratch_load_b64 v[39:40], off, off offset:24
	v_mov_b32_e32 v42, 0
	s_delay_alu instid0(VALU_DEP_1)
	v_mov_b32_e32 v43, v42
	scratch_store_b64 off, v[42:43], off offset:24
	s_wait_loadcnt 0x0
	ds_store_b64 v41, v[39:40]
.LBB18_121:
	s_wait_alu 0xfffe
	s_or_b32 exec_lo, exec_lo, s0
	s_wait_storecnt_dscnt 0x0
	s_barrier_signal -1
	s_barrier_wait -1
	global_inv scope:SCOPE_SE
	s_clause 0x8
	scratch_load_b128 v[42:45], off, off offset:32
	scratch_load_b128 v[46:49], off, off offset:48
	;; [unrolled: 1-line block ×7, first 2 shown]
	scratch_load_b64 v[98:99], off, off offset:144
	scratch_load_b64 v[100:101], off, off offset:24
	v_mov_b32_e32 v39, 0
	ds_load_b128 v[70:73], v39 offset:192
	ds_load_b128 v[74:77], v39 offset:208
	;; [unrolled: 1-line block ×7, first 2 shown]
	ds_load_b64 v[102:103], v39 offset:304
	s_mov_b32 s0, exec_lo
	s_wait_loadcnt_dscnt 0x807
	v_mul_f32_e32 v40, v70, v43
	v_dual_mul_f32 v43, v71, v43 :: v_dual_mul_f32 v104, v72, v45
	s_wait_loadcnt_dscnt 0x706
	v_mul_f32_e32 v105, v74, v47
	v_mul_f32_e32 v45, v73, v45
	s_wait_loadcnt_dscnt 0x302
	v_mul_f32_e32 v114, v92, v65
	v_fma_f32 v43, v70, v42, -v43
	s_wait_loadcnt_dscnt 0x100
	v_dual_mul_f32 v117, v102, v99 :: v_dual_fmac_f32 v40, v71, v42
	v_mul_f32_e32 v42, v75, v47
	s_delay_alu instid0(VALU_DEP_3) | instskip(SKIP_1) | instid1(VALU_DEP_4)
	v_dual_fmac_f32 v104, v73, v44 :: v_dual_add_f32 v43, 0, v43
	v_fma_f32 v44, v72, v44, -v45
	v_dual_add_f32 v40, 0, v40 :: v_dual_mul_f32 v45, v77, v49
	v_fmac_f32_e32 v105, v75, v46
	v_fma_f32 v42, v74, v46, -v42
	v_dual_mul_f32 v106, v76, v49 :: v_dual_mul_f32 v107, v78, v51
	s_delay_alu instid0(VALU_DEP_4)
	v_add_f32_e32 v40, v40, v104
	v_add_f32_e32 v43, v43, v44
	v_mul_f32_e32 v44, v79, v51
	v_fma_f32 v45, v76, v48, -v45
	v_dual_mul_f32 v110, v84, v57 :: v_dual_mul_f32 v111, v86, v59
	v_add_f32_e32 v40, v40, v105
	v_dual_add_f32 v42, v43, v42 :: v_dual_mul_f32 v43, v81, v53
	v_fma_f32 v44, v78, v50, -v44
	v_dual_mul_f32 v112, v88, v61 :: v_dual_mul_f32 v113, v90, v63
	s_delay_alu instid0(VALU_DEP_3) | instskip(NEXT) | instid1(VALU_DEP_4)
	v_dual_add_f32 v42, v42, v45 :: v_dual_mul_f32 v45, v83, v55
	v_fma_f32 v43, v80, v52, -v43
	v_dual_mul_f32 v115, v94, v67 :: v_dual_mul_f32 v116, v96, v69
	s_delay_alu instid0(VALU_DEP_3) | instskip(SKIP_3) | instid1(VALU_DEP_4)
	v_dual_add_f32 v42, v42, v44 :: v_dual_fmac_f32 v111, v87, v58
	v_dual_fmac_f32 v106, v77, v48 :: v_dual_fmac_f32 v107, v79, v50
	v_dual_mul_f32 v44, v85, v57 :: v_dual_fmac_f32 v113, v91, v62
	v_fma_f32 v45, v82, v54, -v45
	v_dual_add_f32 v42, v42, v43 :: v_dual_fmac_f32 v115, v95, v66
	s_delay_alu instid0(VALU_DEP_4) | instskip(NEXT) | instid1(VALU_DEP_4)
	v_dual_add_f32 v40, v40, v106 :: v_dual_mul_f32 v43, v87, v59
	v_fma_f32 v44, v84, v56, -v44
	s_delay_alu instid0(VALU_DEP_3) | instskip(SKIP_3) | instid1(VALU_DEP_4)
	v_dual_add_f32 v42, v42, v45 :: v_dual_fmac_f32 v117, v103, v98
	v_dual_mul_f32 v108, v80, v53 :: v_dual_mul_f32 v109, v82, v55
	v_mul_f32_e32 v45, v89, v61
	v_fma_f32 v43, v86, v58, -v43
	v_add_f32_e32 v42, v42, v44
	s_delay_alu instid0(VALU_DEP_4) | instskip(SKIP_4) | instid1(VALU_DEP_4)
	v_dual_fmac_f32 v108, v81, v52 :: v_dual_fmac_f32 v109, v83, v54
	v_add_f32_e32 v40, v40, v107
	v_mul_f32_e32 v44, v91, v63
	v_fma_f32 v45, v88, v60, -v45
	v_dual_add_f32 v42, v42, v43 :: v_dual_mul_f32 v43, v93, v65
	v_add_f32_e32 v40, v40, v108
	s_delay_alu instid0(VALU_DEP_4) | instskip(SKIP_1) | instid1(VALU_DEP_4)
	v_fma_f32 v44, v90, v62, -v44
	v_fmac_f32_e32 v110, v85, v56
	v_dual_add_f32 v42, v42, v45 :: v_dual_mul_f32 v45, v95, v67
	s_delay_alu instid0(VALU_DEP_4) | instskip(SKIP_2) | instid1(VALU_DEP_4)
	v_add_f32_e32 v40, v40, v109
	v_fma_f32 v43, v92, v64, -v43
	v_fmac_f32_e32 v112, v89, v60
	v_add_f32_e32 v42, v42, v44
	v_fmac_f32_e32 v114, v93, v64
	v_mul_f32_e32 v44, v97, v69
	v_fma_f32 v45, v94, v66, -v45
	v_fmac_f32_e32 v116, v97, v68
	v_add_f32_e32 v42, v42, v43
	v_dual_mul_f32 v43, v103, v99 :: v_dual_add_f32 v40, v40, v110
	v_fma_f32 v44, v96, v68, -v44
	s_delay_alu instid0(VALU_DEP_3) | instskip(NEXT) | instid1(VALU_DEP_3)
	v_add_f32_e32 v42, v42, v45
	v_fma_f32 v43, v102, v98, -v43
	s_delay_alu instid0(VALU_DEP_4) | instskip(NEXT) | instid1(VALU_DEP_3)
	v_add_f32_e32 v40, v40, v111
	v_add_f32_e32 v42, v42, v44
	s_delay_alu instid0(VALU_DEP_2) | instskip(NEXT) | instid1(VALU_DEP_2)
	v_add_f32_e32 v40, v40, v112
	v_add_f32_e32 v42, v42, v43
	s_delay_alu instid0(VALU_DEP_2) | instskip(SKIP_1) | instid1(VALU_DEP_2)
	v_add_f32_e32 v40, v40, v113
	s_wait_loadcnt 0x0
	v_sub_f32_e32 v42, v100, v42
	s_delay_alu instid0(VALU_DEP_2) | instskip(NEXT) | instid1(VALU_DEP_1)
	v_add_f32_e32 v40, v40, v114
	v_add_f32_e32 v40, v40, v115
	s_delay_alu instid0(VALU_DEP_1) | instskip(NEXT) | instid1(VALU_DEP_1)
	v_add_f32_e32 v40, v40, v116
	v_add_f32_e32 v40, v40, v117
	s_delay_alu instid0(VALU_DEP_1)
	v_sub_f32_e32 v43, v101, v40
	scratch_store_b64 off, v[42:43], off offset:24
	v_cmpx_lt_u32_e32 2, v0
	s_cbranch_execz .LBB18_123
; %bb.122:
	scratch_load_b64 v[42:43], off, off offset:16
	v_mov_b32_e32 v40, v39
	scratch_store_b64 off, v[39:40], off offset:16
	s_wait_loadcnt 0x0
	ds_store_b64 v41, v[42:43]
.LBB18_123:
	s_wait_alu 0xfffe
	s_or_b32 exec_lo, exec_lo, s0
	s_wait_storecnt_dscnt 0x0
	s_barrier_signal -1
	s_barrier_wait -1
	global_inv scope:SCOPE_SE
	s_clause 0x8
	scratch_load_b128 v[42:45], off, off offset:24
	scratch_load_b128 v[46:49], off, off offset:40
	;; [unrolled: 1-line block ×8, first 2 shown]
	scratch_load_b64 v[106:107], off, off offset:16
	ds_load_2addr_b64 v[74:77], v39 offset0:23 offset1:24
	ds_load_2addr_b64 v[78:81], v39 offset0:25 offset1:26
	;; [unrolled: 1-line block ×8, first 2 shown]
	s_mov_b32 s0, exec_lo
	s_wait_loadcnt_dscnt 0x807
	v_dual_mul_f32 v39, v74, v43 :: v_dual_mul_f32 v40, v76, v45
	v_mul_f32_e32 v43, v75, v43
	s_wait_loadcnt_dscnt 0x706
	v_dual_mul_f32 v45, v77, v45 :: v_dual_mul_f32 v108, v78, v47
	s_delay_alu instid0(VALU_DEP_3) | instskip(NEXT) | instid1(VALU_DEP_3)
	v_dual_mul_f32 v109, v80, v49 :: v_dual_fmac_f32 v40, v77, v44
	v_fma_f32 v43, v74, v42, -v43
	v_fmac_f32_e32 v39, v75, v42
	v_mul_f32_e32 v42, v79, v47
	v_fma_f32 v44, v76, v44, -v45
	v_mul_f32_e32 v45, v81, v49
	v_dual_add_f32 v43, 0, v43 :: v_dual_fmac_f32 v108, v79, v46
	s_delay_alu instid0(VALU_DEP_4) | instskip(SKIP_2) | instid1(VALU_DEP_3)
	v_fma_f32 v42, v78, v46, -v42
	s_wait_loadcnt_dscnt 0x605
	v_dual_mul_f32 v110, v82, v51 :: v_dual_mul_f32 v111, v84, v53
	v_add_f32_e32 v43, v43, v44
	v_fmac_f32_e32 v109, v81, v48
	v_fma_f32 v44, v80, v48, -v45
	s_wait_loadcnt_dscnt 0x504
	v_dual_mul_f32 v112, v86, v55 :: v_dual_mul_f32 v113, v88, v57
	v_dual_add_f32 v42, v43, v42 :: v_dual_mul_f32 v43, v85, v53
	v_fmac_f32_e32 v110, v83, v50
	s_wait_loadcnt_dscnt 0x403
	v_dual_mul_f32 v114, v90, v59 :: v_dual_mul_f32 v115, v92, v61
	s_delay_alu instid0(VALU_DEP_3) | instskip(SKIP_3) | instid1(VALU_DEP_4)
	v_dual_add_f32 v42, v42, v44 :: v_dual_add_f32 v39, 0, v39
	v_mul_f32_e32 v44, v87, v55
	v_fma_f32 v43, v84, v52, -v43
	v_dual_fmac_f32 v111, v85, v52 :: v_dual_fmac_f32 v112, v87, v54
	v_add_f32_e32 v39, v39, v40
	v_mul_f32_e32 v40, v83, v51
	v_fma_f32 v44, v86, v54, -v44
	v_dual_fmac_f32 v113, v89, v56 :: v_dual_fmac_f32 v114, v91, v58
	s_wait_loadcnt_dscnt 0x302
	v_dual_mul_f32 v116, v94, v63 :: v_dual_mul_f32 v117, v96, v65
	v_fma_f32 v40, v82, v50, -v40
	s_wait_loadcnt_dscnt 0x201
	v_dual_mul_f32 v118, v98, v67 :: v_dual_mul_f32 v119, v100, v69
	s_wait_loadcnt_dscnt 0x100
	v_dual_mul_f32 v120, v102, v71 :: v_dual_mul_f32 v121, v104, v73
	v_add_f32_e32 v40, v42, v40
	v_mul_f32_e32 v42, v89, v57
	v_dual_fmac_f32 v118, v99, v66 :: v_dual_fmac_f32 v119, v101, v68
	s_delay_alu instid0(VALU_DEP_4) | instskip(NEXT) | instid1(VALU_DEP_4)
	v_dual_fmac_f32 v120, v103, v70 :: v_dual_fmac_f32 v121, v105, v72
	v_dual_add_f32 v40, v40, v43 :: v_dual_add_f32 v39, v39, v108
	v_mul_f32_e32 v43, v91, v59
	v_fma_f32 v42, v88, v56, -v42
	v_fmac_f32_e32 v115, v93, v60
	s_delay_alu instid0(VALU_DEP_4)
	v_add_f32_e32 v40, v40, v44
	v_mul_f32_e32 v44, v93, v61
	v_add_f32_e32 v39, v39, v109
	v_fma_f32 v43, v90, v58, -v43
	v_fmac_f32_e32 v116, v95, v62
	v_add_f32_e32 v40, v40, v42
	v_mul_f32_e32 v42, v95, v63
	v_add_f32_e32 v39, v39, v110
	v_fma_f32 v44, v92, v60, -v44
	s_delay_alu instid0(VALU_DEP_4) | instskip(SKIP_1) | instid1(VALU_DEP_4)
	v_dual_fmac_f32 v117, v97, v64 :: v_dual_add_f32 v40, v40, v43
	v_mul_f32_e32 v43, v97, v65
	v_add_f32_e32 v39, v39, v111
	v_fma_f32 v42, v94, v62, -v42
	s_delay_alu instid0(VALU_DEP_4) | instskip(NEXT) | instid1(VALU_DEP_4)
	v_add_f32_e32 v40, v40, v44
	v_fma_f32 v43, v96, v64, -v43
	s_delay_alu instid0(VALU_DEP_4) | instskip(SKIP_1) | instid1(VALU_DEP_4)
	v_add_f32_e32 v39, v39, v112
	v_mul_f32_e32 v44, v99, v67
	v_add_f32_e32 v40, v40, v42
	v_mul_f32_e32 v42, v101, v69
	s_delay_alu instid0(VALU_DEP_4) | instskip(NEXT) | instid1(VALU_DEP_4)
	v_add_f32_e32 v39, v39, v113
	v_fma_f32 v44, v98, v66, -v44
	s_delay_alu instid0(VALU_DEP_4) | instskip(SKIP_1) | instid1(VALU_DEP_4)
	v_add_f32_e32 v40, v40, v43
	v_mul_f32_e32 v43, v103, v71
	v_add_f32_e32 v39, v39, v114
	v_fma_f32 v42, v100, v68, -v42
	s_delay_alu instid0(VALU_DEP_4) | instskip(NEXT) | instid1(VALU_DEP_3)
	v_add_f32_e32 v40, v40, v44
	v_dual_mul_f32 v44, v105, v73 :: v_dual_add_f32 v39, v39, v115
	v_fma_f32 v43, v102, v70, -v43
	s_delay_alu instid0(VALU_DEP_3) | instskip(NEXT) | instid1(VALU_DEP_3)
	v_add_f32_e32 v40, v40, v42
	v_fma_f32 v42, v104, v72, -v44
	s_delay_alu instid0(VALU_DEP_2) | instskip(NEXT) | instid1(VALU_DEP_1)
	v_dual_add_f32 v39, v39, v116 :: v_dual_add_f32 v40, v40, v43
	v_dual_add_f32 v39, v39, v117 :: v_dual_add_f32 v40, v40, v42
	s_delay_alu instid0(VALU_DEP_1) | instskip(NEXT) | instid1(VALU_DEP_1)
	v_add_f32_e32 v39, v39, v118
	v_add_f32_e32 v39, v39, v119
	s_delay_alu instid0(VALU_DEP_1) | instskip(SKIP_1) | instid1(VALU_DEP_1)
	v_add_f32_e32 v39, v39, v120
	s_wait_loadcnt 0x0
	v_dual_add_f32 v42, v39, v121 :: v_dual_sub_f32 v39, v106, v40
	s_delay_alu instid0(VALU_DEP_1)
	v_sub_f32_e32 v40, v107, v42
	scratch_store_b64 off, v[39:40], off offset:16
	v_cmpx_lt_u32_e32 1, v0
	s_cbranch_execz .LBB18_125
; %bb.124:
	scratch_load_b64 v[39:40], off, off offset:8
	v_mov_b32_e32 v42, 0
	s_delay_alu instid0(VALU_DEP_1)
	v_mov_b32_e32 v43, v42
	scratch_store_b64 off, v[42:43], off offset:8
	s_wait_loadcnt 0x0
	ds_store_b64 v41, v[39:40]
.LBB18_125:
	s_wait_alu 0xfffe
	s_or_b32 exec_lo, exec_lo, s0
	s_wait_storecnt_dscnt 0x0
	s_barrier_signal -1
	s_barrier_wait -1
	global_inv scope:SCOPE_SE
	s_clause 0x9
	scratch_load_b128 v[42:45], off, off offset:16
	scratch_load_b128 v[46:49], off, off offset:32
	;; [unrolled: 1-line block ×8, first 2 shown]
	scratch_load_b64 v[106:107], off, off offset:144
	scratch_load_b64 v[108:109], off, off offset:8
	v_mov_b32_e32 v39, 0
	ds_load_b128 v[74:77], v39 offset:176
	ds_load_b128 v[78:81], v39 offset:192
	;; [unrolled: 1-line block ×8, first 2 shown]
	ds_load_b64 v[110:111], v39 offset:304
	s_mov_b32 s0, exec_lo
	s_wait_loadcnt_dscnt 0x908
	v_mul_f32_e32 v40, v74, v43
	s_wait_loadcnt_dscnt 0x807
	v_dual_mul_f32 v112, v76, v45 :: v_dual_mul_f32 v113, v78, v47
	v_mul_f32_e32 v43, v75, v43
	s_delay_alu instid0(VALU_DEP_3)
	v_dual_mul_f32 v45, v77, v45 :: v_dual_fmac_f32 v40, v75, v42
	s_wait_loadcnt_dscnt 0x302
	v_mul_f32_e32 v124, v100, v69
	v_dual_mul_f32 v114, v80, v49 :: v_dual_mul_f32 v115, v82, v51
	s_wait_loadcnt_dscnt 0x100
	v_mul_f32_e32 v127, v110, v107
	v_fma_f32 v43, v74, v42, -v43
	v_mul_f32_e32 v42, v79, v47
	v_fmac_f32_e32 v112, v77, v44
	v_fma_f32 v44, v76, v44, -v45
	v_dual_add_f32 v40, 0, v40 :: v_dual_mul_f32 v45, v81, v49
	v_add_f32_e32 v43, 0, v43
	v_fmac_f32_e32 v113, v79, v46
	v_fma_f32 v42, v78, v46, -v42
	s_delay_alu instid0(VALU_DEP_4)
	v_add_f32_e32 v40, v40, v112
	v_fma_f32 v45, v80, v48, -v45
	v_add_f32_e32 v43, v43, v44
	v_mul_f32_e32 v44, v83, v51
	v_dual_mul_f32 v118, v88, v57 :: v_dual_mul_f32 v119, v90, v59
	v_add_f32_e32 v40, v40, v113
	s_delay_alu instid0(VALU_DEP_4) | instskip(NEXT) | instid1(VALU_DEP_4)
	v_dual_add_f32 v42, v43, v42 :: v_dual_mul_f32 v43, v85, v53
	v_fma_f32 v44, v82, v50, -v44
	v_dual_mul_f32 v120, v92, v61 :: v_dual_mul_f32 v121, v94, v63
	s_delay_alu instid0(VALU_DEP_3) | instskip(NEXT) | instid1(VALU_DEP_4)
	v_dual_add_f32 v42, v42, v45 :: v_dual_mul_f32 v45, v87, v55
	v_fma_f32 v43, v84, v52, -v43
	v_dual_mul_f32 v122, v96, v65 :: v_dual_mul_f32 v123, v98, v67
	s_delay_alu instid0(VALU_DEP_3) | instskip(SKIP_3) | instid1(VALU_DEP_4)
	v_dual_add_f32 v42, v42, v44 :: v_dual_fmac_f32 v119, v91, v58
	v_dual_fmac_f32 v114, v81, v48 :: v_dual_fmac_f32 v115, v83, v50
	v_dual_mul_f32 v44, v89, v57 :: v_dual_fmac_f32 v121, v95, v62
	v_fma_f32 v45, v86, v54, -v45
	v_dual_add_f32 v42, v42, v43 :: v_dual_fmac_f32 v123, v99, v66
	v_dual_mul_f32 v125, v102, v71 :: v_dual_mul_f32 v126, v104, v73
	v_dual_add_f32 v40, v40, v114 :: v_dual_mul_f32 v43, v91, v59
	v_fma_f32 v44, v88, v56, -v44
	s_delay_alu instid0(VALU_DEP_3) | instskip(SKIP_3) | instid1(VALU_DEP_4)
	v_dual_add_f32 v42, v42, v45 :: v_dual_fmac_f32 v125, v103, v70
	v_dual_mul_f32 v116, v84, v53 :: v_dual_mul_f32 v117, v86, v55
	v_mul_f32_e32 v45, v93, v61
	v_fma_f32 v43, v90, v58, -v43
	v_add_f32_e32 v42, v42, v44
	s_delay_alu instid0(VALU_DEP_4) | instskip(SKIP_4) | instid1(VALU_DEP_4)
	v_dual_fmac_f32 v116, v85, v52 :: v_dual_fmac_f32 v117, v87, v54
	v_add_f32_e32 v40, v40, v115
	v_mul_f32_e32 v44, v95, v63
	v_fma_f32 v45, v92, v60, -v45
	v_dual_add_f32 v42, v42, v43 :: v_dual_mul_f32 v43, v97, v65
	v_add_f32_e32 v40, v40, v116
	s_delay_alu instid0(VALU_DEP_4) | instskip(SKIP_1) | instid1(VALU_DEP_4)
	v_fma_f32 v44, v94, v62, -v44
	v_fmac_f32_e32 v118, v89, v56
	v_dual_add_f32 v42, v42, v45 :: v_dual_mul_f32 v45, v99, v67
	s_delay_alu instid0(VALU_DEP_4) | instskip(SKIP_1) | instid1(VALU_DEP_3)
	v_dual_add_f32 v40, v40, v117 :: v_dual_fmac_f32 v127, v111, v106
	v_fma_f32 v43, v96, v64, -v43
	v_add_f32_e32 v42, v42, v44
	v_fmac_f32_e32 v120, v93, v60
	v_fmac_f32_e32 v122, v97, v64
	v_mul_f32_e32 v44, v101, v69
	v_fma_f32 v45, v98, v66, -v45
	v_add_f32_e32 v42, v42, v43
	v_dual_mul_f32 v43, v103, v71 :: v_dual_add_f32 v40, v40, v118
	v_fmac_f32_e32 v124, v101, v68
	v_fma_f32 v44, v100, v68, -v44
	s_delay_alu instid0(VALU_DEP_4) | instskip(NEXT) | instid1(VALU_DEP_4)
	v_add_f32_e32 v42, v42, v45
	v_dual_mul_f32 v45, v105, v73 :: v_dual_add_f32 v40, v40, v119
	v_fma_f32 v43, v102, v70, -v43
	v_fmac_f32_e32 v126, v105, v72
	s_delay_alu instid0(VALU_DEP_4) | instskip(SKIP_3) | instid1(VALU_DEP_4)
	v_add_f32_e32 v42, v42, v44
	v_mul_f32_e32 v44, v111, v107
	v_add_f32_e32 v40, v40, v120
	v_fma_f32 v45, v104, v72, -v45
	v_add_f32_e32 v42, v42, v43
	s_delay_alu instid0(VALU_DEP_4) | instskip(NEXT) | instid1(VALU_DEP_4)
	v_fma_f32 v43, v110, v106, -v44
	v_add_f32_e32 v40, v40, v121
	s_delay_alu instid0(VALU_DEP_3) | instskip(NEXT) | instid1(VALU_DEP_2)
	v_add_f32_e32 v42, v42, v45
	v_add_f32_e32 v40, v40, v122
	s_delay_alu instid0(VALU_DEP_2) | instskip(NEXT) | instid1(VALU_DEP_2)
	v_add_f32_e32 v42, v42, v43
	v_add_f32_e32 v40, v40, v123
	s_wait_loadcnt 0x0
	s_delay_alu instid0(VALU_DEP_2) | instskip(NEXT) | instid1(VALU_DEP_2)
	v_sub_f32_e32 v42, v108, v42
	v_add_f32_e32 v40, v40, v124
	s_delay_alu instid0(VALU_DEP_1) | instskip(NEXT) | instid1(VALU_DEP_1)
	v_add_f32_e32 v40, v40, v125
	v_add_f32_e32 v40, v40, v126
	s_delay_alu instid0(VALU_DEP_1) | instskip(NEXT) | instid1(VALU_DEP_1)
	v_add_f32_e32 v40, v40, v127
	v_sub_f32_e32 v43, v109, v40
	scratch_store_b64 off, v[42:43], off offset:8
	v_cmpx_ne_u32_e32 0, v0
	s_cbranch_execz .LBB18_127
; %bb.126:
	scratch_load_b64 v[42:43], off, off
	v_mov_b32_e32 v40, v39
	scratch_store_b64 off, v[39:40], off
	s_wait_loadcnt 0x0
	ds_store_b64 v41, v[42:43]
.LBB18_127:
	s_wait_alu 0xfffe
	s_or_b32 exec_lo, exec_lo, s0
	s_wait_storecnt_dscnt 0x0
	s_barrier_signal -1
	s_barrier_wait -1
	global_inv scope:SCOPE_SE
	s_clause 0x9
	scratch_load_b128 v[40:43], off, off offset:8
	scratch_load_b128 v[44:47], off, off offset:24
	;; [unrolled: 1-line block ×9, first 2 shown]
	scratch_load_b64 v[112:113], off, off
	ds_load_2addr_b64 v[76:79], v39 offset0:21 offset1:22
	ds_load_2addr_b64 v[80:83], v39 offset0:23 offset1:24
	;; [unrolled: 1-line block ×9, first 2 shown]
	s_and_b32 vcc_lo, exec_lo, s18
	s_wait_loadcnt_dscnt 0x908
	v_dual_mul_f32 v0, v76, v41 :: v_dual_mul_f32 v39, v78, v43
	s_wait_loadcnt_dscnt 0x807
	v_dual_mul_f32 v43, v79, v43 :: v_dual_mul_f32 v114, v80, v45
	s_delay_alu instid0(VALU_DEP_2) | instskip(SKIP_2) | instid1(VALU_DEP_4)
	v_dual_mul_f32 v115, v82, v47 :: v_dual_fmac_f32 v0, v77, v40
	v_mul_f32_e32 v41, v77, v41
	v_fmac_f32_e32 v39, v79, v42
	v_fma_f32 v42, v78, v42, -v43
	s_wait_loadcnt_dscnt 0x706
	v_dual_mul_f32 v116, v84, v49 :: v_dual_mul_f32 v117, v86, v51
	v_add_f32_e32 v0, 0, v0
	v_fma_f32 v41, v76, v40, -v41
	v_mul_f32_e32 v40, v81, v45
	v_dual_fmac_f32 v114, v81, v44 :: v_dual_fmac_f32 v115, v83, v46
	s_delay_alu instid0(VALU_DEP_3) | instskip(NEXT) | instid1(VALU_DEP_3)
	v_dual_fmac_f32 v116, v85, v48 :: v_dual_add_f32 v41, 0, v41
	v_fma_f32 v40, v80, v44, -v40
	v_dual_add_f32 v0, v0, v39 :: v_dual_mul_f32 v39, v85, v49
	s_wait_loadcnt_dscnt 0x605
	v_dual_mul_f32 v118, v88, v53 :: v_dual_mul_f32 v119, v90, v55
	v_add_f32_e32 v41, v41, v42
	s_delay_alu instid0(VALU_DEP_3) | instskip(SKIP_1) | instid1(VALU_DEP_3)
	v_dual_mul_f32 v43, v83, v47 :: v_dual_add_f32 v0, v0, v114
	v_fma_f32 v39, v84, v48, -v39
	v_dual_fmac_f32 v117, v87, v50 :: v_dual_add_f32 v40, v41, v40
	s_delay_alu instid0(VALU_DEP_3) | instskip(SKIP_3) | instid1(VALU_DEP_4)
	v_fma_f32 v42, v82, v46, -v43
	v_mul_f32_e32 v41, v87, v51
	v_add_f32_e32 v0, v0, v115
	v_dual_fmac_f32 v118, v89, v52 :: v_dual_fmac_f32 v119, v91, v54
	v_add_f32_e32 v40, v40, v42
	v_mul_f32_e32 v42, v89, v53
	v_fma_f32 v41, v86, v50, -v41
	s_wait_loadcnt_dscnt 0x504
	v_dual_mul_f32 v120, v92, v57 :: v_dual_mul_f32 v121, v94, v59
	v_add_f32_e32 v39, v40, v39
	v_add_f32_e32 v0, v0, v116
	v_mul_f32_e32 v40, v91, v55
	v_fma_f32 v42, v88, v52, -v42
	v_dual_fmac_f32 v120, v93, v56 :: v_dual_fmac_f32 v121, v95, v58
	v_add_f32_e32 v39, v39, v41
	v_add_f32_e32 v0, v0, v117
	v_mul_f32_e32 v41, v93, v57
	v_fma_f32 v40, v90, v54, -v40
	s_wait_loadcnt_dscnt 0x403
	v_dual_mul_f32 v122, v96, v61 :: v_dual_mul_f32 v123, v98, v63
	v_add_f32_e32 v39, v39, v42
	v_add_f32_e32 v0, v0, v118
	v_mul_f32_e32 v42, v95, v59
	v_fma_f32 v41, v92, v56, -v41
	s_wait_loadcnt_dscnt 0x302
	v_dual_mul_f32 v124, v100, v65 :: v_dual_mul_f32 v125, v102, v67
	v_dual_add_f32 v39, v39, v40 :: v_dual_add_f32 v0, v0, v119
	v_mul_f32_e32 v40, v97, v61
	v_fma_f32 v42, v94, v58, -v42
	v_dual_fmac_f32 v122, v97, v60 :: v_dual_fmac_f32 v123, v99, v62
	s_delay_alu instid0(VALU_DEP_4) | instskip(SKIP_3) | instid1(VALU_DEP_4)
	v_dual_add_f32 v39, v39, v41 :: v_dual_add_f32 v0, v0, v120
	v_mul_f32_e32 v41, v99, v63
	v_fma_f32 v40, v96, v60, -v40
	v_fmac_f32_e32 v125, v103, v66
	v_dual_add_f32 v39, v39, v42 :: v_dual_add_f32 v0, v0, v121
	v_mul_f32_e32 v42, v101, v65
	v_fma_f32 v41, v98, v62, -v41
	s_wait_loadcnt_dscnt 0x201
	v_dual_mul_f32 v126, v104, v69 :: v_dual_mul_f32 v127, v106, v71
	v_dual_add_f32 v39, v39, v40 :: v_dual_add_f32 v0, v0, v122
	v_mul_f32_e32 v40, v103, v67
	v_fma_f32 v42, v100, v64, -v42
	s_delay_alu instid0(VALU_DEP_4) | instskip(NEXT) | instid1(VALU_DEP_4)
	v_fmac_f32_e32 v127, v107, v70
	v_dual_add_f32 v39, v39, v41 :: v_dual_fmac_f32 v124, v101, v64
	v_mul_f32_e32 v41, v105, v69
	v_fma_f32 v40, v102, v66, -v40
	s_wait_loadcnt_dscnt 0x100
	v_dual_mul_f32 v128, v108, v73 :: v_dual_mul_f32 v129, v110, v75
	v_dual_add_f32 v39, v39, v42 :: v_dual_add_f32 v0, v0, v123
	v_mul_f32_e32 v42, v107, v71
	v_fma_f32 v41, v104, v68, -v41
	s_delay_alu instid0(VALU_DEP_4) | instskip(NEXT) | instid1(VALU_DEP_4)
	v_dual_fmac_f32 v128, v109, v72 :: v_dual_fmac_f32 v129, v111, v74
	v_add_f32_e32 v39, v39, v40
	v_add_f32_e32 v0, v0, v124
	v_fmac_f32_e32 v126, v105, v68
	v_fma_f32 v42, v106, v70, -v42
	s_delay_alu instid0(VALU_DEP_4) | instskip(NEXT) | instid1(VALU_DEP_4)
	v_add_f32_e32 v39, v39, v41
	v_dual_add_f32 v0, v0, v125 :: v_dual_mul_f32 v41, v111, v75
	s_delay_alu instid0(VALU_DEP_2) | instskip(NEXT) | instid1(VALU_DEP_2)
	v_dual_mul_f32 v40, v109, v73 :: v_dual_add_f32 v39, v39, v42
	v_fma_f32 v41, v110, v74, -v41
	s_delay_alu instid0(VALU_DEP_2) | instskip(NEXT) | instid1(VALU_DEP_1)
	v_fma_f32 v40, v108, v72, -v40
	v_dual_add_f32 v0, v0, v126 :: v_dual_add_f32 v39, v39, v40
	s_delay_alu instid0(VALU_DEP_1) | instskip(NEXT) | instid1(VALU_DEP_1)
	v_dual_add_f32 v0, v0, v127 :: v_dual_add_f32 v39, v39, v41
	v_add_f32_e32 v0, v0, v128
	s_delay_alu instid0(VALU_DEP_1) | instskip(SKIP_1) | instid1(VALU_DEP_1)
	v_add_f32_e32 v0, v0, v129
	s_wait_loadcnt 0x0
	v_dual_sub_f32 v39, v112, v39 :: v_dual_sub_f32 v40, v113, v0
	scratch_store_b64 off, v[39:40], off
	s_wait_alu 0xfffe
	s_cbranch_vccz .LBB18_164
; %bb.128:
	v_mov_b32_e32 v0, 0
	global_load_b32 v39, v0, s[2:3] offset:68
	s_wait_loadcnt 0x0
	v_cmp_ne_u32_e32 vcc_lo, 18, v39
	s_cbranch_vccz .LBB18_130
; %bb.129:
	v_lshlrev_b32_e32 v39, 3, v39
	s_delay_alu instid0(VALU_DEP_1)
	v_mov_b32_e32 v43, v39
	scratch_load_b64 v[39:40], v43, off offset:-8
	scratch_load_b64 v[41:42], off, off offset:136
	s_wait_loadcnt 0x1
	scratch_store_b64 off, v[39:40], off offset:136
	s_wait_loadcnt 0x0
	scratch_store_b64 v43, v[41:42], off offset:-8
.LBB18_130:
	global_load_b32 v0, v0, s[2:3] offset:64
	s_wait_loadcnt 0x0
	v_cmp_eq_u32_e32 vcc_lo, 17, v0
	s_cbranch_vccnz .LBB18_132
; %bb.131:
	v_lshlrev_b32_e32 v0, 3, v0
	scratch_load_b64 v[39:40], v0, off offset:-8
	scratch_load_b64 v[41:42], off, off offset:128
	s_wait_loadcnt 0x1
	scratch_store_b64 off, v[39:40], off offset:128
	s_wait_loadcnt 0x0
	scratch_store_b64 v0, v[41:42], off offset:-8
.LBB18_132:
	v_mov_b32_e32 v0, 0
	global_load_b32 v39, v0, s[2:3] offset:60
	s_wait_loadcnt 0x0
	v_cmp_eq_u32_e32 vcc_lo, 16, v39
	s_cbranch_vccnz .LBB18_134
; %bb.133:
	v_lshlrev_b32_e32 v39, 3, v39
	s_delay_alu instid0(VALU_DEP_1)
	v_mov_b32_e32 v43, v39
	scratch_load_b64 v[39:40], v43, off offset:-8
	scratch_load_b64 v[41:42], off, off offset:120
	s_wait_loadcnt 0x1
	scratch_store_b64 off, v[39:40], off offset:120
	s_wait_loadcnt 0x0
	scratch_store_b64 v43, v[41:42], off offset:-8
.LBB18_134:
	global_load_b32 v0, v0, s[2:3] offset:56
	s_wait_loadcnt 0x0
	v_cmp_eq_u32_e32 vcc_lo, 15, v0
	s_cbranch_vccnz .LBB18_136
; %bb.135:
	v_lshlrev_b32_e32 v0, 3, v0
	scratch_load_b64 v[39:40], v0, off offset:-8
	scratch_load_b64 v[41:42], off, off offset:112
	s_wait_loadcnt 0x1
	scratch_store_b64 off, v[39:40], off offset:112
	s_wait_loadcnt 0x0
	scratch_store_b64 v0, v[41:42], off offset:-8
.LBB18_136:
	v_mov_b32_e32 v0, 0
	global_load_b32 v39, v0, s[2:3] offset:52
	s_wait_loadcnt 0x0
	v_cmp_eq_u32_e32 vcc_lo, 14, v39
	s_cbranch_vccnz .LBB18_138
; %bb.137:
	v_lshlrev_b32_e32 v39, 3, v39
	s_delay_alu instid0(VALU_DEP_1)
	v_mov_b32_e32 v43, v39
	scratch_load_b64 v[39:40], v43, off offset:-8
	scratch_load_b64 v[41:42], off, off offset:104
	s_wait_loadcnt 0x1
	scratch_store_b64 off, v[39:40], off offset:104
	s_wait_loadcnt 0x0
	scratch_store_b64 v43, v[41:42], off offset:-8
.LBB18_138:
	global_load_b32 v0, v0, s[2:3] offset:48
	s_wait_loadcnt 0x0
	v_cmp_eq_u32_e32 vcc_lo, 13, v0
	s_cbranch_vccnz .LBB18_140
; %bb.139:
	v_lshlrev_b32_e32 v0, 3, v0
	scratch_load_b64 v[39:40], v0, off offset:-8
	scratch_load_b64 v[41:42], off, off offset:96
	s_wait_loadcnt 0x1
	scratch_store_b64 off, v[39:40], off offset:96
	s_wait_loadcnt 0x0
	scratch_store_b64 v0, v[41:42], off offset:-8
.LBB18_140:
	v_mov_b32_e32 v0, 0
	global_load_b32 v39, v0, s[2:3] offset:44
	s_wait_loadcnt 0x0
	v_cmp_eq_u32_e32 vcc_lo, 12, v39
	s_cbranch_vccnz .LBB18_142
; %bb.141:
	v_lshlrev_b32_e32 v39, 3, v39
	s_delay_alu instid0(VALU_DEP_1)
	v_mov_b32_e32 v43, v39
	scratch_load_b64 v[39:40], v43, off offset:-8
	scratch_load_b64 v[41:42], off, off offset:88
	s_wait_loadcnt 0x1
	scratch_store_b64 off, v[39:40], off offset:88
	s_wait_loadcnt 0x0
	scratch_store_b64 v43, v[41:42], off offset:-8
.LBB18_142:
	global_load_b32 v0, v0, s[2:3] offset:40
	s_wait_loadcnt 0x0
	v_cmp_eq_u32_e32 vcc_lo, 11, v0
	s_cbranch_vccnz .LBB18_144
; %bb.143:
	v_lshlrev_b32_e32 v0, 3, v0
	scratch_load_b64 v[39:40], v0, off offset:-8
	scratch_load_b64 v[41:42], off, off offset:80
	s_wait_loadcnt 0x1
	scratch_store_b64 off, v[39:40], off offset:80
	s_wait_loadcnt 0x0
	scratch_store_b64 v0, v[41:42], off offset:-8
.LBB18_144:
	v_mov_b32_e32 v0, 0
	global_load_b32 v39, v0, s[2:3] offset:36
	s_wait_loadcnt 0x0
	v_cmp_eq_u32_e32 vcc_lo, 10, v39
	s_cbranch_vccnz .LBB18_146
; %bb.145:
	v_lshlrev_b32_e32 v39, 3, v39
	s_delay_alu instid0(VALU_DEP_1)
	v_mov_b32_e32 v43, v39
	scratch_load_b64 v[39:40], v43, off offset:-8
	scratch_load_b64 v[41:42], off, off offset:72
	s_wait_loadcnt 0x1
	scratch_store_b64 off, v[39:40], off offset:72
	s_wait_loadcnt 0x0
	scratch_store_b64 v43, v[41:42], off offset:-8
.LBB18_146:
	global_load_b32 v0, v0, s[2:3] offset:32
	s_wait_loadcnt 0x0
	v_cmp_eq_u32_e32 vcc_lo, 9, v0
	s_cbranch_vccnz .LBB18_148
; %bb.147:
	v_lshlrev_b32_e32 v0, 3, v0
	scratch_load_b64 v[39:40], v0, off offset:-8
	scratch_load_b64 v[41:42], off, off offset:64
	s_wait_loadcnt 0x1
	scratch_store_b64 off, v[39:40], off offset:64
	s_wait_loadcnt 0x0
	scratch_store_b64 v0, v[41:42], off offset:-8
.LBB18_148:
	v_mov_b32_e32 v0, 0
	global_load_b32 v39, v0, s[2:3] offset:28
	s_wait_loadcnt 0x0
	v_cmp_eq_u32_e32 vcc_lo, 8, v39
	s_cbranch_vccnz .LBB18_150
; %bb.149:
	v_lshlrev_b32_e32 v39, 3, v39
	s_delay_alu instid0(VALU_DEP_1)
	v_mov_b32_e32 v43, v39
	scratch_load_b64 v[39:40], v43, off offset:-8
	scratch_load_b64 v[41:42], off, off offset:56
	s_wait_loadcnt 0x1
	scratch_store_b64 off, v[39:40], off offset:56
	s_wait_loadcnt 0x0
	scratch_store_b64 v43, v[41:42], off offset:-8
.LBB18_150:
	global_load_b32 v0, v0, s[2:3] offset:24
	s_wait_loadcnt 0x0
	v_cmp_eq_u32_e32 vcc_lo, 7, v0
	s_cbranch_vccnz .LBB18_152
; %bb.151:
	v_lshlrev_b32_e32 v0, 3, v0
	scratch_load_b64 v[39:40], v0, off offset:-8
	scratch_load_b64 v[41:42], off, off offset:48
	s_wait_loadcnt 0x1
	scratch_store_b64 off, v[39:40], off offset:48
	s_wait_loadcnt 0x0
	scratch_store_b64 v0, v[41:42], off offset:-8
.LBB18_152:
	v_mov_b32_e32 v0, 0
	global_load_b32 v39, v0, s[2:3] offset:20
	s_wait_loadcnt 0x0
	v_cmp_eq_u32_e32 vcc_lo, 6, v39
	s_cbranch_vccnz .LBB18_154
; %bb.153:
	v_lshlrev_b32_e32 v39, 3, v39
	s_delay_alu instid0(VALU_DEP_1)
	v_mov_b32_e32 v43, v39
	scratch_load_b64 v[39:40], v43, off offset:-8
	scratch_load_b64 v[41:42], off, off offset:40
	s_wait_loadcnt 0x1
	scratch_store_b64 off, v[39:40], off offset:40
	s_wait_loadcnt 0x0
	scratch_store_b64 v43, v[41:42], off offset:-8
.LBB18_154:
	global_load_b32 v0, v0, s[2:3] offset:16
	s_wait_loadcnt 0x0
	v_cmp_eq_u32_e32 vcc_lo, 5, v0
	s_cbranch_vccnz .LBB18_156
; %bb.155:
	v_lshlrev_b32_e32 v0, 3, v0
	scratch_load_b64 v[39:40], v0, off offset:-8
	scratch_load_b64 v[41:42], off, off offset:32
	s_wait_loadcnt 0x1
	scratch_store_b64 off, v[39:40], off offset:32
	s_wait_loadcnt 0x0
	scratch_store_b64 v0, v[41:42], off offset:-8
.LBB18_156:
	v_mov_b32_e32 v0, 0
	global_load_b32 v39, v0, s[2:3] offset:12
	s_wait_loadcnt 0x0
	v_cmp_eq_u32_e32 vcc_lo, 4, v39
	s_cbranch_vccnz .LBB18_158
; %bb.157:
	v_lshlrev_b32_e32 v39, 3, v39
	s_delay_alu instid0(VALU_DEP_1)
	v_mov_b32_e32 v43, v39
	scratch_load_b64 v[39:40], v43, off offset:-8
	scratch_load_b64 v[41:42], off, off offset:24
	s_wait_loadcnt 0x1
	scratch_store_b64 off, v[39:40], off offset:24
	s_wait_loadcnt 0x0
	scratch_store_b64 v43, v[41:42], off offset:-8
.LBB18_158:
	global_load_b32 v0, v0, s[2:3] offset:8
	s_wait_loadcnt 0x0
	v_cmp_eq_u32_e32 vcc_lo, 3, v0
	s_cbranch_vccnz .LBB18_160
; %bb.159:
	v_lshlrev_b32_e32 v0, 3, v0
	scratch_load_b64 v[39:40], v0, off offset:-8
	scratch_load_b64 v[41:42], off, off offset:16
	s_wait_loadcnt 0x1
	scratch_store_b64 off, v[39:40], off offset:16
	s_wait_loadcnt 0x0
	scratch_store_b64 v0, v[41:42], off offset:-8
.LBB18_160:
	v_mov_b32_e32 v0, 0
	global_load_b32 v39, v0, s[2:3] offset:4
	s_wait_loadcnt 0x0
	v_cmp_eq_u32_e32 vcc_lo, 2, v39
	s_cbranch_vccnz .LBB18_162
; %bb.161:
	v_lshlrev_b32_e32 v39, 3, v39
	s_delay_alu instid0(VALU_DEP_1)
	v_mov_b32_e32 v43, v39
	scratch_load_b64 v[39:40], v43, off offset:-8
	scratch_load_b64 v[41:42], off, off offset:8
	s_wait_loadcnt 0x1
	scratch_store_b64 off, v[39:40], off offset:8
	s_wait_loadcnt 0x0
	scratch_store_b64 v43, v[41:42], off offset:-8
.LBB18_162:
	global_load_b32 v0, v0, s[2:3]
	s_wait_loadcnt 0x0
	v_cmp_eq_u32_e32 vcc_lo, 1, v0
	s_cbranch_vccnz .LBB18_164
; %bb.163:
	v_lshlrev_b32_e32 v0, 3, v0
	scratch_load_b64 v[39:40], v0, off offset:-8
	scratch_load_b64 v[41:42], off, off
	s_wait_loadcnt 0x1
	scratch_store_b64 off, v[39:40], off
	s_wait_loadcnt 0x0
	scratch_store_b64 v0, v[41:42], off offset:-8
.LBB18_164:
	s_clause 0x9
	scratch_load_b128 v[39:42], off, off
	scratch_load_b128 v[43:46], off, off offset:16
	scratch_load_b128 v[47:50], off, off offset:32
	scratch_load_b128 v[51:54], off, off offset:48
	scratch_load_b128 v[55:58], off, off offset:64
	scratch_load_b128 v[59:62], off, off offset:80
	scratch_load_b128 v[63:66], off, off offset:96
	scratch_load_b128 v[67:70], off, off offset:112
	scratch_load_b128 v[71:74], off, off offset:128
	scratch_load_b64 v[75:76], off, off offset:144
	s_wait_loadcnt 0x9
	s_clause 0x1
	global_store_b64 v[1:2], v[39:40], off
	global_store_b64 v[3:4], v[41:42], off
	s_wait_loadcnt 0x8
	s_clause 0x1
	global_store_b64 v[5:6], v[43:44], off
	global_store_b64 v[7:8], v[45:46], off
	;; [unrolled: 4-line block ×9, first 2 shown]
	s_wait_loadcnt 0x0
	global_store_b64 v[37:38], v[75:76], off
	s_nop 0
	s_sendmsg sendmsg(MSG_DEALLOC_VGPRS)
	s_endpgm
	.section	.rodata,"a",@progbits
	.p2align	6, 0x0
	.amdhsa_kernel _ZN9rocsolver6v33100L18getri_kernel_smallILi19E19rocblas_complex_numIfEPS3_EEvT1_iilPiilS6_bb
		.amdhsa_group_segment_fixed_size 312
		.amdhsa_private_segment_fixed_size 160
		.amdhsa_kernarg_size 60
		.amdhsa_user_sgpr_count 2
		.amdhsa_user_sgpr_dispatch_ptr 0
		.amdhsa_user_sgpr_queue_ptr 0
		.amdhsa_user_sgpr_kernarg_segment_ptr 1
		.amdhsa_user_sgpr_dispatch_id 0
		.amdhsa_user_sgpr_private_segment_size 0
		.amdhsa_wavefront_size32 1
		.amdhsa_uses_dynamic_stack 0
		.amdhsa_enable_private_segment 1
		.amdhsa_system_sgpr_workgroup_id_x 1
		.amdhsa_system_sgpr_workgroup_id_y 0
		.amdhsa_system_sgpr_workgroup_id_z 0
		.amdhsa_system_sgpr_workgroup_info 0
		.amdhsa_system_vgpr_workitem_id 0
		.amdhsa_next_free_vgpr 130
		.amdhsa_next_free_sgpr 19
		.amdhsa_reserve_vcc 1
		.amdhsa_float_round_mode_32 0
		.amdhsa_float_round_mode_16_64 0
		.amdhsa_float_denorm_mode_32 3
		.amdhsa_float_denorm_mode_16_64 3
		.amdhsa_fp16_overflow 0
		.amdhsa_workgroup_processor_mode 1
		.amdhsa_memory_ordered 1
		.amdhsa_forward_progress 1
		.amdhsa_inst_pref_size 150
		.amdhsa_round_robin_scheduling 0
		.amdhsa_exception_fp_ieee_invalid_op 0
		.amdhsa_exception_fp_denorm_src 0
		.amdhsa_exception_fp_ieee_div_zero 0
		.amdhsa_exception_fp_ieee_overflow 0
		.amdhsa_exception_fp_ieee_underflow 0
		.amdhsa_exception_fp_ieee_inexact 0
		.amdhsa_exception_int_div_zero 0
	.end_amdhsa_kernel
	.section	.text._ZN9rocsolver6v33100L18getri_kernel_smallILi19E19rocblas_complex_numIfEPS3_EEvT1_iilPiilS6_bb,"axG",@progbits,_ZN9rocsolver6v33100L18getri_kernel_smallILi19E19rocblas_complex_numIfEPS3_EEvT1_iilPiilS6_bb,comdat
.Lfunc_end18:
	.size	_ZN9rocsolver6v33100L18getri_kernel_smallILi19E19rocblas_complex_numIfEPS3_EEvT1_iilPiilS6_bb, .Lfunc_end18-_ZN9rocsolver6v33100L18getri_kernel_smallILi19E19rocblas_complex_numIfEPS3_EEvT1_iilPiilS6_bb
                                        ; -- End function
	.set _ZN9rocsolver6v33100L18getri_kernel_smallILi19E19rocblas_complex_numIfEPS3_EEvT1_iilPiilS6_bb.num_vgpr, 130
	.set _ZN9rocsolver6v33100L18getri_kernel_smallILi19E19rocblas_complex_numIfEPS3_EEvT1_iilPiilS6_bb.num_agpr, 0
	.set _ZN9rocsolver6v33100L18getri_kernel_smallILi19E19rocblas_complex_numIfEPS3_EEvT1_iilPiilS6_bb.numbered_sgpr, 19
	.set _ZN9rocsolver6v33100L18getri_kernel_smallILi19E19rocblas_complex_numIfEPS3_EEvT1_iilPiilS6_bb.num_named_barrier, 0
	.set _ZN9rocsolver6v33100L18getri_kernel_smallILi19E19rocblas_complex_numIfEPS3_EEvT1_iilPiilS6_bb.private_seg_size, 160
	.set _ZN9rocsolver6v33100L18getri_kernel_smallILi19E19rocblas_complex_numIfEPS3_EEvT1_iilPiilS6_bb.uses_vcc, 1
	.set _ZN9rocsolver6v33100L18getri_kernel_smallILi19E19rocblas_complex_numIfEPS3_EEvT1_iilPiilS6_bb.uses_flat_scratch, 1
	.set _ZN9rocsolver6v33100L18getri_kernel_smallILi19E19rocblas_complex_numIfEPS3_EEvT1_iilPiilS6_bb.has_dyn_sized_stack, 0
	.set _ZN9rocsolver6v33100L18getri_kernel_smallILi19E19rocblas_complex_numIfEPS3_EEvT1_iilPiilS6_bb.has_recursion, 0
	.set _ZN9rocsolver6v33100L18getri_kernel_smallILi19E19rocblas_complex_numIfEPS3_EEvT1_iilPiilS6_bb.has_indirect_call, 0
	.section	.AMDGPU.csdata,"",@progbits
; Kernel info:
; codeLenInByte = 19124
; TotalNumSgprs: 21
; NumVgprs: 130
; ScratchSize: 160
; MemoryBound: 0
; FloatMode: 240
; IeeeMode: 1
; LDSByteSize: 312 bytes/workgroup (compile time only)
; SGPRBlocks: 0
; VGPRBlocks: 16
; NumSGPRsForWavesPerEU: 21
; NumVGPRsForWavesPerEU: 130
; Occupancy: 10
; WaveLimiterHint : 1
; COMPUTE_PGM_RSRC2:SCRATCH_EN: 1
; COMPUTE_PGM_RSRC2:USER_SGPR: 2
; COMPUTE_PGM_RSRC2:TRAP_HANDLER: 0
; COMPUTE_PGM_RSRC2:TGID_X_EN: 1
; COMPUTE_PGM_RSRC2:TGID_Y_EN: 0
; COMPUTE_PGM_RSRC2:TGID_Z_EN: 0
; COMPUTE_PGM_RSRC2:TIDIG_COMP_CNT: 0
	.section	.text._ZN9rocsolver6v33100L18getri_kernel_smallILi20E19rocblas_complex_numIfEPS3_EEvT1_iilPiilS6_bb,"axG",@progbits,_ZN9rocsolver6v33100L18getri_kernel_smallILi20E19rocblas_complex_numIfEPS3_EEvT1_iilPiilS6_bb,comdat
	.globl	_ZN9rocsolver6v33100L18getri_kernel_smallILi20E19rocblas_complex_numIfEPS3_EEvT1_iilPiilS6_bb ; -- Begin function _ZN9rocsolver6v33100L18getri_kernel_smallILi20E19rocblas_complex_numIfEPS3_EEvT1_iilPiilS6_bb
	.p2align	8
	.type	_ZN9rocsolver6v33100L18getri_kernel_smallILi20E19rocblas_complex_numIfEPS3_EEvT1_iilPiilS6_bb,@function
_ZN9rocsolver6v33100L18getri_kernel_smallILi20E19rocblas_complex_numIfEPS3_EEvT1_iilPiilS6_bb: ; @_ZN9rocsolver6v33100L18getri_kernel_smallILi20E19rocblas_complex_numIfEPS3_EEvT1_iilPiilS6_bb
; %bb.0:
	s_mov_b32 s2, exec_lo
	v_cmpx_gt_u32_e32 20, v0
	s_cbranch_execz .LBB19_94
; %bb.1:
	s_clause 0x2
	s_load_b32 s2, s[0:1], 0x38
	s_load_b128 s[12:15], s[0:1], 0x10
	s_load_b128 s[4:7], s[0:1], 0x28
	s_mov_b32 s16, ttmp9
	s_wait_kmcnt 0x0
	s_bitcmp1_b32 s2, 8
	s_cselect_b32 s18, -1, 0
	s_bfe_u32 s2, s2, 0x10008
	s_ashr_i32 s17, ttmp9, 31
	s_cmp_eq_u32 s2, 0
                                        ; implicit-def: $sgpr2_sgpr3
	s_cbranch_scc1 .LBB19_3
; %bb.2:
	s_load_b32 s2, s[0:1], 0x20
	s_mul_u64 s[4:5], s[4:5], s[16:17]
	s_delay_alu instid0(SALU_CYCLE_1) | instskip(NEXT) | instid1(SALU_CYCLE_1)
	s_lshl_b64 s[4:5], s[4:5], 2
	s_add_nc_u64 s[4:5], s[14:15], s[4:5]
	s_wait_kmcnt 0x0
	s_ashr_i32 s3, s2, 31
	s_delay_alu instid0(SALU_CYCLE_1) | instskip(NEXT) | instid1(SALU_CYCLE_1)
	s_lshl_b64 s[2:3], s[2:3], 2
	s_add_nc_u64 s[2:3], s[4:5], s[2:3]
.LBB19_3:
	s_clause 0x1
	s_load_b128 s[8:11], s[0:1], 0x0
	s_load_b32 s4, s[0:1], 0x38
	s_mul_u64 s[0:1], s[12:13], s[16:17]
	v_lshlrev_b32_e32 v47, 3, v0
	s_lshl_b64 s[0:1], s[0:1], 3
	s_wait_kmcnt 0x0
	v_add3_u32 v3, s11, s11, v0
	s_ashr_i32 s13, s10, 31
	s_mov_b32 s12, s10
	s_add_nc_u64 s[0:1], s[8:9], s[0:1]
	s_lshl_b64 s[12:13], s[12:13], 3
	v_add_nc_u32_e32 v5, s11, v3
	v_ashrrev_i32_e32 v4, 31, v3
	s_add_nc_u64 s[0:1], s[0:1], s[12:13]
	s_ashr_i32 s9, s11, 31
	v_add_co_u32 v1, s5, s0, v47
	v_add_nc_u32_e32 v9, s11, v5
	v_ashrrev_i32_e32 v6, 31, v5
	s_mov_b32 s8, s11
	v_lshlrev_b64_e32 v[7:8], 3, v[3:4]
	v_add_co_ci_u32_e64 v2, null, s1, 0, s5
	v_add_nc_u32_e32 v13, s11, v9
	s_lshl_b64 s[8:9], s[8:9], 3
	v_lshlrev_b64_e32 v[11:12], 3, v[5:6]
	v_add_co_u32 v3, vcc_lo, v1, s8
	s_delay_alu instid0(VALU_DEP_3)
	v_ashrrev_i32_e32 v14, 31, v13
	v_add_nc_u32_e32 v15, s11, v13
	v_add_co_ci_u32_e64 v4, null, s9, v2, vcc_lo
	v_add_co_u32 v5, vcc_lo, s0, v7
	s_wait_alu 0xfffd
	v_add_co_ci_u32_e64 v6, null, s1, v8, vcc_lo
	v_add_co_u32 v7, vcc_lo, s0, v11
	s_wait_alu 0xfffd
	v_add_co_ci_u32_e64 v8, null, s1, v12, vcc_lo
	v_lshlrev_b64_e32 v[11:12], 3, v[13:14]
	v_add_nc_u32_e32 v13, s11, v15
	v_ashrrev_i32_e32 v10, 31, v9
	v_ashrrev_i32_e32 v16, 31, v15
	global_load_b64 v[41:42], v47, s[0:1]
	s_bitcmp0_b32 s4, 0
	v_add_nc_u32_e32 v17, s11, v13
	v_lshlrev_b64_e32 v[9:10], 3, v[9:10]
	v_ashrrev_i32_e32 v14, 31, v13
	v_lshlrev_b64_e32 v[15:16], 3, v[15:16]
	s_delay_alu instid0(VALU_DEP_4)
	v_ashrrev_i32_e32 v18, 31, v17
	v_add_nc_u32_e32 v23, s11, v17
	v_add_co_u32 v9, vcc_lo, s0, v9
	v_lshlrev_b64_e32 v[19:20], 3, v[13:14]
	s_wait_alu 0xfffd
	v_add_co_ci_u32_e64 v10, null, s1, v10, vcc_lo
	v_add_co_u32 v11, vcc_lo, s0, v11
	v_lshlrev_b64_e32 v[21:22], 3, v[17:18]
	s_wait_alu 0xfffd
	v_add_co_ci_u32_e64 v12, null, s1, v12, vcc_lo
	v_add_co_u32 v13, vcc_lo, s0, v15
	s_wait_alu 0xfffd
	v_add_co_ci_u32_e64 v14, null, s1, v16, vcc_lo
	v_add_co_u32 v15, vcc_lo, s0, v19
	v_ashrrev_i32_e32 v24, 31, v23
	v_add_nc_u32_e32 v19, s11, v23
	s_wait_alu 0xfffd
	v_add_co_ci_u32_e64 v16, null, s1, v20, vcc_lo
	v_add_co_u32 v17, vcc_lo, s0, v21
	s_wait_alu 0xfffd
	v_add_co_ci_u32_e64 v18, null, s1, v22, vcc_lo
	v_lshlrev_b64_e32 v[21:22], 3, v[23:24]
	v_add_nc_u32_e32 v23, s11, v19
	v_ashrrev_i32_e32 v20, 31, v19
	s_clause 0x7
	global_load_b64 v[43:44], v[3:4], off
	global_load_b64 v[48:49], v[5:6], off
	;; [unrolled: 1-line block ×8, first 2 shown]
	v_add_nc_u32_e32 v27, s11, v23
	v_lshlrev_b64_e32 v[25:26], 3, v[19:20]
	v_add_co_u32 v19, vcc_lo, s0, v21
	s_wait_alu 0xfffd
	v_add_co_ci_u32_e64 v20, null, s1, v22, vcc_lo
	v_ashrrev_i32_e32 v28, 31, v27
	s_delay_alu instid0(VALU_DEP_4) | instskip(SKIP_2) | instid1(VALU_DEP_3)
	v_add_co_u32 v21, vcc_lo, s0, v25
	s_wait_alu 0xfffd
	v_add_co_ci_u32_e64 v22, null, s1, v26, vcc_lo
	v_lshlrev_b64_e32 v[25:26], 3, v[27:28]
	v_add_nc_u32_e32 v27, s11, v27
	v_ashrrev_i32_e32 v24, 31, v23
	s_delay_alu instid0(VALU_DEP_2) | instskip(SKIP_1) | instid1(VALU_DEP_3)
	v_add_nc_u32_e32 v29, s11, v27
	v_ashrrev_i32_e32 v28, 31, v27
	v_lshlrev_b64_e32 v[23:24], 3, v[23:24]
	s_delay_alu instid0(VALU_DEP_3) | instskip(SKIP_1) | instid1(VALU_DEP_4)
	v_add_nc_u32_e32 v31, s11, v29
	v_ashrrev_i32_e32 v30, 31, v29
	v_lshlrev_b64_e32 v[27:28], 3, v[27:28]
	s_delay_alu instid0(VALU_DEP_4) | instskip(NEXT) | instid1(VALU_DEP_4)
	v_add_co_u32 v23, vcc_lo, s0, v23
	v_add_nc_u32_e32 v33, s11, v31
	v_ashrrev_i32_e32 v32, 31, v31
	v_lshlrev_b64_e32 v[29:30], 3, v[29:30]
	s_wait_alu 0xfffd
	v_add_co_ci_u32_e64 v24, null, s1, v24, vcc_lo
	v_add_nc_u32_e32 v35, s11, v33
	v_ashrrev_i32_e32 v34, 31, v33
	v_add_co_u32 v25, vcc_lo, s0, v25
	v_lshlrev_b64_e32 v[31:32], 3, v[31:32]
	s_delay_alu instid0(VALU_DEP_4)
	v_add_nc_u32_e32 v37, s11, v35
	v_ashrrev_i32_e32 v36, 31, v35
	s_wait_alu 0xfffd
	v_add_co_ci_u32_e64 v26, null, s1, v26, vcc_lo
	v_add_co_u32 v27, vcc_lo, s0, v27
	v_add_nc_u32_e32 v39, s11, v37
	v_ashrrev_i32_e32 v38, 31, v37
	v_lshlrev_b64_e32 v[33:34], 3, v[33:34]
	s_wait_alu 0xfffd
	v_add_co_ci_u32_e64 v28, null, s1, v28, vcc_lo
	v_ashrrev_i32_e32 v40, 31, v39
	v_add_co_u32 v29, vcc_lo, s0, v29
	v_lshlrev_b64_e32 v[35:36], 3, v[35:36]
	s_wait_alu 0xfffd
	v_add_co_ci_u32_e64 v30, null, s1, v30, vcc_lo
	v_add_co_u32 v31, vcc_lo, s0, v31
	v_lshlrev_b64_e32 v[37:38], 3, v[37:38]
	s_wait_alu 0xfffd
	v_add_co_ci_u32_e64 v32, null, s1, v32, vcc_lo
	;; [unrolled: 4-line block ×3, first 2 shown]
	v_add_co_u32 v35, vcc_lo, s0, v35
	s_wait_alu 0xfffd
	v_add_co_ci_u32_e64 v36, null, s1, v36, vcc_lo
	v_add_co_u32 v37, vcc_lo, s0, v37
	s_wait_alu 0xfffd
	v_add_co_ci_u32_e64 v38, null, s1, v38, vcc_lo
	v_add_co_u32 v39, vcc_lo, s0, v39
	s_clause 0x3
	global_load_b64 v[62:63], v[19:20], off
	global_load_b64 v[64:65], v[21:22], off
	;; [unrolled: 1-line block ×4, first 2 shown]
	s_wait_alu 0xfffd
	v_add_co_ci_u32_e64 v40, null, s1, v40, vcc_lo
	s_clause 0x6
	global_load_b64 v[70:71], v[27:28], off
	global_load_b64 v[72:73], v[29:30], off
	;; [unrolled: 1-line block ×7, first 2 shown]
	s_mov_b32 s1, -1
	s_wait_loadcnt 0x12
	scratch_store_b128 off, v[41:44], off
	s_wait_loadcnt 0x10
	scratch_store_b128 off, v[48:51], off offset:16
	s_wait_loadcnt 0xe
	scratch_store_b128 off, v[52:55], off offset:32
	;; [unrolled: 2-line block ×9, first 2 shown]
	s_cbranch_scc1 .LBB19_92
; %bb.4:
	v_cmp_eq_u32_e64 s0, 0, v0
	s_and_saveexec_b32 s1, s0
; %bb.5:
	v_mov_b32_e32 v41, 0
	ds_store_b32 v41, v41 offset:320
; %bb.6:
	s_wait_alu 0xfffe
	s_or_b32 exec_lo, exec_lo, s1
	s_wait_storecnt_dscnt 0x0
	s_barrier_signal -1
	s_barrier_wait -1
	global_inv scope:SCOPE_SE
	scratch_load_b64 v[41:42], v47, off
	s_wait_loadcnt 0x0
	v_cmp_eq_f32_e32 vcc_lo, 0, v41
	v_cmp_eq_f32_e64 s1, 0, v42
	s_and_b32 s1, vcc_lo, s1
	s_wait_alu 0xfffe
	s_and_saveexec_b32 s4, s1
	s_cbranch_execz .LBB19_10
; %bb.7:
	v_mov_b32_e32 v41, 0
	s_mov_b32 s5, 0
	ds_load_b32 v42, v41 offset:320
	s_wait_dscnt 0x0
	v_readfirstlane_b32 s1, v42
	v_add_nc_u32_e32 v42, 1, v0
	s_cmp_eq_u32 s1, 0
	s_delay_alu instid0(VALU_DEP_1)
	v_cmp_gt_i32_e32 vcc_lo, s1, v42
	s_cselect_b32 s8, -1, 0
	s_wait_alu 0xfffe
	s_or_b32 s8, s8, vcc_lo
	s_wait_alu 0xfffe
	s_and_b32 exec_lo, exec_lo, s8
	s_cbranch_execz .LBB19_10
; %bb.8:
	v_mov_b32_e32 v43, s1
.LBB19_9:                               ; =>This Inner Loop Header: Depth=1
	ds_cmpstore_rtn_b32 v43, v41, v42, v43 offset:320
	s_wait_dscnt 0x0
	v_cmp_ne_u32_e32 vcc_lo, 0, v43
	v_cmp_le_i32_e64 s1, v43, v42
	s_and_b32 s1, vcc_lo, s1
	s_wait_alu 0xfffe
	s_and_b32 s1, exec_lo, s1
	s_wait_alu 0xfffe
	s_or_b32 s5, s1, s5
	s_wait_alu 0xfffe
	s_and_not1_b32 exec_lo, exec_lo, s5
	s_cbranch_execnz .LBB19_9
.LBB19_10:
	s_wait_alu 0xfffe
	s_or_b32 exec_lo, exec_lo, s4
	v_mov_b32_e32 v41, 0
	s_barrier_signal -1
	s_barrier_wait -1
	global_inv scope:SCOPE_SE
	ds_load_b32 v42, v41 offset:320
	s_and_saveexec_b32 s1, s0
	s_cbranch_execz .LBB19_12
; %bb.11:
	s_lshl_b64 s[4:5], s[16:17], 2
	s_wait_alu 0xfffe
	s_add_nc_u64 s[4:5], s[6:7], s[4:5]
	s_wait_dscnt 0x0
	global_store_b32 v41, v42, s[4:5]
.LBB19_12:
	s_wait_alu 0xfffe
	s_or_b32 exec_lo, exec_lo, s1
	s_wait_dscnt 0x0
	v_cmp_ne_u32_e32 vcc_lo, 0, v42
	s_mov_b32 s1, 0
	s_cbranch_vccnz .LBB19_92
; %bb.13:
	v_mov_b32_e32 v48, v47
                                        ; implicit-def: $vgpr43
                                        ; implicit-def: $vgpr45
	scratch_load_b64 v[41:42], v48, off
	s_wait_loadcnt 0x0
	v_cmp_ngt_f32_e64 s1, |v41|, |v42|
	s_wait_alu 0xfffe
	s_and_saveexec_b32 s4, s1
	s_wait_alu 0xfffe
	s_xor_b32 s1, exec_lo, s4
	s_cbranch_execz .LBB19_15
; %bb.14:
	v_div_scale_f32 v43, null, v42, v42, v41
	v_div_scale_f32 v46, vcc_lo, v41, v42, v41
	s_delay_alu instid0(VALU_DEP_2) | instskip(NEXT) | instid1(TRANS32_DEP_1)
	v_rcp_f32_e32 v44, v43
	v_fma_f32 v45, -v43, v44, 1.0
	s_delay_alu instid0(VALU_DEP_1) | instskip(NEXT) | instid1(VALU_DEP_1)
	v_fmac_f32_e32 v44, v45, v44
	v_mul_f32_e32 v45, v46, v44
	s_delay_alu instid0(VALU_DEP_1) | instskip(NEXT) | instid1(VALU_DEP_1)
	v_fma_f32 v49, -v43, v45, v46
	v_fmac_f32_e32 v45, v49, v44
	s_delay_alu instid0(VALU_DEP_1) | instskip(SKIP_1) | instid1(VALU_DEP_1)
	v_fma_f32 v43, -v43, v45, v46
	s_wait_alu 0xfffd
	v_div_fmas_f32 v43, v43, v44, v45
	s_delay_alu instid0(VALU_DEP_1) | instskip(NEXT) | instid1(VALU_DEP_1)
	v_div_fixup_f32 v43, v43, v42, v41
	v_fmac_f32_e32 v42, v41, v43
	s_delay_alu instid0(VALU_DEP_1) | instskip(NEXT) | instid1(VALU_DEP_1)
	v_div_scale_f32 v41, null, v42, v42, 1.0
	v_rcp_f32_e32 v44, v41
	s_delay_alu instid0(TRANS32_DEP_1) | instskip(NEXT) | instid1(VALU_DEP_1)
	v_fma_f32 v45, -v41, v44, 1.0
	v_fmac_f32_e32 v44, v45, v44
	v_div_scale_f32 v45, vcc_lo, 1.0, v42, 1.0
	s_delay_alu instid0(VALU_DEP_1) | instskip(NEXT) | instid1(VALU_DEP_1)
	v_mul_f32_e32 v46, v45, v44
	v_fma_f32 v49, -v41, v46, v45
	s_delay_alu instid0(VALU_DEP_1) | instskip(NEXT) | instid1(VALU_DEP_1)
	v_fmac_f32_e32 v46, v49, v44
	v_fma_f32 v41, -v41, v46, v45
	s_wait_alu 0xfffd
	s_delay_alu instid0(VALU_DEP_1) | instskip(NEXT) | instid1(VALU_DEP_1)
	v_div_fmas_f32 v41, v41, v44, v46
	v_div_fixup_f32 v41, v41, v42, 1.0
	s_delay_alu instid0(VALU_DEP_1) | instskip(SKIP_1) | instid1(VALU_DEP_2)
	v_mul_f32_e32 v43, v43, v41
	v_xor_b32_e32 v44, 0x80000000, v41
                                        ; implicit-def: $vgpr41_vgpr42
	v_xor_b32_e32 v45, 0x80000000, v43
.LBB19_15:
	s_wait_alu 0xfffe
	s_and_not1_saveexec_b32 s1, s1
	s_cbranch_execz .LBB19_17
; %bb.16:
	v_div_scale_f32 v43, null, v41, v41, v42
	v_div_scale_f32 v46, vcc_lo, v42, v41, v42
	s_delay_alu instid0(VALU_DEP_2) | instskip(NEXT) | instid1(TRANS32_DEP_1)
	v_rcp_f32_e32 v44, v43
	v_fma_f32 v45, -v43, v44, 1.0
	s_delay_alu instid0(VALU_DEP_1) | instskip(NEXT) | instid1(VALU_DEP_1)
	v_fmac_f32_e32 v44, v45, v44
	v_mul_f32_e32 v45, v46, v44
	s_delay_alu instid0(VALU_DEP_1) | instskip(NEXT) | instid1(VALU_DEP_1)
	v_fma_f32 v49, -v43, v45, v46
	v_fmac_f32_e32 v45, v49, v44
	s_delay_alu instid0(VALU_DEP_1) | instskip(SKIP_1) | instid1(VALU_DEP_1)
	v_fma_f32 v43, -v43, v45, v46
	s_wait_alu 0xfffd
	v_div_fmas_f32 v43, v43, v44, v45
	s_delay_alu instid0(VALU_DEP_1) | instskip(NEXT) | instid1(VALU_DEP_1)
	v_div_fixup_f32 v44, v43, v41, v42
	v_fmac_f32_e32 v41, v42, v44
	s_delay_alu instid0(VALU_DEP_1) | instskip(SKIP_1) | instid1(VALU_DEP_2)
	v_div_scale_f32 v42, null, v41, v41, 1.0
	v_div_scale_f32 v46, vcc_lo, 1.0, v41, 1.0
	v_rcp_f32_e32 v43, v42
	s_delay_alu instid0(TRANS32_DEP_1) | instskip(NEXT) | instid1(VALU_DEP_1)
	v_fma_f32 v45, -v42, v43, 1.0
	v_fmac_f32_e32 v43, v45, v43
	s_delay_alu instid0(VALU_DEP_1) | instskip(NEXT) | instid1(VALU_DEP_1)
	v_mul_f32_e32 v45, v46, v43
	v_fma_f32 v49, -v42, v45, v46
	s_delay_alu instid0(VALU_DEP_1) | instskip(NEXT) | instid1(VALU_DEP_1)
	v_fmac_f32_e32 v45, v49, v43
	v_fma_f32 v42, -v42, v45, v46
	s_wait_alu 0xfffd
	s_delay_alu instid0(VALU_DEP_1) | instskip(NEXT) | instid1(VALU_DEP_1)
	v_div_fmas_f32 v42, v42, v43, v45
	v_div_fixup_f32 v43, v42, v41, 1.0
	s_delay_alu instid0(VALU_DEP_1)
	v_xor_b32_e32 v45, 0x80000000, v43
	v_mul_f32_e64 v44, v44, -v43
.LBB19_17:
	s_wait_alu 0xfffe
	s_or_b32 exec_lo, exec_lo, s1
	scratch_store_b64 v48, v[43:44], off
	scratch_load_b64 v[42:43], off, off offset:8
	v_xor_b32_e32 v46, 0x80000000, v44
	v_add_nc_u32_e32 v41, 0xa0, v47
	s_wait_loadcnt 0x0
	ds_store_2addr_b64 v47, v[45:46], v[42:43] offset1:20
	s_wait_storecnt_dscnt 0x0
	s_barrier_signal -1
	s_barrier_wait -1
	global_inv scope:SCOPE_SE
	s_and_saveexec_b32 s1, s0
	s_cbranch_execz .LBB19_19
; %bb.18:
	scratch_load_b64 v[42:43], v48, off
	ds_load_b64 v[44:45], v41
	v_mov_b32_e32 v46, 0
	ds_load_b64 v[49:50], v46 offset:8
	s_wait_loadcnt_dscnt 0x1
	v_mul_f32_e32 v46, v44, v43
	v_mul_f32_e32 v43, v45, v43
	s_delay_alu instid0(VALU_DEP_2) | instskip(NEXT) | instid1(VALU_DEP_2)
	v_fmac_f32_e32 v46, v45, v42
	v_fma_f32 v42, v44, v42, -v43
	s_delay_alu instid0(VALU_DEP_2) | instskip(NEXT) | instid1(VALU_DEP_2)
	v_add_f32_e32 v44, 0, v46
	v_add_f32_e32 v42, 0, v42
	s_wait_dscnt 0x0
	s_delay_alu instid0(VALU_DEP_2) | instskip(NEXT) | instid1(VALU_DEP_2)
	v_mul_f32_e32 v45, v44, v50
	v_mul_f32_e32 v43, v42, v50
	s_delay_alu instid0(VALU_DEP_2) | instskip(NEXT) | instid1(VALU_DEP_2)
	v_fma_f32 v42, v42, v49, -v45
	v_fmac_f32_e32 v43, v44, v49
	scratch_store_b64 off, v[42:43], off offset:8
.LBB19_19:
	s_wait_alu 0xfffe
	s_or_b32 exec_lo, exec_lo, s1
	s_wait_loadcnt 0x0
	s_wait_storecnt 0x0
	s_barrier_signal -1
	s_barrier_wait -1
	global_inv scope:SCOPE_SE
	scratch_load_b64 v[42:43], off, off offset:16
	s_mov_b32 s1, exec_lo
	s_wait_loadcnt 0x0
	ds_store_b64 v41, v[42:43]
	s_wait_dscnt 0x0
	s_barrier_signal -1
	s_barrier_wait -1
	global_inv scope:SCOPE_SE
	v_cmpx_gt_u32_e32 2, v0
	s_cbranch_execz .LBB19_23
; %bb.20:
	scratch_load_b64 v[42:43], v48, off
	ds_load_b64 v[44:45], v41
	s_wait_loadcnt_dscnt 0x0
	v_mul_f32_e32 v46, v45, v43
	v_mul_f32_e32 v49, v44, v43
	s_delay_alu instid0(VALU_DEP_2) | instskip(NEXT) | instid1(VALU_DEP_2)
	v_fma_f32 v43, v44, v42, -v46
	v_fmac_f32_e32 v49, v45, v42
	s_delay_alu instid0(VALU_DEP_1)
	v_dual_add_f32 v43, 0, v43 :: v_dual_add_f32 v42, 0, v49
	s_and_saveexec_b32 s4, s0
	s_cbranch_execz .LBB19_22
; %bb.21:
	scratch_load_b64 v[44:45], off, off offset:8
	v_mov_b32_e32 v46, 0
	ds_load_b64 v[49:50], v46 offset:168
	s_wait_loadcnt_dscnt 0x0
	v_mul_f32_e32 v46, v49, v45
	v_mul_f32_e32 v45, v50, v45
	s_delay_alu instid0(VALU_DEP_2) | instskip(NEXT) | instid1(VALU_DEP_2)
	v_fmac_f32_e32 v46, v50, v44
	v_fma_f32 v44, v49, v44, -v45
	s_delay_alu instid0(VALU_DEP_1)
	v_dual_add_f32 v42, v42, v46 :: v_dual_add_f32 v43, v43, v44
.LBB19_22:
	s_wait_alu 0xfffe
	s_or_b32 exec_lo, exec_lo, s4
	v_mov_b32_e32 v44, 0
	ds_load_b64 v[44:45], v44 offset:16
	s_wait_dscnt 0x0
	v_mul_f32_e32 v49, v42, v45
	v_mul_f32_e32 v46, v43, v45
	s_delay_alu instid0(VALU_DEP_2) | instskip(NEXT) | instid1(VALU_DEP_2)
	v_fma_f32 v45, v43, v44, -v49
	v_fmac_f32_e32 v46, v42, v44
	scratch_store_b64 off, v[45:46], off offset:16
.LBB19_23:
	s_wait_alu 0xfffe
	s_or_b32 exec_lo, exec_lo, s1
	s_wait_loadcnt 0x0
	s_wait_storecnt 0x0
	s_barrier_signal -1
	s_barrier_wait -1
	global_inv scope:SCOPE_SE
	scratch_load_b64 v[43:44], off, off offset:24
	v_add_nc_u32_e32 v42, -1, v0
	s_mov_b32 s0, exec_lo
	s_wait_loadcnt 0x0
	ds_store_b64 v41, v[43:44]
	s_wait_dscnt 0x0
	s_barrier_signal -1
	s_barrier_wait -1
	global_inv scope:SCOPE_SE
	v_cmpx_gt_u32_e32 3, v0
	s_cbranch_execz .LBB19_27
; %bb.24:
	v_dual_mov_b32 v43, 0 :: v_dual_add_nc_u32 v44, -1, v0
	v_dual_mov_b32 v46, v47 :: v_dual_add_nc_u32 v45, 0xa0, v47
	v_mov_b32_e32 v49, 0
	s_mov_b32 s1, 0
.LBB19_25:                              ; =>This Inner Loop Header: Depth=1
	scratch_load_b64 v[50:51], v46, off
	ds_load_b64 v[52:53], v45
	v_add_nc_u32_e32 v44, 1, v44
	v_add_nc_u32_e32 v45, 8, v45
	s_delay_alu instid0(VALU_DEP_2)
	v_cmp_lt_u32_e32 vcc_lo, 1, v44
	s_wait_alu 0xfffe
	s_or_b32 s1, vcc_lo, s1
	s_wait_loadcnt_dscnt 0x0
	v_mul_f32_e32 v54, v53, v51
	v_mul_f32_e32 v51, v52, v51
	s_delay_alu instid0(VALU_DEP_2) | instskip(NEXT) | instid1(VALU_DEP_2)
	v_fma_f32 v52, v52, v50, -v54
	v_fmac_f32_e32 v51, v53, v50
	s_delay_alu instid0(VALU_DEP_2) | instskip(NEXT) | instid1(VALU_DEP_2)
	v_dual_add_f32 v49, v49, v52 :: v_dual_add_nc_u32 v46, 8, v46
	v_add_f32_e32 v43, v43, v51
	s_wait_alu 0xfffe
	s_and_not1_b32 exec_lo, exec_lo, s1
	s_cbranch_execnz .LBB19_25
; %bb.26:
	s_or_b32 exec_lo, exec_lo, s1
	v_mov_b32_e32 v44, 0
	ds_load_b64 v[44:45], v44 offset:24
	s_wait_dscnt 0x0
	v_mul_f32_e32 v50, v43, v45
	v_mul_f32_e32 v46, v49, v45
	s_delay_alu instid0(VALU_DEP_2) | instskip(NEXT) | instid1(VALU_DEP_2)
	v_fma_f32 v45, v49, v44, -v50
	v_fmac_f32_e32 v46, v43, v44
	scratch_store_b64 off, v[45:46], off offset:24
.LBB19_27:
	s_wait_alu 0xfffe
	s_or_b32 exec_lo, exec_lo, s0
	s_wait_loadcnt 0x0
	s_wait_storecnt 0x0
	s_barrier_signal -1
	s_barrier_wait -1
	global_inv scope:SCOPE_SE
	scratch_load_b64 v[43:44], off, off offset:32
	s_mov_b32 s0, exec_lo
	s_wait_loadcnt 0x0
	ds_store_b64 v41, v[43:44]
	s_wait_dscnt 0x0
	s_barrier_signal -1
	s_barrier_wait -1
	global_inv scope:SCOPE_SE
	v_cmpx_gt_u32_e32 4, v0
	s_cbranch_execz .LBB19_31
; %bb.28:
	v_dual_mov_b32 v43, 0 :: v_dual_add_nc_u32 v44, -1, v0
	v_dual_mov_b32 v46, v47 :: v_dual_add_nc_u32 v45, 0xa0, v47
	v_mov_b32_e32 v49, 0
	s_mov_b32 s1, 0
.LBB19_29:                              ; =>This Inner Loop Header: Depth=1
	scratch_load_b64 v[50:51], v46, off
	ds_load_b64 v[52:53], v45
	v_add_nc_u32_e32 v44, 1, v44
	v_add_nc_u32_e32 v45, 8, v45
	s_delay_alu instid0(VALU_DEP_2)
	v_cmp_lt_u32_e32 vcc_lo, 2, v44
	s_wait_alu 0xfffe
	s_or_b32 s1, vcc_lo, s1
	s_wait_loadcnt_dscnt 0x0
	v_mul_f32_e32 v54, v53, v51
	v_mul_f32_e32 v51, v52, v51
	s_delay_alu instid0(VALU_DEP_2) | instskip(NEXT) | instid1(VALU_DEP_2)
	v_fma_f32 v52, v52, v50, -v54
	v_fmac_f32_e32 v51, v53, v50
	s_delay_alu instid0(VALU_DEP_2) | instskip(NEXT) | instid1(VALU_DEP_2)
	v_dual_add_f32 v49, v49, v52 :: v_dual_add_nc_u32 v46, 8, v46
	v_add_f32_e32 v43, v43, v51
	s_wait_alu 0xfffe
	s_and_not1_b32 exec_lo, exec_lo, s1
	s_cbranch_execnz .LBB19_29
; %bb.30:
	s_or_b32 exec_lo, exec_lo, s1
	v_mov_b32_e32 v44, 0
	ds_load_b64 v[44:45], v44 offset:32
	s_wait_dscnt 0x0
	v_mul_f32_e32 v50, v43, v45
	v_mul_f32_e32 v46, v49, v45
	s_delay_alu instid0(VALU_DEP_2) | instskip(NEXT) | instid1(VALU_DEP_2)
	v_fma_f32 v45, v49, v44, -v50
	v_fmac_f32_e32 v46, v43, v44
	scratch_store_b64 off, v[45:46], off offset:32
.LBB19_31:
	s_wait_alu 0xfffe
	s_or_b32 exec_lo, exec_lo, s0
	s_wait_loadcnt 0x0
	s_wait_storecnt 0x0
	s_barrier_signal -1
	s_barrier_wait -1
	global_inv scope:SCOPE_SE
	scratch_load_b64 v[43:44], off, off offset:40
	;; [unrolled: 55-line block ×15, first 2 shown]
	s_mov_b32 s0, exec_lo
	s_wait_loadcnt 0x0
	ds_store_b64 v41, v[43:44]
	s_wait_dscnt 0x0
	s_barrier_signal -1
	s_barrier_wait -1
	global_inv scope:SCOPE_SE
	v_cmpx_gt_u32_e32 18, v0
	s_cbranch_execz .LBB19_87
; %bb.84:
	v_dual_mov_b32 v43, 0 :: v_dual_add_nc_u32 v44, -1, v0
	v_dual_mov_b32 v46, v47 :: v_dual_add_nc_u32 v45, 0xa0, v47
	v_mov_b32_e32 v47, 0
	s_mov_b32 s1, 0
.LBB19_85:                              ; =>This Inner Loop Header: Depth=1
	scratch_load_b64 v[49:50], v46, off
	ds_load_b64 v[51:52], v45
	v_add_nc_u32_e32 v46, 8, v46
	v_add_nc_u32_e32 v44, 1, v44
	;; [unrolled: 1-line block ×3, first 2 shown]
	s_delay_alu instid0(VALU_DEP_2)
	v_cmp_lt_u32_e32 vcc_lo, 16, v44
	s_wait_alu 0xfffe
	s_or_b32 s1, vcc_lo, s1
	s_wait_loadcnt_dscnt 0x0
	v_mul_f32_e32 v53, v52, v50
	v_mul_f32_e32 v50, v51, v50
	s_delay_alu instid0(VALU_DEP_2) | instskip(NEXT) | instid1(VALU_DEP_1)
	v_fma_f32 v51, v51, v49, -v53
	v_dual_fmac_f32 v50, v52, v49 :: v_dual_add_f32 v47, v47, v51
	s_delay_alu instid0(VALU_DEP_1)
	v_add_f32_e32 v43, v43, v50
	s_wait_alu 0xfffe
	s_and_not1_b32 exec_lo, exec_lo, s1
	s_cbranch_execnz .LBB19_85
; %bb.86:
	s_or_b32 exec_lo, exec_lo, s1
	v_mov_b32_e32 v44, 0
	ds_load_b64 v[44:45], v44 offset:144
	s_wait_dscnt 0x0
	v_mul_f32_e32 v49, v43, v45
	v_mul_f32_e32 v46, v47, v45
	s_delay_alu instid0(VALU_DEP_2) | instskip(NEXT) | instid1(VALU_DEP_2)
	v_fma_f32 v45, v47, v44, -v49
	v_fmac_f32_e32 v46, v43, v44
	scratch_store_b64 off, v[45:46], off offset:144
.LBB19_87:
	s_wait_alu 0xfffe
	s_or_b32 exec_lo, exec_lo, s0
	s_wait_loadcnt 0x0
	s_wait_storecnt 0x0
	s_barrier_signal -1
	s_barrier_wait -1
	global_inv scope:SCOPE_SE
	scratch_load_b64 v[43:44], off, off offset:152
	s_mov_b32 s0, exec_lo
	s_wait_loadcnt 0x0
	ds_store_b64 v41, v[43:44]
	s_wait_dscnt 0x0
	s_barrier_signal -1
	s_barrier_wait -1
	global_inv scope:SCOPE_SE
	v_cmpx_ne_u32_e32 19, v0
	s_cbranch_execz .LBB19_91
; %bb.88:
	v_dual_mov_b32 v43, 0 :: v_dual_mov_b32 v44, 0
	s_mov_b32 s1, 0
.LBB19_89:                              ; =>This Inner Loop Header: Depth=1
	scratch_load_b64 v[45:46], v48, off
	ds_load_b64 v[49:50], v41
	v_add_nc_u32_e32 v42, 1, v42
	v_add_nc_u32_e32 v41, 8, v41
	;; [unrolled: 1-line block ×3, first 2 shown]
	s_delay_alu instid0(VALU_DEP_3)
	v_cmp_lt_u32_e32 vcc_lo, 17, v42
	s_wait_alu 0xfffe
	s_or_b32 s1, vcc_lo, s1
	s_wait_loadcnt_dscnt 0x0
	v_mul_f32_e32 v47, v50, v46
	v_mul_f32_e32 v46, v49, v46
	s_delay_alu instid0(VALU_DEP_2) | instskip(NEXT) | instid1(VALU_DEP_2)
	v_fma_f32 v47, v49, v45, -v47
	v_fmac_f32_e32 v46, v50, v45
	s_delay_alu instid0(VALU_DEP_1)
	v_dual_add_f32 v44, v44, v47 :: v_dual_add_f32 v43, v43, v46
	s_wait_alu 0xfffe
	s_and_not1_b32 exec_lo, exec_lo, s1
	s_cbranch_execnz .LBB19_89
; %bb.90:
	s_or_b32 exec_lo, exec_lo, s1
	v_mov_b32_e32 v41, 0
	ds_load_b64 v[41:42], v41 offset:152
	s_wait_dscnt 0x0
	v_mul_f32_e32 v46, v43, v42
	v_mul_f32_e32 v45, v44, v42
	s_delay_alu instid0(VALU_DEP_2) | instskip(NEXT) | instid1(VALU_DEP_2)
	v_fma_f32 v44, v44, v41, -v46
	v_fmac_f32_e32 v45, v43, v41
	scratch_store_b64 off, v[44:45], off offset:152
.LBB19_91:
	s_wait_alu 0xfffe
	s_or_b32 exec_lo, exec_lo, s0
	s_mov_b32 s1, -1
	s_wait_loadcnt 0x0
	s_wait_storecnt 0x0
	s_barrier_signal -1
	s_barrier_wait -1
	global_inv scope:SCOPE_SE
.LBB19_92:
	s_wait_alu 0xfffe
	s_and_b32 vcc_lo, exec_lo, s1
	s_wait_alu 0xfffe
	s_cbranch_vccz .LBB19_94
; %bb.93:
	v_mov_b32_e32 v41, 0
	s_lshl_b64 s[0:1], s[16:17], 2
	s_wait_alu 0xfffe
	s_add_nc_u64 s[0:1], s[6:7], s[0:1]
	global_load_b32 v41, v41, s[0:1]
	s_wait_loadcnt 0x0
	v_cmp_ne_u32_e32 vcc_lo, 0, v41
	s_cbranch_vccz .LBB19_95
.LBB19_94:
	s_nop 0
	s_sendmsg sendmsg(MSG_DEALLOC_VGPRS)
	s_endpgm
.LBB19_95:
	v_lshl_add_u32 v43, v0, 3, 0xa0
	s_mov_b32 s0, exec_lo
	v_cmpx_eq_u32_e32 19, v0
	s_cbranch_execz .LBB19_97
; %bb.96:
	scratch_load_b64 v[41:42], off, off offset:144
	v_mov_b32_e32 v44, 0
	s_delay_alu instid0(VALU_DEP_1)
	v_mov_b32_e32 v45, v44
	scratch_store_b64 off, v[44:45], off offset:144
	s_wait_loadcnt 0x0
	ds_store_b64 v43, v[41:42]
.LBB19_97:
	s_wait_alu 0xfffe
	s_or_b32 exec_lo, exec_lo, s0
	s_wait_storecnt_dscnt 0x0
	s_barrier_signal -1
	s_barrier_wait -1
	global_inv scope:SCOPE_SE
	s_clause 0x1
	scratch_load_b64 v[44:45], off, off offset:152
	scratch_load_b64 v[46:47], off, off offset:144
	v_mov_b32_e32 v41, 0
	s_mov_b32 s0, exec_lo
	ds_load_b64 v[48:49], v41 offset:312
	s_wait_loadcnt_dscnt 0x100
	v_mul_f32_e32 v42, v49, v45
	s_delay_alu instid0(VALU_DEP_1) | instskip(NEXT) | instid1(VALU_DEP_1)
	v_fma_f32 v42, v48, v44, -v42
	v_dual_mul_f32 v45, v48, v45 :: v_dual_add_f32 v42, 0, v42
	s_wait_loadcnt 0x0
	s_delay_alu instid0(VALU_DEP_1) | instskip(NEXT) | instid1(VALU_DEP_1)
	v_dual_fmac_f32 v45, v49, v44 :: v_dual_sub_f32 v44, v46, v42
	v_add_f32_e32 v45, 0, v45
	s_delay_alu instid0(VALU_DEP_1)
	v_sub_f32_e32 v45, v47, v45
	scratch_store_b64 off, v[44:45], off offset:144
	v_cmpx_lt_u32_e32 17, v0
	s_cbranch_execz .LBB19_99
; %bb.98:
	scratch_load_b64 v[44:45], off, off offset:136
	v_mov_b32_e32 v42, v41
	scratch_store_b64 off, v[41:42], off offset:136
	s_wait_loadcnt 0x0
	ds_store_b64 v43, v[44:45]
.LBB19_99:
	s_wait_alu 0xfffe
	s_or_b32 exec_lo, exec_lo, s0
	s_wait_storecnt_dscnt 0x0
	s_barrier_signal -1
	s_barrier_wait -1
	global_inv scope:SCOPE_SE
	s_clause 0x1
	scratch_load_b128 v[44:47], off, off offset:144
	scratch_load_b64 v[52:53], off, off offset:136
	ds_load_b128 v[48:51], v41 offset:304
	s_mov_b32 s0, exec_lo
	s_wait_loadcnt_dscnt 0x100
	v_mul_f32_e32 v42, v48, v45
	s_delay_alu instid0(VALU_DEP_1) | instskip(SKIP_2) | instid1(VALU_DEP_1)
	v_fmac_f32_e32 v42, v49, v44
	v_mul_f32_e32 v41, v49, v45
	v_mul_f32_e32 v45, v50, v47
	v_fmac_f32_e32 v45, v51, v46
	s_delay_alu instid0(VALU_DEP_4) | instskip(NEXT) | instid1(VALU_DEP_4)
	v_dual_add_f32 v42, 0, v42 :: v_dual_mul_f32 v47, v51, v47
	v_fma_f32 v41, v48, v44, -v41
	s_delay_alu instid0(VALU_DEP_2) | instskip(NEXT) | instid1(VALU_DEP_3)
	v_add_f32_e32 v42, v42, v45
	v_fma_f32 v44, v50, v46, -v47
	s_wait_loadcnt 0x0
	s_delay_alu instid0(VALU_DEP_2) | instskip(NEXT) | instid1(VALU_DEP_1)
	v_dual_add_f32 v41, 0, v41 :: v_dual_sub_f32 v42, v53, v42
	v_add_f32_e32 v41, v41, v44
	s_delay_alu instid0(VALU_DEP_1)
	v_sub_f32_e32 v41, v52, v41
	scratch_store_b64 off, v[41:42], off offset:136
	v_cmpx_lt_u32_e32 16, v0
	s_cbranch_execz .LBB19_101
; %bb.100:
	scratch_load_b64 v[41:42], off, off offset:128
	v_mov_b32_e32 v44, 0
	s_delay_alu instid0(VALU_DEP_1)
	v_mov_b32_e32 v45, v44
	scratch_store_b64 off, v[44:45], off offset:128
	s_wait_loadcnt 0x0
	ds_store_b64 v43, v[41:42]
.LBB19_101:
	s_wait_alu 0xfffe
	s_or_b32 exec_lo, exec_lo, s0
	s_wait_storecnt_dscnt 0x0
	s_barrier_signal -1
	s_barrier_wait -1
	global_inv scope:SCOPE_SE
	s_clause 0x2
	scratch_load_b128 v[44:47], off, off offset:136
	scratch_load_b64 v[52:53], off, off offset:152
	scratch_load_b64 v[54:55], off, off offset:128
	v_mov_b32_e32 v41, 0
	ds_load_2addr_b64 v[48:51], v41 offset0:37 offset1:38
	ds_load_b64 v[56:57], v41 offset:312
	s_mov_b32 s0, exec_lo
	s_wait_loadcnt_dscnt 0x201
	v_mul_f32_e32 v42, v49, v45
	v_dual_mul_f32 v45, v48, v45 :: v_dual_mul_f32 v58, v50, v47
	v_mul_f32_e32 v47, v51, v47
	s_wait_loadcnt_dscnt 0x100
	v_mul_f32_e32 v59, v56, v53
	v_fma_f32 v42, v48, v44, -v42
	v_fmac_f32_e32 v45, v49, v44
	v_mul_f32_e32 v44, v57, v53
	v_fmac_f32_e32 v58, v51, v46
	v_fma_f32 v46, v50, v46, -v47
	s_delay_alu instid0(VALU_DEP_4) | instskip(NEXT) | instid1(VALU_DEP_4)
	v_dual_add_f32 v42, 0, v42 :: v_dual_add_f32 v45, 0, v45
	v_fma_f32 v44, v56, v52, -v44
	s_delay_alu instid0(VALU_DEP_2) | instskip(NEXT) | instid1(VALU_DEP_1)
	v_add_f32_e32 v42, v42, v46
	v_dual_add_f32 v45, v45, v58 :: v_dual_add_f32 v42, v42, v44
	s_wait_loadcnt 0x0
	s_delay_alu instid0(VALU_DEP_1) | instskip(NEXT) | instid1(VALU_DEP_1)
	v_dual_fmac_f32 v59, v57, v52 :: v_dual_sub_f32 v44, v54, v42
	v_add_f32_e32 v45, v45, v59
	s_delay_alu instid0(VALU_DEP_1)
	v_sub_f32_e32 v45, v55, v45
	scratch_store_b64 off, v[44:45], off offset:128
	v_cmpx_lt_u32_e32 15, v0
	s_cbranch_execz .LBB19_103
; %bb.102:
	scratch_load_b64 v[44:45], off, off offset:120
	v_mov_b32_e32 v42, v41
	scratch_store_b64 off, v[41:42], off offset:120
	s_wait_loadcnt 0x0
	ds_store_b64 v43, v[44:45]
.LBB19_103:
	s_wait_alu 0xfffe
	s_or_b32 exec_lo, exec_lo, s0
	s_wait_storecnt_dscnt 0x0
	s_barrier_signal -1
	s_barrier_wait -1
	global_inv scope:SCOPE_SE
	s_clause 0x2
	scratch_load_b128 v[44:47], off, off offset:128
	scratch_load_b128 v[48:51], off, off offset:144
	scratch_load_b64 v[60:61], off, off offset:120
	ds_load_b128 v[52:55], v41 offset:288
	ds_load_b128 v[56:59], v41 offset:304
	s_mov_b32 s0, exec_lo
	s_wait_loadcnt_dscnt 0x201
	v_mul_f32_e32 v42, v53, v45
	s_wait_loadcnt_dscnt 0x100
	v_dual_mul_f32 v62, v56, v49 :: v_dual_mul_f32 v63, v58, v51
	s_delay_alu instid0(VALU_DEP_2) | instskip(SKIP_2) | instid1(VALU_DEP_4)
	v_fma_f32 v42, v52, v44, -v42
	v_mul_f32_e32 v41, v52, v45
	v_mul_f32_e32 v45, v54, v47
	v_dual_mul_f32 v47, v55, v47 :: v_dual_fmac_f32 v62, v57, v48
	s_delay_alu instid0(VALU_DEP_3) | instskip(NEXT) | instid1(VALU_DEP_3)
	v_dual_add_f32 v42, 0, v42 :: v_dual_fmac_f32 v41, v53, v44
	v_dual_mul_f32 v44, v57, v49 :: v_dual_fmac_f32 v45, v55, v46
	s_delay_alu instid0(VALU_DEP_3) | instskip(SKIP_1) | instid1(VALU_DEP_3)
	v_fma_f32 v46, v54, v46, -v47
	v_fmac_f32_e32 v63, v59, v50
	v_fma_f32 v44, v56, v48, -v44
	s_delay_alu instid0(VALU_DEP_3) | instskip(NEXT) | instid1(VALU_DEP_1)
	v_dual_add_f32 v42, v42, v46 :: v_dual_add_f32 v41, 0, v41
	v_dual_add_f32 v42, v42, v44 :: v_dual_mul_f32 v47, v59, v51
	s_delay_alu instid0(VALU_DEP_2) | instskip(NEXT) | instid1(VALU_DEP_2)
	v_add_f32_e32 v41, v41, v45
	v_fma_f32 v45, v58, v50, -v47
	s_delay_alu instid0(VALU_DEP_1) | instskip(SKIP_1) | instid1(VALU_DEP_1)
	v_dual_add_f32 v41, v41, v62 :: v_dual_add_f32 v42, v42, v45
	s_wait_loadcnt 0x0
	v_dual_add_f32 v44, v41, v63 :: v_dual_sub_f32 v41, v60, v42
	s_delay_alu instid0(VALU_DEP_1)
	v_sub_f32_e32 v42, v61, v44
	scratch_store_b64 off, v[41:42], off offset:120
	v_cmpx_lt_u32_e32 14, v0
	s_cbranch_execz .LBB19_105
; %bb.104:
	scratch_load_b64 v[41:42], off, off offset:112
	v_mov_b32_e32 v44, 0
	s_delay_alu instid0(VALU_DEP_1)
	v_mov_b32_e32 v45, v44
	scratch_store_b64 off, v[44:45], off offset:112
	s_wait_loadcnt 0x0
	ds_store_b64 v43, v[41:42]
.LBB19_105:
	s_wait_alu 0xfffe
	s_or_b32 exec_lo, exec_lo, s0
	s_wait_storecnt_dscnt 0x0
	s_barrier_signal -1
	s_barrier_wait -1
	global_inv scope:SCOPE_SE
	s_clause 0x3
	scratch_load_b128 v[44:47], off, off offset:120
	scratch_load_b128 v[48:51], off, off offset:136
	scratch_load_b64 v[60:61], off, off offset:152
	scratch_load_b64 v[62:63], off, off offset:112
	v_mov_b32_e32 v41, 0
	ds_load_2addr_b64 v[52:55], v41 offset0:35 offset1:36
	ds_load_2addr_b64 v[56:59], v41 offset0:37 offset1:38
	ds_load_b64 v[64:65], v41 offset:312
	s_mov_b32 s0, exec_lo
	s_wait_loadcnt_dscnt 0x302
	v_mul_f32_e32 v42, v52, v45
	v_dual_mul_f32 v66, v54, v47 :: v_dual_mul_f32 v45, v53, v45
	s_wait_loadcnt_dscnt 0x100
	v_mul_f32_e32 v69, v64, v61
	v_dual_mul_f32 v67, v56, v49 :: v_dual_mul_f32 v68, v58, v51
	v_dual_fmac_f32 v42, v53, v44 :: v_dual_mul_f32 v47, v55, v47
	v_fma_f32 v45, v52, v44, -v45
	v_fmac_f32_e32 v66, v55, v46
	v_mul_f32_e32 v44, v57, v49
	s_delay_alu instid0(VALU_DEP_4) | instskip(SKIP_3) | instid1(VALU_DEP_4)
	v_add_f32_e32 v42, 0, v42
	v_fma_f32 v46, v54, v46, -v47
	v_add_f32_e32 v45, 0, v45
	v_mul_f32_e32 v47, v59, v51
	v_dual_fmac_f32 v67, v57, v48 :: v_dual_add_f32 v42, v42, v66
	v_dual_fmac_f32 v68, v59, v50 :: v_dual_fmac_f32 v69, v65, v60
	s_delay_alu instid0(VALU_DEP_4) | instskip(SKIP_1) | instid1(VALU_DEP_4)
	v_add_f32_e32 v45, v45, v46
	v_fma_f32 v44, v56, v48, -v44
	v_add_f32_e32 v42, v42, v67
	v_fma_f32 v47, v58, v50, -v47
	s_delay_alu instid0(VALU_DEP_3) | instskip(NEXT) | instid1(VALU_DEP_3)
	v_add_f32_e32 v44, v45, v44
	v_add_f32_e32 v42, v42, v68
	s_delay_alu instid0(VALU_DEP_2) | instskip(NEXT) | instid1(VALU_DEP_2)
	v_add_f32_e32 v44, v44, v47
	v_add_f32_e32 v42, v42, v69
	v_mul_f32_e32 v46, v65, v61
	s_delay_alu instid0(VALU_DEP_1) | instskip(SKIP_1) | instid1(VALU_DEP_1)
	v_fma_f32 v45, v64, v60, -v46
	s_wait_loadcnt 0x0
	v_dual_add_f32 v44, v44, v45 :: v_dual_sub_f32 v45, v63, v42
	s_delay_alu instid0(VALU_DEP_1)
	v_sub_f32_e32 v44, v62, v44
	scratch_store_b64 off, v[44:45], off offset:112
	v_cmpx_lt_u32_e32 13, v0
	s_cbranch_execz .LBB19_107
; %bb.106:
	scratch_load_b64 v[44:45], off, off offset:104
	v_mov_b32_e32 v42, v41
	scratch_store_b64 off, v[41:42], off offset:104
	s_wait_loadcnt 0x0
	ds_store_b64 v43, v[44:45]
.LBB19_107:
	s_wait_alu 0xfffe
	s_or_b32 exec_lo, exec_lo, s0
	s_wait_storecnt_dscnt 0x0
	s_barrier_signal -1
	s_barrier_wait -1
	global_inv scope:SCOPE_SE
	s_clause 0x3
	scratch_load_b128 v[44:47], off, off offset:112
	scratch_load_b128 v[48:51], off, off offset:128
	;; [unrolled: 1-line block ×3, first 2 shown]
	scratch_load_b64 v[68:69], off, off offset:104
	ds_load_b128 v[56:59], v41 offset:272
	ds_load_b128 v[60:63], v41 offset:288
	;; [unrolled: 1-line block ×3, first 2 shown]
	s_mov_b32 s0, exec_lo
	s_wait_loadcnt_dscnt 0x302
	v_dual_mul_f32 v41, v56, v45 :: v_dual_mul_f32 v42, v58, v47
	v_mul_f32_e32 v45, v57, v45
	s_wait_loadcnt_dscnt 0x201
	v_dual_mul_f32 v47, v59, v47 :: v_dual_mul_f32 v70, v60, v49
	s_delay_alu instid0(VALU_DEP_3) | instskip(NEXT) | instid1(VALU_DEP_3)
	v_dual_mul_f32 v71, v62, v51 :: v_dual_fmac_f32 v42, v59, v46
	v_fma_f32 v45, v56, v44, -v45
	v_fmac_f32_e32 v41, v57, v44
	v_mul_f32_e32 v44, v61, v49
	v_fma_f32 v46, v58, v46, -v47
	v_mul_f32_e32 v47, v63, v51
	v_dual_add_f32 v45, 0, v45 :: v_dual_fmac_f32 v70, v61, v48
	s_delay_alu instid0(VALU_DEP_4) | instskip(SKIP_2) | instid1(VALU_DEP_3)
	v_fma_f32 v44, v60, v48, -v44
	s_wait_loadcnt_dscnt 0x100
	v_dual_mul_f32 v72, v64, v53 :: v_dual_mul_f32 v73, v66, v55
	v_add_f32_e32 v45, v45, v46
	v_fmac_f32_e32 v71, v63, v50
	v_fma_f32 v46, v62, v50, -v47
	s_delay_alu instid0(VALU_DEP_4) | instskip(NEXT) | instid1(VALU_DEP_4)
	v_dual_fmac_f32 v72, v65, v52 :: v_dual_fmac_f32 v73, v67, v54
	v_add_f32_e32 v44, v45, v44
	s_delay_alu instid0(VALU_DEP_1) | instskip(SKIP_1) | instid1(VALU_DEP_1)
	v_dual_add_f32 v44, v44, v46 :: v_dual_add_f32 v41, 0, v41
	v_mul_f32_e32 v45, v67, v55
	v_fma_f32 v45, v66, v54, -v45
	s_delay_alu instid0(VALU_DEP_3) | instskip(SKIP_1) | instid1(VALU_DEP_1)
	v_add_f32_e32 v41, v41, v42
	v_mul_f32_e32 v42, v65, v53
	v_fma_f32 v42, v64, v52, -v42
	s_delay_alu instid0(VALU_DEP_1) | instskip(NEXT) | instid1(VALU_DEP_1)
	v_add_f32_e32 v42, v44, v42
	v_dual_add_f32 v42, v42, v45 :: v_dual_add_f32 v41, v41, v70
	s_delay_alu instid0(VALU_DEP_1) | instskip(NEXT) | instid1(VALU_DEP_1)
	v_add_f32_e32 v41, v41, v71
	v_add_f32_e32 v41, v41, v72
	s_wait_loadcnt 0x0
	s_delay_alu instid0(VALU_DEP_1) | instskip(NEXT) | instid1(VALU_DEP_1)
	v_dual_add_f32 v44, v41, v73 :: v_dual_sub_f32 v41, v68, v42
	v_sub_f32_e32 v42, v69, v44
	scratch_store_b64 off, v[41:42], off offset:104
	v_cmpx_lt_u32_e32 12, v0
	s_cbranch_execz .LBB19_109
; %bb.108:
	scratch_load_b64 v[41:42], off, off offset:96
	v_mov_b32_e32 v44, 0
	s_delay_alu instid0(VALU_DEP_1)
	v_mov_b32_e32 v45, v44
	scratch_store_b64 off, v[44:45], off offset:96
	s_wait_loadcnt 0x0
	ds_store_b64 v43, v[41:42]
.LBB19_109:
	s_wait_alu 0xfffe
	s_or_b32 exec_lo, exec_lo, s0
	s_wait_storecnt_dscnt 0x0
	s_barrier_signal -1
	s_barrier_wait -1
	global_inv scope:SCOPE_SE
	s_clause 0x4
	scratch_load_b128 v[44:47], off, off offset:104
	scratch_load_b128 v[48:51], off, off offset:120
	;; [unrolled: 1-line block ×3, first 2 shown]
	scratch_load_b64 v[68:69], off, off offset:152
	scratch_load_b64 v[70:71], off, off offset:96
	v_mov_b32_e32 v41, 0
	ds_load_2addr_b64 v[56:59], v41 offset0:33 offset1:34
	ds_load_2addr_b64 v[60:63], v41 offset0:35 offset1:36
	;; [unrolled: 1-line block ×3, first 2 shown]
	ds_load_b64 v[72:73], v41 offset:312
	s_mov_b32 s0, exec_lo
	s_wait_loadcnt_dscnt 0x403
	v_mul_f32_e32 v42, v56, v45
	s_wait_loadcnt_dscnt 0x302
	v_dual_mul_f32 v74, v58, v47 :: v_dual_mul_f32 v75, v60, v49
	v_dual_mul_f32 v76, v62, v51 :: v_dual_mul_f32 v45, v57, v45
	s_wait_loadcnt_dscnt 0x100
	v_dual_mul_f32 v79, v72, v69 :: v_dual_fmac_f32 v42, v57, v44
	v_mul_f32_e32 v47, v59, v47
	v_dual_mul_f32 v77, v64, v53 :: v_dual_mul_f32 v78, v66, v55
	v_fma_f32 v45, v56, v44, -v45
	v_fmac_f32_e32 v74, v59, v46
	v_add_f32_e32 v42, 0, v42
	v_mul_f32_e32 v44, v61, v49
	v_fma_f32 v46, v58, v46, -v47
	v_add_f32_e32 v45, 0, v45
	v_mul_f32_e32 v47, v63, v51
	v_dual_fmac_f32 v75, v61, v48 :: v_dual_add_f32 v42, v42, v74
	v_dual_fmac_f32 v76, v63, v50 :: v_dual_fmac_f32 v77, v65, v52
	s_delay_alu instid0(VALU_DEP_4) | instskip(SKIP_1) | instid1(VALU_DEP_4)
	v_add_f32_e32 v45, v45, v46
	v_dual_fmac_f32 v78, v67, v54 :: v_dual_fmac_f32 v79, v73, v68
	v_add_f32_e32 v42, v42, v75
	v_fma_f32 v44, v60, v48, -v44
	v_mul_f32_e32 v46, v65, v53
	v_fma_f32 v47, v62, v50, -v47
	s_delay_alu instid0(VALU_DEP_4) | instskip(NEXT) | instid1(VALU_DEP_1)
	v_add_f32_e32 v42, v42, v76
	v_add_f32_e32 v42, v42, v77
	s_delay_alu instid0(VALU_DEP_1) | instskip(NEXT) | instid1(VALU_DEP_1)
	v_add_f32_e32 v42, v42, v78
	v_add_f32_e32 v42, v42, v79
	v_dual_add_f32 v44, v45, v44 :: v_dual_mul_f32 v45, v67, v55
	v_fma_f32 v46, v64, v52, -v46
	s_delay_alu instid0(VALU_DEP_2) | instskip(NEXT) | instid1(VALU_DEP_3)
	v_dual_add_f32 v44, v44, v47 :: v_dual_mul_f32 v47, v73, v69
	v_fma_f32 v45, v66, v54, -v45
	s_delay_alu instid0(VALU_DEP_2) | instskip(NEXT) | instid1(VALU_DEP_3)
	v_add_f32_e32 v44, v44, v46
	v_fma_f32 v46, v72, v68, -v47
	s_wait_loadcnt 0x0
	s_delay_alu instid0(VALU_DEP_2) | instskip(NEXT) | instid1(VALU_DEP_1)
	v_dual_add_f32 v44, v44, v45 :: v_dual_sub_f32 v45, v71, v42
	v_add_f32_e32 v44, v44, v46
	s_delay_alu instid0(VALU_DEP_1)
	v_sub_f32_e32 v44, v70, v44
	scratch_store_b64 off, v[44:45], off offset:96
	v_cmpx_lt_u32_e32 11, v0
	s_cbranch_execz .LBB19_111
; %bb.110:
	scratch_load_b64 v[44:45], off, off offset:88
	v_mov_b32_e32 v42, v41
	scratch_store_b64 off, v[41:42], off offset:88
	s_wait_loadcnt 0x0
	ds_store_b64 v43, v[44:45]
.LBB19_111:
	s_wait_alu 0xfffe
	s_or_b32 exec_lo, exec_lo, s0
	s_wait_storecnt_dscnt 0x0
	s_barrier_signal -1
	s_barrier_wait -1
	global_inv scope:SCOPE_SE
	s_clause 0x4
	scratch_load_b128 v[44:47], off, off offset:96
	scratch_load_b128 v[48:51], off, off offset:112
	;; [unrolled: 1-line block ×4, first 2 shown]
	scratch_load_b64 v[76:77], off, off offset:88
	ds_load_b128 v[60:63], v41 offset:256
	ds_load_b128 v[64:67], v41 offset:272
	;; [unrolled: 1-line block ×4, first 2 shown]
	s_mov_b32 s0, exec_lo
	s_wait_loadcnt_dscnt 0x403
	v_dual_mul_f32 v41, v60, v45 :: v_dual_mul_f32 v42, v62, v47
	v_mul_f32_e32 v45, v61, v45
	s_wait_loadcnt_dscnt 0x302
	v_dual_mul_f32 v47, v63, v47 :: v_dual_mul_f32 v78, v64, v49
	s_delay_alu instid0(VALU_DEP_3) | instskip(NEXT) | instid1(VALU_DEP_3)
	v_dual_mul_f32 v79, v66, v51 :: v_dual_fmac_f32 v42, v63, v46
	v_fma_f32 v45, v60, v44, -v45
	v_fmac_f32_e32 v41, v61, v44
	v_mul_f32_e32 v44, v65, v49
	v_fma_f32 v46, v62, v46, -v47
	v_mul_f32_e32 v47, v67, v51
	v_dual_add_f32 v45, 0, v45 :: v_dual_fmac_f32 v78, v65, v48
	s_delay_alu instid0(VALU_DEP_4) | instskip(SKIP_2) | instid1(VALU_DEP_3)
	v_fma_f32 v44, v64, v48, -v44
	s_wait_loadcnt_dscnt 0x201
	v_dual_mul_f32 v80, v68, v53 :: v_dual_mul_f32 v81, v70, v55
	v_add_f32_e32 v45, v45, v46
	v_fmac_f32_e32 v79, v67, v50
	v_fma_f32 v46, v66, v50, -v47
	s_wait_loadcnt_dscnt 0x100
	v_dual_mul_f32 v82, v72, v57 :: v_dual_mul_f32 v83, v74, v59
	v_dual_add_f32 v44, v45, v44 :: v_dual_mul_f32 v45, v71, v55
	v_dual_fmac_f32 v80, v69, v52 :: v_dual_fmac_f32 v81, v71, v54
	s_delay_alu instid0(VALU_DEP_3) | instskip(NEXT) | instid1(VALU_DEP_3)
	v_fmac_f32_e32 v82, v73, v56
	v_dual_add_f32 v44, v44, v46 :: v_dual_add_f32 v41, 0, v41
	v_mul_f32_e32 v46, v73, v57
	v_fma_f32 v45, v70, v54, -v45
	v_fmac_f32_e32 v83, v75, v58
	s_delay_alu instid0(VALU_DEP_4) | instskip(SKIP_2) | instid1(VALU_DEP_2)
	v_add_f32_e32 v41, v41, v42
	v_mul_f32_e32 v42, v69, v53
	v_fma_f32 v46, v72, v56, -v46
	v_fma_f32 v42, v68, v52, -v42
	s_delay_alu instid0(VALU_DEP_1) | instskip(SKIP_1) | instid1(VALU_DEP_2)
	v_add_f32_e32 v42, v44, v42
	v_mul_f32_e32 v44, v75, v59
	v_add_f32_e32 v42, v42, v45
	s_delay_alu instid0(VALU_DEP_2) | instskip(NEXT) | instid1(VALU_DEP_2)
	v_fma_f32 v44, v74, v58, -v44
	v_add_f32_e32 v42, v42, v46
	s_delay_alu instid0(VALU_DEP_1) | instskip(NEXT) | instid1(VALU_DEP_1)
	v_dual_add_f32 v41, v41, v78 :: v_dual_add_f32 v42, v42, v44
	v_add_f32_e32 v41, v41, v79
	s_delay_alu instid0(VALU_DEP_1) | instskip(NEXT) | instid1(VALU_DEP_1)
	v_add_f32_e32 v41, v41, v80
	v_add_f32_e32 v41, v41, v81
	s_delay_alu instid0(VALU_DEP_1) | instskip(SKIP_1) | instid1(VALU_DEP_1)
	v_add_f32_e32 v41, v41, v82
	s_wait_loadcnt 0x0
	v_dual_add_f32 v44, v41, v83 :: v_dual_sub_f32 v41, v76, v42
	s_delay_alu instid0(VALU_DEP_1)
	v_sub_f32_e32 v42, v77, v44
	scratch_store_b64 off, v[41:42], off offset:88
	v_cmpx_lt_u32_e32 10, v0
	s_cbranch_execz .LBB19_113
; %bb.112:
	scratch_load_b64 v[41:42], off, off offset:80
	v_mov_b32_e32 v44, 0
	s_delay_alu instid0(VALU_DEP_1)
	v_mov_b32_e32 v45, v44
	scratch_store_b64 off, v[44:45], off offset:80
	s_wait_loadcnt 0x0
	ds_store_b64 v43, v[41:42]
.LBB19_113:
	s_wait_alu 0xfffe
	s_or_b32 exec_lo, exec_lo, s0
	s_wait_storecnt_dscnt 0x0
	s_barrier_signal -1
	s_barrier_wait -1
	global_inv scope:SCOPE_SE
	s_clause 0x5
	scratch_load_b128 v[44:47], off, off offset:88
	scratch_load_b128 v[48:51], off, off offset:104
	;; [unrolled: 1-line block ×4, first 2 shown]
	scratch_load_b64 v[76:77], off, off offset:152
	scratch_load_b64 v[78:79], off, off offset:80
	v_mov_b32_e32 v41, 0
	ds_load_2addr_b64 v[60:63], v41 offset0:31 offset1:32
	ds_load_2addr_b64 v[64:67], v41 offset0:33 offset1:34
	;; [unrolled: 1-line block ×4, first 2 shown]
	ds_load_b64 v[80:81], v41 offset:312
	s_mov_b32 s0, exec_lo
	s_wait_loadcnt_dscnt 0x504
	v_mul_f32_e32 v42, v60, v45
	s_wait_loadcnt_dscnt 0x403
	v_dual_mul_f32 v82, v62, v47 :: v_dual_mul_f32 v83, v64, v49
	s_wait_loadcnt_dscnt 0x302
	v_dual_mul_f32 v86, v70, v55 :: v_dual_mul_f32 v45, v61, v45
	s_wait_loadcnt_dscnt 0x100
	v_dual_mul_f32 v89, v80, v77 :: v_dual_fmac_f32 v42, v61, v44
	v_mul_f32_e32 v47, v63, v47
	v_dual_mul_f32 v84, v66, v51 :: v_dual_mul_f32 v85, v68, v53
	v_fma_f32 v45, v60, v44, -v45
	v_fmac_f32_e32 v82, v63, v46
	v_add_f32_e32 v42, 0, v42
	v_mul_f32_e32 v44, v65, v49
	v_fma_f32 v46, v62, v46, -v47
	v_add_f32_e32 v45, 0, v45
	v_mul_f32_e32 v47, v67, v51
	v_dual_fmac_f32 v83, v65, v48 :: v_dual_add_f32 v42, v42, v82
	v_dual_fmac_f32 v84, v67, v50 :: v_dual_fmac_f32 v85, v69, v52
	s_delay_alu instid0(VALU_DEP_4) | instskip(SKIP_1) | instid1(VALU_DEP_4)
	v_add_f32_e32 v45, v45, v46
	v_dual_mul_f32 v87, v72, v57 :: v_dual_mul_f32 v88, v74, v59
	v_add_f32_e32 v42, v42, v83
	v_dual_fmac_f32 v86, v71, v54 :: v_dual_fmac_f32 v89, v81, v76
	s_delay_alu instid0(VALU_DEP_3) | instskip(NEXT) | instid1(VALU_DEP_3)
	v_dual_fmac_f32 v87, v73, v56 :: v_dual_fmac_f32 v88, v75, v58
	v_add_f32_e32 v42, v42, v84
	v_fma_f32 v44, v64, v48, -v44
	v_mul_f32_e32 v46, v69, v53
	v_fma_f32 v47, v66, v50, -v47
	s_delay_alu instid0(VALU_DEP_4) | instskip(NEXT) | instid1(VALU_DEP_1)
	v_add_f32_e32 v42, v42, v85
	v_add_f32_e32 v42, v42, v86
	s_delay_alu instid0(VALU_DEP_1) | instskip(NEXT) | instid1(VALU_DEP_1)
	v_add_f32_e32 v42, v42, v87
	v_add_f32_e32 v42, v42, v88
	s_delay_alu instid0(VALU_DEP_1) | instskip(SKIP_2) | instid1(VALU_DEP_2)
	v_add_f32_e32 v42, v42, v89
	v_dual_add_f32 v44, v45, v44 :: v_dual_mul_f32 v45, v71, v55
	v_fma_f32 v46, v68, v52, -v46
	v_dual_add_f32 v44, v44, v47 :: v_dual_mul_f32 v47, v73, v57
	s_delay_alu instid0(VALU_DEP_3) | instskip(NEXT) | instid1(VALU_DEP_2)
	v_fma_f32 v45, v70, v54, -v45
	v_add_f32_e32 v44, v44, v46
	v_mul_f32_e32 v46, v75, v59
	s_delay_alu instid0(VALU_DEP_4) | instskip(NEXT) | instid1(VALU_DEP_3)
	v_fma_f32 v47, v72, v56, -v47
	v_add_f32_e32 v44, v44, v45
	v_mul_f32_e32 v45, v81, v77
	s_delay_alu instid0(VALU_DEP_4) | instskip(NEXT) | instid1(VALU_DEP_3)
	v_fma_f32 v46, v74, v58, -v46
	v_add_f32_e32 v44, v44, v47
	s_delay_alu instid0(VALU_DEP_3) | instskip(NEXT) | instid1(VALU_DEP_2)
	v_fma_f32 v45, v80, v76, -v45
	v_add_f32_e32 v44, v44, v46
	s_wait_loadcnt 0x0
	s_delay_alu instid0(VALU_DEP_1) | instskip(NEXT) | instid1(VALU_DEP_1)
	v_dual_add_f32 v44, v44, v45 :: v_dual_sub_f32 v45, v79, v42
	v_sub_f32_e32 v44, v78, v44
	scratch_store_b64 off, v[44:45], off offset:80
	v_cmpx_lt_u32_e32 9, v0
	s_cbranch_execz .LBB19_115
; %bb.114:
	scratch_load_b64 v[44:45], off, off offset:72
	v_mov_b32_e32 v42, v41
	scratch_store_b64 off, v[41:42], off offset:72
	s_wait_loadcnt 0x0
	ds_store_b64 v43, v[44:45]
.LBB19_115:
	s_wait_alu 0xfffe
	s_or_b32 exec_lo, exec_lo, s0
	s_wait_storecnt_dscnt 0x0
	s_barrier_signal -1
	s_barrier_wait -1
	global_inv scope:SCOPE_SE
	s_clause 0x5
	scratch_load_b128 v[44:47], off, off offset:80
	scratch_load_b128 v[48:51], off, off offset:96
	;; [unrolled: 1-line block ×5, first 2 shown]
	scratch_load_b64 v[84:85], off, off offset:72
	ds_load_b128 v[64:67], v41 offset:240
	ds_load_b128 v[68:71], v41 offset:256
	;; [unrolled: 1-line block ×5, first 2 shown]
	s_mov_b32 s0, exec_lo
	s_wait_loadcnt_dscnt 0x504
	v_dual_mul_f32 v41, v64, v45 :: v_dual_mul_f32 v42, v66, v47
	v_mul_f32_e32 v45, v65, v45
	s_wait_loadcnt_dscnt 0x403
	v_dual_mul_f32 v47, v67, v47 :: v_dual_mul_f32 v86, v68, v49
	s_delay_alu instid0(VALU_DEP_3) | instskip(NEXT) | instid1(VALU_DEP_3)
	v_dual_mul_f32 v87, v70, v51 :: v_dual_fmac_f32 v42, v67, v46
	v_fma_f32 v45, v64, v44, -v45
	v_fmac_f32_e32 v41, v65, v44
	v_mul_f32_e32 v44, v69, v49
	v_fma_f32 v46, v66, v46, -v47
	v_mul_f32_e32 v47, v71, v51
	v_dual_add_f32 v45, 0, v45 :: v_dual_fmac_f32 v86, v69, v48
	s_delay_alu instid0(VALU_DEP_4) | instskip(SKIP_2) | instid1(VALU_DEP_3)
	v_fma_f32 v44, v68, v48, -v44
	s_wait_loadcnt_dscnt 0x302
	v_dual_mul_f32 v88, v72, v53 :: v_dual_mul_f32 v89, v74, v55
	v_add_f32_e32 v45, v45, v46
	v_fmac_f32_e32 v87, v71, v50
	v_fma_f32 v46, v70, v50, -v47
	s_wait_loadcnt_dscnt 0x201
	v_dual_mul_f32 v90, v76, v57 :: v_dual_mul_f32 v91, v78, v59
	v_dual_add_f32 v44, v45, v44 :: v_dual_mul_f32 v45, v75, v55
	v_fmac_f32_e32 v88, v73, v52
	s_wait_loadcnt_dscnt 0x100
	v_dual_mul_f32 v92, v80, v61 :: v_dual_mul_f32 v93, v82, v63
	s_delay_alu instid0(VALU_DEP_3) | instskip(SKIP_3) | instid1(VALU_DEP_4)
	v_dual_add_f32 v44, v44, v46 :: v_dual_add_f32 v41, 0, v41
	v_mul_f32_e32 v46, v77, v57
	v_fma_f32 v45, v74, v54, -v45
	v_dual_fmac_f32 v89, v75, v54 :: v_dual_fmac_f32 v90, v77, v56
	v_add_f32_e32 v41, v41, v42
	v_mul_f32_e32 v42, v73, v53
	v_fma_f32 v46, v76, v56, -v46
	v_dual_fmac_f32 v91, v79, v58 :: v_dual_fmac_f32 v92, v81, v60
	s_delay_alu instid0(VALU_DEP_3) | instskip(NEXT) | instid1(VALU_DEP_1)
	v_fma_f32 v42, v72, v52, -v42
	v_add_f32_e32 v42, v44, v42
	v_mul_f32_e32 v44, v79, v59
	s_delay_alu instid0(VALU_DEP_2) | instskip(SKIP_1) | instid1(VALU_DEP_3)
	v_dual_add_f32 v42, v42, v45 :: v_dual_add_f32 v41, v41, v86
	v_mul_f32_e32 v45, v81, v61
	v_fma_f32 v44, v78, v58, -v44
	s_delay_alu instid0(VALU_DEP_3) | instskip(SKIP_3) | instid1(VALU_DEP_4)
	v_add_f32_e32 v42, v42, v46
	v_mul_f32_e32 v46, v83, v63
	v_add_f32_e32 v41, v41, v87
	v_fma_f32 v45, v80, v60, -v45
	v_dual_add_f32 v42, v42, v44 :: v_dual_fmac_f32 v93, v83, v62
	s_delay_alu instid0(VALU_DEP_3) | instskip(SKIP_1) | instid1(VALU_DEP_3)
	v_add_f32_e32 v41, v41, v88
	v_fma_f32 v44, v82, v62, -v46
	v_add_f32_e32 v42, v42, v45
	s_delay_alu instid0(VALU_DEP_1) | instskip(NEXT) | instid1(VALU_DEP_1)
	v_dual_add_f32 v41, v41, v89 :: v_dual_add_f32 v42, v42, v44
	v_add_f32_e32 v41, v41, v90
	s_delay_alu instid0(VALU_DEP_1) | instskip(NEXT) | instid1(VALU_DEP_1)
	v_add_f32_e32 v41, v41, v91
	v_add_f32_e32 v41, v41, v92
	s_wait_loadcnt 0x0
	s_delay_alu instid0(VALU_DEP_1) | instskip(NEXT) | instid1(VALU_DEP_1)
	v_dual_add_f32 v44, v41, v93 :: v_dual_sub_f32 v41, v84, v42
	v_sub_f32_e32 v42, v85, v44
	scratch_store_b64 off, v[41:42], off offset:72
	v_cmpx_lt_u32_e32 8, v0
	s_cbranch_execz .LBB19_117
; %bb.116:
	scratch_load_b64 v[41:42], off, off offset:64
	v_mov_b32_e32 v44, 0
	s_delay_alu instid0(VALU_DEP_1)
	v_mov_b32_e32 v45, v44
	scratch_store_b64 off, v[44:45], off offset:64
	s_wait_loadcnt 0x0
	ds_store_b64 v43, v[41:42]
.LBB19_117:
	s_wait_alu 0xfffe
	s_or_b32 exec_lo, exec_lo, s0
	s_wait_storecnt_dscnt 0x0
	s_barrier_signal -1
	s_barrier_wait -1
	global_inv scope:SCOPE_SE
	s_clause 0x6
	scratch_load_b128 v[44:47], off, off offset:72
	scratch_load_b128 v[48:51], off, off offset:88
	;; [unrolled: 1-line block ×5, first 2 shown]
	scratch_load_b64 v[84:85], off, off offset:152
	scratch_load_b64 v[86:87], off, off offset:64
	v_mov_b32_e32 v41, 0
	ds_load_2addr_b64 v[64:67], v41 offset0:29 offset1:30
	ds_load_2addr_b64 v[68:71], v41 offset0:31 offset1:32
	ds_load_2addr_b64 v[72:75], v41 offset0:33 offset1:34
	ds_load_2addr_b64 v[76:79], v41 offset0:35 offset1:36
	ds_load_2addr_b64 v[80:83], v41 offset0:37 offset1:38
	ds_load_b64 v[88:89], v41 offset:312
	s_mov_b32 s0, exec_lo
	s_wait_loadcnt_dscnt 0x605
	v_mul_f32_e32 v42, v64, v45
	v_dual_mul_f32 v45, v65, v45 :: v_dual_mul_f32 v90, v66, v47
	s_wait_loadcnt_dscnt 0x302
	v_dual_mul_f32 v91, v68, v49 :: v_dual_mul_f32 v96, v78, v59
	s_wait_loadcnt_dscnt 0x100
	v_dual_mul_f32 v99, v88, v85 :: v_dual_fmac_f32 v42, v65, v44
	v_mul_f32_e32 v47, v67, v47
	v_fma_f32 v45, v64, v44, -v45
	v_mul_f32_e32 v44, v69, v49
	v_fmac_f32_e32 v90, v67, v46
	v_add_f32_e32 v42, 0, v42
	v_fma_f32 v46, v66, v46, -v47
	v_add_f32_e32 v45, 0, v45
	v_mul_f32_e32 v47, v71, v51
	s_delay_alu instid0(VALU_DEP_4) | instskip(SKIP_1) | instid1(VALU_DEP_4)
	v_dual_fmac_f32 v91, v69, v48 :: v_dual_add_f32 v42, v42, v90
	v_fma_f32 v44, v68, v48, -v44
	v_dual_add_f32 v45, v45, v46 :: v_dual_mul_f32 v92, v70, v51
	v_mul_f32_e32 v93, v72, v53
	v_mul_f32_e32 v46, v73, v53
	v_fma_f32 v47, v70, v50, -v47
	v_add_f32_e32 v42, v42, v91
	v_add_f32_e32 v44, v45, v44
	v_dual_fmac_f32 v92, v71, v50 :: v_dual_fmac_f32 v93, v73, v52
	v_mul_f32_e32 v45, v75, v55
	v_fma_f32 v46, v72, v52, -v46
	s_delay_alu instid0(VALU_DEP_4) | instskip(SKIP_4) | instid1(VALU_DEP_3)
	v_dual_add_f32 v44, v44, v47 :: v_dual_mul_f32 v47, v77, v57
	v_dual_mul_f32 v94, v74, v55 :: v_dual_mul_f32 v95, v76, v57
	v_dual_mul_f32 v97, v80, v61 :: v_dual_mul_f32 v98, v82, v63
	v_add_f32_e32 v42, v42, v92
	v_fma_f32 v45, v74, v54, -v45
	v_dual_add_f32 v44, v44, v46 :: v_dual_fmac_f32 v97, v81, v60
	v_dual_fmac_f32 v94, v75, v54 :: v_dual_fmac_f32 v95, v77, v56
	v_mul_f32_e32 v46, v79, v59
	s_delay_alu instid0(VALU_DEP_3)
	v_add_f32_e32 v44, v44, v45
	v_mul_f32_e32 v45, v81, v61
	v_dual_add_f32 v42, v42, v93 :: v_dual_fmac_f32 v99, v89, v84
	v_fma_f32 v47, v76, v56, -v47
	v_fmac_f32_e32 v96, v79, v58
	v_fma_f32 v46, v78, v58, -v46
	s_delay_alu instid0(VALU_DEP_4)
	v_add_f32_e32 v42, v42, v94
	v_fma_f32 v45, v80, v60, -v45
	v_add_f32_e32 v44, v44, v47
	v_mul_f32_e32 v47, v83, v63
	v_fmac_f32_e32 v98, v83, v62
	v_add_f32_e32 v42, v42, v95
	s_delay_alu instid0(VALU_DEP_4) | instskip(SKIP_2) | instid1(VALU_DEP_4)
	v_add_f32_e32 v44, v44, v46
	v_mul_f32_e32 v46, v89, v85
	v_fma_f32 v47, v82, v62, -v47
	v_add_f32_e32 v42, v42, v96
	s_delay_alu instid0(VALU_DEP_4) | instskip(NEXT) | instid1(VALU_DEP_4)
	v_add_f32_e32 v44, v44, v45
	v_fma_f32 v45, v88, v84, -v46
	s_delay_alu instid0(VALU_DEP_3) | instskip(NEXT) | instid1(VALU_DEP_3)
	v_add_f32_e32 v42, v42, v97
	v_add_f32_e32 v44, v44, v47
	s_delay_alu instid0(VALU_DEP_2) | instskip(NEXT) | instid1(VALU_DEP_2)
	v_add_f32_e32 v42, v42, v98
	v_add_f32_e32 v44, v44, v45
	s_delay_alu instid0(VALU_DEP_2) | instskip(SKIP_1) | instid1(VALU_DEP_1)
	v_add_f32_e32 v42, v42, v99
	s_wait_loadcnt 0x0
	v_dual_sub_f32 v44, v86, v44 :: v_dual_sub_f32 v45, v87, v42
	scratch_store_b64 off, v[44:45], off offset:64
	v_cmpx_lt_u32_e32 7, v0
	s_cbranch_execz .LBB19_119
; %bb.118:
	scratch_load_b64 v[44:45], off, off offset:56
	v_mov_b32_e32 v42, v41
	scratch_store_b64 off, v[41:42], off offset:56
	s_wait_loadcnt 0x0
	ds_store_b64 v43, v[44:45]
.LBB19_119:
	s_wait_alu 0xfffe
	s_or_b32 exec_lo, exec_lo, s0
	s_wait_storecnt_dscnt 0x0
	s_barrier_signal -1
	s_barrier_wait -1
	global_inv scope:SCOPE_SE
	s_clause 0x6
	scratch_load_b128 v[44:47], off, off offset:64
	scratch_load_b128 v[48:51], off, off offset:80
	;; [unrolled: 1-line block ×6, first 2 shown]
	scratch_load_b64 v[92:93], off, off offset:56
	ds_load_b128 v[68:71], v41 offset:224
	ds_load_b128 v[72:75], v41 offset:240
	;; [unrolled: 1-line block ×6, first 2 shown]
	s_mov_b32 s0, exec_lo
	s_wait_loadcnt_dscnt 0x605
	v_dual_mul_f32 v41, v68, v45 :: v_dual_mul_f32 v42, v70, v47
	v_mul_f32_e32 v45, v69, v45
	s_wait_loadcnt_dscnt 0x504
	v_dual_mul_f32 v47, v71, v47 :: v_dual_mul_f32 v94, v72, v49
	s_delay_alu instid0(VALU_DEP_3) | instskip(NEXT) | instid1(VALU_DEP_3)
	v_dual_mul_f32 v95, v74, v51 :: v_dual_fmac_f32 v42, v71, v46
	v_fma_f32 v45, v68, v44, -v45
	v_fmac_f32_e32 v41, v69, v44
	v_mul_f32_e32 v44, v73, v49
	v_fma_f32 v46, v70, v46, -v47
	v_mul_f32_e32 v47, v75, v51
	v_dual_add_f32 v45, 0, v45 :: v_dual_fmac_f32 v94, v73, v48
	s_delay_alu instid0(VALU_DEP_4) | instskip(SKIP_2) | instid1(VALU_DEP_3)
	v_fma_f32 v44, v72, v48, -v44
	s_wait_loadcnt_dscnt 0x403
	v_dual_mul_f32 v96, v76, v53 :: v_dual_mul_f32 v97, v78, v55
	v_add_f32_e32 v45, v45, v46
	v_fmac_f32_e32 v95, v75, v50
	v_fma_f32 v46, v74, v50, -v47
	s_wait_loadcnt_dscnt 0x302
	v_dual_mul_f32 v98, v80, v57 :: v_dual_mul_f32 v99, v82, v59
	v_dual_add_f32 v44, v45, v44 :: v_dual_mul_f32 v45, v79, v55
	v_fmac_f32_e32 v96, v77, v52
	s_wait_loadcnt_dscnt 0x201
	v_dual_mul_f32 v100, v84, v61 :: v_dual_mul_f32 v101, v86, v63
	s_delay_alu instid0(VALU_DEP_3) | instskip(SKIP_3) | instid1(VALU_DEP_4)
	v_dual_add_f32 v44, v44, v46 :: v_dual_add_f32 v41, 0, v41
	v_mul_f32_e32 v46, v81, v57
	v_fma_f32 v45, v78, v54, -v45
	v_dual_fmac_f32 v97, v79, v54 :: v_dual_fmac_f32 v98, v81, v56
	v_add_f32_e32 v41, v41, v42
	v_mul_f32_e32 v42, v77, v53
	v_fma_f32 v46, v80, v56, -v46
	v_dual_fmac_f32 v99, v83, v58 :: v_dual_fmac_f32 v100, v85, v60
	s_wait_loadcnt_dscnt 0x100
	v_dual_mul_f32 v102, v88, v65 :: v_dual_mul_f32 v103, v90, v67
	v_fma_f32 v42, v76, v52, -v42
	s_delay_alu instid0(VALU_DEP_2) | instskip(NEXT) | instid1(VALU_DEP_3)
	v_dual_fmac_f32 v101, v87, v62 :: v_dual_fmac_f32 v102, v89, v64
	v_fmac_f32_e32 v103, v91, v66
	s_delay_alu instid0(VALU_DEP_3) | instskip(SKIP_1) | instid1(VALU_DEP_2)
	v_add_f32_e32 v42, v44, v42
	v_mul_f32_e32 v44, v83, v59
	v_dual_add_f32 v42, v42, v45 :: v_dual_add_f32 v41, v41, v94
	v_mul_f32_e32 v45, v85, v61
	s_delay_alu instid0(VALU_DEP_3) | instskip(NEXT) | instid1(VALU_DEP_3)
	v_fma_f32 v44, v82, v58, -v44
	v_add_f32_e32 v42, v42, v46
	v_mul_f32_e32 v46, v87, v63
	v_add_f32_e32 v41, v41, v95
	v_fma_f32 v45, v84, v60, -v45
	s_delay_alu instid0(VALU_DEP_4) | instskip(SKIP_1) | instid1(VALU_DEP_4)
	v_add_f32_e32 v42, v42, v44
	v_mul_f32_e32 v44, v89, v65
	v_add_f32_e32 v41, v41, v96
	v_fma_f32 v46, v86, v62, -v46
	s_delay_alu instid0(VALU_DEP_4) | instskip(NEXT) | instid1(VALU_DEP_3)
	v_dual_add_f32 v42, v42, v45 :: v_dual_mul_f32 v45, v91, v67
	v_add_f32_e32 v41, v41, v97
	v_fma_f32 v44, v88, v64, -v44
	s_delay_alu instid0(VALU_DEP_3) | instskip(NEXT) | instid1(VALU_DEP_4)
	v_add_f32_e32 v42, v42, v46
	v_fma_f32 v45, v90, v66, -v45
	s_delay_alu instid0(VALU_DEP_2) | instskip(NEXT) | instid1(VALU_DEP_1)
	v_dual_add_f32 v41, v41, v98 :: v_dual_add_f32 v42, v42, v44
	v_dual_add_f32 v41, v41, v99 :: v_dual_add_f32 v42, v42, v45
	s_delay_alu instid0(VALU_DEP_1) | instskip(NEXT) | instid1(VALU_DEP_1)
	v_add_f32_e32 v41, v41, v100
	v_add_f32_e32 v41, v41, v101
	s_delay_alu instid0(VALU_DEP_1) | instskip(SKIP_1) | instid1(VALU_DEP_1)
	v_add_f32_e32 v41, v41, v102
	s_wait_loadcnt 0x0
	v_dual_add_f32 v44, v41, v103 :: v_dual_sub_f32 v41, v92, v42
	s_delay_alu instid0(VALU_DEP_1)
	v_sub_f32_e32 v42, v93, v44
	scratch_store_b64 off, v[41:42], off offset:56
	v_cmpx_lt_u32_e32 6, v0
	s_cbranch_execz .LBB19_121
; %bb.120:
	scratch_load_b64 v[41:42], off, off offset:48
	v_mov_b32_e32 v44, 0
	s_delay_alu instid0(VALU_DEP_1)
	v_mov_b32_e32 v45, v44
	scratch_store_b64 off, v[44:45], off offset:48
	s_wait_loadcnt 0x0
	ds_store_b64 v43, v[41:42]
.LBB19_121:
	s_wait_alu 0xfffe
	s_or_b32 exec_lo, exec_lo, s0
	s_wait_storecnt_dscnt 0x0
	s_barrier_signal -1
	s_barrier_wait -1
	global_inv scope:SCOPE_SE
	s_clause 0x7
	scratch_load_b128 v[44:47], off, off offset:56
	scratch_load_b128 v[48:51], off, off offset:72
	;; [unrolled: 1-line block ×6, first 2 shown]
	scratch_load_b64 v[92:93], off, off offset:152
	scratch_load_b64 v[94:95], off, off offset:48
	v_mov_b32_e32 v41, 0
	ds_load_2addr_b64 v[68:71], v41 offset0:27 offset1:28
	ds_load_2addr_b64 v[72:75], v41 offset0:29 offset1:30
	;; [unrolled: 1-line block ×6, first 2 shown]
	ds_load_b64 v[96:97], v41 offset:312
	s_mov_b32 s0, exec_lo
	s_wait_loadcnt_dscnt 0x706
	v_mul_f32_e32 v42, v68, v45
	v_dual_mul_f32 v45, v69, v45 :: v_dual_mul_f32 v98, v70, v47
	s_wait_loadcnt_dscnt 0x302
	v_dual_mul_f32 v99, v72, v49 :: v_dual_mul_f32 v106, v86, v63
	v_mul_f32_e32 v47, v71, v47
	s_wait_loadcnt_dscnt 0x100
	v_dual_mul_f32 v109, v96, v93 :: v_dual_fmac_f32 v42, v69, v44
	v_fma_f32 v45, v68, v44, -v45
	v_mul_f32_e32 v44, v73, v49
	v_fmac_f32_e32 v98, v71, v46
	v_fma_f32 v46, v70, v46, -v47
	v_dual_add_f32 v42, 0, v42 :: v_dual_mul_f32 v47, v75, v51
	v_add_f32_e32 v45, 0, v45
	v_fmac_f32_e32 v99, v73, v48
	v_fma_f32 v44, v72, v48, -v44
	s_delay_alu instid0(VALU_DEP_4)
	v_add_f32_e32 v42, v42, v98
	v_fma_f32 v47, v74, v50, -v47
	v_add_f32_e32 v45, v45, v46
	v_mul_f32_e32 v46, v77, v53
	v_dual_mul_f32 v100, v74, v51 :: v_dual_mul_f32 v101, v76, v53
	v_add_f32_e32 v42, v42, v99
	s_delay_alu instid0(VALU_DEP_4) | instskip(NEXT) | instid1(VALU_DEP_4)
	v_dual_add_f32 v44, v45, v44 :: v_dual_mul_f32 v45, v79, v55
	v_fma_f32 v46, v76, v52, -v46
	v_dual_mul_f32 v104, v82, v59 :: v_dual_mul_f32 v105, v84, v61
	s_delay_alu instid0(VALU_DEP_3) | instskip(NEXT) | instid1(VALU_DEP_4)
	v_dual_add_f32 v44, v44, v47 :: v_dual_mul_f32 v47, v81, v57
	v_fma_f32 v45, v78, v54, -v45
	v_dual_mul_f32 v107, v88, v65 :: v_dual_mul_f32 v108, v90, v67
	s_delay_alu instid0(VALU_DEP_3) | instskip(SKIP_1) | instid1(VALU_DEP_3)
	v_dual_add_f32 v44, v44, v46 :: v_dual_fmac_f32 v105, v85, v60
	v_dual_fmac_f32 v100, v75, v50 :: v_dual_fmac_f32 v101, v77, v52
	v_dual_mul_f32 v46, v83, v59 :: v_dual_fmac_f32 v107, v89, v64
	v_fma_f32 v47, v80, v56, -v47
	s_delay_alu instid0(VALU_DEP_4) | instskip(SKIP_3) | instid1(VALU_DEP_4)
	v_dual_add_f32 v44, v44, v45 :: v_dual_fmac_f32 v109, v97, v92
	v_dual_mul_f32 v102, v78, v55 :: v_dual_mul_f32 v103, v80, v57
	v_dual_add_f32 v42, v42, v100 :: v_dual_mul_f32 v45, v85, v61
	v_fma_f32 v46, v82, v58, -v46
	v_add_f32_e32 v44, v44, v47
	s_delay_alu instid0(VALU_DEP_4) | instskip(NEXT) | instid1(VALU_DEP_4)
	v_dual_fmac_f32 v102, v79, v54 :: v_dual_fmac_f32 v103, v81, v56
	v_dual_add_f32 v42, v42, v101 :: v_dual_mul_f32 v47, v87, v63
	v_fma_f32 v45, v84, v60, -v45
	s_delay_alu instid0(VALU_DEP_4)
	v_add_f32_e32 v44, v44, v46
	v_fmac_f32_e32 v104, v83, v58
	v_mul_f32_e32 v46, v89, v65
	v_fma_f32 v47, v86, v62, -v47
	v_fmac_f32_e32 v106, v87, v62
	v_dual_add_f32 v44, v44, v45 :: v_dual_mul_f32 v45, v91, v67
	v_add_f32_e32 v42, v42, v102
	v_fma_f32 v46, v88, v64, -v46
	v_fmac_f32_e32 v108, v91, v66
	s_delay_alu instid0(VALU_DEP_4) | instskip(NEXT) | instid1(VALU_DEP_4)
	v_dual_add_f32 v44, v44, v47 :: v_dual_mul_f32 v47, v97, v93
	v_add_f32_e32 v42, v42, v103
	v_fma_f32 v45, v90, v66, -v45
	s_delay_alu instid0(VALU_DEP_3) | instskip(NEXT) | instid1(VALU_DEP_4)
	v_add_f32_e32 v44, v44, v46
	v_fma_f32 v46, v96, v92, -v47
	s_delay_alu instid0(VALU_DEP_4) | instskip(NEXT) | instid1(VALU_DEP_3)
	v_add_f32_e32 v42, v42, v104
	v_add_f32_e32 v44, v44, v45
	s_delay_alu instid0(VALU_DEP_2) | instskip(NEXT) | instid1(VALU_DEP_2)
	v_add_f32_e32 v42, v42, v105
	v_add_f32_e32 v44, v44, v46
	s_delay_alu instid0(VALU_DEP_2) | instskip(SKIP_1) | instid1(VALU_DEP_2)
	v_add_f32_e32 v42, v42, v106
	s_wait_loadcnt 0x0
	v_sub_f32_e32 v44, v94, v44
	s_delay_alu instid0(VALU_DEP_2) | instskip(NEXT) | instid1(VALU_DEP_1)
	v_add_f32_e32 v42, v42, v107
	v_add_f32_e32 v42, v42, v108
	s_delay_alu instid0(VALU_DEP_1) | instskip(NEXT) | instid1(VALU_DEP_1)
	v_add_f32_e32 v42, v42, v109
	v_sub_f32_e32 v45, v95, v42
	scratch_store_b64 off, v[44:45], off offset:48
	v_cmpx_lt_u32_e32 5, v0
	s_cbranch_execz .LBB19_123
; %bb.122:
	scratch_load_b64 v[44:45], off, off offset:40
	v_mov_b32_e32 v42, v41
	scratch_store_b64 off, v[41:42], off offset:40
	s_wait_loadcnt 0x0
	ds_store_b64 v43, v[44:45]
.LBB19_123:
	s_wait_alu 0xfffe
	s_or_b32 exec_lo, exec_lo, s0
	s_wait_storecnt_dscnt 0x0
	s_barrier_signal -1
	s_barrier_wait -1
	global_inv scope:SCOPE_SE
	s_clause 0x7
	scratch_load_b128 v[44:47], off, off offset:48
	scratch_load_b128 v[48:51], off, off offset:64
	;; [unrolled: 1-line block ×7, first 2 shown]
	scratch_load_b64 v[100:101], off, off offset:40
	ds_load_b128 v[72:75], v41 offset:208
	ds_load_b128 v[76:79], v41 offset:224
	;; [unrolled: 1-line block ×7, first 2 shown]
	s_mov_b32 s0, exec_lo
	s_wait_loadcnt_dscnt 0x706
	v_dual_mul_f32 v41, v72, v45 :: v_dual_mul_f32 v42, v74, v47
	v_mul_f32_e32 v45, v73, v45
	s_wait_loadcnt_dscnt 0x605
	v_dual_mul_f32 v47, v75, v47 :: v_dual_mul_f32 v102, v76, v49
	s_delay_alu instid0(VALU_DEP_3) | instskip(NEXT) | instid1(VALU_DEP_3)
	v_dual_mul_f32 v103, v78, v51 :: v_dual_fmac_f32 v42, v75, v46
	v_fma_f32 v45, v72, v44, -v45
	v_fmac_f32_e32 v41, v73, v44
	v_mul_f32_e32 v44, v77, v49
	v_fma_f32 v46, v74, v46, -v47
	v_mul_f32_e32 v47, v79, v51
	v_dual_add_f32 v45, 0, v45 :: v_dual_fmac_f32 v102, v77, v48
	s_delay_alu instid0(VALU_DEP_4) | instskip(SKIP_2) | instid1(VALU_DEP_3)
	v_fma_f32 v44, v76, v48, -v44
	s_wait_loadcnt_dscnt 0x504
	v_dual_mul_f32 v104, v80, v53 :: v_dual_mul_f32 v105, v82, v55
	v_add_f32_e32 v45, v45, v46
	v_fmac_f32_e32 v103, v79, v50
	v_fma_f32 v46, v78, v50, -v47
	s_wait_loadcnt_dscnt 0x403
	v_dual_mul_f32 v106, v84, v57 :: v_dual_mul_f32 v107, v86, v59
	v_dual_add_f32 v44, v45, v44 :: v_dual_mul_f32 v45, v83, v55
	v_fmac_f32_e32 v104, v81, v52
	s_wait_loadcnt_dscnt 0x302
	v_dual_mul_f32 v108, v88, v61 :: v_dual_mul_f32 v109, v90, v63
	s_delay_alu instid0(VALU_DEP_3) | instskip(SKIP_3) | instid1(VALU_DEP_4)
	v_dual_add_f32 v44, v44, v46 :: v_dual_add_f32 v41, 0, v41
	v_mul_f32_e32 v46, v85, v57
	v_fma_f32 v45, v82, v54, -v45
	v_dual_fmac_f32 v105, v83, v54 :: v_dual_fmac_f32 v106, v85, v56
	v_add_f32_e32 v41, v41, v42
	v_mul_f32_e32 v42, v81, v53
	v_fma_f32 v46, v84, v56, -v46
	v_dual_fmac_f32 v107, v87, v58 :: v_dual_fmac_f32 v108, v89, v60
	s_wait_loadcnt_dscnt 0x201
	v_dual_mul_f32 v110, v92, v65 :: v_dual_mul_f32 v111, v94, v67
	v_fma_f32 v42, v80, v52, -v42
	s_wait_loadcnt_dscnt 0x100
	v_dual_mul_f32 v112, v96, v69 :: v_dual_mul_f32 v113, v98, v71
	s_delay_alu instid0(VALU_DEP_3) | instskip(NEXT) | instid1(VALU_DEP_3)
	v_dual_fmac_f32 v109, v91, v62 :: v_dual_fmac_f32 v110, v93, v64
	v_add_f32_e32 v42, v44, v42
	v_mul_f32_e32 v44, v87, v59
	s_delay_alu instid0(VALU_DEP_4) | instskip(NEXT) | instid1(VALU_DEP_3)
	v_dual_fmac_f32 v112, v97, v68 :: v_dual_fmac_f32 v113, v99, v70
	v_dual_fmac_f32 v111, v95, v66 :: v_dual_add_f32 v42, v42, v45
	v_add_f32_e32 v41, v41, v102
	v_mul_f32_e32 v45, v89, v61
	v_fma_f32 v44, v86, v58, -v44
	s_delay_alu instid0(VALU_DEP_4) | instskip(SKIP_3) | instid1(VALU_DEP_4)
	v_add_f32_e32 v42, v42, v46
	v_mul_f32_e32 v46, v91, v63
	v_add_f32_e32 v41, v41, v103
	v_fma_f32 v45, v88, v60, -v45
	v_add_f32_e32 v42, v42, v44
	v_mul_f32_e32 v44, v93, v65
	s_delay_alu instid0(VALU_DEP_4) | instskip(SKIP_1) | instid1(VALU_DEP_4)
	v_add_f32_e32 v41, v41, v104
	v_fma_f32 v46, v90, v62, -v46
	v_dual_add_f32 v42, v42, v45 :: v_dual_mul_f32 v45, v95, v67
	s_delay_alu instid0(VALU_DEP_3) | instskip(SKIP_1) | instid1(VALU_DEP_3)
	v_add_f32_e32 v41, v41, v105
	v_fma_f32 v44, v92, v64, -v44
	v_add_f32_e32 v42, v42, v46
	s_delay_alu instid0(VALU_DEP_4) | instskip(NEXT) | instid1(VALU_DEP_4)
	v_fma_f32 v45, v94, v66, -v45
	v_add_f32_e32 v41, v41, v106
	v_mul_f32_e32 v46, v97, v69
	s_delay_alu instid0(VALU_DEP_4) | instskip(SKIP_1) | instid1(VALU_DEP_4)
	v_add_f32_e32 v42, v42, v44
	v_mul_f32_e32 v44, v99, v71
	v_add_f32_e32 v41, v41, v107
	s_delay_alu instid0(VALU_DEP_4) | instskip(NEXT) | instid1(VALU_DEP_4)
	v_fma_f32 v46, v96, v68, -v46
	v_add_f32_e32 v42, v42, v45
	s_delay_alu instid0(VALU_DEP_4) | instskip(NEXT) | instid1(VALU_DEP_2)
	v_fma_f32 v44, v98, v70, -v44
	v_dual_add_f32 v41, v41, v108 :: v_dual_add_f32 v42, v42, v46
	s_delay_alu instid0(VALU_DEP_1) | instskip(NEXT) | instid1(VALU_DEP_1)
	v_dual_add_f32 v41, v41, v109 :: v_dual_add_f32 v42, v42, v44
	v_add_f32_e32 v41, v41, v110
	s_delay_alu instid0(VALU_DEP_1) | instskip(NEXT) | instid1(VALU_DEP_1)
	v_add_f32_e32 v41, v41, v111
	v_add_f32_e32 v41, v41, v112
	s_wait_loadcnt 0x0
	s_delay_alu instid0(VALU_DEP_1) | instskip(NEXT) | instid1(VALU_DEP_1)
	v_dual_add_f32 v44, v41, v113 :: v_dual_sub_f32 v41, v100, v42
	v_sub_f32_e32 v42, v101, v44
	scratch_store_b64 off, v[41:42], off offset:40
	v_cmpx_lt_u32_e32 4, v0
	s_cbranch_execz .LBB19_125
; %bb.124:
	scratch_load_b64 v[41:42], off, off offset:32
	v_mov_b32_e32 v44, 0
	s_delay_alu instid0(VALU_DEP_1)
	v_mov_b32_e32 v45, v44
	scratch_store_b64 off, v[44:45], off offset:32
	s_wait_loadcnt 0x0
	ds_store_b64 v43, v[41:42]
.LBB19_125:
	s_wait_alu 0xfffe
	s_or_b32 exec_lo, exec_lo, s0
	s_wait_storecnt_dscnt 0x0
	s_barrier_signal -1
	s_barrier_wait -1
	global_inv scope:SCOPE_SE
	s_clause 0x8
	scratch_load_b128 v[44:47], off, off offset:40
	scratch_load_b128 v[48:51], off, off offset:56
	;; [unrolled: 1-line block ×7, first 2 shown]
	scratch_load_b64 v[100:101], off, off offset:152
	scratch_load_b64 v[102:103], off, off offset:32
	v_mov_b32_e32 v41, 0
	ds_load_2addr_b64 v[72:75], v41 offset0:25 offset1:26
	ds_load_2addr_b64 v[76:79], v41 offset0:27 offset1:28
	;; [unrolled: 1-line block ×7, first 2 shown]
	ds_load_b64 v[104:105], v41 offset:312
	s_mov_b32 s0, exec_lo
	s_wait_loadcnt_dscnt 0x807
	v_mul_f32_e32 v42, v72, v45
	v_dual_mul_f32 v45, v73, v45 :: v_dual_mul_f32 v106, v74, v47
	s_wait_loadcnt_dscnt 0x706
	v_mul_f32_e32 v107, v76, v49
	v_mul_f32_e32 v47, v75, v47
	s_wait_loadcnt_dscnt 0x302
	v_mul_f32_e32 v116, v94, v67
	v_fma_f32 v45, v72, v44, -v45
	s_wait_loadcnt_dscnt 0x100
	v_dual_mul_f32 v119, v104, v101 :: v_dual_fmac_f32 v42, v73, v44
	v_mul_f32_e32 v44, v77, v49
	s_delay_alu instid0(VALU_DEP_3) | instskip(SKIP_1) | instid1(VALU_DEP_4)
	v_dual_fmac_f32 v106, v75, v46 :: v_dual_add_f32 v45, 0, v45
	v_fma_f32 v46, v74, v46, -v47
	v_dual_add_f32 v42, 0, v42 :: v_dual_mul_f32 v47, v79, v51
	v_fmac_f32_e32 v107, v77, v48
	v_fma_f32 v44, v76, v48, -v44
	v_dual_mul_f32 v108, v78, v51 :: v_dual_mul_f32 v109, v80, v53
	s_delay_alu instid0(VALU_DEP_4)
	v_add_f32_e32 v42, v42, v106
	v_add_f32_e32 v45, v45, v46
	v_mul_f32_e32 v46, v81, v53
	v_fma_f32 v47, v78, v50, -v47
	v_dual_mul_f32 v112, v86, v59 :: v_dual_mul_f32 v113, v88, v61
	v_add_f32_e32 v42, v42, v107
	v_dual_add_f32 v44, v45, v44 :: v_dual_mul_f32 v45, v83, v55
	v_fma_f32 v46, v80, v52, -v46
	v_dual_mul_f32 v114, v90, v63 :: v_dual_mul_f32 v115, v92, v65
	s_delay_alu instid0(VALU_DEP_3) | instskip(NEXT) | instid1(VALU_DEP_4)
	v_dual_add_f32 v44, v44, v47 :: v_dual_mul_f32 v47, v85, v57
	v_fma_f32 v45, v82, v54, -v45
	v_dual_mul_f32 v117, v96, v69 :: v_dual_mul_f32 v118, v98, v71
	s_delay_alu instid0(VALU_DEP_3) | instskip(SKIP_3) | instid1(VALU_DEP_4)
	v_dual_add_f32 v44, v44, v46 :: v_dual_fmac_f32 v113, v89, v60
	v_dual_fmac_f32 v108, v79, v50 :: v_dual_fmac_f32 v109, v81, v52
	v_dual_mul_f32 v46, v87, v59 :: v_dual_fmac_f32 v115, v93, v64
	v_fma_f32 v47, v84, v56, -v47
	v_dual_add_f32 v44, v44, v45 :: v_dual_fmac_f32 v117, v97, v68
	s_delay_alu instid0(VALU_DEP_4) | instskip(NEXT) | instid1(VALU_DEP_4)
	v_dual_add_f32 v42, v42, v108 :: v_dual_mul_f32 v45, v89, v61
	v_fma_f32 v46, v86, v58, -v46
	s_delay_alu instid0(VALU_DEP_3) | instskip(SKIP_3) | instid1(VALU_DEP_4)
	v_dual_add_f32 v44, v44, v47 :: v_dual_fmac_f32 v119, v105, v100
	v_dual_mul_f32 v110, v82, v55 :: v_dual_mul_f32 v111, v84, v57
	v_mul_f32_e32 v47, v91, v63
	v_fma_f32 v45, v88, v60, -v45
	v_add_f32_e32 v44, v44, v46
	s_delay_alu instid0(VALU_DEP_4) | instskip(SKIP_4) | instid1(VALU_DEP_4)
	v_dual_fmac_f32 v110, v83, v54 :: v_dual_fmac_f32 v111, v85, v56
	v_add_f32_e32 v42, v42, v109
	v_mul_f32_e32 v46, v93, v65
	v_fma_f32 v47, v90, v62, -v47
	v_dual_add_f32 v44, v44, v45 :: v_dual_mul_f32 v45, v95, v67
	v_add_f32_e32 v42, v42, v110
	s_delay_alu instid0(VALU_DEP_4) | instskip(SKIP_1) | instid1(VALU_DEP_4)
	v_fma_f32 v46, v92, v64, -v46
	v_fmac_f32_e32 v112, v87, v58
	v_dual_add_f32 v44, v44, v47 :: v_dual_mul_f32 v47, v97, v69
	s_delay_alu instid0(VALU_DEP_4) | instskip(SKIP_2) | instid1(VALU_DEP_4)
	v_add_f32_e32 v42, v42, v111
	v_fma_f32 v45, v94, v66, -v45
	v_fmac_f32_e32 v114, v91, v62
	v_add_f32_e32 v44, v44, v46
	v_fmac_f32_e32 v116, v95, v66
	v_mul_f32_e32 v46, v99, v71
	v_fma_f32 v47, v96, v68, -v47
	v_fmac_f32_e32 v118, v99, v70
	v_add_f32_e32 v44, v44, v45
	v_dual_mul_f32 v45, v105, v101 :: v_dual_add_f32 v42, v42, v112
	v_fma_f32 v46, v98, v70, -v46
	s_delay_alu instid0(VALU_DEP_3) | instskip(NEXT) | instid1(VALU_DEP_3)
	v_add_f32_e32 v44, v44, v47
	v_fma_f32 v45, v104, v100, -v45
	s_delay_alu instid0(VALU_DEP_4) | instskip(NEXT) | instid1(VALU_DEP_3)
	v_add_f32_e32 v42, v42, v113
	v_add_f32_e32 v44, v44, v46
	s_delay_alu instid0(VALU_DEP_2) | instskip(NEXT) | instid1(VALU_DEP_2)
	v_add_f32_e32 v42, v42, v114
	v_add_f32_e32 v44, v44, v45
	s_delay_alu instid0(VALU_DEP_2) | instskip(SKIP_1) | instid1(VALU_DEP_2)
	v_add_f32_e32 v42, v42, v115
	s_wait_loadcnt 0x0
	v_sub_f32_e32 v44, v102, v44
	s_delay_alu instid0(VALU_DEP_2) | instskip(NEXT) | instid1(VALU_DEP_1)
	v_add_f32_e32 v42, v42, v116
	v_add_f32_e32 v42, v42, v117
	s_delay_alu instid0(VALU_DEP_1) | instskip(NEXT) | instid1(VALU_DEP_1)
	v_add_f32_e32 v42, v42, v118
	v_add_f32_e32 v42, v42, v119
	s_delay_alu instid0(VALU_DEP_1)
	v_sub_f32_e32 v45, v103, v42
	scratch_store_b64 off, v[44:45], off offset:32
	v_cmpx_lt_u32_e32 3, v0
	s_cbranch_execz .LBB19_127
; %bb.126:
	scratch_load_b64 v[44:45], off, off offset:24
	v_mov_b32_e32 v42, v41
	scratch_store_b64 off, v[41:42], off offset:24
	s_wait_loadcnt 0x0
	ds_store_b64 v43, v[44:45]
.LBB19_127:
	s_wait_alu 0xfffe
	s_or_b32 exec_lo, exec_lo, s0
	s_wait_storecnt_dscnt 0x0
	s_barrier_signal -1
	s_barrier_wait -1
	global_inv scope:SCOPE_SE
	s_clause 0x8
	scratch_load_b128 v[44:47], off, off offset:32
	scratch_load_b128 v[48:51], off, off offset:48
	;; [unrolled: 1-line block ×8, first 2 shown]
	scratch_load_b64 v[108:109], off, off offset:24
	ds_load_b128 v[76:79], v41 offset:192
	ds_load_b128 v[80:83], v41 offset:208
	;; [unrolled: 1-line block ×8, first 2 shown]
	s_mov_b32 s0, exec_lo
	s_wait_loadcnt_dscnt 0x807
	v_dual_mul_f32 v41, v76, v45 :: v_dual_mul_f32 v42, v78, v47
	v_mul_f32_e32 v45, v77, v45
	s_wait_loadcnt_dscnt 0x706
	v_dual_mul_f32 v47, v79, v47 :: v_dual_mul_f32 v110, v80, v49
	s_delay_alu instid0(VALU_DEP_3) | instskip(NEXT) | instid1(VALU_DEP_3)
	v_dual_mul_f32 v111, v82, v51 :: v_dual_fmac_f32 v42, v79, v46
	v_fma_f32 v45, v76, v44, -v45
	v_fmac_f32_e32 v41, v77, v44
	v_mul_f32_e32 v44, v81, v49
	v_fma_f32 v46, v78, v46, -v47
	v_mul_f32_e32 v47, v83, v51
	v_dual_add_f32 v45, 0, v45 :: v_dual_fmac_f32 v110, v81, v48
	s_delay_alu instid0(VALU_DEP_4) | instskip(SKIP_2) | instid1(VALU_DEP_3)
	v_fma_f32 v44, v80, v48, -v44
	s_wait_loadcnt_dscnt 0x605
	v_dual_mul_f32 v112, v84, v53 :: v_dual_mul_f32 v113, v86, v55
	v_add_f32_e32 v45, v45, v46
	v_fmac_f32_e32 v111, v83, v50
	v_fma_f32 v46, v82, v50, -v47
	s_wait_loadcnt_dscnt 0x504
	v_dual_mul_f32 v114, v88, v57 :: v_dual_mul_f32 v115, v90, v59
	v_dual_add_f32 v44, v45, v44 :: v_dual_mul_f32 v45, v87, v55
	v_fmac_f32_e32 v112, v85, v52
	s_wait_loadcnt_dscnt 0x403
	v_dual_mul_f32 v116, v92, v61 :: v_dual_mul_f32 v117, v94, v63
	s_delay_alu instid0(VALU_DEP_3) | instskip(SKIP_3) | instid1(VALU_DEP_4)
	v_dual_add_f32 v44, v44, v46 :: v_dual_add_f32 v41, 0, v41
	v_mul_f32_e32 v46, v89, v57
	v_fma_f32 v45, v86, v54, -v45
	v_dual_fmac_f32 v113, v87, v54 :: v_dual_fmac_f32 v114, v89, v56
	v_add_f32_e32 v41, v41, v42
	v_mul_f32_e32 v42, v85, v53
	v_fma_f32 v46, v88, v56, -v46
	v_dual_fmac_f32 v115, v91, v58 :: v_dual_fmac_f32 v116, v93, v60
	s_wait_loadcnt_dscnt 0x302
	v_dual_mul_f32 v118, v96, v65 :: v_dual_mul_f32 v119, v98, v67
	v_fma_f32 v42, v84, v52, -v42
	s_wait_loadcnt_dscnt 0x201
	v_dual_mul_f32 v120, v100, v69 :: v_dual_mul_f32 v121, v102, v71
	s_wait_loadcnt_dscnt 0x100
	v_dual_mul_f32 v122, v104, v73 :: v_dual_mul_f32 v123, v106, v75
	v_add_f32_e32 v42, v44, v42
	v_mul_f32_e32 v44, v91, v59
	v_dual_fmac_f32 v120, v101, v68 :: v_dual_fmac_f32 v121, v103, v70
	s_delay_alu instid0(VALU_DEP_4) | instskip(NEXT) | instid1(VALU_DEP_4)
	v_dual_fmac_f32 v122, v105, v72 :: v_dual_fmac_f32 v123, v107, v74
	v_dual_add_f32 v42, v42, v45 :: v_dual_add_f32 v41, v41, v110
	v_mul_f32_e32 v45, v93, v61
	v_fma_f32 v44, v90, v58, -v44
	v_fmac_f32_e32 v117, v95, v62
	s_delay_alu instid0(VALU_DEP_4)
	v_add_f32_e32 v42, v42, v46
	v_mul_f32_e32 v46, v95, v63
	v_add_f32_e32 v41, v41, v111
	v_fma_f32 v45, v92, v60, -v45
	v_fmac_f32_e32 v118, v97, v64
	v_add_f32_e32 v42, v42, v44
	v_mul_f32_e32 v44, v97, v65
	v_add_f32_e32 v41, v41, v112
	v_fma_f32 v46, v94, v62, -v46
	s_delay_alu instid0(VALU_DEP_4) | instskip(SKIP_1) | instid1(VALU_DEP_4)
	v_dual_fmac_f32 v119, v99, v66 :: v_dual_add_f32 v42, v42, v45
	v_mul_f32_e32 v45, v99, v67
	v_add_f32_e32 v41, v41, v113
	v_fma_f32 v44, v96, v64, -v44
	s_delay_alu instid0(VALU_DEP_4) | instskip(NEXT) | instid1(VALU_DEP_4)
	v_add_f32_e32 v42, v42, v46
	v_fma_f32 v45, v98, v66, -v45
	s_delay_alu instid0(VALU_DEP_4) | instskip(SKIP_1) | instid1(VALU_DEP_4)
	v_add_f32_e32 v41, v41, v114
	v_mul_f32_e32 v46, v101, v69
	v_add_f32_e32 v42, v42, v44
	v_mul_f32_e32 v44, v103, v71
	s_delay_alu instid0(VALU_DEP_4) | instskip(NEXT) | instid1(VALU_DEP_4)
	v_add_f32_e32 v41, v41, v115
	v_fma_f32 v46, v100, v68, -v46
	s_delay_alu instid0(VALU_DEP_4) | instskip(SKIP_1) | instid1(VALU_DEP_4)
	v_add_f32_e32 v42, v42, v45
	v_mul_f32_e32 v45, v105, v73
	v_add_f32_e32 v41, v41, v116
	v_fma_f32 v44, v102, v70, -v44
	s_delay_alu instid0(VALU_DEP_4) | instskip(NEXT) | instid1(VALU_DEP_3)
	v_add_f32_e32 v42, v42, v46
	v_dual_mul_f32 v46, v107, v75 :: v_dual_add_f32 v41, v41, v117
	v_fma_f32 v45, v104, v72, -v45
	s_delay_alu instid0(VALU_DEP_3) | instskip(NEXT) | instid1(VALU_DEP_3)
	v_add_f32_e32 v42, v42, v44
	v_fma_f32 v44, v106, v74, -v46
	s_delay_alu instid0(VALU_DEP_2) | instskip(NEXT) | instid1(VALU_DEP_1)
	v_dual_add_f32 v41, v41, v118 :: v_dual_add_f32 v42, v42, v45
	v_dual_add_f32 v41, v41, v119 :: v_dual_add_f32 v42, v42, v44
	s_delay_alu instid0(VALU_DEP_1) | instskip(NEXT) | instid1(VALU_DEP_1)
	v_add_f32_e32 v41, v41, v120
	v_add_f32_e32 v41, v41, v121
	s_delay_alu instid0(VALU_DEP_1) | instskip(SKIP_1) | instid1(VALU_DEP_1)
	v_add_f32_e32 v41, v41, v122
	s_wait_loadcnt 0x0
	v_dual_add_f32 v44, v41, v123 :: v_dual_sub_f32 v41, v108, v42
	s_delay_alu instid0(VALU_DEP_1)
	v_sub_f32_e32 v42, v109, v44
	scratch_store_b64 off, v[41:42], off offset:24
	v_cmpx_lt_u32_e32 2, v0
	s_cbranch_execz .LBB19_129
; %bb.128:
	scratch_load_b64 v[41:42], off, off offset:16
	v_mov_b32_e32 v44, 0
	s_delay_alu instid0(VALU_DEP_1)
	v_mov_b32_e32 v45, v44
	scratch_store_b64 off, v[44:45], off offset:16
	s_wait_loadcnt 0x0
	ds_store_b64 v43, v[41:42]
.LBB19_129:
	s_wait_alu 0xfffe
	s_or_b32 exec_lo, exec_lo, s0
	s_wait_storecnt_dscnt 0x0
	s_barrier_signal -1
	s_barrier_wait -1
	global_inv scope:SCOPE_SE
	s_clause 0x9
	scratch_load_b128 v[44:47], off, off offset:24
	scratch_load_b128 v[48:51], off, off offset:40
	;; [unrolled: 1-line block ×8, first 2 shown]
	scratch_load_b64 v[108:109], off, off offset:152
	scratch_load_b64 v[110:111], off, off offset:16
	v_mov_b32_e32 v41, 0
	ds_load_2addr_b64 v[76:79], v41 offset0:23 offset1:24
	ds_load_2addr_b64 v[80:83], v41 offset0:25 offset1:26
	;; [unrolled: 1-line block ×8, first 2 shown]
	ds_load_b64 v[112:113], v41 offset:312
	s_mov_b32 s0, exec_lo
	s_wait_loadcnt_dscnt 0x908
	v_mul_f32_e32 v42, v76, v45
	s_wait_loadcnt_dscnt 0x807
	v_dual_mul_f32 v114, v78, v47 :: v_dual_mul_f32 v115, v80, v49
	v_mul_f32_e32 v45, v77, v45
	s_delay_alu instid0(VALU_DEP_3)
	v_dual_mul_f32 v47, v79, v47 :: v_dual_fmac_f32 v42, v77, v44
	s_wait_loadcnt_dscnt 0x302
	v_mul_f32_e32 v126, v102, v71
	v_dual_mul_f32 v116, v82, v51 :: v_dual_mul_f32 v117, v84, v53
	s_wait_loadcnt_dscnt 0x100
	v_mul_f32_e32 v129, v112, v109
	v_fma_f32 v45, v76, v44, -v45
	v_mul_f32_e32 v44, v81, v49
	v_fmac_f32_e32 v114, v79, v46
	v_fma_f32 v46, v78, v46, -v47
	v_dual_add_f32 v42, 0, v42 :: v_dual_mul_f32 v47, v83, v51
	v_add_f32_e32 v45, 0, v45
	v_fmac_f32_e32 v115, v81, v48
	v_fma_f32 v44, v80, v48, -v44
	s_delay_alu instid0(VALU_DEP_4)
	v_add_f32_e32 v42, v42, v114
	v_fma_f32 v47, v82, v50, -v47
	v_add_f32_e32 v45, v45, v46
	v_mul_f32_e32 v46, v85, v53
	v_dual_mul_f32 v120, v90, v59 :: v_dual_mul_f32 v121, v92, v61
	v_add_f32_e32 v42, v42, v115
	s_delay_alu instid0(VALU_DEP_4) | instskip(NEXT) | instid1(VALU_DEP_4)
	v_dual_add_f32 v44, v45, v44 :: v_dual_mul_f32 v45, v87, v55
	v_fma_f32 v46, v84, v52, -v46
	v_dual_mul_f32 v122, v94, v63 :: v_dual_mul_f32 v123, v96, v65
	s_delay_alu instid0(VALU_DEP_3) | instskip(NEXT) | instid1(VALU_DEP_4)
	v_dual_add_f32 v44, v44, v47 :: v_dual_mul_f32 v47, v89, v57
	v_fma_f32 v45, v86, v54, -v45
	v_dual_mul_f32 v124, v98, v67 :: v_dual_mul_f32 v125, v100, v69
	s_delay_alu instid0(VALU_DEP_3) | instskip(SKIP_3) | instid1(VALU_DEP_4)
	v_dual_add_f32 v44, v44, v46 :: v_dual_fmac_f32 v121, v93, v60
	v_dual_fmac_f32 v116, v83, v50 :: v_dual_fmac_f32 v117, v85, v52
	v_dual_mul_f32 v46, v91, v59 :: v_dual_fmac_f32 v123, v97, v64
	v_fma_f32 v47, v88, v56, -v47
	v_dual_add_f32 v44, v44, v45 :: v_dual_fmac_f32 v125, v101, v68
	v_dual_mul_f32 v127, v104, v73 :: v_dual_mul_f32 v128, v106, v75
	v_dual_add_f32 v42, v42, v116 :: v_dual_mul_f32 v45, v93, v61
	v_fma_f32 v46, v90, v58, -v46
	s_delay_alu instid0(VALU_DEP_3) | instskip(SKIP_3) | instid1(VALU_DEP_4)
	v_dual_add_f32 v44, v44, v47 :: v_dual_fmac_f32 v127, v105, v72
	v_dual_mul_f32 v118, v86, v55 :: v_dual_mul_f32 v119, v88, v57
	v_mul_f32_e32 v47, v95, v63
	v_fma_f32 v45, v92, v60, -v45
	v_add_f32_e32 v44, v44, v46
	s_delay_alu instid0(VALU_DEP_4) | instskip(SKIP_4) | instid1(VALU_DEP_4)
	v_dual_fmac_f32 v118, v87, v54 :: v_dual_fmac_f32 v119, v89, v56
	v_add_f32_e32 v42, v42, v117
	v_mul_f32_e32 v46, v97, v65
	v_fma_f32 v47, v94, v62, -v47
	v_dual_add_f32 v44, v44, v45 :: v_dual_mul_f32 v45, v99, v67
	v_add_f32_e32 v42, v42, v118
	s_delay_alu instid0(VALU_DEP_4) | instskip(SKIP_1) | instid1(VALU_DEP_4)
	v_fma_f32 v46, v96, v64, -v46
	v_fmac_f32_e32 v120, v91, v58
	v_dual_add_f32 v44, v44, v47 :: v_dual_mul_f32 v47, v101, v69
	s_delay_alu instid0(VALU_DEP_4) | instskip(SKIP_1) | instid1(VALU_DEP_3)
	v_dual_add_f32 v42, v42, v119 :: v_dual_fmac_f32 v129, v113, v108
	v_fma_f32 v45, v98, v66, -v45
	v_add_f32_e32 v44, v44, v46
	v_fmac_f32_e32 v122, v95, v62
	v_fmac_f32_e32 v124, v99, v66
	v_mul_f32_e32 v46, v103, v71
	v_fma_f32 v47, v100, v68, -v47
	v_add_f32_e32 v44, v44, v45
	v_dual_mul_f32 v45, v105, v73 :: v_dual_add_f32 v42, v42, v120
	v_fmac_f32_e32 v126, v103, v70
	v_fma_f32 v46, v102, v70, -v46
	s_delay_alu instid0(VALU_DEP_4) | instskip(NEXT) | instid1(VALU_DEP_4)
	v_add_f32_e32 v44, v44, v47
	v_dual_mul_f32 v47, v107, v75 :: v_dual_add_f32 v42, v42, v121
	v_fma_f32 v45, v104, v72, -v45
	v_fmac_f32_e32 v128, v107, v74
	s_delay_alu instid0(VALU_DEP_4) | instskip(SKIP_3) | instid1(VALU_DEP_4)
	v_add_f32_e32 v44, v44, v46
	v_mul_f32_e32 v46, v113, v109
	v_add_f32_e32 v42, v42, v122
	v_fma_f32 v47, v106, v74, -v47
	v_add_f32_e32 v44, v44, v45
	s_delay_alu instid0(VALU_DEP_4) | instskip(NEXT) | instid1(VALU_DEP_4)
	v_fma_f32 v45, v112, v108, -v46
	v_add_f32_e32 v42, v42, v123
	s_delay_alu instid0(VALU_DEP_3) | instskip(NEXT) | instid1(VALU_DEP_2)
	v_add_f32_e32 v44, v44, v47
	v_add_f32_e32 v42, v42, v124
	s_delay_alu instid0(VALU_DEP_2) | instskip(NEXT) | instid1(VALU_DEP_2)
	v_add_f32_e32 v44, v44, v45
	v_add_f32_e32 v42, v42, v125
	s_wait_loadcnt 0x0
	s_delay_alu instid0(VALU_DEP_2) | instskip(NEXT) | instid1(VALU_DEP_2)
	v_sub_f32_e32 v44, v110, v44
	v_add_f32_e32 v42, v42, v126
	s_delay_alu instid0(VALU_DEP_1) | instskip(NEXT) | instid1(VALU_DEP_1)
	v_add_f32_e32 v42, v42, v127
	v_add_f32_e32 v42, v42, v128
	s_delay_alu instid0(VALU_DEP_1) | instskip(NEXT) | instid1(VALU_DEP_1)
	v_add_f32_e32 v42, v42, v129
	v_sub_f32_e32 v45, v111, v42
	scratch_store_b64 off, v[44:45], off offset:16
	v_cmpx_lt_u32_e32 1, v0
	s_cbranch_execz .LBB19_131
; %bb.130:
	scratch_load_b64 v[44:45], off, off offset:8
	v_mov_b32_e32 v42, v41
	scratch_store_b64 off, v[41:42], off offset:8
	s_wait_loadcnt 0x0
	ds_store_b64 v43, v[44:45]
.LBB19_131:
	s_wait_alu 0xfffe
	s_or_b32 exec_lo, exec_lo, s0
	s_wait_storecnt_dscnt 0x0
	s_barrier_signal -1
	s_barrier_wait -1
	global_inv scope:SCOPE_SE
	s_clause 0x9
	scratch_load_b128 v[44:47], off, off offset:16
	scratch_load_b128 v[48:51], off, off offset:32
	scratch_load_b128 v[52:55], off, off offset:48
	scratch_load_b128 v[56:59], off, off offset:64
	scratch_load_b128 v[60:63], off, off offset:80
	scratch_load_b128 v[64:67], off, off offset:96
	scratch_load_b128 v[68:71], off, off offset:112
	scratch_load_b128 v[72:75], off, off offset:128
	scratch_load_b128 v[76:79], off, off offset:144
	scratch_load_b64 v[116:117], off, off offset:8
	ds_load_b128 v[80:83], v41 offset:176
	ds_load_b128 v[84:87], v41 offset:192
	;; [unrolled: 1-line block ×9, first 2 shown]
	s_mov_b32 s0, exec_lo
	s_wait_loadcnt_dscnt 0x908
	v_dual_mul_f32 v41, v80, v45 :: v_dual_mul_f32 v42, v82, v47
	v_mul_f32_e32 v45, v81, v45
	s_wait_loadcnt_dscnt 0x807
	v_dual_mul_f32 v47, v83, v47 :: v_dual_mul_f32 v118, v84, v49
	s_delay_alu instid0(VALU_DEP_3) | instskip(NEXT) | instid1(VALU_DEP_3)
	v_dual_mul_f32 v119, v86, v51 :: v_dual_fmac_f32 v42, v83, v46
	v_fma_f32 v45, v80, v44, -v45
	v_fmac_f32_e32 v41, v81, v44
	v_mul_f32_e32 v44, v85, v49
	v_fma_f32 v46, v82, v46, -v47
	v_mul_f32_e32 v47, v87, v51
	v_dual_add_f32 v45, 0, v45 :: v_dual_fmac_f32 v118, v85, v48
	s_delay_alu instid0(VALU_DEP_4) | instskip(SKIP_2) | instid1(VALU_DEP_3)
	v_fma_f32 v44, v84, v48, -v44
	s_wait_loadcnt_dscnt 0x706
	v_dual_mul_f32 v120, v88, v53 :: v_dual_mul_f32 v121, v90, v55
	v_add_f32_e32 v45, v45, v46
	v_fmac_f32_e32 v119, v87, v50
	v_fma_f32 v46, v86, v50, -v47
	s_wait_loadcnt_dscnt 0x605
	v_dual_mul_f32 v122, v92, v57 :: v_dual_mul_f32 v123, v94, v59
	v_dual_add_f32 v44, v45, v44 :: v_dual_mul_f32 v45, v91, v55
	v_fmac_f32_e32 v120, v89, v52
	s_wait_loadcnt_dscnt 0x504
	v_dual_mul_f32 v124, v96, v61 :: v_dual_mul_f32 v125, v98, v63
	s_delay_alu instid0(VALU_DEP_3) | instskip(SKIP_3) | instid1(VALU_DEP_4)
	v_dual_add_f32 v44, v44, v46 :: v_dual_add_f32 v41, 0, v41
	v_mul_f32_e32 v46, v93, v57
	v_fma_f32 v45, v90, v54, -v45
	v_dual_fmac_f32 v121, v91, v54 :: v_dual_fmac_f32 v122, v93, v56
	v_add_f32_e32 v41, v41, v42
	v_mul_f32_e32 v42, v89, v53
	v_fma_f32 v46, v92, v56, -v46
	v_dual_fmac_f32 v123, v95, v58 :: v_dual_fmac_f32 v124, v97, v60
	s_wait_loadcnt_dscnt 0x403
	v_dual_mul_f32 v126, v100, v65 :: v_dual_mul_f32 v127, v102, v67
	v_fma_f32 v42, v88, v52, -v42
	s_wait_loadcnt_dscnt 0x302
	v_dual_mul_f32 v128, v104, v69 :: v_dual_mul_f32 v129, v106, v71
	s_wait_loadcnt_dscnt 0x201
	v_dual_mul_f32 v130, v108, v73 :: v_dual_mul_f32 v131, v110, v75
	v_add_f32_e32 v42, v44, v42
	v_mul_f32_e32 v44, v95, v59
	v_dual_fmac_f32 v128, v105, v68 :: v_dual_fmac_f32 v129, v107, v70
	s_delay_alu instid0(VALU_DEP_4) | instskip(NEXT) | instid1(VALU_DEP_4)
	v_dual_fmac_f32 v130, v109, v72 :: v_dual_fmac_f32 v131, v111, v74
	v_dual_add_f32 v42, v42, v45 :: v_dual_add_f32 v41, v41, v118
	v_mul_f32_e32 v45, v97, v61
	v_fma_f32 v44, v94, v58, -v44
	v_fmac_f32_e32 v125, v99, v62
	s_delay_alu instid0(VALU_DEP_4)
	v_add_f32_e32 v42, v42, v46
	v_mul_f32_e32 v46, v99, v63
	v_add_f32_e32 v41, v41, v119
	v_fma_f32 v45, v96, v60, -v45
	v_fmac_f32_e32 v126, v101, v64
	v_add_f32_e32 v42, v42, v44
	v_mul_f32_e32 v44, v101, v65
	v_add_f32_e32 v41, v41, v120
	v_fma_f32 v46, v98, v62, -v46
	s_delay_alu instid0(VALU_DEP_4) | instskip(SKIP_1) | instid1(VALU_DEP_4)
	v_dual_fmac_f32 v127, v103, v66 :: v_dual_add_f32 v42, v42, v45
	v_mul_f32_e32 v45, v103, v67
	v_add_f32_e32 v41, v41, v121
	v_fma_f32 v44, v100, v64, -v44
	s_wait_loadcnt_dscnt 0x100
	v_dual_mul_f32 v132, v112, v77 :: v_dual_mul_f32 v133, v114, v79
	v_add_f32_e32 v42, v42, v46
	v_add_f32_e32 v41, v41, v122
	v_fma_f32 v45, v102, v66, -v45
	v_mul_f32_e32 v46, v105, v69
	v_dual_fmac_f32 v132, v113, v76 :: v_dual_fmac_f32 v133, v115, v78
	s_delay_alu instid0(VALU_DEP_4) | instskip(SKIP_1) | instid1(VALU_DEP_4)
	v_dual_add_f32 v42, v42, v44 :: v_dual_add_f32 v41, v41, v123
	v_mul_f32_e32 v44, v107, v71
	v_fma_f32 v46, v104, v68, -v46
	s_delay_alu instid0(VALU_DEP_3) | instskip(SKIP_1) | instid1(VALU_DEP_4)
	v_dual_add_f32 v42, v42, v45 :: v_dual_add_f32 v41, v41, v124
	v_mul_f32_e32 v45, v109, v73
	v_fma_f32 v44, v106, v70, -v44
	s_delay_alu instid0(VALU_DEP_3) | instskip(SKIP_1) | instid1(VALU_DEP_4)
	;; [unrolled: 4-line block ×4, first 2 shown]
	v_dual_add_f32 v42, v42, v45 :: v_dual_add_f32 v41, v41, v127
	v_mul_f32_e32 v45, v115, v79
	v_fma_f32 v44, v112, v76, -v44
	s_delay_alu instid0(VALU_DEP_3) | instskip(NEXT) | instid1(VALU_DEP_3)
	v_dual_add_f32 v42, v42, v46 :: v_dual_add_f32 v41, v41, v128
	v_fma_f32 v45, v114, v78, -v45
	s_delay_alu instid0(VALU_DEP_2) | instskip(NEXT) | instid1(VALU_DEP_1)
	v_dual_add_f32 v42, v42, v44 :: v_dual_add_f32 v41, v41, v129
	v_dual_add_f32 v42, v42, v45 :: v_dual_add_f32 v41, v41, v130
	s_delay_alu instid0(VALU_DEP_1) | instskip(NEXT) | instid1(VALU_DEP_1)
	v_add_f32_e32 v41, v41, v131
	v_add_f32_e32 v41, v41, v132
	s_wait_loadcnt 0x0
	s_delay_alu instid0(VALU_DEP_1) | instskip(NEXT) | instid1(VALU_DEP_1)
	v_dual_add_f32 v44, v41, v133 :: v_dual_sub_f32 v41, v116, v42
	v_sub_f32_e32 v42, v117, v44
	scratch_store_b64 off, v[41:42], off offset:8
	v_cmpx_ne_u32_e32 0, v0
	s_cbranch_execz .LBB19_133
; %bb.132:
	scratch_load_b64 v[41:42], off, off
	v_mov_b32_e32 v44, 0
	s_delay_alu instid0(VALU_DEP_1)
	v_mov_b32_e32 v45, v44
	scratch_store_b64 off, v[44:45], off
	s_wait_loadcnt 0x0
	ds_store_b64 v43, v[41:42]
.LBB19_133:
	s_wait_alu 0xfffe
	s_or_b32 exec_lo, exec_lo, s0
	s_wait_storecnt_dscnt 0x0
	s_barrier_signal -1
	s_barrier_wait -1
	global_inv scope:SCOPE_SE
	s_clause 0xa
	scratch_load_b128 v[41:44], off, off offset:8
	scratch_load_b128 v[45:48], off, off offset:24
	;; [unrolled: 1-line block ×9, first 2 shown]
	scratch_load_b64 v[113:114], off, off offset:152
	scratch_load_b64 v[115:116], off, off
	v_mov_b32_e32 v0, 0
	ds_load_2addr_b64 v[77:80], v0 offset0:21 offset1:22
	ds_load_2addr_b64 v[81:84], v0 offset0:23 offset1:24
	ds_load_2addr_b64 v[85:88], v0 offset0:25 offset1:26
	ds_load_2addr_b64 v[89:92], v0 offset0:27 offset1:28
	ds_load_2addr_b64 v[93:96], v0 offset0:29 offset1:30
	ds_load_2addr_b64 v[97:100], v0 offset0:31 offset1:32
	ds_load_2addr_b64 v[101:104], v0 offset0:33 offset1:34
	ds_load_2addr_b64 v[105:108], v0 offset0:35 offset1:36
	ds_load_2addr_b64 v[109:112], v0 offset0:37 offset1:38
	ds_load_b64 v[117:118], v0 offset:312
	s_and_b32 vcc_lo, exec_lo, s18
	s_wait_loadcnt_dscnt 0xa09
	v_dual_mul_f32 v119, v77, v42 :: v_dual_mul_f32 v120, v79, v44
	s_wait_loadcnt_dscnt 0x908
	v_dual_mul_f32 v121, v81, v46 :: v_dual_mul_f32 v44, v80, v44
	;; [unrolled: 2-line block ×3, first 2 shown]
	v_dual_fmac_f32 v119, v78, v41 :: v_dual_fmac_f32 v120, v80, v43
	s_delay_alu instid0(VALU_DEP_3) | instskip(SKIP_1) | instid1(VALU_DEP_4)
	v_fmac_f32_e32 v121, v82, v45
	v_fma_f32 v43, v79, v43, -v44
	v_dual_fmac_f32 v122, v84, v47 :: v_dual_fmac_f32 v123, v86, v49
	s_delay_alu instid0(VALU_DEP_4)
	v_add_f32_e32 v44, 0, v119
	v_mul_f32_e32 v42, v78, v42
	s_wait_loadcnt_dscnt 0x706
	v_dual_mul_f32 v124, v87, v52 :: v_dual_mul_f32 v125, v89, v54
	s_wait_loadcnt_dscnt 0x605
	v_dual_mul_f32 v126, v91, v56 :: v_dual_mul_f32 v127, v93, v58
	v_fma_f32 v42, v77, v41, -v42
	v_dual_mul_f32 v41, v82, v46 :: v_dual_mul_f32 v46, v84, v48
	v_dual_fmac_f32 v124, v88, v51 :: v_dual_fmac_f32 v125, v90, v53
	s_delay_alu instid0(VALU_DEP_3) | instskip(NEXT) | instid1(VALU_DEP_3)
	v_add_f32_e32 v42, 0, v42
	v_fma_f32 v41, v81, v45, -v41
	s_delay_alu instid0(VALU_DEP_4) | instskip(SKIP_1) | instid1(VALU_DEP_4)
	v_fma_f32 v45, v83, v47, -v46
	v_dual_fmac_f32 v126, v92, v55 :: v_dual_fmac_f32 v127, v94, v57
	v_add_f32_e32 v42, v42, v43
	s_wait_loadcnt_dscnt 0x504
	v_dual_mul_f32 v128, v95, v60 :: v_dual_mul_f32 v129, v97, v62
	s_wait_loadcnt_dscnt 0x403
	v_dual_mul_f32 v130, v99, v64 :: v_dual_mul_f32 v131, v101, v66
	v_add_f32_e32 v41, v42, v41
	v_add_f32_e32 v43, v44, v120
	v_dual_fmac_f32 v128, v96, v59 :: v_dual_fmac_f32 v129, v98, v61
	s_wait_loadcnt_dscnt 0x302
	v_dual_mul_f32 v132, v103, v68 :: v_dual_mul_f32 v133, v105, v70
	s_delay_alu instid0(VALU_DEP_3)
	v_dual_add_f32 v42, v43, v121 :: v_dual_mul_f32 v43, v88, v52
	v_add_f32_e32 v41, v41, v45
	v_dual_mul_f32 v45, v90, v54 :: v_dual_mul_f32 v134, v107, v72
	s_wait_loadcnt_dscnt 0x201
	v_mul_f32_e32 v135, v109, v74
	v_fma_f32 v43, v87, v51, -v43
	v_mul_f32_e32 v44, v86, v50
	v_fma_f32 v45, v89, v53, -v45
	v_dual_fmac_f32 v133, v106, v69 :: v_dual_fmac_f32 v134, v108, v71
	s_wait_loadcnt_dscnt 0x100
	v_dual_mul_f32 v136, v111, v76 :: v_dual_mul_f32 v137, v117, v114
	v_fma_f32 v44, v85, v49, -v44
	v_add_f32_e32 v42, v42, v122
	s_delay_alu instid0(VALU_DEP_3) | instskip(NEXT) | instid1(VALU_DEP_4)
	v_dual_fmac_f32 v135, v110, v73 :: v_dual_fmac_f32 v136, v112, v75
	v_fmac_f32_e32 v137, v118, v113
	s_delay_alu instid0(VALU_DEP_4) | instskip(SKIP_3) | instid1(VALU_DEP_4)
	v_add_f32_e32 v41, v41, v44
	v_mul_f32_e32 v44, v92, v56
	v_dual_fmac_f32 v130, v100, v63 :: v_dual_fmac_f32 v131, v102, v65
	v_fmac_f32_e32 v132, v104, v67
	v_add_f32_e32 v41, v41, v43
	v_add_f32_e32 v42, v42, v123
	v_mul_f32_e32 v43, v94, v58
	v_fma_f32 v44, v91, v55, -v44
	s_delay_alu instid0(VALU_DEP_4) | instskip(SKIP_1) | instid1(VALU_DEP_4)
	v_add_f32_e32 v41, v41, v45
	v_mul_f32_e32 v45, v96, v60
	v_fma_f32 v43, v93, v57, -v43
	s_delay_alu instid0(VALU_DEP_3) | instskip(SKIP_3) | instid1(VALU_DEP_3)
	v_add_f32_e32 v41, v41, v44
	v_add_f32_e32 v42, v42, v124
	v_mul_f32_e32 v44, v98, v62
	v_fma_f32 v45, v95, v59, -v45
	v_dual_add_f32 v41, v41, v43 :: v_dual_add_f32 v42, v42, v125
	v_mul_f32_e32 v43, v100, v64
	s_delay_alu instid0(VALU_DEP_4) | instskip(NEXT) | instid1(VALU_DEP_3)
	v_fma_f32 v44, v97, v61, -v44
	v_dual_add_f32 v41, v41, v45 :: v_dual_add_f32 v42, v42, v126
	s_delay_alu instid0(VALU_DEP_3) | instskip(SKIP_1) | instid1(VALU_DEP_3)
	v_fma_f32 v43, v99, v63, -v43
	v_mul_f32_e32 v45, v102, v66
	v_dual_add_f32 v41, v41, v44 :: v_dual_add_f32 v42, v42, v127
	v_mul_f32_e32 v44, v104, v68
	s_delay_alu instid0(VALU_DEP_3) | instskip(NEXT) | instid1(VALU_DEP_3)
	v_fma_f32 v45, v101, v65, -v45
	v_dual_add_f32 v41, v41, v43 :: v_dual_add_f32 v42, v42, v128
	v_mul_f32_e32 v43, v106, v70
	s_delay_alu instid0(VALU_DEP_4) | instskip(NEXT) | instid1(VALU_DEP_3)
	v_fma_f32 v44, v103, v67, -v44
	v_add_f32_e32 v41, v41, v45
	s_delay_alu instid0(VALU_DEP_4) | instskip(NEXT) | instid1(VALU_DEP_4)
	v_dual_add_f32 v42, v42, v129 :: v_dual_mul_f32 v45, v108, v72
	v_fma_f32 v43, v105, v69, -v43
	s_delay_alu instid0(VALU_DEP_3) | instskip(NEXT) | instid1(VALU_DEP_3)
	v_dual_add_f32 v41, v41, v44 :: v_dual_mul_f32 v44, v110, v74
	v_add_f32_e32 v42, v42, v130
	s_delay_alu instid0(VALU_DEP_4) | instskip(NEXT) | instid1(VALU_DEP_3)
	v_fma_f32 v45, v107, v71, -v45
	v_add_f32_e32 v41, v41, v43
	s_delay_alu instid0(VALU_DEP_3) | instskip(SKIP_1) | instid1(VALU_DEP_2)
	v_dual_mul_f32 v43, v112, v76 :: v_dual_add_f32 v42, v42, v131
	v_fma_f32 v44, v109, v73, -v44
	v_fma_f32 v43, v111, v75, -v43
	s_delay_alu instid0(VALU_DEP_3) | instskip(NEXT) | instid1(VALU_DEP_1)
	v_add_f32_e32 v42, v42, v132
	v_add_f32_e32 v42, v42, v133
	;; [unrolled: 1-line block ×3, first 2 shown]
	v_mul_f32_e32 v45, v118, v114
	s_delay_alu instid0(VALU_DEP_2) | instskip(NEXT) | instid1(VALU_DEP_2)
	v_dual_add_f32 v42, v42, v134 :: v_dual_add_f32 v41, v41, v44
	v_fma_f32 v44, v117, v113, -v45
	s_delay_alu instid0(VALU_DEP_2) | instskip(NEXT) | instid1(VALU_DEP_1)
	v_add_f32_e32 v42, v42, v135
	v_dual_add_f32 v41, v41, v43 :: v_dual_add_f32 v42, v42, v136
	s_delay_alu instid0(VALU_DEP_1) | instskip(SKIP_1) | instid1(VALU_DEP_1)
	v_dual_add_f32 v41, v41, v44 :: v_dual_add_f32 v42, v42, v137
	s_wait_loadcnt 0x0
	v_dual_sub_f32 v41, v115, v41 :: v_dual_sub_f32 v42, v116, v42
	scratch_store_b64 off, v[41:42], off
	s_wait_alu 0xfffe
	s_cbranch_vccz .LBB19_172
; %bb.134:
	global_load_b32 v0, v0, s[2:3] offset:72
	s_wait_loadcnt 0x0
	v_cmp_ne_u32_e32 vcc_lo, 19, v0
	s_cbranch_vccz .LBB19_136
; %bb.135:
	v_lshlrev_b32_e32 v0, 3, v0
	scratch_load_b64 v[41:42], v0, off offset:-8
	scratch_load_b64 v[43:44], off, off offset:144
	s_wait_loadcnt 0x1
	scratch_store_b64 off, v[41:42], off offset:144
	s_wait_loadcnt 0x0
	scratch_store_b64 v0, v[43:44], off offset:-8
.LBB19_136:
	v_mov_b32_e32 v0, 0
	global_load_b32 v41, v0, s[2:3] offset:68
	s_wait_loadcnt 0x0
	v_cmp_eq_u32_e32 vcc_lo, 18, v41
	s_cbranch_vccnz .LBB19_138
; %bb.137:
	v_lshlrev_b32_e32 v41, 3, v41
	s_delay_alu instid0(VALU_DEP_1)
	v_mov_b32_e32 v45, v41
	scratch_load_b64 v[41:42], v45, off offset:-8
	scratch_load_b64 v[43:44], off, off offset:136
	s_wait_loadcnt 0x1
	scratch_store_b64 off, v[41:42], off offset:136
	s_wait_loadcnt 0x0
	scratch_store_b64 v45, v[43:44], off offset:-8
.LBB19_138:
	global_load_b32 v0, v0, s[2:3] offset:64
	s_wait_loadcnt 0x0
	v_cmp_eq_u32_e32 vcc_lo, 17, v0
	s_cbranch_vccnz .LBB19_140
; %bb.139:
	v_lshlrev_b32_e32 v0, 3, v0
	scratch_load_b64 v[41:42], v0, off offset:-8
	scratch_load_b64 v[43:44], off, off offset:128
	s_wait_loadcnt 0x1
	scratch_store_b64 off, v[41:42], off offset:128
	s_wait_loadcnt 0x0
	scratch_store_b64 v0, v[43:44], off offset:-8
.LBB19_140:
	v_mov_b32_e32 v0, 0
	global_load_b32 v41, v0, s[2:3] offset:60
	s_wait_loadcnt 0x0
	v_cmp_eq_u32_e32 vcc_lo, 16, v41
	s_cbranch_vccnz .LBB19_142
; %bb.141:
	v_lshlrev_b32_e32 v41, 3, v41
	s_delay_alu instid0(VALU_DEP_1)
	v_mov_b32_e32 v45, v41
	scratch_load_b64 v[41:42], v45, off offset:-8
	scratch_load_b64 v[43:44], off, off offset:120
	s_wait_loadcnt 0x1
	scratch_store_b64 off, v[41:42], off offset:120
	s_wait_loadcnt 0x0
	scratch_store_b64 v45, v[43:44], off offset:-8
.LBB19_142:
	global_load_b32 v0, v0, s[2:3] offset:56
	s_wait_loadcnt 0x0
	v_cmp_eq_u32_e32 vcc_lo, 15, v0
	s_cbranch_vccnz .LBB19_144
; %bb.143:
	v_lshlrev_b32_e32 v0, 3, v0
	scratch_load_b64 v[41:42], v0, off offset:-8
	scratch_load_b64 v[43:44], off, off offset:112
	s_wait_loadcnt 0x1
	scratch_store_b64 off, v[41:42], off offset:112
	s_wait_loadcnt 0x0
	scratch_store_b64 v0, v[43:44], off offset:-8
.LBB19_144:
	;; [unrolled: 29-line block ×8, first 2 shown]
	v_mov_b32_e32 v0, 0
	global_load_b32 v41, v0, s[2:3] offset:4
	s_wait_loadcnt 0x0
	v_cmp_eq_u32_e32 vcc_lo, 2, v41
	s_cbranch_vccnz .LBB19_170
; %bb.169:
	v_lshlrev_b32_e32 v41, 3, v41
	s_delay_alu instid0(VALU_DEP_1)
	v_mov_b32_e32 v45, v41
	scratch_load_b64 v[41:42], v45, off offset:-8
	scratch_load_b64 v[43:44], off, off offset:8
	s_wait_loadcnt 0x1
	scratch_store_b64 off, v[41:42], off offset:8
	s_wait_loadcnt 0x0
	scratch_store_b64 v45, v[43:44], off offset:-8
.LBB19_170:
	global_load_b32 v0, v0, s[2:3]
	s_wait_loadcnt 0x0
	v_cmp_eq_u32_e32 vcc_lo, 1, v0
	s_cbranch_vccnz .LBB19_172
; %bb.171:
	v_lshlrev_b32_e32 v0, 3, v0
	scratch_load_b64 v[41:42], v0, off offset:-8
	scratch_load_b64 v[43:44], off, off
	s_wait_loadcnt 0x1
	scratch_store_b64 off, v[41:42], off
	s_wait_loadcnt 0x0
	scratch_store_b64 v0, v[43:44], off offset:-8
.LBB19_172:
	s_clause 0x9
	scratch_load_b128 v[41:44], off, off
	scratch_load_b128 v[45:48], off, off offset:16
	scratch_load_b128 v[49:52], off, off offset:32
	;; [unrolled: 1-line block ×9, first 2 shown]
	s_wait_loadcnt 0x9
	s_clause 0x1
	global_store_b64 v[1:2], v[41:42], off
	global_store_b64 v[3:4], v[43:44], off
	s_wait_loadcnt 0x8
	s_clause 0x1
	global_store_b64 v[5:6], v[45:46], off
	global_store_b64 v[7:8], v[47:48], off
	;; [unrolled: 4-line block ×10, first 2 shown]
	s_nop 0
	s_sendmsg sendmsg(MSG_DEALLOC_VGPRS)
	s_endpgm
	.section	.rodata,"a",@progbits
	.p2align	6, 0x0
	.amdhsa_kernel _ZN9rocsolver6v33100L18getri_kernel_smallILi20E19rocblas_complex_numIfEPS3_EEvT1_iilPiilS6_bb
		.amdhsa_group_segment_fixed_size 324
		.amdhsa_private_segment_fixed_size 176
		.amdhsa_kernarg_size 60
		.amdhsa_user_sgpr_count 2
		.amdhsa_user_sgpr_dispatch_ptr 0
		.amdhsa_user_sgpr_queue_ptr 0
		.amdhsa_user_sgpr_kernarg_segment_ptr 1
		.amdhsa_user_sgpr_dispatch_id 0
		.amdhsa_user_sgpr_private_segment_size 0
		.amdhsa_wavefront_size32 1
		.amdhsa_uses_dynamic_stack 0
		.amdhsa_enable_private_segment 1
		.amdhsa_system_sgpr_workgroup_id_x 1
		.amdhsa_system_sgpr_workgroup_id_y 0
		.amdhsa_system_sgpr_workgroup_id_z 0
		.amdhsa_system_sgpr_workgroup_info 0
		.amdhsa_system_vgpr_workitem_id 0
		.amdhsa_next_free_vgpr 138
		.amdhsa_next_free_sgpr 19
		.amdhsa_reserve_vcc 1
		.amdhsa_float_round_mode_32 0
		.amdhsa_float_round_mode_16_64 0
		.amdhsa_float_denorm_mode_32 3
		.amdhsa_float_denorm_mode_16_64 3
		.amdhsa_fp16_overflow 0
		.amdhsa_workgroup_processor_mode 1
		.amdhsa_memory_ordered 1
		.amdhsa_forward_progress 1
		.amdhsa_inst_pref_size 161
		.amdhsa_round_robin_scheduling 0
		.amdhsa_exception_fp_ieee_invalid_op 0
		.amdhsa_exception_fp_denorm_src 0
		.amdhsa_exception_fp_ieee_div_zero 0
		.amdhsa_exception_fp_ieee_overflow 0
		.amdhsa_exception_fp_ieee_underflow 0
		.amdhsa_exception_fp_ieee_inexact 0
		.amdhsa_exception_int_div_zero 0
	.end_amdhsa_kernel
	.section	.text._ZN9rocsolver6v33100L18getri_kernel_smallILi20E19rocblas_complex_numIfEPS3_EEvT1_iilPiilS6_bb,"axG",@progbits,_ZN9rocsolver6v33100L18getri_kernel_smallILi20E19rocblas_complex_numIfEPS3_EEvT1_iilPiilS6_bb,comdat
.Lfunc_end19:
	.size	_ZN9rocsolver6v33100L18getri_kernel_smallILi20E19rocblas_complex_numIfEPS3_EEvT1_iilPiilS6_bb, .Lfunc_end19-_ZN9rocsolver6v33100L18getri_kernel_smallILi20E19rocblas_complex_numIfEPS3_EEvT1_iilPiilS6_bb
                                        ; -- End function
	.set _ZN9rocsolver6v33100L18getri_kernel_smallILi20E19rocblas_complex_numIfEPS3_EEvT1_iilPiilS6_bb.num_vgpr, 138
	.set _ZN9rocsolver6v33100L18getri_kernel_smallILi20E19rocblas_complex_numIfEPS3_EEvT1_iilPiilS6_bb.num_agpr, 0
	.set _ZN9rocsolver6v33100L18getri_kernel_smallILi20E19rocblas_complex_numIfEPS3_EEvT1_iilPiilS6_bb.numbered_sgpr, 19
	.set _ZN9rocsolver6v33100L18getri_kernel_smallILi20E19rocblas_complex_numIfEPS3_EEvT1_iilPiilS6_bb.num_named_barrier, 0
	.set _ZN9rocsolver6v33100L18getri_kernel_smallILi20E19rocblas_complex_numIfEPS3_EEvT1_iilPiilS6_bb.private_seg_size, 176
	.set _ZN9rocsolver6v33100L18getri_kernel_smallILi20E19rocblas_complex_numIfEPS3_EEvT1_iilPiilS6_bb.uses_vcc, 1
	.set _ZN9rocsolver6v33100L18getri_kernel_smallILi20E19rocblas_complex_numIfEPS3_EEvT1_iilPiilS6_bb.uses_flat_scratch, 1
	.set _ZN9rocsolver6v33100L18getri_kernel_smallILi20E19rocblas_complex_numIfEPS3_EEvT1_iilPiilS6_bb.has_dyn_sized_stack, 0
	.set _ZN9rocsolver6v33100L18getri_kernel_smallILi20E19rocblas_complex_numIfEPS3_EEvT1_iilPiilS6_bb.has_recursion, 0
	.set _ZN9rocsolver6v33100L18getri_kernel_smallILi20E19rocblas_complex_numIfEPS3_EEvT1_iilPiilS6_bb.has_indirect_call, 0
	.section	.AMDGPU.csdata,"",@progbits
; Kernel info:
; codeLenInByte = 20552
; TotalNumSgprs: 21
; NumVgprs: 138
; ScratchSize: 176
; MemoryBound: 0
; FloatMode: 240
; IeeeMode: 1
; LDSByteSize: 324 bytes/workgroup (compile time only)
; SGPRBlocks: 0
; VGPRBlocks: 17
; NumSGPRsForWavesPerEU: 21
; NumVGPRsForWavesPerEU: 138
; Occupancy: 10
; WaveLimiterHint : 1
; COMPUTE_PGM_RSRC2:SCRATCH_EN: 1
; COMPUTE_PGM_RSRC2:USER_SGPR: 2
; COMPUTE_PGM_RSRC2:TRAP_HANDLER: 0
; COMPUTE_PGM_RSRC2:TGID_X_EN: 1
; COMPUTE_PGM_RSRC2:TGID_Y_EN: 0
; COMPUTE_PGM_RSRC2:TGID_Z_EN: 0
; COMPUTE_PGM_RSRC2:TIDIG_COMP_CNT: 0
	.section	.text._ZN9rocsolver6v33100L18getri_kernel_smallILi21E19rocblas_complex_numIfEPS3_EEvT1_iilPiilS6_bb,"axG",@progbits,_ZN9rocsolver6v33100L18getri_kernel_smallILi21E19rocblas_complex_numIfEPS3_EEvT1_iilPiilS6_bb,comdat
	.globl	_ZN9rocsolver6v33100L18getri_kernel_smallILi21E19rocblas_complex_numIfEPS3_EEvT1_iilPiilS6_bb ; -- Begin function _ZN9rocsolver6v33100L18getri_kernel_smallILi21E19rocblas_complex_numIfEPS3_EEvT1_iilPiilS6_bb
	.p2align	8
	.type	_ZN9rocsolver6v33100L18getri_kernel_smallILi21E19rocblas_complex_numIfEPS3_EEvT1_iilPiilS6_bb,@function
_ZN9rocsolver6v33100L18getri_kernel_smallILi21E19rocblas_complex_numIfEPS3_EEvT1_iilPiilS6_bb: ; @_ZN9rocsolver6v33100L18getri_kernel_smallILi21E19rocblas_complex_numIfEPS3_EEvT1_iilPiilS6_bb
; %bb.0:
	s_mov_b32 s2, exec_lo
	v_cmpx_gt_u32_e32 21, v0
	s_cbranch_execz .LBB20_98
; %bb.1:
	s_clause 0x2
	s_load_b32 s2, s[0:1], 0x38
	s_load_b128 s[12:15], s[0:1], 0x10
	s_load_b128 s[4:7], s[0:1], 0x28
	s_mov_b32 s16, ttmp9
	s_wait_kmcnt 0x0
	s_bitcmp1_b32 s2, 8
	s_cselect_b32 s18, -1, 0
	s_bfe_u32 s2, s2, 0x10008
	s_ashr_i32 s17, ttmp9, 31
	s_cmp_eq_u32 s2, 0
                                        ; implicit-def: $sgpr2_sgpr3
	s_cbranch_scc1 .LBB20_3
; %bb.2:
	s_load_b32 s2, s[0:1], 0x20
	s_mul_u64 s[4:5], s[4:5], s[16:17]
	s_delay_alu instid0(SALU_CYCLE_1) | instskip(NEXT) | instid1(SALU_CYCLE_1)
	s_lshl_b64 s[4:5], s[4:5], 2
	s_add_nc_u64 s[4:5], s[14:15], s[4:5]
	s_wait_kmcnt 0x0
	s_ashr_i32 s3, s2, 31
	s_delay_alu instid0(SALU_CYCLE_1) | instskip(NEXT) | instid1(SALU_CYCLE_1)
	s_lshl_b64 s[2:3], s[2:3], 2
	s_add_nc_u64 s[2:3], s[4:5], s[2:3]
.LBB20_3:
	s_clause 0x1
	s_load_b128 s[8:11], s[0:1], 0x0
	s_load_b32 s4, s[0:1], 0x38
	s_mul_u64 s[0:1], s[12:13], s[16:17]
	v_lshlrev_b32_e32 v49, 3, v0
	s_lshl_b64 s[0:1], s[0:1], 3
	s_wait_kmcnt 0x0
	v_add3_u32 v3, s11, s11, v0
	s_ashr_i32 s13, s10, 31
	s_mov_b32 s12, s10
	s_add_nc_u64 s[0:1], s[8:9], s[0:1]
	s_lshl_b64 s[12:13], s[12:13], 3
	v_add_nc_u32_e32 v5, s11, v3
	v_ashrrev_i32_e32 v4, 31, v3
	s_add_nc_u64 s[0:1], s[0:1], s[12:13]
	s_ashr_i32 s9, s11, 31
	v_add_co_u32 v1, s5, s0, v49
	v_add_nc_u32_e32 v9, s11, v5
	v_ashrrev_i32_e32 v6, 31, v5
	s_mov_b32 s8, s11
	v_lshlrev_b64_e32 v[7:8], 3, v[3:4]
	v_add_co_ci_u32_e64 v2, null, s1, 0, s5
	v_add_nc_u32_e32 v13, s11, v9
	s_lshl_b64 s[8:9], s[8:9], 3
	v_lshlrev_b64_e32 v[11:12], 3, v[5:6]
	v_add_co_u32 v3, vcc_lo, v1, s8
	s_delay_alu instid0(VALU_DEP_3)
	v_ashrrev_i32_e32 v14, 31, v13
	v_add_nc_u32_e32 v15, s11, v13
	v_add_co_ci_u32_e64 v4, null, s9, v2, vcc_lo
	v_add_co_u32 v5, vcc_lo, s0, v7
	s_wait_alu 0xfffd
	v_add_co_ci_u32_e64 v6, null, s1, v8, vcc_lo
	v_add_co_u32 v7, vcc_lo, s0, v11
	s_wait_alu 0xfffd
	v_add_co_ci_u32_e64 v8, null, s1, v12, vcc_lo
	v_lshlrev_b64_e32 v[11:12], 3, v[13:14]
	v_add_nc_u32_e32 v13, s11, v15
	v_ashrrev_i32_e32 v10, 31, v9
	v_ashrrev_i32_e32 v16, 31, v15
	global_load_b64 v[43:44], v49, s[0:1]
	s_bitcmp0_b32 s4, 0
	v_add_nc_u32_e32 v17, s11, v13
	v_lshlrev_b64_e32 v[9:10], 3, v[9:10]
	v_ashrrev_i32_e32 v14, 31, v13
	v_lshlrev_b64_e32 v[15:16], 3, v[15:16]
	s_delay_alu instid0(VALU_DEP_4)
	v_ashrrev_i32_e32 v18, 31, v17
	v_add_nc_u32_e32 v23, s11, v17
	v_add_co_u32 v9, vcc_lo, s0, v9
	v_lshlrev_b64_e32 v[19:20], 3, v[13:14]
	s_wait_alu 0xfffd
	v_add_co_ci_u32_e64 v10, null, s1, v10, vcc_lo
	v_add_co_u32 v11, vcc_lo, s0, v11
	v_lshlrev_b64_e32 v[21:22], 3, v[17:18]
	s_wait_alu 0xfffd
	v_add_co_ci_u32_e64 v12, null, s1, v12, vcc_lo
	v_add_co_u32 v13, vcc_lo, s0, v15
	s_wait_alu 0xfffd
	v_add_co_ci_u32_e64 v14, null, s1, v16, vcc_lo
	v_add_co_u32 v15, vcc_lo, s0, v19
	v_ashrrev_i32_e32 v24, 31, v23
	v_add_nc_u32_e32 v19, s11, v23
	s_wait_alu 0xfffd
	v_add_co_ci_u32_e64 v16, null, s1, v20, vcc_lo
	v_add_co_u32 v17, vcc_lo, s0, v21
	s_wait_alu 0xfffd
	v_add_co_ci_u32_e64 v18, null, s1, v22, vcc_lo
	v_lshlrev_b64_e32 v[21:22], 3, v[23:24]
	v_add_nc_u32_e32 v23, s11, v19
	v_ashrrev_i32_e32 v20, 31, v19
	s_clause 0x7
	global_load_b64 v[45:46], v[3:4], off
	global_load_b64 v[50:51], v[5:6], off
	;; [unrolled: 1-line block ×8, first 2 shown]
	v_add_nc_u32_e32 v27, s11, v23
	v_lshlrev_b64_e32 v[25:26], 3, v[19:20]
	v_add_co_u32 v19, vcc_lo, s0, v21
	s_wait_alu 0xfffd
	v_add_co_ci_u32_e64 v20, null, s1, v22, vcc_lo
	v_ashrrev_i32_e32 v28, 31, v27
	s_delay_alu instid0(VALU_DEP_4) | instskip(SKIP_2) | instid1(VALU_DEP_3)
	v_add_co_u32 v21, vcc_lo, s0, v25
	s_wait_alu 0xfffd
	v_add_co_ci_u32_e64 v22, null, s1, v26, vcc_lo
	v_lshlrev_b64_e32 v[25:26], 3, v[27:28]
	v_add_nc_u32_e32 v27, s11, v27
	v_ashrrev_i32_e32 v24, 31, v23
	s_delay_alu instid0(VALU_DEP_2) | instskip(SKIP_1) | instid1(VALU_DEP_3)
	v_add_nc_u32_e32 v29, s11, v27
	v_ashrrev_i32_e32 v28, 31, v27
	v_lshlrev_b64_e32 v[23:24], 3, v[23:24]
	s_delay_alu instid0(VALU_DEP_3) | instskip(SKIP_1) | instid1(VALU_DEP_4)
	v_add_nc_u32_e32 v31, s11, v29
	v_ashrrev_i32_e32 v30, 31, v29
	v_lshlrev_b64_e32 v[27:28], 3, v[27:28]
	s_delay_alu instid0(VALU_DEP_4) | instskip(NEXT) | instid1(VALU_DEP_4)
	v_add_co_u32 v23, vcc_lo, s0, v23
	v_add_nc_u32_e32 v33, s11, v31
	v_ashrrev_i32_e32 v32, 31, v31
	v_lshlrev_b64_e32 v[29:30], 3, v[29:30]
	s_wait_alu 0xfffd
	v_add_co_ci_u32_e64 v24, null, s1, v24, vcc_lo
	v_ashrrev_i32_e32 v34, 31, v33
	v_add_co_u32 v25, vcc_lo, s0, v25
	v_lshlrev_b64_e32 v[31:32], 3, v[31:32]
	v_add_nc_u32_e32 v36, s11, v33
	s_wait_alu 0xfffd
	v_add_co_ci_u32_e64 v26, null, s1, v26, vcc_lo
	v_add_co_u32 v27, vcc_lo, s0, v27
	v_lshlrev_b64_e32 v[34:35], 3, v[33:34]
	s_wait_alu 0xfffd
	v_add_co_ci_u32_e64 v28, null, s1, v28, vcc_lo
	v_add_co_u32 v29, vcc_lo, s0, v29
	v_ashrrev_i32_e32 v37, 31, v36
	v_add_nc_u32_e32 v38, s11, v36
	s_wait_alu 0xfffd
	v_add_co_ci_u32_e64 v30, null, s1, v30, vcc_lo
	v_add_co_u32 v31, vcc_lo, s0, v31
	s_wait_alu 0xfffd
	v_add_co_ci_u32_e64 v32, null, s1, v32, vcc_lo
	v_add_co_u32 v33, vcc_lo, s0, v34
	s_wait_alu 0xfffd
	v_add_co_ci_u32_e64 v34, null, s1, v35, vcc_lo
	v_lshlrev_b64_e32 v[35:36], 3, v[36:37]
	v_add_nc_u32_e32 v37, s11, v38
	v_ashrrev_i32_e32 v39, 31, v38
	s_clause 0x7
	global_load_b64 v[64:65], v[19:20], off
	global_load_b64 v[66:67], v[21:22], off
	;; [unrolled: 1-line block ×8, first 2 shown]
	v_add_nc_u32_e32 v41, s11, v37
	v_lshlrev_b64_e32 v[39:40], 3, v[38:39]
	v_ashrrev_i32_e32 v38, 31, v37
	v_add_co_u32 v35, vcc_lo, s0, v35
	s_delay_alu instid0(VALU_DEP_4)
	v_ashrrev_i32_e32 v42, 31, v41
	s_wait_alu 0xfffd
	v_add_co_ci_u32_e64 v36, null, s1, v36, vcc_lo
	v_lshlrev_b64_e32 v[47:48], 3, v[37:38]
	v_add_co_u32 v37, vcc_lo, s0, v39
	v_lshlrev_b64_e32 v[41:42], 3, v[41:42]
	s_wait_alu 0xfffd
	v_add_co_ci_u32_e64 v38, null, s1, v40, vcc_lo
	s_delay_alu instid0(VALU_DEP_4)
	v_add_co_u32 v39, vcc_lo, s0, v47
	s_wait_alu 0xfffd
	v_add_co_ci_u32_e64 v40, null, s1, v48, vcc_lo
	v_add_co_u32 v41, vcc_lo, s0, v41
	s_wait_alu 0xfffd
	v_add_co_ci_u32_e64 v42, null, s1, v42, vcc_lo
	s_clause 0x3
	global_load_b64 v[80:81], v[35:36], off
	global_load_b64 v[82:83], v[37:38], off
	;; [unrolled: 1-line block ×4, first 2 shown]
	s_mov_b32 s1, -1
	s_wait_loadcnt 0x13
	scratch_store_b128 off, v[43:46], off
	s_wait_loadcnt 0x11
	scratch_store_b128 off, v[50:53], off offset:16
	s_wait_loadcnt 0xf
	scratch_store_b128 off, v[54:57], off offset:32
	;; [unrolled: 2-line block ×9, first 2 shown]
	s_wait_loadcnt 0x0
	scratch_store_b64 off, v[47:48], off offset:160
	s_cbranch_scc1 .LBB20_96
; %bb.4:
	v_cmp_eq_u32_e64 s0, 0, v0
	s_and_saveexec_b32 s1, s0
; %bb.5:
	v_mov_b32_e32 v43, 0
	ds_store_b32 v43, v43 offset:168
; %bb.6:
	s_wait_alu 0xfffe
	s_or_b32 exec_lo, exec_lo, s1
	s_wait_storecnt_dscnt 0x0
	s_barrier_signal -1
	s_barrier_wait -1
	global_inv scope:SCOPE_SE
	scratch_load_b64 v[43:44], v49, off
	s_wait_loadcnt 0x0
	v_cmp_eq_f32_e32 vcc_lo, 0, v43
	v_cmp_eq_f32_e64 s1, 0, v44
	s_and_b32 s1, vcc_lo, s1
	s_wait_alu 0xfffe
	s_and_saveexec_b32 s4, s1
	s_cbranch_execz .LBB20_10
; %bb.7:
	v_mov_b32_e32 v43, 0
	s_mov_b32 s5, 0
	ds_load_b32 v44, v43 offset:168
	s_wait_dscnt 0x0
	v_readfirstlane_b32 s1, v44
	v_add_nc_u32_e32 v44, 1, v0
	s_cmp_eq_u32 s1, 0
	s_delay_alu instid0(VALU_DEP_1)
	v_cmp_gt_i32_e32 vcc_lo, s1, v44
	s_cselect_b32 s8, -1, 0
	s_wait_alu 0xfffe
	s_or_b32 s8, s8, vcc_lo
	s_wait_alu 0xfffe
	s_and_b32 exec_lo, exec_lo, s8
	s_cbranch_execz .LBB20_10
; %bb.8:
	v_mov_b32_e32 v45, s1
.LBB20_9:                               ; =>This Inner Loop Header: Depth=1
	ds_cmpstore_rtn_b32 v45, v43, v44, v45 offset:168
	s_wait_dscnt 0x0
	v_cmp_ne_u32_e32 vcc_lo, 0, v45
	v_cmp_le_i32_e64 s1, v45, v44
	s_and_b32 s1, vcc_lo, s1
	s_wait_alu 0xfffe
	s_and_b32 s1, exec_lo, s1
	s_wait_alu 0xfffe
	s_or_b32 s5, s1, s5
	s_wait_alu 0xfffe
	s_and_not1_b32 exec_lo, exec_lo, s5
	s_cbranch_execnz .LBB20_9
.LBB20_10:
	s_wait_alu 0xfffe
	s_or_b32 exec_lo, exec_lo, s4
	v_mov_b32_e32 v43, 0
	s_barrier_signal -1
	s_barrier_wait -1
	global_inv scope:SCOPE_SE
	ds_load_b32 v44, v43 offset:168
	s_and_saveexec_b32 s1, s0
	s_cbranch_execz .LBB20_12
; %bb.11:
	s_lshl_b64 s[4:5], s[16:17], 2
	s_wait_alu 0xfffe
	s_add_nc_u64 s[4:5], s[6:7], s[4:5]
	s_wait_dscnt 0x0
	global_store_b32 v43, v44, s[4:5]
.LBB20_12:
	s_wait_alu 0xfffe
	s_or_b32 exec_lo, exec_lo, s1
	s_wait_dscnt 0x0
	v_cmp_ne_u32_e32 vcc_lo, 0, v44
	s_mov_b32 s1, 0
	s_cbranch_vccnz .LBB20_96
; %bb.13:
	v_mov_b32_e32 v50, v49
                                        ; implicit-def: $vgpr45
                                        ; implicit-def: $vgpr47
	scratch_load_b64 v[43:44], v50, off
	s_wait_loadcnt 0x0
	v_cmp_ngt_f32_e64 s1, |v43|, |v44|
	s_wait_alu 0xfffe
	s_and_saveexec_b32 s4, s1
	s_wait_alu 0xfffe
	s_xor_b32 s1, exec_lo, s4
	s_cbranch_execz .LBB20_15
; %bb.14:
	v_div_scale_f32 v45, null, v44, v44, v43
	v_div_scale_f32 v48, vcc_lo, v43, v44, v43
	s_delay_alu instid0(VALU_DEP_2) | instskip(NEXT) | instid1(TRANS32_DEP_1)
	v_rcp_f32_e32 v46, v45
	v_fma_f32 v47, -v45, v46, 1.0
	s_delay_alu instid0(VALU_DEP_1) | instskip(NEXT) | instid1(VALU_DEP_1)
	v_fmac_f32_e32 v46, v47, v46
	v_mul_f32_e32 v47, v48, v46
	s_delay_alu instid0(VALU_DEP_1) | instskip(NEXT) | instid1(VALU_DEP_1)
	v_fma_f32 v51, -v45, v47, v48
	v_fmac_f32_e32 v47, v51, v46
	s_delay_alu instid0(VALU_DEP_1) | instskip(SKIP_1) | instid1(VALU_DEP_1)
	v_fma_f32 v45, -v45, v47, v48
	s_wait_alu 0xfffd
	v_div_fmas_f32 v45, v45, v46, v47
	s_delay_alu instid0(VALU_DEP_1) | instskip(NEXT) | instid1(VALU_DEP_1)
	v_div_fixup_f32 v45, v45, v44, v43
	v_fmac_f32_e32 v44, v43, v45
	s_delay_alu instid0(VALU_DEP_1) | instskip(NEXT) | instid1(VALU_DEP_1)
	v_div_scale_f32 v43, null, v44, v44, 1.0
	v_rcp_f32_e32 v46, v43
	s_delay_alu instid0(TRANS32_DEP_1) | instskip(NEXT) | instid1(VALU_DEP_1)
	v_fma_f32 v47, -v43, v46, 1.0
	v_fmac_f32_e32 v46, v47, v46
	v_div_scale_f32 v47, vcc_lo, 1.0, v44, 1.0
	s_delay_alu instid0(VALU_DEP_1) | instskip(NEXT) | instid1(VALU_DEP_1)
	v_mul_f32_e32 v48, v47, v46
	v_fma_f32 v51, -v43, v48, v47
	s_delay_alu instid0(VALU_DEP_1) | instskip(NEXT) | instid1(VALU_DEP_1)
	v_fmac_f32_e32 v48, v51, v46
	v_fma_f32 v43, -v43, v48, v47
	s_wait_alu 0xfffd
	s_delay_alu instid0(VALU_DEP_1) | instskip(NEXT) | instid1(VALU_DEP_1)
	v_div_fmas_f32 v43, v43, v46, v48
	v_div_fixup_f32 v43, v43, v44, 1.0
	s_delay_alu instid0(VALU_DEP_1) | instskip(SKIP_1) | instid1(VALU_DEP_2)
	v_mul_f32_e32 v45, v45, v43
	v_xor_b32_e32 v46, 0x80000000, v43
                                        ; implicit-def: $vgpr43_vgpr44
	v_xor_b32_e32 v47, 0x80000000, v45
.LBB20_15:
	s_wait_alu 0xfffe
	s_and_not1_saveexec_b32 s1, s1
	s_cbranch_execz .LBB20_17
; %bb.16:
	v_div_scale_f32 v45, null, v43, v43, v44
	v_div_scale_f32 v48, vcc_lo, v44, v43, v44
	s_delay_alu instid0(VALU_DEP_2) | instskip(NEXT) | instid1(TRANS32_DEP_1)
	v_rcp_f32_e32 v46, v45
	v_fma_f32 v47, -v45, v46, 1.0
	s_delay_alu instid0(VALU_DEP_1) | instskip(NEXT) | instid1(VALU_DEP_1)
	v_fmac_f32_e32 v46, v47, v46
	v_mul_f32_e32 v47, v48, v46
	s_delay_alu instid0(VALU_DEP_1) | instskip(NEXT) | instid1(VALU_DEP_1)
	v_fma_f32 v51, -v45, v47, v48
	v_fmac_f32_e32 v47, v51, v46
	s_delay_alu instid0(VALU_DEP_1) | instskip(SKIP_1) | instid1(VALU_DEP_1)
	v_fma_f32 v45, -v45, v47, v48
	s_wait_alu 0xfffd
	v_div_fmas_f32 v45, v45, v46, v47
	s_delay_alu instid0(VALU_DEP_1) | instskip(NEXT) | instid1(VALU_DEP_1)
	v_div_fixup_f32 v46, v45, v43, v44
	v_fmac_f32_e32 v43, v44, v46
	s_delay_alu instid0(VALU_DEP_1) | instskip(SKIP_1) | instid1(VALU_DEP_2)
	v_div_scale_f32 v44, null, v43, v43, 1.0
	v_div_scale_f32 v48, vcc_lo, 1.0, v43, 1.0
	v_rcp_f32_e32 v45, v44
	s_delay_alu instid0(TRANS32_DEP_1) | instskip(NEXT) | instid1(VALU_DEP_1)
	v_fma_f32 v47, -v44, v45, 1.0
	v_fmac_f32_e32 v45, v47, v45
	s_delay_alu instid0(VALU_DEP_1) | instskip(NEXT) | instid1(VALU_DEP_1)
	v_mul_f32_e32 v47, v48, v45
	v_fma_f32 v51, -v44, v47, v48
	s_delay_alu instid0(VALU_DEP_1) | instskip(NEXT) | instid1(VALU_DEP_1)
	v_fmac_f32_e32 v47, v51, v45
	v_fma_f32 v44, -v44, v47, v48
	s_wait_alu 0xfffd
	s_delay_alu instid0(VALU_DEP_1) | instskip(NEXT) | instid1(VALU_DEP_1)
	v_div_fmas_f32 v44, v44, v45, v47
	v_div_fixup_f32 v45, v44, v43, 1.0
	s_delay_alu instid0(VALU_DEP_1)
	v_xor_b32_e32 v47, 0x80000000, v45
	v_mul_f32_e64 v46, v46, -v45
.LBB20_17:
	s_wait_alu 0xfffe
	s_or_b32 exec_lo, exec_lo, s1
	scratch_store_b64 v50, v[45:46], off
	scratch_load_b64 v[44:45], off, off offset:8
	v_xor_b32_e32 v48, 0x80000000, v46
	v_add_nc_u32_e32 v43, 0xb0, v49
	s_wait_loadcnt 0x0
	ds_store_2addr_b64 v49, v[47:48], v[44:45] offset1:22
	s_wait_storecnt_dscnt 0x0
	s_barrier_signal -1
	s_barrier_wait -1
	global_inv scope:SCOPE_SE
	s_and_saveexec_b32 s1, s0
	s_cbranch_execz .LBB20_19
; %bb.18:
	scratch_load_b64 v[44:45], v50, off
	ds_load_b64 v[46:47], v43
	v_mov_b32_e32 v48, 0
	ds_load_b64 v[51:52], v48 offset:8
	s_wait_loadcnt_dscnt 0x1
	v_mul_f32_e32 v48, v46, v45
	v_mul_f32_e32 v45, v47, v45
	s_delay_alu instid0(VALU_DEP_2) | instskip(NEXT) | instid1(VALU_DEP_2)
	v_fmac_f32_e32 v48, v47, v44
	v_fma_f32 v44, v46, v44, -v45
	s_delay_alu instid0(VALU_DEP_2) | instskip(NEXT) | instid1(VALU_DEP_2)
	v_add_f32_e32 v46, 0, v48
	v_add_f32_e32 v44, 0, v44
	s_wait_dscnt 0x0
	s_delay_alu instid0(VALU_DEP_2) | instskip(NEXT) | instid1(VALU_DEP_2)
	v_mul_f32_e32 v47, v46, v52
	v_mul_f32_e32 v45, v44, v52
	s_delay_alu instid0(VALU_DEP_2) | instskip(NEXT) | instid1(VALU_DEP_2)
	v_fma_f32 v44, v44, v51, -v47
	v_fmac_f32_e32 v45, v46, v51
	scratch_store_b64 off, v[44:45], off offset:8
.LBB20_19:
	s_wait_alu 0xfffe
	s_or_b32 exec_lo, exec_lo, s1
	s_wait_loadcnt 0x0
	s_wait_storecnt 0x0
	s_barrier_signal -1
	s_barrier_wait -1
	global_inv scope:SCOPE_SE
	scratch_load_b64 v[44:45], off, off offset:16
	s_mov_b32 s1, exec_lo
	s_wait_loadcnt 0x0
	ds_store_b64 v43, v[44:45]
	s_wait_dscnt 0x0
	s_barrier_signal -1
	s_barrier_wait -1
	global_inv scope:SCOPE_SE
	v_cmpx_gt_u32_e32 2, v0
	s_cbranch_execz .LBB20_23
; %bb.20:
	scratch_load_b64 v[44:45], v50, off
	ds_load_b64 v[46:47], v43
	s_wait_loadcnt_dscnt 0x0
	v_mul_f32_e32 v48, v47, v45
	v_mul_f32_e32 v51, v46, v45
	s_delay_alu instid0(VALU_DEP_2) | instskip(NEXT) | instid1(VALU_DEP_2)
	v_fma_f32 v45, v46, v44, -v48
	v_fmac_f32_e32 v51, v47, v44
	s_delay_alu instid0(VALU_DEP_1)
	v_dual_add_f32 v45, 0, v45 :: v_dual_add_f32 v44, 0, v51
	s_and_saveexec_b32 s4, s0
	s_cbranch_execz .LBB20_22
; %bb.21:
	scratch_load_b64 v[46:47], off, off offset:8
	v_mov_b32_e32 v48, 0
	ds_load_b64 v[51:52], v48 offset:184
	s_wait_loadcnt_dscnt 0x0
	v_mul_f32_e32 v48, v51, v47
	v_mul_f32_e32 v47, v52, v47
	s_delay_alu instid0(VALU_DEP_2) | instskip(NEXT) | instid1(VALU_DEP_2)
	v_fmac_f32_e32 v48, v52, v46
	v_fma_f32 v46, v51, v46, -v47
	s_delay_alu instid0(VALU_DEP_1)
	v_dual_add_f32 v44, v44, v48 :: v_dual_add_f32 v45, v45, v46
.LBB20_22:
	s_wait_alu 0xfffe
	s_or_b32 exec_lo, exec_lo, s4
	v_mov_b32_e32 v46, 0
	ds_load_b64 v[46:47], v46 offset:16
	s_wait_dscnt 0x0
	v_mul_f32_e32 v51, v44, v47
	v_mul_f32_e32 v48, v45, v47
	s_delay_alu instid0(VALU_DEP_2) | instskip(NEXT) | instid1(VALU_DEP_2)
	v_fma_f32 v47, v45, v46, -v51
	v_fmac_f32_e32 v48, v44, v46
	scratch_store_b64 off, v[47:48], off offset:16
.LBB20_23:
	s_wait_alu 0xfffe
	s_or_b32 exec_lo, exec_lo, s1
	s_wait_loadcnt 0x0
	s_wait_storecnt 0x0
	s_barrier_signal -1
	s_barrier_wait -1
	global_inv scope:SCOPE_SE
	scratch_load_b64 v[45:46], off, off offset:24
	v_add_nc_u32_e32 v44, -1, v0
	s_mov_b32 s0, exec_lo
	s_wait_loadcnt 0x0
	ds_store_b64 v43, v[45:46]
	s_wait_dscnt 0x0
	s_barrier_signal -1
	s_barrier_wait -1
	global_inv scope:SCOPE_SE
	v_cmpx_gt_u32_e32 3, v0
	s_cbranch_execz .LBB20_27
; %bb.24:
	v_dual_mov_b32 v45, 0 :: v_dual_add_nc_u32 v46, -1, v0
	v_dual_mov_b32 v48, v49 :: v_dual_add_nc_u32 v47, 0xb0, v49
	v_mov_b32_e32 v51, 0
	s_mov_b32 s1, 0
.LBB20_25:                              ; =>This Inner Loop Header: Depth=1
	scratch_load_b64 v[52:53], v48, off
	ds_load_b64 v[54:55], v47
	v_add_nc_u32_e32 v46, 1, v46
	v_add_nc_u32_e32 v47, 8, v47
	s_delay_alu instid0(VALU_DEP_2)
	v_cmp_lt_u32_e32 vcc_lo, 1, v46
	s_wait_alu 0xfffe
	s_or_b32 s1, vcc_lo, s1
	s_wait_loadcnt_dscnt 0x0
	v_mul_f32_e32 v56, v55, v53
	v_mul_f32_e32 v53, v54, v53
	s_delay_alu instid0(VALU_DEP_2) | instskip(NEXT) | instid1(VALU_DEP_2)
	v_fma_f32 v54, v54, v52, -v56
	v_fmac_f32_e32 v53, v55, v52
	s_delay_alu instid0(VALU_DEP_2) | instskip(NEXT) | instid1(VALU_DEP_2)
	v_dual_add_f32 v51, v51, v54 :: v_dual_add_nc_u32 v48, 8, v48
	v_add_f32_e32 v45, v45, v53
	s_wait_alu 0xfffe
	s_and_not1_b32 exec_lo, exec_lo, s1
	s_cbranch_execnz .LBB20_25
; %bb.26:
	s_or_b32 exec_lo, exec_lo, s1
	v_mov_b32_e32 v46, 0
	ds_load_b64 v[46:47], v46 offset:24
	s_wait_dscnt 0x0
	v_mul_f32_e32 v52, v45, v47
	v_mul_f32_e32 v48, v51, v47
	s_delay_alu instid0(VALU_DEP_2) | instskip(NEXT) | instid1(VALU_DEP_2)
	v_fma_f32 v47, v51, v46, -v52
	v_fmac_f32_e32 v48, v45, v46
	scratch_store_b64 off, v[47:48], off offset:24
.LBB20_27:
	s_wait_alu 0xfffe
	s_or_b32 exec_lo, exec_lo, s0
	s_wait_loadcnt 0x0
	s_wait_storecnt 0x0
	s_barrier_signal -1
	s_barrier_wait -1
	global_inv scope:SCOPE_SE
	scratch_load_b64 v[45:46], off, off offset:32
	s_mov_b32 s0, exec_lo
	s_wait_loadcnt 0x0
	ds_store_b64 v43, v[45:46]
	s_wait_dscnt 0x0
	s_barrier_signal -1
	s_barrier_wait -1
	global_inv scope:SCOPE_SE
	v_cmpx_gt_u32_e32 4, v0
	s_cbranch_execz .LBB20_31
; %bb.28:
	v_dual_mov_b32 v45, 0 :: v_dual_add_nc_u32 v46, -1, v0
	v_dual_mov_b32 v48, v49 :: v_dual_add_nc_u32 v47, 0xb0, v49
	v_mov_b32_e32 v51, 0
	s_mov_b32 s1, 0
.LBB20_29:                              ; =>This Inner Loop Header: Depth=1
	scratch_load_b64 v[52:53], v48, off
	ds_load_b64 v[54:55], v47
	v_add_nc_u32_e32 v46, 1, v46
	v_add_nc_u32_e32 v47, 8, v47
	s_delay_alu instid0(VALU_DEP_2)
	v_cmp_lt_u32_e32 vcc_lo, 2, v46
	s_wait_alu 0xfffe
	s_or_b32 s1, vcc_lo, s1
	s_wait_loadcnt_dscnt 0x0
	v_mul_f32_e32 v56, v55, v53
	v_mul_f32_e32 v53, v54, v53
	s_delay_alu instid0(VALU_DEP_2) | instskip(NEXT) | instid1(VALU_DEP_2)
	v_fma_f32 v54, v54, v52, -v56
	v_fmac_f32_e32 v53, v55, v52
	s_delay_alu instid0(VALU_DEP_2) | instskip(NEXT) | instid1(VALU_DEP_2)
	v_dual_add_f32 v51, v51, v54 :: v_dual_add_nc_u32 v48, 8, v48
	v_add_f32_e32 v45, v45, v53
	s_wait_alu 0xfffe
	s_and_not1_b32 exec_lo, exec_lo, s1
	s_cbranch_execnz .LBB20_29
; %bb.30:
	s_or_b32 exec_lo, exec_lo, s1
	v_mov_b32_e32 v46, 0
	ds_load_b64 v[46:47], v46 offset:32
	s_wait_dscnt 0x0
	v_mul_f32_e32 v52, v45, v47
	v_mul_f32_e32 v48, v51, v47
	s_delay_alu instid0(VALU_DEP_2) | instskip(NEXT) | instid1(VALU_DEP_2)
	v_fma_f32 v47, v51, v46, -v52
	v_fmac_f32_e32 v48, v45, v46
	scratch_store_b64 off, v[47:48], off offset:32
.LBB20_31:
	s_wait_alu 0xfffe
	s_or_b32 exec_lo, exec_lo, s0
	s_wait_loadcnt 0x0
	s_wait_storecnt 0x0
	s_barrier_signal -1
	s_barrier_wait -1
	global_inv scope:SCOPE_SE
	scratch_load_b64 v[45:46], off, off offset:40
	;; [unrolled: 55-line block ×16, first 2 shown]
	s_mov_b32 s0, exec_lo
	s_wait_loadcnt 0x0
	ds_store_b64 v43, v[45:46]
	s_wait_dscnt 0x0
	s_barrier_signal -1
	s_barrier_wait -1
	global_inv scope:SCOPE_SE
	v_cmpx_gt_u32_e32 19, v0
	s_cbranch_execz .LBB20_91
; %bb.88:
	v_dual_mov_b32 v45, 0 :: v_dual_add_nc_u32 v46, -1, v0
	v_dual_mov_b32 v48, v49 :: v_dual_add_nc_u32 v47, 0xb0, v49
	v_mov_b32_e32 v49, 0
	s_mov_b32 s1, 0
.LBB20_89:                              ; =>This Inner Loop Header: Depth=1
	scratch_load_b64 v[51:52], v48, off
	ds_load_b64 v[53:54], v47
	v_add_nc_u32_e32 v48, 8, v48
	v_add_nc_u32_e32 v46, 1, v46
	;; [unrolled: 1-line block ×3, first 2 shown]
	s_delay_alu instid0(VALU_DEP_2)
	v_cmp_lt_u32_e32 vcc_lo, 17, v46
	s_wait_alu 0xfffe
	s_or_b32 s1, vcc_lo, s1
	s_wait_loadcnt_dscnt 0x0
	v_mul_f32_e32 v55, v54, v52
	v_mul_f32_e32 v52, v53, v52
	s_delay_alu instid0(VALU_DEP_2) | instskip(NEXT) | instid1(VALU_DEP_1)
	v_fma_f32 v53, v53, v51, -v55
	v_dual_fmac_f32 v52, v54, v51 :: v_dual_add_f32 v49, v49, v53
	s_delay_alu instid0(VALU_DEP_1)
	v_add_f32_e32 v45, v45, v52
	s_wait_alu 0xfffe
	s_and_not1_b32 exec_lo, exec_lo, s1
	s_cbranch_execnz .LBB20_89
; %bb.90:
	s_or_b32 exec_lo, exec_lo, s1
	v_mov_b32_e32 v46, 0
	ds_load_b64 v[46:47], v46 offset:152
	s_wait_dscnt 0x0
	v_mul_f32_e32 v51, v45, v47
	v_mul_f32_e32 v48, v49, v47
	s_delay_alu instid0(VALU_DEP_2) | instskip(NEXT) | instid1(VALU_DEP_2)
	v_fma_f32 v47, v49, v46, -v51
	v_fmac_f32_e32 v48, v45, v46
	scratch_store_b64 off, v[47:48], off offset:152
.LBB20_91:
	s_wait_alu 0xfffe
	s_or_b32 exec_lo, exec_lo, s0
	s_wait_loadcnt 0x0
	s_wait_storecnt 0x0
	s_barrier_signal -1
	s_barrier_wait -1
	global_inv scope:SCOPE_SE
	scratch_load_b64 v[45:46], off, off offset:160
	s_mov_b32 s0, exec_lo
	s_wait_loadcnt 0x0
	ds_store_b64 v43, v[45:46]
	s_wait_dscnt 0x0
	s_barrier_signal -1
	s_barrier_wait -1
	global_inv scope:SCOPE_SE
	v_cmpx_ne_u32_e32 20, v0
	s_cbranch_execz .LBB20_95
; %bb.92:
	v_dual_mov_b32 v45, 0 :: v_dual_mov_b32 v46, 0
	s_mov_b32 s1, 0
.LBB20_93:                              ; =>This Inner Loop Header: Depth=1
	scratch_load_b64 v[47:48], v50, off
	ds_load_b64 v[51:52], v43
	v_add_nc_u32_e32 v44, 1, v44
	v_add_nc_u32_e32 v43, 8, v43
	;; [unrolled: 1-line block ×3, first 2 shown]
	s_delay_alu instid0(VALU_DEP_3)
	v_cmp_lt_u32_e32 vcc_lo, 18, v44
	s_wait_alu 0xfffe
	s_or_b32 s1, vcc_lo, s1
	s_wait_loadcnt_dscnt 0x0
	v_mul_f32_e32 v49, v52, v48
	v_mul_f32_e32 v48, v51, v48
	s_delay_alu instid0(VALU_DEP_2) | instskip(NEXT) | instid1(VALU_DEP_2)
	v_fma_f32 v49, v51, v47, -v49
	v_fmac_f32_e32 v48, v52, v47
	s_delay_alu instid0(VALU_DEP_1)
	v_dual_add_f32 v46, v46, v49 :: v_dual_add_f32 v45, v45, v48
	s_wait_alu 0xfffe
	s_and_not1_b32 exec_lo, exec_lo, s1
	s_cbranch_execnz .LBB20_93
; %bb.94:
	s_or_b32 exec_lo, exec_lo, s1
	v_mov_b32_e32 v43, 0
	ds_load_b64 v[43:44], v43 offset:160
	s_wait_dscnt 0x0
	v_mul_f32_e32 v48, v45, v44
	v_mul_f32_e32 v47, v46, v44
	s_delay_alu instid0(VALU_DEP_2) | instskip(NEXT) | instid1(VALU_DEP_2)
	v_fma_f32 v46, v46, v43, -v48
	v_fmac_f32_e32 v47, v45, v43
	scratch_store_b64 off, v[46:47], off offset:160
.LBB20_95:
	s_wait_alu 0xfffe
	s_or_b32 exec_lo, exec_lo, s0
	s_mov_b32 s1, -1
	s_wait_loadcnt 0x0
	s_wait_storecnt 0x0
	s_barrier_signal -1
	s_barrier_wait -1
	global_inv scope:SCOPE_SE
.LBB20_96:
	s_wait_alu 0xfffe
	s_and_b32 vcc_lo, exec_lo, s1
	s_wait_alu 0xfffe
	s_cbranch_vccz .LBB20_98
; %bb.97:
	v_mov_b32_e32 v43, 0
	s_lshl_b64 s[0:1], s[16:17], 2
	s_wait_alu 0xfffe
	s_add_nc_u64 s[0:1], s[6:7], s[0:1]
	global_load_b32 v43, v43, s[0:1]
	s_wait_loadcnt 0x0
	v_cmp_ne_u32_e32 vcc_lo, 0, v43
	s_cbranch_vccz .LBB20_99
.LBB20_98:
	s_nop 0
	s_sendmsg sendmsg(MSG_DEALLOC_VGPRS)
	s_endpgm
.LBB20_99:
	v_lshl_add_u32 v45, v0, 3, 0xb0
	s_mov_b32 s0, exec_lo
	v_cmpx_eq_u32_e32 20, v0
	s_cbranch_execz .LBB20_101
; %bb.100:
	scratch_load_b64 v[43:44], off, off offset:152
	v_mov_b32_e32 v46, 0
	s_delay_alu instid0(VALU_DEP_1)
	v_mov_b32_e32 v47, v46
	scratch_store_b64 off, v[46:47], off offset:152
	s_wait_loadcnt 0x0
	ds_store_b64 v45, v[43:44]
.LBB20_101:
	s_wait_alu 0xfffe
	s_or_b32 exec_lo, exec_lo, s0
	s_wait_storecnt_dscnt 0x0
	s_barrier_signal -1
	s_barrier_wait -1
	global_inv scope:SCOPE_SE
	s_clause 0x1
	scratch_load_b64 v[46:47], off, off offset:160
	scratch_load_b64 v[48:49], off, off offset:152
	v_mov_b32_e32 v43, 0
	s_mov_b32 s0, exec_lo
	ds_load_b64 v[50:51], v43 offset:336
	s_wait_loadcnt_dscnt 0x100
	v_mul_f32_e32 v44, v51, v47
	s_delay_alu instid0(VALU_DEP_1) | instskip(NEXT) | instid1(VALU_DEP_1)
	v_fma_f32 v44, v50, v46, -v44
	v_dual_mul_f32 v47, v50, v47 :: v_dual_add_f32 v44, 0, v44
	s_wait_loadcnt 0x0
	s_delay_alu instid0(VALU_DEP_1) | instskip(NEXT) | instid1(VALU_DEP_1)
	v_dual_fmac_f32 v47, v51, v46 :: v_dual_sub_f32 v46, v48, v44
	v_add_f32_e32 v47, 0, v47
	s_delay_alu instid0(VALU_DEP_1)
	v_sub_f32_e32 v47, v49, v47
	scratch_store_b64 off, v[46:47], off offset:152
	v_cmpx_lt_u32_e32 18, v0
	s_cbranch_execz .LBB20_103
; %bb.102:
	scratch_load_b64 v[46:47], off, off offset:144
	v_mov_b32_e32 v44, v43
	scratch_store_b64 off, v[43:44], off offset:144
	s_wait_loadcnt 0x0
	ds_store_b64 v45, v[46:47]
.LBB20_103:
	s_wait_alu 0xfffe
	s_or_b32 exec_lo, exec_lo, s0
	s_wait_storecnt_dscnt 0x0
	s_barrier_signal -1
	s_barrier_wait -1
	global_inv scope:SCOPE_SE
	s_clause 0x1
	scratch_load_b128 v[46:49], off, off offset:152
	scratch_load_b64 v[54:55], off, off offset:144
	ds_load_2addr_b64 v[50:53], v43 offset0:41 offset1:42
	s_mov_b32 s0, exec_lo
	s_wait_loadcnt_dscnt 0x100
	v_mul_f32_e32 v44, v50, v47
	s_delay_alu instid0(VALU_DEP_1) | instskip(SKIP_2) | instid1(VALU_DEP_1)
	v_fmac_f32_e32 v44, v51, v46
	v_mul_f32_e32 v43, v51, v47
	v_mul_f32_e32 v47, v52, v49
	v_fmac_f32_e32 v47, v53, v48
	s_delay_alu instid0(VALU_DEP_4) | instskip(NEXT) | instid1(VALU_DEP_4)
	v_dual_add_f32 v44, 0, v44 :: v_dual_mul_f32 v49, v53, v49
	v_fma_f32 v43, v50, v46, -v43
	s_delay_alu instid0(VALU_DEP_2) | instskip(NEXT) | instid1(VALU_DEP_3)
	v_add_f32_e32 v44, v44, v47
	v_fma_f32 v46, v52, v48, -v49
	s_wait_loadcnt 0x0
	s_delay_alu instid0(VALU_DEP_2) | instskip(NEXT) | instid1(VALU_DEP_1)
	v_dual_add_f32 v43, 0, v43 :: v_dual_sub_f32 v44, v55, v44
	v_add_f32_e32 v43, v43, v46
	s_delay_alu instid0(VALU_DEP_1)
	v_sub_f32_e32 v43, v54, v43
	scratch_store_b64 off, v[43:44], off offset:144
	v_cmpx_lt_u32_e32 17, v0
	s_cbranch_execz .LBB20_105
; %bb.104:
	scratch_load_b64 v[43:44], off, off offset:136
	v_mov_b32_e32 v46, 0
	s_delay_alu instid0(VALU_DEP_1)
	v_mov_b32_e32 v47, v46
	scratch_store_b64 off, v[46:47], off offset:136
	s_wait_loadcnt 0x0
	ds_store_b64 v45, v[43:44]
.LBB20_105:
	s_wait_alu 0xfffe
	s_or_b32 exec_lo, exec_lo, s0
	s_wait_storecnt_dscnt 0x0
	s_barrier_signal -1
	s_barrier_wait -1
	global_inv scope:SCOPE_SE
	s_clause 0x2
	scratch_load_b128 v[46:49], off, off offset:144
	scratch_load_b64 v[54:55], off, off offset:160
	scratch_load_b64 v[56:57], off, off offset:136
	v_mov_b32_e32 v43, 0
	ds_load_b128 v[50:53], v43 offset:320
	ds_load_b64 v[58:59], v43 offset:336
	s_mov_b32 s0, exec_lo
	s_wait_loadcnt_dscnt 0x201
	v_mul_f32_e32 v44, v51, v47
	v_dual_mul_f32 v47, v50, v47 :: v_dual_mul_f32 v60, v52, v49
	v_mul_f32_e32 v49, v53, v49
	s_wait_loadcnt_dscnt 0x100
	v_mul_f32_e32 v61, v58, v55
	v_fma_f32 v44, v50, v46, -v44
	v_fmac_f32_e32 v47, v51, v46
	v_mul_f32_e32 v46, v59, v55
	v_fmac_f32_e32 v60, v53, v48
	v_fma_f32 v48, v52, v48, -v49
	s_delay_alu instid0(VALU_DEP_4) | instskip(NEXT) | instid1(VALU_DEP_4)
	v_dual_add_f32 v44, 0, v44 :: v_dual_add_f32 v47, 0, v47
	v_fma_f32 v46, v58, v54, -v46
	s_delay_alu instid0(VALU_DEP_2) | instskip(NEXT) | instid1(VALU_DEP_1)
	v_add_f32_e32 v44, v44, v48
	v_dual_add_f32 v47, v47, v60 :: v_dual_add_f32 v44, v44, v46
	s_wait_loadcnt 0x0
	s_delay_alu instid0(VALU_DEP_1) | instskip(NEXT) | instid1(VALU_DEP_1)
	v_dual_fmac_f32 v61, v59, v54 :: v_dual_sub_f32 v46, v56, v44
	v_add_f32_e32 v47, v47, v61
	s_delay_alu instid0(VALU_DEP_1)
	v_sub_f32_e32 v47, v57, v47
	scratch_store_b64 off, v[46:47], off offset:136
	v_cmpx_lt_u32_e32 16, v0
	s_cbranch_execz .LBB20_107
; %bb.106:
	scratch_load_b64 v[46:47], off, off offset:128
	v_mov_b32_e32 v44, v43
	scratch_store_b64 off, v[43:44], off offset:128
	s_wait_loadcnt 0x0
	ds_store_b64 v45, v[46:47]
.LBB20_107:
	s_wait_alu 0xfffe
	s_or_b32 exec_lo, exec_lo, s0
	s_wait_storecnt_dscnt 0x0
	s_barrier_signal -1
	s_barrier_wait -1
	global_inv scope:SCOPE_SE
	s_clause 0x2
	scratch_load_b128 v[46:49], off, off offset:136
	scratch_load_b128 v[50:53], off, off offset:152
	scratch_load_b64 v[62:63], off, off offset:128
	ds_load_2addr_b64 v[54:57], v43 offset0:39 offset1:40
	ds_load_2addr_b64 v[58:61], v43 offset0:41 offset1:42
	s_mov_b32 s0, exec_lo
	s_wait_loadcnt_dscnt 0x201
	v_mul_f32_e32 v44, v55, v47
	s_wait_loadcnt_dscnt 0x100
	v_dual_mul_f32 v64, v58, v51 :: v_dual_mul_f32 v65, v60, v53
	s_delay_alu instid0(VALU_DEP_2) | instskip(SKIP_2) | instid1(VALU_DEP_4)
	v_fma_f32 v44, v54, v46, -v44
	v_mul_f32_e32 v43, v54, v47
	v_mul_f32_e32 v47, v56, v49
	v_dual_mul_f32 v49, v57, v49 :: v_dual_fmac_f32 v64, v59, v50
	s_delay_alu instid0(VALU_DEP_3) | instskip(NEXT) | instid1(VALU_DEP_3)
	v_dual_add_f32 v44, 0, v44 :: v_dual_fmac_f32 v43, v55, v46
	v_dual_mul_f32 v46, v59, v51 :: v_dual_fmac_f32 v47, v57, v48
	s_delay_alu instid0(VALU_DEP_3) | instskip(SKIP_1) | instid1(VALU_DEP_3)
	v_fma_f32 v48, v56, v48, -v49
	v_fmac_f32_e32 v65, v61, v52
	v_fma_f32 v46, v58, v50, -v46
	s_delay_alu instid0(VALU_DEP_3) | instskip(NEXT) | instid1(VALU_DEP_1)
	v_dual_add_f32 v44, v44, v48 :: v_dual_add_f32 v43, 0, v43
	v_dual_add_f32 v44, v44, v46 :: v_dual_mul_f32 v49, v61, v53
	s_delay_alu instid0(VALU_DEP_2) | instskip(NEXT) | instid1(VALU_DEP_2)
	v_add_f32_e32 v43, v43, v47
	v_fma_f32 v47, v60, v52, -v49
	s_delay_alu instid0(VALU_DEP_1) | instskip(SKIP_1) | instid1(VALU_DEP_1)
	v_dual_add_f32 v43, v43, v64 :: v_dual_add_f32 v44, v44, v47
	s_wait_loadcnt 0x0
	v_dual_add_f32 v46, v43, v65 :: v_dual_sub_f32 v43, v62, v44
	s_delay_alu instid0(VALU_DEP_1)
	v_sub_f32_e32 v44, v63, v46
	scratch_store_b64 off, v[43:44], off offset:128
	v_cmpx_lt_u32_e32 15, v0
	s_cbranch_execz .LBB20_109
; %bb.108:
	scratch_load_b64 v[43:44], off, off offset:120
	v_mov_b32_e32 v46, 0
	s_delay_alu instid0(VALU_DEP_1)
	v_mov_b32_e32 v47, v46
	scratch_store_b64 off, v[46:47], off offset:120
	s_wait_loadcnt 0x0
	ds_store_b64 v45, v[43:44]
.LBB20_109:
	s_wait_alu 0xfffe
	s_or_b32 exec_lo, exec_lo, s0
	s_wait_storecnt_dscnt 0x0
	s_barrier_signal -1
	s_barrier_wait -1
	global_inv scope:SCOPE_SE
	s_clause 0x3
	scratch_load_b128 v[46:49], off, off offset:128
	scratch_load_b128 v[50:53], off, off offset:144
	scratch_load_b64 v[62:63], off, off offset:160
	scratch_load_b64 v[64:65], off, off offset:120
	v_mov_b32_e32 v43, 0
	ds_load_b128 v[54:57], v43 offset:304
	ds_load_b128 v[58:61], v43 offset:320
	ds_load_b64 v[66:67], v43 offset:336
	s_mov_b32 s0, exec_lo
	s_wait_loadcnt_dscnt 0x302
	v_mul_f32_e32 v44, v54, v47
	v_dual_mul_f32 v68, v56, v49 :: v_dual_mul_f32 v47, v55, v47
	s_wait_loadcnt_dscnt 0x100
	v_mul_f32_e32 v71, v66, v63
	v_dual_mul_f32 v69, v58, v51 :: v_dual_mul_f32 v70, v60, v53
	v_dual_fmac_f32 v44, v55, v46 :: v_dual_mul_f32 v49, v57, v49
	v_fma_f32 v47, v54, v46, -v47
	v_fmac_f32_e32 v68, v57, v48
	v_mul_f32_e32 v46, v59, v51
	s_delay_alu instid0(VALU_DEP_4) | instskip(SKIP_3) | instid1(VALU_DEP_4)
	v_add_f32_e32 v44, 0, v44
	v_fma_f32 v48, v56, v48, -v49
	v_add_f32_e32 v47, 0, v47
	v_mul_f32_e32 v49, v61, v53
	v_dual_fmac_f32 v69, v59, v50 :: v_dual_add_f32 v44, v44, v68
	v_dual_fmac_f32 v70, v61, v52 :: v_dual_fmac_f32 v71, v67, v62
	s_delay_alu instid0(VALU_DEP_4) | instskip(SKIP_1) | instid1(VALU_DEP_4)
	v_add_f32_e32 v47, v47, v48
	v_fma_f32 v46, v58, v50, -v46
	v_add_f32_e32 v44, v44, v69
	v_fma_f32 v49, v60, v52, -v49
	s_delay_alu instid0(VALU_DEP_3) | instskip(NEXT) | instid1(VALU_DEP_3)
	v_add_f32_e32 v46, v47, v46
	v_add_f32_e32 v44, v44, v70
	s_delay_alu instid0(VALU_DEP_2) | instskip(NEXT) | instid1(VALU_DEP_2)
	v_add_f32_e32 v46, v46, v49
	v_add_f32_e32 v44, v44, v71
	v_mul_f32_e32 v48, v67, v63
	s_delay_alu instid0(VALU_DEP_1) | instskip(SKIP_1) | instid1(VALU_DEP_1)
	v_fma_f32 v47, v66, v62, -v48
	s_wait_loadcnt 0x0
	v_dual_add_f32 v46, v46, v47 :: v_dual_sub_f32 v47, v65, v44
	s_delay_alu instid0(VALU_DEP_1)
	v_sub_f32_e32 v46, v64, v46
	scratch_store_b64 off, v[46:47], off offset:120
	v_cmpx_lt_u32_e32 14, v0
	s_cbranch_execz .LBB20_111
; %bb.110:
	scratch_load_b64 v[46:47], off, off offset:112
	v_mov_b32_e32 v44, v43
	scratch_store_b64 off, v[43:44], off offset:112
	s_wait_loadcnt 0x0
	ds_store_b64 v45, v[46:47]
.LBB20_111:
	s_wait_alu 0xfffe
	s_or_b32 exec_lo, exec_lo, s0
	s_wait_storecnt_dscnt 0x0
	s_barrier_signal -1
	s_barrier_wait -1
	global_inv scope:SCOPE_SE
	s_clause 0x3
	scratch_load_b128 v[46:49], off, off offset:120
	scratch_load_b128 v[50:53], off, off offset:136
	;; [unrolled: 1-line block ×3, first 2 shown]
	scratch_load_b64 v[70:71], off, off offset:112
	ds_load_2addr_b64 v[58:61], v43 offset0:37 offset1:38
	ds_load_2addr_b64 v[62:65], v43 offset0:39 offset1:40
	;; [unrolled: 1-line block ×3, first 2 shown]
	s_mov_b32 s0, exec_lo
	s_wait_loadcnt_dscnt 0x302
	v_dual_mul_f32 v43, v58, v47 :: v_dual_mul_f32 v44, v60, v49
	v_mul_f32_e32 v47, v59, v47
	s_wait_loadcnt_dscnt 0x201
	v_dual_mul_f32 v49, v61, v49 :: v_dual_mul_f32 v72, v62, v51
	s_delay_alu instid0(VALU_DEP_3) | instskip(NEXT) | instid1(VALU_DEP_3)
	v_dual_mul_f32 v73, v64, v53 :: v_dual_fmac_f32 v44, v61, v48
	v_fma_f32 v47, v58, v46, -v47
	v_fmac_f32_e32 v43, v59, v46
	v_mul_f32_e32 v46, v63, v51
	v_fma_f32 v48, v60, v48, -v49
	v_mul_f32_e32 v49, v65, v53
	v_dual_add_f32 v47, 0, v47 :: v_dual_fmac_f32 v72, v63, v50
	s_delay_alu instid0(VALU_DEP_4) | instskip(SKIP_2) | instid1(VALU_DEP_3)
	v_fma_f32 v46, v62, v50, -v46
	s_wait_loadcnt_dscnt 0x100
	v_dual_mul_f32 v74, v66, v55 :: v_dual_mul_f32 v75, v68, v57
	v_add_f32_e32 v47, v47, v48
	v_fmac_f32_e32 v73, v65, v52
	v_fma_f32 v48, v64, v52, -v49
	s_delay_alu instid0(VALU_DEP_4) | instskip(NEXT) | instid1(VALU_DEP_4)
	v_dual_fmac_f32 v74, v67, v54 :: v_dual_fmac_f32 v75, v69, v56
	v_add_f32_e32 v46, v47, v46
	s_delay_alu instid0(VALU_DEP_1) | instskip(SKIP_1) | instid1(VALU_DEP_1)
	v_dual_add_f32 v46, v46, v48 :: v_dual_add_f32 v43, 0, v43
	v_mul_f32_e32 v47, v69, v57
	v_fma_f32 v47, v68, v56, -v47
	s_delay_alu instid0(VALU_DEP_3) | instskip(SKIP_1) | instid1(VALU_DEP_1)
	v_add_f32_e32 v43, v43, v44
	v_mul_f32_e32 v44, v67, v55
	v_fma_f32 v44, v66, v54, -v44
	s_delay_alu instid0(VALU_DEP_1) | instskip(NEXT) | instid1(VALU_DEP_1)
	v_add_f32_e32 v44, v46, v44
	v_dual_add_f32 v44, v44, v47 :: v_dual_add_f32 v43, v43, v72
	s_delay_alu instid0(VALU_DEP_1) | instskip(NEXT) | instid1(VALU_DEP_1)
	v_add_f32_e32 v43, v43, v73
	v_add_f32_e32 v43, v43, v74
	s_wait_loadcnt 0x0
	s_delay_alu instid0(VALU_DEP_1) | instskip(NEXT) | instid1(VALU_DEP_1)
	v_dual_add_f32 v46, v43, v75 :: v_dual_sub_f32 v43, v70, v44
	v_sub_f32_e32 v44, v71, v46
	scratch_store_b64 off, v[43:44], off offset:112
	v_cmpx_lt_u32_e32 13, v0
	s_cbranch_execz .LBB20_113
; %bb.112:
	scratch_load_b64 v[43:44], off, off offset:104
	v_mov_b32_e32 v46, 0
	s_delay_alu instid0(VALU_DEP_1)
	v_mov_b32_e32 v47, v46
	scratch_store_b64 off, v[46:47], off offset:104
	s_wait_loadcnt 0x0
	ds_store_b64 v45, v[43:44]
.LBB20_113:
	s_wait_alu 0xfffe
	s_or_b32 exec_lo, exec_lo, s0
	s_wait_storecnt_dscnt 0x0
	s_barrier_signal -1
	s_barrier_wait -1
	global_inv scope:SCOPE_SE
	s_clause 0x4
	scratch_load_b128 v[46:49], off, off offset:112
	scratch_load_b128 v[50:53], off, off offset:128
	;; [unrolled: 1-line block ×3, first 2 shown]
	scratch_load_b64 v[70:71], off, off offset:160
	scratch_load_b64 v[72:73], off, off offset:104
	v_mov_b32_e32 v43, 0
	ds_load_b128 v[58:61], v43 offset:288
	ds_load_b128 v[62:65], v43 offset:304
	;; [unrolled: 1-line block ×3, first 2 shown]
	ds_load_b64 v[74:75], v43 offset:336
	s_mov_b32 s0, exec_lo
	s_wait_loadcnt_dscnt 0x403
	v_mul_f32_e32 v44, v58, v47
	s_wait_loadcnt_dscnt 0x302
	v_dual_mul_f32 v76, v60, v49 :: v_dual_mul_f32 v77, v62, v51
	v_dual_mul_f32 v78, v64, v53 :: v_dual_mul_f32 v47, v59, v47
	s_wait_loadcnt_dscnt 0x100
	v_dual_mul_f32 v81, v74, v71 :: v_dual_fmac_f32 v44, v59, v46
	v_mul_f32_e32 v49, v61, v49
	v_dual_mul_f32 v79, v66, v55 :: v_dual_mul_f32 v80, v68, v57
	v_fma_f32 v47, v58, v46, -v47
	v_fmac_f32_e32 v76, v61, v48
	v_add_f32_e32 v44, 0, v44
	v_mul_f32_e32 v46, v63, v51
	v_fma_f32 v48, v60, v48, -v49
	v_add_f32_e32 v47, 0, v47
	v_mul_f32_e32 v49, v65, v53
	v_dual_fmac_f32 v77, v63, v50 :: v_dual_add_f32 v44, v44, v76
	v_dual_fmac_f32 v78, v65, v52 :: v_dual_fmac_f32 v79, v67, v54
	s_delay_alu instid0(VALU_DEP_4) | instskip(SKIP_1) | instid1(VALU_DEP_4)
	v_add_f32_e32 v47, v47, v48
	v_dual_fmac_f32 v80, v69, v56 :: v_dual_fmac_f32 v81, v75, v70
	v_add_f32_e32 v44, v44, v77
	v_fma_f32 v46, v62, v50, -v46
	v_mul_f32_e32 v48, v67, v55
	v_fma_f32 v49, v64, v52, -v49
	s_delay_alu instid0(VALU_DEP_4) | instskip(NEXT) | instid1(VALU_DEP_1)
	v_add_f32_e32 v44, v44, v78
	v_add_f32_e32 v44, v44, v79
	s_delay_alu instid0(VALU_DEP_1) | instskip(NEXT) | instid1(VALU_DEP_1)
	v_add_f32_e32 v44, v44, v80
	v_add_f32_e32 v44, v44, v81
	v_dual_add_f32 v46, v47, v46 :: v_dual_mul_f32 v47, v69, v57
	v_fma_f32 v48, v66, v54, -v48
	s_delay_alu instid0(VALU_DEP_2) | instskip(NEXT) | instid1(VALU_DEP_3)
	v_dual_add_f32 v46, v46, v49 :: v_dual_mul_f32 v49, v75, v71
	v_fma_f32 v47, v68, v56, -v47
	s_delay_alu instid0(VALU_DEP_2) | instskip(NEXT) | instid1(VALU_DEP_3)
	v_add_f32_e32 v46, v46, v48
	v_fma_f32 v48, v74, v70, -v49
	s_wait_loadcnt 0x0
	s_delay_alu instid0(VALU_DEP_2) | instskip(NEXT) | instid1(VALU_DEP_1)
	v_dual_add_f32 v46, v46, v47 :: v_dual_sub_f32 v47, v73, v44
	v_add_f32_e32 v46, v46, v48
	s_delay_alu instid0(VALU_DEP_1)
	v_sub_f32_e32 v46, v72, v46
	scratch_store_b64 off, v[46:47], off offset:104
	v_cmpx_lt_u32_e32 12, v0
	s_cbranch_execz .LBB20_115
; %bb.114:
	scratch_load_b64 v[46:47], off, off offset:96
	v_mov_b32_e32 v44, v43
	scratch_store_b64 off, v[43:44], off offset:96
	s_wait_loadcnt 0x0
	ds_store_b64 v45, v[46:47]
.LBB20_115:
	s_wait_alu 0xfffe
	s_or_b32 exec_lo, exec_lo, s0
	s_wait_storecnt_dscnt 0x0
	s_barrier_signal -1
	s_barrier_wait -1
	global_inv scope:SCOPE_SE
	s_clause 0x4
	scratch_load_b128 v[46:49], off, off offset:104
	scratch_load_b128 v[50:53], off, off offset:120
	;; [unrolled: 1-line block ×4, first 2 shown]
	scratch_load_b64 v[78:79], off, off offset:96
	ds_load_2addr_b64 v[62:65], v43 offset0:35 offset1:36
	ds_load_2addr_b64 v[66:69], v43 offset0:37 offset1:38
	;; [unrolled: 1-line block ×4, first 2 shown]
	s_mov_b32 s0, exec_lo
	s_wait_loadcnt_dscnt 0x403
	v_dual_mul_f32 v43, v62, v47 :: v_dual_mul_f32 v44, v64, v49
	v_mul_f32_e32 v47, v63, v47
	s_wait_loadcnt_dscnt 0x302
	v_dual_mul_f32 v49, v65, v49 :: v_dual_mul_f32 v80, v66, v51
	s_delay_alu instid0(VALU_DEP_3) | instskip(NEXT) | instid1(VALU_DEP_3)
	v_dual_mul_f32 v81, v68, v53 :: v_dual_fmac_f32 v44, v65, v48
	v_fma_f32 v47, v62, v46, -v47
	v_fmac_f32_e32 v43, v63, v46
	v_mul_f32_e32 v46, v67, v51
	v_fma_f32 v48, v64, v48, -v49
	v_mul_f32_e32 v49, v69, v53
	v_dual_add_f32 v47, 0, v47 :: v_dual_fmac_f32 v80, v67, v50
	s_delay_alu instid0(VALU_DEP_4) | instskip(SKIP_2) | instid1(VALU_DEP_3)
	v_fma_f32 v46, v66, v50, -v46
	s_wait_loadcnt_dscnt 0x201
	v_dual_mul_f32 v82, v70, v55 :: v_dual_mul_f32 v83, v72, v57
	v_add_f32_e32 v47, v47, v48
	v_fmac_f32_e32 v81, v69, v52
	v_fma_f32 v48, v68, v52, -v49
	s_wait_loadcnt_dscnt 0x100
	v_dual_mul_f32 v84, v74, v59 :: v_dual_mul_f32 v85, v76, v61
	v_dual_add_f32 v46, v47, v46 :: v_dual_mul_f32 v47, v73, v57
	v_dual_fmac_f32 v82, v71, v54 :: v_dual_fmac_f32 v83, v73, v56
	s_delay_alu instid0(VALU_DEP_3) | instskip(NEXT) | instid1(VALU_DEP_3)
	v_fmac_f32_e32 v84, v75, v58
	v_dual_add_f32 v46, v46, v48 :: v_dual_add_f32 v43, 0, v43
	v_mul_f32_e32 v48, v75, v59
	v_fma_f32 v47, v72, v56, -v47
	v_fmac_f32_e32 v85, v77, v60
	s_delay_alu instid0(VALU_DEP_4) | instskip(SKIP_2) | instid1(VALU_DEP_2)
	v_add_f32_e32 v43, v43, v44
	v_mul_f32_e32 v44, v71, v55
	v_fma_f32 v48, v74, v58, -v48
	v_fma_f32 v44, v70, v54, -v44
	s_delay_alu instid0(VALU_DEP_1) | instskip(SKIP_1) | instid1(VALU_DEP_2)
	v_add_f32_e32 v44, v46, v44
	v_mul_f32_e32 v46, v77, v61
	v_add_f32_e32 v44, v44, v47
	s_delay_alu instid0(VALU_DEP_2) | instskip(NEXT) | instid1(VALU_DEP_2)
	v_fma_f32 v46, v76, v60, -v46
	v_add_f32_e32 v44, v44, v48
	s_delay_alu instid0(VALU_DEP_1) | instskip(NEXT) | instid1(VALU_DEP_1)
	v_dual_add_f32 v43, v43, v80 :: v_dual_add_f32 v44, v44, v46
	v_add_f32_e32 v43, v43, v81
	s_delay_alu instid0(VALU_DEP_1) | instskip(NEXT) | instid1(VALU_DEP_1)
	v_add_f32_e32 v43, v43, v82
	v_add_f32_e32 v43, v43, v83
	s_delay_alu instid0(VALU_DEP_1) | instskip(SKIP_1) | instid1(VALU_DEP_1)
	v_add_f32_e32 v43, v43, v84
	s_wait_loadcnt 0x0
	v_dual_add_f32 v46, v43, v85 :: v_dual_sub_f32 v43, v78, v44
	s_delay_alu instid0(VALU_DEP_1)
	v_sub_f32_e32 v44, v79, v46
	scratch_store_b64 off, v[43:44], off offset:96
	v_cmpx_lt_u32_e32 11, v0
	s_cbranch_execz .LBB20_117
; %bb.116:
	scratch_load_b64 v[43:44], off, off offset:88
	v_mov_b32_e32 v46, 0
	s_delay_alu instid0(VALU_DEP_1)
	v_mov_b32_e32 v47, v46
	scratch_store_b64 off, v[46:47], off offset:88
	s_wait_loadcnt 0x0
	ds_store_b64 v45, v[43:44]
.LBB20_117:
	s_wait_alu 0xfffe
	s_or_b32 exec_lo, exec_lo, s0
	s_wait_storecnt_dscnt 0x0
	s_barrier_signal -1
	s_barrier_wait -1
	global_inv scope:SCOPE_SE
	s_clause 0x5
	scratch_load_b128 v[46:49], off, off offset:96
	scratch_load_b128 v[50:53], off, off offset:112
	;; [unrolled: 1-line block ×4, first 2 shown]
	scratch_load_b64 v[78:79], off, off offset:160
	scratch_load_b64 v[80:81], off, off offset:88
	v_mov_b32_e32 v43, 0
	ds_load_b128 v[62:65], v43 offset:272
	ds_load_b128 v[66:69], v43 offset:288
	;; [unrolled: 1-line block ×4, first 2 shown]
	ds_load_b64 v[82:83], v43 offset:336
	s_mov_b32 s0, exec_lo
	s_wait_loadcnt_dscnt 0x504
	v_mul_f32_e32 v44, v62, v47
	s_wait_loadcnt_dscnt 0x403
	v_dual_mul_f32 v84, v64, v49 :: v_dual_mul_f32 v85, v66, v51
	s_wait_loadcnt_dscnt 0x302
	v_dual_mul_f32 v88, v72, v57 :: v_dual_mul_f32 v47, v63, v47
	s_wait_loadcnt_dscnt 0x100
	v_dual_mul_f32 v91, v82, v79 :: v_dual_fmac_f32 v44, v63, v46
	v_mul_f32_e32 v49, v65, v49
	v_dual_mul_f32 v86, v68, v53 :: v_dual_mul_f32 v87, v70, v55
	v_fma_f32 v47, v62, v46, -v47
	v_fmac_f32_e32 v84, v65, v48
	v_add_f32_e32 v44, 0, v44
	v_mul_f32_e32 v46, v67, v51
	v_fma_f32 v48, v64, v48, -v49
	v_add_f32_e32 v47, 0, v47
	v_mul_f32_e32 v49, v69, v53
	v_dual_fmac_f32 v85, v67, v50 :: v_dual_add_f32 v44, v44, v84
	v_dual_fmac_f32 v86, v69, v52 :: v_dual_fmac_f32 v87, v71, v54
	s_delay_alu instid0(VALU_DEP_4) | instskip(SKIP_1) | instid1(VALU_DEP_4)
	v_add_f32_e32 v47, v47, v48
	v_dual_mul_f32 v89, v74, v59 :: v_dual_mul_f32 v90, v76, v61
	v_add_f32_e32 v44, v44, v85
	v_dual_fmac_f32 v88, v73, v56 :: v_dual_fmac_f32 v91, v83, v78
	s_delay_alu instid0(VALU_DEP_3) | instskip(NEXT) | instid1(VALU_DEP_3)
	v_dual_fmac_f32 v89, v75, v58 :: v_dual_fmac_f32 v90, v77, v60
	v_add_f32_e32 v44, v44, v86
	v_fma_f32 v46, v66, v50, -v46
	v_mul_f32_e32 v48, v71, v55
	v_fma_f32 v49, v68, v52, -v49
	s_delay_alu instid0(VALU_DEP_4) | instskip(NEXT) | instid1(VALU_DEP_1)
	v_add_f32_e32 v44, v44, v87
	v_add_f32_e32 v44, v44, v88
	s_delay_alu instid0(VALU_DEP_1) | instskip(NEXT) | instid1(VALU_DEP_1)
	v_add_f32_e32 v44, v44, v89
	v_add_f32_e32 v44, v44, v90
	s_delay_alu instid0(VALU_DEP_1) | instskip(SKIP_2) | instid1(VALU_DEP_2)
	v_add_f32_e32 v44, v44, v91
	v_dual_add_f32 v46, v47, v46 :: v_dual_mul_f32 v47, v73, v57
	v_fma_f32 v48, v70, v54, -v48
	v_dual_add_f32 v46, v46, v49 :: v_dual_mul_f32 v49, v75, v59
	s_delay_alu instid0(VALU_DEP_3) | instskip(NEXT) | instid1(VALU_DEP_2)
	v_fma_f32 v47, v72, v56, -v47
	v_add_f32_e32 v46, v46, v48
	v_mul_f32_e32 v48, v77, v61
	s_delay_alu instid0(VALU_DEP_4) | instskip(NEXT) | instid1(VALU_DEP_3)
	v_fma_f32 v49, v74, v58, -v49
	v_add_f32_e32 v46, v46, v47
	v_mul_f32_e32 v47, v83, v79
	s_delay_alu instid0(VALU_DEP_4) | instskip(NEXT) | instid1(VALU_DEP_3)
	v_fma_f32 v48, v76, v60, -v48
	v_add_f32_e32 v46, v46, v49
	s_delay_alu instid0(VALU_DEP_3) | instskip(NEXT) | instid1(VALU_DEP_2)
	v_fma_f32 v47, v82, v78, -v47
	v_add_f32_e32 v46, v46, v48
	s_wait_loadcnt 0x0
	s_delay_alu instid0(VALU_DEP_1) | instskip(NEXT) | instid1(VALU_DEP_1)
	v_dual_add_f32 v46, v46, v47 :: v_dual_sub_f32 v47, v81, v44
	v_sub_f32_e32 v46, v80, v46
	scratch_store_b64 off, v[46:47], off offset:88
	v_cmpx_lt_u32_e32 10, v0
	s_cbranch_execz .LBB20_119
; %bb.118:
	scratch_load_b64 v[46:47], off, off offset:80
	v_mov_b32_e32 v44, v43
	scratch_store_b64 off, v[43:44], off offset:80
	s_wait_loadcnt 0x0
	ds_store_b64 v45, v[46:47]
.LBB20_119:
	s_wait_alu 0xfffe
	s_or_b32 exec_lo, exec_lo, s0
	s_wait_storecnt_dscnt 0x0
	s_barrier_signal -1
	s_barrier_wait -1
	global_inv scope:SCOPE_SE
	s_clause 0x5
	scratch_load_b128 v[46:49], off, off offset:88
	scratch_load_b128 v[50:53], off, off offset:104
	;; [unrolled: 1-line block ×5, first 2 shown]
	scratch_load_b64 v[86:87], off, off offset:80
	ds_load_2addr_b64 v[66:69], v43 offset0:33 offset1:34
	ds_load_2addr_b64 v[70:73], v43 offset0:35 offset1:36
	;; [unrolled: 1-line block ×5, first 2 shown]
	s_mov_b32 s0, exec_lo
	s_wait_loadcnt_dscnt 0x504
	v_dual_mul_f32 v43, v66, v47 :: v_dual_mul_f32 v44, v68, v49
	v_mul_f32_e32 v47, v67, v47
	s_wait_loadcnt_dscnt 0x403
	v_dual_mul_f32 v49, v69, v49 :: v_dual_mul_f32 v88, v70, v51
	s_delay_alu instid0(VALU_DEP_3) | instskip(NEXT) | instid1(VALU_DEP_3)
	v_dual_mul_f32 v89, v72, v53 :: v_dual_fmac_f32 v44, v69, v48
	v_fma_f32 v47, v66, v46, -v47
	v_fmac_f32_e32 v43, v67, v46
	v_mul_f32_e32 v46, v71, v51
	v_fma_f32 v48, v68, v48, -v49
	v_mul_f32_e32 v49, v73, v53
	v_dual_add_f32 v47, 0, v47 :: v_dual_fmac_f32 v88, v71, v50
	s_delay_alu instid0(VALU_DEP_4) | instskip(SKIP_2) | instid1(VALU_DEP_3)
	v_fma_f32 v46, v70, v50, -v46
	s_wait_loadcnt_dscnt 0x302
	v_dual_mul_f32 v90, v74, v55 :: v_dual_mul_f32 v91, v76, v57
	v_add_f32_e32 v47, v47, v48
	v_fmac_f32_e32 v89, v73, v52
	v_fma_f32 v48, v72, v52, -v49
	s_wait_loadcnt_dscnt 0x201
	v_dual_mul_f32 v92, v78, v59 :: v_dual_mul_f32 v93, v80, v61
	v_dual_add_f32 v46, v47, v46 :: v_dual_mul_f32 v47, v77, v57
	v_fmac_f32_e32 v90, v75, v54
	s_wait_loadcnt_dscnt 0x100
	v_dual_mul_f32 v94, v82, v63 :: v_dual_mul_f32 v95, v84, v65
	s_delay_alu instid0(VALU_DEP_3) | instskip(SKIP_3) | instid1(VALU_DEP_4)
	v_dual_add_f32 v46, v46, v48 :: v_dual_add_f32 v43, 0, v43
	v_mul_f32_e32 v48, v79, v59
	v_fma_f32 v47, v76, v56, -v47
	v_dual_fmac_f32 v91, v77, v56 :: v_dual_fmac_f32 v92, v79, v58
	v_add_f32_e32 v43, v43, v44
	v_mul_f32_e32 v44, v75, v55
	v_fma_f32 v48, v78, v58, -v48
	v_dual_fmac_f32 v93, v81, v60 :: v_dual_fmac_f32 v94, v83, v62
	s_delay_alu instid0(VALU_DEP_3) | instskip(NEXT) | instid1(VALU_DEP_1)
	v_fma_f32 v44, v74, v54, -v44
	v_add_f32_e32 v44, v46, v44
	v_mul_f32_e32 v46, v81, v61
	s_delay_alu instid0(VALU_DEP_2) | instskip(SKIP_1) | instid1(VALU_DEP_3)
	v_dual_add_f32 v44, v44, v47 :: v_dual_add_f32 v43, v43, v88
	v_mul_f32_e32 v47, v83, v63
	v_fma_f32 v46, v80, v60, -v46
	s_delay_alu instid0(VALU_DEP_3) | instskip(SKIP_3) | instid1(VALU_DEP_4)
	v_add_f32_e32 v44, v44, v48
	v_mul_f32_e32 v48, v85, v65
	v_add_f32_e32 v43, v43, v89
	v_fma_f32 v47, v82, v62, -v47
	v_dual_add_f32 v44, v44, v46 :: v_dual_fmac_f32 v95, v85, v64
	s_delay_alu instid0(VALU_DEP_3) | instskip(SKIP_1) | instid1(VALU_DEP_3)
	v_add_f32_e32 v43, v43, v90
	v_fma_f32 v46, v84, v64, -v48
	v_add_f32_e32 v44, v44, v47
	s_delay_alu instid0(VALU_DEP_1) | instskip(NEXT) | instid1(VALU_DEP_1)
	v_dual_add_f32 v43, v43, v91 :: v_dual_add_f32 v44, v44, v46
	v_add_f32_e32 v43, v43, v92
	s_delay_alu instid0(VALU_DEP_1) | instskip(NEXT) | instid1(VALU_DEP_1)
	v_add_f32_e32 v43, v43, v93
	v_add_f32_e32 v43, v43, v94
	s_wait_loadcnt 0x0
	s_delay_alu instid0(VALU_DEP_1) | instskip(NEXT) | instid1(VALU_DEP_1)
	v_dual_add_f32 v46, v43, v95 :: v_dual_sub_f32 v43, v86, v44
	v_sub_f32_e32 v44, v87, v46
	scratch_store_b64 off, v[43:44], off offset:80
	v_cmpx_lt_u32_e32 9, v0
	s_cbranch_execz .LBB20_121
; %bb.120:
	scratch_load_b64 v[43:44], off, off offset:72
	v_mov_b32_e32 v46, 0
	s_delay_alu instid0(VALU_DEP_1)
	v_mov_b32_e32 v47, v46
	scratch_store_b64 off, v[46:47], off offset:72
	s_wait_loadcnt 0x0
	ds_store_b64 v45, v[43:44]
.LBB20_121:
	s_wait_alu 0xfffe
	s_or_b32 exec_lo, exec_lo, s0
	s_wait_storecnt_dscnt 0x0
	s_barrier_signal -1
	s_barrier_wait -1
	global_inv scope:SCOPE_SE
	s_clause 0x6
	scratch_load_b128 v[46:49], off, off offset:80
	scratch_load_b128 v[50:53], off, off offset:96
	;; [unrolled: 1-line block ×5, first 2 shown]
	scratch_load_b64 v[86:87], off, off offset:160
	scratch_load_b64 v[88:89], off, off offset:72
	v_mov_b32_e32 v43, 0
	ds_load_b128 v[66:69], v43 offset:256
	ds_load_b128 v[70:73], v43 offset:272
	;; [unrolled: 1-line block ×5, first 2 shown]
	ds_load_b64 v[90:91], v43 offset:336
	s_mov_b32 s0, exec_lo
	s_wait_loadcnt_dscnt 0x605
	v_mul_f32_e32 v44, v66, v47
	v_dual_mul_f32 v47, v67, v47 :: v_dual_mul_f32 v92, v68, v49
	s_wait_loadcnt_dscnt 0x302
	v_dual_mul_f32 v93, v70, v51 :: v_dual_mul_f32 v98, v80, v61
	s_wait_loadcnt_dscnt 0x100
	v_dual_mul_f32 v101, v90, v87 :: v_dual_fmac_f32 v44, v67, v46
	v_mul_f32_e32 v49, v69, v49
	v_fma_f32 v47, v66, v46, -v47
	v_mul_f32_e32 v46, v71, v51
	v_fmac_f32_e32 v92, v69, v48
	v_add_f32_e32 v44, 0, v44
	v_fma_f32 v48, v68, v48, -v49
	v_add_f32_e32 v47, 0, v47
	v_mul_f32_e32 v49, v73, v53
	s_delay_alu instid0(VALU_DEP_4) | instskip(SKIP_1) | instid1(VALU_DEP_4)
	v_dual_fmac_f32 v93, v71, v50 :: v_dual_add_f32 v44, v44, v92
	v_fma_f32 v46, v70, v50, -v46
	v_dual_add_f32 v47, v47, v48 :: v_dual_mul_f32 v94, v72, v53
	v_mul_f32_e32 v95, v74, v55
	v_mul_f32_e32 v48, v75, v55
	v_fma_f32 v49, v72, v52, -v49
	v_add_f32_e32 v44, v44, v93
	v_add_f32_e32 v46, v47, v46
	v_dual_fmac_f32 v94, v73, v52 :: v_dual_fmac_f32 v95, v75, v54
	v_mul_f32_e32 v47, v77, v57
	v_fma_f32 v48, v74, v54, -v48
	s_delay_alu instid0(VALU_DEP_4) | instskip(SKIP_4) | instid1(VALU_DEP_3)
	v_dual_add_f32 v46, v46, v49 :: v_dual_mul_f32 v49, v79, v59
	v_dual_mul_f32 v96, v76, v57 :: v_dual_mul_f32 v97, v78, v59
	v_dual_mul_f32 v99, v82, v63 :: v_dual_mul_f32 v100, v84, v65
	v_add_f32_e32 v44, v44, v94
	v_fma_f32 v47, v76, v56, -v47
	v_dual_add_f32 v46, v46, v48 :: v_dual_fmac_f32 v99, v83, v62
	v_dual_fmac_f32 v96, v77, v56 :: v_dual_fmac_f32 v97, v79, v58
	v_mul_f32_e32 v48, v81, v61
	s_delay_alu instid0(VALU_DEP_3)
	v_add_f32_e32 v46, v46, v47
	v_mul_f32_e32 v47, v83, v63
	v_dual_add_f32 v44, v44, v95 :: v_dual_fmac_f32 v101, v91, v86
	v_fma_f32 v49, v78, v58, -v49
	v_fmac_f32_e32 v98, v81, v60
	v_fma_f32 v48, v80, v60, -v48
	s_delay_alu instid0(VALU_DEP_4)
	v_add_f32_e32 v44, v44, v96
	v_fma_f32 v47, v82, v62, -v47
	v_add_f32_e32 v46, v46, v49
	v_mul_f32_e32 v49, v85, v65
	v_fmac_f32_e32 v100, v85, v64
	v_add_f32_e32 v44, v44, v97
	s_delay_alu instid0(VALU_DEP_4) | instskip(SKIP_2) | instid1(VALU_DEP_4)
	v_add_f32_e32 v46, v46, v48
	v_mul_f32_e32 v48, v91, v87
	v_fma_f32 v49, v84, v64, -v49
	v_add_f32_e32 v44, v44, v98
	s_delay_alu instid0(VALU_DEP_4) | instskip(NEXT) | instid1(VALU_DEP_4)
	v_add_f32_e32 v46, v46, v47
	v_fma_f32 v47, v90, v86, -v48
	s_delay_alu instid0(VALU_DEP_3) | instskip(NEXT) | instid1(VALU_DEP_3)
	v_add_f32_e32 v44, v44, v99
	v_add_f32_e32 v46, v46, v49
	s_delay_alu instid0(VALU_DEP_2) | instskip(NEXT) | instid1(VALU_DEP_2)
	v_add_f32_e32 v44, v44, v100
	v_add_f32_e32 v46, v46, v47
	s_delay_alu instid0(VALU_DEP_2) | instskip(SKIP_1) | instid1(VALU_DEP_1)
	v_add_f32_e32 v44, v44, v101
	s_wait_loadcnt 0x0
	v_dual_sub_f32 v46, v88, v46 :: v_dual_sub_f32 v47, v89, v44
	scratch_store_b64 off, v[46:47], off offset:72
	v_cmpx_lt_u32_e32 8, v0
	s_cbranch_execz .LBB20_123
; %bb.122:
	scratch_load_b64 v[46:47], off, off offset:64
	v_mov_b32_e32 v44, v43
	scratch_store_b64 off, v[43:44], off offset:64
	s_wait_loadcnt 0x0
	ds_store_b64 v45, v[46:47]
.LBB20_123:
	s_wait_alu 0xfffe
	s_or_b32 exec_lo, exec_lo, s0
	s_wait_storecnt_dscnt 0x0
	s_barrier_signal -1
	s_barrier_wait -1
	global_inv scope:SCOPE_SE
	s_clause 0x6
	scratch_load_b128 v[46:49], off, off offset:72
	scratch_load_b128 v[50:53], off, off offset:88
	;; [unrolled: 1-line block ×6, first 2 shown]
	scratch_load_b64 v[94:95], off, off offset:64
	ds_load_2addr_b64 v[70:73], v43 offset0:31 offset1:32
	ds_load_2addr_b64 v[74:77], v43 offset0:33 offset1:34
	;; [unrolled: 1-line block ×6, first 2 shown]
	s_mov_b32 s0, exec_lo
	s_wait_loadcnt_dscnt 0x605
	v_dual_mul_f32 v43, v70, v47 :: v_dual_mul_f32 v44, v72, v49
	v_mul_f32_e32 v47, v71, v47
	s_wait_loadcnt_dscnt 0x504
	v_dual_mul_f32 v49, v73, v49 :: v_dual_mul_f32 v96, v74, v51
	s_delay_alu instid0(VALU_DEP_3) | instskip(NEXT) | instid1(VALU_DEP_3)
	v_dual_mul_f32 v97, v76, v53 :: v_dual_fmac_f32 v44, v73, v48
	v_fma_f32 v47, v70, v46, -v47
	v_fmac_f32_e32 v43, v71, v46
	v_mul_f32_e32 v46, v75, v51
	v_fma_f32 v48, v72, v48, -v49
	v_mul_f32_e32 v49, v77, v53
	v_dual_add_f32 v47, 0, v47 :: v_dual_fmac_f32 v96, v75, v50
	s_delay_alu instid0(VALU_DEP_4) | instskip(SKIP_2) | instid1(VALU_DEP_3)
	v_fma_f32 v46, v74, v50, -v46
	s_wait_loadcnt_dscnt 0x403
	v_dual_mul_f32 v98, v78, v55 :: v_dual_mul_f32 v99, v80, v57
	v_add_f32_e32 v47, v47, v48
	v_fmac_f32_e32 v97, v77, v52
	v_fma_f32 v48, v76, v52, -v49
	s_wait_loadcnt_dscnt 0x302
	v_dual_mul_f32 v100, v82, v59 :: v_dual_mul_f32 v101, v84, v61
	v_dual_add_f32 v46, v47, v46 :: v_dual_mul_f32 v47, v81, v57
	v_fmac_f32_e32 v98, v79, v54
	s_wait_loadcnt_dscnt 0x201
	v_dual_mul_f32 v102, v86, v63 :: v_dual_mul_f32 v103, v88, v65
	s_delay_alu instid0(VALU_DEP_3) | instskip(SKIP_3) | instid1(VALU_DEP_4)
	v_dual_add_f32 v46, v46, v48 :: v_dual_add_f32 v43, 0, v43
	v_mul_f32_e32 v48, v83, v59
	v_fma_f32 v47, v80, v56, -v47
	v_dual_fmac_f32 v99, v81, v56 :: v_dual_fmac_f32 v100, v83, v58
	v_add_f32_e32 v43, v43, v44
	v_mul_f32_e32 v44, v79, v55
	v_fma_f32 v48, v82, v58, -v48
	v_dual_fmac_f32 v101, v85, v60 :: v_dual_fmac_f32 v102, v87, v62
	s_wait_loadcnt_dscnt 0x100
	v_dual_mul_f32 v104, v90, v67 :: v_dual_mul_f32 v105, v92, v69
	v_fma_f32 v44, v78, v54, -v44
	s_delay_alu instid0(VALU_DEP_2) | instskip(NEXT) | instid1(VALU_DEP_3)
	v_dual_fmac_f32 v103, v89, v64 :: v_dual_fmac_f32 v104, v91, v66
	v_fmac_f32_e32 v105, v93, v68
	s_delay_alu instid0(VALU_DEP_3) | instskip(SKIP_1) | instid1(VALU_DEP_2)
	v_add_f32_e32 v44, v46, v44
	v_mul_f32_e32 v46, v85, v61
	v_dual_add_f32 v44, v44, v47 :: v_dual_add_f32 v43, v43, v96
	v_mul_f32_e32 v47, v87, v63
	s_delay_alu instid0(VALU_DEP_3) | instskip(NEXT) | instid1(VALU_DEP_3)
	v_fma_f32 v46, v84, v60, -v46
	v_add_f32_e32 v44, v44, v48
	v_mul_f32_e32 v48, v89, v65
	v_add_f32_e32 v43, v43, v97
	v_fma_f32 v47, v86, v62, -v47
	s_delay_alu instid0(VALU_DEP_4) | instskip(SKIP_1) | instid1(VALU_DEP_4)
	v_add_f32_e32 v44, v44, v46
	v_mul_f32_e32 v46, v91, v67
	v_add_f32_e32 v43, v43, v98
	v_fma_f32 v48, v88, v64, -v48
	s_delay_alu instid0(VALU_DEP_4) | instskip(NEXT) | instid1(VALU_DEP_3)
	v_dual_add_f32 v44, v44, v47 :: v_dual_mul_f32 v47, v93, v69
	v_add_f32_e32 v43, v43, v99
	v_fma_f32 v46, v90, v66, -v46
	s_delay_alu instid0(VALU_DEP_3) | instskip(NEXT) | instid1(VALU_DEP_4)
	v_add_f32_e32 v44, v44, v48
	v_fma_f32 v47, v92, v68, -v47
	s_delay_alu instid0(VALU_DEP_2) | instskip(NEXT) | instid1(VALU_DEP_1)
	v_dual_add_f32 v43, v43, v100 :: v_dual_add_f32 v44, v44, v46
	v_dual_add_f32 v43, v43, v101 :: v_dual_add_f32 v44, v44, v47
	s_delay_alu instid0(VALU_DEP_1) | instskip(NEXT) | instid1(VALU_DEP_1)
	v_add_f32_e32 v43, v43, v102
	v_add_f32_e32 v43, v43, v103
	s_delay_alu instid0(VALU_DEP_1) | instskip(SKIP_1) | instid1(VALU_DEP_1)
	v_add_f32_e32 v43, v43, v104
	s_wait_loadcnt 0x0
	v_dual_add_f32 v46, v43, v105 :: v_dual_sub_f32 v43, v94, v44
	s_delay_alu instid0(VALU_DEP_1)
	v_sub_f32_e32 v44, v95, v46
	scratch_store_b64 off, v[43:44], off offset:64
	v_cmpx_lt_u32_e32 7, v0
	s_cbranch_execz .LBB20_125
; %bb.124:
	scratch_load_b64 v[43:44], off, off offset:56
	v_mov_b32_e32 v46, 0
	s_delay_alu instid0(VALU_DEP_1)
	v_mov_b32_e32 v47, v46
	scratch_store_b64 off, v[46:47], off offset:56
	s_wait_loadcnt 0x0
	ds_store_b64 v45, v[43:44]
.LBB20_125:
	s_wait_alu 0xfffe
	s_or_b32 exec_lo, exec_lo, s0
	s_wait_storecnt_dscnt 0x0
	s_barrier_signal -1
	s_barrier_wait -1
	global_inv scope:SCOPE_SE
	s_clause 0x7
	scratch_load_b128 v[46:49], off, off offset:64
	scratch_load_b128 v[50:53], off, off offset:80
	;; [unrolled: 1-line block ×6, first 2 shown]
	scratch_load_b64 v[94:95], off, off offset:160
	scratch_load_b64 v[96:97], off, off offset:56
	v_mov_b32_e32 v43, 0
	ds_load_b128 v[70:73], v43 offset:240
	ds_load_b128 v[74:77], v43 offset:256
	;; [unrolled: 1-line block ×6, first 2 shown]
	ds_load_b64 v[98:99], v43 offset:336
	s_mov_b32 s0, exec_lo
	s_wait_loadcnt_dscnt 0x706
	v_mul_f32_e32 v44, v70, v47
	v_dual_mul_f32 v47, v71, v47 :: v_dual_mul_f32 v100, v72, v49
	s_wait_loadcnt_dscnt 0x302
	v_dual_mul_f32 v101, v74, v51 :: v_dual_mul_f32 v108, v88, v65
	v_mul_f32_e32 v49, v73, v49
	s_wait_loadcnt_dscnt 0x100
	v_dual_mul_f32 v111, v98, v95 :: v_dual_fmac_f32 v44, v71, v46
	v_fma_f32 v47, v70, v46, -v47
	v_mul_f32_e32 v46, v75, v51
	v_fmac_f32_e32 v100, v73, v48
	v_fma_f32 v48, v72, v48, -v49
	v_dual_add_f32 v44, 0, v44 :: v_dual_mul_f32 v49, v77, v53
	v_add_f32_e32 v47, 0, v47
	v_fmac_f32_e32 v101, v75, v50
	v_fma_f32 v46, v74, v50, -v46
	s_delay_alu instid0(VALU_DEP_4)
	v_add_f32_e32 v44, v44, v100
	v_fma_f32 v49, v76, v52, -v49
	v_add_f32_e32 v47, v47, v48
	v_mul_f32_e32 v48, v79, v55
	v_dual_mul_f32 v102, v76, v53 :: v_dual_mul_f32 v103, v78, v55
	v_add_f32_e32 v44, v44, v101
	s_delay_alu instid0(VALU_DEP_4) | instskip(NEXT) | instid1(VALU_DEP_4)
	v_dual_add_f32 v46, v47, v46 :: v_dual_mul_f32 v47, v81, v57
	v_fma_f32 v48, v78, v54, -v48
	v_dual_mul_f32 v106, v84, v61 :: v_dual_mul_f32 v107, v86, v63
	s_delay_alu instid0(VALU_DEP_3) | instskip(NEXT) | instid1(VALU_DEP_4)
	v_dual_add_f32 v46, v46, v49 :: v_dual_mul_f32 v49, v83, v59
	v_fma_f32 v47, v80, v56, -v47
	v_dual_mul_f32 v109, v90, v67 :: v_dual_mul_f32 v110, v92, v69
	s_delay_alu instid0(VALU_DEP_3) | instskip(SKIP_1) | instid1(VALU_DEP_3)
	v_dual_add_f32 v46, v46, v48 :: v_dual_fmac_f32 v107, v87, v62
	v_dual_fmac_f32 v102, v77, v52 :: v_dual_fmac_f32 v103, v79, v54
	v_dual_mul_f32 v48, v85, v61 :: v_dual_fmac_f32 v109, v91, v66
	v_fma_f32 v49, v82, v58, -v49
	s_delay_alu instid0(VALU_DEP_4) | instskip(SKIP_3) | instid1(VALU_DEP_4)
	v_dual_add_f32 v46, v46, v47 :: v_dual_fmac_f32 v111, v99, v94
	v_dual_mul_f32 v104, v80, v57 :: v_dual_mul_f32 v105, v82, v59
	v_dual_add_f32 v44, v44, v102 :: v_dual_mul_f32 v47, v87, v63
	v_fma_f32 v48, v84, v60, -v48
	v_add_f32_e32 v46, v46, v49
	s_delay_alu instid0(VALU_DEP_4) | instskip(NEXT) | instid1(VALU_DEP_4)
	v_dual_fmac_f32 v104, v81, v56 :: v_dual_fmac_f32 v105, v83, v58
	v_dual_add_f32 v44, v44, v103 :: v_dual_mul_f32 v49, v89, v65
	v_fma_f32 v47, v86, v62, -v47
	s_delay_alu instid0(VALU_DEP_4)
	v_add_f32_e32 v46, v46, v48
	v_fmac_f32_e32 v106, v85, v60
	v_mul_f32_e32 v48, v91, v67
	v_fma_f32 v49, v88, v64, -v49
	v_fmac_f32_e32 v108, v89, v64
	v_dual_add_f32 v46, v46, v47 :: v_dual_mul_f32 v47, v93, v69
	v_add_f32_e32 v44, v44, v104
	v_fma_f32 v48, v90, v66, -v48
	v_fmac_f32_e32 v110, v93, v68
	s_delay_alu instid0(VALU_DEP_4) | instskip(NEXT) | instid1(VALU_DEP_4)
	v_dual_add_f32 v46, v46, v49 :: v_dual_mul_f32 v49, v99, v95
	v_add_f32_e32 v44, v44, v105
	v_fma_f32 v47, v92, v68, -v47
	s_delay_alu instid0(VALU_DEP_3) | instskip(NEXT) | instid1(VALU_DEP_4)
	v_add_f32_e32 v46, v46, v48
	v_fma_f32 v48, v98, v94, -v49
	s_delay_alu instid0(VALU_DEP_4) | instskip(NEXT) | instid1(VALU_DEP_3)
	v_add_f32_e32 v44, v44, v106
	v_add_f32_e32 v46, v46, v47
	s_delay_alu instid0(VALU_DEP_2) | instskip(NEXT) | instid1(VALU_DEP_2)
	v_add_f32_e32 v44, v44, v107
	v_add_f32_e32 v46, v46, v48
	s_delay_alu instid0(VALU_DEP_2) | instskip(SKIP_1) | instid1(VALU_DEP_2)
	v_add_f32_e32 v44, v44, v108
	s_wait_loadcnt 0x0
	v_sub_f32_e32 v46, v96, v46
	s_delay_alu instid0(VALU_DEP_2) | instskip(NEXT) | instid1(VALU_DEP_1)
	v_add_f32_e32 v44, v44, v109
	v_add_f32_e32 v44, v44, v110
	s_delay_alu instid0(VALU_DEP_1) | instskip(NEXT) | instid1(VALU_DEP_1)
	v_add_f32_e32 v44, v44, v111
	v_sub_f32_e32 v47, v97, v44
	scratch_store_b64 off, v[46:47], off offset:56
	v_cmpx_lt_u32_e32 6, v0
	s_cbranch_execz .LBB20_127
; %bb.126:
	scratch_load_b64 v[46:47], off, off offset:48
	v_mov_b32_e32 v44, v43
	scratch_store_b64 off, v[43:44], off offset:48
	s_wait_loadcnt 0x0
	ds_store_b64 v45, v[46:47]
.LBB20_127:
	s_wait_alu 0xfffe
	s_or_b32 exec_lo, exec_lo, s0
	s_wait_storecnt_dscnt 0x0
	s_barrier_signal -1
	s_barrier_wait -1
	global_inv scope:SCOPE_SE
	s_clause 0x7
	scratch_load_b128 v[46:49], off, off offset:56
	scratch_load_b128 v[50:53], off, off offset:72
	;; [unrolled: 1-line block ×7, first 2 shown]
	scratch_load_b64 v[102:103], off, off offset:48
	ds_load_2addr_b64 v[74:77], v43 offset0:29 offset1:30
	ds_load_2addr_b64 v[78:81], v43 offset0:31 offset1:32
	;; [unrolled: 1-line block ×7, first 2 shown]
	s_mov_b32 s0, exec_lo
	s_wait_loadcnt_dscnt 0x706
	v_dual_mul_f32 v43, v74, v47 :: v_dual_mul_f32 v44, v76, v49
	v_mul_f32_e32 v47, v75, v47
	s_wait_loadcnt_dscnt 0x605
	v_dual_mul_f32 v49, v77, v49 :: v_dual_mul_f32 v104, v78, v51
	s_delay_alu instid0(VALU_DEP_3) | instskip(NEXT) | instid1(VALU_DEP_3)
	v_dual_mul_f32 v105, v80, v53 :: v_dual_fmac_f32 v44, v77, v48
	v_fma_f32 v47, v74, v46, -v47
	v_fmac_f32_e32 v43, v75, v46
	v_mul_f32_e32 v46, v79, v51
	v_fma_f32 v48, v76, v48, -v49
	v_mul_f32_e32 v49, v81, v53
	v_dual_add_f32 v47, 0, v47 :: v_dual_fmac_f32 v104, v79, v50
	s_delay_alu instid0(VALU_DEP_4) | instskip(SKIP_2) | instid1(VALU_DEP_3)
	v_fma_f32 v46, v78, v50, -v46
	s_wait_loadcnt_dscnt 0x504
	v_dual_mul_f32 v106, v82, v55 :: v_dual_mul_f32 v107, v84, v57
	v_add_f32_e32 v47, v47, v48
	v_fmac_f32_e32 v105, v81, v52
	v_fma_f32 v48, v80, v52, -v49
	s_wait_loadcnt_dscnt 0x403
	v_dual_mul_f32 v108, v86, v59 :: v_dual_mul_f32 v109, v88, v61
	v_dual_add_f32 v46, v47, v46 :: v_dual_mul_f32 v47, v85, v57
	v_fmac_f32_e32 v106, v83, v54
	s_wait_loadcnt_dscnt 0x302
	v_dual_mul_f32 v110, v90, v63 :: v_dual_mul_f32 v111, v92, v65
	s_delay_alu instid0(VALU_DEP_3) | instskip(SKIP_3) | instid1(VALU_DEP_4)
	v_dual_add_f32 v46, v46, v48 :: v_dual_add_f32 v43, 0, v43
	v_mul_f32_e32 v48, v87, v59
	v_fma_f32 v47, v84, v56, -v47
	v_dual_fmac_f32 v107, v85, v56 :: v_dual_fmac_f32 v108, v87, v58
	v_add_f32_e32 v43, v43, v44
	v_mul_f32_e32 v44, v83, v55
	v_fma_f32 v48, v86, v58, -v48
	v_dual_fmac_f32 v109, v89, v60 :: v_dual_fmac_f32 v110, v91, v62
	s_wait_loadcnt_dscnt 0x201
	v_dual_mul_f32 v112, v94, v67 :: v_dual_mul_f32 v113, v96, v69
	v_fma_f32 v44, v82, v54, -v44
	s_wait_loadcnt_dscnt 0x100
	v_dual_mul_f32 v114, v98, v71 :: v_dual_mul_f32 v115, v100, v73
	s_delay_alu instid0(VALU_DEP_3) | instskip(NEXT) | instid1(VALU_DEP_3)
	v_dual_fmac_f32 v111, v93, v64 :: v_dual_fmac_f32 v112, v95, v66
	v_add_f32_e32 v44, v46, v44
	v_mul_f32_e32 v46, v89, v61
	s_delay_alu instid0(VALU_DEP_4) | instskip(NEXT) | instid1(VALU_DEP_3)
	v_dual_fmac_f32 v114, v99, v70 :: v_dual_fmac_f32 v115, v101, v72
	v_dual_fmac_f32 v113, v97, v68 :: v_dual_add_f32 v44, v44, v47
	v_add_f32_e32 v43, v43, v104
	v_mul_f32_e32 v47, v91, v63
	v_fma_f32 v46, v88, v60, -v46
	s_delay_alu instid0(VALU_DEP_4) | instskip(SKIP_3) | instid1(VALU_DEP_4)
	v_add_f32_e32 v44, v44, v48
	v_mul_f32_e32 v48, v93, v65
	v_add_f32_e32 v43, v43, v105
	v_fma_f32 v47, v90, v62, -v47
	v_add_f32_e32 v44, v44, v46
	v_mul_f32_e32 v46, v95, v67
	s_delay_alu instid0(VALU_DEP_4) | instskip(SKIP_1) | instid1(VALU_DEP_4)
	v_add_f32_e32 v43, v43, v106
	v_fma_f32 v48, v92, v64, -v48
	v_dual_add_f32 v44, v44, v47 :: v_dual_mul_f32 v47, v97, v69
	s_delay_alu instid0(VALU_DEP_3) | instskip(SKIP_1) | instid1(VALU_DEP_3)
	v_add_f32_e32 v43, v43, v107
	v_fma_f32 v46, v94, v66, -v46
	v_add_f32_e32 v44, v44, v48
	s_delay_alu instid0(VALU_DEP_4) | instskip(NEXT) | instid1(VALU_DEP_4)
	v_fma_f32 v47, v96, v68, -v47
	v_add_f32_e32 v43, v43, v108
	v_mul_f32_e32 v48, v99, v71
	s_delay_alu instid0(VALU_DEP_4) | instskip(SKIP_1) | instid1(VALU_DEP_4)
	v_add_f32_e32 v44, v44, v46
	v_mul_f32_e32 v46, v101, v73
	v_add_f32_e32 v43, v43, v109
	s_delay_alu instid0(VALU_DEP_4) | instskip(NEXT) | instid1(VALU_DEP_4)
	v_fma_f32 v48, v98, v70, -v48
	v_add_f32_e32 v44, v44, v47
	s_delay_alu instid0(VALU_DEP_4) | instskip(NEXT) | instid1(VALU_DEP_2)
	v_fma_f32 v46, v100, v72, -v46
	v_dual_add_f32 v43, v43, v110 :: v_dual_add_f32 v44, v44, v48
	s_delay_alu instid0(VALU_DEP_1) | instskip(NEXT) | instid1(VALU_DEP_1)
	v_dual_add_f32 v43, v43, v111 :: v_dual_add_f32 v44, v44, v46
	v_add_f32_e32 v43, v43, v112
	s_delay_alu instid0(VALU_DEP_1) | instskip(NEXT) | instid1(VALU_DEP_1)
	v_add_f32_e32 v43, v43, v113
	v_add_f32_e32 v43, v43, v114
	s_wait_loadcnt 0x0
	s_delay_alu instid0(VALU_DEP_1) | instskip(NEXT) | instid1(VALU_DEP_1)
	v_dual_add_f32 v46, v43, v115 :: v_dual_sub_f32 v43, v102, v44
	v_sub_f32_e32 v44, v103, v46
	scratch_store_b64 off, v[43:44], off offset:48
	v_cmpx_lt_u32_e32 5, v0
	s_cbranch_execz .LBB20_129
; %bb.128:
	scratch_load_b64 v[43:44], off, off offset:40
	v_mov_b32_e32 v46, 0
	s_delay_alu instid0(VALU_DEP_1)
	v_mov_b32_e32 v47, v46
	scratch_store_b64 off, v[46:47], off offset:40
	s_wait_loadcnt 0x0
	ds_store_b64 v45, v[43:44]
.LBB20_129:
	s_wait_alu 0xfffe
	s_or_b32 exec_lo, exec_lo, s0
	s_wait_storecnt_dscnt 0x0
	s_barrier_signal -1
	s_barrier_wait -1
	global_inv scope:SCOPE_SE
	s_clause 0x8
	scratch_load_b128 v[46:49], off, off offset:48
	scratch_load_b128 v[50:53], off, off offset:64
	;; [unrolled: 1-line block ×7, first 2 shown]
	scratch_load_b64 v[102:103], off, off offset:160
	scratch_load_b64 v[104:105], off, off offset:40
	v_mov_b32_e32 v43, 0
	ds_load_b128 v[74:77], v43 offset:224
	ds_load_b128 v[78:81], v43 offset:240
	;; [unrolled: 1-line block ×7, first 2 shown]
	ds_load_b64 v[106:107], v43 offset:336
	s_mov_b32 s0, exec_lo
	s_wait_loadcnt_dscnt 0x807
	v_mul_f32_e32 v44, v74, v47
	v_dual_mul_f32 v47, v75, v47 :: v_dual_mul_f32 v108, v76, v49
	s_wait_loadcnt_dscnt 0x706
	v_mul_f32_e32 v109, v78, v51
	v_mul_f32_e32 v49, v77, v49
	s_wait_loadcnt_dscnt 0x302
	v_mul_f32_e32 v118, v96, v69
	v_fma_f32 v47, v74, v46, -v47
	s_wait_loadcnt_dscnt 0x100
	v_dual_mul_f32 v121, v106, v103 :: v_dual_fmac_f32 v44, v75, v46
	v_mul_f32_e32 v46, v79, v51
	s_delay_alu instid0(VALU_DEP_3) | instskip(SKIP_1) | instid1(VALU_DEP_4)
	v_dual_fmac_f32 v108, v77, v48 :: v_dual_add_f32 v47, 0, v47
	v_fma_f32 v48, v76, v48, -v49
	v_dual_add_f32 v44, 0, v44 :: v_dual_mul_f32 v49, v81, v53
	v_fmac_f32_e32 v109, v79, v50
	v_fma_f32 v46, v78, v50, -v46
	v_dual_mul_f32 v110, v80, v53 :: v_dual_mul_f32 v111, v82, v55
	s_delay_alu instid0(VALU_DEP_4)
	v_add_f32_e32 v44, v44, v108
	v_add_f32_e32 v47, v47, v48
	v_mul_f32_e32 v48, v83, v55
	v_fma_f32 v49, v80, v52, -v49
	v_dual_mul_f32 v114, v88, v61 :: v_dual_mul_f32 v115, v90, v63
	v_add_f32_e32 v44, v44, v109
	v_dual_add_f32 v46, v47, v46 :: v_dual_mul_f32 v47, v85, v57
	v_fma_f32 v48, v82, v54, -v48
	v_dual_mul_f32 v116, v92, v65 :: v_dual_mul_f32 v117, v94, v67
	s_delay_alu instid0(VALU_DEP_3) | instskip(NEXT) | instid1(VALU_DEP_4)
	v_dual_add_f32 v46, v46, v49 :: v_dual_mul_f32 v49, v87, v59
	v_fma_f32 v47, v84, v56, -v47
	v_dual_mul_f32 v119, v98, v71 :: v_dual_mul_f32 v120, v100, v73
	s_delay_alu instid0(VALU_DEP_3) | instskip(SKIP_3) | instid1(VALU_DEP_4)
	v_dual_add_f32 v46, v46, v48 :: v_dual_fmac_f32 v115, v91, v62
	v_dual_fmac_f32 v110, v81, v52 :: v_dual_fmac_f32 v111, v83, v54
	v_dual_mul_f32 v48, v89, v61 :: v_dual_fmac_f32 v117, v95, v66
	v_fma_f32 v49, v86, v58, -v49
	v_dual_add_f32 v46, v46, v47 :: v_dual_fmac_f32 v119, v99, v70
	s_delay_alu instid0(VALU_DEP_4) | instskip(NEXT) | instid1(VALU_DEP_4)
	v_dual_add_f32 v44, v44, v110 :: v_dual_mul_f32 v47, v91, v63
	v_fma_f32 v48, v88, v60, -v48
	s_delay_alu instid0(VALU_DEP_3) | instskip(SKIP_3) | instid1(VALU_DEP_4)
	v_dual_add_f32 v46, v46, v49 :: v_dual_fmac_f32 v121, v107, v102
	v_dual_mul_f32 v112, v84, v57 :: v_dual_mul_f32 v113, v86, v59
	v_mul_f32_e32 v49, v93, v65
	v_fma_f32 v47, v90, v62, -v47
	v_add_f32_e32 v46, v46, v48
	s_delay_alu instid0(VALU_DEP_4) | instskip(SKIP_4) | instid1(VALU_DEP_4)
	v_dual_fmac_f32 v112, v85, v56 :: v_dual_fmac_f32 v113, v87, v58
	v_add_f32_e32 v44, v44, v111
	v_mul_f32_e32 v48, v95, v67
	v_fma_f32 v49, v92, v64, -v49
	v_dual_add_f32 v46, v46, v47 :: v_dual_mul_f32 v47, v97, v69
	v_add_f32_e32 v44, v44, v112
	s_delay_alu instid0(VALU_DEP_4) | instskip(SKIP_1) | instid1(VALU_DEP_4)
	v_fma_f32 v48, v94, v66, -v48
	v_fmac_f32_e32 v114, v89, v60
	v_dual_add_f32 v46, v46, v49 :: v_dual_mul_f32 v49, v99, v71
	s_delay_alu instid0(VALU_DEP_4) | instskip(SKIP_2) | instid1(VALU_DEP_4)
	v_add_f32_e32 v44, v44, v113
	v_fma_f32 v47, v96, v68, -v47
	v_fmac_f32_e32 v116, v93, v64
	v_add_f32_e32 v46, v46, v48
	v_fmac_f32_e32 v118, v97, v68
	v_mul_f32_e32 v48, v101, v73
	v_fma_f32 v49, v98, v70, -v49
	v_fmac_f32_e32 v120, v101, v72
	v_add_f32_e32 v46, v46, v47
	v_dual_mul_f32 v47, v107, v103 :: v_dual_add_f32 v44, v44, v114
	v_fma_f32 v48, v100, v72, -v48
	s_delay_alu instid0(VALU_DEP_3) | instskip(NEXT) | instid1(VALU_DEP_3)
	v_add_f32_e32 v46, v46, v49
	v_fma_f32 v47, v106, v102, -v47
	s_delay_alu instid0(VALU_DEP_4) | instskip(NEXT) | instid1(VALU_DEP_3)
	v_add_f32_e32 v44, v44, v115
	v_add_f32_e32 v46, v46, v48
	s_delay_alu instid0(VALU_DEP_2) | instskip(NEXT) | instid1(VALU_DEP_2)
	v_add_f32_e32 v44, v44, v116
	v_add_f32_e32 v46, v46, v47
	s_delay_alu instid0(VALU_DEP_2) | instskip(SKIP_1) | instid1(VALU_DEP_2)
	v_add_f32_e32 v44, v44, v117
	s_wait_loadcnt 0x0
	v_sub_f32_e32 v46, v104, v46
	s_delay_alu instid0(VALU_DEP_2) | instskip(NEXT) | instid1(VALU_DEP_1)
	v_add_f32_e32 v44, v44, v118
	v_add_f32_e32 v44, v44, v119
	s_delay_alu instid0(VALU_DEP_1) | instskip(NEXT) | instid1(VALU_DEP_1)
	v_add_f32_e32 v44, v44, v120
	v_add_f32_e32 v44, v44, v121
	s_delay_alu instid0(VALU_DEP_1)
	v_sub_f32_e32 v47, v105, v44
	scratch_store_b64 off, v[46:47], off offset:40
	v_cmpx_lt_u32_e32 4, v0
	s_cbranch_execz .LBB20_131
; %bb.130:
	scratch_load_b64 v[46:47], off, off offset:32
	v_mov_b32_e32 v44, v43
	scratch_store_b64 off, v[43:44], off offset:32
	s_wait_loadcnt 0x0
	ds_store_b64 v45, v[46:47]
.LBB20_131:
	s_wait_alu 0xfffe
	s_or_b32 exec_lo, exec_lo, s0
	s_wait_storecnt_dscnt 0x0
	s_barrier_signal -1
	s_barrier_wait -1
	global_inv scope:SCOPE_SE
	s_clause 0x8
	scratch_load_b128 v[46:49], off, off offset:40
	scratch_load_b128 v[50:53], off, off offset:56
	;; [unrolled: 1-line block ×8, first 2 shown]
	scratch_load_b64 v[110:111], off, off offset:32
	ds_load_2addr_b64 v[78:81], v43 offset0:27 offset1:28
	ds_load_2addr_b64 v[82:85], v43 offset0:29 offset1:30
	;; [unrolled: 1-line block ×8, first 2 shown]
	s_mov_b32 s0, exec_lo
	s_wait_loadcnt_dscnt 0x807
	v_dual_mul_f32 v43, v78, v47 :: v_dual_mul_f32 v44, v80, v49
	v_mul_f32_e32 v47, v79, v47
	s_wait_loadcnt_dscnt 0x706
	v_dual_mul_f32 v49, v81, v49 :: v_dual_mul_f32 v112, v82, v51
	s_delay_alu instid0(VALU_DEP_3) | instskip(NEXT) | instid1(VALU_DEP_3)
	v_dual_mul_f32 v113, v84, v53 :: v_dual_fmac_f32 v44, v81, v48
	v_fma_f32 v47, v78, v46, -v47
	v_fmac_f32_e32 v43, v79, v46
	v_mul_f32_e32 v46, v83, v51
	v_fma_f32 v48, v80, v48, -v49
	v_mul_f32_e32 v49, v85, v53
	v_dual_add_f32 v47, 0, v47 :: v_dual_fmac_f32 v112, v83, v50
	s_delay_alu instid0(VALU_DEP_4) | instskip(SKIP_2) | instid1(VALU_DEP_3)
	v_fma_f32 v46, v82, v50, -v46
	s_wait_loadcnt_dscnt 0x605
	v_dual_mul_f32 v114, v86, v55 :: v_dual_mul_f32 v115, v88, v57
	v_add_f32_e32 v47, v47, v48
	v_fmac_f32_e32 v113, v85, v52
	v_fma_f32 v48, v84, v52, -v49
	s_wait_loadcnt_dscnt 0x504
	v_dual_mul_f32 v116, v90, v59 :: v_dual_mul_f32 v117, v92, v61
	v_dual_add_f32 v46, v47, v46 :: v_dual_mul_f32 v47, v89, v57
	v_fmac_f32_e32 v114, v87, v54
	s_wait_loadcnt_dscnt 0x403
	v_dual_mul_f32 v118, v94, v63 :: v_dual_mul_f32 v119, v96, v65
	s_delay_alu instid0(VALU_DEP_3) | instskip(SKIP_3) | instid1(VALU_DEP_4)
	v_dual_add_f32 v46, v46, v48 :: v_dual_add_f32 v43, 0, v43
	v_mul_f32_e32 v48, v91, v59
	v_fma_f32 v47, v88, v56, -v47
	v_dual_fmac_f32 v115, v89, v56 :: v_dual_fmac_f32 v116, v91, v58
	v_add_f32_e32 v43, v43, v44
	v_mul_f32_e32 v44, v87, v55
	v_fma_f32 v48, v90, v58, -v48
	v_dual_fmac_f32 v117, v93, v60 :: v_dual_fmac_f32 v118, v95, v62
	s_wait_loadcnt_dscnt 0x302
	v_dual_mul_f32 v120, v98, v67 :: v_dual_mul_f32 v121, v100, v69
	v_fma_f32 v44, v86, v54, -v44
	s_wait_loadcnt_dscnt 0x201
	v_dual_mul_f32 v122, v102, v71 :: v_dual_mul_f32 v123, v104, v73
	s_wait_loadcnt_dscnt 0x100
	v_dual_mul_f32 v124, v106, v75 :: v_dual_mul_f32 v125, v108, v77
	v_add_f32_e32 v44, v46, v44
	v_mul_f32_e32 v46, v93, v61
	v_dual_fmac_f32 v122, v103, v70 :: v_dual_fmac_f32 v123, v105, v72
	s_delay_alu instid0(VALU_DEP_4) | instskip(NEXT) | instid1(VALU_DEP_4)
	v_dual_fmac_f32 v124, v107, v74 :: v_dual_fmac_f32 v125, v109, v76
	v_dual_add_f32 v44, v44, v47 :: v_dual_add_f32 v43, v43, v112
	v_mul_f32_e32 v47, v95, v63
	v_fma_f32 v46, v92, v60, -v46
	v_fmac_f32_e32 v119, v97, v64
	s_delay_alu instid0(VALU_DEP_4)
	v_add_f32_e32 v44, v44, v48
	v_mul_f32_e32 v48, v97, v65
	v_add_f32_e32 v43, v43, v113
	v_fma_f32 v47, v94, v62, -v47
	v_fmac_f32_e32 v120, v99, v66
	v_add_f32_e32 v44, v44, v46
	v_mul_f32_e32 v46, v99, v67
	v_add_f32_e32 v43, v43, v114
	v_fma_f32 v48, v96, v64, -v48
	s_delay_alu instid0(VALU_DEP_4) | instskip(SKIP_1) | instid1(VALU_DEP_4)
	v_dual_fmac_f32 v121, v101, v68 :: v_dual_add_f32 v44, v44, v47
	v_mul_f32_e32 v47, v101, v69
	v_add_f32_e32 v43, v43, v115
	v_fma_f32 v46, v98, v66, -v46
	s_delay_alu instid0(VALU_DEP_4) | instskip(NEXT) | instid1(VALU_DEP_4)
	v_add_f32_e32 v44, v44, v48
	v_fma_f32 v47, v100, v68, -v47
	s_delay_alu instid0(VALU_DEP_4) | instskip(SKIP_1) | instid1(VALU_DEP_4)
	v_add_f32_e32 v43, v43, v116
	v_mul_f32_e32 v48, v103, v71
	v_add_f32_e32 v44, v44, v46
	v_mul_f32_e32 v46, v105, v73
	s_delay_alu instid0(VALU_DEP_4) | instskip(NEXT) | instid1(VALU_DEP_4)
	v_add_f32_e32 v43, v43, v117
	v_fma_f32 v48, v102, v70, -v48
	s_delay_alu instid0(VALU_DEP_4) | instskip(SKIP_1) | instid1(VALU_DEP_4)
	v_add_f32_e32 v44, v44, v47
	v_mul_f32_e32 v47, v107, v75
	v_add_f32_e32 v43, v43, v118
	v_fma_f32 v46, v104, v72, -v46
	s_delay_alu instid0(VALU_DEP_4) | instskip(NEXT) | instid1(VALU_DEP_3)
	v_add_f32_e32 v44, v44, v48
	v_dual_mul_f32 v48, v109, v77 :: v_dual_add_f32 v43, v43, v119
	v_fma_f32 v47, v106, v74, -v47
	s_delay_alu instid0(VALU_DEP_3) | instskip(NEXT) | instid1(VALU_DEP_3)
	v_add_f32_e32 v44, v44, v46
	v_fma_f32 v46, v108, v76, -v48
	s_delay_alu instid0(VALU_DEP_2) | instskip(NEXT) | instid1(VALU_DEP_1)
	v_dual_add_f32 v43, v43, v120 :: v_dual_add_f32 v44, v44, v47
	v_dual_add_f32 v43, v43, v121 :: v_dual_add_f32 v44, v44, v46
	s_delay_alu instid0(VALU_DEP_1) | instskip(NEXT) | instid1(VALU_DEP_1)
	v_add_f32_e32 v43, v43, v122
	v_add_f32_e32 v43, v43, v123
	s_delay_alu instid0(VALU_DEP_1) | instskip(SKIP_1) | instid1(VALU_DEP_1)
	v_add_f32_e32 v43, v43, v124
	s_wait_loadcnt 0x0
	v_dual_add_f32 v46, v43, v125 :: v_dual_sub_f32 v43, v110, v44
	s_delay_alu instid0(VALU_DEP_1)
	v_sub_f32_e32 v44, v111, v46
	scratch_store_b64 off, v[43:44], off offset:32
	v_cmpx_lt_u32_e32 3, v0
	s_cbranch_execz .LBB20_133
; %bb.132:
	scratch_load_b64 v[43:44], off, off offset:24
	v_mov_b32_e32 v46, 0
	s_delay_alu instid0(VALU_DEP_1)
	v_mov_b32_e32 v47, v46
	scratch_store_b64 off, v[46:47], off offset:24
	s_wait_loadcnt 0x0
	ds_store_b64 v45, v[43:44]
.LBB20_133:
	s_wait_alu 0xfffe
	s_or_b32 exec_lo, exec_lo, s0
	s_wait_storecnt_dscnt 0x0
	s_barrier_signal -1
	s_barrier_wait -1
	global_inv scope:SCOPE_SE
	s_clause 0x9
	scratch_load_b128 v[46:49], off, off offset:32
	scratch_load_b128 v[50:53], off, off offset:48
	;; [unrolled: 1-line block ×8, first 2 shown]
	scratch_load_b64 v[110:111], off, off offset:160
	scratch_load_b64 v[112:113], off, off offset:24
	v_mov_b32_e32 v43, 0
	ds_load_b128 v[78:81], v43 offset:208
	ds_load_b128 v[82:85], v43 offset:224
	;; [unrolled: 1-line block ×8, first 2 shown]
	ds_load_b64 v[114:115], v43 offset:336
	s_mov_b32 s0, exec_lo
	s_wait_loadcnt_dscnt 0x908
	v_mul_f32_e32 v44, v78, v47
	s_wait_loadcnt_dscnt 0x807
	v_dual_mul_f32 v116, v80, v49 :: v_dual_mul_f32 v117, v82, v51
	v_mul_f32_e32 v47, v79, v47
	s_delay_alu instid0(VALU_DEP_3)
	v_dual_mul_f32 v49, v81, v49 :: v_dual_fmac_f32 v44, v79, v46
	s_wait_loadcnt_dscnt 0x302
	v_mul_f32_e32 v128, v104, v73
	v_dual_mul_f32 v118, v84, v53 :: v_dual_mul_f32 v119, v86, v55
	s_wait_loadcnt_dscnt 0x100
	v_mul_f32_e32 v131, v114, v111
	v_fma_f32 v47, v78, v46, -v47
	v_mul_f32_e32 v46, v83, v51
	v_fmac_f32_e32 v116, v81, v48
	v_fma_f32 v48, v80, v48, -v49
	v_dual_add_f32 v44, 0, v44 :: v_dual_mul_f32 v49, v85, v53
	v_add_f32_e32 v47, 0, v47
	v_fmac_f32_e32 v117, v83, v50
	v_fma_f32 v46, v82, v50, -v46
	s_delay_alu instid0(VALU_DEP_4)
	v_add_f32_e32 v44, v44, v116
	v_fma_f32 v49, v84, v52, -v49
	v_add_f32_e32 v47, v47, v48
	v_mul_f32_e32 v48, v87, v55
	v_dual_mul_f32 v122, v92, v61 :: v_dual_mul_f32 v123, v94, v63
	v_add_f32_e32 v44, v44, v117
	s_delay_alu instid0(VALU_DEP_4) | instskip(NEXT) | instid1(VALU_DEP_4)
	v_dual_add_f32 v46, v47, v46 :: v_dual_mul_f32 v47, v89, v57
	v_fma_f32 v48, v86, v54, -v48
	v_dual_mul_f32 v124, v96, v65 :: v_dual_mul_f32 v125, v98, v67
	s_delay_alu instid0(VALU_DEP_3) | instskip(NEXT) | instid1(VALU_DEP_4)
	v_dual_add_f32 v46, v46, v49 :: v_dual_mul_f32 v49, v91, v59
	v_fma_f32 v47, v88, v56, -v47
	v_dual_mul_f32 v126, v100, v69 :: v_dual_mul_f32 v127, v102, v71
	s_delay_alu instid0(VALU_DEP_3) | instskip(SKIP_3) | instid1(VALU_DEP_4)
	v_dual_add_f32 v46, v46, v48 :: v_dual_fmac_f32 v123, v95, v62
	v_dual_fmac_f32 v118, v85, v52 :: v_dual_fmac_f32 v119, v87, v54
	v_dual_mul_f32 v48, v93, v61 :: v_dual_fmac_f32 v125, v99, v66
	v_fma_f32 v49, v90, v58, -v49
	v_dual_add_f32 v46, v46, v47 :: v_dual_fmac_f32 v127, v103, v70
	v_dual_mul_f32 v129, v106, v75 :: v_dual_mul_f32 v130, v108, v77
	v_dual_add_f32 v44, v44, v118 :: v_dual_mul_f32 v47, v95, v63
	v_fma_f32 v48, v92, v60, -v48
	s_delay_alu instid0(VALU_DEP_3) | instskip(SKIP_3) | instid1(VALU_DEP_4)
	v_dual_add_f32 v46, v46, v49 :: v_dual_fmac_f32 v129, v107, v74
	v_dual_mul_f32 v120, v88, v57 :: v_dual_mul_f32 v121, v90, v59
	v_mul_f32_e32 v49, v97, v65
	v_fma_f32 v47, v94, v62, -v47
	v_add_f32_e32 v46, v46, v48
	s_delay_alu instid0(VALU_DEP_4) | instskip(SKIP_4) | instid1(VALU_DEP_4)
	v_dual_fmac_f32 v120, v89, v56 :: v_dual_fmac_f32 v121, v91, v58
	v_add_f32_e32 v44, v44, v119
	v_mul_f32_e32 v48, v99, v67
	v_fma_f32 v49, v96, v64, -v49
	v_dual_add_f32 v46, v46, v47 :: v_dual_mul_f32 v47, v101, v69
	v_add_f32_e32 v44, v44, v120
	s_delay_alu instid0(VALU_DEP_4) | instskip(SKIP_1) | instid1(VALU_DEP_4)
	v_fma_f32 v48, v98, v66, -v48
	v_fmac_f32_e32 v122, v93, v60
	v_dual_add_f32 v46, v46, v49 :: v_dual_mul_f32 v49, v103, v71
	s_delay_alu instid0(VALU_DEP_4) | instskip(SKIP_1) | instid1(VALU_DEP_3)
	v_dual_add_f32 v44, v44, v121 :: v_dual_fmac_f32 v131, v115, v110
	v_fma_f32 v47, v100, v68, -v47
	v_add_f32_e32 v46, v46, v48
	v_fmac_f32_e32 v124, v97, v64
	v_fmac_f32_e32 v126, v101, v68
	v_mul_f32_e32 v48, v105, v73
	v_fma_f32 v49, v102, v70, -v49
	v_add_f32_e32 v46, v46, v47
	v_dual_mul_f32 v47, v107, v75 :: v_dual_add_f32 v44, v44, v122
	v_fmac_f32_e32 v128, v105, v72
	v_fma_f32 v48, v104, v72, -v48
	s_delay_alu instid0(VALU_DEP_4) | instskip(NEXT) | instid1(VALU_DEP_4)
	v_add_f32_e32 v46, v46, v49
	v_dual_mul_f32 v49, v109, v77 :: v_dual_add_f32 v44, v44, v123
	v_fma_f32 v47, v106, v74, -v47
	v_fmac_f32_e32 v130, v109, v76
	s_delay_alu instid0(VALU_DEP_4) | instskip(SKIP_3) | instid1(VALU_DEP_4)
	v_add_f32_e32 v46, v46, v48
	v_mul_f32_e32 v48, v115, v111
	v_add_f32_e32 v44, v44, v124
	v_fma_f32 v49, v108, v76, -v49
	v_add_f32_e32 v46, v46, v47
	s_delay_alu instid0(VALU_DEP_4) | instskip(NEXT) | instid1(VALU_DEP_4)
	v_fma_f32 v47, v114, v110, -v48
	v_add_f32_e32 v44, v44, v125
	s_delay_alu instid0(VALU_DEP_3) | instskip(NEXT) | instid1(VALU_DEP_2)
	v_add_f32_e32 v46, v46, v49
	v_add_f32_e32 v44, v44, v126
	s_delay_alu instid0(VALU_DEP_2) | instskip(NEXT) | instid1(VALU_DEP_2)
	v_add_f32_e32 v46, v46, v47
	v_add_f32_e32 v44, v44, v127
	s_wait_loadcnt 0x0
	s_delay_alu instid0(VALU_DEP_2) | instskip(NEXT) | instid1(VALU_DEP_2)
	v_sub_f32_e32 v46, v112, v46
	v_add_f32_e32 v44, v44, v128
	s_delay_alu instid0(VALU_DEP_1) | instskip(NEXT) | instid1(VALU_DEP_1)
	v_add_f32_e32 v44, v44, v129
	v_add_f32_e32 v44, v44, v130
	s_delay_alu instid0(VALU_DEP_1) | instskip(NEXT) | instid1(VALU_DEP_1)
	v_add_f32_e32 v44, v44, v131
	v_sub_f32_e32 v47, v113, v44
	scratch_store_b64 off, v[46:47], off offset:24
	v_cmpx_lt_u32_e32 2, v0
	s_cbranch_execz .LBB20_135
; %bb.134:
	scratch_load_b64 v[46:47], off, off offset:16
	v_mov_b32_e32 v44, v43
	scratch_store_b64 off, v[43:44], off offset:16
	s_wait_loadcnt 0x0
	ds_store_b64 v45, v[46:47]
.LBB20_135:
	s_wait_alu 0xfffe
	s_or_b32 exec_lo, exec_lo, s0
	s_wait_storecnt_dscnt 0x0
	s_barrier_signal -1
	s_barrier_wait -1
	global_inv scope:SCOPE_SE
	s_clause 0x9
	scratch_load_b128 v[46:49], off, off offset:24
	scratch_load_b128 v[50:53], off, off offset:40
	;; [unrolled: 1-line block ×9, first 2 shown]
	scratch_load_b64 v[118:119], off, off offset:16
	ds_load_2addr_b64 v[82:85], v43 offset0:25 offset1:26
	ds_load_2addr_b64 v[86:89], v43 offset0:27 offset1:28
	;; [unrolled: 1-line block ×9, first 2 shown]
	s_mov_b32 s0, exec_lo
	s_wait_loadcnt_dscnt 0x908
	v_dual_mul_f32 v43, v82, v47 :: v_dual_mul_f32 v44, v84, v49
	v_mul_f32_e32 v47, v83, v47
	s_wait_loadcnt_dscnt 0x807
	v_dual_mul_f32 v49, v85, v49 :: v_dual_mul_f32 v120, v86, v51
	s_delay_alu instid0(VALU_DEP_3) | instskip(NEXT) | instid1(VALU_DEP_3)
	v_dual_mul_f32 v121, v88, v53 :: v_dual_fmac_f32 v44, v85, v48
	v_fma_f32 v47, v82, v46, -v47
	v_fmac_f32_e32 v43, v83, v46
	v_mul_f32_e32 v46, v87, v51
	v_fma_f32 v48, v84, v48, -v49
	v_mul_f32_e32 v49, v89, v53
	v_dual_add_f32 v47, 0, v47 :: v_dual_fmac_f32 v120, v87, v50
	s_delay_alu instid0(VALU_DEP_4) | instskip(SKIP_2) | instid1(VALU_DEP_3)
	v_fma_f32 v46, v86, v50, -v46
	s_wait_loadcnt_dscnt 0x706
	v_dual_mul_f32 v122, v90, v55 :: v_dual_mul_f32 v123, v92, v57
	v_add_f32_e32 v47, v47, v48
	v_fmac_f32_e32 v121, v89, v52
	v_fma_f32 v48, v88, v52, -v49
	s_wait_loadcnt_dscnt 0x605
	v_dual_mul_f32 v124, v94, v59 :: v_dual_mul_f32 v125, v96, v61
	v_dual_add_f32 v46, v47, v46 :: v_dual_mul_f32 v47, v93, v57
	v_fmac_f32_e32 v122, v91, v54
	s_wait_loadcnt_dscnt 0x504
	v_dual_mul_f32 v126, v98, v63 :: v_dual_mul_f32 v127, v100, v65
	s_delay_alu instid0(VALU_DEP_3) | instskip(SKIP_3) | instid1(VALU_DEP_4)
	v_dual_add_f32 v46, v46, v48 :: v_dual_add_f32 v43, 0, v43
	v_mul_f32_e32 v48, v95, v59
	v_fma_f32 v47, v92, v56, -v47
	v_dual_fmac_f32 v123, v93, v56 :: v_dual_fmac_f32 v124, v95, v58
	v_add_f32_e32 v43, v43, v44
	v_mul_f32_e32 v44, v91, v55
	v_fma_f32 v48, v94, v58, -v48
	v_dual_fmac_f32 v125, v97, v60 :: v_dual_fmac_f32 v126, v99, v62
	s_wait_loadcnt_dscnt 0x403
	v_dual_mul_f32 v128, v102, v67 :: v_dual_mul_f32 v129, v104, v69
	v_fma_f32 v44, v90, v54, -v44
	s_wait_loadcnt_dscnt 0x302
	v_dual_mul_f32 v130, v106, v71 :: v_dual_mul_f32 v131, v108, v73
	s_wait_loadcnt_dscnt 0x201
	v_dual_mul_f32 v132, v110, v75 :: v_dual_mul_f32 v133, v112, v77
	v_add_f32_e32 v44, v46, v44
	v_mul_f32_e32 v46, v97, v61
	v_dual_fmac_f32 v130, v107, v70 :: v_dual_fmac_f32 v131, v109, v72
	s_delay_alu instid0(VALU_DEP_4) | instskip(NEXT) | instid1(VALU_DEP_4)
	v_dual_fmac_f32 v132, v111, v74 :: v_dual_fmac_f32 v133, v113, v76
	v_dual_add_f32 v44, v44, v47 :: v_dual_add_f32 v43, v43, v120
	v_mul_f32_e32 v47, v99, v63
	v_fma_f32 v46, v96, v60, -v46
	v_fmac_f32_e32 v127, v101, v64
	s_delay_alu instid0(VALU_DEP_4)
	v_add_f32_e32 v44, v44, v48
	v_mul_f32_e32 v48, v101, v65
	v_add_f32_e32 v43, v43, v121
	v_fma_f32 v47, v98, v62, -v47
	v_fmac_f32_e32 v128, v103, v66
	v_add_f32_e32 v44, v44, v46
	v_mul_f32_e32 v46, v103, v67
	v_add_f32_e32 v43, v43, v122
	v_fma_f32 v48, v100, v64, -v48
	s_delay_alu instid0(VALU_DEP_4) | instskip(SKIP_1) | instid1(VALU_DEP_4)
	v_dual_fmac_f32 v129, v105, v68 :: v_dual_add_f32 v44, v44, v47
	v_mul_f32_e32 v47, v105, v69
	v_add_f32_e32 v43, v43, v123
	v_fma_f32 v46, v102, v66, -v46
	s_wait_loadcnt_dscnt 0x100
	v_dual_mul_f32 v134, v114, v79 :: v_dual_mul_f32 v135, v116, v81
	v_add_f32_e32 v44, v44, v48
	v_add_f32_e32 v43, v43, v124
	v_fma_f32 v47, v104, v68, -v47
	v_mul_f32_e32 v48, v107, v71
	v_dual_fmac_f32 v134, v115, v78 :: v_dual_fmac_f32 v135, v117, v80
	s_delay_alu instid0(VALU_DEP_4) | instskip(SKIP_1) | instid1(VALU_DEP_4)
	v_dual_add_f32 v44, v44, v46 :: v_dual_add_f32 v43, v43, v125
	v_mul_f32_e32 v46, v109, v73
	v_fma_f32 v48, v106, v70, -v48
	s_delay_alu instid0(VALU_DEP_3) | instskip(SKIP_1) | instid1(VALU_DEP_4)
	v_dual_add_f32 v44, v44, v47 :: v_dual_add_f32 v43, v43, v126
	v_mul_f32_e32 v47, v111, v75
	v_fma_f32 v46, v108, v72, -v46
	s_delay_alu instid0(VALU_DEP_3) | instskip(SKIP_1) | instid1(VALU_DEP_4)
	;; [unrolled: 4-line block ×4, first 2 shown]
	v_dual_add_f32 v44, v44, v47 :: v_dual_add_f32 v43, v43, v129
	v_mul_f32_e32 v47, v117, v81
	v_fma_f32 v46, v114, v78, -v46
	s_delay_alu instid0(VALU_DEP_3) | instskip(NEXT) | instid1(VALU_DEP_3)
	v_dual_add_f32 v44, v44, v48 :: v_dual_add_f32 v43, v43, v130
	v_fma_f32 v47, v116, v80, -v47
	s_delay_alu instid0(VALU_DEP_2) | instskip(NEXT) | instid1(VALU_DEP_1)
	v_dual_add_f32 v44, v44, v46 :: v_dual_add_f32 v43, v43, v131
	v_dual_add_f32 v44, v44, v47 :: v_dual_add_f32 v43, v43, v132
	s_delay_alu instid0(VALU_DEP_1) | instskip(NEXT) | instid1(VALU_DEP_1)
	v_add_f32_e32 v43, v43, v133
	v_add_f32_e32 v43, v43, v134
	s_wait_loadcnt 0x0
	s_delay_alu instid0(VALU_DEP_1) | instskip(NEXT) | instid1(VALU_DEP_1)
	v_dual_add_f32 v46, v43, v135 :: v_dual_sub_f32 v43, v118, v44
	v_sub_f32_e32 v44, v119, v46
	scratch_store_b64 off, v[43:44], off offset:16
	v_cmpx_lt_u32_e32 1, v0
	s_cbranch_execz .LBB20_137
; %bb.136:
	scratch_load_b64 v[43:44], off, off offset:8
	v_mov_b32_e32 v46, 0
	s_delay_alu instid0(VALU_DEP_1)
	v_mov_b32_e32 v47, v46
	scratch_store_b64 off, v[46:47], off offset:8
	s_wait_loadcnt 0x0
	ds_store_b64 v45, v[43:44]
.LBB20_137:
	s_wait_alu 0xfffe
	s_or_b32 exec_lo, exec_lo, s0
	s_wait_storecnt_dscnt 0x0
	s_barrier_signal -1
	s_barrier_wait -1
	global_inv scope:SCOPE_SE
	s_clause 0xa
	scratch_load_b128 v[46:49], off, off offset:16
	scratch_load_b128 v[50:53], off, off offset:32
	;; [unrolled: 1-line block ×9, first 2 shown]
	scratch_load_b64 v[118:119], off, off offset:160
	scratch_load_b64 v[120:121], off, off offset:8
	v_mov_b32_e32 v43, 0
	ds_load_b128 v[82:85], v43 offset:192
	ds_load_b128 v[86:89], v43 offset:208
	;; [unrolled: 1-line block ×9, first 2 shown]
	ds_load_b64 v[122:123], v43 offset:336
	s_mov_b32 s0, exec_lo
	s_wait_loadcnt_dscnt 0xa09
	v_mul_f32_e32 v44, v82, v47
	s_wait_loadcnt_dscnt 0x908
	v_dual_mul_f32 v124, v84, v49 :: v_dual_mul_f32 v125, v86, v51
	v_mul_f32_e32 v47, v83, v47
	s_delay_alu instid0(VALU_DEP_3)
	v_dual_mul_f32 v49, v85, v49 :: v_dual_fmac_f32 v44, v83, v46
	s_wait_loadcnt_dscnt 0x807
	v_dual_mul_f32 v126, v88, v53 :: v_dual_mul_f32 v127, v90, v55
	s_wait_loadcnt_dscnt 0x100
	v_dual_mul_f32 v138, v112, v77 :: v_dual_mul_f32 v141, v122, v119
	v_fma_f32 v47, v82, v46, -v47
	v_mul_f32_e32 v46, v87, v51
	v_fmac_f32_e32 v124, v85, v48
	v_fma_f32 v48, v84, v48, -v49
	v_dual_add_f32 v44, 0, v44 :: v_dual_mul_f32 v49, v89, v53
	v_add_f32_e32 v47, 0, v47
	v_fmac_f32_e32 v125, v87, v50
	v_fma_f32 v46, v86, v50, -v46
	s_delay_alu instid0(VALU_DEP_4)
	v_add_f32_e32 v44, v44, v124
	v_fma_f32 v49, v88, v52, -v49
	v_add_f32_e32 v47, v47, v48
	v_mul_f32_e32 v48, v91, v55
	v_dual_mul_f32 v130, v96, v61 :: v_dual_mul_f32 v131, v98, v63
	v_add_f32_e32 v44, v44, v125
	s_delay_alu instid0(VALU_DEP_4) | instskip(NEXT) | instid1(VALU_DEP_4)
	v_dual_add_f32 v46, v47, v46 :: v_dual_mul_f32 v47, v93, v57
	v_fma_f32 v48, v90, v54, -v48
	v_dual_mul_f32 v132, v100, v65 :: v_dual_mul_f32 v133, v102, v67
	s_delay_alu instid0(VALU_DEP_3) | instskip(NEXT) | instid1(VALU_DEP_4)
	v_dual_add_f32 v46, v46, v49 :: v_dual_mul_f32 v49, v95, v59
	v_fma_f32 v47, v92, v56, -v47
	v_dual_mul_f32 v134, v104, v69 :: v_dual_mul_f32 v135, v106, v71
	s_delay_alu instid0(VALU_DEP_3) | instskip(SKIP_3) | instid1(VALU_DEP_4)
	v_dual_add_f32 v46, v46, v48 :: v_dual_fmac_f32 v131, v99, v62
	v_dual_fmac_f32 v126, v89, v52 :: v_dual_fmac_f32 v127, v91, v54
	v_dual_mul_f32 v48, v97, v61 :: v_dual_fmac_f32 v133, v103, v66
	v_fma_f32 v49, v94, v58, -v49
	v_dual_add_f32 v46, v46, v47 :: v_dual_fmac_f32 v135, v107, v70
	v_dual_mul_f32 v136, v108, v73 :: v_dual_mul_f32 v137, v110, v75
	v_dual_add_f32 v44, v44, v126 :: v_dual_mul_f32 v47, v99, v63
	v_fma_f32 v48, v96, v60, -v48
	s_delay_alu instid0(VALU_DEP_3) | instskip(SKIP_1) | instid1(VALU_DEP_4)
	v_dual_add_f32 v46, v46, v49 :: v_dual_fmac_f32 v137, v111, v74
	v_mul_f32_e32 v49, v101, v65
	v_fma_f32 v47, v98, v62, -v47
	v_dual_mul_f32 v128, v92, v57 :: v_dual_mul_f32 v129, v94, v59
	s_delay_alu instid0(VALU_DEP_4) | instskip(SKIP_2) | instid1(VALU_DEP_4)
	v_add_f32_e32 v46, v46, v48
	v_mul_f32_e32 v48, v103, v67
	v_fma_f32 v49, v100, v64, -v49
	v_dual_fmac_f32 v128, v93, v56 :: v_dual_fmac_f32 v129, v95, v58
	s_delay_alu instid0(VALU_DEP_4) | instskip(SKIP_2) | instid1(VALU_DEP_3)
	v_dual_add_f32 v46, v46, v47 :: v_dual_fmac_f32 v141, v123, v118
	v_dual_add_f32 v44, v44, v127 :: v_dual_mul_f32 v47, v105, v69
	v_fma_f32 v48, v102, v66, -v48
	v_dual_add_f32 v46, v46, v49 :: v_dual_mul_f32 v49, v107, v71
	s_delay_alu instid0(VALU_DEP_3) | instskip(NEXT) | instid1(VALU_DEP_4)
	v_add_f32_e32 v44, v44, v128
	v_fma_f32 v47, v104, v68, -v47
	v_dual_mul_f32 v139, v114, v79 :: v_dual_mul_f32 v140, v116, v81
	s_delay_alu instid0(VALU_DEP_4)
	v_add_f32_e32 v46, v46, v48
	v_mul_f32_e32 v48, v109, v73
	v_fma_f32 v49, v106, v70, -v49
	v_fmac_f32_e32 v130, v97, v60
	v_dual_add_f32 v44, v44, v129 :: v_dual_fmac_f32 v139, v115, v78
	v_add_f32_e32 v46, v46, v47
	v_mul_f32_e32 v47, v111, v75
	v_fma_f32 v48, v108, v72, -v48
	s_delay_alu instid0(VALU_DEP_4)
	v_add_f32_e32 v44, v44, v130
	v_fmac_f32_e32 v132, v101, v64
	v_add_f32_e32 v46, v46, v49
	v_mul_f32_e32 v49, v113, v77
	v_fma_f32 v47, v110, v74, -v47
	v_fmac_f32_e32 v134, v105, v68
	v_fmac_f32_e32 v136, v109, v72
	v_add_f32_e32 v46, v46, v48
	v_fma_f32 v49, v112, v76, -v49
	v_mul_f32_e32 v48, v115, v79
	v_fmac_f32_e32 v138, v113, v76
	v_fmac_f32_e32 v140, v117, v80
	v_dual_add_f32 v46, v46, v47 :: v_dual_mul_f32 v47, v117, v81
	v_add_f32_e32 v44, v44, v131
	v_fma_f32 v48, v114, v78, -v48
	s_delay_alu instid0(VALU_DEP_3) | instskip(NEXT) | instid1(VALU_DEP_3)
	v_dual_add_f32 v46, v46, v49 :: v_dual_mul_f32 v49, v123, v119
	v_add_f32_e32 v44, v44, v132
	v_fma_f32 v47, v116, v80, -v47
	s_delay_alu instid0(VALU_DEP_3) | instskip(NEXT) | instid1(VALU_DEP_4)
	v_add_f32_e32 v46, v46, v48
	v_fma_f32 v48, v122, v118, -v49
	s_delay_alu instid0(VALU_DEP_4) | instskip(NEXT) | instid1(VALU_DEP_3)
	v_add_f32_e32 v44, v44, v133
	v_add_f32_e32 v46, v46, v47
	s_delay_alu instid0(VALU_DEP_2) | instskip(NEXT) | instid1(VALU_DEP_2)
	v_add_f32_e32 v44, v44, v134
	v_add_f32_e32 v46, v46, v48
	s_delay_alu instid0(VALU_DEP_2) | instskip(SKIP_1) | instid1(VALU_DEP_2)
	v_add_f32_e32 v44, v44, v135
	s_wait_loadcnt 0x0
	v_sub_f32_e32 v46, v120, v46
	s_delay_alu instid0(VALU_DEP_2) | instskip(NEXT) | instid1(VALU_DEP_1)
	v_add_f32_e32 v44, v44, v136
	v_add_f32_e32 v44, v44, v137
	s_delay_alu instid0(VALU_DEP_1) | instskip(NEXT) | instid1(VALU_DEP_1)
	v_add_f32_e32 v44, v44, v138
	v_add_f32_e32 v44, v44, v139
	s_delay_alu instid0(VALU_DEP_1) | instskip(NEXT) | instid1(VALU_DEP_1)
	v_add_f32_e32 v44, v44, v140
	v_add_f32_e32 v44, v44, v141
	s_delay_alu instid0(VALU_DEP_1)
	v_sub_f32_e32 v47, v121, v44
	scratch_store_b64 off, v[46:47], off offset:8
	v_cmpx_ne_u32_e32 0, v0
	s_cbranch_execz .LBB20_139
; %bb.138:
	scratch_load_b64 v[46:47], off, off
	v_mov_b32_e32 v44, v43
	scratch_store_b64 off, v[43:44], off
	s_wait_loadcnt 0x0
	ds_store_b64 v45, v[46:47]
.LBB20_139:
	s_wait_alu 0xfffe
	s_or_b32 exec_lo, exec_lo, s0
	s_wait_storecnt_dscnt 0x0
	s_barrier_signal -1
	s_barrier_wait -1
	global_inv scope:SCOPE_SE
	s_clause 0xa
	scratch_load_b128 v[44:47], off, off offset:8
	scratch_load_b128 v[48:51], off, off offset:24
	;; [unrolled: 1-line block ×10, first 2 shown]
	scratch_load_b64 v[124:125], off, off
	ds_load_2addr_b64 v[84:87], v43 offset0:23 offset1:24
	ds_load_2addr_b64 v[88:91], v43 offset0:25 offset1:26
	;; [unrolled: 1-line block ×10, first 2 shown]
	s_and_b32 vcc_lo, exec_lo, s18
	s_wait_loadcnt_dscnt 0xa09
	v_dual_mul_f32 v0, v84, v45 :: v_dual_mul_f32 v43, v86, v47
	s_wait_loadcnt_dscnt 0x908
	v_dual_mul_f32 v47, v87, v47 :: v_dual_mul_f32 v126, v88, v49
	s_delay_alu instid0(VALU_DEP_2) | instskip(SKIP_2) | instid1(VALU_DEP_4)
	v_dual_mul_f32 v127, v90, v51 :: v_dual_fmac_f32 v0, v85, v44
	v_mul_f32_e32 v45, v85, v45
	v_fmac_f32_e32 v43, v87, v46
	v_fma_f32 v46, v86, v46, -v47
	s_wait_loadcnt_dscnt 0x807
	v_dual_mul_f32 v128, v92, v53 :: v_dual_mul_f32 v129, v94, v55
	v_add_f32_e32 v0, 0, v0
	v_fma_f32 v45, v84, v44, -v45
	v_mul_f32_e32 v44, v89, v49
	v_dual_fmac_f32 v126, v89, v48 :: v_dual_fmac_f32 v127, v91, v50
	s_delay_alu instid0(VALU_DEP_3) | instskip(NEXT) | instid1(VALU_DEP_3)
	v_dual_fmac_f32 v128, v93, v52 :: v_dual_add_f32 v45, 0, v45
	v_fma_f32 v44, v88, v48, -v44
	v_dual_add_f32 v0, v0, v43 :: v_dual_mul_f32 v43, v93, v53
	s_wait_loadcnt_dscnt 0x706
	v_dual_mul_f32 v130, v96, v57 :: v_dual_mul_f32 v131, v98, v59
	v_add_f32_e32 v45, v45, v46
	s_delay_alu instid0(VALU_DEP_3) | instskip(SKIP_1) | instid1(VALU_DEP_3)
	v_dual_mul_f32 v47, v91, v51 :: v_dual_add_f32 v0, v0, v126
	v_fma_f32 v43, v92, v52, -v43
	v_dual_fmac_f32 v129, v95, v54 :: v_dual_add_f32 v44, v45, v44
	s_delay_alu instid0(VALU_DEP_3) | instskip(SKIP_3) | instid1(VALU_DEP_4)
	v_fma_f32 v46, v90, v50, -v47
	v_mul_f32_e32 v45, v95, v55
	v_add_f32_e32 v0, v0, v127
	v_dual_fmac_f32 v130, v97, v56 :: v_dual_fmac_f32 v131, v99, v58
	v_add_f32_e32 v44, v44, v46
	v_mul_f32_e32 v46, v97, v57
	v_fma_f32 v45, v94, v54, -v45
	s_wait_loadcnt_dscnt 0x605
	v_dual_mul_f32 v132, v100, v61 :: v_dual_mul_f32 v133, v102, v63
	v_add_f32_e32 v43, v44, v43
	v_add_f32_e32 v0, v0, v128
	v_mul_f32_e32 v44, v99, v59
	v_fma_f32 v46, v96, v56, -v46
	v_dual_fmac_f32 v132, v101, v60 :: v_dual_fmac_f32 v133, v103, v62
	v_add_f32_e32 v43, v43, v45
	v_add_f32_e32 v0, v0, v129
	v_mul_f32_e32 v45, v101, v61
	v_fma_f32 v44, v98, v58, -v44
	s_wait_loadcnt_dscnt 0x504
	v_dual_mul_f32 v134, v104, v65 :: v_dual_mul_f32 v135, v106, v67
	v_add_f32_e32 v43, v43, v46
	v_add_f32_e32 v0, v0, v130
	v_mul_f32_e32 v46, v103, v63
	v_fma_f32 v45, v100, v60, -v45
	s_wait_loadcnt_dscnt 0x403
	v_dual_mul_f32 v136, v108, v69 :: v_dual_mul_f32 v137, v110, v71
	v_dual_add_f32 v43, v43, v44 :: v_dual_add_f32 v0, v0, v131
	v_mul_f32_e32 v44, v105, v65
	v_fma_f32 v46, v102, v62, -v46
	v_dual_fmac_f32 v134, v105, v64 :: v_dual_fmac_f32 v135, v107, v66
	s_delay_alu instid0(VALU_DEP_4) | instskip(SKIP_3) | instid1(VALU_DEP_4)
	v_dual_add_f32 v43, v43, v45 :: v_dual_add_f32 v0, v0, v132
	v_mul_f32_e32 v45, v107, v67
	v_fma_f32 v44, v104, v64, -v44
	v_fmac_f32_e32 v137, v111, v70
	v_dual_add_f32 v43, v43, v46 :: v_dual_add_f32 v0, v0, v133
	v_mul_f32_e32 v46, v109, v69
	v_fma_f32 v45, v106, v66, -v45
	s_wait_loadcnt_dscnt 0x302
	v_dual_mul_f32 v138, v112, v73 :: v_dual_mul_f32 v139, v114, v75
	v_dual_add_f32 v43, v43, v44 :: v_dual_add_f32 v0, v0, v134
	v_mul_f32_e32 v44, v111, v71
	v_fma_f32 v46, v108, v68, -v46
	s_delay_alu instid0(VALU_DEP_4) | instskip(NEXT) | instid1(VALU_DEP_4)
	v_fmac_f32_e32 v139, v115, v74
	v_dual_add_f32 v43, v43, v45 :: v_dual_fmac_f32 v136, v109, v68
	v_mul_f32_e32 v45, v113, v73
	v_fma_f32 v44, v110, v70, -v44
	s_wait_loadcnt_dscnt 0x201
	v_dual_mul_f32 v140, v116, v77 :: v_dual_mul_f32 v141, v118, v79
	v_dual_add_f32 v43, v43, v46 :: v_dual_add_f32 v0, v0, v135
	v_mul_f32_e32 v46, v115, v75
	v_fma_f32 v45, v112, v72, -v45
	s_wait_loadcnt_dscnt 0x100
	v_dual_mul_f32 v142, v120, v81 :: v_dual_mul_f32 v143, v122, v83
	v_add_f32_e32 v43, v43, v44
	v_add_f32_e32 v0, v0, v136
	v_fmac_f32_e32 v138, v113, v72
	v_fma_f32 v46, v114, v74, -v46
	v_dual_fmac_f32 v140, v117, v76 :: v_dual_fmac_f32 v141, v119, v78
	v_add_f32_e32 v43, v43, v45
	v_mul_f32_e32 v44, v117, v77
	v_dual_add_f32 v0, v0, v137 :: v_dual_mul_f32 v45, v119, v79
	v_fmac_f32_e32 v143, v123, v82
	s_delay_alu instid0(VALU_DEP_4) | instskip(NEXT) | instid1(VALU_DEP_4)
	v_add_f32_e32 v43, v43, v46
	v_fma_f32 v44, v116, v76, -v44
	s_delay_alu instid0(VALU_DEP_4) | instskip(SKIP_2) | instid1(VALU_DEP_3)
	v_add_f32_e32 v0, v0, v138
	v_mul_f32_e32 v46, v121, v81
	v_fma_f32 v45, v118, v78, -v45
	v_dual_add_f32 v43, v43, v44 :: v_dual_add_f32 v0, v0, v139
	v_mul_f32_e32 v44, v123, v83
	s_delay_alu instid0(VALU_DEP_4) | instskip(NEXT) | instid1(VALU_DEP_3)
	v_fma_f32 v46, v120, v80, -v46
	v_dual_add_f32 v43, v43, v45 :: v_dual_add_f32 v0, v0, v140
	s_delay_alu instid0(VALU_DEP_3) | instskip(NEXT) | instid1(VALU_DEP_2)
	v_fma_f32 v44, v122, v82, -v44
	v_dual_add_f32 v43, v43, v46 :: v_dual_add_f32 v0, v0, v141
	s_delay_alu instid0(VALU_DEP_1) | instskip(SKIP_1) | instid1(VALU_DEP_1)
	v_add_f32_e32 v43, v43, v44
	s_wait_loadcnt 0x0
	v_dual_fmac_f32 v142, v121, v80 :: v_dual_sub_f32 v43, v124, v43
	s_delay_alu instid0(VALU_DEP_1) | instskip(NEXT) | instid1(VALU_DEP_1)
	v_add_f32_e32 v0, v0, v142
	v_add_f32_e32 v0, v0, v143
	s_delay_alu instid0(VALU_DEP_1)
	v_sub_f32_e32 v44, v125, v0
	scratch_store_b64 off, v[43:44], off
	s_wait_alu 0xfffe
	s_cbranch_vccz .LBB20_180
; %bb.140:
	v_mov_b32_e32 v0, 0
	global_load_b32 v43, v0, s[2:3] offset:76
	s_wait_loadcnt 0x0
	v_cmp_ne_u32_e32 vcc_lo, 20, v43
	s_cbranch_vccz .LBB20_142
; %bb.141:
	v_lshlrev_b32_e32 v43, 3, v43
	s_delay_alu instid0(VALU_DEP_1)
	v_mov_b32_e32 v47, v43
	scratch_load_b64 v[43:44], v47, off offset:-8
	scratch_load_b64 v[45:46], off, off offset:152
	s_wait_loadcnt 0x1
	scratch_store_b64 off, v[43:44], off offset:152
	s_wait_loadcnt 0x0
	scratch_store_b64 v47, v[45:46], off offset:-8
.LBB20_142:
	global_load_b32 v0, v0, s[2:3] offset:72
	s_wait_loadcnt 0x0
	v_cmp_eq_u32_e32 vcc_lo, 19, v0
	s_cbranch_vccnz .LBB20_144
; %bb.143:
	v_lshlrev_b32_e32 v0, 3, v0
	scratch_load_b64 v[43:44], v0, off offset:-8
	scratch_load_b64 v[45:46], off, off offset:144
	s_wait_loadcnt 0x1
	scratch_store_b64 off, v[43:44], off offset:144
	s_wait_loadcnt 0x0
	scratch_store_b64 v0, v[45:46], off offset:-8
.LBB20_144:
	v_mov_b32_e32 v0, 0
	global_load_b32 v43, v0, s[2:3] offset:68
	s_wait_loadcnt 0x0
	v_cmp_eq_u32_e32 vcc_lo, 18, v43
	s_cbranch_vccnz .LBB20_146
; %bb.145:
	v_lshlrev_b32_e32 v43, 3, v43
	s_delay_alu instid0(VALU_DEP_1)
	v_mov_b32_e32 v47, v43
	scratch_load_b64 v[43:44], v47, off offset:-8
	scratch_load_b64 v[45:46], off, off offset:136
	s_wait_loadcnt 0x1
	scratch_store_b64 off, v[43:44], off offset:136
	s_wait_loadcnt 0x0
	scratch_store_b64 v47, v[45:46], off offset:-8
.LBB20_146:
	global_load_b32 v0, v0, s[2:3] offset:64
	s_wait_loadcnt 0x0
	v_cmp_eq_u32_e32 vcc_lo, 17, v0
	s_cbranch_vccnz .LBB20_148
; %bb.147:
	v_lshlrev_b32_e32 v0, 3, v0
	scratch_load_b64 v[43:44], v0, off offset:-8
	scratch_load_b64 v[45:46], off, off offset:128
	s_wait_loadcnt 0x1
	scratch_store_b64 off, v[43:44], off offset:128
	s_wait_loadcnt 0x0
	scratch_store_b64 v0, v[45:46], off offset:-8
.LBB20_148:
	v_mov_b32_e32 v0, 0
	global_load_b32 v43, v0, s[2:3] offset:60
	s_wait_loadcnt 0x0
	v_cmp_eq_u32_e32 vcc_lo, 16, v43
	s_cbranch_vccnz .LBB20_150
; %bb.149:
	v_lshlrev_b32_e32 v43, 3, v43
	s_delay_alu instid0(VALU_DEP_1)
	v_mov_b32_e32 v47, v43
	scratch_load_b64 v[43:44], v47, off offset:-8
	scratch_load_b64 v[45:46], off, off offset:120
	s_wait_loadcnt 0x1
	scratch_store_b64 off, v[43:44], off offset:120
	s_wait_loadcnt 0x0
	scratch_store_b64 v47, v[45:46], off offset:-8
.LBB20_150:
	;; [unrolled: 29-line block ×9, first 2 shown]
	global_load_b32 v0, v0, s[2:3]
	s_wait_loadcnt 0x0
	v_cmp_eq_u32_e32 vcc_lo, 1, v0
	s_cbranch_vccnz .LBB20_180
; %bb.179:
	v_lshlrev_b32_e32 v0, 3, v0
	scratch_load_b64 v[43:44], v0, off offset:-8
	scratch_load_b64 v[45:46], off, off
	s_wait_loadcnt 0x1
	scratch_store_b64 off, v[43:44], off
	s_wait_loadcnt 0x0
	scratch_store_b64 v0, v[45:46], off offset:-8
.LBB20_180:
	s_clause 0xa
	scratch_load_b128 v[43:46], off, off
	scratch_load_b128 v[47:50], off, off offset:16
	scratch_load_b128 v[51:54], off, off offset:32
	;; [unrolled: 1-line block ×9, first 2 shown]
	scratch_load_b64 v[83:84], off, off offset:160
	s_wait_loadcnt 0xa
	s_clause 0x1
	global_store_b64 v[1:2], v[43:44], off
	global_store_b64 v[3:4], v[45:46], off
	s_wait_loadcnt 0x9
	s_clause 0x1
	global_store_b64 v[5:6], v[47:48], off
	global_store_b64 v[7:8], v[49:50], off
	;; [unrolled: 4-line block ×10, first 2 shown]
	s_wait_loadcnt 0x0
	global_store_b64 v[41:42], v[83:84], off
	s_nop 0
	s_sendmsg sendmsg(MSG_DEALLOC_VGPRS)
	s_endpgm
	.section	.rodata,"a",@progbits
	.p2align	6, 0x0
	.amdhsa_kernel _ZN9rocsolver6v33100L18getri_kernel_smallILi21E19rocblas_complex_numIfEPS3_EEvT1_iilPiilS6_bb
		.amdhsa_group_segment_fixed_size 344
		.amdhsa_private_segment_fixed_size 176
		.amdhsa_kernarg_size 60
		.amdhsa_user_sgpr_count 2
		.amdhsa_user_sgpr_dispatch_ptr 0
		.amdhsa_user_sgpr_queue_ptr 0
		.amdhsa_user_sgpr_kernarg_segment_ptr 1
		.amdhsa_user_sgpr_dispatch_id 0
		.amdhsa_user_sgpr_private_segment_size 0
		.amdhsa_wavefront_size32 1
		.amdhsa_uses_dynamic_stack 0
		.amdhsa_enable_private_segment 1
		.amdhsa_system_sgpr_workgroup_id_x 1
		.amdhsa_system_sgpr_workgroup_id_y 0
		.amdhsa_system_sgpr_workgroup_id_z 0
		.amdhsa_system_sgpr_workgroup_info 0
		.amdhsa_system_vgpr_workitem_id 0
		.amdhsa_next_free_vgpr 144
		.amdhsa_next_free_sgpr 19
		.amdhsa_reserve_vcc 1
		.amdhsa_float_round_mode_32 0
		.amdhsa_float_round_mode_16_64 0
		.amdhsa_float_denorm_mode_32 3
		.amdhsa_float_denorm_mode_16_64 3
		.amdhsa_fp16_overflow 0
		.amdhsa_workgroup_processor_mode 1
		.amdhsa_memory_ordered 1
		.amdhsa_forward_progress 1
		.amdhsa_inst_pref_size 172
		.amdhsa_round_robin_scheduling 0
		.amdhsa_exception_fp_ieee_invalid_op 0
		.amdhsa_exception_fp_denorm_src 0
		.amdhsa_exception_fp_ieee_div_zero 0
		.amdhsa_exception_fp_ieee_overflow 0
		.amdhsa_exception_fp_ieee_underflow 0
		.amdhsa_exception_fp_ieee_inexact 0
		.amdhsa_exception_int_div_zero 0
	.end_amdhsa_kernel
	.section	.text._ZN9rocsolver6v33100L18getri_kernel_smallILi21E19rocblas_complex_numIfEPS3_EEvT1_iilPiilS6_bb,"axG",@progbits,_ZN9rocsolver6v33100L18getri_kernel_smallILi21E19rocblas_complex_numIfEPS3_EEvT1_iilPiilS6_bb,comdat
.Lfunc_end20:
	.size	_ZN9rocsolver6v33100L18getri_kernel_smallILi21E19rocblas_complex_numIfEPS3_EEvT1_iilPiilS6_bb, .Lfunc_end20-_ZN9rocsolver6v33100L18getri_kernel_smallILi21E19rocblas_complex_numIfEPS3_EEvT1_iilPiilS6_bb
                                        ; -- End function
	.set _ZN9rocsolver6v33100L18getri_kernel_smallILi21E19rocblas_complex_numIfEPS3_EEvT1_iilPiilS6_bb.num_vgpr, 144
	.set _ZN9rocsolver6v33100L18getri_kernel_smallILi21E19rocblas_complex_numIfEPS3_EEvT1_iilPiilS6_bb.num_agpr, 0
	.set _ZN9rocsolver6v33100L18getri_kernel_smallILi21E19rocblas_complex_numIfEPS3_EEvT1_iilPiilS6_bb.numbered_sgpr, 19
	.set _ZN9rocsolver6v33100L18getri_kernel_smallILi21E19rocblas_complex_numIfEPS3_EEvT1_iilPiilS6_bb.num_named_barrier, 0
	.set _ZN9rocsolver6v33100L18getri_kernel_smallILi21E19rocblas_complex_numIfEPS3_EEvT1_iilPiilS6_bb.private_seg_size, 176
	.set _ZN9rocsolver6v33100L18getri_kernel_smallILi21E19rocblas_complex_numIfEPS3_EEvT1_iilPiilS6_bb.uses_vcc, 1
	.set _ZN9rocsolver6v33100L18getri_kernel_smallILi21E19rocblas_complex_numIfEPS3_EEvT1_iilPiilS6_bb.uses_flat_scratch, 1
	.set _ZN9rocsolver6v33100L18getri_kernel_smallILi21E19rocblas_complex_numIfEPS3_EEvT1_iilPiilS6_bb.has_dyn_sized_stack, 0
	.set _ZN9rocsolver6v33100L18getri_kernel_smallILi21E19rocblas_complex_numIfEPS3_EEvT1_iilPiilS6_bb.has_recursion, 0
	.set _ZN9rocsolver6v33100L18getri_kernel_smallILi21E19rocblas_complex_numIfEPS3_EEvT1_iilPiilS6_bb.has_indirect_call, 0
	.section	.AMDGPU.csdata,"",@progbits
; Kernel info:
; codeLenInByte = 21968
; TotalNumSgprs: 21
; NumVgprs: 144
; ScratchSize: 176
; MemoryBound: 0
; FloatMode: 240
; IeeeMode: 1
; LDSByteSize: 344 bytes/workgroup (compile time only)
; SGPRBlocks: 0
; VGPRBlocks: 17
; NumSGPRsForWavesPerEU: 21
; NumVGPRsForWavesPerEU: 144
; Occupancy: 10
; WaveLimiterHint : 1
; COMPUTE_PGM_RSRC2:SCRATCH_EN: 1
; COMPUTE_PGM_RSRC2:USER_SGPR: 2
; COMPUTE_PGM_RSRC2:TRAP_HANDLER: 0
; COMPUTE_PGM_RSRC2:TGID_X_EN: 1
; COMPUTE_PGM_RSRC2:TGID_Y_EN: 0
; COMPUTE_PGM_RSRC2:TGID_Z_EN: 0
; COMPUTE_PGM_RSRC2:TIDIG_COMP_CNT: 0
	.section	.text._ZN9rocsolver6v33100L18getri_kernel_smallILi22E19rocblas_complex_numIfEPS3_EEvT1_iilPiilS6_bb,"axG",@progbits,_ZN9rocsolver6v33100L18getri_kernel_smallILi22E19rocblas_complex_numIfEPS3_EEvT1_iilPiilS6_bb,comdat
	.globl	_ZN9rocsolver6v33100L18getri_kernel_smallILi22E19rocblas_complex_numIfEPS3_EEvT1_iilPiilS6_bb ; -- Begin function _ZN9rocsolver6v33100L18getri_kernel_smallILi22E19rocblas_complex_numIfEPS3_EEvT1_iilPiilS6_bb
	.p2align	8
	.type	_ZN9rocsolver6v33100L18getri_kernel_smallILi22E19rocblas_complex_numIfEPS3_EEvT1_iilPiilS6_bb,@function
_ZN9rocsolver6v33100L18getri_kernel_smallILi22E19rocblas_complex_numIfEPS3_EEvT1_iilPiilS6_bb: ; @_ZN9rocsolver6v33100L18getri_kernel_smallILi22E19rocblas_complex_numIfEPS3_EEvT1_iilPiilS6_bb
; %bb.0:
	s_mov_b32 s2, exec_lo
	v_cmpx_gt_u32_e32 22, v0
	s_cbranch_execz .LBB21_102
; %bb.1:
	s_clause 0x2
	s_load_b32 s2, s[0:1], 0x38
	s_load_b128 s[12:15], s[0:1], 0x10
	s_load_b128 s[4:7], s[0:1], 0x28
	s_mov_b32 s16, ttmp9
	s_wait_kmcnt 0x0
	s_bitcmp1_b32 s2, 8
	s_cselect_b32 s18, -1, 0
	s_bfe_u32 s2, s2, 0x10008
	s_ashr_i32 s17, ttmp9, 31
	s_cmp_eq_u32 s2, 0
                                        ; implicit-def: $sgpr2_sgpr3
	s_cbranch_scc1 .LBB21_3
; %bb.2:
	s_load_b32 s2, s[0:1], 0x20
	s_mul_u64 s[4:5], s[4:5], s[16:17]
	s_delay_alu instid0(SALU_CYCLE_1) | instskip(NEXT) | instid1(SALU_CYCLE_1)
	s_lshl_b64 s[4:5], s[4:5], 2
	s_add_nc_u64 s[4:5], s[14:15], s[4:5]
	s_wait_kmcnt 0x0
	s_ashr_i32 s3, s2, 31
	s_delay_alu instid0(SALU_CYCLE_1) | instskip(NEXT) | instid1(SALU_CYCLE_1)
	s_lshl_b64 s[2:3], s[2:3], 2
	s_add_nc_u64 s[2:3], s[4:5], s[2:3]
.LBB21_3:
	s_clause 0x1
	s_load_b128 s[8:11], s[0:1], 0x0
	s_load_b32 s4, s[0:1], 0x38
	s_mul_u64 s[0:1], s[12:13], s[16:17]
	v_lshlrev_b32_e32 v51, 3, v0
	s_lshl_b64 s[0:1], s[0:1], 3
	s_wait_kmcnt 0x0
	v_add3_u32 v3, s11, s11, v0
	s_ashr_i32 s13, s10, 31
	s_mov_b32 s12, s10
	s_add_nc_u64 s[0:1], s[8:9], s[0:1]
	s_lshl_b64 s[12:13], s[12:13], 3
	v_add_nc_u32_e32 v5, s11, v3
	v_ashrrev_i32_e32 v4, 31, v3
	s_add_nc_u64 s[0:1], s[0:1], s[12:13]
	s_ashr_i32 s9, s11, 31
	v_add_co_u32 v1, s5, s0, v51
	v_add_nc_u32_e32 v9, s11, v5
	v_ashrrev_i32_e32 v6, 31, v5
	s_mov_b32 s8, s11
	v_lshlrev_b64_e32 v[7:8], 3, v[3:4]
	v_add_co_ci_u32_e64 v2, null, s1, 0, s5
	v_add_nc_u32_e32 v13, s11, v9
	s_lshl_b64 s[8:9], s[8:9], 3
	v_lshlrev_b64_e32 v[11:12], 3, v[5:6]
	v_add_co_u32 v3, vcc_lo, v1, s8
	s_delay_alu instid0(VALU_DEP_3)
	v_ashrrev_i32_e32 v14, 31, v13
	v_add_nc_u32_e32 v15, s11, v13
	v_add_co_ci_u32_e64 v4, null, s9, v2, vcc_lo
	v_add_co_u32 v5, vcc_lo, s0, v7
	s_wait_alu 0xfffd
	v_add_co_ci_u32_e64 v6, null, s1, v8, vcc_lo
	v_add_co_u32 v7, vcc_lo, s0, v11
	s_wait_alu 0xfffd
	v_add_co_ci_u32_e64 v8, null, s1, v12, vcc_lo
	v_lshlrev_b64_e32 v[11:12], 3, v[13:14]
	v_add_nc_u32_e32 v13, s11, v15
	v_ashrrev_i32_e32 v10, 31, v9
	v_ashrrev_i32_e32 v16, 31, v15
	global_load_b64 v[45:46], v51, s[0:1]
	s_bitcmp0_b32 s4, 0
	v_add_nc_u32_e32 v17, s11, v13
	v_lshlrev_b64_e32 v[9:10], 3, v[9:10]
	v_ashrrev_i32_e32 v14, 31, v13
	v_lshlrev_b64_e32 v[15:16], 3, v[15:16]
	s_delay_alu instid0(VALU_DEP_4)
	v_ashrrev_i32_e32 v18, 31, v17
	v_add_nc_u32_e32 v23, s11, v17
	v_add_co_u32 v9, vcc_lo, s0, v9
	v_lshlrev_b64_e32 v[19:20], 3, v[13:14]
	s_wait_alu 0xfffd
	v_add_co_ci_u32_e64 v10, null, s1, v10, vcc_lo
	v_add_co_u32 v11, vcc_lo, s0, v11
	v_lshlrev_b64_e32 v[21:22], 3, v[17:18]
	s_wait_alu 0xfffd
	v_add_co_ci_u32_e64 v12, null, s1, v12, vcc_lo
	v_add_co_u32 v13, vcc_lo, s0, v15
	s_wait_alu 0xfffd
	v_add_co_ci_u32_e64 v14, null, s1, v16, vcc_lo
	v_add_co_u32 v15, vcc_lo, s0, v19
	v_ashrrev_i32_e32 v24, 31, v23
	v_add_nc_u32_e32 v19, s11, v23
	s_wait_alu 0xfffd
	v_add_co_ci_u32_e64 v16, null, s1, v20, vcc_lo
	v_add_co_u32 v17, vcc_lo, s0, v21
	s_wait_alu 0xfffd
	v_add_co_ci_u32_e64 v18, null, s1, v22, vcc_lo
	v_lshlrev_b64_e32 v[21:22], 3, v[23:24]
	v_add_nc_u32_e32 v23, s11, v19
	v_ashrrev_i32_e32 v20, 31, v19
	s_clause 0x7
	global_load_b64 v[47:48], v[3:4], off
	global_load_b64 v[52:53], v[5:6], off
	;; [unrolled: 1-line block ×8, first 2 shown]
	v_add_nc_u32_e32 v27, s11, v23
	v_lshlrev_b64_e32 v[25:26], 3, v[19:20]
	v_add_co_u32 v19, vcc_lo, s0, v21
	s_wait_alu 0xfffd
	v_add_co_ci_u32_e64 v20, null, s1, v22, vcc_lo
	v_ashrrev_i32_e32 v28, 31, v27
	s_delay_alu instid0(VALU_DEP_4) | instskip(SKIP_2) | instid1(VALU_DEP_3)
	v_add_co_u32 v21, vcc_lo, s0, v25
	s_wait_alu 0xfffd
	v_add_co_ci_u32_e64 v22, null, s1, v26, vcc_lo
	v_lshlrev_b64_e32 v[25:26], 3, v[27:28]
	v_add_nc_u32_e32 v27, s11, v27
	v_ashrrev_i32_e32 v24, 31, v23
	s_delay_alu instid0(VALU_DEP_2) | instskip(SKIP_1) | instid1(VALU_DEP_3)
	v_add_nc_u32_e32 v29, s11, v27
	v_ashrrev_i32_e32 v28, 31, v27
	v_lshlrev_b64_e32 v[23:24], 3, v[23:24]
	s_delay_alu instid0(VALU_DEP_3) | instskip(SKIP_1) | instid1(VALU_DEP_4)
	v_add_nc_u32_e32 v31, s11, v29
	v_ashrrev_i32_e32 v30, 31, v29
	v_lshlrev_b64_e32 v[27:28], 3, v[27:28]
	s_delay_alu instid0(VALU_DEP_4) | instskip(NEXT) | instid1(VALU_DEP_4)
	v_add_co_u32 v23, vcc_lo, s0, v23
	v_add_nc_u32_e32 v33, s11, v31
	v_ashrrev_i32_e32 v32, 31, v31
	v_lshlrev_b64_e32 v[29:30], 3, v[29:30]
	s_wait_alu 0xfffd
	v_add_co_ci_u32_e64 v24, null, s1, v24, vcc_lo
	v_ashrrev_i32_e32 v34, 31, v33
	v_add_co_u32 v25, vcc_lo, s0, v25
	v_lshlrev_b64_e32 v[31:32], 3, v[31:32]
	v_add_nc_u32_e32 v36, s11, v33
	s_wait_alu 0xfffd
	v_add_co_ci_u32_e64 v26, null, s1, v26, vcc_lo
	v_add_co_u32 v27, vcc_lo, s0, v27
	v_lshlrev_b64_e32 v[34:35], 3, v[33:34]
	s_wait_alu 0xfffd
	v_add_co_ci_u32_e64 v28, null, s1, v28, vcc_lo
	v_add_co_u32 v29, vcc_lo, s0, v29
	v_ashrrev_i32_e32 v37, 31, v36
	v_add_nc_u32_e32 v38, s11, v36
	s_wait_alu 0xfffd
	v_add_co_ci_u32_e64 v30, null, s1, v30, vcc_lo
	v_add_co_u32 v31, vcc_lo, s0, v31
	s_wait_alu 0xfffd
	v_add_co_ci_u32_e64 v32, null, s1, v32, vcc_lo
	v_add_co_u32 v33, vcc_lo, s0, v34
	s_wait_alu 0xfffd
	v_add_co_ci_u32_e64 v34, null, s1, v35, vcc_lo
	v_lshlrev_b64_e32 v[35:36], 3, v[36:37]
	v_add_nc_u32_e32 v37, s11, v38
	v_ashrrev_i32_e32 v39, 31, v38
	s_clause 0x7
	global_load_b64 v[66:67], v[19:20], off
	global_load_b64 v[68:69], v[21:22], off
	;; [unrolled: 1-line block ×8, first 2 shown]
	v_add_nc_u32_e32 v41, s11, v37
	v_lshlrev_b64_e32 v[39:40], 3, v[38:39]
	v_ashrrev_i32_e32 v38, 31, v37
	v_add_co_u32 v35, vcc_lo, s0, v35
	s_delay_alu instid0(VALU_DEP_4) | instskip(SKIP_1) | instid1(VALU_DEP_4)
	v_add_nc_u32_e32 v49, s11, v41
	v_ashrrev_i32_e32 v42, 31, v41
	v_lshlrev_b64_e32 v[43:44], 3, v[37:38]
	s_wait_alu 0xfffd
	v_add_co_ci_u32_e64 v36, null, s1, v36, vcc_lo
	v_ashrrev_i32_e32 v50, 31, v49
	v_add_co_u32 v37, vcc_lo, s0, v39
	s_wait_alu 0xfffd
	v_add_co_ci_u32_e64 v38, null, s1, v40, vcc_lo
	v_lshlrev_b64_e32 v[41:42], 3, v[41:42]
	v_add_co_u32 v39, vcc_lo, s0, v43
	s_wait_alu 0xfffd
	v_add_co_ci_u32_e64 v40, null, s1, v44, vcc_lo
	v_lshlrev_b64_e32 v[43:44], 3, v[49:50]
	s_delay_alu instid0(VALU_DEP_4) | instskip(SKIP_2) | instid1(VALU_DEP_3)
	v_add_co_u32 v41, vcc_lo, s0, v41
	s_wait_alu 0xfffd
	v_add_co_ci_u32_e64 v42, null, s1, v42, vcc_lo
	v_add_co_u32 v43, vcc_lo, s0, v43
	s_wait_alu 0xfffd
	v_add_co_ci_u32_e64 v44, null, s1, v44, vcc_lo
	s_clause 0x4
	global_load_b64 v[82:83], v[35:36], off
	global_load_b64 v[84:85], v[37:38], off
	;; [unrolled: 1-line block ×5, first 2 shown]
	s_mov_b32 s1, -1
	s_wait_loadcnt 0x14
	scratch_store_b128 off, v[45:48], off
	s_wait_loadcnt 0x12
	scratch_store_b128 off, v[52:55], off offset:16
	s_wait_loadcnt 0x10
	scratch_store_b128 off, v[56:59], off offset:32
	;; [unrolled: 2-line block ×10, first 2 shown]
	s_cbranch_scc1 .LBB21_100
; %bb.4:
	v_cmp_eq_u32_e64 s0, 0, v0
	s_and_saveexec_b32 s1, s0
; %bb.5:
	v_mov_b32_e32 v45, 0
	ds_store_b32 v45, v45 offset:352
; %bb.6:
	s_wait_alu 0xfffe
	s_or_b32 exec_lo, exec_lo, s1
	s_wait_storecnt_dscnt 0x0
	s_barrier_signal -1
	s_barrier_wait -1
	global_inv scope:SCOPE_SE
	scratch_load_b64 v[45:46], v51, off
	s_wait_loadcnt 0x0
	v_cmp_eq_f32_e32 vcc_lo, 0, v45
	v_cmp_eq_f32_e64 s1, 0, v46
	s_and_b32 s1, vcc_lo, s1
	s_wait_alu 0xfffe
	s_and_saveexec_b32 s4, s1
	s_cbranch_execz .LBB21_10
; %bb.7:
	v_mov_b32_e32 v45, 0
	s_mov_b32 s5, 0
	ds_load_b32 v46, v45 offset:352
	s_wait_dscnt 0x0
	v_readfirstlane_b32 s1, v46
	v_add_nc_u32_e32 v46, 1, v0
	s_cmp_eq_u32 s1, 0
	s_delay_alu instid0(VALU_DEP_1)
	v_cmp_gt_i32_e32 vcc_lo, s1, v46
	s_cselect_b32 s8, -1, 0
	s_wait_alu 0xfffe
	s_or_b32 s8, s8, vcc_lo
	s_wait_alu 0xfffe
	s_and_b32 exec_lo, exec_lo, s8
	s_cbranch_execz .LBB21_10
; %bb.8:
	v_mov_b32_e32 v47, s1
.LBB21_9:                               ; =>This Inner Loop Header: Depth=1
	ds_cmpstore_rtn_b32 v47, v45, v46, v47 offset:352
	s_wait_dscnt 0x0
	v_cmp_ne_u32_e32 vcc_lo, 0, v47
	v_cmp_le_i32_e64 s1, v47, v46
	s_and_b32 s1, vcc_lo, s1
	s_wait_alu 0xfffe
	s_and_b32 s1, exec_lo, s1
	s_wait_alu 0xfffe
	s_or_b32 s5, s1, s5
	s_wait_alu 0xfffe
	s_and_not1_b32 exec_lo, exec_lo, s5
	s_cbranch_execnz .LBB21_9
.LBB21_10:
	s_wait_alu 0xfffe
	s_or_b32 exec_lo, exec_lo, s4
	v_mov_b32_e32 v45, 0
	s_barrier_signal -1
	s_barrier_wait -1
	global_inv scope:SCOPE_SE
	ds_load_b32 v46, v45 offset:352
	s_and_saveexec_b32 s1, s0
	s_cbranch_execz .LBB21_12
; %bb.11:
	s_lshl_b64 s[4:5], s[16:17], 2
	s_wait_alu 0xfffe
	s_add_nc_u64 s[4:5], s[6:7], s[4:5]
	s_wait_dscnt 0x0
	global_store_b32 v45, v46, s[4:5]
.LBB21_12:
	s_wait_alu 0xfffe
	s_or_b32 exec_lo, exec_lo, s1
	s_wait_dscnt 0x0
	v_cmp_ne_u32_e32 vcc_lo, 0, v46
	s_mov_b32 s1, 0
	s_cbranch_vccnz .LBB21_100
; %bb.13:
	v_mov_b32_e32 v52, v51
                                        ; implicit-def: $vgpr47
                                        ; implicit-def: $vgpr49
	scratch_load_b64 v[45:46], v52, off
	s_wait_loadcnt 0x0
	v_cmp_ngt_f32_e64 s1, |v45|, |v46|
	s_wait_alu 0xfffe
	s_and_saveexec_b32 s4, s1
	s_wait_alu 0xfffe
	s_xor_b32 s1, exec_lo, s4
	s_cbranch_execz .LBB21_15
; %bb.14:
	v_div_scale_f32 v47, null, v46, v46, v45
	v_div_scale_f32 v50, vcc_lo, v45, v46, v45
	s_delay_alu instid0(VALU_DEP_2) | instskip(NEXT) | instid1(TRANS32_DEP_1)
	v_rcp_f32_e32 v48, v47
	v_fma_f32 v49, -v47, v48, 1.0
	s_delay_alu instid0(VALU_DEP_1) | instskip(NEXT) | instid1(VALU_DEP_1)
	v_fmac_f32_e32 v48, v49, v48
	v_mul_f32_e32 v49, v50, v48
	s_delay_alu instid0(VALU_DEP_1) | instskip(NEXT) | instid1(VALU_DEP_1)
	v_fma_f32 v53, -v47, v49, v50
	v_fmac_f32_e32 v49, v53, v48
	s_delay_alu instid0(VALU_DEP_1) | instskip(SKIP_1) | instid1(VALU_DEP_1)
	v_fma_f32 v47, -v47, v49, v50
	s_wait_alu 0xfffd
	v_div_fmas_f32 v47, v47, v48, v49
	s_delay_alu instid0(VALU_DEP_1) | instskip(NEXT) | instid1(VALU_DEP_1)
	v_div_fixup_f32 v47, v47, v46, v45
	v_fmac_f32_e32 v46, v45, v47
	s_delay_alu instid0(VALU_DEP_1) | instskip(NEXT) | instid1(VALU_DEP_1)
	v_div_scale_f32 v45, null, v46, v46, 1.0
	v_rcp_f32_e32 v48, v45
	s_delay_alu instid0(TRANS32_DEP_1) | instskip(NEXT) | instid1(VALU_DEP_1)
	v_fma_f32 v49, -v45, v48, 1.0
	v_fmac_f32_e32 v48, v49, v48
	v_div_scale_f32 v49, vcc_lo, 1.0, v46, 1.0
	s_delay_alu instid0(VALU_DEP_1) | instskip(NEXT) | instid1(VALU_DEP_1)
	v_mul_f32_e32 v50, v49, v48
	v_fma_f32 v53, -v45, v50, v49
	s_delay_alu instid0(VALU_DEP_1) | instskip(NEXT) | instid1(VALU_DEP_1)
	v_fmac_f32_e32 v50, v53, v48
	v_fma_f32 v45, -v45, v50, v49
	s_wait_alu 0xfffd
	s_delay_alu instid0(VALU_DEP_1) | instskip(NEXT) | instid1(VALU_DEP_1)
	v_div_fmas_f32 v45, v45, v48, v50
	v_div_fixup_f32 v45, v45, v46, 1.0
	s_delay_alu instid0(VALU_DEP_1) | instskip(SKIP_1) | instid1(VALU_DEP_2)
	v_mul_f32_e32 v47, v47, v45
	v_xor_b32_e32 v48, 0x80000000, v45
                                        ; implicit-def: $vgpr45_vgpr46
	v_xor_b32_e32 v49, 0x80000000, v47
.LBB21_15:
	s_wait_alu 0xfffe
	s_and_not1_saveexec_b32 s1, s1
	s_cbranch_execz .LBB21_17
; %bb.16:
	v_div_scale_f32 v47, null, v45, v45, v46
	v_div_scale_f32 v50, vcc_lo, v46, v45, v46
	s_delay_alu instid0(VALU_DEP_2) | instskip(NEXT) | instid1(TRANS32_DEP_1)
	v_rcp_f32_e32 v48, v47
	v_fma_f32 v49, -v47, v48, 1.0
	s_delay_alu instid0(VALU_DEP_1) | instskip(NEXT) | instid1(VALU_DEP_1)
	v_fmac_f32_e32 v48, v49, v48
	v_mul_f32_e32 v49, v50, v48
	s_delay_alu instid0(VALU_DEP_1) | instskip(NEXT) | instid1(VALU_DEP_1)
	v_fma_f32 v53, -v47, v49, v50
	v_fmac_f32_e32 v49, v53, v48
	s_delay_alu instid0(VALU_DEP_1) | instskip(SKIP_1) | instid1(VALU_DEP_1)
	v_fma_f32 v47, -v47, v49, v50
	s_wait_alu 0xfffd
	v_div_fmas_f32 v47, v47, v48, v49
	s_delay_alu instid0(VALU_DEP_1) | instskip(NEXT) | instid1(VALU_DEP_1)
	v_div_fixup_f32 v48, v47, v45, v46
	v_fmac_f32_e32 v45, v46, v48
	s_delay_alu instid0(VALU_DEP_1) | instskip(SKIP_1) | instid1(VALU_DEP_2)
	v_div_scale_f32 v46, null, v45, v45, 1.0
	v_div_scale_f32 v50, vcc_lo, 1.0, v45, 1.0
	v_rcp_f32_e32 v47, v46
	s_delay_alu instid0(TRANS32_DEP_1) | instskip(NEXT) | instid1(VALU_DEP_1)
	v_fma_f32 v49, -v46, v47, 1.0
	v_fmac_f32_e32 v47, v49, v47
	s_delay_alu instid0(VALU_DEP_1) | instskip(NEXT) | instid1(VALU_DEP_1)
	v_mul_f32_e32 v49, v50, v47
	v_fma_f32 v53, -v46, v49, v50
	s_delay_alu instid0(VALU_DEP_1) | instskip(NEXT) | instid1(VALU_DEP_1)
	v_fmac_f32_e32 v49, v53, v47
	v_fma_f32 v46, -v46, v49, v50
	s_wait_alu 0xfffd
	s_delay_alu instid0(VALU_DEP_1) | instskip(NEXT) | instid1(VALU_DEP_1)
	v_div_fmas_f32 v46, v46, v47, v49
	v_div_fixup_f32 v47, v46, v45, 1.0
	s_delay_alu instid0(VALU_DEP_1)
	v_xor_b32_e32 v49, 0x80000000, v47
	v_mul_f32_e64 v48, v48, -v47
.LBB21_17:
	s_wait_alu 0xfffe
	s_or_b32 exec_lo, exec_lo, s1
	scratch_store_b64 v52, v[47:48], off
	scratch_load_b64 v[46:47], off, off offset:8
	v_xor_b32_e32 v50, 0x80000000, v48
	v_add_nc_u32_e32 v45, 0xb0, v51
	s_wait_loadcnt 0x0
	ds_store_2addr_b64 v51, v[49:50], v[46:47] offset1:22
	s_wait_storecnt_dscnt 0x0
	s_barrier_signal -1
	s_barrier_wait -1
	global_inv scope:SCOPE_SE
	s_and_saveexec_b32 s1, s0
	s_cbranch_execz .LBB21_19
; %bb.18:
	scratch_load_b64 v[46:47], v52, off
	ds_load_b64 v[48:49], v45
	v_mov_b32_e32 v50, 0
	ds_load_b64 v[53:54], v50 offset:8
	s_wait_loadcnt_dscnt 0x1
	v_mul_f32_e32 v50, v48, v47
	v_mul_f32_e32 v47, v49, v47
	s_delay_alu instid0(VALU_DEP_2) | instskip(NEXT) | instid1(VALU_DEP_2)
	v_fmac_f32_e32 v50, v49, v46
	v_fma_f32 v46, v48, v46, -v47
	s_delay_alu instid0(VALU_DEP_2) | instskip(NEXT) | instid1(VALU_DEP_2)
	v_add_f32_e32 v48, 0, v50
	v_add_f32_e32 v46, 0, v46
	s_wait_dscnt 0x0
	s_delay_alu instid0(VALU_DEP_2) | instskip(NEXT) | instid1(VALU_DEP_2)
	v_mul_f32_e32 v49, v48, v54
	v_mul_f32_e32 v47, v46, v54
	s_delay_alu instid0(VALU_DEP_2) | instskip(NEXT) | instid1(VALU_DEP_2)
	v_fma_f32 v46, v46, v53, -v49
	v_fmac_f32_e32 v47, v48, v53
	scratch_store_b64 off, v[46:47], off offset:8
.LBB21_19:
	s_wait_alu 0xfffe
	s_or_b32 exec_lo, exec_lo, s1
	s_wait_loadcnt 0x0
	s_wait_storecnt 0x0
	s_barrier_signal -1
	s_barrier_wait -1
	global_inv scope:SCOPE_SE
	scratch_load_b64 v[46:47], off, off offset:16
	s_mov_b32 s1, exec_lo
	s_wait_loadcnt 0x0
	ds_store_b64 v45, v[46:47]
	s_wait_dscnt 0x0
	s_barrier_signal -1
	s_barrier_wait -1
	global_inv scope:SCOPE_SE
	v_cmpx_gt_u32_e32 2, v0
	s_cbranch_execz .LBB21_23
; %bb.20:
	scratch_load_b64 v[46:47], v52, off
	ds_load_b64 v[48:49], v45
	s_wait_loadcnt_dscnt 0x0
	v_mul_f32_e32 v50, v49, v47
	v_mul_f32_e32 v53, v48, v47
	s_delay_alu instid0(VALU_DEP_2) | instskip(NEXT) | instid1(VALU_DEP_2)
	v_fma_f32 v47, v48, v46, -v50
	v_fmac_f32_e32 v53, v49, v46
	s_delay_alu instid0(VALU_DEP_1)
	v_dual_add_f32 v47, 0, v47 :: v_dual_add_f32 v46, 0, v53
	s_and_saveexec_b32 s4, s0
	s_cbranch_execz .LBB21_22
; %bb.21:
	scratch_load_b64 v[48:49], off, off offset:8
	v_mov_b32_e32 v50, 0
	ds_load_b64 v[53:54], v50 offset:184
	s_wait_loadcnt_dscnt 0x0
	v_mul_f32_e32 v50, v53, v49
	v_mul_f32_e32 v49, v54, v49
	s_delay_alu instid0(VALU_DEP_2) | instskip(NEXT) | instid1(VALU_DEP_2)
	v_fmac_f32_e32 v50, v54, v48
	v_fma_f32 v48, v53, v48, -v49
	s_delay_alu instid0(VALU_DEP_1)
	v_dual_add_f32 v46, v46, v50 :: v_dual_add_f32 v47, v47, v48
.LBB21_22:
	s_wait_alu 0xfffe
	s_or_b32 exec_lo, exec_lo, s4
	v_mov_b32_e32 v48, 0
	ds_load_b64 v[48:49], v48 offset:16
	s_wait_dscnt 0x0
	v_mul_f32_e32 v53, v46, v49
	v_mul_f32_e32 v50, v47, v49
	s_delay_alu instid0(VALU_DEP_2) | instskip(NEXT) | instid1(VALU_DEP_2)
	v_fma_f32 v49, v47, v48, -v53
	v_fmac_f32_e32 v50, v46, v48
	scratch_store_b64 off, v[49:50], off offset:16
.LBB21_23:
	s_wait_alu 0xfffe
	s_or_b32 exec_lo, exec_lo, s1
	s_wait_loadcnt 0x0
	s_wait_storecnt 0x0
	s_barrier_signal -1
	s_barrier_wait -1
	global_inv scope:SCOPE_SE
	scratch_load_b64 v[47:48], off, off offset:24
	v_add_nc_u32_e32 v46, -1, v0
	s_mov_b32 s0, exec_lo
	s_wait_loadcnt 0x0
	ds_store_b64 v45, v[47:48]
	s_wait_dscnt 0x0
	s_barrier_signal -1
	s_barrier_wait -1
	global_inv scope:SCOPE_SE
	v_cmpx_gt_u32_e32 3, v0
	s_cbranch_execz .LBB21_27
; %bb.24:
	v_dual_mov_b32 v47, 0 :: v_dual_add_nc_u32 v48, -1, v0
	v_dual_mov_b32 v50, v51 :: v_dual_add_nc_u32 v49, 0xb0, v51
	v_mov_b32_e32 v53, 0
	s_mov_b32 s1, 0
.LBB21_25:                              ; =>This Inner Loop Header: Depth=1
	scratch_load_b64 v[54:55], v50, off
	ds_load_b64 v[56:57], v49
	v_add_nc_u32_e32 v48, 1, v48
	v_add_nc_u32_e32 v49, 8, v49
	s_delay_alu instid0(VALU_DEP_2)
	v_cmp_lt_u32_e32 vcc_lo, 1, v48
	s_wait_alu 0xfffe
	s_or_b32 s1, vcc_lo, s1
	s_wait_loadcnt_dscnt 0x0
	v_mul_f32_e32 v58, v57, v55
	v_mul_f32_e32 v55, v56, v55
	s_delay_alu instid0(VALU_DEP_2) | instskip(NEXT) | instid1(VALU_DEP_2)
	v_fma_f32 v56, v56, v54, -v58
	v_fmac_f32_e32 v55, v57, v54
	s_delay_alu instid0(VALU_DEP_2) | instskip(NEXT) | instid1(VALU_DEP_2)
	v_dual_add_f32 v53, v53, v56 :: v_dual_add_nc_u32 v50, 8, v50
	v_add_f32_e32 v47, v47, v55
	s_wait_alu 0xfffe
	s_and_not1_b32 exec_lo, exec_lo, s1
	s_cbranch_execnz .LBB21_25
; %bb.26:
	s_or_b32 exec_lo, exec_lo, s1
	v_mov_b32_e32 v48, 0
	ds_load_b64 v[48:49], v48 offset:24
	s_wait_dscnt 0x0
	v_mul_f32_e32 v54, v47, v49
	v_mul_f32_e32 v50, v53, v49
	s_delay_alu instid0(VALU_DEP_2) | instskip(NEXT) | instid1(VALU_DEP_2)
	v_fma_f32 v49, v53, v48, -v54
	v_fmac_f32_e32 v50, v47, v48
	scratch_store_b64 off, v[49:50], off offset:24
.LBB21_27:
	s_wait_alu 0xfffe
	s_or_b32 exec_lo, exec_lo, s0
	s_wait_loadcnt 0x0
	s_wait_storecnt 0x0
	s_barrier_signal -1
	s_barrier_wait -1
	global_inv scope:SCOPE_SE
	scratch_load_b64 v[47:48], off, off offset:32
	s_mov_b32 s0, exec_lo
	s_wait_loadcnt 0x0
	ds_store_b64 v45, v[47:48]
	s_wait_dscnt 0x0
	s_barrier_signal -1
	s_barrier_wait -1
	global_inv scope:SCOPE_SE
	v_cmpx_gt_u32_e32 4, v0
	s_cbranch_execz .LBB21_31
; %bb.28:
	v_dual_mov_b32 v47, 0 :: v_dual_add_nc_u32 v48, -1, v0
	v_dual_mov_b32 v50, v51 :: v_dual_add_nc_u32 v49, 0xb0, v51
	v_mov_b32_e32 v53, 0
	s_mov_b32 s1, 0
.LBB21_29:                              ; =>This Inner Loop Header: Depth=1
	scratch_load_b64 v[54:55], v50, off
	ds_load_b64 v[56:57], v49
	v_add_nc_u32_e32 v48, 1, v48
	v_add_nc_u32_e32 v49, 8, v49
	s_delay_alu instid0(VALU_DEP_2)
	v_cmp_lt_u32_e32 vcc_lo, 2, v48
	s_wait_alu 0xfffe
	s_or_b32 s1, vcc_lo, s1
	s_wait_loadcnt_dscnt 0x0
	v_mul_f32_e32 v58, v57, v55
	v_mul_f32_e32 v55, v56, v55
	s_delay_alu instid0(VALU_DEP_2) | instskip(NEXT) | instid1(VALU_DEP_2)
	v_fma_f32 v56, v56, v54, -v58
	v_fmac_f32_e32 v55, v57, v54
	s_delay_alu instid0(VALU_DEP_2) | instskip(NEXT) | instid1(VALU_DEP_2)
	v_dual_add_f32 v53, v53, v56 :: v_dual_add_nc_u32 v50, 8, v50
	v_add_f32_e32 v47, v47, v55
	s_wait_alu 0xfffe
	s_and_not1_b32 exec_lo, exec_lo, s1
	s_cbranch_execnz .LBB21_29
; %bb.30:
	s_or_b32 exec_lo, exec_lo, s1
	v_mov_b32_e32 v48, 0
	ds_load_b64 v[48:49], v48 offset:32
	s_wait_dscnt 0x0
	v_mul_f32_e32 v54, v47, v49
	v_mul_f32_e32 v50, v53, v49
	s_delay_alu instid0(VALU_DEP_2) | instskip(NEXT) | instid1(VALU_DEP_2)
	v_fma_f32 v49, v53, v48, -v54
	v_fmac_f32_e32 v50, v47, v48
	scratch_store_b64 off, v[49:50], off offset:32
.LBB21_31:
	s_wait_alu 0xfffe
	s_or_b32 exec_lo, exec_lo, s0
	s_wait_loadcnt 0x0
	s_wait_storecnt 0x0
	s_barrier_signal -1
	s_barrier_wait -1
	global_inv scope:SCOPE_SE
	scratch_load_b64 v[47:48], off, off offset:40
	;; [unrolled: 55-line block ×17, first 2 shown]
	s_mov_b32 s0, exec_lo
	s_wait_loadcnt 0x0
	ds_store_b64 v45, v[47:48]
	s_wait_dscnt 0x0
	s_barrier_signal -1
	s_barrier_wait -1
	global_inv scope:SCOPE_SE
	v_cmpx_gt_u32_e32 20, v0
	s_cbranch_execz .LBB21_95
; %bb.92:
	v_dual_mov_b32 v47, 0 :: v_dual_add_nc_u32 v48, -1, v0
	v_dual_mov_b32 v50, v51 :: v_dual_add_nc_u32 v49, 0xb0, v51
	v_mov_b32_e32 v51, 0
	s_mov_b32 s1, 0
.LBB21_93:                              ; =>This Inner Loop Header: Depth=1
	scratch_load_b64 v[53:54], v50, off
	ds_load_b64 v[55:56], v49
	v_add_nc_u32_e32 v50, 8, v50
	v_add_nc_u32_e32 v48, 1, v48
	;; [unrolled: 1-line block ×3, first 2 shown]
	s_delay_alu instid0(VALU_DEP_2)
	v_cmp_lt_u32_e32 vcc_lo, 18, v48
	s_wait_alu 0xfffe
	s_or_b32 s1, vcc_lo, s1
	s_wait_loadcnt_dscnt 0x0
	v_mul_f32_e32 v57, v56, v54
	v_mul_f32_e32 v54, v55, v54
	s_delay_alu instid0(VALU_DEP_2) | instskip(NEXT) | instid1(VALU_DEP_1)
	v_fma_f32 v55, v55, v53, -v57
	v_dual_fmac_f32 v54, v56, v53 :: v_dual_add_f32 v51, v51, v55
	s_delay_alu instid0(VALU_DEP_1)
	v_add_f32_e32 v47, v47, v54
	s_wait_alu 0xfffe
	s_and_not1_b32 exec_lo, exec_lo, s1
	s_cbranch_execnz .LBB21_93
; %bb.94:
	s_or_b32 exec_lo, exec_lo, s1
	v_mov_b32_e32 v48, 0
	ds_load_b64 v[48:49], v48 offset:160
	s_wait_dscnt 0x0
	v_mul_f32_e32 v53, v47, v49
	v_mul_f32_e32 v50, v51, v49
	s_delay_alu instid0(VALU_DEP_2) | instskip(NEXT) | instid1(VALU_DEP_2)
	v_fma_f32 v49, v51, v48, -v53
	v_fmac_f32_e32 v50, v47, v48
	scratch_store_b64 off, v[49:50], off offset:160
.LBB21_95:
	s_wait_alu 0xfffe
	s_or_b32 exec_lo, exec_lo, s0
	s_wait_loadcnt 0x0
	s_wait_storecnt 0x0
	s_barrier_signal -1
	s_barrier_wait -1
	global_inv scope:SCOPE_SE
	scratch_load_b64 v[47:48], off, off offset:168
	s_mov_b32 s0, exec_lo
	s_wait_loadcnt 0x0
	ds_store_b64 v45, v[47:48]
	s_wait_dscnt 0x0
	s_barrier_signal -1
	s_barrier_wait -1
	global_inv scope:SCOPE_SE
	v_cmpx_ne_u32_e32 21, v0
	s_cbranch_execz .LBB21_99
; %bb.96:
	v_dual_mov_b32 v47, 0 :: v_dual_mov_b32 v48, 0
	s_mov_b32 s1, 0
.LBB21_97:                              ; =>This Inner Loop Header: Depth=1
	scratch_load_b64 v[49:50], v52, off
	ds_load_b64 v[53:54], v45
	v_add_nc_u32_e32 v46, 1, v46
	v_add_nc_u32_e32 v45, 8, v45
	;; [unrolled: 1-line block ×3, first 2 shown]
	s_delay_alu instid0(VALU_DEP_3)
	v_cmp_lt_u32_e32 vcc_lo, 19, v46
	s_wait_alu 0xfffe
	s_or_b32 s1, vcc_lo, s1
	s_wait_loadcnt_dscnt 0x0
	v_mul_f32_e32 v51, v54, v50
	v_mul_f32_e32 v50, v53, v50
	s_delay_alu instid0(VALU_DEP_2) | instskip(NEXT) | instid1(VALU_DEP_2)
	v_fma_f32 v51, v53, v49, -v51
	v_fmac_f32_e32 v50, v54, v49
	s_delay_alu instid0(VALU_DEP_1)
	v_dual_add_f32 v48, v48, v51 :: v_dual_add_f32 v47, v47, v50
	s_wait_alu 0xfffe
	s_and_not1_b32 exec_lo, exec_lo, s1
	s_cbranch_execnz .LBB21_97
; %bb.98:
	s_or_b32 exec_lo, exec_lo, s1
	v_mov_b32_e32 v45, 0
	ds_load_b64 v[45:46], v45 offset:168
	s_wait_dscnt 0x0
	v_mul_f32_e32 v50, v47, v46
	v_mul_f32_e32 v49, v48, v46
	s_delay_alu instid0(VALU_DEP_2) | instskip(NEXT) | instid1(VALU_DEP_2)
	v_fma_f32 v48, v48, v45, -v50
	v_fmac_f32_e32 v49, v47, v45
	scratch_store_b64 off, v[48:49], off offset:168
.LBB21_99:
	s_wait_alu 0xfffe
	s_or_b32 exec_lo, exec_lo, s0
	s_mov_b32 s1, -1
	s_wait_loadcnt 0x0
	s_wait_storecnt 0x0
	s_barrier_signal -1
	s_barrier_wait -1
	global_inv scope:SCOPE_SE
.LBB21_100:
	s_wait_alu 0xfffe
	s_and_b32 vcc_lo, exec_lo, s1
	s_wait_alu 0xfffe
	s_cbranch_vccz .LBB21_102
; %bb.101:
	v_mov_b32_e32 v45, 0
	s_lshl_b64 s[0:1], s[16:17], 2
	s_wait_alu 0xfffe
	s_add_nc_u64 s[0:1], s[6:7], s[0:1]
	global_load_b32 v45, v45, s[0:1]
	s_wait_loadcnt 0x0
	v_cmp_ne_u32_e32 vcc_lo, 0, v45
	s_cbranch_vccz .LBB21_103
.LBB21_102:
	s_nop 0
	s_sendmsg sendmsg(MSG_DEALLOC_VGPRS)
	s_endpgm
.LBB21_103:
	v_lshl_add_u32 v47, v0, 3, 0xb0
	s_mov_b32 s0, exec_lo
	v_cmpx_eq_u32_e32 21, v0
	s_cbranch_execz .LBB21_105
; %bb.104:
	scratch_load_b64 v[45:46], off, off offset:160
	v_mov_b32_e32 v48, 0
	s_delay_alu instid0(VALU_DEP_1)
	v_mov_b32_e32 v49, v48
	scratch_store_b64 off, v[48:49], off offset:160
	s_wait_loadcnt 0x0
	ds_store_b64 v47, v[45:46]
.LBB21_105:
	s_wait_alu 0xfffe
	s_or_b32 exec_lo, exec_lo, s0
	s_wait_storecnt_dscnt 0x0
	s_barrier_signal -1
	s_barrier_wait -1
	global_inv scope:SCOPE_SE
	s_clause 0x1
	scratch_load_b64 v[48:49], off, off offset:168
	scratch_load_b64 v[50:51], off, off offset:160
	v_mov_b32_e32 v45, 0
	s_mov_b32 s0, exec_lo
	ds_load_b64 v[52:53], v45 offset:344
	s_wait_loadcnt_dscnt 0x100
	v_mul_f32_e32 v46, v53, v49
	s_delay_alu instid0(VALU_DEP_1) | instskip(NEXT) | instid1(VALU_DEP_1)
	v_fma_f32 v46, v52, v48, -v46
	v_dual_mul_f32 v49, v52, v49 :: v_dual_add_f32 v46, 0, v46
	s_wait_loadcnt 0x0
	s_delay_alu instid0(VALU_DEP_1) | instskip(NEXT) | instid1(VALU_DEP_1)
	v_dual_fmac_f32 v49, v53, v48 :: v_dual_sub_f32 v48, v50, v46
	v_add_f32_e32 v49, 0, v49
	s_delay_alu instid0(VALU_DEP_1)
	v_sub_f32_e32 v49, v51, v49
	scratch_store_b64 off, v[48:49], off offset:160
	v_cmpx_lt_u32_e32 19, v0
	s_cbranch_execz .LBB21_107
; %bb.106:
	scratch_load_b64 v[48:49], off, off offset:152
	v_mov_b32_e32 v46, v45
	scratch_store_b64 off, v[45:46], off offset:152
	s_wait_loadcnt 0x0
	ds_store_b64 v47, v[48:49]
.LBB21_107:
	s_wait_alu 0xfffe
	s_or_b32 exec_lo, exec_lo, s0
	s_wait_storecnt_dscnt 0x0
	s_barrier_signal -1
	s_barrier_wait -1
	global_inv scope:SCOPE_SE
	s_clause 0x1
	scratch_load_b128 v[48:51], off, off offset:160
	scratch_load_b64 v[56:57], off, off offset:152
	ds_load_b128 v[52:55], v45 offset:336
	s_mov_b32 s0, exec_lo
	s_wait_loadcnt_dscnt 0x100
	v_mul_f32_e32 v46, v52, v49
	s_delay_alu instid0(VALU_DEP_1) | instskip(SKIP_2) | instid1(VALU_DEP_1)
	v_fmac_f32_e32 v46, v53, v48
	v_mul_f32_e32 v45, v53, v49
	v_mul_f32_e32 v49, v54, v51
	v_fmac_f32_e32 v49, v55, v50
	s_delay_alu instid0(VALU_DEP_4) | instskip(NEXT) | instid1(VALU_DEP_4)
	v_dual_add_f32 v46, 0, v46 :: v_dual_mul_f32 v51, v55, v51
	v_fma_f32 v45, v52, v48, -v45
	s_delay_alu instid0(VALU_DEP_2) | instskip(NEXT) | instid1(VALU_DEP_3)
	v_add_f32_e32 v46, v46, v49
	v_fma_f32 v48, v54, v50, -v51
	s_wait_loadcnt 0x0
	s_delay_alu instid0(VALU_DEP_2) | instskip(NEXT) | instid1(VALU_DEP_1)
	v_dual_add_f32 v45, 0, v45 :: v_dual_sub_f32 v46, v57, v46
	v_add_f32_e32 v45, v45, v48
	s_delay_alu instid0(VALU_DEP_1)
	v_sub_f32_e32 v45, v56, v45
	scratch_store_b64 off, v[45:46], off offset:152
	v_cmpx_lt_u32_e32 18, v0
	s_cbranch_execz .LBB21_109
; %bb.108:
	scratch_load_b64 v[45:46], off, off offset:144
	v_mov_b32_e32 v48, 0
	s_delay_alu instid0(VALU_DEP_1)
	v_mov_b32_e32 v49, v48
	scratch_store_b64 off, v[48:49], off offset:144
	s_wait_loadcnt 0x0
	ds_store_b64 v47, v[45:46]
.LBB21_109:
	s_wait_alu 0xfffe
	s_or_b32 exec_lo, exec_lo, s0
	s_wait_storecnt_dscnt 0x0
	s_barrier_signal -1
	s_barrier_wait -1
	global_inv scope:SCOPE_SE
	s_clause 0x2
	scratch_load_b128 v[48:51], off, off offset:152
	scratch_load_b64 v[56:57], off, off offset:168
	scratch_load_b64 v[58:59], off, off offset:144
	v_mov_b32_e32 v45, 0
	ds_load_2addr_b64 v[52:55], v45 offset0:41 offset1:42
	ds_load_b64 v[60:61], v45 offset:344
	s_mov_b32 s0, exec_lo
	s_wait_loadcnt_dscnt 0x201
	v_mul_f32_e32 v46, v53, v49
	v_dual_mul_f32 v49, v52, v49 :: v_dual_mul_f32 v62, v54, v51
	v_mul_f32_e32 v51, v55, v51
	s_wait_loadcnt_dscnt 0x100
	v_mul_f32_e32 v63, v60, v57
	v_fma_f32 v46, v52, v48, -v46
	v_fmac_f32_e32 v49, v53, v48
	v_mul_f32_e32 v48, v61, v57
	v_fmac_f32_e32 v62, v55, v50
	v_fma_f32 v50, v54, v50, -v51
	s_delay_alu instid0(VALU_DEP_4) | instskip(NEXT) | instid1(VALU_DEP_4)
	v_dual_add_f32 v46, 0, v46 :: v_dual_add_f32 v49, 0, v49
	v_fma_f32 v48, v60, v56, -v48
	s_delay_alu instid0(VALU_DEP_2) | instskip(NEXT) | instid1(VALU_DEP_1)
	v_add_f32_e32 v46, v46, v50
	v_dual_add_f32 v49, v49, v62 :: v_dual_add_f32 v46, v46, v48
	s_wait_loadcnt 0x0
	s_delay_alu instid0(VALU_DEP_1) | instskip(NEXT) | instid1(VALU_DEP_1)
	v_dual_fmac_f32 v63, v61, v56 :: v_dual_sub_f32 v48, v58, v46
	v_add_f32_e32 v49, v49, v63
	s_delay_alu instid0(VALU_DEP_1)
	v_sub_f32_e32 v49, v59, v49
	scratch_store_b64 off, v[48:49], off offset:144
	v_cmpx_lt_u32_e32 17, v0
	s_cbranch_execz .LBB21_111
; %bb.110:
	scratch_load_b64 v[48:49], off, off offset:136
	v_mov_b32_e32 v46, v45
	scratch_store_b64 off, v[45:46], off offset:136
	s_wait_loadcnt 0x0
	ds_store_b64 v47, v[48:49]
.LBB21_111:
	s_wait_alu 0xfffe
	s_or_b32 exec_lo, exec_lo, s0
	s_wait_storecnt_dscnt 0x0
	s_barrier_signal -1
	s_barrier_wait -1
	global_inv scope:SCOPE_SE
	s_clause 0x2
	scratch_load_b128 v[48:51], off, off offset:144
	scratch_load_b128 v[52:55], off, off offset:160
	scratch_load_b64 v[64:65], off, off offset:136
	ds_load_b128 v[56:59], v45 offset:320
	ds_load_b128 v[60:63], v45 offset:336
	s_mov_b32 s0, exec_lo
	s_wait_loadcnt_dscnt 0x201
	v_mul_f32_e32 v46, v57, v49
	s_wait_loadcnt_dscnt 0x100
	v_dual_mul_f32 v66, v60, v53 :: v_dual_mul_f32 v67, v62, v55
	s_delay_alu instid0(VALU_DEP_2) | instskip(SKIP_2) | instid1(VALU_DEP_4)
	v_fma_f32 v46, v56, v48, -v46
	v_mul_f32_e32 v45, v56, v49
	v_mul_f32_e32 v49, v58, v51
	v_dual_mul_f32 v51, v59, v51 :: v_dual_fmac_f32 v66, v61, v52
	s_delay_alu instid0(VALU_DEP_3) | instskip(NEXT) | instid1(VALU_DEP_3)
	v_dual_add_f32 v46, 0, v46 :: v_dual_fmac_f32 v45, v57, v48
	v_dual_mul_f32 v48, v61, v53 :: v_dual_fmac_f32 v49, v59, v50
	s_delay_alu instid0(VALU_DEP_3) | instskip(SKIP_1) | instid1(VALU_DEP_3)
	v_fma_f32 v50, v58, v50, -v51
	v_fmac_f32_e32 v67, v63, v54
	v_fma_f32 v48, v60, v52, -v48
	s_delay_alu instid0(VALU_DEP_3) | instskip(NEXT) | instid1(VALU_DEP_1)
	v_dual_add_f32 v46, v46, v50 :: v_dual_add_f32 v45, 0, v45
	v_dual_add_f32 v46, v46, v48 :: v_dual_mul_f32 v51, v63, v55
	s_delay_alu instid0(VALU_DEP_2) | instskip(NEXT) | instid1(VALU_DEP_2)
	v_add_f32_e32 v45, v45, v49
	v_fma_f32 v49, v62, v54, -v51
	s_delay_alu instid0(VALU_DEP_1) | instskip(SKIP_1) | instid1(VALU_DEP_1)
	v_dual_add_f32 v45, v45, v66 :: v_dual_add_f32 v46, v46, v49
	s_wait_loadcnt 0x0
	v_dual_add_f32 v48, v45, v67 :: v_dual_sub_f32 v45, v64, v46
	s_delay_alu instid0(VALU_DEP_1)
	v_sub_f32_e32 v46, v65, v48
	scratch_store_b64 off, v[45:46], off offset:136
	v_cmpx_lt_u32_e32 16, v0
	s_cbranch_execz .LBB21_113
; %bb.112:
	scratch_load_b64 v[45:46], off, off offset:128
	v_mov_b32_e32 v48, 0
	s_delay_alu instid0(VALU_DEP_1)
	v_mov_b32_e32 v49, v48
	scratch_store_b64 off, v[48:49], off offset:128
	s_wait_loadcnt 0x0
	ds_store_b64 v47, v[45:46]
.LBB21_113:
	s_wait_alu 0xfffe
	s_or_b32 exec_lo, exec_lo, s0
	s_wait_storecnt_dscnt 0x0
	s_barrier_signal -1
	s_barrier_wait -1
	global_inv scope:SCOPE_SE
	s_clause 0x3
	scratch_load_b128 v[48:51], off, off offset:136
	scratch_load_b128 v[52:55], off, off offset:152
	scratch_load_b64 v[64:65], off, off offset:168
	scratch_load_b64 v[66:67], off, off offset:128
	v_mov_b32_e32 v45, 0
	ds_load_2addr_b64 v[56:59], v45 offset0:39 offset1:40
	ds_load_2addr_b64 v[60:63], v45 offset0:41 offset1:42
	ds_load_b64 v[68:69], v45 offset:344
	s_mov_b32 s0, exec_lo
	s_wait_loadcnt_dscnt 0x302
	v_mul_f32_e32 v46, v56, v49
	v_dual_mul_f32 v70, v58, v51 :: v_dual_mul_f32 v49, v57, v49
	s_wait_loadcnt_dscnt 0x100
	v_mul_f32_e32 v73, v68, v65
	v_dual_mul_f32 v71, v60, v53 :: v_dual_mul_f32 v72, v62, v55
	v_dual_fmac_f32 v46, v57, v48 :: v_dual_mul_f32 v51, v59, v51
	v_fma_f32 v49, v56, v48, -v49
	v_fmac_f32_e32 v70, v59, v50
	v_mul_f32_e32 v48, v61, v53
	s_delay_alu instid0(VALU_DEP_4) | instskip(SKIP_3) | instid1(VALU_DEP_4)
	v_add_f32_e32 v46, 0, v46
	v_fma_f32 v50, v58, v50, -v51
	v_add_f32_e32 v49, 0, v49
	v_mul_f32_e32 v51, v63, v55
	v_dual_fmac_f32 v71, v61, v52 :: v_dual_add_f32 v46, v46, v70
	v_dual_fmac_f32 v72, v63, v54 :: v_dual_fmac_f32 v73, v69, v64
	s_delay_alu instid0(VALU_DEP_4) | instskip(SKIP_1) | instid1(VALU_DEP_4)
	v_add_f32_e32 v49, v49, v50
	v_fma_f32 v48, v60, v52, -v48
	v_add_f32_e32 v46, v46, v71
	v_fma_f32 v51, v62, v54, -v51
	s_delay_alu instid0(VALU_DEP_3) | instskip(NEXT) | instid1(VALU_DEP_3)
	v_add_f32_e32 v48, v49, v48
	v_add_f32_e32 v46, v46, v72
	s_delay_alu instid0(VALU_DEP_2) | instskip(NEXT) | instid1(VALU_DEP_2)
	v_add_f32_e32 v48, v48, v51
	v_add_f32_e32 v46, v46, v73
	v_mul_f32_e32 v50, v69, v65
	s_delay_alu instid0(VALU_DEP_1) | instskip(SKIP_1) | instid1(VALU_DEP_1)
	v_fma_f32 v49, v68, v64, -v50
	s_wait_loadcnt 0x0
	v_dual_add_f32 v48, v48, v49 :: v_dual_sub_f32 v49, v67, v46
	s_delay_alu instid0(VALU_DEP_1)
	v_sub_f32_e32 v48, v66, v48
	scratch_store_b64 off, v[48:49], off offset:128
	v_cmpx_lt_u32_e32 15, v0
	s_cbranch_execz .LBB21_115
; %bb.114:
	scratch_load_b64 v[48:49], off, off offset:120
	v_mov_b32_e32 v46, v45
	scratch_store_b64 off, v[45:46], off offset:120
	s_wait_loadcnt 0x0
	ds_store_b64 v47, v[48:49]
.LBB21_115:
	s_wait_alu 0xfffe
	s_or_b32 exec_lo, exec_lo, s0
	s_wait_storecnt_dscnt 0x0
	s_barrier_signal -1
	s_barrier_wait -1
	global_inv scope:SCOPE_SE
	s_clause 0x3
	scratch_load_b128 v[48:51], off, off offset:128
	scratch_load_b128 v[52:55], off, off offset:144
	;; [unrolled: 1-line block ×3, first 2 shown]
	scratch_load_b64 v[72:73], off, off offset:120
	ds_load_b128 v[60:63], v45 offset:304
	ds_load_b128 v[64:67], v45 offset:320
	;; [unrolled: 1-line block ×3, first 2 shown]
	s_mov_b32 s0, exec_lo
	s_wait_loadcnt_dscnt 0x302
	v_dual_mul_f32 v45, v60, v49 :: v_dual_mul_f32 v46, v62, v51
	v_mul_f32_e32 v49, v61, v49
	s_wait_loadcnt_dscnt 0x201
	v_dual_mul_f32 v51, v63, v51 :: v_dual_mul_f32 v74, v64, v53
	s_delay_alu instid0(VALU_DEP_3) | instskip(NEXT) | instid1(VALU_DEP_3)
	v_dual_mul_f32 v75, v66, v55 :: v_dual_fmac_f32 v46, v63, v50
	v_fma_f32 v49, v60, v48, -v49
	v_fmac_f32_e32 v45, v61, v48
	v_mul_f32_e32 v48, v65, v53
	v_fma_f32 v50, v62, v50, -v51
	v_mul_f32_e32 v51, v67, v55
	v_dual_add_f32 v49, 0, v49 :: v_dual_fmac_f32 v74, v65, v52
	s_delay_alu instid0(VALU_DEP_4) | instskip(SKIP_2) | instid1(VALU_DEP_3)
	v_fma_f32 v48, v64, v52, -v48
	s_wait_loadcnt_dscnt 0x100
	v_dual_mul_f32 v76, v68, v57 :: v_dual_mul_f32 v77, v70, v59
	v_add_f32_e32 v49, v49, v50
	v_fmac_f32_e32 v75, v67, v54
	v_fma_f32 v50, v66, v54, -v51
	s_delay_alu instid0(VALU_DEP_4) | instskip(NEXT) | instid1(VALU_DEP_4)
	v_dual_fmac_f32 v76, v69, v56 :: v_dual_fmac_f32 v77, v71, v58
	v_add_f32_e32 v48, v49, v48
	s_delay_alu instid0(VALU_DEP_1) | instskip(SKIP_1) | instid1(VALU_DEP_1)
	v_dual_add_f32 v48, v48, v50 :: v_dual_add_f32 v45, 0, v45
	v_mul_f32_e32 v49, v71, v59
	v_fma_f32 v49, v70, v58, -v49
	s_delay_alu instid0(VALU_DEP_3) | instskip(SKIP_1) | instid1(VALU_DEP_1)
	v_add_f32_e32 v45, v45, v46
	v_mul_f32_e32 v46, v69, v57
	v_fma_f32 v46, v68, v56, -v46
	s_delay_alu instid0(VALU_DEP_1) | instskip(NEXT) | instid1(VALU_DEP_1)
	v_add_f32_e32 v46, v48, v46
	v_dual_add_f32 v46, v46, v49 :: v_dual_add_f32 v45, v45, v74
	s_delay_alu instid0(VALU_DEP_1) | instskip(NEXT) | instid1(VALU_DEP_1)
	v_add_f32_e32 v45, v45, v75
	v_add_f32_e32 v45, v45, v76
	s_wait_loadcnt 0x0
	s_delay_alu instid0(VALU_DEP_1) | instskip(NEXT) | instid1(VALU_DEP_1)
	v_dual_add_f32 v48, v45, v77 :: v_dual_sub_f32 v45, v72, v46
	v_sub_f32_e32 v46, v73, v48
	scratch_store_b64 off, v[45:46], off offset:120
	v_cmpx_lt_u32_e32 14, v0
	s_cbranch_execz .LBB21_117
; %bb.116:
	scratch_load_b64 v[45:46], off, off offset:112
	v_mov_b32_e32 v48, 0
	s_delay_alu instid0(VALU_DEP_1)
	v_mov_b32_e32 v49, v48
	scratch_store_b64 off, v[48:49], off offset:112
	s_wait_loadcnt 0x0
	ds_store_b64 v47, v[45:46]
.LBB21_117:
	s_wait_alu 0xfffe
	s_or_b32 exec_lo, exec_lo, s0
	s_wait_storecnt_dscnt 0x0
	s_barrier_signal -1
	s_barrier_wait -1
	global_inv scope:SCOPE_SE
	s_clause 0x4
	scratch_load_b128 v[48:51], off, off offset:120
	scratch_load_b128 v[52:55], off, off offset:136
	;; [unrolled: 1-line block ×3, first 2 shown]
	scratch_load_b64 v[72:73], off, off offset:168
	scratch_load_b64 v[74:75], off, off offset:112
	v_mov_b32_e32 v45, 0
	ds_load_2addr_b64 v[60:63], v45 offset0:37 offset1:38
	ds_load_2addr_b64 v[64:67], v45 offset0:39 offset1:40
	;; [unrolled: 1-line block ×3, first 2 shown]
	ds_load_b64 v[76:77], v45 offset:344
	s_mov_b32 s0, exec_lo
	s_wait_loadcnt_dscnt 0x403
	v_mul_f32_e32 v46, v60, v49
	s_wait_loadcnt_dscnt 0x302
	v_dual_mul_f32 v78, v62, v51 :: v_dual_mul_f32 v79, v64, v53
	v_dual_mul_f32 v80, v66, v55 :: v_dual_mul_f32 v49, v61, v49
	s_wait_loadcnt_dscnt 0x100
	v_dual_mul_f32 v83, v76, v73 :: v_dual_fmac_f32 v46, v61, v48
	v_mul_f32_e32 v51, v63, v51
	v_dual_mul_f32 v81, v68, v57 :: v_dual_mul_f32 v82, v70, v59
	v_fma_f32 v49, v60, v48, -v49
	v_fmac_f32_e32 v78, v63, v50
	v_add_f32_e32 v46, 0, v46
	v_mul_f32_e32 v48, v65, v53
	v_fma_f32 v50, v62, v50, -v51
	v_add_f32_e32 v49, 0, v49
	v_mul_f32_e32 v51, v67, v55
	v_dual_fmac_f32 v79, v65, v52 :: v_dual_add_f32 v46, v46, v78
	v_dual_fmac_f32 v80, v67, v54 :: v_dual_fmac_f32 v81, v69, v56
	s_delay_alu instid0(VALU_DEP_4) | instskip(SKIP_1) | instid1(VALU_DEP_4)
	v_add_f32_e32 v49, v49, v50
	v_dual_fmac_f32 v82, v71, v58 :: v_dual_fmac_f32 v83, v77, v72
	v_add_f32_e32 v46, v46, v79
	v_fma_f32 v48, v64, v52, -v48
	v_mul_f32_e32 v50, v69, v57
	v_fma_f32 v51, v66, v54, -v51
	s_delay_alu instid0(VALU_DEP_4) | instskip(NEXT) | instid1(VALU_DEP_1)
	v_add_f32_e32 v46, v46, v80
	v_add_f32_e32 v46, v46, v81
	s_delay_alu instid0(VALU_DEP_1) | instskip(NEXT) | instid1(VALU_DEP_1)
	v_add_f32_e32 v46, v46, v82
	v_add_f32_e32 v46, v46, v83
	v_dual_add_f32 v48, v49, v48 :: v_dual_mul_f32 v49, v71, v59
	v_fma_f32 v50, v68, v56, -v50
	s_delay_alu instid0(VALU_DEP_2) | instskip(NEXT) | instid1(VALU_DEP_3)
	v_dual_add_f32 v48, v48, v51 :: v_dual_mul_f32 v51, v77, v73
	v_fma_f32 v49, v70, v58, -v49
	s_delay_alu instid0(VALU_DEP_2) | instskip(NEXT) | instid1(VALU_DEP_3)
	v_add_f32_e32 v48, v48, v50
	v_fma_f32 v50, v76, v72, -v51
	s_wait_loadcnt 0x0
	s_delay_alu instid0(VALU_DEP_2) | instskip(NEXT) | instid1(VALU_DEP_1)
	v_dual_add_f32 v48, v48, v49 :: v_dual_sub_f32 v49, v75, v46
	v_add_f32_e32 v48, v48, v50
	s_delay_alu instid0(VALU_DEP_1)
	v_sub_f32_e32 v48, v74, v48
	scratch_store_b64 off, v[48:49], off offset:112
	v_cmpx_lt_u32_e32 13, v0
	s_cbranch_execz .LBB21_119
; %bb.118:
	scratch_load_b64 v[48:49], off, off offset:104
	v_mov_b32_e32 v46, v45
	scratch_store_b64 off, v[45:46], off offset:104
	s_wait_loadcnt 0x0
	ds_store_b64 v47, v[48:49]
.LBB21_119:
	s_wait_alu 0xfffe
	s_or_b32 exec_lo, exec_lo, s0
	s_wait_storecnt_dscnt 0x0
	s_barrier_signal -1
	s_barrier_wait -1
	global_inv scope:SCOPE_SE
	s_clause 0x4
	scratch_load_b128 v[48:51], off, off offset:112
	scratch_load_b128 v[52:55], off, off offset:128
	;; [unrolled: 1-line block ×4, first 2 shown]
	scratch_load_b64 v[80:81], off, off offset:104
	ds_load_b128 v[64:67], v45 offset:288
	ds_load_b128 v[68:71], v45 offset:304
	;; [unrolled: 1-line block ×4, first 2 shown]
	s_mov_b32 s0, exec_lo
	s_wait_loadcnt_dscnt 0x403
	v_dual_mul_f32 v45, v64, v49 :: v_dual_mul_f32 v46, v66, v51
	v_mul_f32_e32 v49, v65, v49
	s_wait_loadcnt_dscnt 0x302
	v_dual_mul_f32 v51, v67, v51 :: v_dual_mul_f32 v82, v68, v53
	s_delay_alu instid0(VALU_DEP_3) | instskip(NEXT) | instid1(VALU_DEP_3)
	v_dual_mul_f32 v83, v70, v55 :: v_dual_fmac_f32 v46, v67, v50
	v_fma_f32 v49, v64, v48, -v49
	v_fmac_f32_e32 v45, v65, v48
	v_mul_f32_e32 v48, v69, v53
	v_fma_f32 v50, v66, v50, -v51
	v_mul_f32_e32 v51, v71, v55
	v_dual_add_f32 v49, 0, v49 :: v_dual_fmac_f32 v82, v69, v52
	s_delay_alu instid0(VALU_DEP_4) | instskip(SKIP_2) | instid1(VALU_DEP_3)
	v_fma_f32 v48, v68, v52, -v48
	s_wait_loadcnt_dscnt 0x201
	v_dual_mul_f32 v84, v72, v57 :: v_dual_mul_f32 v85, v74, v59
	v_add_f32_e32 v49, v49, v50
	v_fmac_f32_e32 v83, v71, v54
	v_fma_f32 v50, v70, v54, -v51
	s_wait_loadcnt_dscnt 0x100
	v_dual_mul_f32 v86, v76, v61 :: v_dual_mul_f32 v87, v78, v63
	v_dual_add_f32 v48, v49, v48 :: v_dual_mul_f32 v49, v75, v59
	v_dual_fmac_f32 v84, v73, v56 :: v_dual_fmac_f32 v85, v75, v58
	s_delay_alu instid0(VALU_DEP_3) | instskip(NEXT) | instid1(VALU_DEP_3)
	v_fmac_f32_e32 v86, v77, v60
	v_dual_add_f32 v48, v48, v50 :: v_dual_add_f32 v45, 0, v45
	v_mul_f32_e32 v50, v77, v61
	v_fma_f32 v49, v74, v58, -v49
	v_fmac_f32_e32 v87, v79, v62
	s_delay_alu instid0(VALU_DEP_4) | instskip(SKIP_2) | instid1(VALU_DEP_2)
	v_add_f32_e32 v45, v45, v46
	v_mul_f32_e32 v46, v73, v57
	v_fma_f32 v50, v76, v60, -v50
	v_fma_f32 v46, v72, v56, -v46
	s_delay_alu instid0(VALU_DEP_1) | instskip(SKIP_1) | instid1(VALU_DEP_2)
	v_add_f32_e32 v46, v48, v46
	v_mul_f32_e32 v48, v79, v63
	v_add_f32_e32 v46, v46, v49
	s_delay_alu instid0(VALU_DEP_2) | instskip(NEXT) | instid1(VALU_DEP_2)
	v_fma_f32 v48, v78, v62, -v48
	v_add_f32_e32 v46, v46, v50
	s_delay_alu instid0(VALU_DEP_1) | instskip(NEXT) | instid1(VALU_DEP_1)
	v_dual_add_f32 v45, v45, v82 :: v_dual_add_f32 v46, v46, v48
	v_add_f32_e32 v45, v45, v83
	s_delay_alu instid0(VALU_DEP_1) | instskip(NEXT) | instid1(VALU_DEP_1)
	v_add_f32_e32 v45, v45, v84
	v_add_f32_e32 v45, v45, v85
	s_delay_alu instid0(VALU_DEP_1) | instskip(SKIP_1) | instid1(VALU_DEP_1)
	v_add_f32_e32 v45, v45, v86
	s_wait_loadcnt 0x0
	v_dual_add_f32 v48, v45, v87 :: v_dual_sub_f32 v45, v80, v46
	s_delay_alu instid0(VALU_DEP_1)
	v_sub_f32_e32 v46, v81, v48
	scratch_store_b64 off, v[45:46], off offset:104
	v_cmpx_lt_u32_e32 12, v0
	s_cbranch_execz .LBB21_121
; %bb.120:
	scratch_load_b64 v[45:46], off, off offset:96
	v_mov_b32_e32 v48, 0
	s_delay_alu instid0(VALU_DEP_1)
	v_mov_b32_e32 v49, v48
	scratch_store_b64 off, v[48:49], off offset:96
	s_wait_loadcnt 0x0
	ds_store_b64 v47, v[45:46]
.LBB21_121:
	s_wait_alu 0xfffe
	s_or_b32 exec_lo, exec_lo, s0
	s_wait_storecnt_dscnt 0x0
	s_barrier_signal -1
	s_barrier_wait -1
	global_inv scope:SCOPE_SE
	s_clause 0x5
	scratch_load_b128 v[48:51], off, off offset:104
	scratch_load_b128 v[52:55], off, off offset:120
	;; [unrolled: 1-line block ×4, first 2 shown]
	scratch_load_b64 v[80:81], off, off offset:168
	scratch_load_b64 v[82:83], off, off offset:96
	v_mov_b32_e32 v45, 0
	ds_load_2addr_b64 v[64:67], v45 offset0:35 offset1:36
	ds_load_2addr_b64 v[68:71], v45 offset0:37 offset1:38
	;; [unrolled: 1-line block ×4, first 2 shown]
	ds_load_b64 v[84:85], v45 offset:344
	s_mov_b32 s0, exec_lo
	s_wait_loadcnt_dscnt 0x504
	v_mul_f32_e32 v46, v64, v49
	s_wait_loadcnt_dscnt 0x403
	v_dual_mul_f32 v86, v66, v51 :: v_dual_mul_f32 v87, v68, v53
	s_wait_loadcnt_dscnt 0x302
	v_dual_mul_f32 v90, v74, v59 :: v_dual_mul_f32 v49, v65, v49
	s_wait_loadcnt_dscnt 0x100
	v_dual_mul_f32 v93, v84, v81 :: v_dual_fmac_f32 v46, v65, v48
	v_mul_f32_e32 v51, v67, v51
	v_dual_mul_f32 v88, v70, v55 :: v_dual_mul_f32 v89, v72, v57
	v_fma_f32 v49, v64, v48, -v49
	v_fmac_f32_e32 v86, v67, v50
	v_add_f32_e32 v46, 0, v46
	v_mul_f32_e32 v48, v69, v53
	v_fma_f32 v50, v66, v50, -v51
	v_add_f32_e32 v49, 0, v49
	v_mul_f32_e32 v51, v71, v55
	v_dual_fmac_f32 v87, v69, v52 :: v_dual_add_f32 v46, v46, v86
	v_dual_fmac_f32 v88, v71, v54 :: v_dual_fmac_f32 v89, v73, v56
	s_delay_alu instid0(VALU_DEP_4) | instskip(SKIP_1) | instid1(VALU_DEP_4)
	v_add_f32_e32 v49, v49, v50
	v_dual_mul_f32 v91, v76, v61 :: v_dual_mul_f32 v92, v78, v63
	v_add_f32_e32 v46, v46, v87
	v_dual_fmac_f32 v90, v75, v58 :: v_dual_fmac_f32 v93, v85, v80
	s_delay_alu instid0(VALU_DEP_3) | instskip(NEXT) | instid1(VALU_DEP_3)
	v_dual_fmac_f32 v91, v77, v60 :: v_dual_fmac_f32 v92, v79, v62
	v_add_f32_e32 v46, v46, v88
	v_fma_f32 v48, v68, v52, -v48
	v_mul_f32_e32 v50, v73, v57
	v_fma_f32 v51, v70, v54, -v51
	s_delay_alu instid0(VALU_DEP_4) | instskip(NEXT) | instid1(VALU_DEP_1)
	v_add_f32_e32 v46, v46, v89
	v_add_f32_e32 v46, v46, v90
	s_delay_alu instid0(VALU_DEP_1) | instskip(NEXT) | instid1(VALU_DEP_1)
	v_add_f32_e32 v46, v46, v91
	v_add_f32_e32 v46, v46, v92
	s_delay_alu instid0(VALU_DEP_1) | instskip(SKIP_2) | instid1(VALU_DEP_2)
	v_add_f32_e32 v46, v46, v93
	v_dual_add_f32 v48, v49, v48 :: v_dual_mul_f32 v49, v75, v59
	v_fma_f32 v50, v72, v56, -v50
	v_dual_add_f32 v48, v48, v51 :: v_dual_mul_f32 v51, v77, v61
	s_delay_alu instid0(VALU_DEP_3) | instskip(NEXT) | instid1(VALU_DEP_2)
	v_fma_f32 v49, v74, v58, -v49
	v_add_f32_e32 v48, v48, v50
	v_mul_f32_e32 v50, v79, v63
	s_delay_alu instid0(VALU_DEP_4) | instskip(NEXT) | instid1(VALU_DEP_3)
	v_fma_f32 v51, v76, v60, -v51
	v_add_f32_e32 v48, v48, v49
	v_mul_f32_e32 v49, v85, v81
	s_delay_alu instid0(VALU_DEP_4) | instskip(NEXT) | instid1(VALU_DEP_3)
	v_fma_f32 v50, v78, v62, -v50
	v_add_f32_e32 v48, v48, v51
	s_delay_alu instid0(VALU_DEP_3) | instskip(NEXT) | instid1(VALU_DEP_2)
	v_fma_f32 v49, v84, v80, -v49
	v_add_f32_e32 v48, v48, v50
	s_wait_loadcnt 0x0
	s_delay_alu instid0(VALU_DEP_1) | instskip(NEXT) | instid1(VALU_DEP_1)
	v_dual_add_f32 v48, v48, v49 :: v_dual_sub_f32 v49, v83, v46
	v_sub_f32_e32 v48, v82, v48
	scratch_store_b64 off, v[48:49], off offset:96
	v_cmpx_lt_u32_e32 11, v0
	s_cbranch_execz .LBB21_123
; %bb.122:
	scratch_load_b64 v[48:49], off, off offset:88
	v_mov_b32_e32 v46, v45
	scratch_store_b64 off, v[45:46], off offset:88
	s_wait_loadcnt 0x0
	ds_store_b64 v47, v[48:49]
.LBB21_123:
	s_wait_alu 0xfffe
	s_or_b32 exec_lo, exec_lo, s0
	s_wait_storecnt_dscnt 0x0
	s_barrier_signal -1
	s_barrier_wait -1
	global_inv scope:SCOPE_SE
	s_clause 0x5
	scratch_load_b128 v[48:51], off, off offset:96
	scratch_load_b128 v[52:55], off, off offset:112
	;; [unrolled: 1-line block ×5, first 2 shown]
	scratch_load_b64 v[88:89], off, off offset:88
	ds_load_b128 v[68:71], v45 offset:272
	ds_load_b128 v[72:75], v45 offset:288
	;; [unrolled: 1-line block ×5, first 2 shown]
	s_mov_b32 s0, exec_lo
	s_wait_loadcnt_dscnt 0x504
	v_dual_mul_f32 v45, v68, v49 :: v_dual_mul_f32 v46, v70, v51
	v_mul_f32_e32 v49, v69, v49
	s_wait_loadcnt_dscnt 0x403
	v_dual_mul_f32 v51, v71, v51 :: v_dual_mul_f32 v90, v72, v53
	s_delay_alu instid0(VALU_DEP_3) | instskip(NEXT) | instid1(VALU_DEP_3)
	v_dual_mul_f32 v91, v74, v55 :: v_dual_fmac_f32 v46, v71, v50
	v_fma_f32 v49, v68, v48, -v49
	v_fmac_f32_e32 v45, v69, v48
	v_mul_f32_e32 v48, v73, v53
	v_fma_f32 v50, v70, v50, -v51
	v_mul_f32_e32 v51, v75, v55
	v_dual_add_f32 v49, 0, v49 :: v_dual_fmac_f32 v90, v73, v52
	s_delay_alu instid0(VALU_DEP_4) | instskip(SKIP_2) | instid1(VALU_DEP_3)
	v_fma_f32 v48, v72, v52, -v48
	s_wait_loadcnt_dscnt 0x302
	v_dual_mul_f32 v92, v76, v57 :: v_dual_mul_f32 v93, v78, v59
	v_add_f32_e32 v49, v49, v50
	v_fmac_f32_e32 v91, v75, v54
	v_fma_f32 v50, v74, v54, -v51
	s_wait_loadcnt_dscnt 0x201
	v_dual_mul_f32 v94, v80, v61 :: v_dual_mul_f32 v95, v82, v63
	v_dual_add_f32 v48, v49, v48 :: v_dual_mul_f32 v49, v79, v59
	v_fmac_f32_e32 v92, v77, v56
	s_wait_loadcnt_dscnt 0x100
	v_dual_mul_f32 v96, v84, v65 :: v_dual_mul_f32 v97, v86, v67
	s_delay_alu instid0(VALU_DEP_3) | instskip(SKIP_3) | instid1(VALU_DEP_4)
	v_dual_add_f32 v48, v48, v50 :: v_dual_add_f32 v45, 0, v45
	v_mul_f32_e32 v50, v81, v61
	v_fma_f32 v49, v78, v58, -v49
	v_dual_fmac_f32 v93, v79, v58 :: v_dual_fmac_f32 v94, v81, v60
	v_add_f32_e32 v45, v45, v46
	v_mul_f32_e32 v46, v77, v57
	v_fma_f32 v50, v80, v60, -v50
	v_dual_fmac_f32 v95, v83, v62 :: v_dual_fmac_f32 v96, v85, v64
	s_delay_alu instid0(VALU_DEP_3) | instskip(NEXT) | instid1(VALU_DEP_1)
	v_fma_f32 v46, v76, v56, -v46
	v_add_f32_e32 v46, v48, v46
	v_mul_f32_e32 v48, v83, v63
	s_delay_alu instid0(VALU_DEP_2) | instskip(SKIP_1) | instid1(VALU_DEP_3)
	v_dual_add_f32 v46, v46, v49 :: v_dual_add_f32 v45, v45, v90
	v_mul_f32_e32 v49, v85, v65
	v_fma_f32 v48, v82, v62, -v48
	s_delay_alu instid0(VALU_DEP_3) | instskip(SKIP_3) | instid1(VALU_DEP_4)
	v_add_f32_e32 v46, v46, v50
	v_mul_f32_e32 v50, v87, v67
	v_add_f32_e32 v45, v45, v91
	v_fma_f32 v49, v84, v64, -v49
	v_dual_add_f32 v46, v46, v48 :: v_dual_fmac_f32 v97, v87, v66
	s_delay_alu instid0(VALU_DEP_3) | instskip(SKIP_1) | instid1(VALU_DEP_3)
	v_add_f32_e32 v45, v45, v92
	v_fma_f32 v48, v86, v66, -v50
	v_add_f32_e32 v46, v46, v49
	s_delay_alu instid0(VALU_DEP_1) | instskip(NEXT) | instid1(VALU_DEP_1)
	v_dual_add_f32 v45, v45, v93 :: v_dual_add_f32 v46, v46, v48
	v_add_f32_e32 v45, v45, v94
	s_delay_alu instid0(VALU_DEP_1) | instskip(NEXT) | instid1(VALU_DEP_1)
	v_add_f32_e32 v45, v45, v95
	v_add_f32_e32 v45, v45, v96
	s_wait_loadcnt 0x0
	s_delay_alu instid0(VALU_DEP_1) | instskip(NEXT) | instid1(VALU_DEP_1)
	v_dual_add_f32 v48, v45, v97 :: v_dual_sub_f32 v45, v88, v46
	v_sub_f32_e32 v46, v89, v48
	scratch_store_b64 off, v[45:46], off offset:88
	v_cmpx_lt_u32_e32 10, v0
	s_cbranch_execz .LBB21_125
; %bb.124:
	scratch_load_b64 v[45:46], off, off offset:80
	v_mov_b32_e32 v48, 0
	s_delay_alu instid0(VALU_DEP_1)
	v_mov_b32_e32 v49, v48
	scratch_store_b64 off, v[48:49], off offset:80
	s_wait_loadcnt 0x0
	ds_store_b64 v47, v[45:46]
.LBB21_125:
	s_wait_alu 0xfffe
	s_or_b32 exec_lo, exec_lo, s0
	s_wait_storecnt_dscnt 0x0
	s_barrier_signal -1
	s_barrier_wait -1
	global_inv scope:SCOPE_SE
	s_clause 0x6
	scratch_load_b128 v[48:51], off, off offset:88
	scratch_load_b128 v[52:55], off, off offset:104
	;; [unrolled: 1-line block ×5, first 2 shown]
	scratch_load_b64 v[88:89], off, off offset:168
	scratch_load_b64 v[90:91], off, off offset:80
	v_mov_b32_e32 v45, 0
	ds_load_2addr_b64 v[68:71], v45 offset0:33 offset1:34
	ds_load_2addr_b64 v[72:75], v45 offset0:35 offset1:36
	;; [unrolled: 1-line block ×5, first 2 shown]
	ds_load_b64 v[92:93], v45 offset:344
	s_mov_b32 s0, exec_lo
	s_wait_loadcnt_dscnt 0x605
	v_mul_f32_e32 v46, v68, v49
	v_dual_mul_f32 v49, v69, v49 :: v_dual_mul_f32 v94, v70, v51
	s_wait_loadcnt_dscnt 0x302
	v_dual_mul_f32 v95, v72, v53 :: v_dual_mul_f32 v100, v82, v63
	s_wait_loadcnt_dscnt 0x100
	v_dual_mul_f32 v103, v92, v89 :: v_dual_fmac_f32 v46, v69, v48
	v_mul_f32_e32 v51, v71, v51
	v_fma_f32 v49, v68, v48, -v49
	v_mul_f32_e32 v48, v73, v53
	v_fmac_f32_e32 v94, v71, v50
	v_add_f32_e32 v46, 0, v46
	v_fma_f32 v50, v70, v50, -v51
	v_add_f32_e32 v49, 0, v49
	v_mul_f32_e32 v51, v75, v55
	s_delay_alu instid0(VALU_DEP_4) | instskip(SKIP_1) | instid1(VALU_DEP_4)
	v_dual_fmac_f32 v95, v73, v52 :: v_dual_add_f32 v46, v46, v94
	v_fma_f32 v48, v72, v52, -v48
	v_dual_add_f32 v49, v49, v50 :: v_dual_mul_f32 v96, v74, v55
	v_mul_f32_e32 v97, v76, v57
	v_mul_f32_e32 v50, v77, v57
	v_fma_f32 v51, v74, v54, -v51
	v_add_f32_e32 v46, v46, v95
	v_add_f32_e32 v48, v49, v48
	v_dual_fmac_f32 v96, v75, v54 :: v_dual_fmac_f32 v97, v77, v56
	v_mul_f32_e32 v49, v79, v59
	v_fma_f32 v50, v76, v56, -v50
	s_delay_alu instid0(VALU_DEP_4) | instskip(SKIP_4) | instid1(VALU_DEP_3)
	v_dual_add_f32 v48, v48, v51 :: v_dual_mul_f32 v51, v81, v61
	v_dual_mul_f32 v98, v78, v59 :: v_dual_mul_f32 v99, v80, v61
	v_dual_mul_f32 v101, v84, v65 :: v_dual_mul_f32 v102, v86, v67
	v_add_f32_e32 v46, v46, v96
	v_fma_f32 v49, v78, v58, -v49
	v_dual_add_f32 v48, v48, v50 :: v_dual_fmac_f32 v101, v85, v64
	v_dual_fmac_f32 v98, v79, v58 :: v_dual_fmac_f32 v99, v81, v60
	v_mul_f32_e32 v50, v83, v63
	s_delay_alu instid0(VALU_DEP_3)
	v_add_f32_e32 v48, v48, v49
	v_mul_f32_e32 v49, v85, v65
	v_dual_add_f32 v46, v46, v97 :: v_dual_fmac_f32 v103, v93, v88
	v_fma_f32 v51, v80, v60, -v51
	v_fmac_f32_e32 v100, v83, v62
	v_fma_f32 v50, v82, v62, -v50
	s_delay_alu instid0(VALU_DEP_4)
	v_add_f32_e32 v46, v46, v98
	v_fma_f32 v49, v84, v64, -v49
	v_add_f32_e32 v48, v48, v51
	v_mul_f32_e32 v51, v87, v67
	v_fmac_f32_e32 v102, v87, v66
	v_add_f32_e32 v46, v46, v99
	s_delay_alu instid0(VALU_DEP_4) | instskip(SKIP_2) | instid1(VALU_DEP_4)
	v_add_f32_e32 v48, v48, v50
	v_mul_f32_e32 v50, v93, v89
	v_fma_f32 v51, v86, v66, -v51
	v_add_f32_e32 v46, v46, v100
	s_delay_alu instid0(VALU_DEP_4) | instskip(NEXT) | instid1(VALU_DEP_4)
	v_add_f32_e32 v48, v48, v49
	v_fma_f32 v49, v92, v88, -v50
	s_delay_alu instid0(VALU_DEP_3) | instskip(NEXT) | instid1(VALU_DEP_3)
	v_add_f32_e32 v46, v46, v101
	v_add_f32_e32 v48, v48, v51
	s_delay_alu instid0(VALU_DEP_2) | instskip(NEXT) | instid1(VALU_DEP_2)
	v_add_f32_e32 v46, v46, v102
	v_add_f32_e32 v48, v48, v49
	s_delay_alu instid0(VALU_DEP_2) | instskip(SKIP_1) | instid1(VALU_DEP_1)
	v_add_f32_e32 v46, v46, v103
	s_wait_loadcnt 0x0
	v_dual_sub_f32 v48, v90, v48 :: v_dual_sub_f32 v49, v91, v46
	scratch_store_b64 off, v[48:49], off offset:80
	v_cmpx_lt_u32_e32 9, v0
	s_cbranch_execz .LBB21_127
; %bb.126:
	scratch_load_b64 v[48:49], off, off offset:72
	v_mov_b32_e32 v46, v45
	scratch_store_b64 off, v[45:46], off offset:72
	s_wait_loadcnt 0x0
	ds_store_b64 v47, v[48:49]
.LBB21_127:
	s_wait_alu 0xfffe
	s_or_b32 exec_lo, exec_lo, s0
	s_wait_storecnt_dscnt 0x0
	s_barrier_signal -1
	s_barrier_wait -1
	global_inv scope:SCOPE_SE
	s_clause 0x6
	scratch_load_b128 v[48:51], off, off offset:80
	scratch_load_b128 v[52:55], off, off offset:96
	;; [unrolled: 1-line block ×6, first 2 shown]
	scratch_load_b64 v[96:97], off, off offset:72
	ds_load_b128 v[72:75], v45 offset:256
	ds_load_b128 v[76:79], v45 offset:272
	;; [unrolled: 1-line block ×6, first 2 shown]
	s_mov_b32 s0, exec_lo
	s_wait_loadcnt_dscnt 0x605
	v_dual_mul_f32 v45, v72, v49 :: v_dual_mul_f32 v46, v74, v51
	v_mul_f32_e32 v49, v73, v49
	s_wait_loadcnt_dscnt 0x504
	v_dual_mul_f32 v51, v75, v51 :: v_dual_mul_f32 v98, v76, v53
	s_delay_alu instid0(VALU_DEP_3) | instskip(NEXT) | instid1(VALU_DEP_3)
	v_dual_mul_f32 v99, v78, v55 :: v_dual_fmac_f32 v46, v75, v50
	v_fma_f32 v49, v72, v48, -v49
	v_fmac_f32_e32 v45, v73, v48
	v_mul_f32_e32 v48, v77, v53
	v_fma_f32 v50, v74, v50, -v51
	v_mul_f32_e32 v51, v79, v55
	v_dual_add_f32 v49, 0, v49 :: v_dual_fmac_f32 v98, v77, v52
	s_delay_alu instid0(VALU_DEP_4) | instskip(SKIP_2) | instid1(VALU_DEP_3)
	v_fma_f32 v48, v76, v52, -v48
	s_wait_loadcnt_dscnt 0x403
	v_dual_mul_f32 v100, v80, v57 :: v_dual_mul_f32 v101, v82, v59
	v_add_f32_e32 v49, v49, v50
	v_fmac_f32_e32 v99, v79, v54
	v_fma_f32 v50, v78, v54, -v51
	s_wait_loadcnt_dscnt 0x302
	v_dual_mul_f32 v102, v84, v61 :: v_dual_mul_f32 v103, v86, v63
	v_dual_add_f32 v48, v49, v48 :: v_dual_mul_f32 v49, v83, v59
	v_fmac_f32_e32 v100, v81, v56
	s_wait_loadcnt_dscnt 0x201
	v_dual_mul_f32 v104, v88, v65 :: v_dual_mul_f32 v105, v90, v67
	s_delay_alu instid0(VALU_DEP_3) | instskip(SKIP_3) | instid1(VALU_DEP_4)
	v_dual_add_f32 v48, v48, v50 :: v_dual_add_f32 v45, 0, v45
	v_mul_f32_e32 v50, v85, v61
	v_fma_f32 v49, v82, v58, -v49
	v_dual_fmac_f32 v101, v83, v58 :: v_dual_fmac_f32 v102, v85, v60
	v_add_f32_e32 v45, v45, v46
	v_mul_f32_e32 v46, v81, v57
	v_fma_f32 v50, v84, v60, -v50
	v_dual_fmac_f32 v103, v87, v62 :: v_dual_fmac_f32 v104, v89, v64
	s_wait_loadcnt_dscnt 0x100
	v_dual_mul_f32 v106, v92, v69 :: v_dual_mul_f32 v107, v94, v71
	v_fma_f32 v46, v80, v56, -v46
	s_delay_alu instid0(VALU_DEP_2) | instskip(NEXT) | instid1(VALU_DEP_3)
	v_dual_fmac_f32 v105, v91, v66 :: v_dual_fmac_f32 v106, v93, v68
	v_fmac_f32_e32 v107, v95, v70
	s_delay_alu instid0(VALU_DEP_3) | instskip(SKIP_1) | instid1(VALU_DEP_2)
	v_add_f32_e32 v46, v48, v46
	v_mul_f32_e32 v48, v87, v63
	v_dual_add_f32 v46, v46, v49 :: v_dual_add_f32 v45, v45, v98
	v_mul_f32_e32 v49, v89, v65
	s_delay_alu instid0(VALU_DEP_3) | instskip(NEXT) | instid1(VALU_DEP_3)
	v_fma_f32 v48, v86, v62, -v48
	v_add_f32_e32 v46, v46, v50
	v_mul_f32_e32 v50, v91, v67
	v_add_f32_e32 v45, v45, v99
	v_fma_f32 v49, v88, v64, -v49
	s_delay_alu instid0(VALU_DEP_4) | instskip(SKIP_1) | instid1(VALU_DEP_4)
	v_add_f32_e32 v46, v46, v48
	v_mul_f32_e32 v48, v93, v69
	v_add_f32_e32 v45, v45, v100
	v_fma_f32 v50, v90, v66, -v50
	s_delay_alu instid0(VALU_DEP_4) | instskip(NEXT) | instid1(VALU_DEP_3)
	v_dual_add_f32 v46, v46, v49 :: v_dual_mul_f32 v49, v95, v71
	v_add_f32_e32 v45, v45, v101
	v_fma_f32 v48, v92, v68, -v48
	s_delay_alu instid0(VALU_DEP_3) | instskip(NEXT) | instid1(VALU_DEP_4)
	v_add_f32_e32 v46, v46, v50
	v_fma_f32 v49, v94, v70, -v49
	s_delay_alu instid0(VALU_DEP_2) | instskip(NEXT) | instid1(VALU_DEP_1)
	v_dual_add_f32 v45, v45, v102 :: v_dual_add_f32 v46, v46, v48
	v_dual_add_f32 v45, v45, v103 :: v_dual_add_f32 v46, v46, v49
	s_delay_alu instid0(VALU_DEP_1) | instskip(NEXT) | instid1(VALU_DEP_1)
	v_add_f32_e32 v45, v45, v104
	v_add_f32_e32 v45, v45, v105
	s_delay_alu instid0(VALU_DEP_1) | instskip(SKIP_1) | instid1(VALU_DEP_1)
	v_add_f32_e32 v45, v45, v106
	s_wait_loadcnt 0x0
	v_dual_add_f32 v48, v45, v107 :: v_dual_sub_f32 v45, v96, v46
	s_delay_alu instid0(VALU_DEP_1)
	v_sub_f32_e32 v46, v97, v48
	scratch_store_b64 off, v[45:46], off offset:72
	v_cmpx_lt_u32_e32 8, v0
	s_cbranch_execz .LBB21_129
; %bb.128:
	scratch_load_b64 v[45:46], off, off offset:64
	v_mov_b32_e32 v48, 0
	s_delay_alu instid0(VALU_DEP_1)
	v_mov_b32_e32 v49, v48
	scratch_store_b64 off, v[48:49], off offset:64
	s_wait_loadcnt 0x0
	ds_store_b64 v47, v[45:46]
.LBB21_129:
	s_wait_alu 0xfffe
	s_or_b32 exec_lo, exec_lo, s0
	s_wait_storecnt_dscnt 0x0
	s_barrier_signal -1
	s_barrier_wait -1
	global_inv scope:SCOPE_SE
	s_clause 0x7
	scratch_load_b128 v[48:51], off, off offset:72
	scratch_load_b128 v[52:55], off, off offset:88
	;; [unrolled: 1-line block ×6, first 2 shown]
	scratch_load_b64 v[96:97], off, off offset:168
	scratch_load_b64 v[98:99], off, off offset:64
	v_mov_b32_e32 v45, 0
	ds_load_2addr_b64 v[72:75], v45 offset0:31 offset1:32
	ds_load_2addr_b64 v[76:79], v45 offset0:33 offset1:34
	;; [unrolled: 1-line block ×6, first 2 shown]
	ds_load_b64 v[100:101], v45 offset:344
	s_mov_b32 s0, exec_lo
	s_wait_loadcnt_dscnt 0x706
	v_mul_f32_e32 v46, v72, v49
	v_dual_mul_f32 v49, v73, v49 :: v_dual_mul_f32 v102, v74, v51
	s_wait_loadcnt_dscnt 0x302
	v_dual_mul_f32 v103, v76, v53 :: v_dual_mul_f32 v110, v90, v67
	v_mul_f32_e32 v51, v75, v51
	s_wait_loadcnt_dscnt 0x100
	v_dual_mul_f32 v113, v100, v97 :: v_dual_fmac_f32 v46, v73, v48
	v_fma_f32 v49, v72, v48, -v49
	v_mul_f32_e32 v48, v77, v53
	v_fmac_f32_e32 v102, v75, v50
	v_fma_f32 v50, v74, v50, -v51
	v_dual_add_f32 v46, 0, v46 :: v_dual_mul_f32 v51, v79, v55
	v_add_f32_e32 v49, 0, v49
	v_fmac_f32_e32 v103, v77, v52
	v_fma_f32 v48, v76, v52, -v48
	s_delay_alu instid0(VALU_DEP_4)
	v_add_f32_e32 v46, v46, v102
	v_fma_f32 v51, v78, v54, -v51
	v_add_f32_e32 v49, v49, v50
	v_mul_f32_e32 v50, v81, v57
	v_dual_mul_f32 v104, v78, v55 :: v_dual_mul_f32 v105, v80, v57
	v_add_f32_e32 v46, v46, v103
	s_delay_alu instid0(VALU_DEP_4) | instskip(NEXT) | instid1(VALU_DEP_4)
	v_dual_add_f32 v48, v49, v48 :: v_dual_mul_f32 v49, v83, v59
	v_fma_f32 v50, v80, v56, -v50
	v_dual_mul_f32 v108, v86, v63 :: v_dual_mul_f32 v109, v88, v65
	s_delay_alu instid0(VALU_DEP_3) | instskip(NEXT) | instid1(VALU_DEP_4)
	v_dual_add_f32 v48, v48, v51 :: v_dual_mul_f32 v51, v85, v61
	v_fma_f32 v49, v82, v58, -v49
	v_dual_mul_f32 v111, v92, v69 :: v_dual_mul_f32 v112, v94, v71
	s_delay_alu instid0(VALU_DEP_3) | instskip(SKIP_1) | instid1(VALU_DEP_3)
	v_dual_add_f32 v48, v48, v50 :: v_dual_fmac_f32 v109, v89, v64
	v_dual_fmac_f32 v104, v79, v54 :: v_dual_fmac_f32 v105, v81, v56
	v_dual_mul_f32 v50, v87, v63 :: v_dual_fmac_f32 v111, v93, v68
	v_fma_f32 v51, v84, v60, -v51
	s_delay_alu instid0(VALU_DEP_4) | instskip(SKIP_3) | instid1(VALU_DEP_4)
	v_dual_add_f32 v48, v48, v49 :: v_dual_fmac_f32 v113, v101, v96
	v_dual_mul_f32 v106, v82, v59 :: v_dual_mul_f32 v107, v84, v61
	v_dual_add_f32 v46, v46, v104 :: v_dual_mul_f32 v49, v89, v65
	v_fma_f32 v50, v86, v62, -v50
	v_add_f32_e32 v48, v48, v51
	s_delay_alu instid0(VALU_DEP_4) | instskip(NEXT) | instid1(VALU_DEP_4)
	v_dual_fmac_f32 v106, v83, v58 :: v_dual_fmac_f32 v107, v85, v60
	v_dual_add_f32 v46, v46, v105 :: v_dual_mul_f32 v51, v91, v67
	v_fma_f32 v49, v88, v64, -v49
	s_delay_alu instid0(VALU_DEP_4)
	v_add_f32_e32 v48, v48, v50
	v_fmac_f32_e32 v108, v87, v62
	v_mul_f32_e32 v50, v93, v69
	v_fma_f32 v51, v90, v66, -v51
	v_fmac_f32_e32 v110, v91, v66
	v_dual_add_f32 v48, v48, v49 :: v_dual_mul_f32 v49, v95, v71
	v_add_f32_e32 v46, v46, v106
	v_fma_f32 v50, v92, v68, -v50
	v_fmac_f32_e32 v112, v95, v70
	s_delay_alu instid0(VALU_DEP_4) | instskip(NEXT) | instid1(VALU_DEP_4)
	v_dual_add_f32 v48, v48, v51 :: v_dual_mul_f32 v51, v101, v97
	v_add_f32_e32 v46, v46, v107
	v_fma_f32 v49, v94, v70, -v49
	s_delay_alu instid0(VALU_DEP_3) | instskip(NEXT) | instid1(VALU_DEP_4)
	v_add_f32_e32 v48, v48, v50
	v_fma_f32 v50, v100, v96, -v51
	s_delay_alu instid0(VALU_DEP_4) | instskip(NEXT) | instid1(VALU_DEP_3)
	v_add_f32_e32 v46, v46, v108
	v_add_f32_e32 v48, v48, v49
	s_delay_alu instid0(VALU_DEP_2) | instskip(NEXT) | instid1(VALU_DEP_2)
	v_add_f32_e32 v46, v46, v109
	v_add_f32_e32 v48, v48, v50
	s_delay_alu instid0(VALU_DEP_2) | instskip(SKIP_1) | instid1(VALU_DEP_2)
	v_add_f32_e32 v46, v46, v110
	s_wait_loadcnt 0x0
	v_sub_f32_e32 v48, v98, v48
	s_delay_alu instid0(VALU_DEP_2) | instskip(NEXT) | instid1(VALU_DEP_1)
	v_add_f32_e32 v46, v46, v111
	v_add_f32_e32 v46, v46, v112
	s_delay_alu instid0(VALU_DEP_1) | instskip(NEXT) | instid1(VALU_DEP_1)
	v_add_f32_e32 v46, v46, v113
	v_sub_f32_e32 v49, v99, v46
	scratch_store_b64 off, v[48:49], off offset:64
	v_cmpx_lt_u32_e32 7, v0
	s_cbranch_execz .LBB21_131
; %bb.130:
	scratch_load_b64 v[48:49], off, off offset:56
	v_mov_b32_e32 v46, v45
	scratch_store_b64 off, v[45:46], off offset:56
	s_wait_loadcnt 0x0
	ds_store_b64 v47, v[48:49]
.LBB21_131:
	s_wait_alu 0xfffe
	s_or_b32 exec_lo, exec_lo, s0
	s_wait_storecnt_dscnt 0x0
	s_barrier_signal -1
	s_barrier_wait -1
	global_inv scope:SCOPE_SE
	s_clause 0x7
	scratch_load_b128 v[48:51], off, off offset:64
	scratch_load_b128 v[52:55], off, off offset:80
	;; [unrolled: 1-line block ×7, first 2 shown]
	scratch_load_b64 v[104:105], off, off offset:56
	ds_load_b128 v[76:79], v45 offset:240
	ds_load_b128 v[80:83], v45 offset:256
	;; [unrolled: 1-line block ×7, first 2 shown]
	s_mov_b32 s0, exec_lo
	s_wait_loadcnt_dscnt 0x706
	v_dual_mul_f32 v45, v76, v49 :: v_dual_mul_f32 v46, v78, v51
	v_mul_f32_e32 v49, v77, v49
	s_wait_loadcnt_dscnt 0x605
	v_dual_mul_f32 v51, v79, v51 :: v_dual_mul_f32 v106, v80, v53
	s_delay_alu instid0(VALU_DEP_3) | instskip(NEXT) | instid1(VALU_DEP_3)
	v_dual_mul_f32 v107, v82, v55 :: v_dual_fmac_f32 v46, v79, v50
	v_fma_f32 v49, v76, v48, -v49
	v_fmac_f32_e32 v45, v77, v48
	v_mul_f32_e32 v48, v81, v53
	v_fma_f32 v50, v78, v50, -v51
	v_mul_f32_e32 v51, v83, v55
	v_dual_add_f32 v49, 0, v49 :: v_dual_fmac_f32 v106, v81, v52
	s_delay_alu instid0(VALU_DEP_4) | instskip(SKIP_2) | instid1(VALU_DEP_3)
	v_fma_f32 v48, v80, v52, -v48
	s_wait_loadcnt_dscnt 0x504
	v_dual_mul_f32 v108, v84, v57 :: v_dual_mul_f32 v109, v86, v59
	v_add_f32_e32 v49, v49, v50
	v_fmac_f32_e32 v107, v83, v54
	v_fma_f32 v50, v82, v54, -v51
	s_wait_loadcnt_dscnt 0x403
	v_dual_mul_f32 v110, v88, v61 :: v_dual_mul_f32 v111, v90, v63
	v_dual_add_f32 v48, v49, v48 :: v_dual_mul_f32 v49, v87, v59
	v_fmac_f32_e32 v108, v85, v56
	s_wait_loadcnt_dscnt 0x302
	v_dual_mul_f32 v112, v92, v65 :: v_dual_mul_f32 v113, v94, v67
	s_delay_alu instid0(VALU_DEP_3) | instskip(SKIP_3) | instid1(VALU_DEP_4)
	v_dual_add_f32 v48, v48, v50 :: v_dual_add_f32 v45, 0, v45
	v_mul_f32_e32 v50, v89, v61
	v_fma_f32 v49, v86, v58, -v49
	v_dual_fmac_f32 v109, v87, v58 :: v_dual_fmac_f32 v110, v89, v60
	v_add_f32_e32 v45, v45, v46
	v_mul_f32_e32 v46, v85, v57
	v_fma_f32 v50, v88, v60, -v50
	v_dual_fmac_f32 v111, v91, v62 :: v_dual_fmac_f32 v112, v93, v64
	s_wait_loadcnt_dscnt 0x201
	v_dual_mul_f32 v114, v96, v69 :: v_dual_mul_f32 v115, v98, v71
	v_fma_f32 v46, v84, v56, -v46
	s_wait_loadcnt_dscnt 0x100
	v_dual_mul_f32 v116, v100, v73 :: v_dual_mul_f32 v117, v102, v75
	s_delay_alu instid0(VALU_DEP_3) | instskip(NEXT) | instid1(VALU_DEP_3)
	v_dual_fmac_f32 v113, v95, v66 :: v_dual_fmac_f32 v114, v97, v68
	v_add_f32_e32 v46, v48, v46
	v_mul_f32_e32 v48, v91, v63
	s_delay_alu instid0(VALU_DEP_4) | instskip(NEXT) | instid1(VALU_DEP_3)
	v_dual_fmac_f32 v116, v101, v72 :: v_dual_fmac_f32 v117, v103, v74
	v_dual_fmac_f32 v115, v99, v70 :: v_dual_add_f32 v46, v46, v49
	v_add_f32_e32 v45, v45, v106
	v_mul_f32_e32 v49, v93, v65
	v_fma_f32 v48, v90, v62, -v48
	s_delay_alu instid0(VALU_DEP_4) | instskip(SKIP_3) | instid1(VALU_DEP_4)
	v_add_f32_e32 v46, v46, v50
	v_mul_f32_e32 v50, v95, v67
	v_add_f32_e32 v45, v45, v107
	v_fma_f32 v49, v92, v64, -v49
	v_add_f32_e32 v46, v46, v48
	v_mul_f32_e32 v48, v97, v69
	s_delay_alu instid0(VALU_DEP_4) | instskip(SKIP_1) | instid1(VALU_DEP_4)
	v_add_f32_e32 v45, v45, v108
	v_fma_f32 v50, v94, v66, -v50
	v_dual_add_f32 v46, v46, v49 :: v_dual_mul_f32 v49, v99, v71
	s_delay_alu instid0(VALU_DEP_3) | instskip(SKIP_1) | instid1(VALU_DEP_3)
	v_add_f32_e32 v45, v45, v109
	v_fma_f32 v48, v96, v68, -v48
	v_add_f32_e32 v46, v46, v50
	s_delay_alu instid0(VALU_DEP_4) | instskip(NEXT) | instid1(VALU_DEP_4)
	v_fma_f32 v49, v98, v70, -v49
	v_add_f32_e32 v45, v45, v110
	v_mul_f32_e32 v50, v101, v73
	s_delay_alu instid0(VALU_DEP_4) | instskip(SKIP_1) | instid1(VALU_DEP_4)
	v_add_f32_e32 v46, v46, v48
	v_mul_f32_e32 v48, v103, v75
	v_add_f32_e32 v45, v45, v111
	s_delay_alu instid0(VALU_DEP_4) | instskip(NEXT) | instid1(VALU_DEP_4)
	v_fma_f32 v50, v100, v72, -v50
	v_add_f32_e32 v46, v46, v49
	s_delay_alu instid0(VALU_DEP_4) | instskip(NEXT) | instid1(VALU_DEP_2)
	v_fma_f32 v48, v102, v74, -v48
	v_dual_add_f32 v45, v45, v112 :: v_dual_add_f32 v46, v46, v50
	s_delay_alu instid0(VALU_DEP_1) | instskip(NEXT) | instid1(VALU_DEP_1)
	v_dual_add_f32 v45, v45, v113 :: v_dual_add_f32 v46, v46, v48
	v_add_f32_e32 v45, v45, v114
	s_delay_alu instid0(VALU_DEP_1) | instskip(NEXT) | instid1(VALU_DEP_1)
	v_add_f32_e32 v45, v45, v115
	v_add_f32_e32 v45, v45, v116
	s_wait_loadcnt 0x0
	s_delay_alu instid0(VALU_DEP_1) | instskip(NEXT) | instid1(VALU_DEP_1)
	v_dual_add_f32 v48, v45, v117 :: v_dual_sub_f32 v45, v104, v46
	v_sub_f32_e32 v46, v105, v48
	scratch_store_b64 off, v[45:46], off offset:56
	v_cmpx_lt_u32_e32 6, v0
	s_cbranch_execz .LBB21_133
; %bb.132:
	scratch_load_b64 v[45:46], off, off offset:48
	v_mov_b32_e32 v48, 0
	s_delay_alu instid0(VALU_DEP_1)
	v_mov_b32_e32 v49, v48
	scratch_store_b64 off, v[48:49], off offset:48
	s_wait_loadcnt 0x0
	ds_store_b64 v47, v[45:46]
.LBB21_133:
	s_wait_alu 0xfffe
	s_or_b32 exec_lo, exec_lo, s0
	s_wait_storecnt_dscnt 0x0
	s_barrier_signal -1
	s_barrier_wait -1
	global_inv scope:SCOPE_SE
	s_clause 0x8
	scratch_load_b128 v[48:51], off, off offset:56
	scratch_load_b128 v[52:55], off, off offset:72
	;; [unrolled: 1-line block ×7, first 2 shown]
	scratch_load_b64 v[104:105], off, off offset:168
	scratch_load_b64 v[106:107], off, off offset:48
	v_mov_b32_e32 v45, 0
	ds_load_2addr_b64 v[76:79], v45 offset0:29 offset1:30
	ds_load_2addr_b64 v[80:83], v45 offset0:31 offset1:32
	;; [unrolled: 1-line block ×7, first 2 shown]
	ds_load_b64 v[108:109], v45 offset:344
	s_mov_b32 s0, exec_lo
	s_wait_loadcnt_dscnt 0x807
	v_mul_f32_e32 v46, v76, v49
	v_dual_mul_f32 v49, v77, v49 :: v_dual_mul_f32 v110, v78, v51
	s_wait_loadcnt_dscnt 0x706
	v_mul_f32_e32 v111, v80, v53
	v_mul_f32_e32 v51, v79, v51
	s_wait_loadcnt_dscnt 0x302
	v_mul_f32_e32 v120, v98, v71
	v_fma_f32 v49, v76, v48, -v49
	s_wait_loadcnt_dscnt 0x100
	v_dual_mul_f32 v123, v108, v105 :: v_dual_fmac_f32 v46, v77, v48
	v_mul_f32_e32 v48, v81, v53
	s_delay_alu instid0(VALU_DEP_3) | instskip(SKIP_1) | instid1(VALU_DEP_4)
	v_dual_fmac_f32 v110, v79, v50 :: v_dual_add_f32 v49, 0, v49
	v_fma_f32 v50, v78, v50, -v51
	v_dual_add_f32 v46, 0, v46 :: v_dual_mul_f32 v51, v83, v55
	v_fmac_f32_e32 v111, v81, v52
	v_fma_f32 v48, v80, v52, -v48
	v_dual_mul_f32 v112, v82, v55 :: v_dual_mul_f32 v113, v84, v57
	s_delay_alu instid0(VALU_DEP_4)
	v_add_f32_e32 v46, v46, v110
	v_add_f32_e32 v49, v49, v50
	v_mul_f32_e32 v50, v85, v57
	v_fma_f32 v51, v82, v54, -v51
	v_dual_mul_f32 v116, v90, v63 :: v_dual_mul_f32 v117, v92, v65
	v_add_f32_e32 v46, v46, v111
	v_dual_add_f32 v48, v49, v48 :: v_dual_mul_f32 v49, v87, v59
	v_fma_f32 v50, v84, v56, -v50
	v_dual_mul_f32 v118, v94, v67 :: v_dual_mul_f32 v119, v96, v69
	s_delay_alu instid0(VALU_DEP_3) | instskip(NEXT) | instid1(VALU_DEP_4)
	v_dual_add_f32 v48, v48, v51 :: v_dual_mul_f32 v51, v89, v61
	v_fma_f32 v49, v86, v58, -v49
	v_dual_mul_f32 v121, v100, v73 :: v_dual_mul_f32 v122, v102, v75
	s_delay_alu instid0(VALU_DEP_3) | instskip(SKIP_3) | instid1(VALU_DEP_4)
	v_dual_add_f32 v48, v48, v50 :: v_dual_fmac_f32 v117, v93, v64
	v_dual_fmac_f32 v112, v83, v54 :: v_dual_fmac_f32 v113, v85, v56
	v_dual_mul_f32 v50, v91, v63 :: v_dual_fmac_f32 v119, v97, v68
	v_fma_f32 v51, v88, v60, -v51
	v_dual_add_f32 v48, v48, v49 :: v_dual_fmac_f32 v121, v101, v72
	s_delay_alu instid0(VALU_DEP_4) | instskip(NEXT) | instid1(VALU_DEP_4)
	v_dual_add_f32 v46, v46, v112 :: v_dual_mul_f32 v49, v93, v65
	v_fma_f32 v50, v90, v62, -v50
	s_delay_alu instid0(VALU_DEP_3) | instskip(SKIP_3) | instid1(VALU_DEP_4)
	v_dual_add_f32 v48, v48, v51 :: v_dual_fmac_f32 v123, v109, v104
	v_dual_mul_f32 v114, v86, v59 :: v_dual_mul_f32 v115, v88, v61
	v_mul_f32_e32 v51, v95, v67
	v_fma_f32 v49, v92, v64, -v49
	v_add_f32_e32 v48, v48, v50
	s_delay_alu instid0(VALU_DEP_4) | instskip(SKIP_4) | instid1(VALU_DEP_4)
	v_dual_fmac_f32 v114, v87, v58 :: v_dual_fmac_f32 v115, v89, v60
	v_add_f32_e32 v46, v46, v113
	v_mul_f32_e32 v50, v97, v69
	v_fma_f32 v51, v94, v66, -v51
	v_dual_add_f32 v48, v48, v49 :: v_dual_mul_f32 v49, v99, v71
	v_add_f32_e32 v46, v46, v114
	s_delay_alu instid0(VALU_DEP_4) | instskip(SKIP_1) | instid1(VALU_DEP_4)
	v_fma_f32 v50, v96, v68, -v50
	v_fmac_f32_e32 v116, v91, v62
	v_dual_add_f32 v48, v48, v51 :: v_dual_mul_f32 v51, v101, v73
	s_delay_alu instid0(VALU_DEP_4) | instskip(SKIP_2) | instid1(VALU_DEP_4)
	v_add_f32_e32 v46, v46, v115
	v_fma_f32 v49, v98, v70, -v49
	v_fmac_f32_e32 v118, v95, v66
	v_add_f32_e32 v48, v48, v50
	v_fmac_f32_e32 v120, v99, v70
	v_mul_f32_e32 v50, v103, v75
	v_fma_f32 v51, v100, v72, -v51
	v_fmac_f32_e32 v122, v103, v74
	v_add_f32_e32 v48, v48, v49
	v_dual_mul_f32 v49, v109, v105 :: v_dual_add_f32 v46, v46, v116
	v_fma_f32 v50, v102, v74, -v50
	s_delay_alu instid0(VALU_DEP_3) | instskip(NEXT) | instid1(VALU_DEP_3)
	v_add_f32_e32 v48, v48, v51
	v_fma_f32 v49, v108, v104, -v49
	s_delay_alu instid0(VALU_DEP_4) | instskip(NEXT) | instid1(VALU_DEP_3)
	v_add_f32_e32 v46, v46, v117
	v_add_f32_e32 v48, v48, v50
	s_delay_alu instid0(VALU_DEP_2) | instskip(NEXT) | instid1(VALU_DEP_2)
	v_add_f32_e32 v46, v46, v118
	v_add_f32_e32 v48, v48, v49
	s_delay_alu instid0(VALU_DEP_2) | instskip(SKIP_1) | instid1(VALU_DEP_2)
	v_add_f32_e32 v46, v46, v119
	s_wait_loadcnt 0x0
	v_sub_f32_e32 v48, v106, v48
	s_delay_alu instid0(VALU_DEP_2) | instskip(NEXT) | instid1(VALU_DEP_1)
	v_add_f32_e32 v46, v46, v120
	v_add_f32_e32 v46, v46, v121
	s_delay_alu instid0(VALU_DEP_1) | instskip(NEXT) | instid1(VALU_DEP_1)
	v_add_f32_e32 v46, v46, v122
	v_add_f32_e32 v46, v46, v123
	s_delay_alu instid0(VALU_DEP_1)
	v_sub_f32_e32 v49, v107, v46
	scratch_store_b64 off, v[48:49], off offset:48
	v_cmpx_lt_u32_e32 5, v0
	s_cbranch_execz .LBB21_135
; %bb.134:
	scratch_load_b64 v[48:49], off, off offset:40
	v_mov_b32_e32 v46, v45
	scratch_store_b64 off, v[45:46], off offset:40
	s_wait_loadcnt 0x0
	ds_store_b64 v47, v[48:49]
.LBB21_135:
	s_wait_alu 0xfffe
	s_or_b32 exec_lo, exec_lo, s0
	s_wait_storecnt_dscnt 0x0
	s_barrier_signal -1
	s_barrier_wait -1
	global_inv scope:SCOPE_SE
	s_clause 0x8
	scratch_load_b128 v[48:51], off, off offset:48
	scratch_load_b128 v[52:55], off, off offset:64
	;; [unrolled: 1-line block ×8, first 2 shown]
	scratch_load_b64 v[112:113], off, off offset:40
	ds_load_b128 v[80:83], v45 offset:224
	ds_load_b128 v[84:87], v45 offset:240
	;; [unrolled: 1-line block ×8, first 2 shown]
	s_mov_b32 s0, exec_lo
	s_wait_loadcnt_dscnt 0x807
	v_dual_mul_f32 v45, v80, v49 :: v_dual_mul_f32 v46, v82, v51
	v_mul_f32_e32 v49, v81, v49
	s_wait_loadcnt_dscnt 0x706
	v_dual_mul_f32 v51, v83, v51 :: v_dual_mul_f32 v114, v84, v53
	s_delay_alu instid0(VALU_DEP_3) | instskip(NEXT) | instid1(VALU_DEP_3)
	v_dual_mul_f32 v115, v86, v55 :: v_dual_fmac_f32 v46, v83, v50
	v_fma_f32 v49, v80, v48, -v49
	v_fmac_f32_e32 v45, v81, v48
	v_mul_f32_e32 v48, v85, v53
	v_fma_f32 v50, v82, v50, -v51
	v_mul_f32_e32 v51, v87, v55
	v_dual_add_f32 v49, 0, v49 :: v_dual_fmac_f32 v114, v85, v52
	s_delay_alu instid0(VALU_DEP_4) | instskip(SKIP_2) | instid1(VALU_DEP_3)
	v_fma_f32 v48, v84, v52, -v48
	s_wait_loadcnt_dscnt 0x605
	v_dual_mul_f32 v116, v88, v57 :: v_dual_mul_f32 v117, v90, v59
	v_add_f32_e32 v49, v49, v50
	v_fmac_f32_e32 v115, v87, v54
	v_fma_f32 v50, v86, v54, -v51
	s_wait_loadcnt_dscnt 0x504
	v_dual_mul_f32 v118, v92, v61 :: v_dual_mul_f32 v119, v94, v63
	v_dual_add_f32 v48, v49, v48 :: v_dual_mul_f32 v49, v91, v59
	v_fmac_f32_e32 v116, v89, v56
	s_wait_loadcnt_dscnt 0x403
	v_dual_mul_f32 v120, v96, v65 :: v_dual_mul_f32 v121, v98, v67
	s_delay_alu instid0(VALU_DEP_3) | instskip(SKIP_3) | instid1(VALU_DEP_4)
	v_dual_add_f32 v48, v48, v50 :: v_dual_add_f32 v45, 0, v45
	v_mul_f32_e32 v50, v93, v61
	v_fma_f32 v49, v90, v58, -v49
	v_dual_fmac_f32 v117, v91, v58 :: v_dual_fmac_f32 v118, v93, v60
	v_add_f32_e32 v45, v45, v46
	v_mul_f32_e32 v46, v89, v57
	v_fma_f32 v50, v92, v60, -v50
	v_dual_fmac_f32 v119, v95, v62 :: v_dual_fmac_f32 v120, v97, v64
	s_wait_loadcnt_dscnt 0x302
	v_dual_mul_f32 v122, v100, v69 :: v_dual_mul_f32 v123, v102, v71
	v_fma_f32 v46, v88, v56, -v46
	s_wait_loadcnt_dscnt 0x201
	v_dual_mul_f32 v124, v104, v73 :: v_dual_mul_f32 v125, v106, v75
	s_wait_loadcnt_dscnt 0x100
	v_dual_mul_f32 v126, v108, v77 :: v_dual_mul_f32 v127, v110, v79
	v_add_f32_e32 v46, v48, v46
	v_mul_f32_e32 v48, v95, v63
	v_dual_fmac_f32 v124, v105, v72 :: v_dual_fmac_f32 v125, v107, v74
	s_delay_alu instid0(VALU_DEP_4) | instskip(NEXT) | instid1(VALU_DEP_4)
	v_dual_fmac_f32 v126, v109, v76 :: v_dual_fmac_f32 v127, v111, v78
	v_dual_add_f32 v46, v46, v49 :: v_dual_add_f32 v45, v45, v114
	v_mul_f32_e32 v49, v97, v65
	v_fma_f32 v48, v94, v62, -v48
	v_fmac_f32_e32 v121, v99, v66
	s_delay_alu instid0(VALU_DEP_4)
	v_add_f32_e32 v46, v46, v50
	v_mul_f32_e32 v50, v99, v67
	v_add_f32_e32 v45, v45, v115
	v_fma_f32 v49, v96, v64, -v49
	v_fmac_f32_e32 v122, v101, v68
	v_add_f32_e32 v46, v46, v48
	v_mul_f32_e32 v48, v101, v69
	v_add_f32_e32 v45, v45, v116
	v_fma_f32 v50, v98, v66, -v50
	s_delay_alu instid0(VALU_DEP_4) | instskip(SKIP_1) | instid1(VALU_DEP_4)
	v_dual_fmac_f32 v123, v103, v70 :: v_dual_add_f32 v46, v46, v49
	v_mul_f32_e32 v49, v103, v71
	v_add_f32_e32 v45, v45, v117
	v_fma_f32 v48, v100, v68, -v48
	s_delay_alu instid0(VALU_DEP_4) | instskip(NEXT) | instid1(VALU_DEP_4)
	v_add_f32_e32 v46, v46, v50
	v_fma_f32 v49, v102, v70, -v49
	s_delay_alu instid0(VALU_DEP_4) | instskip(SKIP_1) | instid1(VALU_DEP_4)
	v_add_f32_e32 v45, v45, v118
	v_mul_f32_e32 v50, v105, v73
	v_add_f32_e32 v46, v46, v48
	v_mul_f32_e32 v48, v107, v75
	s_delay_alu instid0(VALU_DEP_4) | instskip(NEXT) | instid1(VALU_DEP_4)
	v_add_f32_e32 v45, v45, v119
	v_fma_f32 v50, v104, v72, -v50
	s_delay_alu instid0(VALU_DEP_4) | instskip(SKIP_1) | instid1(VALU_DEP_4)
	v_add_f32_e32 v46, v46, v49
	v_mul_f32_e32 v49, v109, v77
	v_add_f32_e32 v45, v45, v120
	v_fma_f32 v48, v106, v74, -v48
	s_delay_alu instid0(VALU_DEP_4) | instskip(NEXT) | instid1(VALU_DEP_3)
	v_add_f32_e32 v46, v46, v50
	v_dual_mul_f32 v50, v111, v79 :: v_dual_add_f32 v45, v45, v121
	v_fma_f32 v49, v108, v76, -v49
	s_delay_alu instid0(VALU_DEP_3) | instskip(NEXT) | instid1(VALU_DEP_3)
	v_add_f32_e32 v46, v46, v48
	v_fma_f32 v48, v110, v78, -v50
	s_delay_alu instid0(VALU_DEP_2) | instskip(NEXT) | instid1(VALU_DEP_1)
	v_dual_add_f32 v45, v45, v122 :: v_dual_add_f32 v46, v46, v49
	v_dual_add_f32 v45, v45, v123 :: v_dual_add_f32 v46, v46, v48
	s_delay_alu instid0(VALU_DEP_1) | instskip(NEXT) | instid1(VALU_DEP_1)
	v_add_f32_e32 v45, v45, v124
	v_add_f32_e32 v45, v45, v125
	s_delay_alu instid0(VALU_DEP_1) | instskip(SKIP_1) | instid1(VALU_DEP_1)
	v_add_f32_e32 v45, v45, v126
	s_wait_loadcnt 0x0
	v_dual_add_f32 v48, v45, v127 :: v_dual_sub_f32 v45, v112, v46
	s_delay_alu instid0(VALU_DEP_1)
	v_sub_f32_e32 v46, v113, v48
	scratch_store_b64 off, v[45:46], off offset:40
	v_cmpx_lt_u32_e32 4, v0
	s_cbranch_execz .LBB21_137
; %bb.136:
	scratch_load_b64 v[45:46], off, off offset:32
	v_mov_b32_e32 v48, 0
	s_delay_alu instid0(VALU_DEP_1)
	v_mov_b32_e32 v49, v48
	scratch_store_b64 off, v[48:49], off offset:32
	s_wait_loadcnt 0x0
	ds_store_b64 v47, v[45:46]
.LBB21_137:
	s_wait_alu 0xfffe
	s_or_b32 exec_lo, exec_lo, s0
	s_wait_storecnt_dscnt 0x0
	s_barrier_signal -1
	s_barrier_wait -1
	global_inv scope:SCOPE_SE
	s_clause 0x9
	scratch_load_b128 v[48:51], off, off offset:40
	scratch_load_b128 v[52:55], off, off offset:56
	;; [unrolled: 1-line block ×8, first 2 shown]
	scratch_load_b64 v[112:113], off, off offset:168
	scratch_load_b64 v[114:115], off, off offset:32
	v_mov_b32_e32 v45, 0
	ds_load_2addr_b64 v[80:83], v45 offset0:27 offset1:28
	ds_load_2addr_b64 v[84:87], v45 offset0:29 offset1:30
	ds_load_2addr_b64 v[88:91], v45 offset0:31 offset1:32
	ds_load_2addr_b64 v[92:95], v45 offset0:33 offset1:34
	ds_load_2addr_b64 v[96:99], v45 offset0:35 offset1:36
	ds_load_2addr_b64 v[100:103], v45 offset0:37 offset1:38
	ds_load_2addr_b64 v[104:107], v45 offset0:39 offset1:40
	ds_load_2addr_b64 v[108:111], v45 offset0:41 offset1:42
	ds_load_b64 v[116:117], v45 offset:344
	s_mov_b32 s0, exec_lo
	s_wait_loadcnt_dscnt 0x908
	v_mul_f32_e32 v46, v80, v49
	s_wait_loadcnt_dscnt 0x807
	v_dual_mul_f32 v118, v82, v51 :: v_dual_mul_f32 v119, v84, v53
	v_mul_f32_e32 v49, v81, v49
	s_delay_alu instid0(VALU_DEP_3)
	v_dual_mul_f32 v51, v83, v51 :: v_dual_fmac_f32 v46, v81, v48
	s_wait_loadcnt_dscnt 0x302
	v_mul_f32_e32 v130, v106, v75
	v_dual_mul_f32 v120, v86, v55 :: v_dual_mul_f32 v121, v88, v57
	s_wait_loadcnt_dscnt 0x100
	v_mul_f32_e32 v133, v116, v113
	v_fma_f32 v49, v80, v48, -v49
	v_mul_f32_e32 v48, v85, v53
	v_fmac_f32_e32 v118, v83, v50
	v_fma_f32 v50, v82, v50, -v51
	v_dual_add_f32 v46, 0, v46 :: v_dual_mul_f32 v51, v87, v55
	v_add_f32_e32 v49, 0, v49
	v_fmac_f32_e32 v119, v85, v52
	v_fma_f32 v48, v84, v52, -v48
	s_delay_alu instid0(VALU_DEP_4)
	v_add_f32_e32 v46, v46, v118
	v_fma_f32 v51, v86, v54, -v51
	v_add_f32_e32 v49, v49, v50
	v_mul_f32_e32 v50, v89, v57
	v_dual_mul_f32 v124, v94, v63 :: v_dual_mul_f32 v125, v96, v65
	v_add_f32_e32 v46, v46, v119
	s_delay_alu instid0(VALU_DEP_4) | instskip(NEXT) | instid1(VALU_DEP_4)
	v_dual_add_f32 v48, v49, v48 :: v_dual_mul_f32 v49, v91, v59
	v_fma_f32 v50, v88, v56, -v50
	v_dual_mul_f32 v126, v98, v67 :: v_dual_mul_f32 v127, v100, v69
	s_delay_alu instid0(VALU_DEP_3) | instskip(NEXT) | instid1(VALU_DEP_4)
	v_dual_add_f32 v48, v48, v51 :: v_dual_mul_f32 v51, v93, v61
	v_fma_f32 v49, v90, v58, -v49
	v_dual_mul_f32 v128, v102, v71 :: v_dual_mul_f32 v129, v104, v73
	s_delay_alu instid0(VALU_DEP_3) | instskip(SKIP_3) | instid1(VALU_DEP_4)
	v_dual_add_f32 v48, v48, v50 :: v_dual_fmac_f32 v125, v97, v64
	v_dual_fmac_f32 v120, v87, v54 :: v_dual_fmac_f32 v121, v89, v56
	v_dual_mul_f32 v50, v95, v63 :: v_dual_fmac_f32 v127, v101, v68
	v_fma_f32 v51, v92, v60, -v51
	v_dual_add_f32 v48, v48, v49 :: v_dual_fmac_f32 v129, v105, v72
	v_dual_mul_f32 v131, v108, v77 :: v_dual_mul_f32 v132, v110, v79
	v_dual_add_f32 v46, v46, v120 :: v_dual_mul_f32 v49, v97, v65
	v_fma_f32 v50, v94, v62, -v50
	s_delay_alu instid0(VALU_DEP_3) | instskip(SKIP_3) | instid1(VALU_DEP_4)
	v_dual_add_f32 v48, v48, v51 :: v_dual_fmac_f32 v131, v109, v76
	v_dual_mul_f32 v122, v90, v59 :: v_dual_mul_f32 v123, v92, v61
	v_mul_f32_e32 v51, v99, v67
	v_fma_f32 v49, v96, v64, -v49
	v_add_f32_e32 v48, v48, v50
	s_delay_alu instid0(VALU_DEP_4) | instskip(SKIP_4) | instid1(VALU_DEP_4)
	v_dual_fmac_f32 v122, v91, v58 :: v_dual_fmac_f32 v123, v93, v60
	v_add_f32_e32 v46, v46, v121
	v_mul_f32_e32 v50, v101, v69
	v_fma_f32 v51, v98, v66, -v51
	v_dual_add_f32 v48, v48, v49 :: v_dual_mul_f32 v49, v103, v71
	v_add_f32_e32 v46, v46, v122
	s_delay_alu instid0(VALU_DEP_4) | instskip(SKIP_1) | instid1(VALU_DEP_4)
	v_fma_f32 v50, v100, v68, -v50
	v_fmac_f32_e32 v124, v95, v62
	v_dual_add_f32 v48, v48, v51 :: v_dual_mul_f32 v51, v105, v73
	s_delay_alu instid0(VALU_DEP_4) | instskip(SKIP_1) | instid1(VALU_DEP_3)
	v_dual_add_f32 v46, v46, v123 :: v_dual_fmac_f32 v133, v117, v112
	v_fma_f32 v49, v102, v70, -v49
	v_add_f32_e32 v48, v48, v50
	v_fmac_f32_e32 v126, v99, v66
	v_fmac_f32_e32 v128, v103, v70
	v_mul_f32_e32 v50, v107, v75
	v_fma_f32 v51, v104, v72, -v51
	v_add_f32_e32 v48, v48, v49
	v_dual_mul_f32 v49, v109, v77 :: v_dual_add_f32 v46, v46, v124
	v_fmac_f32_e32 v130, v107, v74
	v_fma_f32 v50, v106, v74, -v50
	s_delay_alu instid0(VALU_DEP_4) | instskip(NEXT) | instid1(VALU_DEP_4)
	v_add_f32_e32 v48, v48, v51
	v_dual_mul_f32 v51, v111, v79 :: v_dual_add_f32 v46, v46, v125
	v_fma_f32 v49, v108, v76, -v49
	v_fmac_f32_e32 v132, v111, v78
	s_delay_alu instid0(VALU_DEP_4) | instskip(SKIP_3) | instid1(VALU_DEP_4)
	v_add_f32_e32 v48, v48, v50
	v_mul_f32_e32 v50, v117, v113
	v_add_f32_e32 v46, v46, v126
	v_fma_f32 v51, v110, v78, -v51
	v_add_f32_e32 v48, v48, v49
	s_delay_alu instid0(VALU_DEP_4) | instskip(NEXT) | instid1(VALU_DEP_4)
	v_fma_f32 v49, v116, v112, -v50
	v_add_f32_e32 v46, v46, v127
	s_delay_alu instid0(VALU_DEP_3) | instskip(NEXT) | instid1(VALU_DEP_2)
	v_add_f32_e32 v48, v48, v51
	v_add_f32_e32 v46, v46, v128
	s_delay_alu instid0(VALU_DEP_2) | instskip(NEXT) | instid1(VALU_DEP_2)
	v_add_f32_e32 v48, v48, v49
	v_add_f32_e32 v46, v46, v129
	s_wait_loadcnt 0x0
	s_delay_alu instid0(VALU_DEP_2) | instskip(NEXT) | instid1(VALU_DEP_2)
	v_sub_f32_e32 v48, v114, v48
	v_add_f32_e32 v46, v46, v130
	s_delay_alu instid0(VALU_DEP_1) | instskip(NEXT) | instid1(VALU_DEP_1)
	v_add_f32_e32 v46, v46, v131
	v_add_f32_e32 v46, v46, v132
	s_delay_alu instid0(VALU_DEP_1) | instskip(NEXT) | instid1(VALU_DEP_1)
	v_add_f32_e32 v46, v46, v133
	v_sub_f32_e32 v49, v115, v46
	scratch_store_b64 off, v[48:49], off offset:32
	v_cmpx_lt_u32_e32 3, v0
	s_cbranch_execz .LBB21_139
; %bb.138:
	scratch_load_b64 v[48:49], off, off offset:24
	v_mov_b32_e32 v46, v45
	scratch_store_b64 off, v[45:46], off offset:24
	s_wait_loadcnt 0x0
	ds_store_b64 v47, v[48:49]
.LBB21_139:
	s_wait_alu 0xfffe
	s_or_b32 exec_lo, exec_lo, s0
	s_wait_storecnt_dscnt 0x0
	s_barrier_signal -1
	s_barrier_wait -1
	global_inv scope:SCOPE_SE
	s_clause 0x9
	scratch_load_b128 v[48:51], off, off offset:32
	scratch_load_b128 v[52:55], off, off offset:48
	;; [unrolled: 1-line block ×9, first 2 shown]
	scratch_load_b64 v[120:121], off, off offset:24
	ds_load_b128 v[84:87], v45 offset:208
	ds_load_b128 v[88:91], v45 offset:224
	ds_load_b128 v[92:95], v45 offset:240
	ds_load_b128 v[96:99], v45 offset:256
	ds_load_b128 v[100:103], v45 offset:272
	ds_load_b128 v[104:107], v45 offset:288
	ds_load_b128 v[108:111], v45 offset:304
	ds_load_b128 v[112:115], v45 offset:320
	ds_load_b128 v[116:119], v45 offset:336
	s_mov_b32 s0, exec_lo
	s_wait_loadcnt_dscnt 0x908
	v_dual_mul_f32 v45, v84, v49 :: v_dual_mul_f32 v46, v86, v51
	v_mul_f32_e32 v49, v85, v49
	s_wait_loadcnt_dscnt 0x807
	v_dual_mul_f32 v51, v87, v51 :: v_dual_mul_f32 v122, v88, v53
	s_delay_alu instid0(VALU_DEP_3) | instskip(NEXT) | instid1(VALU_DEP_3)
	v_dual_mul_f32 v123, v90, v55 :: v_dual_fmac_f32 v46, v87, v50
	v_fma_f32 v49, v84, v48, -v49
	v_fmac_f32_e32 v45, v85, v48
	v_mul_f32_e32 v48, v89, v53
	v_fma_f32 v50, v86, v50, -v51
	v_mul_f32_e32 v51, v91, v55
	v_dual_add_f32 v49, 0, v49 :: v_dual_fmac_f32 v122, v89, v52
	s_delay_alu instid0(VALU_DEP_4) | instskip(SKIP_2) | instid1(VALU_DEP_3)
	v_fma_f32 v48, v88, v52, -v48
	s_wait_loadcnt_dscnt 0x706
	v_dual_mul_f32 v124, v92, v57 :: v_dual_mul_f32 v125, v94, v59
	v_add_f32_e32 v49, v49, v50
	v_fmac_f32_e32 v123, v91, v54
	v_fma_f32 v50, v90, v54, -v51
	s_wait_loadcnt_dscnt 0x605
	v_dual_mul_f32 v126, v96, v61 :: v_dual_mul_f32 v127, v98, v63
	v_dual_add_f32 v48, v49, v48 :: v_dual_mul_f32 v49, v95, v59
	v_fmac_f32_e32 v124, v93, v56
	s_wait_loadcnt_dscnt 0x504
	v_dual_mul_f32 v128, v100, v65 :: v_dual_mul_f32 v129, v102, v67
	s_delay_alu instid0(VALU_DEP_3) | instskip(SKIP_3) | instid1(VALU_DEP_4)
	v_dual_add_f32 v48, v48, v50 :: v_dual_add_f32 v45, 0, v45
	v_mul_f32_e32 v50, v97, v61
	v_fma_f32 v49, v94, v58, -v49
	v_dual_fmac_f32 v125, v95, v58 :: v_dual_fmac_f32 v126, v97, v60
	v_add_f32_e32 v45, v45, v46
	v_mul_f32_e32 v46, v93, v57
	v_fma_f32 v50, v96, v60, -v50
	v_dual_fmac_f32 v127, v99, v62 :: v_dual_fmac_f32 v128, v101, v64
	s_wait_loadcnt_dscnt 0x403
	v_dual_mul_f32 v130, v104, v69 :: v_dual_mul_f32 v131, v106, v71
	v_fma_f32 v46, v92, v56, -v46
	s_wait_loadcnt_dscnt 0x302
	v_dual_mul_f32 v132, v108, v73 :: v_dual_mul_f32 v133, v110, v75
	s_wait_loadcnt_dscnt 0x201
	v_dual_mul_f32 v134, v112, v77 :: v_dual_mul_f32 v135, v114, v79
	v_add_f32_e32 v46, v48, v46
	v_mul_f32_e32 v48, v99, v63
	v_dual_fmac_f32 v132, v109, v72 :: v_dual_fmac_f32 v133, v111, v74
	s_delay_alu instid0(VALU_DEP_4) | instskip(NEXT) | instid1(VALU_DEP_4)
	v_dual_fmac_f32 v134, v113, v76 :: v_dual_fmac_f32 v135, v115, v78
	v_dual_add_f32 v46, v46, v49 :: v_dual_add_f32 v45, v45, v122
	v_mul_f32_e32 v49, v101, v65
	v_fma_f32 v48, v98, v62, -v48
	v_fmac_f32_e32 v129, v103, v66
	s_delay_alu instid0(VALU_DEP_4)
	v_add_f32_e32 v46, v46, v50
	v_mul_f32_e32 v50, v103, v67
	v_add_f32_e32 v45, v45, v123
	v_fma_f32 v49, v100, v64, -v49
	v_fmac_f32_e32 v130, v105, v68
	v_add_f32_e32 v46, v46, v48
	v_mul_f32_e32 v48, v105, v69
	v_add_f32_e32 v45, v45, v124
	v_fma_f32 v50, v102, v66, -v50
	s_delay_alu instid0(VALU_DEP_4) | instskip(SKIP_1) | instid1(VALU_DEP_4)
	v_dual_fmac_f32 v131, v107, v70 :: v_dual_add_f32 v46, v46, v49
	v_mul_f32_e32 v49, v107, v71
	v_add_f32_e32 v45, v45, v125
	v_fma_f32 v48, v104, v68, -v48
	s_wait_loadcnt_dscnt 0x100
	v_dual_mul_f32 v136, v116, v81 :: v_dual_mul_f32 v137, v118, v83
	v_add_f32_e32 v46, v46, v50
	v_add_f32_e32 v45, v45, v126
	v_fma_f32 v49, v106, v70, -v49
	v_mul_f32_e32 v50, v109, v73
	v_dual_fmac_f32 v136, v117, v80 :: v_dual_fmac_f32 v137, v119, v82
	s_delay_alu instid0(VALU_DEP_4) | instskip(SKIP_1) | instid1(VALU_DEP_4)
	v_dual_add_f32 v46, v46, v48 :: v_dual_add_f32 v45, v45, v127
	v_mul_f32_e32 v48, v111, v75
	v_fma_f32 v50, v108, v72, -v50
	s_delay_alu instid0(VALU_DEP_3) | instskip(SKIP_1) | instid1(VALU_DEP_4)
	v_dual_add_f32 v46, v46, v49 :: v_dual_add_f32 v45, v45, v128
	v_mul_f32_e32 v49, v113, v77
	v_fma_f32 v48, v110, v74, -v48
	s_delay_alu instid0(VALU_DEP_3) | instskip(SKIP_1) | instid1(VALU_DEP_4)
	;; [unrolled: 4-line block ×4, first 2 shown]
	v_dual_add_f32 v46, v46, v49 :: v_dual_add_f32 v45, v45, v131
	v_mul_f32_e32 v49, v119, v83
	v_fma_f32 v48, v116, v80, -v48
	s_delay_alu instid0(VALU_DEP_3) | instskip(NEXT) | instid1(VALU_DEP_3)
	v_dual_add_f32 v46, v46, v50 :: v_dual_add_f32 v45, v45, v132
	v_fma_f32 v49, v118, v82, -v49
	s_delay_alu instid0(VALU_DEP_2) | instskip(NEXT) | instid1(VALU_DEP_1)
	v_dual_add_f32 v46, v46, v48 :: v_dual_add_f32 v45, v45, v133
	v_dual_add_f32 v46, v46, v49 :: v_dual_add_f32 v45, v45, v134
	s_delay_alu instid0(VALU_DEP_1) | instskip(NEXT) | instid1(VALU_DEP_1)
	v_add_f32_e32 v45, v45, v135
	v_add_f32_e32 v45, v45, v136
	s_wait_loadcnt 0x0
	s_delay_alu instid0(VALU_DEP_1) | instskip(NEXT) | instid1(VALU_DEP_1)
	v_dual_add_f32 v48, v45, v137 :: v_dual_sub_f32 v45, v120, v46
	v_sub_f32_e32 v46, v121, v48
	scratch_store_b64 off, v[45:46], off offset:24
	v_cmpx_lt_u32_e32 2, v0
	s_cbranch_execz .LBB21_141
; %bb.140:
	scratch_load_b64 v[45:46], off, off offset:16
	v_mov_b32_e32 v48, 0
	s_delay_alu instid0(VALU_DEP_1)
	v_mov_b32_e32 v49, v48
	scratch_store_b64 off, v[48:49], off offset:16
	s_wait_loadcnt 0x0
	ds_store_b64 v47, v[45:46]
.LBB21_141:
	s_wait_alu 0xfffe
	s_or_b32 exec_lo, exec_lo, s0
	s_wait_storecnt_dscnt 0x0
	s_barrier_signal -1
	s_barrier_wait -1
	global_inv scope:SCOPE_SE
	s_clause 0xa
	scratch_load_b128 v[48:51], off, off offset:24
	scratch_load_b128 v[52:55], off, off offset:40
	;; [unrolled: 1-line block ×9, first 2 shown]
	scratch_load_b64 v[120:121], off, off offset:168
	scratch_load_b64 v[122:123], off, off offset:16
	v_mov_b32_e32 v45, 0
	ds_load_2addr_b64 v[84:87], v45 offset0:25 offset1:26
	ds_load_2addr_b64 v[88:91], v45 offset0:27 offset1:28
	;; [unrolled: 1-line block ×9, first 2 shown]
	ds_load_b64 v[124:125], v45 offset:344
	s_mov_b32 s0, exec_lo
	s_wait_loadcnt_dscnt 0xa09
	v_mul_f32_e32 v46, v84, v49
	s_wait_loadcnt_dscnt 0x908
	v_dual_mul_f32 v126, v86, v51 :: v_dual_mul_f32 v127, v88, v53
	v_mul_f32_e32 v49, v85, v49
	s_delay_alu instid0(VALU_DEP_3)
	v_dual_mul_f32 v51, v87, v51 :: v_dual_fmac_f32 v46, v85, v48
	s_wait_loadcnt_dscnt 0x807
	v_dual_mul_f32 v128, v90, v55 :: v_dual_mul_f32 v129, v92, v57
	s_wait_loadcnt_dscnt 0x100
	v_dual_mul_f32 v140, v114, v79 :: v_dual_mul_f32 v143, v124, v121
	v_fma_f32 v49, v84, v48, -v49
	v_mul_f32_e32 v48, v89, v53
	v_fmac_f32_e32 v126, v87, v50
	v_fma_f32 v50, v86, v50, -v51
	v_dual_add_f32 v46, 0, v46 :: v_dual_mul_f32 v51, v91, v55
	v_add_f32_e32 v49, 0, v49
	v_fmac_f32_e32 v127, v89, v52
	v_fma_f32 v48, v88, v52, -v48
	s_delay_alu instid0(VALU_DEP_4)
	v_add_f32_e32 v46, v46, v126
	v_fma_f32 v51, v90, v54, -v51
	v_add_f32_e32 v49, v49, v50
	v_mul_f32_e32 v50, v93, v57
	v_dual_mul_f32 v132, v98, v63 :: v_dual_mul_f32 v133, v100, v65
	v_add_f32_e32 v46, v46, v127
	s_delay_alu instid0(VALU_DEP_4) | instskip(NEXT) | instid1(VALU_DEP_4)
	v_dual_add_f32 v48, v49, v48 :: v_dual_mul_f32 v49, v95, v59
	v_fma_f32 v50, v92, v56, -v50
	v_dual_mul_f32 v134, v102, v67 :: v_dual_mul_f32 v135, v104, v69
	s_delay_alu instid0(VALU_DEP_3) | instskip(NEXT) | instid1(VALU_DEP_4)
	v_dual_add_f32 v48, v48, v51 :: v_dual_mul_f32 v51, v97, v61
	v_fma_f32 v49, v94, v58, -v49
	v_dual_mul_f32 v136, v106, v71 :: v_dual_mul_f32 v137, v108, v73
	s_delay_alu instid0(VALU_DEP_3) | instskip(SKIP_3) | instid1(VALU_DEP_4)
	v_dual_add_f32 v48, v48, v50 :: v_dual_fmac_f32 v133, v101, v64
	v_dual_fmac_f32 v128, v91, v54 :: v_dual_fmac_f32 v129, v93, v56
	v_dual_mul_f32 v50, v99, v63 :: v_dual_fmac_f32 v135, v105, v68
	v_fma_f32 v51, v96, v60, -v51
	v_dual_add_f32 v48, v48, v49 :: v_dual_fmac_f32 v137, v109, v72
	v_dual_mul_f32 v138, v110, v75 :: v_dual_mul_f32 v139, v112, v77
	v_dual_add_f32 v46, v46, v128 :: v_dual_mul_f32 v49, v101, v65
	v_fma_f32 v50, v98, v62, -v50
	s_delay_alu instid0(VALU_DEP_3) | instskip(SKIP_1) | instid1(VALU_DEP_4)
	v_dual_add_f32 v48, v48, v51 :: v_dual_fmac_f32 v139, v113, v76
	v_mul_f32_e32 v51, v103, v67
	v_fma_f32 v49, v100, v64, -v49
	v_dual_mul_f32 v130, v94, v59 :: v_dual_mul_f32 v131, v96, v61
	s_delay_alu instid0(VALU_DEP_4) | instskip(SKIP_2) | instid1(VALU_DEP_4)
	v_add_f32_e32 v48, v48, v50
	v_mul_f32_e32 v50, v105, v69
	v_fma_f32 v51, v102, v66, -v51
	v_dual_fmac_f32 v130, v95, v58 :: v_dual_fmac_f32 v131, v97, v60
	s_delay_alu instid0(VALU_DEP_4) | instskip(SKIP_2) | instid1(VALU_DEP_3)
	v_dual_add_f32 v48, v48, v49 :: v_dual_fmac_f32 v143, v125, v120
	v_dual_add_f32 v46, v46, v129 :: v_dual_mul_f32 v49, v107, v71
	v_fma_f32 v50, v104, v68, -v50
	v_dual_add_f32 v48, v48, v51 :: v_dual_mul_f32 v51, v109, v73
	s_delay_alu instid0(VALU_DEP_3) | instskip(NEXT) | instid1(VALU_DEP_4)
	v_add_f32_e32 v46, v46, v130
	v_fma_f32 v49, v106, v70, -v49
	v_dual_mul_f32 v141, v116, v81 :: v_dual_mul_f32 v142, v118, v83
	s_delay_alu instid0(VALU_DEP_4)
	v_add_f32_e32 v48, v48, v50
	v_mul_f32_e32 v50, v111, v75
	v_fma_f32 v51, v108, v72, -v51
	v_fmac_f32_e32 v132, v99, v62
	v_dual_add_f32 v46, v46, v131 :: v_dual_fmac_f32 v141, v117, v80
	v_add_f32_e32 v48, v48, v49
	v_mul_f32_e32 v49, v113, v77
	v_fma_f32 v50, v110, v74, -v50
	s_delay_alu instid0(VALU_DEP_4)
	v_add_f32_e32 v46, v46, v132
	v_fmac_f32_e32 v134, v103, v66
	v_add_f32_e32 v48, v48, v51
	v_mul_f32_e32 v51, v115, v79
	v_fma_f32 v49, v112, v76, -v49
	v_fmac_f32_e32 v136, v107, v70
	v_fmac_f32_e32 v138, v111, v74
	v_add_f32_e32 v48, v48, v50
	v_fma_f32 v51, v114, v78, -v51
	v_mul_f32_e32 v50, v117, v81
	v_fmac_f32_e32 v140, v115, v78
	v_fmac_f32_e32 v142, v119, v82
	v_dual_add_f32 v48, v48, v49 :: v_dual_mul_f32 v49, v119, v83
	v_add_f32_e32 v46, v46, v133
	v_fma_f32 v50, v116, v80, -v50
	s_delay_alu instid0(VALU_DEP_3) | instskip(NEXT) | instid1(VALU_DEP_3)
	v_dual_add_f32 v48, v48, v51 :: v_dual_mul_f32 v51, v125, v121
	v_add_f32_e32 v46, v46, v134
	v_fma_f32 v49, v118, v82, -v49
	s_delay_alu instid0(VALU_DEP_3) | instskip(NEXT) | instid1(VALU_DEP_4)
	v_add_f32_e32 v48, v48, v50
	v_fma_f32 v50, v124, v120, -v51
	s_delay_alu instid0(VALU_DEP_4) | instskip(NEXT) | instid1(VALU_DEP_3)
	v_add_f32_e32 v46, v46, v135
	v_add_f32_e32 v48, v48, v49
	s_delay_alu instid0(VALU_DEP_2) | instskip(NEXT) | instid1(VALU_DEP_2)
	v_add_f32_e32 v46, v46, v136
	v_add_f32_e32 v48, v48, v50
	s_delay_alu instid0(VALU_DEP_2) | instskip(SKIP_1) | instid1(VALU_DEP_2)
	v_add_f32_e32 v46, v46, v137
	s_wait_loadcnt 0x0
	v_sub_f32_e32 v48, v122, v48
	s_delay_alu instid0(VALU_DEP_2) | instskip(NEXT) | instid1(VALU_DEP_1)
	v_add_f32_e32 v46, v46, v138
	v_add_f32_e32 v46, v46, v139
	s_delay_alu instid0(VALU_DEP_1) | instskip(NEXT) | instid1(VALU_DEP_1)
	v_add_f32_e32 v46, v46, v140
	v_add_f32_e32 v46, v46, v141
	s_delay_alu instid0(VALU_DEP_1) | instskip(NEXT) | instid1(VALU_DEP_1)
	v_add_f32_e32 v46, v46, v142
	v_add_f32_e32 v46, v46, v143
	s_delay_alu instid0(VALU_DEP_1)
	v_sub_f32_e32 v49, v123, v46
	scratch_store_b64 off, v[48:49], off offset:16
	v_cmpx_lt_u32_e32 1, v0
	s_cbranch_execz .LBB21_143
; %bb.142:
	scratch_load_b64 v[48:49], off, off offset:8
	v_mov_b32_e32 v46, v45
	scratch_store_b64 off, v[45:46], off offset:8
	s_wait_loadcnt 0x0
	ds_store_b64 v47, v[48:49]
.LBB21_143:
	s_wait_alu 0xfffe
	s_or_b32 exec_lo, exec_lo, s0
	s_wait_storecnt_dscnt 0x0
	s_barrier_signal -1
	s_barrier_wait -1
	global_inv scope:SCOPE_SE
	s_clause 0xa
	scratch_load_b128 v[48:51], off, off offset:16
	scratch_load_b128 v[52:55], off, off offset:32
	;; [unrolled: 1-line block ×10, first 2 shown]
	scratch_load_b64 v[128:129], off, off offset:8
	ds_load_b128 v[88:91], v45 offset:192
	ds_load_b128 v[92:95], v45 offset:208
	;; [unrolled: 1-line block ×10, first 2 shown]
	s_mov_b32 s0, exec_lo
	s_wait_loadcnt_dscnt 0xa09
	v_dual_mul_f32 v45, v88, v49 :: v_dual_mul_f32 v46, v90, v51
	v_mul_f32_e32 v49, v89, v49
	s_wait_loadcnt_dscnt 0x908
	v_dual_mul_f32 v51, v91, v51 :: v_dual_mul_f32 v130, v92, v53
	s_delay_alu instid0(VALU_DEP_3) | instskip(NEXT) | instid1(VALU_DEP_3)
	v_dual_mul_f32 v131, v94, v55 :: v_dual_fmac_f32 v46, v91, v50
	v_fma_f32 v49, v88, v48, -v49
	v_fmac_f32_e32 v45, v89, v48
	v_mul_f32_e32 v48, v93, v53
	v_fma_f32 v50, v90, v50, -v51
	v_mul_f32_e32 v51, v95, v55
	v_dual_add_f32 v49, 0, v49 :: v_dual_fmac_f32 v130, v93, v52
	s_delay_alu instid0(VALU_DEP_4) | instskip(SKIP_2) | instid1(VALU_DEP_3)
	v_fma_f32 v48, v92, v52, -v48
	s_wait_loadcnt_dscnt 0x807
	v_dual_mul_f32 v132, v96, v57 :: v_dual_mul_f32 v133, v98, v59
	v_add_f32_e32 v49, v49, v50
	v_fmac_f32_e32 v131, v95, v54
	v_fma_f32 v50, v94, v54, -v51
	s_wait_loadcnt_dscnt 0x706
	v_dual_mul_f32 v134, v100, v61 :: v_dual_mul_f32 v135, v102, v63
	v_dual_add_f32 v48, v49, v48 :: v_dual_mul_f32 v49, v99, v59
	v_fmac_f32_e32 v132, v97, v56
	s_wait_loadcnt_dscnt 0x605
	v_dual_mul_f32 v136, v104, v65 :: v_dual_mul_f32 v137, v106, v67
	s_delay_alu instid0(VALU_DEP_3) | instskip(SKIP_3) | instid1(VALU_DEP_4)
	v_dual_add_f32 v48, v48, v50 :: v_dual_add_f32 v45, 0, v45
	v_mul_f32_e32 v50, v101, v61
	v_fma_f32 v49, v98, v58, -v49
	v_dual_fmac_f32 v133, v99, v58 :: v_dual_fmac_f32 v134, v101, v60
	v_add_f32_e32 v45, v45, v46
	v_mul_f32_e32 v46, v97, v57
	v_fma_f32 v50, v100, v60, -v50
	v_dual_fmac_f32 v135, v103, v62 :: v_dual_fmac_f32 v136, v105, v64
	s_wait_loadcnt_dscnt 0x504
	v_dual_mul_f32 v138, v108, v69 :: v_dual_mul_f32 v139, v110, v71
	v_fma_f32 v46, v96, v56, -v46
	s_wait_loadcnt_dscnt 0x403
	v_dual_mul_f32 v140, v112, v73 :: v_dual_mul_f32 v141, v114, v75
	s_wait_loadcnt_dscnt 0x302
	v_dual_mul_f32 v142, v116, v77 :: v_dual_mul_f32 v143, v118, v79
	v_add_f32_e32 v46, v48, v46
	v_mul_f32_e32 v48, v103, v63
	v_dual_fmac_f32 v140, v113, v72 :: v_dual_fmac_f32 v141, v115, v74
	s_delay_alu instid0(VALU_DEP_4) | instskip(NEXT) | instid1(VALU_DEP_4)
	v_dual_fmac_f32 v142, v117, v76 :: v_dual_fmac_f32 v143, v119, v78
	v_dual_add_f32 v46, v46, v49 :: v_dual_add_f32 v45, v45, v130
	v_mul_f32_e32 v49, v105, v65
	v_fma_f32 v48, v102, v62, -v48
	v_fmac_f32_e32 v137, v107, v66
	s_delay_alu instid0(VALU_DEP_4)
	v_add_f32_e32 v46, v46, v50
	v_mul_f32_e32 v50, v107, v67
	v_add_f32_e32 v45, v45, v131
	v_fma_f32 v49, v104, v64, -v49
	v_fmac_f32_e32 v138, v109, v68
	v_add_f32_e32 v46, v46, v48
	v_mul_f32_e32 v48, v109, v69
	v_add_f32_e32 v45, v45, v132
	v_fma_f32 v50, v106, v66, -v50
	s_delay_alu instid0(VALU_DEP_4) | instskip(SKIP_1) | instid1(VALU_DEP_4)
	v_dual_fmac_f32 v139, v111, v70 :: v_dual_add_f32 v46, v46, v49
	v_mul_f32_e32 v49, v111, v71
	v_add_f32_e32 v45, v45, v133
	v_fma_f32 v48, v108, v68, -v48
	s_wait_loadcnt_dscnt 0x201
	v_dual_mul_f32 v144, v120, v81 :: v_dual_mul_f32 v145, v122, v83
	v_add_f32_e32 v46, v46, v50
	v_add_f32_e32 v45, v45, v134
	v_fma_f32 v49, v110, v70, -v49
	v_mul_f32_e32 v50, v113, v73
	s_wait_loadcnt_dscnt 0x100
	v_dual_mul_f32 v146, v124, v85 :: v_dual_mul_f32 v147, v126, v87
	v_dual_add_f32 v46, v46, v48 :: v_dual_add_f32 v45, v45, v135
	v_mul_f32_e32 v48, v115, v75
	v_fma_f32 v50, v112, v72, -v50
	v_dual_fmac_f32 v144, v121, v80 :: v_dual_fmac_f32 v145, v123, v82
	s_delay_alu instid0(VALU_DEP_4) | instskip(SKIP_3) | instid1(VALU_DEP_4)
	v_dual_add_f32 v46, v46, v49 :: v_dual_add_f32 v45, v45, v136
	v_mul_f32_e32 v49, v117, v77
	v_fma_f32 v48, v114, v74, -v48
	v_fmac_f32_e32 v147, v127, v86
	v_dual_add_f32 v46, v46, v50 :: v_dual_add_f32 v45, v45, v137
	v_mul_f32_e32 v50, v119, v79
	v_fma_f32 v49, v116, v76, -v49
	s_delay_alu instid0(VALU_DEP_3) | instskip(SKIP_1) | instid1(VALU_DEP_4)
	v_dual_add_f32 v46, v46, v48 :: v_dual_add_f32 v45, v45, v138
	v_mul_f32_e32 v48, v121, v81
	v_fma_f32 v50, v118, v78, -v50
	s_delay_alu instid0(VALU_DEP_3) | instskip(SKIP_1) | instid1(VALU_DEP_4)
	;; [unrolled: 4-line block ×4, first 2 shown]
	v_dual_add_f32 v46, v46, v48 :: v_dual_add_f32 v45, v45, v141
	v_mul_f32_e32 v48, v127, v87
	v_fma_f32 v50, v124, v84, -v50
	s_delay_alu instid0(VALU_DEP_3) | instskip(NEXT) | instid1(VALU_DEP_3)
	v_dual_add_f32 v46, v46, v49 :: v_dual_add_f32 v45, v45, v142
	v_fma_f32 v48, v126, v86, -v48
	s_delay_alu instid0(VALU_DEP_2) | instskip(NEXT) | instid1(VALU_DEP_1)
	v_dual_add_f32 v46, v46, v50 :: v_dual_add_f32 v45, v45, v143
	v_add_f32_e32 v46, v46, v48
	s_delay_alu instid0(VALU_DEP_2) | instskip(SKIP_1) | instid1(VALU_DEP_2)
	v_add_f32_e32 v45, v45, v144
	v_fmac_f32_e32 v146, v125, v84
	v_add_f32_e32 v45, v45, v145
	s_delay_alu instid0(VALU_DEP_1) | instskip(SKIP_1) | instid1(VALU_DEP_1)
	v_add_f32_e32 v45, v45, v146
	s_wait_loadcnt 0x0
	v_dual_add_f32 v48, v45, v147 :: v_dual_sub_f32 v45, v128, v46
	s_delay_alu instid0(VALU_DEP_1)
	v_sub_f32_e32 v46, v129, v48
	scratch_store_b64 off, v[45:46], off offset:8
	v_cmpx_ne_u32_e32 0, v0
	s_cbranch_execz .LBB21_145
; %bb.144:
	scratch_load_b64 v[45:46], off, off
	v_mov_b32_e32 v48, 0
	s_delay_alu instid0(VALU_DEP_1)
	v_mov_b32_e32 v49, v48
	scratch_store_b64 off, v[48:49], off
	s_wait_loadcnt 0x0
	ds_store_b64 v47, v[45:46]
.LBB21_145:
	s_wait_alu 0xfffe
	s_or_b32 exec_lo, exec_lo, s0
	s_wait_storecnt_dscnt 0x0
	s_barrier_signal -1
	s_barrier_wait -1
	global_inv scope:SCOPE_SE
	s_clause 0xb
	scratch_load_b128 v[45:48], off, off offset:8
	scratch_load_b128 v[49:52], off, off offset:24
	;; [unrolled: 1-line block ×10, first 2 shown]
	scratch_load_b64 v[125:126], off, off offset:168
	scratch_load_b64 v[127:128], off, off
	v_mov_b32_e32 v0, 0
	ds_load_2addr_b64 v[85:88], v0 offset0:23 offset1:24
	ds_load_2addr_b64 v[89:92], v0 offset0:25 offset1:26
	;; [unrolled: 1-line block ×10, first 2 shown]
	ds_load_b64 v[129:130], v0 offset:344
	s_and_b32 vcc_lo, exec_lo, s18
	s_wait_loadcnt_dscnt 0xb0a
	v_dual_mul_f32 v131, v85, v46 :: v_dual_mul_f32 v132, v87, v48
	s_wait_loadcnt_dscnt 0xa09
	v_dual_mul_f32 v133, v89, v50 :: v_dual_mul_f32 v48, v88, v48
	;; [unrolled: 2-line block ×3, first 2 shown]
	v_dual_fmac_f32 v131, v86, v45 :: v_dual_fmac_f32 v132, v88, v47
	s_delay_alu instid0(VALU_DEP_3) | instskip(SKIP_1) | instid1(VALU_DEP_4)
	v_fmac_f32_e32 v133, v90, v49
	v_fma_f32 v47, v87, v47, -v48
	v_dual_fmac_f32 v134, v92, v51 :: v_dual_fmac_f32 v135, v94, v53
	s_delay_alu instid0(VALU_DEP_4)
	v_add_f32_e32 v48, 0, v131
	v_mul_f32_e32 v46, v86, v46
	s_wait_loadcnt_dscnt 0x807
	v_dual_mul_f32 v136, v95, v56 :: v_dual_mul_f32 v137, v97, v58
	s_wait_loadcnt_dscnt 0x706
	v_dual_mul_f32 v138, v99, v60 :: v_dual_mul_f32 v139, v101, v62
	v_fma_f32 v46, v85, v45, -v46
	v_dual_mul_f32 v45, v90, v50 :: v_dual_mul_f32 v50, v92, v52
	v_dual_fmac_f32 v136, v96, v55 :: v_dual_fmac_f32 v137, v98, v57
	s_delay_alu instid0(VALU_DEP_3) | instskip(NEXT) | instid1(VALU_DEP_3)
	v_add_f32_e32 v46, 0, v46
	v_fma_f32 v45, v89, v49, -v45
	s_delay_alu instid0(VALU_DEP_4) | instskip(SKIP_1) | instid1(VALU_DEP_4)
	v_fma_f32 v49, v91, v51, -v50
	v_dual_fmac_f32 v138, v100, v59 :: v_dual_fmac_f32 v139, v102, v61
	v_add_f32_e32 v46, v46, v47
	s_wait_loadcnt_dscnt 0x605
	v_dual_mul_f32 v140, v103, v64 :: v_dual_mul_f32 v141, v105, v66
	s_wait_loadcnt_dscnt 0x504
	v_dual_mul_f32 v142, v107, v68 :: v_dual_mul_f32 v143, v109, v70
	v_add_f32_e32 v45, v46, v45
	v_add_f32_e32 v47, v48, v132
	v_dual_fmac_f32 v140, v104, v63 :: v_dual_fmac_f32 v141, v106, v65
	s_wait_loadcnt_dscnt 0x403
	v_dual_mul_f32 v144, v111, v72 :: v_dual_mul_f32 v145, v113, v74
	s_delay_alu instid0(VALU_DEP_3)
	v_dual_add_f32 v46, v47, v133 :: v_dual_mul_f32 v47, v96, v56
	v_add_f32_e32 v45, v45, v49
	v_dual_mul_f32 v49, v98, v58 :: v_dual_mul_f32 v146, v115, v76
	s_wait_loadcnt_dscnt 0x302
	v_mul_f32_e32 v147, v117, v78
	v_fma_f32 v47, v95, v55, -v47
	v_mul_f32_e32 v48, v94, v54
	v_fma_f32 v49, v97, v57, -v49
	v_dual_fmac_f32 v145, v114, v73 :: v_dual_fmac_f32 v146, v116, v75
	s_wait_loadcnt_dscnt 0x201
	v_dual_mul_f32 v148, v119, v80 :: v_dual_mul_f32 v149, v121, v82
	v_fma_f32 v48, v93, v53, -v48
	v_add_f32_e32 v46, v46, v134
	s_delay_alu instid0(VALU_DEP_3) | instskip(SKIP_4) | instid1(VALU_DEP_3)
	v_dual_fmac_f32 v147, v118, v77 :: v_dual_fmac_f32 v148, v120, v79
	s_wait_loadcnt_dscnt 0x100
	v_dual_mul_f32 v150, v123, v84 :: v_dual_mul_f32 v151, v129, v126
	v_add_f32_e32 v45, v45, v48
	v_dual_mul_f32 v48, v100, v60 :: v_dual_fmac_f32 v149, v122, v81
	v_dual_fmac_f32 v150, v124, v83 :: v_dual_fmac_f32 v151, v130, v125
	s_delay_alu instid0(VALU_DEP_3) | instskip(SKIP_3) | instid1(VALU_DEP_4)
	v_add_f32_e32 v45, v45, v47
	v_add_f32_e32 v46, v46, v135
	v_mul_f32_e32 v47, v102, v62
	v_fma_f32 v48, v99, v59, -v48
	v_dual_fmac_f32 v142, v108, v67 :: v_dual_add_f32 v45, v45, v49
	v_mul_f32_e32 v49, v104, v64
	s_delay_alu instid0(VALU_DEP_4) | instskip(SKIP_1) | instid1(VALU_DEP_4)
	v_fma_f32 v47, v101, v61, -v47
	v_dual_fmac_f32 v143, v110, v69 :: v_dual_fmac_f32 v144, v112, v71
	v_add_f32_e32 v45, v45, v48
	v_add_f32_e32 v46, v46, v136
	v_mul_f32_e32 v48, v106, v66
	v_fma_f32 v49, v103, v63, -v49
	s_delay_alu instid0(VALU_DEP_3) | instskip(SKIP_1) | instid1(VALU_DEP_4)
	v_dual_add_f32 v45, v45, v47 :: v_dual_add_f32 v46, v46, v137
	v_mul_f32_e32 v47, v108, v68
	v_fma_f32 v48, v105, v65, -v48
	s_delay_alu instid0(VALU_DEP_3) | instskip(NEXT) | instid1(VALU_DEP_3)
	v_dual_add_f32 v45, v45, v49 :: v_dual_add_f32 v46, v46, v138
	v_fma_f32 v47, v107, v67, -v47
	v_mul_f32_e32 v49, v110, v70
	s_delay_alu instid0(VALU_DEP_3) | instskip(SKIP_1) | instid1(VALU_DEP_3)
	v_dual_add_f32 v45, v45, v48 :: v_dual_add_f32 v46, v46, v139
	v_mul_f32_e32 v48, v112, v72
	v_fma_f32 v49, v109, v69, -v49
	s_delay_alu instid0(VALU_DEP_3) | instskip(SKIP_1) | instid1(VALU_DEP_4)
	v_dual_add_f32 v45, v45, v47 :: v_dual_add_f32 v46, v46, v140
	v_mul_f32_e32 v47, v114, v74
	v_fma_f32 v48, v111, v71, -v48
	s_delay_alu instid0(VALU_DEP_3) | instskip(NEXT) | instid1(VALU_DEP_4)
	v_add_f32_e32 v45, v45, v49
	v_dual_add_f32 v46, v46, v141 :: v_dual_mul_f32 v49, v116, v76
	s_delay_alu instid0(VALU_DEP_4) | instskip(NEXT) | instid1(VALU_DEP_3)
	v_fma_f32 v47, v113, v73, -v47
	v_dual_add_f32 v45, v45, v48 :: v_dual_mul_f32 v48, v118, v78
	s_delay_alu instid0(VALU_DEP_3) | instskip(NEXT) | instid1(VALU_DEP_4)
	v_add_f32_e32 v46, v46, v142
	v_fma_f32 v49, v115, v75, -v49
	s_delay_alu instid0(VALU_DEP_3) | instskip(NEXT) | instid1(VALU_DEP_3)
	v_add_f32_e32 v45, v45, v47
	v_dual_mul_f32 v47, v120, v80 :: v_dual_add_f32 v46, v46, v143
	v_fma_f32 v48, v117, v77, -v48
	s_delay_alu instid0(VALU_DEP_2) | instskip(NEXT) | instid1(VALU_DEP_3)
	v_fma_f32 v47, v119, v79, -v47
	v_add_f32_e32 v46, v46, v144
	s_delay_alu instid0(VALU_DEP_1) | instskip(SKIP_2) | instid1(VALU_DEP_2)
	v_add_f32_e32 v46, v46, v145
	v_add_f32_e32 v45, v45, v49
	v_mul_f32_e32 v49, v122, v82
	v_dual_add_f32 v46, v46, v146 :: v_dual_add_f32 v45, v45, v48
	v_mul_f32_e32 v48, v124, v84
	s_delay_alu instid0(VALU_DEP_3) | instskip(NEXT) | instid1(VALU_DEP_3)
	v_fma_f32 v49, v121, v81, -v49
	v_add_f32_e32 v46, v46, v147
	s_delay_alu instid0(VALU_DEP_4) | instskip(SKIP_2) | instid1(VALU_DEP_4)
	v_add_f32_e32 v45, v45, v47
	v_mul_f32_e32 v47, v130, v126
	v_fma_f32 v48, v123, v83, -v48
	v_add_f32_e32 v46, v46, v148
	s_delay_alu instid0(VALU_DEP_3) | instskip(NEXT) | instid1(VALU_DEP_2)
	v_fma_f32 v47, v129, v125, -v47
	v_add_f32_e32 v46, v46, v149
	s_delay_alu instid0(VALU_DEP_1) | instskip(NEXT) | instid1(VALU_DEP_1)
	v_dual_add_f32 v45, v45, v49 :: v_dual_add_f32 v46, v46, v150
	v_add_f32_e32 v45, v45, v48
	s_delay_alu instid0(VALU_DEP_1) | instskip(SKIP_1) | instid1(VALU_DEP_1)
	v_add_f32_e32 v45, v45, v47
	s_wait_loadcnt 0x0
	v_dual_add_f32 v46, v46, v151 :: v_dual_sub_f32 v45, v127, v45
	s_delay_alu instid0(VALU_DEP_1)
	v_sub_f32_e32 v46, v128, v46
	scratch_store_b64 off, v[45:46], off
	s_wait_alu 0xfffe
	s_cbranch_vccz .LBB21_188
; %bb.146:
	global_load_b32 v0, v0, s[2:3] offset:80
	s_wait_loadcnt 0x0
	v_cmp_ne_u32_e32 vcc_lo, 21, v0
	s_cbranch_vccz .LBB21_148
; %bb.147:
	v_lshlrev_b32_e32 v0, 3, v0
	scratch_load_b64 v[45:46], v0, off offset:-8
	scratch_load_b64 v[47:48], off, off offset:160
	s_wait_loadcnt 0x1
	scratch_store_b64 off, v[45:46], off offset:160
	s_wait_loadcnt 0x0
	scratch_store_b64 v0, v[47:48], off offset:-8
.LBB21_148:
	v_mov_b32_e32 v0, 0
	global_load_b32 v45, v0, s[2:3] offset:76
	s_wait_loadcnt 0x0
	v_cmp_eq_u32_e32 vcc_lo, 20, v45
	s_cbranch_vccnz .LBB21_150
; %bb.149:
	v_lshlrev_b32_e32 v45, 3, v45
	s_delay_alu instid0(VALU_DEP_1)
	v_mov_b32_e32 v49, v45
	scratch_load_b64 v[45:46], v49, off offset:-8
	scratch_load_b64 v[47:48], off, off offset:152
	s_wait_loadcnt 0x1
	scratch_store_b64 off, v[45:46], off offset:152
	s_wait_loadcnt 0x0
	scratch_store_b64 v49, v[47:48], off offset:-8
.LBB21_150:
	global_load_b32 v0, v0, s[2:3] offset:72
	s_wait_loadcnt 0x0
	v_cmp_eq_u32_e32 vcc_lo, 19, v0
	s_cbranch_vccnz .LBB21_152
; %bb.151:
	v_lshlrev_b32_e32 v0, 3, v0
	scratch_load_b64 v[45:46], v0, off offset:-8
	scratch_load_b64 v[47:48], off, off offset:144
	s_wait_loadcnt 0x1
	scratch_store_b64 off, v[45:46], off offset:144
	s_wait_loadcnt 0x0
	scratch_store_b64 v0, v[47:48], off offset:-8
.LBB21_152:
	v_mov_b32_e32 v0, 0
	global_load_b32 v45, v0, s[2:3] offset:68
	s_wait_loadcnt 0x0
	v_cmp_eq_u32_e32 vcc_lo, 18, v45
	s_cbranch_vccnz .LBB21_154
; %bb.153:
	v_lshlrev_b32_e32 v45, 3, v45
	s_delay_alu instid0(VALU_DEP_1)
	v_mov_b32_e32 v49, v45
	scratch_load_b64 v[45:46], v49, off offset:-8
	scratch_load_b64 v[47:48], off, off offset:136
	s_wait_loadcnt 0x1
	scratch_store_b64 off, v[45:46], off offset:136
	s_wait_loadcnt 0x0
	scratch_store_b64 v49, v[47:48], off offset:-8
.LBB21_154:
	global_load_b32 v0, v0, s[2:3] offset:64
	s_wait_loadcnt 0x0
	v_cmp_eq_u32_e32 vcc_lo, 17, v0
	s_cbranch_vccnz .LBB21_156
; %bb.155:
	v_lshlrev_b32_e32 v0, 3, v0
	scratch_load_b64 v[45:46], v0, off offset:-8
	scratch_load_b64 v[47:48], off, off offset:128
	s_wait_loadcnt 0x1
	scratch_store_b64 off, v[45:46], off offset:128
	s_wait_loadcnt 0x0
	scratch_store_b64 v0, v[47:48], off offset:-8
.LBB21_156:
	;; [unrolled: 29-line block ×9, first 2 shown]
	v_mov_b32_e32 v0, 0
	global_load_b32 v45, v0, s[2:3] offset:4
	s_wait_loadcnt 0x0
	v_cmp_eq_u32_e32 vcc_lo, 2, v45
	s_cbranch_vccnz .LBB21_186
; %bb.185:
	v_lshlrev_b32_e32 v45, 3, v45
	s_delay_alu instid0(VALU_DEP_1)
	v_mov_b32_e32 v49, v45
	scratch_load_b64 v[45:46], v49, off offset:-8
	scratch_load_b64 v[47:48], off, off offset:8
	s_wait_loadcnt 0x1
	scratch_store_b64 off, v[45:46], off offset:8
	s_wait_loadcnt 0x0
	scratch_store_b64 v49, v[47:48], off offset:-8
.LBB21_186:
	global_load_b32 v0, v0, s[2:3]
	s_wait_loadcnt 0x0
	v_cmp_eq_u32_e32 vcc_lo, 1, v0
	s_cbranch_vccnz .LBB21_188
; %bb.187:
	v_lshlrev_b32_e32 v0, 3, v0
	scratch_load_b64 v[45:46], v0, off offset:-8
	scratch_load_b64 v[47:48], off, off
	s_wait_loadcnt 0x1
	scratch_store_b64 off, v[45:46], off
	s_wait_loadcnt 0x0
	scratch_store_b64 v0, v[47:48], off offset:-8
.LBB21_188:
	s_clause 0xa
	scratch_load_b128 v[45:48], off, off
	scratch_load_b128 v[49:52], off, off offset:16
	scratch_load_b128 v[53:56], off, off offset:32
	scratch_load_b128 v[57:60], off, off offset:48
	scratch_load_b128 v[61:64], off, off offset:64
	scratch_load_b128 v[65:68], off, off offset:80
	scratch_load_b128 v[69:72], off, off offset:96
	scratch_load_b128 v[73:76], off, off offset:112
	scratch_load_b128 v[77:80], off, off offset:128
	scratch_load_b128 v[81:84], off, off offset:144
	scratch_load_b128 v[85:88], off, off offset:160
	s_wait_loadcnt 0xa
	s_clause 0x1
	global_store_b64 v[1:2], v[45:46], off
	global_store_b64 v[3:4], v[47:48], off
	s_wait_loadcnt 0x9
	s_clause 0x1
	global_store_b64 v[5:6], v[49:50], off
	global_store_b64 v[7:8], v[51:52], off
	;; [unrolled: 4-line block ×11, first 2 shown]
	s_nop 0
	s_sendmsg sendmsg(MSG_DEALLOC_VGPRS)
	s_endpgm
	.section	.rodata,"a",@progbits
	.p2align	6, 0x0
	.amdhsa_kernel _ZN9rocsolver6v33100L18getri_kernel_smallILi22E19rocblas_complex_numIfEPS3_EEvT1_iilPiilS6_bb
		.amdhsa_group_segment_fixed_size 356
		.amdhsa_private_segment_fixed_size 192
		.amdhsa_kernarg_size 60
		.amdhsa_user_sgpr_count 2
		.amdhsa_user_sgpr_dispatch_ptr 0
		.amdhsa_user_sgpr_queue_ptr 0
		.amdhsa_user_sgpr_kernarg_segment_ptr 1
		.amdhsa_user_sgpr_dispatch_id 0
		.amdhsa_user_sgpr_private_segment_size 0
		.amdhsa_wavefront_size32 1
		.amdhsa_uses_dynamic_stack 0
		.amdhsa_enable_private_segment 1
		.amdhsa_system_sgpr_workgroup_id_x 1
		.amdhsa_system_sgpr_workgroup_id_y 0
		.amdhsa_system_sgpr_workgroup_id_z 0
		.amdhsa_system_sgpr_workgroup_info 0
		.amdhsa_system_vgpr_workitem_id 0
		.amdhsa_next_free_vgpr 152
		.amdhsa_next_free_sgpr 19
		.amdhsa_reserve_vcc 1
		.amdhsa_float_round_mode_32 0
		.amdhsa_float_round_mode_16_64 0
		.amdhsa_float_denorm_mode_32 3
		.amdhsa_float_denorm_mode_16_64 3
		.amdhsa_fp16_overflow 0
		.amdhsa_workgroup_processor_mode 1
		.amdhsa_memory_ordered 1
		.amdhsa_forward_progress 1
		.amdhsa_inst_pref_size 184
		.amdhsa_round_robin_scheduling 0
		.amdhsa_exception_fp_ieee_invalid_op 0
		.amdhsa_exception_fp_denorm_src 0
		.amdhsa_exception_fp_ieee_div_zero 0
		.amdhsa_exception_fp_ieee_overflow 0
		.amdhsa_exception_fp_ieee_underflow 0
		.amdhsa_exception_fp_ieee_inexact 0
		.amdhsa_exception_int_div_zero 0
	.end_amdhsa_kernel
	.section	.text._ZN9rocsolver6v33100L18getri_kernel_smallILi22E19rocblas_complex_numIfEPS3_EEvT1_iilPiilS6_bb,"axG",@progbits,_ZN9rocsolver6v33100L18getri_kernel_smallILi22E19rocblas_complex_numIfEPS3_EEvT1_iilPiilS6_bb,comdat
.Lfunc_end21:
	.size	_ZN9rocsolver6v33100L18getri_kernel_smallILi22E19rocblas_complex_numIfEPS3_EEvT1_iilPiilS6_bb, .Lfunc_end21-_ZN9rocsolver6v33100L18getri_kernel_smallILi22E19rocblas_complex_numIfEPS3_EEvT1_iilPiilS6_bb
                                        ; -- End function
	.set _ZN9rocsolver6v33100L18getri_kernel_smallILi22E19rocblas_complex_numIfEPS3_EEvT1_iilPiilS6_bb.num_vgpr, 152
	.set _ZN9rocsolver6v33100L18getri_kernel_smallILi22E19rocblas_complex_numIfEPS3_EEvT1_iilPiilS6_bb.num_agpr, 0
	.set _ZN9rocsolver6v33100L18getri_kernel_smallILi22E19rocblas_complex_numIfEPS3_EEvT1_iilPiilS6_bb.numbered_sgpr, 19
	.set _ZN9rocsolver6v33100L18getri_kernel_smallILi22E19rocblas_complex_numIfEPS3_EEvT1_iilPiilS6_bb.num_named_barrier, 0
	.set _ZN9rocsolver6v33100L18getri_kernel_smallILi22E19rocblas_complex_numIfEPS3_EEvT1_iilPiilS6_bb.private_seg_size, 192
	.set _ZN9rocsolver6v33100L18getri_kernel_smallILi22E19rocblas_complex_numIfEPS3_EEvT1_iilPiilS6_bb.uses_vcc, 1
	.set _ZN9rocsolver6v33100L18getri_kernel_smallILi22E19rocblas_complex_numIfEPS3_EEvT1_iilPiilS6_bb.uses_flat_scratch, 1
	.set _ZN9rocsolver6v33100L18getri_kernel_smallILi22E19rocblas_complex_numIfEPS3_EEvT1_iilPiilS6_bb.has_dyn_sized_stack, 0
	.set _ZN9rocsolver6v33100L18getri_kernel_smallILi22E19rocblas_complex_numIfEPS3_EEvT1_iilPiilS6_bb.has_recursion, 0
	.set _ZN9rocsolver6v33100L18getri_kernel_smallILi22E19rocblas_complex_numIfEPS3_EEvT1_iilPiilS6_bb.has_indirect_call, 0
	.section	.AMDGPU.csdata,"",@progbits
; Kernel info:
; codeLenInByte = 23488
; TotalNumSgprs: 21
; NumVgprs: 152
; ScratchSize: 192
; MemoryBound: 0
; FloatMode: 240
; IeeeMode: 1
; LDSByteSize: 356 bytes/workgroup (compile time only)
; SGPRBlocks: 0
; VGPRBlocks: 18
; NumSGPRsForWavesPerEU: 21
; NumVGPRsForWavesPerEU: 152
; Occupancy: 9
; WaveLimiterHint : 1
; COMPUTE_PGM_RSRC2:SCRATCH_EN: 1
; COMPUTE_PGM_RSRC2:USER_SGPR: 2
; COMPUTE_PGM_RSRC2:TRAP_HANDLER: 0
; COMPUTE_PGM_RSRC2:TGID_X_EN: 1
; COMPUTE_PGM_RSRC2:TGID_Y_EN: 0
; COMPUTE_PGM_RSRC2:TGID_Z_EN: 0
; COMPUTE_PGM_RSRC2:TIDIG_COMP_CNT: 0
	.section	.text._ZN9rocsolver6v33100L18getri_kernel_smallILi23E19rocblas_complex_numIfEPS3_EEvT1_iilPiilS6_bb,"axG",@progbits,_ZN9rocsolver6v33100L18getri_kernel_smallILi23E19rocblas_complex_numIfEPS3_EEvT1_iilPiilS6_bb,comdat
	.globl	_ZN9rocsolver6v33100L18getri_kernel_smallILi23E19rocblas_complex_numIfEPS3_EEvT1_iilPiilS6_bb ; -- Begin function _ZN9rocsolver6v33100L18getri_kernel_smallILi23E19rocblas_complex_numIfEPS3_EEvT1_iilPiilS6_bb
	.p2align	8
	.type	_ZN9rocsolver6v33100L18getri_kernel_smallILi23E19rocblas_complex_numIfEPS3_EEvT1_iilPiilS6_bb,@function
_ZN9rocsolver6v33100L18getri_kernel_smallILi23E19rocblas_complex_numIfEPS3_EEvT1_iilPiilS6_bb: ; @_ZN9rocsolver6v33100L18getri_kernel_smallILi23E19rocblas_complex_numIfEPS3_EEvT1_iilPiilS6_bb
; %bb.0:
	s_mov_b32 s2, exec_lo
	v_cmpx_gt_u32_e32 23, v0
	s_cbranch_execz .LBB22_106
; %bb.1:
	s_clause 0x2
	s_load_b32 s2, s[0:1], 0x38
	s_load_b128 s[12:15], s[0:1], 0x10
	s_load_b128 s[4:7], s[0:1], 0x28
	s_mov_b32 s16, ttmp9
	s_wait_kmcnt 0x0
	s_bitcmp1_b32 s2, 8
	s_cselect_b32 s18, -1, 0
	s_bfe_u32 s2, s2, 0x10008
	s_ashr_i32 s17, ttmp9, 31
	s_cmp_eq_u32 s2, 0
                                        ; implicit-def: $sgpr2_sgpr3
	s_cbranch_scc1 .LBB22_3
; %bb.2:
	s_load_b32 s2, s[0:1], 0x20
	s_mul_u64 s[4:5], s[4:5], s[16:17]
	s_delay_alu instid0(SALU_CYCLE_1) | instskip(NEXT) | instid1(SALU_CYCLE_1)
	s_lshl_b64 s[4:5], s[4:5], 2
	s_add_nc_u64 s[4:5], s[14:15], s[4:5]
	s_wait_kmcnt 0x0
	s_ashr_i32 s3, s2, 31
	s_delay_alu instid0(SALU_CYCLE_1) | instskip(NEXT) | instid1(SALU_CYCLE_1)
	s_lshl_b64 s[2:3], s[2:3], 2
	s_add_nc_u64 s[2:3], s[4:5], s[2:3]
.LBB22_3:
	s_clause 0x1
	s_load_b128 s[8:11], s[0:1], 0x0
	s_load_b32 s4, s[0:1], 0x38
	s_mul_u64 s[0:1], s[12:13], s[16:17]
	v_lshlrev_b32_e32 v53, 3, v0
	s_lshl_b64 s[0:1], s[0:1], 3
	s_wait_kmcnt 0x0
	v_add3_u32 v3, s11, s11, v0
	s_ashr_i32 s13, s10, 31
	s_mov_b32 s12, s10
	s_add_nc_u64 s[0:1], s[8:9], s[0:1]
	s_lshl_b64 s[12:13], s[12:13], 3
	v_add_nc_u32_e32 v5, s11, v3
	v_ashrrev_i32_e32 v4, 31, v3
	s_add_nc_u64 s[0:1], s[0:1], s[12:13]
	s_ashr_i32 s9, s11, 31
	v_add_co_u32 v1, s5, s0, v53
	v_add_nc_u32_e32 v7, s11, v5
	v_ashrrev_i32_e32 v6, 31, v5
	s_mov_b32 s8, s11
	v_lshlrev_b64_e32 v[9:10], 3, v[3:4]
	v_add_co_ci_u32_e64 v2, null, s1, 0, s5
	v_add_nc_u32_e32 v13, s11, v7
	s_lshl_b64 s[8:9], s[8:9], 3
	v_lshlrev_b64_e32 v[11:12], 3, v[5:6]
	v_ashrrev_i32_e32 v8, 31, v7
	v_add_co_u32 v3, vcc_lo, v1, s8
	v_ashrrev_i32_e32 v14, 31, v13
	v_add_nc_u32_e32 v15, s11, v13
	v_add_co_ci_u32_e64 v4, null, s9, v2, vcc_lo
	v_add_co_u32 v5, vcc_lo, s0, v9
	s_wait_alu 0xfffd
	v_add_co_ci_u32_e64 v6, null, s1, v10, vcc_lo
	v_lshlrev_b64_e32 v[9:10], 3, v[7:8]
	v_add_co_u32 v7, vcc_lo, s0, v11
	s_wait_alu 0xfffd
	v_add_co_ci_u32_e64 v8, null, s1, v12, vcc_lo
	v_lshlrev_b64_e32 v[11:12], 3, v[13:14]
	v_add_nc_u32_e32 v13, s11, v15
	v_ashrrev_i32_e32 v16, 31, v15
	v_add_co_u32 v9, vcc_lo, s0, v9
	s_wait_alu 0xfffd
	v_add_co_ci_u32_e64 v10, null, s1, v10, vcc_lo
	v_add_nc_u32_e32 v17, s11, v13
	v_ashrrev_i32_e32 v14, 31, v13
	v_lshlrev_b64_e32 v[15:16], 3, v[15:16]
	v_add_co_u32 v11, vcc_lo, s0, v11
	s_delay_alu instid0(VALU_DEP_4) | instskip(NEXT) | instid1(VALU_DEP_4)
	v_add_nc_u32_e32 v21, s11, v17
	v_lshlrev_b64_e32 v[19:20], 3, v[13:14]
	s_wait_alu 0xfffd
	v_add_co_ci_u32_e64 v12, null, s1, v12, vcc_lo
	v_add_co_u32 v13, vcc_lo, s0, v15
	v_ashrrev_i32_e32 v22, 31, v21
	v_add_nc_u32_e32 v23, s11, v21
	s_wait_alu 0xfffd
	v_add_co_ci_u32_e64 v14, null, s1, v16, vcc_lo
	v_add_co_u32 v15, vcc_lo, s0, v19
	s_wait_alu 0xfffd
	v_add_co_ci_u32_e64 v16, null, s1, v20, vcc_lo
	v_lshlrev_b64_e32 v[19:20], 3, v[21:22]
	v_add_nc_u32_e32 v21, s11, v23
	v_ashrrev_i32_e32 v18, 31, v17
	v_ashrrev_i32_e32 v24, 31, v23
	s_clause 0x4
	global_load_b64 v[47:48], v53, s[0:1]
	global_load_b64 v[49:50], v[3:4], off
	global_load_b64 v[54:55], v[5:6], off
	;; [unrolled: 1-line block ×4, first 2 shown]
	v_add_nc_u32_e32 v25, s11, v21
	v_lshlrev_b64_e32 v[17:18], 3, v[17:18]
	v_ashrrev_i32_e32 v22, 31, v21
	v_lshlrev_b64_e32 v[23:24], 3, v[23:24]
	s_bitcmp0_b32 s4, 0
	v_add_nc_u32_e32 v29, s11, v25
	v_ashrrev_i32_e32 v26, 31, v25
	v_add_co_u32 v17, vcc_lo, s0, v17
	v_lshlrev_b64_e32 v[27:28], 3, v[21:22]
	s_wait_alu 0xfffd
	v_add_co_ci_u32_e64 v18, null, s1, v18, vcc_lo
	v_add_co_u32 v19, vcc_lo, s0, v19
	v_ashrrev_i32_e32 v30, 31, v29
	v_add_nc_u32_e32 v31, s11, v29
	s_wait_alu 0xfffd
	v_add_co_ci_u32_e64 v20, null, s1, v20, vcc_lo
	v_add_co_u32 v21, vcc_lo, s0, v23
	s_wait_alu 0xfffd
	v_add_co_ci_u32_e64 v22, null, s1, v24, vcc_lo
	v_add_co_u32 v23, vcc_lo, s0, v27
	s_wait_alu 0xfffd
	v_add_co_ci_u32_e64 v24, null, s1, v28, vcc_lo
	v_lshlrev_b64_e32 v[27:28], 3, v[29:30]
	v_add_nc_u32_e32 v29, s11, v31
	v_ashrrev_i32_e32 v32, 31, v31
	v_lshlrev_b64_e32 v[25:26], 3, v[25:26]
	s_clause 0x3
	global_load_b64 v[60:61], v[11:12], off
	global_load_b64 v[62:63], v[13:14], off
	;; [unrolled: 1-line block ×4, first 2 shown]
	v_add_nc_u32_e32 v33, s11, v29
	v_ashrrev_i32_e32 v30, 31, v29
	v_lshlrev_b64_e32 v[31:32], 3, v[31:32]
	v_add_co_u32 v25, vcc_lo, s0, v25
	s_delay_alu instid0(VALU_DEP_4) | instskip(NEXT) | instid1(VALU_DEP_4)
	v_add_nc_u32_e32 v37, s11, v33
	v_lshlrev_b64_e32 v[35:36], 3, v[29:30]
	s_wait_alu 0xfffd
	v_add_co_ci_u32_e64 v26, null, s1, v26, vcc_lo
	v_add_co_u32 v27, vcc_lo, s0, v27
	v_ashrrev_i32_e32 v38, 31, v37
	v_add_nc_u32_e32 v39, s11, v37
	s_wait_alu 0xfffd
	v_add_co_ci_u32_e64 v28, null, s1, v28, vcc_lo
	v_add_co_u32 v29, vcc_lo, s0, v31
	s_wait_alu 0xfffd
	v_add_co_ci_u32_e64 v30, null, s1, v32, vcc_lo
	v_add_co_u32 v31, vcc_lo, s0, v35
	s_wait_alu 0xfffd
	v_add_co_ci_u32_e64 v32, null, s1, v36, vcc_lo
	v_lshlrev_b64_e32 v[35:36], 3, v[37:38]
	v_add_nc_u32_e32 v37, s11, v39
	v_ashrrev_i32_e32 v34, 31, v33
	v_ashrrev_i32_e32 v40, 31, v39
	s_clause 0x3
	global_load_b64 v[68:69], v[19:20], off
	global_load_b64 v[70:71], v[21:22], off
	;; [unrolled: 1-line block ×4, first 2 shown]
	v_add_nc_u32_e32 v41, s11, v37
	v_lshlrev_b64_e32 v[33:34], 3, v[33:34]
	v_ashrrev_i32_e32 v38, 31, v37
	v_lshlrev_b64_e32 v[39:40], 3, v[39:40]
	s_delay_alu instid0(VALU_DEP_4) | instskip(SKIP_3) | instid1(VALU_DEP_4)
	v_add_nc_u32_e32 v45, s11, v41
	v_ashrrev_i32_e32 v42, 31, v41
	v_add_co_u32 v33, vcc_lo, s0, v33
	v_lshlrev_b64_e32 v[43:44], 3, v[37:38]
	v_add_nc_u32_e32 v51, s11, v45
	s_wait_alu 0xfffd
	v_add_co_ci_u32_e64 v34, null, s1, v34, vcc_lo
	v_add_co_u32 v35, vcc_lo, s0, v35
	v_ashrrev_i32_e32 v46, 31, v45
	s_wait_alu 0xfffd
	v_add_co_ci_u32_e64 v36, null, s1, v36, vcc_lo
	v_add_co_u32 v37, vcc_lo, s0, v39
	v_ashrrev_i32_e32 v52, 31, v51
	s_wait_alu 0xfffd
	v_add_co_ci_u32_e64 v38, null, s1, v40, vcc_lo
	v_lshlrev_b64_e32 v[41:42], 3, v[41:42]
	v_add_co_u32 v39, vcc_lo, s0, v43
	s_wait_alu 0xfffd
	v_add_co_ci_u32_e64 v40, null, s1, v44, vcc_lo
	v_lshlrev_b64_e32 v[43:44], 3, v[45:46]
	v_lshlrev_b64_e32 v[45:46], 3, v[51:52]
	v_add_co_u32 v41, vcc_lo, s0, v41
	s_wait_alu 0xfffd
	v_add_co_ci_u32_e64 v42, null, s1, v42, vcc_lo
	s_delay_alu instid0(VALU_DEP_4)
	v_add_co_u32 v43, vcc_lo, s0, v43
	s_wait_alu 0xfffd
	v_add_co_ci_u32_e64 v44, null, s1, v44, vcc_lo
	v_add_co_u32 v45, vcc_lo, s0, v45
	s_clause 0x3
	global_load_b64 v[76:77], v[27:28], off
	global_load_b64 v[78:79], v[29:30], off
	;; [unrolled: 1-line block ×4, first 2 shown]
	s_wait_alu 0xfffd
	v_add_co_ci_u32_e64 v46, null, s1, v46, vcc_lo
	s_clause 0x5
	global_load_b64 v[84:85], v[35:36], off
	global_load_b64 v[86:87], v[37:38], off
	;; [unrolled: 1-line block ×6, first 2 shown]
	s_mov_b32 s1, -1
	s_wait_loadcnt 0x15
	scratch_store_b128 off, v[47:50], off
	s_wait_loadcnt 0x13
	scratch_store_b128 off, v[54:57], off offset:16
	s_wait_loadcnt 0x11
	scratch_store_b128 off, v[58:61], off offset:32
	;; [unrolled: 2-line block ×10, first 2 shown]
	s_wait_loadcnt 0x0
	scratch_store_b64 off, v[51:52], off offset:176
	s_cbranch_scc1 .LBB22_104
; %bb.4:
	v_cmp_eq_u32_e64 s0, 0, v0
	s_and_saveexec_b32 s1, s0
; %bb.5:
	v_mov_b32_e32 v47, 0
	ds_store_b32 v47, v47 offset:184
; %bb.6:
	s_wait_alu 0xfffe
	s_or_b32 exec_lo, exec_lo, s1
	s_wait_storecnt_dscnt 0x0
	s_barrier_signal -1
	s_barrier_wait -1
	global_inv scope:SCOPE_SE
	scratch_load_b64 v[47:48], v53, off
	s_wait_loadcnt 0x0
	v_cmp_eq_f32_e32 vcc_lo, 0, v47
	v_cmp_eq_f32_e64 s1, 0, v48
	s_and_b32 s1, vcc_lo, s1
	s_wait_alu 0xfffe
	s_and_saveexec_b32 s4, s1
	s_cbranch_execz .LBB22_10
; %bb.7:
	v_mov_b32_e32 v47, 0
	s_mov_b32 s5, 0
	ds_load_b32 v48, v47 offset:184
	s_wait_dscnt 0x0
	v_readfirstlane_b32 s1, v48
	v_add_nc_u32_e32 v48, 1, v0
	s_cmp_eq_u32 s1, 0
	s_delay_alu instid0(VALU_DEP_1)
	v_cmp_gt_i32_e32 vcc_lo, s1, v48
	s_cselect_b32 s8, -1, 0
	s_wait_alu 0xfffe
	s_or_b32 s8, s8, vcc_lo
	s_wait_alu 0xfffe
	s_and_b32 exec_lo, exec_lo, s8
	s_cbranch_execz .LBB22_10
; %bb.8:
	v_mov_b32_e32 v49, s1
.LBB22_9:                               ; =>This Inner Loop Header: Depth=1
	ds_cmpstore_rtn_b32 v49, v47, v48, v49 offset:184
	s_wait_dscnt 0x0
	v_cmp_ne_u32_e32 vcc_lo, 0, v49
	v_cmp_le_i32_e64 s1, v49, v48
	s_and_b32 s1, vcc_lo, s1
	s_wait_alu 0xfffe
	s_and_b32 s1, exec_lo, s1
	s_wait_alu 0xfffe
	s_or_b32 s5, s1, s5
	s_wait_alu 0xfffe
	s_and_not1_b32 exec_lo, exec_lo, s5
	s_cbranch_execnz .LBB22_9
.LBB22_10:
	s_wait_alu 0xfffe
	s_or_b32 exec_lo, exec_lo, s4
	v_mov_b32_e32 v47, 0
	s_barrier_signal -1
	s_barrier_wait -1
	global_inv scope:SCOPE_SE
	ds_load_b32 v48, v47 offset:184
	s_and_saveexec_b32 s1, s0
	s_cbranch_execz .LBB22_12
; %bb.11:
	s_lshl_b64 s[4:5], s[16:17], 2
	s_wait_alu 0xfffe
	s_add_nc_u64 s[4:5], s[6:7], s[4:5]
	s_wait_dscnt 0x0
	global_store_b32 v47, v48, s[4:5]
.LBB22_12:
	s_wait_alu 0xfffe
	s_or_b32 exec_lo, exec_lo, s1
	s_wait_dscnt 0x0
	v_cmp_ne_u32_e32 vcc_lo, 0, v48
	s_mov_b32 s1, 0
	s_cbranch_vccnz .LBB22_104
; %bb.13:
	v_mov_b32_e32 v54, v53
                                        ; implicit-def: $vgpr49
                                        ; implicit-def: $vgpr51
	scratch_load_b64 v[47:48], v54, off
	s_wait_loadcnt 0x0
	v_cmp_ngt_f32_e64 s1, |v47|, |v48|
	s_wait_alu 0xfffe
	s_and_saveexec_b32 s4, s1
	s_wait_alu 0xfffe
	s_xor_b32 s1, exec_lo, s4
	s_cbranch_execz .LBB22_15
; %bb.14:
	v_div_scale_f32 v49, null, v48, v48, v47
	v_div_scale_f32 v52, vcc_lo, v47, v48, v47
	s_delay_alu instid0(VALU_DEP_2) | instskip(NEXT) | instid1(TRANS32_DEP_1)
	v_rcp_f32_e32 v50, v49
	v_fma_f32 v51, -v49, v50, 1.0
	s_delay_alu instid0(VALU_DEP_1) | instskip(NEXT) | instid1(VALU_DEP_1)
	v_fmac_f32_e32 v50, v51, v50
	v_mul_f32_e32 v51, v52, v50
	s_delay_alu instid0(VALU_DEP_1) | instskip(NEXT) | instid1(VALU_DEP_1)
	v_fma_f32 v55, -v49, v51, v52
	v_fmac_f32_e32 v51, v55, v50
	s_delay_alu instid0(VALU_DEP_1) | instskip(SKIP_1) | instid1(VALU_DEP_1)
	v_fma_f32 v49, -v49, v51, v52
	s_wait_alu 0xfffd
	v_div_fmas_f32 v49, v49, v50, v51
	s_delay_alu instid0(VALU_DEP_1) | instskip(NEXT) | instid1(VALU_DEP_1)
	v_div_fixup_f32 v49, v49, v48, v47
	v_fmac_f32_e32 v48, v47, v49
	s_delay_alu instid0(VALU_DEP_1) | instskip(NEXT) | instid1(VALU_DEP_1)
	v_div_scale_f32 v47, null, v48, v48, 1.0
	v_rcp_f32_e32 v50, v47
	s_delay_alu instid0(TRANS32_DEP_1) | instskip(NEXT) | instid1(VALU_DEP_1)
	v_fma_f32 v51, -v47, v50, 1.0
	v_fmac_f32_e32 v50, v51, v50
	v_div_scale_f32 v51, vcc_lo, 1.0, v48, 1.0
	s_delay_alu instid0(VALU_DEP_1) | instskip(NEXT) | instid1(VALU_DEP_1)
	v_mul_f32_e32 v52, v51, v50
	v_fma_f32 v55, -v47, v52, v51
	s_delay_alu instid0(VALU_DEP_1) | instskip(NEXT) | instid1(VALU_DEP_1)
	v_fmac_f32_e32 v52, v55, v50
	v_fma_f32 v47, -v47, v52, v51
	s_wait_alu 0xfffd
	s_delay_alu instid0(VALU_DEP_1) | instskip(NEXT) | instid1(VALU_DEP_1)
	v_div_fmas_f32 v47, v47, v50, v52
	v_div_fixup_f32 v47, v47, v48, 1.0
	s_delay_alu instid0(VALU_DEP_1) | instskip(SKIP_1) | instid1(VALU_DEP_2)
	v_mul_f32_e32 v49, v49, v47
	v_xor_b32_e32 v50, 0x80000000, v47
                                        ; implicit-def: $vgpr47_vgpr48
	v_xor_b32_e32 v51, 0x80000000, v49
.LBB22_15:
	s_wait_alu 0xfffe
	s_and_not1_saveexec_b32 s1, s1
	s_cbranch_execz .LBB22_17
; %bb.16:
	v_div_scale_f32 v49, null, v47, v47, v48
	v_div_scale_f32 v52, vcc_lo, v48, v47, v48
	s_delay_alu instid0(VALU_DEP_2) | instskip(NEXT) | instid1(TRANS32_DEP_1)
	v_rcp_f32_e32 v50, v49
	v_fma_f32 v51, -v49, v50, 1.0
	s_delay_alu instid0(VALU_DEP_1) | instskip(NEXT) | instid1(VALU_DEP_1)
	v_fmac_f32_e32 v50, v51, v50
	v_mul_f32_e32 v51, v52, v50
	s_delay_alu instid0(VALU_DEP_1) | instskip(NEXT) | instid1(VALU_DEP_1)
	v_fma_f32 v55, -v49, v51, v52
	v_fmac_f32_e32 v51, v55, v50
	s_delay_alu instid0(VALU_DEP_1) | instskip(SKIP_1) | instid1(VALU_DEP_1)
	v_fma_f32 v49, -v49, v51, v52
	s_wait_alu 0xfffd
	v_div_fmas_f32 v49, v49, v50, v51
	s_delay_alu instid0(VALU_DEP_1) | instskip(NEXT) | instid1(VALU_DEP_1)
	v_div_fixup_f32 v50, v49, v47, v48
	v_fmac_f32_e32 v47, v48, v50
	s_delay_alu instid0(VALU_DEP_1) | instskip(SKIP_1) | instid1(VALU_DEP_2)
	v_div_scale_f32 v48, null, v47, v47, 1.0
	v_div_scale_f32 v52, vcc_lo, 1.0, v47, 1.0
	v_rcp_f32_e32 v49, v48
	s_delay_alu instid0(TRANS32_DEP_1) | instskip(NEXT) | instid1(VALU_DEP_1)
	v_fma_f32 v51, -v48, v49, 1.0
	v_fmac_f32_e32 v49, v51, v49
	s_delay_alu instid0(VALU_DEP_1) | instskip(NEXT) | instid1(VALU_DEP_1)
	v_mul_f32_e32 v51, v52, v49
	v_fma_f32 v55, -v48, v51, v52
	s_delay_alu instid0(VALU_DEP_1) | instskip(NEXT) | instid1(VALU_DEP_1)
	v_fmac_f32_e32 v51, v55, v49
	v_fma_f32 v48, -v48, v51, v52
	s_wait_alu 0xfffd
	s_delay_alu instid0(VALU_DEP_1) | instskip(NEXT) | instid1(VALU_DEP_1)
	v_div_fmas_f32 v48, v48, v49, v51
	v_div_fixup_f32 v49, v48, v47, 1.0
	s_delay_alu instid0(VALU_DEP_1)
	v_xor_b32_e32 v51, 0x80000000, v49
	v_mul_f32_e64 v50, v50, -v49
.LBB22_17:
	s_wait_alu 0xfffe
	s_or_b32 exec_lo, exec_lo, s1
	scratch_store_b64 v54, v[49:50], off
	scratch_load_b64 v[48:49], off, off offset:8
	v_xor_b32_e32 v52, 0x80000000, v50
	v_add_nc_u32_e32 v47, 0xc0, v53
	s_wait_loadcnt 0x0
	ds_store_2addr_b64 v53, v[51:52], v[48:49] offset1:24
	s_wait_storecnt_dscnt 0x0
	s_barrier_signal -1
	s_barrier_wait -1
	global_inv scope:SCOPE_SE
	s_and_saveexec_b32 s1, s0
	s_cbranch_execz .LBB22_19
; %bb.18:
	scratch_load_b64 v[48:49], v54, off
	ds_load_b64 v[50:51], v47
	v_mov_b32_e32 v52, 0
	ds_load_b64 v[55:56], v52 offset:8
	s_wait_loadcnt_dscnt 0x1
	v_mul_f32_e32 v52, v50, v49
	v_mul_f32_e32 v49, v51, v49
	s_delay_alu instid0(VALU_DEP_2) | instskip(NEXT) | instid1(VALU_DEP_2)
	v_fmac_f32_e32 v52, v51, v48
	v_fma_f32 v48, v50, v48, -v49
	s_delay_alu instid0(VALU_DEP_2) | instskip(NEXT) | instid1(VALU_DEP_2)
	v_add_f32_e32 v50, 0, v52
	v_add_f32_e32 v48, 0, v48
	s_wait_dscnt 0x0
	s_delay_alu instid0(VALU_DEP_2) | instskip(NEXT) | instid1(VALU_DEP_2)
	v_mul_f32_e32 v51, v50, v56
	v_mul_f32_e32 v49, v48, v56
	s_delay_alu instid0(VALU_DEP_2) | instskip(NEXT) | instid1(VALU_DEP_2)
	v_fma_f32 v48, v48, v55, -v51
	v_fmac_f32_e32 v49, v50, v55
	scratch_store_b64 off, v[48:49], off offset:8
.LBB22_19:
	s_wait_alu 0xfffe
	s_or_b32 exec_lo, exec_lo, s1
	s_wait_loadcnt 0x0
	s_wait_storecnt 0x0
	s_barrier_signal -1
	s_barrier_wait -1
	global_inv scope:SCOPE_SE
	scratch_load_b64 v[48:49], off, off offset:16
	s_mov_b32 s1, exec_lo
	s_wait_loadcnt 0x0
	ds_store_b64 v47, v[48:49]
	s_wait_dscnt 0x0
	s_barrier_signal -1
	s_barrier_wait -1
	global_inv scope:SCOPE_SE
	v_cmpx_gt_u32_e32 2, v0
	s_cbranch_execz .LBB22_23
; %bb.20:
	scratch_load_b64 v[48:49], v54, off
	ds_load_b64 v[50:51], v47
	s_wait_loadcnt_dscnt 0x0
	v_mul_f32_e32 v52, v51, v49
	v_mul_f32_e32 v55, v50, v49
	s_delay_alu instid0(VALU_DEP_2) | instskip(NEXT) | instid1(VALU_DEP_2)
	v_fma_f32 v49, v50, v48, -v52
	v_fmac_f32_e32 v55, v51, v48
	s_delay_alu instid0(VALU_DEP_1)
	v_dual_add_f32 v49, 0, v49 :: v_dual_add_f32 v48, 0, v55
	s_and_saveexec_b32 s4, s0
	s_cbranch_execz .LBB22_22
; %bb.21:
	scratch_load_b64 v[50:51], off, off offset:8
	v_mov_b32_e32 v52, 0
	ds_load_b64 v[55:56], v52 offset:200
	s_wait_loadcnt_dscnt 0x0
	v_mul_f32_e32 v52, v55, v51
	v_mul_f32_e32 v51, v56, v51
	s_delay_alu instid0(VALU_DEP_2) | instskip(NEXT) | instid1(VALU_DEP_2)
	v_fmac_f32_e32 v52, v56, v50
	v_fma_f32 v50, v55, v50, -v51
	s_delay_alu instid0(VALU_DEP_1)
	v_dual_add_f32 v48, v48, v52 :: v_dual_add_f32 v49, v49, v50
.LBB22_22:
	s_wait_alu 0xfffe
	s_or_b32 exec_lo, exec_lo, s4
	v_mov_b32_e32 v50, 0
	ds_load_b64 v[50:51], v50 offset:16
	s_wait_dscnt 0x0
	v_mul_f32_e32 v55, v48, v51
	v_mul_f32_e32 v52, v49, v51
	s_delay_alu instid0(VALU_DEP_2) | instskip(NEXT) | instid1(VALU_DEP_2)
	v_fma_f32 v51, v49, v50, -v55
	v_fmac_f32_e32 v52, v48, v50
	scratch_store_b64 off, v[51:52], off offset:16
.LBB22_23:
	s_wait_alu 0xfffe
	s_or_b32 exec_lo, exec_lo, s1
	s_wait_loadcnt 0x0
	s_wait_storecnt 0x0
	s_barrier_signal -1
	s_barrier_wait -1
	global_inv scope:SCOPE_SE
	scratch_load_b64 v[49:50], off, off offset:24
	v_add_nc_u32_e32 v48, -1, v0
	s_mov_b32 s0, exec_lo
	s_wait_loadcnt 0x0
	ds_store_b64 v47, v[49:50]
	s_wait_dscnt 0x0
	s_barrier_signal -1
	s_barrier_wait -1
	global_inv scope:SCOPE_SE
	v_cmpx_gt_u32_e32 3, v0
	s_cbranch_execz .LBB22_27
; %bb.24:
	v_dual_mov_b32 v49, 0 :: v_dual_add_nc_u32 v50, -1, v0
	v_dual_mov_b32 v52, v53 :: v_dual_add_nc_u32 v51, 0xc0, v53
	v_mov_b32_e32 v55, 0
	s_mov_b32 s1, 0
.LBB22_25:                              ; =>This Inner Loop Header: Depth=1
	scratch_load_b64 v[56:57], v52, off
	ds_load_b64 v[58:59], v51
	v_add_nc_u32_e32 v50, 1, v50
	v_add_nc_u32_e32 v51, 8, v51
	s_delay_alu instid0(VALU_DEP_2)
	v_cmp_lt_u32_e32 vcc_lo, 1, v50
	s_wait_alu 0xfffe
	s_or_b32 s1, vcc_lo, s1
	s_wait_loadcnt_dscnt 0x0
	v_mul_f32_e32 v60, v59, v57
	v_mul_f32_e32 v57, v58, v57
	s_delay_alu instid0(VALU_DEP_2) | instskip(NEXT) | instid1(VALU_DEP_2)
	v_fma_f32 v58, v58, v56, -v60
	v_fmac_f32_e32 v57, v59, v56
	s_delay_alu instid0(VALU_DEP_2) | instskip(NEXT) | instid1(VALU_DEP_2)
	v_dual_add_f32 v55, v55, v58 :: v_dual_add_nc_u32 v52, 8, v52
	v_add_f32_e32 v49, v49, v57
	s_wait_alu 0xfffe
	s_and_not1_b32 exec_lo, exec_lo, s1
	s_cbranch_execnz .LBB22_25
; %bb.26:
	s_or_b32 exec_lo, exec_lo, s1
	v_mov_b32_e32 v50, 0
	ds_load_b64 v[50:51], v50 offset:24
	s_wait_dscnt 0x0
	v_mul_f32_e32 v56, v49, v51
	v_mul_f32_e32 v52, v55, v51
	s_delay_alu instid0(VALU_DEP_2) | instskip(NEXT) | instid1(VALU_DEP_2)
	v_fma_f32 v51, v55, v50, -v56
	v_fmac_f32_e32 v52, v49, v50
	scratch_store_b64 off, v[51:52], off offset:24
.LBB22_27:
	s_wait_alu 0xfffe
	s_or_b32 exec_lo, exec_lo, s0
	s_wait_loadcnt 0x0
	s_wait_storecnt 0x0
	s_barrier_signal -1
	s_barrier_wait -1
	global_inv scope:SCOPE_SE
	scratch_load_b64 v[49:50], off, off offset:32
	s_mov_b32 s0, exec_lo
	s_wait_loadcnt 0x0
	ds_store_b64 v47, v[49:50]
	s_wait_dscnt 0x0
	s_barrier_signal -1
	s_barrier_wait -1
	global_inv scope:SCOPE_SE
	v_cmpx_gt_u32_e32 4, v0
	s_cbranch_execz .LBB22_31
; %bb.28:
	v_dual_mov_b32 v49, 0 :: v_dual_add_nc_u32 v50, -1, v0
	v_dual_mov_b32 v52, v53 :: v_dual_add_nc_u32 v51, 0xc0, v53
	v_mov_b32_e32 v55, 0
	s_mov_b32 s1, 0
.LBB22_29:                              ; =>This Inner Loop Header: Depth=1
	scratch_load_b64 v[56:57], v52, off
	ds_load_b64 v[58:59], v51
	v_add_nc_u32_e32 v50, 1, v50
	v_add_nc_u32_e32 v51, 8, v51
	s_delay_alu instid0(VALU_DEP_2)
	v_cmp_lt_u32_e32 vcc_lo, 2, v50
	s_wait_alu 0xfffe
	s_or_b32 s1, vcc_lo, s1
	s_wait_loadcnt_dscnt 0x0
	v_mul_f32_e32 v60, v59, v57
	v_mul_f32_e32 v57, v58, v57
	s_delay_alu instid0(VALU_DEP_2) | instskip(NEXT) | instid1(VALU_DEP_2)
	v_fma_f32 v58, v58, v56, -v60
	v_fmac_f32_e32 v57, v59, v56
	s_delay_alu instid0(VALU_DEP_2) | instskip(NEXT) | instid1(VALU_DEP_2)
	v_dual_add_f32 v55, v55, v58 :: v_dual_add_nc_u32 v52, 8, v52
	v_add_f32_e32 v49, v49, v57
	s_wait_alu 0xfffe
	s_and_not1_b32 exec_lo, exec_lo, s1
	s_cbranch_execnz .LBB22_29
; %bb.30:
	s_or_b32 exec_lo, exec_lo, s1
	v_mov_b32_e32 v50, 0
	ds_load_b64 v[50:51], v50 offset:32
	s_wait_dscnt 0x0
	v_mul_f32_e32 v56, v49, v51
	v_mul_f32_e32 v52, v55, v51
	s_delay_alu instid0(VALU_DEP_2) | instskip(NEXT) | instid1(VALU_DEP_2)
	v_fma_f32 v51, v55, v50, -v56
	v_fmac_f32_e32 v52, v49, v50
	scratch_store_b64 off, v[51:52], off offset:32
.LBB22_31:
	s_wait_alu 0xfffe
	s_or_b32 exec_lo, exec_lo, s0
	s_wait_loadcnt 0x0
	s_wait_storecnt 0x0
	s_barrier_signal -1
	s_barrier_wait -1
	global_inv scope:SCOPE_SE
	scratch_load_b64 v[49:50], off, off offset:40
	;; [unrolled: 55-line block ×18, first 2 shown]
	s_mov_b32 s0, exec_lo
	s_wait_loadcnt 0x0
	ds_store_b64 v47, v[49:50]
	s_wait_dscnt 0x0
	s_barrier_signal -1
	s_barrier_wait -1
	global_inv scope:SCOPE_SE
	v_cmpx_gt_u32_e32 21, v0
	s_cbranch_execz .LBB22_99
; %bb.96:
	v_dual_mov_b32 v49, 0 :: v_dual_add_nc_u32 v50, -1, v0
	v_dual_mov_b32 v52, v53 :: v_dual_add_nc_u32 v51, 0xc0, v53
	v_mov_b32_e32 v53, 0
	s_mov_b32 s1, 0
.LBB22_97:                              ; =>This Inner Loop Header: Depth=1
	scratch_load_b64 v[55:56], v52, off
	ds_load_b64 v[57:58], v51
	v_add_nc_u32_e32 v52, 8, v52
	v_add_nc_u32_e32 v50, 1, v50
	;; [unrolled: 1-line block ×3, first 2 shown]
	s_delay_alu instid0(VALU_DEP_2)
	v_cmp_lt_u32_e32 vcc_lo, 19, v50
	s_wait_alu 0xfffe
	s_or_b32 s1, vcc_lo, s1
	s_wait_loadcnt_dscnt 0x0
	v_mul_f32_e32 v59, v58, v56
	v_mul_f32_e32 v56, v57, v56
	s_delay_alu instid0(VALU_DEP_2) | instskip(NEXT) | instid1(VALU_DEP_1)
	v_fma_f32 v57, v57, v55, -v59
	v_dual_fmac_f32 v56, v58, v55 :: v_dual_add_f32 v53, v53, v57
	s_delay_alu instid0(VALU_DEP_1)
	v_add_f32_e32 v49, v49, v56
	s_wait_alu 0xfffe
	s_and_not1_b32 exec_lo, exec_lo, s1
	s_cbranch_execnz .LBB22_97
; %bb.98:
	s_or_b32 exec_lo, exec_lo, s1
	v_mov_b32_e32 v50, 0
	ds_load_b64 v[50:51], v50 offset:168
	s_wait_dscnt 0x0
	v_mul_f32_e32 v55, v49, v51
	v_mul_f32_e32 v52, v53, v51
	s_delay_alu instid0(VALU_DEP_2) | instskip(NEXT) | instid1(VALU_DEP_2)
	v_fma_f32 v51, v53, v50, -v55
	v_fmac_f32_e32 v52, v49, v50
	scratch_store_b64 off, v[51:52], off offset:168
.LBB22_99:
	s_wait_alu 0xfffe
	s_or_b32 exec_lo, exec_lo, s0
	s_wait_loadcnt 0x0
	s_wait_storecnt 0x0
	s_barrier_signal -1
	s_barrier_wait -1
	global_inv scope:SCOPE_SE
	scratch_load_b64 v[49:50], off, off offset:176
	s_mov_b32 s0, exec_lo
	s_wait_loadcnt 0x0
	ds_store_b64 v47, v[49:50]
	s_wait_dscnt 0x0
	s_barrier_signal -1
	s_barrier_wait -1
	global_inv scope:SCOPE_SE
	v_cmpx_ne_u32_e32 22, v0
	s_cbranch_execz .LBB22_103
; %bb.100:
	v_dual_mov_b32 v49, 0 :: v_dual_mov_b32 v50, 0
	s_mov_b32 s1, 0
.LBB22_101:                             ; =>This Inner Loop Header: Depth=1
	scratch_load_b64 v[51:52], v54, off
	ds_load_b64 v[55:56], v47
	v_add_nc_u32_e32 v48, 1, v48
	v_add_nc_u32_e32 v47, 8, v47
	;; [unrolled: 1-line block ×3, first 2 shown]
	s_delay_alu instid0(VALU_DEP_3)
	v_cmp_lt_u32_e32 vcc_lo, 20, v48
	s_wait_alu 0xfffe
	s_or_b32 s1, vcc_lo, s1
	s_wait_loadcnt_dscnt 0x0
	v_mul_f32_e32 v53, v56, v52
	v_mul_f32_e32 v52, v55, v52
	s_delay_alu instid0(VALU_DEP_2) | instskip(NEXT) | instid1(VALU_DEP_2)
	v_fma_f32 v53, v55, v51, -v53
	v_fmac_f32_e32 v52, v56, v51
	s_delay_alu instid0(VALU_DEP_1)
	v_dual_add_f32 v50, v50, v53 :: v_dual_add_f32 v49, v49, v52
	s_wait_alu 0xfffe
	s_and_not1_b32 exec_lo, exec_lo, s1
	s_cbranch_execnz .LBB22_101
; %bb.102:
	s_or_b32 exec_lo, exec_lo, s1
	v_mov_b32_e32 v47, 0
	ds_load_b64 v[47:48], v47 offset:176
	s_wait_dscnt 0x0
	v_mul_f32_e32 v52, v49, v48
	v_mul_f32_e32 v51, v50, v48
	s_delay_alu instid0(VALU_DEP_2) | instskip(NEXT) | instid1(VALU_DEP_2)
	v_fma_f32 v50, v50, v47, -v52
	v_fmac_f32_e32 v51, v49, v47
	scratch_store_b64 off, v[50:51], off offset:176
.LBB22_103:
	s_wait_alu 0xfffe
	s_or_b32 exec_lo, exec_lo, s0
	s_mov_b32 s1, -1
	s_wait_loadcnt 0x0
	s_wait_storecnt 0x0
	s_barrier_signal -1
	s_barrier_wait -1
	global_inv scope:SCOPE_SE
.LBB22_104:
	s_wait_alu 0xfffe
	s_and_b32 vcc_lo, exec_lo, s1
	s_wait_alu 0xfffe
	s_cbranch_vccz .LBB22_106
; %bb.105:
	v_mov_b32_e32 v47, 0
	s_lshl_b64 s[0:1], s[16:17], 2
	s_wait_alu 0xfffe
	s_add_nc_u64 s[0:1], s[6:7], s[0:1]
	global_load_b32 v47, v47, s[0:1]
	s_wait_loadcnt 0x0
	v_cmp_ne_u32_e32 vcc_lo, 0, v47
	s_cbranch_vccz .LBB22_107
.LBB22_106:
	s_nop 0
	s_sendmsg sendmsg(MSG_DEALLOC_VGPRS)
	s_endpgm
.LBB22_107:
	v_lshl_add_u32 v49, v0, 3, 0xc0
	s_mov_b32 s0, exec_lo
	v_cmpx_eq_u32_e32 22, v0
	s_cbranch_execz .LBB22_109
; %bb.108:
	scratch_load_b64 v[47:48], off, off offset:168
	v_mov_b32_e32 v50, 0
	s_delay_alu instid0(VALU_DEP_1)
	v_mov_b32_e32 v51, v50
	scratch_store_b64 off, v[50:51], off offset:168
	s_wait_loadcnt 0x0
	ds_store_b64 v49, v[47:48]
.LBB22_109:
	s_wait_alu 0xfffe
	s_or_b32 exec_lo, exec_lo, s0
	s_wait_storecnt_dscnt 0x0
	s_barrier_signal -1
	s_barrier_wait -1
	global_inv scope:SCOPE_SE
	s_clause 0x1
	scratch_load_b64 v[50:51], off, off offset:176
	scratch_load_b64 v[52:53], off, off offset:168
	v_mov_b32_e32 v47, 0
	s_mov_b32 s0, exec_lo
	ds_load_b64 v[54:55], v47 offset:368
	s_wait_loadcnt_dscnt 0x100
	v_mul_f32_e32 v48, v55, v51
	s_delay_alu instid0(VALU_DEP_1) | instskip(NEXT) | instid1(VALU_DEP_1)
	v_fma_f32 v48, v54, v50, -v48
	v_dual_mul_f32 v51, v54, v51 :: v_dual_add_f32 v48, 0, v48
	s_wait_loadcnt 0x0
	s_delay_alu instid0(VALU_DEP_1) | instskip(NEXT) | instid1(VALU_DEP_1)
	v_dual_fmac_f32 v51, v55, v50 :: v_dual_sub_f32 v50, v52, v48
	v_add_f32_e32 v51, 0, v51
	s_delay_alu instid0(VALU_DEP_1)
	v_sub_f32_e32 v51, v53, v51
	scratch_store_b64 off, v[50:51], off offset:168
	v_cmpx_lt_u32_e32 20, v0
	s_cbranch_execz .LBB22_111
; %bb.110:
	scratch_load_b64 v[50:51], off, off offset:160
	v_mov_b32_e32 v48, v47
	scratch_store_b64 off, v[47:48], off offset:160
	s_wait_loadcnt 0x0
	ds_store_b64 v49, v[50:51]
.LBB22_111:
	s_wait_alu 0xfffe
	s_or_b32 exec_lo, exec_lo, s0
	s_wait_storecnt_dscnt 0x0
	s_barrier_signal -1
	s_barrier_wait -1
	global_inv scope:SCOPE_SE
	s_clause 0x1
	scratch_load_b128 v[50:53], off, off offset:168
	scratch_load_b64 v[58:59], off, off offset:160
	ds_load_2addr_b64 v[54:57], v47 offset0:45 offset1:46
	s_mov_b32 s0, exec_lo
	s_wait_loadcnt_dscnt 0x100
	v_mul_f32_e32 v48, v54, v51
	s_delay_alu instid0(VALU_DEP_1) | instskip(SKIP_2) | instid1(VALU_DEP_1)
	v_fmac_f32_e32 v48, v55, v50
	v_mul_f32_e32 v47, v55, v51
	v_mul_f32_e32 v51, v56, v53
	v_fmac_f32_e32 v51, v57, v52
	s_delay_alu instid0(VALU_DEP_4) | instskip(NEXT) | instid1(VALU_DEP_4)
	v_dual_add_f32 v48, 0, v48 :: v_dual_mul_f32 v53, v57, v53
	v_fma_f32 v47, v54, v50, -v47
	s_delay_alu instid0(VALU_DEP_2) | instskip(NEXT) | instid1(VALU_DEP_3)
	v_add_f32_e32 v48, v48, v51
	v_fma_f32 v50, v56, v52, -v53
	s_wait_loadcnt 0x0
	s_delay_alu instid0(VALU_DEP_2) | instskip(NEXT) | instid1(VALU_DEP_1)
	v_dual_add_f32 v47, 0, v47 :: v_dual_sub_f32 v48, v59, v48
	v_add_f32_e32 v47, v47, v50
	s_delay_alu instid0(VALU_DEP_1)
	v_sub_f32_e32 v47, v58, v47
	scratch_store_b64 off, v[47:48], off offset:160
	v_cmpx_lt_u32_e32 19, v0
	s_cbranch_execz .LBB22_113
; %bb.112:
	scratch_load_b64 v[47:48], off, off offset:152
	v_mov_b32_e32 v50, 0
	s_delay_alu instid0(VALU_DEP_1)
	v_mov_b32_e32 v51, v50
	scratch_store_b64 off, v[50:51], off offset:152
	s_wait_loadcnt 0x0
	ds_store_b64 v49, v[47:48]
.LBB22_113:
	s_wait_alu 0xfffe
	s_or_b32 exec_lo, exec_lo, s0
	s_wait_storecnt_dscnt 0x0
	s_barrier_signal -1
	s_barrier_wait -1
	global_inv scope:SCOPE_SE
	s_clause 0x2
	scratch_load_b128 v[50:53], off, off offset:160
	scratch_load_b64 v[58:59], off, off offset:176
	scratch_load_b64 v[60:61], off, off offset:152
	v_mov_b32_e32 v47, 0
	ds_load_b128 v[54:57], v47 offset:352
	ds_load_b64 v[62:63], v47 offset:368
	s_mov_b32 s0, exec_lo
	s_wait_loadcnt_dscnt 0x201
	v_mul_f32_e32 v48, v55, v51
	v_dual_mul_f32 v51, v54, v51 :: v_dual_mul_f32 v64, v56, v53
	v_mul_f32_e32 v53, v57, v53
	s_wait_loadcnt_dscnt 0x100
	v_mul_f32_e32 v65, v62, v59
	v_fma_f32 v48, v54, v50, -v48
	v_fmac_f32_e32 v51, v55, v50
	v_mul_f32_e32 v50, v63, v59
	v_fmac_f32_e32 v64, v57, v52
	v_fma_f32 v52, v56, v52, -v53
	s_delay_alu instid0(VALU_DEP_4) | instskip(NEXT) | instid1(VALU_DEP_4)
	v_dual_add_f32 v48, 0, v48 :: v_dual_add_f32 v51, 0, v51
	v_fma_f32 v50, v62, v58, -v50
	s_delay_alu instid0(VALU_DEP_2) | instskip(NEXT) | instid1(VALU_DEP_1)
	v_add_f32_e32 v48, v48, v52
	v_dual_add_f32 v51, v51, v64 :: v_dual_add_f32 v48, v48, v50
	s_wait_loadcnt 0x0
	s_delay_alu instid0(VALU_DEP_1) | instskip(NEXT) | instid1(VALU_DEP_1)
	v_dual_fmac_f32 v65, v63, v58 :: v_dual_sub_f32 v50, v60, v48
	v_add_f32_e32 v51, v51, v65
	s_delay_alu instid0(VALU_DEP_1)
	v_sub_f32_e32 v51, v61, v51
	scratch_store_b64 off, v[50:51], off offset:152
	v_cmpx_lt_u32_e32 18, v0
	s_cbranch_execz .LBB22_115
; %bb.114:
	scratch_load_b64 v[50:51], off, off offset:144
	v_mov_b32_e32 v48, v47
	scratch_store_b64 off, v[47:48], off offset:144
	s_wait_loadcnt 0x0
	ds_store_b64 v49, v[50:51]
.LBB22_115:
	s_wait_alu 0xfffe
	s_or_b32 exec_lo, exec_lo, s0
	s_wait_storecnt_dscnt 0x0
	s_barrier_signal -1
	s_barrier_wait -1
	global_inv scope:SCOPE_SE
	s_clause 0x2
	scratch_load_b128 v[50:53], off, off offset:152
	scratch_load_b128 v[54:57], off, off offset:168
	scratch_load_b64 v[66:67], off, off offset:144
	ds_load_2addr_b64 v[58:61], v47 offset0:43 offset1:44
	ds_load_2addr_b64 v[62:65], v47 offset0:45 offset1:46
	s_mov_b32 s0, exec_lo
	s_wait_loadcnt_dscnt 0x201
	v_mul_f32_e32 v48, v59, v51
	s_wait_loadcnt_dscnt 0x100
	v_dual_mul_f32 v68, v62, v55 :: v_dual_mul_f32 v69, v64, v57
	s_delay_alu instid0(VALU_DEP_2) | instskip(SKIP_2) | instid1(VALU_DEP_4)
	v_fma_f32 v48, v58, v50, -v48
	v_mul_f32_e32 v47, v58, v51
	v_mul_f32_e32 v51, v60, v53
	v_dual_mul_f32 v53, v61, v53 :: v_dual_fmac_f32 v68, v63, v54
	s_delay_alu instid0(VALU_DEP_3) | instskip(NEXT) | instid1(VALU_DEP_3)
	v_dual_add_f32 v48, 0, v48 :: v_dual_fmac_f32 v47, v59, v50
	v_dual_mul_f32 v50, v63, v55 :: v_dual_fmac_f32 v51, v61, v52
	s_delay_alu instid0(VALU_DEP_3) | instskip(SKIP_1) | instid1(VALU_DEP_3)
	v_fma_f32 v52, v60, v52, -v53
	v_fmac_f32_e32 v69, v65, v56
	v_fma_f32 v50, v62, v54, -v50
	s_delay_alu instid0(VALU_DEP_3) | instskip(NEXT) | instid1(VALU_DEP_1)
	v_dual_add_f32 v48, v48, v52 :: v_dual_add_f32 v47, 0, v47
	v_dual_add_f32 v48, v48, v50 :: v_dual_mul_f32 v53, v65, v57
	s_delay_alu instid0(VALU_DEP_2) | instskip(NEXT) | instid1(VALU_DEP_2)
	v_add_f32_e32 v47, v47, v51
	v_fma_f32 v51, v64, v56, -v53
	s_delay_alu instid0(VALU_DEP_1) | instskip(SKIP_1) | instid1(VALU_DEP_1)
	v_dual_add_f32 v47, v47, v68 :: v_dual_add_f32 v48, v48, v51
	s_wait_loadcnt 0x0
	v_dual_add_f32 v50, v47, v69 :: v_dual_sub_f32 v47, v66, v48
	s_delay_alu instid0(VALU_DEP_1)
	v_sub_f32_e32 v48, v67, v50
	scratch_store_b64 off, v[47:48], off offset:144
	v_cmpx_lt_u32_e32 17, v0
	s_cbranch_execz .LBB22_117
; %bb.116:
	scratch_load_b64 v[47:48], off, off offset:136
	v_mov_b32_e32 v50, 0
	s_delay_alu instid0(VALU_DEP_1)
	v_mov_b32_e32 v51, v50
	scratch_store_b64 off, v[50:51], off offset:136
	s_wait_loadcnt 0x0
	ds_store_b64 v49, v[47:48]
.LBB22_117:
	s_wait_alu 0xfffe
	s_or_b32 exec_lo, exec_lo, s0
	s_wait_storecnt_dscnt 0x0
	s_barrier_signal -1
	s_barrier_wait -1
	global_inv scope:SCOPE_SE
	s_clause 0x3
	scratch_load_b128 v[50:53], off, off offset:144
	scratch_load_b128 v[54:57], off, off offset:160
	scratch_load_b64 v[66:67], off, off offset:176
	scratch_load_b64 v[68:69], off, off offset:136
	v_mov_b32_e32 v47, 0
	ds_load_b128 v[58:61], v47 offset:336
	ds_load_b128 v[62:65], v47 offset:352
	ds_load_b64 v[70:71], v47 offset:368
	s_mov_b32 s0, exec_lo
	s_wait_loadcnt_dscnt 0x302
	v_mul_f32_e32 v48, v58, v51
	v_dual_mul_f32 v72, v60, v53 :: v_dual_mul_f32 v51, v59, v51
	s_wait_loadcnt_dscnt 0x100
	v_mul_f32_e32 v75, v70, v67
	v_dual_mul_f32 v73, v62, v55 :: v_dual_mul_f32 v74, v64, v57
	v_dual_fmac_f32 v48, v59, v50 :: v_dual_mul_f32 v53, v61, v53
	v_fma_f32 v51, v58, v50, -v51
	v_fmac_f32_e32 v72, v61, v52
	v_mul_f32_e32 v50, v63, v55
	s_delay_alu instid0(VALU_DEP_4) | instskip(SKIP_3) | instid1(VALU_DEP_4)
	v_add_f32_e32 v48, 0, v48
	v_fma_f32 v52, v60, v52, -v53
	v_add_f32_e32 v51, 0, v51
	v_mul_f32_e32 v53, v65, v57
	v_dual_fmac_f32 v73, v63, v54 :: v_dual_add_f32 v48, v48, v72
	v_dual_fmac_f32 v74, v65, v56 :: v_dual_fmac_f32 v75, v71, v66
	s_delay_alu instid0(VALU_DEP_4) | instskip(SKIP_1) | instid1(VALU_DEP_4)
	v_add_f32_e32 v51, v51, v52
	v_fma_f32 v50, v62, v54, -v50
	v_add_f32_e32 v48, v48, v73
	v_fma_f32 v53, v64, v56, -v53
	s_delay_alu instid0(VALU_DEP_3) | instskip(NEXT) | instid1(VALU_DEP_3)
	v_add_f32_e32 v50, v51, v50
	v_add_f32_e32 v48, v48, v74
	s_delay_alu instid0(VALU_DEP_2) | instskip(NEXT) | instid1(VALU_DEP_2)
	v_add_f32_e32 v50, v50, v53
	v_add_f32_e32 v48, v48, v75
	v_mul_f32_e32 v52, v71, v67
	s_delay_alu instid0(VALU_DEP_1) | instskip(SKIP_1) | instid1(VALU_DEP_1)
	v_fma_f32 v51, v70, v66, -v52
	s_wait_loadcnt 0x0
	v_dual_add_f32 v50, v50, v51 :: v_dual_sub_f32 v51, v69, v48
	s_delay_alu instid0(VALU_DEP_1)
	v_sub_f32_e32 v50, v68, v50
	scratch_store_b64 off, v[50:51], off offset:136
	v_cmpx_lt_u32_e32 16, v0
	s_cbranch_execz .LBB22_119
; %bb.118:
	scratch_load_b64 v[50:51], off, off offset:128
	v_mov_b32_e32 v48, v47
	scratch_store_b64 off, v[47:48], off offset:128
	s_wait_loadcnt 0x0
	ds_store_b64 v49, v[50:51]
.LBB22_119:
	s_wait_alu 0xfffe
	s_or_b32 exec_lo, exec_lo, s0
	s_wait_storecnt_dscnt 0x0
	s_barrier_signal -1
	s_barrier_wait -1
	global_inv scope:SCOPE_SE
	s_clause 0x3
	scratch_load_b128 v[50:53], off, off offset:136
	scratch_load_b128 v[54:57], off, off offset:152
	;; [unrolled: 1-line block ×3, first 2 shown]
	scratch_load_b64 v[74:75], off, off offset:128
	ds_load_2addr_b64 v[62:65], v47 offset0:41 offset1:42
	ds_load_2addr_b64 v[66:69], v47 offset0:43 offset1:44
	;; [unrolled: 1-line block ×3, first 2 shown]
	s_mov_b32 s0, exec_lo
	s_wait_loadcnt_dscnt 0x302
	v_dual_mul_f32 v47, v62, v51 :: v_dual_mul_f32 v48, v64, v53
	v_mul_f32_e32 v51, v63, v51
	s_wait_loadcnt_dscnt 0x201
	v_dual_mul_f32 v53, v65, v53 :: v_dual_mul_f32 v76, v66, v55
	s_delay_alu instid0(VALU_DEP_3) | instskip(NEXT) | instid1(VALU_DEP_3)
	v_dual_mul_f32 v77, v68, v57 :: v_dual_fmac_f32 v48, v65, v52
	v_fma_f32 v51, v62, v50, -v51
	v_fmac_f32_e32 v47, v63, v50
	v_mul_f32_e32 v50, v67, v55
	v_fma_f32 v52, v64, v52, -v53
	v_mul_f32_e32 v53, v69, v57
	v_dual_add_f32 v51, 0, v51 :: v_dual_fmac_f32 v76, v67, v54
	s_delay_alu instid0(VALU_DEP_4) | instskip(SKIP_2) | instid1(VALU_DEP_3)
	v_fma_f32 v50, v66, v54, -v50
	s_wait_loadcnt_dscnt 0x100
	v_dual_mul_f32 v78, v70, v59 :: v_dual_mul_f32 v79, v72, v61
	v_add_f32_e32 v51, v51, v52
	v_fmac_f32_e32 v77, v69, v56
	v_fma_f32 v52, v68, v56, -v53
	s_delay_alu instid0(VALU_DEP_4) | instskip(NEXT) | instid1(VALU_DEP_4)
	v_dual_fmac_f32 v78, v71, v58 :: v_dual_fmac_f32 v79, v73, v60
	v_add_f32_e32 v50, v51, v50
	s_delay_alu instid0(VALU_DEP_1) | instskip(SKIP_1) | instid1(VALU_DEP_1)
	v_dual_add_f32 v50, v50, v52 :: v_dual_add_f32 v47, 0, v47
	v_mul_f32_e32 v51, v73, v61
	v_fma_f32 v51, v72, v60, -v51
	s_delay_alu instid0(VALU_DEP_3) | instskip(SKIP_1) | instid1(VALU_DEP_1)
	v_add_f32_e32 v47, v47, v48
	v_mul_f32_e32 v48, v71, v59
	v_fma_f32 v48, v70, v58, -v48
	s_delay_alu instid0(VALU_DEP_1) | instskip(NEXT) | instid1(VALU_DEP_1)
	v_add_f32_e32 v48, v50, v48
	v_dual_add_f32 v48, v48, v51 :: v_dual_add_f32 v47, v47, v76
	s_delay_alu instid0(VALU_DEP_1) | instskip(NEXT) | instid1(VALU_DEP_1)
	v_add_f32_e32 v47, v47, v77
	v_add_f32_e32 v47, v47, v78
	s_wait_loadcnt 0x0
	s_delay_alu instid0(VALU_DEP_1) | instskip(NEXT) | instid1(VALU_DEP_1)
	v_dual_add_f32 v50, v47, v79 :: v_dual_sub_f32 v47, v74, v48
	v_sub_f32_e32 v48, v75, v50
	scratch_store_b64 off, v[47:48], off offset:128
	v_cmpx_lt_u32_e32 15, v0
	s_cbranch_execz .LBB22_121
; %bb.120:
	scratch_load_b64 v[47:48], off, off offset:120
	v_mov_b32_e32 v50, 0
	s_delay_alu instid0(VALU_DEP_1)
	v_mov_b32_e32 v51, v50
	scratch_store_b64 off, v[50:51], off offset:120
	s_wait_loadcnt 0x0
	ds_store_b64 v49, v[47:48]
.LBB22_121:
	s_wait_alu 0xfffe
	s_or_b32 exec_lo, exec_lo, s0
	s_wait_storecnt_dscnt 0x0
	s_barrier_signal -1
	s_barrier_wait -1
	global_inv scope:SCOPE_SE
	s_clause 0x4
	scratch_load_b128 v[50:53], off, off offset:128
	scratch_load_b128 v[54:57], off, off offset:144
	;; [unrolled: 1-line block ×3, first 2 shown]
	scratch_load_b64 v[74:75], off, off offset:176
	scratch_load_b64 v[76:77], off, off offset:120
	v_mov_b32_e32 v47, 0
	ds_load_b128 v[62:65], v47 offset:320
	ds_load_b128 v[66:69], v47 offset:336
	;; [unrolled: 1-line block ×3, first 2 shown]
	ds_load_b64 v[78:79], v47 offset:368
	s_mov_b32 s0, exec_lo
	s_wait_loadcnt_dscnt 0x403
	v_mul_f32_e32 v48, v62, v51
	s_wait_loadcnt_dscnt 0x302
	v_dual_mul_f32 v80, v64, v53 :: v_dual_mul_f32 v81, v66, v55
	v_dual_mul_f32 v82, v68, v57 :: v_dual_mul_f32 v51, v63, v51
	s_wait_loadcnt_dscnt 0x100
	v_dual_mul_f32 v85, v78, v75 :: v_dual_fmac_f32 v48, v63, v50
	v_mul_f32_e32 v53, v65, v53
	v_dual_mul_f32 v83, v70, v59 :: v_dual_mul_f32 v84, v72, v61
	v_fma_f32 v51, v62, v50, -v51
	v_fmac_f32_e32 v80, v65, v52
	v_add_f32_e32 v48, 0, v48
	v_mul_f32_e32 v50, v67, v55
	v_fma_f32 v52, v64, v52, -v53
	v_add_f32_e32 v51, 0, v51
	v_mul_f32_e32 v53, v69, v57
	v_dual_fmac_f32 v81, v67, v54 :: v_dual_add_f32 v48, v48, v80
	v_dual_fmac_f32 v82, v69, v56 :: v_dual_fmac_f32 v83, v71, v58
	s_delay_alu instid0(VALU_DEP_4) | instskip(SKIP_1) | instid1(VALU_DEP_4)
	v_add_f32_e32 v51, v51, v52
	v_dual_fmac_f32 v84, v73, v60 :: v_dual_fmac_f32 v85, v79, v74
	v_add_f32_e32 v48, v48, v81
	v_fma_f32 v50, v66, v54, -v50
	v_mul_f32_e32 v52, v71, v59
	v_fma_f32 v53, v68, v56, -v53
	s_delay_alu instid0(VALU_DEP_4) | instskip(NEXT) | instid1(VALU_DEP_1)
	v_add_f32_e32 v48, v48, v82
	v_add_f32_e32 v48, v48, v83
	s_delay_alu instid0(VALU_DEP_1) | instskip(NEXT) | instid1(VALU_DEP_1)
	v_add_f32_e32 v48, v48, v84
	v_add_f32_e32 v48, v48, v85
	v_dual_add_f32 v50, v51, v50 :: v_dual_mul_f32 v51, v73, v61
	v_fma_f32 v52, v70, v58, -v52
	s_delay_alu instid0(VALU_DEP_2) | instskip(NEXT) | instid1(VALU_DEP_3)
	v_dual_add_f32 v50, v50, v53 :: v_dual_mul_f32 v53, v79, v75
	v_fma_f32 v51, v72, v60, -v51
	s_delay_alu instid0(VALU_DEP_2) | instskip(NEXT) | instid1(VALU_DEP_3)
	v_add_f32_e32 v50, v50, v52
	v_fma_f32 v52, v78, v74, -v53
	s_wait_loadcnt 0x0
	s_delay_alu instid0(VALU_DEP_2) | instskip(NEXT) | instid1(VALU_DEP_1)
	v_dual_add_f32 v50, v50, v51 :: v_dual_sub_f32 v51, v77, v48
	v_add_f32_e32 v50, v50, v52
	s_delay_alu instid0(VALU_DEP_1)
	v_sub_f32_e32 v50, v76, v50
	scratch_store_b64 off, v[50:51], off offset:120
	v_cmpx_lt_u32_e32 14, v0
	s_cbranch_execz .LBB22_123
; %bb.122:
	scratch_load_b64 v[50:51], off, off offset:112
	v_mov_b32_e32 v48, v47
	scratch_store_b64 off, v[47:48], off offset:112
	s_wait_loadcnt 0x0
	ds_store_b64 v49, v[50:51]
.LBB22_123:
	s_wait_alu 0xfffe
	s_or_b32 exec_lo, exec_lo, s0
	s_wait_storecnt_dscnt 0x0
	s_barrier_signal -1
	s_barrier_wait -1
	global_inv scope:SCOPE_SE
	s_clause 0x4
	scratch_load_b128 v[50:53], off, off offset:120
	scratch_load_b128 v[54:57], off, off offset:136
	;; [unrolled: 1-line block ×4, first 2 shown]
	scratch_load_b64 v[82:83], off, off offset:112
	ds_load_2addr_b64 v[66:69], v47 offset0:39 offset1:40
	ds_load_2addr_b64 v[70:73], v47 offset0:41 offset1:42
	;; [unrolled: 1-line block ×4, first 2 shown]
	s_mov_b32 s0, exec_lo
	s_wait_loadcnt_dscnt 0x403
	v_dual_mul_f32 v47, v66, v51 :: v_dual_mul_f32 v48, v68, v53
	v_mul_f32_e32 v51, v67, v51
	s_wait_loadcnt_dscnt 0x302
	v_dual_mul_f32 v53, v69, v53 :: v_dual_mul_f32 v84, v70, v55
	s_delay_alu instid0(VALU_DEP_3) | instskip(NEXT) | instid1(VALU_DEP_3)
	v_dual_mul_f32 v85, v72, v57 :: v_dual_fmac_f32 v48, v69, v52
	v_fma_f32 v51, v66, v50, -v51
	v_fmac_f32_e32 v47, v67, v50
	v_mul_f32_e32 v50, v71, v55
	v_fma_f32 v52, v68, v52, -v53
	v_mul_f32_e32 v53, v73, v57
	v_dual_add_f32 v51, 0, v51 :: v_dual_fmac_f32 v84, v71, v54
	s_delay_alu instid0(VALU_DEP_4) | instskip(SKIP_2) | instid1(VALU_DEP_3)
	v_fma_f32 v50, v70, v54, -v50
	s_wait_loadcnt_dscnt 0x201
	v_dual_mul_f32 v86, v74, v59 :: v_dual_mul_f32 v87, v76, v61
	v_add_f32_e32 v51, v51, v52
	v_fmac_f32_e32 v85, v73, v56
	v_fma_f32 v52, v72, v56, -v53
	s_wait_loadcnt_dscnt 0x100
	v_dual_mul_f32 v88, v78, v63 :: v_dual_mul_f32 v89, v80, v65
	v_dual_add_f32 v50, v51, v50 :: v_dual_mul_f32 v51, v77, v61
	v_dual_fmac_f32 v86, v75, v58 :: v_dual_fmac_f32 v87, v77, v60
	s_delay_alu instid0(VALU_DEP_3) | instskip(NEXT) | instid1(VALU_DEP_3)
	v_fmac_f32_e32 v88, v79, v62
	v_dual_add_f32 v50, v50, v52 :: v_dual_add_f32 v47, 0, v47
	v_mul_f32_e32 v52, v79, v63
	v_fma_f32 v51, v76, v60, -v51
	v_fmac_f32_e32 v89, v81, v64
	s_delay_alu instid0(VALU_DEP_4) | instskip(SKIP_2) | instid1(VALU_DEP_2)
	v_add_f32_e32 v47, v47, v48
	v_mul_f32_e32 v48, v75, v59
	v_fma_f32 v52, v78, v62, -v52
	v_fma_f32 v48, v74, v58, -v48
	s_delay_alu instid0(VALU_DEP_1) | instskip(SKIP_1) | instid1(VALU_DEP_2)
	v_add_f32_e32 v48, v50, v48
	v_mul_f32_e32 v50, v81, v65
	v_add_f32_e32 v48, v48, v51
	s_delay_alu instid0(VALU_DEP_2) | instskip(NEXT) | instid1(VALU_DEP_2)
	v_fma_f32 v50, v80, v64, -v50
	v_add_f32_e32 v48, v48, v52
	s_delay_alu instid0(VALU_DEP_1) | instskip(NEXT) | instid1(VALU_DEP_1)
	v_dual_add_f32 v47, v47, v84 :: v_dual_add_f32 v48, v48, v50
	v_add_f32_e32 v47, v47, v85
	s_delay_alu instid0(VALU_DEP_1) | instskip(NEXT) | instid1(VALU_DEP_1)
	v_add_f32_e32 v47, v47, v86
	v_add_f32_e32 v47, v47, v87
	s_delay_alu instid0(VALU_DEP_1) | instskip(SKIP_1) | instid1(VALU_DEP_1)
	v_add_f32_e32 v47, v47, v88
	s_wait_loadcnt 0x0
	v_dual_add_f32 v50, v47, v89 :: v_dual_sub_f32 v47, v82, v48
	s_delay_alu instid0(VALU_DEP_1)
	v_sub_f32_e32 v48, v83, v50
	scratch_store_b64 off, v[47:48], off offset:112
	v_cmpx_lt_u32_e32 13, v0
	s_cbranch_execz .LBB22_125
; %bb.124:
	scratch_load_b64 v[47:48], off, off offset:104
	v_mov_b32_e32 v50, 0
	s_delay_alu instid0(VALU_DEP_1)
	v_mov_b32_e32 v51, v50
	scratch_store_b64 off, v[50:51], off offset:104
	s_wait_loadcnt 0x0
	ds_store_b64 v49, v[47:48]
.LBB22_125:
	s_wait_alu 0xfffe
	s_or_b32 exec_lo, exec_lo, s0
	s_wait_storecnt_dscnt 0x0
	s_barrier_signal -1
	s_barrier_wait -1
	global_inv scope:SCOPE_SE
	s_clause 0x5
	scratch_load_b128 v[50:53], off, off offset:112
	scratch_load_b128 v[54:57], off, off offset:128
	;; [unrolled: 1-line block ×4, first 2 shown]
	scratch_load_b64 v[82:83], off, off offset:176
	scratch_load_b64 v[84:85], off, off offset:104
	v_mov_b32_e32 v47, 0
	ds_load_b128 v[66:69], v47 offset:304
	ds_load_b128 v[70:73], v47 offset:320
	;; [unrolled: 1-line block ×4, first 2 shown]
	ds_load_b64 v[86:87], v47 offset:368
	s_mov_b32 s0, exec_lo
	s_wait_loadcnt_dscnt 0x504
	v_mul_f32_e32 v48, v66, v51
	s_wait_loadcnt_dscnt 0x403
	v_dual_mul_f32 v88, v68, v53 :: v_dual_mul_f32 v89, v70, v55
	s_wait_loadcnt_dscnt 0x302
	v_dual_mul_f32 v92, v76, v61 :: v_dual_mul_f32 v51, v67, v51
	s_wait_loadcnt_dscnt 0x100
	v_dual_mul_f32 v95, v86, v83 :: v_dual_fmac_f32 v48, v67, v50
	v_mul_f32_e32 v53, v69, v53
	v_dual_mul_f32 v90, v72, v57 :: v_dual_mul_f32 v91, v74, v59
	v_fma_f32 v51, v66, v50, -v51
	v_fmac_f32_e32 v88, v69, v52
	v_add_f32_e32 v48, 0, v48
	v_mul_f32_e32 v50, v71, v55
	v_fma_f32 v52, v68, v52, -v53
	v_add_f32_e32 v51, 0, v51
	v_mul_f32_e32 v53, v73, v57
	v_dual_fmac_f32 v89, v71, v54 :: v_dual_add_f32 v48, v48, v88
	v_dual_fmac_f32 v90, v73, v56 :: v_dual_fmac_f32 v91, v75, v58
	s_delay_alu instid0(VALU_DEP_4) | instskip(SKIP_1) | instid1(VALU_DEP_4)
	v_add_f32_e32 v51, v51, v52
	v_dual_mul_f32 v93, v78, v63 :: v_dual_mul_f32 v94, v80, v65
	v_add_f32_e32 v48, v48, v89
	v_dual_fmac_f32 v92, v77, v60 :: v_dual_fmac_f32 v95, v87, v82
	s_delay_alu instid0(VALU_DEP_3) | instskip(NEXT) | instid1(VALU_DEP_3)
	v_dual_fmac_f32 v93, v79, v62 :: v_dual_fmac_f32 v94, v81, v64
	v_add_f32_e32 v48, v48, v90
	v_fma_f32 v50, v70, v54, -v50
	v_mul_f32_e32 v52, v75, v59
	v_fma_f32 v53, v72, v56, -v53
	s_delay_alu instid0(VALU_DEP_4) | instskip(NEXT) | instid1(VALU_DEP_1)
	v_add_f32_e32 v48, v48, v91
	v_add_f32_e32 v48, v48, v92
	s_delay_alu instid0(VALU_DEP_1) | instskip(NEXT) | instid1(VALU_DEP_1)
	v_add_f32_e32 v48, v48, v93
	v_add_f32_e32 v48, v48, v94
	s_delay_alu instid0(VALU_DEP_1) | instskip(SKIP_2) | instid1(VALU_DEP_2)
	v_add_f32_e32 v48, v48, v95
	v_dual_add_f32 v50, v51, v50 :: v_dual_mul_f32 v51, v77, v61
	v_fma_f32 v52, v74, v58, -v52
	v_dual_add_f32 v50, v50, v53 :: v_dual_mul_f32 v53, v79, v63
	s_delay_alu instid0(VALU_DEP_3) | instskip(NEXT) | instid1(VALU_DEP_2)
	v_fma_f32 v51, v76, v60, -v51
	v_add_f32_e32 v50, v50, v52
	v_mul_f32_e32 v52, v81, v65
	s_delay_alu instid0(VALU_DEP_4) | instskip(NEXT) | instid1(VALU_DEP_3)
	v_fma_f32 v53, v78, v62, -v53
	v_add_f32_e32 v50, v50, v51
	v_mul_f32_e32 v51, v87, v83
	s_delay_alu instid0(VALU_DEP_4) | instskip(NEXT) | instid1(VALU_DEP_3)
	v_fma_f32 v52, v80, v64, -v52
	v_add_f32_e32 v50, v50, v53
	s_delay_alu instid0(VALU_DEP_3) | instskip(NEXT) | instid1(VALU_DEP_2)
	v_fma_f32 v51, v86, v82, -v51
	v_add_f32_e32 v50, v50, v52
	s_wait_loadcnt 0x0
	s_delay_alu instid0(VALU_DEP_1) | instskip(NEXT) | instid1(VALU_DEP_1)
	v_dual_add_f32 v50, v50, v51 :: v_dual_sub_f32 v51, v85, v48
	v_sub_f32_e32 v50, v84, v50
	scratch_store_b64 off, v[50:51], off offset:104
	v_cmpx_lt_u32_e32 12, v0
	s_cbranch_execz .LBB22_127
; %bb.126:
	scratch_load_b64 v[50:51], off, off offset:96
	v_mov_b32_e32 v48, v47
	scratch_store_b64 off, v[47:48], off offset:96
	s_wait_loadcnt 0x0
	ds_store_b64 v49, v[50:51]
.LBB22_127:
	s_wait_alu 0xfffe
	s_or_b32 exec_lo, exec_lo, s0
	s_wait_storecnt_dscnt 0x0
	s_barrier_signal -1
	s_barrier_wait -1
	global_inv scope:SCOPE_SE
	s_clause 0x5
	scratch_load_b128 v[50:53], off, off offset:104
	scratch_load_b128 v[54:57], off, off offset:120
	;; [unrolled: 1-line block ×5, first 2 shown]
	scratch_load_b64 v[90:91], off, off offset:96
	ds_load_2addr_b64 v[70:73], v47 offset0:37 offset1:38
	ds_load_2addr_b64 v[74:77], v47 offset0:39 offset1:40
	;; [unrolled: 1-line block ×5, first 2 shown]
	s_mov_b32 s0, exec_lo
	s_wait_loadcnt_dscnt 0x504
	v_dual_mul_f32 v47, v70, v51 :: v_dual_mul_f32 v48, v72, v53
	v_mul_f32_e32 v51, v71, v51
	s_wait_loadcnt_dscnt 0x403
	v_dual_mul_f32 v53, v73, v53 :: v_dual_mul_f32 v92, v74, v55
	s_delay_alu instid0(VALU_DEP_3) | instskip(NEXT) | instid1(VALU_DEP_3)
	v_dual_mul_f32 v93, v76, v57 :: v_dual_fmac_f32 v48, v73, v52
	v_fma_f32 v51, v70, v50, -v51
	v_fmac_f32_e32 v47, v71, v50
	v_mul_f32_e32 v50, v75, v55
	v_fma_f32 v52, v72, v52, -v53
	v_mul_f32_e32 v53, v77, v57
	v_dual_add_f32 v51, 0, v51 :: v_dual_fmac_f32 v92, v75, v54
	s_delay_alu instid0(VALU_DEP_4) | instskip(SKIP_2) | instid1(VALU_DEP_3)
	v_fma_f32 v50, v74, v54, -v50
	s_wait_loadcnt_dscnt 0x302
	v_dual_mul_f32 v94, v78, v59 :: v_dual_mul_f32 v95, v80, v61
	v_add_f32_e32 v51, v51, v52
	v_fmac_f32_e32 v93, v77, v56
	v_fma_f32 v52, v76, v56, -v53
	s_wait_loadcnt_dscnt 0x201
	v_dual_mul_f32 v96, v82, v63 :: v_dual_mul_f32 v97, v84, v65
	v_dual_add_f32 v50, v51, v50 :: v_dual_mul_f32 v51, v81, v61
	v_fmac_f32_e32 v94, v79, v58
	s_wait_loadcnt_dscnt 0x100
	v_dual_mul_f32 v98, v86, v67 :: v_dual_mul_f32 v99, v88, v69
	s_delay_alu instid0(VALU_DEP_3) | instskip(SKIP_3) | instid1(VALU_DEP_4)
	v_dual_add_f32 v50, v50, v52 :: v_dual_add_f32 v47, 0, v47
	v_mul_f32_e32 v52, v83, v63
	v_fma_f32 v51, v80, v60, -v51
	v_dual_fmac_f32 v95, v81, v60 :: v_dual_fmac_f32 v96, v83, v62
	v_add_f32_e32 v47, v47, v48
	v_mul_f32_e32 v48, v79, v59
	v_fma_f32 v52, v82, v62, -v52
	v_dual_fmac_f32 v97, v85, v64 :: v_dual_fmac_f32 v98, v87, v66
	s_delay_alu instid0(VALU_DEP_3) | instskip(NEXT) | instid1(VALU_DEP_1)
	v_fma_f32 v48, v78, v58, -v48
	v_add_f32_e32 v48, v50, v48
	v_mul_f32_e32 v50, v85, v65
	s_delay_alu instid0(VALU_DEP_2) | instskip(SKIP_1) | instid1(VALU_DEP_3)
	v_dual_add_f32 v48, v48, v51 :: v_dual_add_f32 v47, v47, v92
	v_mul_f32_e32 v51, v87, v67
	v_fma_f32 v50, v84, v64, -v50
	s_delay_alu instid0(VALU_DEP_3) | instskip(SKIP_3) | instid1(VALU_DEP_4)
	v_add_f32_e32 v48, v48, v52
	v_mul_f32_e32 v52, v89, v69
	v_add_f32_e32 v47, v47, v93
	v_fma_f32 v51, v86, v66, -v51
	v_dual_add_f32 v48, v48, v50 :: v_dual_fmac_f32 v99, v89, v68
	s_delay_alu instid0(VALU_DEP_3) | instskip(SKIP_1) | instid1(VALU_DEP_3)
	v_add_f32_e32 v47, v47, v94
	v_fma_f32 v50, v88, v68, -v52
	v_add_f32_e32 v48, v48, v51
	s_delay_alu instid0(VALU_DEP_1) | instskip(NEXT) | instid1(VALU_DEP_1)
	v_dual_add_f32 v47, v47, v95 :: v_dual_add_f32 v48, v48, v50
	v_add_f32_e32 v47, v47, v96
	s_delay_alu instid0(VALU_DEP_1) | instskip(NEXT) | instid1(VALU_DEP_1)
	v_add_f32_e32 v47, v47, v97
	v_add_f32_e32 v47, v47, v98
	s_wait_loadcnt 0x0
	s_delay_alu instid0(VALU_DEP_1) | instskip(NEXT) | instid1(VALU_DEP_1)
	v_dual_add_f32 v50, v47, v99 :: v_dual_sub_f32 v47, v90, v48
	v_sub_f32_e32 v48, v91, v50
	scratch_store_b64 off, v[47:48], off offset:96
	v_cmpx_lt_u32_e32 11, v0
	s_cbranch_execz .LBB22_129
; %bb.128:
	scratch_load_b64 v[47:48], off, off offset:88
	v_mov_b32_e32 v50, 0
	s_delay_alu instid0(VALU_DEP_1)
	v_mov_b32_e32 v51, v50
	scratch_store_b64 off, v[50:51], off offset:88
	s_wait_loadcnt 0x0
	ds_store_b64 v49, v[47:48]
.LBB22_129:
	s_wait_alu 0xfffe
	s_or_b32 exec_lo, exec_lo, s0
	s_wait_storecnt_dscnt 0x0
	s_barrier_signal -1
	s_barrier_wait -1
	global_inv scope:SCOPE_SE
	s_clause 0x6
	scratch_load_b128 v[50:53], off, off offset:96
	scratch_load_b128 v[54:57], off, off offset:112
	;; [unrolled: 1-line block ×5, first 2 shown]
	scratch_load_b64 v[90:91], off, off offset:176
	scratch_load_b64 v[92:93], off, off offset:88
	v_mov_b32_e32 v47, 0
	ds_load_b128 v[70:73], v47 offset:288
	ds_load_b128 v[74:77], v47 offset:304
	;; [unrolled: 1-line block ×5, first 2 shown]
	ds_load_b64 v[94:95], v47 offset:368
	s_mov_b32 s0, exec_lo
	s_wait_loadcnt_dscnt 0x605
	v_mul_f32_e32 v48, v70, v51
	v_dual_mul_f32 v51, v71, v51 :: v_dual_mul_f32 v96, v72, v53
	s_wait_loadcnt_dscnt 0x302
	v_dual_mul_f32 v97, v74, v55 :: v_dual_mul_f32 v102, v84, v65
	s_wait_loadcnt_dscnt 0x100
	v_dual_mul_f32 v105, v94, v91 :: v_dual_fmac_f32 v48, v71, v50
	v_mul_f32_e32 v53, v73, v53
	v_fma_f32 v51, v70, v50, -v51
	v_mul_f32_e32 v50, v75, v55
	v_fmac_f32_e32 v96, v73, v52
	v_add_f32_e32 v48, 0, v48
	v_fma_f32 v52, v72, v52, -v53
	v_add_f32_e32 v51, 0, v51
	v_mul_f32_e32 v53, v77, v57
	s_delay_alu instid0(VALU_DEP_4) | instskip(SKIP_1) | instid1(VALU_DEP_4)
	v_dual_fmac_f32 v97, v75, v54 :: v_dual_add_f32 v48, v48, v96
	v_fma_f32 v50, v74, v54, -v50
	v_dual_add_f32 v51, v51, v52 :: v_dual_mul_f32 v98, v76, v57
	v_mul_f32_e32 v99, v78, v59
	v_mul_f32_e32 v52, v79, v59
	v_fma_f32 v53, v76, v56, -v53
	v_add_f32_e32 v48, v48, v97
	v_add_f32_e32 v50, v51, v50
	v_dual_fmac_f32 v98, v77, v56 :: v_dual_fmac_f32 v99, v79, v58
	v_mul_f32_e32 v51, v81, v61
	v_fma_f32 v52, v78, v58, -v52
	s_delay_alu instid0(VALU_DEP_4) | instskip(SKIP_4) | instid1(VALU_DEP_3)
	v_dual_add_f32 v50, v50, v53 :: v_dual_mul_f32 v53, v83, v63
	v_dual_mul_f32 v100, v80, v61 :: v_dual_mul_f32 v101, v82, v63
	v_dual_mul_f32 v103, v86, v67 :: v_dual_mul_f32 v104, v88, v69
	v_add_f32_e32 v48, v48, v98
	v_fma_f32 v51, v80, v60, -v51
	v_dual_add_f32 v50, v50, v52 :: v_dual_fmac_f32 v103, v87, v66
	v_dual_fmac_f32 v100, v81, v60 :: v_dual_fmac_f32 v101, v83, v62
	v_mul_f32_e32 v52, v85, v65
	s_delay_alu instid0(VALU_DEP_3)
	v_add_f32_e32 v50, v50, v51
	v_mul_f32_e32 v51, v87, v67
	v_dual_add_f32 v48, v48, v99 :: v_dual_fmac_f32 v105, v95, v90
	v_fma_f32 v53, v82, v62, -v53
	v_fmac_f32_e32 v102, v85, v64
	v_fma_f32 v52, v84, v64, -v52
	s_delay_alu instid0(VALU_DEP_4)
	v_add_f32_e32 v48, v48, v100
	v_fma_f32 v51, v86, v66, -v51
	v_add_f32_e32 v50, v50, v53
	v_mul_f32_e32 v53, v89, v69
	v_fmac_f32_e32 v104, v89, v68
	v_add_f32_e32 v48, v48, v101
	s_delay_alu instid0(VALU_DEP_4) | instskip(SKIP_2) | instid1(VALU_DEP_4)
	v_add_f32_e32 v50, v50, v52
	v_mul_f32_e32 v52, v95, v91
	v_fma_f32 v53, v88, v68, -v53
	v_add_f32_e32 v48, v48, v102
	s_delay_alu instid0(VALU_DEP_4) | instskip(NEXT) | instid1(VALU_DEP_4)
	v_add_f32_e32 v50, v50, v51
	v_fma_f32 v51, v94, v90, -v52
	s_delay_alu instid0(VALU_DEP_3) | instskip(NEXT) | instid1(VALU_DEP_3)
	v_add_f32_e32 v48, v48, v103
	v_add_f32_e32 v50, v50, v53
	s_delay_alu instid0(VALU_DEP_2) | instskip(NEXT) | instid1(VALU_DEP_2)
	v_add_f32_e32 v48, v48, v104
	v_add_f32_e32 v50, v50, v51
	s_delay_alu instid0(VALU_DEP_2) | instskip(SKIP_1) | instid1(VALU_DEP_1)
	v_add_f32_e32 v48, v48, v105
	s_wait_loadcnt 0x0
	v_dual_sub_f32 v50, v92, v50 :: v_dual_sub_f32 v51, v93, v48
	scratch_store_b64 off, v[50:51], off offset:88
	v_cmpx_lt_u32_e32 10, v0
	s_cbranch_execz .LBB22_131
; %bb.130:
	scratch_load_b64 v[50:51], off, off offset:80
	v_mov_b32_e32 v48, v47
	scratch_store_b64 off, v[47:48], off offset:80
	s_wait_loadcnt 0x0
	ds_store_b64 v49, v[50:51]
.LBB22_131:
	s_wait_alu 0xfffe
	s_or_b32 exec_lo, exec_lo, s0
	s_wait_storecnt_dscnt 0x0
	s_barrier_signal -1
	s_barrier_wait -1
	global_inv scope:SCOPE_SE
	s_clause 0x6
	scratch_load_b128 v[50:53], off, off offset:88
	scratch_load_b128 v[54:57], off, off offset:104
	;; [unrolled: 1-line block ×6, first 2 shown]
	scratch_load_b64 v[98:99], off, off offset:80
	ds_load_2addr_b64 v[74:77], v47 offset0:35 offset1:36
	ds_load_2addr_b64 v[78:81], v47 offset0:37 offset1:38
	;; [unrolled: 1-line block ×6, first 2 shown]
	s_mov_b32 s0, exec_lo
	s_wait_loadcnt_dscnt 0x605
	v_dual_mul_f32 v47, v74, v51 :: v_dual_mul_f32 v48, v76, v53
	v_mul_f32_e32 v51, v75, v51
	s_wait_loadcnt_dscnt 0x504
	v_dual_mul_f32 v53, v77, v53 :: v_dual_mul_f32 v100, v78, v55
	s_delay_alu instid0(VALU_DEP_3) | instskip(NEXT) | instid1(VALU_DEP_3)
	v_dual_mul_f32 v101, v80, v57 :: v_dual_fmac_f32 v48, v77, v52
	v_fma_f32 v51, v74, v50, -v51
	v_fmac_f32_e32 v47, v75, v50
	v_mul_f32_e32 v50, v79, v55
	v_fma_f32 v52, v76, v52, -v53
	v_mul_f32_e32 v53, v81, v57
	v_dual_add_f32 v51, 0, v51 :: v_dual_fmac_f32 v100, v79, v54
	s_delay_alu instid0(VALU_DEP_4) | instskip(SKIP_2) | instid1(VALU_DEP_3)
	v_fma_f32 v50, v78, v54, -v50
	s_wait_loadcnt_dscnt 0x403
	v_dual_mul_f32 v102, v82, v59 :: v_dual_mul_f32 v103, v84, v61
	v_add_f32_e32 v51, v51, v52
	v_fmac_f32_e32 v101, v81, v56
	v_fma_f32 v52, v80, v56, -v53
	s_wait_loadcnt_dscnt 0x302
	v_dual_mul_f32 v104, v86, v63 :: v_dual_mul_f32 v105, v88, v65
	v_dual_add_f32 v50, v51, v50 :: v_dual_mul_f32 v51, v85, v61
	v_fmac_f32_e32 v102, v83, v58
	s_wait_loadcnt_dscnt 0x201
	v_dual_mul_f32 v106, v90, v67 :: v_dual_mul_f32 v107, v92, v69
	s_delay_alu instid0(VALU_DEP_3) | instskip(SKIP_3) | instid1(VALU_DEP_4)
	v_dual_add_f32 v50, v50, v52 :: v_dual_add_f32 v47, 0, v47
	v_mul_f32_e32 v52, v87, v63
	v_fma_f32 v51, v84, v60, -v51
	v_dual_fmac_f32 v103, v85, v60 :: v_dual_fmac_f32 v104, v87, v62
	v_add_f32_e32 v47, v47, v48
	v_mul_f32_e32 v48, v83, v59
	v_fma_f32 v52, v86, v62, -v52
	v_dual_fmac_f32 v105, v89, v64 :: v_dual_fmac_f32 v106, v91, v66
	s_wait_loadcnt_dscnt 0x100
	v_dual_mul_f32 v108, v94, v71 :: v_dual_mul_f32 v109, v96, v73
	v_fma_f32 v48, v82, v58, -v48
	s_delay_alu instid0(VALU_DEP_2) | instskip(NEXT) | instid1(VALU_DEP_3)
	v_dual_fmac_f32 v107, v93, v68 :: v_dual_fmac_f32 v108, v95, v70
	v_fmac_f32_e32 v109, v97, v72
	s_delay_alu instid0(VALU_DEP_3) | instskip(SKIP_1) | instid1(VALU_DEP_2)
	v_add_f32_e32 v48, v50, v48
	v_mul_f32_e32 v50, v89, v65
	v_dual_add_f32 v48, v48, v51 :: v_dual_add_f32 v47, v47, v100
	v_mul_f32_e32 v51, v91, v67
	s_delay_alu instid0(VALU_DEP_3) | instskip(NEXT) | instid1(VALU_DEP_3)
	v_fma_f32 v50, v88, v64, -v50
	v_add_f32_e32 v48, v48, v52
	v_mul_f32_e32 v52, v93, v69
	v_add_f32_e32 v47, v47, v101
	v_fma_f32 v51, v90, v66, -v51
	s_delay_alu instid0(VALU_DEP_4) | instskip(SKIP_1) | instid1(VALU_DEP_4)
	v_add_f32_e32 v48, v48, v50
	v_mul_f32_e32 v50, v95, v71
	v_add_f32_e32 v47, v47, v102
	v_fma_f32 v52, v92, v68, -v52
	s_delay_alu instid0(VALU_DEP_4) | instskip(NEXT) | instid1(VALU_DEP_3)
	v_dual_add_f32 v48, v48, v51 :: v_dual_mul_f32 v51, v97, v73
	v_add_f32_e32 v47, v47, v103
	v_fma_f32 v50, v94, v70, -v50
	s_delay_alu instid0(VALU_DEP_3) | instskip(NEXT) | instid1(VALU_DEP_4)
	v_add_f32_e32 v48, v48, v52
	v_fma_f32 v51, v96, v72, -v51
	s_delay_alu instid0(VALU_DEP_2) | instskip(NEXT) | instid1(VALU_DEP_1)
	v_dual_add_f32 v47, v47, v104 :: v_dual_add_f32 v48, v48, v50
	v_dual_add_f32 v47, v47, v105 :: v_dual_add_f32 v48, v48, v51
	s_delay_alu instid0(VALU_DEP_1) | instskip(NEXT) | instid1(VALU_DEP_1)
	v_add_f32_e32 v47, v47, v106
	v_add_f32_e32 v47, v47, v107
	s_delay_alu instid0(VALU_DEP_1) | instskip(SKIP_1) | instid1(VALU_DEP_1)
	v_add_f32_e32 v47, v47, v108
	s_wait_loadcnt 0x0
	v_dual_add_f32 v50, v47, v109 :: v_dual_sub_f32 v47, v98, v48
	s_delay_alu instid0(VALU_DEP_1)
	v_sub_f32_e32 v48, v99, v50
	scratch_store_b64 off, v[47:48], off offset:80
	v_cmpx_lt_u32_e32 9, v0
	s_cbranch_execz .LBB22_133
; %bb.132:
	scratch_load_b64 v[47:48], off, off offset:72
	v_mov_b32_e32 v50, 0
	s_delay_alu instid0(VALU_DEP_1)
	v_mov_b32_e32 v51, v50
	scratch_store_b64 off, v[50:51], off offset:72
	s_wait_loadcnt 0x0
	ds_store_b64 v49, v[47:48]
.LBB22_133:
	s_wait_alu 0xfffe
	s_or_b32 exec_lo, exec_lo, s0
	s_wait_storecnt_dscnt 0x0
	s_barrier_signal -1
	s_barrier_wait -1
	global_inv scope:SCOPE_SE
	s_clause 0x7
	scratch_load_b128 v[50:53], off, off offset:80
	scratch_load_b128 v[54:57], off, off offset:96
	;; [unrolled: 1-line block ×6, first 2 shown]
	scratch_load_b64 v[98:99], off, off offset:176
	scratch_load_b64 v[100:101], off, off offset:72
	v_mov_b32_e32 v47, 0
	ds_load_b128 v[74:77], v47 offset:272
	ds_load_b128 v[78:81], v47 offset:288
	;; [unrolled: 1-line block ×6, first 2 shown]
	ds_load_b64 v[102:103], v47 offset:368
	s_mov_b32 s0, exec_lo
	s_wait_loadcnt_dscnt 0x706
	v_mul_f32_e32 v48, v74, v51
	v_dual_mul_f32 v51, v75, v51 :: v_dual_mul_f32 v104, v76, v53
	s_wait_loadcnt_dscnt 0x302
	v_dual_mul_f32 v105, v78, v55 :: v_dual_mul_f32 v112, v92, v69
	v_mul_f32_e32 v53, v77, v53
	s_wait_loadcnt_dscnt 0x100
	v_dual_mul_f32 v115, v102, v99 :: v_dual_fmac_f32 v48, v75, v50
	v_fma_f32 v51, v74, v50, -v51
	v_mul_f32_e32 v50, v79, v55
	v_fmac_f32_e32 v104, v77, v52
	v_fma_f32 v52, v76, v52, -v53
	v_dual_add_f32 v48, 0, v48 :: v_dual_mul_f32 v53, v81, v57
	v_add_f32_e32 v51, 0, v51
	v_fmac_f32_e32 v105, v79, v54
	v_fma_f32 v50, v78, v54, -v50
	s_delay_alu instid0(VALU_DEP_4)
	v_add_f32_e32 v48, v48, v104
	v_fma_f32 v53, v80, v56, -v53
	v_add_f32_e32 v51, v51, v52
	v_mul_f32_e32 v52, v83, v59
	v_dual_mul_f32 v106, v80, v57 :: v_dual_mul_f32 v107, v82, v59
	v_add_f32_e32 v48, v48, v105
	s_delay_alu instid0(VALU_DEP_4) | instskip(NEXT) | instid1(VALU_DEP_4)
	v_dual_add_f32 v50, v51, v50 :: v_dual_mul_f32 v51, v85, v61
	v_fma_f32 v52, v82, v58, -v52
	v_dual_mul_f32 v110, v88, v65 :: v_dual_mul_f32 v111, v90, v67
	s_delay_alu instid0(VALU_DEP_3) | instskip(NEXT) | instid1(VALU_DEP_4)
	v_dual_add_f32 v50, v50, v53 :: v_dual_mul_f32 v53, v87, v63
	v_fma_f32 v51, v84, v60, -v51
	v_dual_mul_f32 v113, v94, v71 :: v_dual_mul_f32 v114, v96, v73
	s_delay_alu instid0(VALU_DEP_3) | instskip(SKIP_1) | instid1(VALU_DEP_3)
	v_dual_add_f32 v50, v50, v52 :: v_dual_fmac_f32 v111, v91, v66
	v_dual_fmac_f32 v106, v81, v56 :: v_dual_fmac_f32 v107, v83, v58
	v_dual_mul_f32 v52, v89, v65 :: v_dual_fmac_f32 v113, v95, v70
	v_fma_f32 v53, v86, v62, -v53
	s_delay_alu instid0(VALU_DEP_4) | instskip(SKIP_3) | instid1(VALU_DEP_4)
	v_dual_add_f32 v50, v50, v51 :: v_dual_fmac_f32 v115, v103, v98
	v_dual_mul_f32 v108, v84, v61 :: v_dual_mul_f32 v109, v86, v63
	v_dual_add_f32 v48, v48, v106 :: v_dual_mul_f32 v51, v91, v67
	v_fma_f32 v52, v88, v64, -v52
	v_add_f32_e32 v50, v50, v53
	s_delay_alu instid0(VALU_DEP_4) | instskip(NEXT) | instid1(VALU_DEP_4)
	v_dual_fmac_f32 v108, v85, v60 :: v_dual_fmac_f32 v109, v87, v62
	v_dual_add_f32 v48, v48, v107 :: v_dual_mul_f32 v53, v93, v69
	v_fma_f32 v51, v90, v66, -v51
	s_delay_alu instid0(VALU_DEP_4)
	v_add_f32_e32 v50, v50, v52
	v_fmac_f32_e32 v110, v89, v64
	v_mul_f32_e32 v52, v95, v71
	v_fma_f32 v53, v92, v68, -v53
	v_fmac_f32_e32 v112, v93, v68
	v_dual_add_f32 v50, v50, v51 :: v_dual_mul_f32 v51, v97, v73
	v_add_f32_e32 v48, v48, v108
	v_fma_f32 v52, v94, v70, -v52
	v_fmac_f32_e32 v114, v97, v72
	s_delay_alu instid0(VALU_DEP_4) | instskip(NEXT) | instid1(VALU_DEP_4)
	v_dual_add_f32 v50, v50, v53 :: v_dual_mul_f32 v53, v103, v99
	v_add_f32_e32 v48, v48, v109
	v_fma_f32 v51, v96, v72, -v51
	s_delay_alu instid0(VALU_DEP_3) | instskip(NEXT) | instid1(VALU_DEP_4)
	v_add_f32_e32 v50, v50, v52
	v_fma_f32 v52, v102, v98, -v53
	s_delay_alu instid0(VALU_DEP_4) | instskip(NEXT) | instid1(VALU_DEP_3)
	v_add_f32_e32 v48, v48, v110
	v_add_f32_e32 v50, v50, v51
	s_delay_alu instid0(VALU_DEP_2) | instskip(NEXT) | instid1(VALU_DEP_2)
	v_add_f32_e32 v48, v48, v111
	v_add_f32_e32 v50, v50, v52
	s_delay_alu instid0(VALU_DEP_2) | instskip(SKIP_1) | instid1(VALU_DEP_2)
	v_add_f32_e32 v48, v48, v112
	s_wait_loadcnt 0x0
	v_sub_f32_e32 v50, v100, v50
	s_delay_alu instid0(VALU_DEP_2) | instskip(NEXT) | instid1(VALU_DEP_1)
	v_add_f32_e32 v48, v48, v113
	v_add_f32_e32 v48, v48, v114
	s_delay_alu instid0(VALU_DEP_1) | instskip(NEXT) | instid1(VALU_DEP_1)
	v_add_f32_e32 v48, v48, v115
	v_sub_f32_e32 v51, v101, v48
	scratch_store_b64 off, v[50:51], off offset:72
	v_cmpx_lt_u32_e32 8, v0
	s_cbranch_execz .LBB22_135
; %bb.134:
	scratch_load_b64 v[50:51], off, off offset:64
	v_mov_b32_e32 v48, v47
	scratch_store_b64 off, v[47:48], off offset:64
	s_wait_loadcnt 0x0
	ds_store_b64 v49, v[50:51]
.LBB22_135:
	s_wait_alu 0xfffe
	s_or_b32 exec_lo, exec_lo, s0
	s_wait_storecnt_dscnt 0x0
	s_barrier_signal -1
	s_barrier_wait -1
	global_inv scope:SCOPE_SE
	s_clause 0x7
	scratch_load_b128 v[50:53], off, off offset:72
	scratch_load_b128 v[54:57], off, off offset:88
	;; [unrolled: 1-line block ×7, first 2 shown]
	scratch_load_b64 v[106:107], off, off offset:64
	ds_load_2addr_b64 v[78:81], v47 offset0:33 offset1:34
	ds_load_2addr_b64 v[82:85], v47 offset0:35 offset1:36
	;; [unrolled: 1-line block ×7, first 2 shown]
	s_mov_b32 s0, exec_lo
	s_wait_loadcnt_dscnt 0x706
	v_dual_mul_f32 v47, v78, v51 :: v_dual_mul_f32 v48, v80, v53
	v_mul_f32_e32 v51, v79, v51
	s_wait_loadcnt_dscnt 0x605
	v_dual_mul_f32 v53, v81, v53 :: v_dual_mul_f32 v108, v82, v55
	s_delay_alu instid0(VALU_DEP_3) | instskip(NEXT) | instid1(VALU_DEP_3)
	v_dual_mul_f32 v109, v84, v57 :: v_dual_fmac_f32 v48, v81, v52
	v_fma_f32 v51, v78, v50, -v51
	v_fmac_f32_e32 v47, v79, v50
	v_mul_f32_e32 v50, v83, v55
	v_fma_f32 v52, v80, v52, -v53
	v_mul_f32_e32 v53, v85, v57
	v_dual_add_f32 v51, 0, v51 :: v_dual_fmac_f32 v108, v83, v54
	s_delay_alu instid0(VALU_DEP_4) | instskip(SKIP_2) | instid1(VALU_DEP_3)
	v_fma_f32 v50, v82, v54, -v50
	s_wait_loadcnt_dscnt 0x504
	v_dual_mul_f32 v110, v86, v59 :: v_dual_mul_f32 v111, v88, v61
	v_add_f32_e32 v51, v51, v52
	v_fmac_f32_e32 v109, v85, v56
	v_fma_f32 v52, v84, v56, -v53
	s_wait_loadcnt_dscnt 0x403
	v_dual_mul_f32 v112, v90, v63 :: v_dual_mul_f32 v113, v92, v65
	v_dual_add_f32 v50, v51, v50 :: v_dual_mul_f32 v51, v89, v61
	v_fmac_f32_e32 v110, v87, v58
	s_wait_loadcnt_dscnt 0x302
	v_dual_mul_f32 v114, v94, v67 :: v_dual_mul_f32 v115, v96, v69
	s_delay_alu instid0(VALU_DEP_3) | instskip(SKIP_3) | instid1(VALU_DEP_4)
	v_dual_add_f32 v50, v50, v52 :: v_dual_add_f32 v47, 0, v47
	v_mul_f32_e32 v52, v91, v63
	v_fma_f32 v51, v88, v60, -v51
	v_dual_fmac_f32 v111, v89, v60 :: v_dual_fmac_f32 v112, v91, v62
	v_add_f32_e32 v47, v47, v48
	v_mul_f32_e32 v48, v87, v59
	v_fma_f32 v52, v90, v62, -v52
	v_dual_fmac_f32 v113, v93, v64 :: v_dual_fmac_f32 v114, v95, v66
	s_wait_loadcnt_dscnt 0x201
	v_dual_mul_f32 v116, v98, v71 :: v_dual_mul_f32 v117, v100, v73
	v_fma_f32 v48, v86, v58, -v48
	s_wait_loadcnt_dscnt 0x100
	v_dual_mul_f32 v118, v102, v75 :: v_dual_mul_f32 v119, v104, v77
	s_delay_alu instid0(VALU_DEP_3) | instskip(NEXT) | instid1(VALU_DEP_3)
	v_dual_fmac_f32 v115, v97, v68 :: v_dual_fmac_f32 v116, v99, v70
	v_add_f32_e32 v48, v50, v48
	v_mul_f32_e32 v50, v93, v65
	s_delay_alu instid0(VALU_DEP_4) | instskip(NEXT) | instid1(VALU_DEP_3)
	v_dual_fmac_f32 v118, v103, v74 :: v_dual_fmac_f32 v119, v105, v76
	v_dual_fmac_f32 v117, v101, v72 :: v_dual_add_f32 v48, v48, v51
	v_add_f32_e32 v47, v47, v108
	v_mul_f32_e32 v51, v95, v67
	v_fma_f32 v50, v92, v64, -v50
	s_delay_alu instid0(VALU_DEP_4) | instskip(SKIP_3) | instid1(VALU_DEP_4)
	v_add_f32_e32 v48, v48, v52
	v_mul_f32_e32 v52, v97, v69
	v_add_f32_e32 v47, v47, v109
	v_fma_f32 v51, v94, v66, -v51
	v_add_f32_e32 v48, v48, v50
	v_mul_f32_e32 v50, v99, v71
	s_delay_alu instid0(VALU_DEP_4) | instskip(SKIP_1) | instid1(VALU_DEP_4)
	v_add_f32_e32 v47, v47, v110
	v_fma_f32 v52, v96, v68, -v52
	v_dual_add_f32 v48, v48, v51 :: v_dual_mul_f32 v51, v101, v73
	s_delay_alu instid0(VALU_DEP_3) | instskip(SKIP_1) | instid1(VALU_DEP_3)
	v_add_f32_e32 v47, v47, v111
	v_fma_f32 v50, v98, v70, -v50
	v_add_f32_e32 v48, v48, v52
	s_delay_alu instid0(VALU_DEP_4) | instskip(NEXT) | instid1(VALU_DEP_4)
	v_fma_f32 v51, v100, v72, -v51
	v_add_f32_e32 v47, v47, v112
	v_mul_f32_e32 v52, v103, v75
	s_delay_alu instid0(VALU_DEP_4) | instskip(SKIP_1) | instid1(VALU_DEP_4)
	v_add_f32_e32 v48, v48, v50
	v_mul_f32_e32 v50, v105, v77
	v_add_f32_e32 v47, v47, v113
	s_delay_alu instid0(VALU_DEP_4) | instskip(NEXT) | instid1(VALU_DEP_4)
	v_fma_f32 v52, v102, v74, -v52
	v_add_f32_e32 v48, v48, v51
	s_delay_alu instid0(VALU_DEP_4) | instskip(NEXT) | instid1(VALU_DEP_2)
	v_fma_f32 v50, v104, v76, -v50
	v_dual_add_f32 v47, v47, v114 :: v_dual_add_f32 v48, v48, v52
	s_delay_alu instid0(VALU_DEP_1) | instskip(NEXT) | instid1(VALU_DEP_1)
	v_dual_add_f32 v47, v47, v115 :: v_dual_add_f32 v48, v48, v50
	v_add_f32_e32 v47, v47, v116
	s_delay_alu instid0(VALU_DEP_1) | instskip(NEXT) | instid1(VALU_DEP_1)
	v_add_f32_e32 v47, v47, v117
	v_add_f32_e32 v47, v47, v118
	s_wait_loadcnt 0x0
	s_delay_alu instid0(VALU_DEP_1) | instskip(NEXT) | instid1(VALU_DEP_1)
	v_dual_add_f32 v50, v47, v119 :: v_dual_sub_f32 v47, v106, v48
	v_sub_f32_e32 v48, v107, v50
	scratch_store_b64 off, v[47:48], off offset:64
	v_cmpx_lt_u32_e32 7, v0
	s_cbranch_execz .LBB22_137
; %bb.136:
	scratch_load_b64 v[47:48], off, off offset:56
	v_mov_b32_e32 v50, 0
	s_delay_alu instid0(VALU_DEP_1)
	v_mov_b32_e32 v51, v50
	scratch_store_b64 off, v[50:51], off offset:56
	s_wait_loadcnt 0x0
	ds_store_b64 v49, v[47:48]
.LBB22_137:
	s_wait_alu 0xfffe
	s_or_b32 exec_lo, exec_lo, s0
	s_wait_storecnt_dscnt 0x0
	s_barrier_signal -1
	s_barrier_wait -1
	global_inv scope:SCOPE_SE
	s_clause 0x8
	scratch_load_b128 v[50:53], off, off offset:64
	scratch_load_b128 v[54:57], off, off offset:80
	;; [unrolled: 1-line block ×7, first 2 shown]
	scratch_load_b64 v[106:107], off, off offset:176
	scratch_load_b64 v[108:109], off, off offset:56
	v_mov_b32_e32 v47, 0
	ds_load_b128 v[78:81], v47 offset:256
	ds_load_b128 v[82:85], v47 offset:272
	;; [unrolled: 1-line block ×7, first 2 shown]
	ds_load_b64 v[110:111], v47 offset:368
	s_mov_b32 s0, exec_lo
	s_wait_loadcnt_dscnt 0x807
	v_mul_f32_e32 v48, v78, v51
	v_dual_mul_f32 v51, v79, v51 :: v_dual_mul_f32 v112, v80, v53
	s_wait_loadcnt_dscnt 0x706
	v_mul_f32_e32 v113, v82, v55
	v_mul_f32_e32 v53, v81, v53
	s_wait_loadcnt_dscnt 0x302
	v_mul_f32_e32 v122, v100, v73
	v_fma_f32 v51, v78, v50, -v51
	s_wait_loadcnt_dscnt 0x100
	v_dual_mul_f32 v125, v110, v107 :: v_dual_fmac_f32 v48, v79, v50
	v_mul_f32_e32 v50, v83, v55
	s_delay_alu instid0(VALU_DEP_3) | instskip(SKIP_1) | instid1(VALU_DEP_4)
	v_dual_fmac_f32 v112, v81, v52 :: v_dual_add_f32 v51, 0, v51
	v_fma_f32 v52, v80, v52, -v53
	v_dual_add_f32 v48, 0, v48 :: v_dual_mul_f32 v53, v85, v57
	v_fmac_f32_e32 v113, v83, v54
	v_fma_f32 v50, v82, v54, -v50
	v_dual_mul_f32 v114, v84, v57 :: v_dual_mul_f32 v115, v86, v59
	s_delay_alu instid0(VALU_DEP_4)
	v_add_f32_e32 v48, v48, v112
	v_add_f32_e32 v51, v51, v52
	v_mul_f32_e32 v52, v87, v59
	v_fma_f32 v53, v84, v56, -v53
	v_dual_mul_f32 v118, v92, v65 :: v_dual_mul_f32 v119, v94, v67
	v_add_f32_e32 v48, v48, v113
	v_dual_add_f32 v50, v51, v50 :: v_dual_mul_f32 v51, v89, v61
	v_fma_f32 v52, v86, v58, -v52
	v_dual_mul_f32 v120, v96, v69 :: v_dual_mul_f32 v121, v98, v71
	s_delay_alu instid0(VALU_DEP_3) | instskip(NEXT) | instid1(VALU_DEP_4)
	v_dual_add_f32 v50, v50, v53 :: v_dual_mul_f32 v53, v91, v63
	v_fma_f32 v51, v88, v60, -v51
	v_dual_mul_f32 v123, v102, v75 :: v_dual_mul_f32 v124, v104, v77
	s_delay_alu instid0(VALU_DEP_3) | instskip(SKIP_3) | instid1(VALU_DEP_4)
	v_dual_add_f32 v50, v50, v52 :: v_dual_fmac_f32 v119, v95, v66
	v_dual_fmac_f32 v114, v85, v56 :: v_dual_fmac_f32 v115, v87, v58
	v_dual_mul_f32 v52, v93, v65 :: v_dual_fmac_f32 v121, v99, v70
	v_fma_f32 v53, v90, v62, -v53
	v_dual_add_f32 v50, v50, v51 :: v_dual_fmac_f32 v123, v103, v74
	s_delay_alu instid0(VALU_DEP_4) | instskip(NEXT) | instid1(VALU_DEP_4)
	v_dual_add_f32 v48, v48, v114 :: v_dual_mul_f32 v51, v95, v67
	v_fma_f32 v52, v92, v64, -v52
	s_delay_alu instid0(VALU_DEP_3) | instskip(SKIP_3) | instid1(VALU_DEP_4)
	v_dual_add_f32 v50, v50, v53 :: v_dual_fmac_f32 v125, v111, v106
	v_dual_mul_f32 v116, v88, v61 :: v_dual_mul_f32 v117, v90, v63
	v_mul_f32_e32 v53, v97, v69
	v_fma_f32 v51, v94, v66, -v51
	v_add_f32_e32 v50, v50, v52
	s_delay_alu instid0(VALU_DEP_4) | instskip(SKIP_4) | instid1(VALU_DEP_4)
	v_dual_fmac_f32 v116, v89, v60 :: v_dual_fmac_f32 v117, v91, v62
	v_add_f32_e32 v48, v48, v115
	v_mul_f32_e32 v52, v99, v71
	v_fma_f32 v53, v96, v68, -v53
	v_dual_add_f32 v50, v50, v51 :: v_dual_mul_f32 v51, v101, v73
	v_add_f32_e32 v48, v48, v116
	s_delay_alu instid0(VALU_DEP_4) | instskip(SKIP_1) | instid1(VALU_DEP_4)
	v_fma_f32 v52, v98, v70, -v52
	v_fmac_f32_e32 v118, v93, v64
	v_dual_add_f32 v50, v50, v53 :: v_dual_mul_f32 v53, v103, v75
	s_delay_alu instid0(VALU_DEP_4) | instskip(SKIP_2) | instid1(VALU_DEP_4)
	v_add_f32_e32 v48, v48, v117
	v_fma_f32 v51, v100, v72, -v51
	v_fmac_f32_e32 v120, v97, v68
	v_add_f32_e32 v50, v50, v52
	v_fmac_f32_e32 v122, v101, v72
	v_mul_f32_e32 v52, v105, v77
	v_fma_f32 v53, v102, v74, -v53
	v_fmac_f32_e32 v124, v105, v76
	v_add_f32_e32 v50, v50, v51
	v_dual_mul_f32 v51, v111, v107 :: v_dual_add_f32 v48, v48, v118
	v_fma_f32 v52, v104, v76, -v52
	s_delay_alu instid0(VALU_DEP_3) | instskip(NEXT) | instid1(VALU_DEP_3)
	v_add_f32_e32 v50, v50, v53
	v_fma_f32 v51, v110, v106, -v51
	s_delay_alu instid0(VALU_DEP_4) | instskip(NEXT) | instid1(VALU_DEP_3)
	v_add_f32_e32 v48, v48, v119
	v_add_f32_e32 v50, v50, v52
	s_delay_alu instid0(VALU_DEP_2) | instskip(NEXT) | instid1(VALU_DEP_2)
	v_add_f32_e32 v48, v48, v120
	v_add_f32_e32 v50, v50, v51
	s_delay_alu instid0(VALU_DEP_2) | instskip(SKIP_1) | instid1(VALU_DEP_2)
	v_add_f32_e32 v48, v48, v121
	s_wait_loadcnt 0x0
	v_sub_f32_e32 v50, v108, v50
	s_delay_alu instid0(VALU_DEP_2) | instskip(NEXT) | instid1(VALU_DEP_1)
	v_add_f32_e32 v48, v48, v122
	v_add_f32_e32 v48, v48, v123
	s_delay_alu instid0(VALU_DEP_1) | instskip(NEXT) | instid1(VALU_DEP_1)
	v_add_f32_e32 v48, v48, v124
	v_add_f32_e32 v48, v48, v125
	s_delay_alu instid0(VALU_DEP_1)
	v_sub_f32_e32 v51, v109, v48
	scratch_store_b64 off, v[50:51], off offset:56
	v_cmpx_lt_u32_e32 6, v0
	s_cbranch_execz .LBB22_139
; %bb.138:
	scratch_load_b64 v[50:51], off, off offset:48
	v_mov_b32_e32 v48, v47
	scratch_store_b64 off, v[47:48], off offset:48
	s_wait_loadcnt 0x0
	ds_store_b64 v49, v[50:51]
.LBB22_139:
	s_wait_alu 0xfffe
	s_or_b32 exec_lo, exec_lo, s0
	s_wait_storecnt_dscnt 0x0
	s_barrier_signal -1
	s_barrier_wait -1
	global_inv scope:SCOPE_SE
	s_clause 0x8
	scratch_load_b128 v[50:53], off, off offset:56
	scratch_load_b128 v[54:57], off, off offset:72
	;; [unrolled: 1-line block ×8, first 2 shown]
	scratch_load_b64 v[114:115], off, off offset:48
	ds_load_2addr_b64 v[82:85], v47 offset0:31 offset1:32
	ds_load_2addr_b64 v[86:89], v47 offset0:33 offset1:34
	;; [unrolled: 1-line block ×8, first 2 shown]
	s_mov_b32 s0, exec_lo
	s_wait_loadcnt_dscnt 0x807
	v_dual_mul_f32 v47, v82, v51 :: v_dual_mul_f32 v48, v84, v53
	v_mul_f32_e32 v51, v83, v51
	s_wait_loadcnt_dscnt 0x706
	v_dual_mul_f32 v53, v85, v53 :: v_dual_mul_f32 v116, v86, v55
	s_delay_alu instid0(VALU_DEP_3) | instskip(NEXT) | instid1(VALU_DEP_3)
	v_dual_mul_f32 v117, v88, v57 :: v_dual_fmac_f32 v48, v85, v52
	v_fma_f32 v51, v82, v50, -v51
	v_fmac_f32_e32 v47, v83, v50
	v_mul_f32_e32 v50, v87, v55
	v_fma_f32 v52, v84, v52, -v53
	v_mul_f32_e32 v53, v89, v57
	v_dual_add_f32 v51, 0, v51 :: v_dual_fmac_f32 v116, v87, v54
	s_delay_alu instid0(VALU_DEP_4) | instskip(SKIP_2) | instid1(VALU_DEP_3)
	v_fma_f32 v50, v86, v54, -v50
	s_wait_loadcnt_dscnt 0x605
	v_dual_mul_f32 v118, v90, v59 :: v_dual_mul_f32 v119, v92, v61
	v_add_f32_e32 v51, v51, v52
	v_fmac_f32_e32 v117, v89, v56
	v_fma_f32 v52, v88, v56, -v53
	s_wait_loadcnt_dscnt 0x504
	v_dual_mul_f32 v120, v94, v63 :: v_dual_mul_f32 v121, v96, v65
	v_dual_add_f32 v50, v51, v50 :: v_dual_mul_f32 v51, v93, v61
	v_fmac_f32_e32 v118, v91, v58
	s_wait_loadcnt_dscnt 0x403
	v_dual_mul_f32 v122, v98, v67 :: v_dual_mul_f32 v123, v100, v69
	s_delay_alu instid0(VALU_DEP_3) | instskip(SKIP_3) | instid1(VALU_DEP_4)
	v_dual_add_f32 v50, v50, v52 :: v_dual_add_f32 v47, 0, v47
	v_mul_f32_e32 v52, v95, v63
	v_fma_f32 v51, v92, v60, -v51
	v_dual_fmac_f32 v119, v93, v60 :: v_dual_fmac_f32 v120, v95, v62
	v_add_f32_e32 v47, v47, v48
	v_mul_f32_e32 v48, v91, v59
	v_fma_f32 v52, v94, v62, -v52
	v_dual_fmac_f32 v121, v97, v64 :: v_dual_fmac_f32 v122, v99, v66
	s_wait_loadcnt_dscnt 0x302
	v_dual_mul_f32 v124, v102, v71 :: v_dual_mul_f32 v125, v104, v73
	v_fma_f32 v48, v90, v58, -v48
	s_wait_loadcnt_dscnt 0x201
	v_dual_mul_f32 v126, v106, v75 :: v_dual_mul_f32 v127, v108, v77
	s_wait_loadcnt_dscnt 0x100
	v_dual_mul_f32 v128, v110, v79 :: v_dual_mul_f32 v129, v112, v81
	v_add_f32_e32 v48, v50, v48
	v_mul_f32_e32 v50, v97, v65
	v_dual_fmac_f32 v126, v107, v74 :: v_dual_fmac_f32 v127, v109, v76
	s_delay_alu instid0(VALU_DEP_4) | instskip(NEXT) | instid1(VALU_DEP_4)
	v_dual_fmac_f32 v128, v111, v78 :: v_dual_fmac_f32 v129, v113, v80
	v_dual_add_f32 v48, v48, v51 :: v_dual_add_f32 v47, v47, v116
	v_mul_f32_e32 v51, v99, v67
	v_fma_f32 v50, v96, v64, -v50
	v_fmac_f32_e32 v123, v101, v68
	s_delay_alu instid0(VALU_DEP_4)
	v_add_f32_e32 v48, v48, v52
	v_mul_f32_e32 v52, v101, v69
	v_add_f32_e32 v47, v47, v117
	v_fma_f32 v51, v98, v66, -v51
	v_fmac_f32_e32 v124, v103, v70
	v_add_f32_e32 v48, v48, v50
	v_mul_f32_e32 v50, v103, v71
	v_add_f32_e32 v47, v47, v118
	v_fma_f32 v52, v100, v68, -v52
	s_delay_alu instid0(VALU_DEP_4) | instskip(SKIP_1) | instid1(VALU_DEP_4)
	v_dual_fmac_f32 v125, v105, v72 :: v_dual_add_f32 v48, v48, v51
	v_mul_f32_e32 v51, v105, v73
	v_add_f32_e32 v47, v47, v119
	v_fma_f32 v50, v102, v70, -v50
	s_delay_alu instid0(VALU_DEP_4) | instskip(NEXT) | instid1(VALU_DEP_4)
	v_add_f32_e32 v48, v48, v52
	v_fma_f32 v51, v104, v72, -v51
	s_delay_alu instid0(VALU_DEP_4) | instskip(SKIP_1) | instid1(VALU_DEP_4)
	v_add_f32_e32 v47, v47, v120
	v_mul_f32_e32 v52, v107, v75
	v_add_f32_e32 v48, v48, v50
	v_mul_f32_e32 v50, v109, v77
	s_delay_alu instid0(VALU_DEP_4) | instskip(NEXT) | instid1(VALU_DEP_4)
	v_add_f32_e32 v47, v47, v121
	v_fma_f32 v52, v106, v74, -v52
	s_delay_alu instid0(VALU_DEP_4) | instskip(SKIP_1) | instid1(VALU_DEP_4)
	v_add_f32_e32 v48, v48, v51
	v_mul_f32_e32 v51, v111, v79
	v_add_f32_e32 v47, v47, v122
	v_fma_f32 v50, v108, v76, -v50
	s_delay_alu instid0(VALU_DEP_4) | instskip(NEXT) | instid1(VALU_DEP_3)
	v_add_f32_e32 v48, v48, v52
	v_dual_mul_f32 v52, v113, v81 :: v_dual_add_f32 v47, v47, v123
	v_fma_f32 v51, v110, v78, -v51
	s_delay_alu instid0(VALU_DEP_3) | instskip(NEXT) | instid1(VALU_DEP_3)
	v_add_f32_e32 v48, v48, v50
	v_fma_f32 v50, v112, v80, -v52
	s_delay_alu instid0(VALU_DEP_2) | instskip(NEXT) | instid1(VALU_DEP_1)
	v_dual_add_f32 v47, v47, v124 :: v_dual_add_f32 v48, v48, v51
	v_dual_add_f32 v47, v47, v125 :: v_dual_add_f32 v48, v48, v50
	s_delay_alu instid0(VALU_DEP_1) | instskip(NEXT) | instid1(VALU_DEP_1)
	v_add_f32_e32 v47, v47, v126
	v_add_f32_e32 v47, v47, v127
	s_delay_alu instid0(VALU_DEP_1) | instskip(SKIP_1) | instid1(VALU_DEP_1)
	v_add_f32_e32 v47, v47, v128
	s_wait_loadcnt 0x0
	v_dual_add_f32 v50, v47, v129 :: v_dual_sub_f32 v47, v114, v48
	s_delay_alu instid0(VALU_DEP_1)
	v_sub_f32_e32 v48, v115, v50
	scratch_store_b64 off, v[47:48], off offset:48
	v_cmpx_lt_u32_e32 5, v0
	s_cbranch_execz .LBB22_141
; %bb.140:
	scratch_load_b64 v[47:48], off, off offset:40
	v_mov_b32_e32 v50, 0
	s_delay_alu instid0(VALU_DEP_1)
	v_mov_b32_e32 v51, v50
	scratch_store_b64 off, v[50:51], off offset:40
	s_wait_loadcnt 0x0
	ds_store_b64 v49, v[47:48]
.LBB22_141:
	s_wait_alu 0xfffe
	s_or_b32 exec_lo, exec_lo, s0
	s_wait_storecnt_dscnt 0x0
	s_barrier_signal -1
	s_barrier_wait -1
	global_inv scope:SCOPE_SE
	s_clause 0x9
	scratch_load_b128 v[50:53], off, off offset:48
	scratch_load_b128 v[54:57], off, off offset:64
	;; [unrolled: 1-line block ×8, first 2 shown]
	scratch_load_b64 v[114:115], off, off offset:176
	scratch_load_b64 v[116:117], off, off offset:40
	v_mov_b32_e32 v47, 0
	ds_load_b128 v[82:85], v47 offset:240
	ds_load_b128 v[86:89], v47 offset:256
	;; [unrolled: 1-line block ×8, first 2 shown]
	ds_load_b64 v[118:119], v47 offset:368
	s_mov_b32 s0, exec_lo
	s_wait_loadcnt_dscnt 0x908
	v_mul_f32_e32 v48, v82, v51
	s_wait_loadcnt_dscnt 0x807
	v_dual_mul_f32 v120, v84, v53 :: v_dual_mul_f32 v121, v86, v55
	v_mul_f32_e32 v51, v83, v51
	s_delay_alu instid0(VALU_DEP_3)
	v_dual_mul_f32 v53, v85, v53 :: v_dual_fmac_f32 v48, v83, v50
	s_wait_loadcnt_dscnt 0x302
	v_mul_f32_e32 v132, v108, v77
	v_dual_mul_f32 v122, v88, v57 :: v_dual_mul_f32 v123, v90, v59
	s_wait_loadcnt_dscnt 0x100
	v_mul_f32_e32 v135, v118, v115
	v_fma_f32 v51, v82, v50, -v51
	v_mul_f32_e32 v50, v87, v55
	v_fmac_f32_e32 v120, v85, v52
	v_fma_f32 v52, v84, v52, -v53
	v_dual_add_f32 v48, 0, v48 :: v_dual_mul_f32 v53, v89, v57
	v_add_f32_e32 v51, 0, v51
	v_fmac_f32_e32 v121, v87, v54
	v_fma_f32 v50, v86, v54, -v50
	s_delay_alu instid0(VALU_DEP_4)
	v_add_f32_e32 v48, v48, v120
	v_fma_f32 v53, v88, v56, -v53
	v_add_f32_e32 v51, v51, v52
	v_mul_f32_e32 v52, v91, v59
	v_dual_mul_f32 v126, v96, v65 :: v_dual_mul_f32 v127, v98, v67
	v_add_f32_e32 v48, v48, v121
	s_delay_alu instid0(VALU_DEP_4) | instskip(NEXT) | instid1(VALU_DEP_4)
	v_dual_add_f32 v50, v51, v50 :: v_dual_mul_f32 v51, v93, v61
	v_fma_f32 v52, v90, v58, -v52
	v_dual_mul_f32 v128, v100, v69 :: v_dual_mul_f32 v129, v102, v71
	s_delay_alu instid0(VALU_DEP_3) | instskip(NEXT) | instid1(VALU_DEP_4)
	v_dual_add_f32 v50, v50, v53 :: v_dual_mul_f32 v53, v95, v63
	v_fma_f32 v51, v92, v60, -v51
	v_dual_mul_f32 v130, v104, v73 :: v_dual_mul_f32 v131, v106, v75
	s_delay_alu instid0(VALU_DEP_3) | instskip(SKIP_3) | instid1(VALU_DEP_4)
	v_dual_add_f32 v50, v50, v52 :: v_dual_fmac_f32 v127, v99, v66
	v_dual_fmac_f32 v122, v89, v56 :: v_dual_fmac_f32 v123, v91, v58
	v_dual_mul_f32 v52, v97, v65 :: v_dual_fmac_f32 v129, v103, v70
	v_fma_f32 v53, v94, v62, -v53
	v_dual_add_f32 v50, v50, v51 :: v_dual_fmac_f32 v131, v107, v74
	v_dual_mul_f32 v133, v110, v79 :: v_dual_mul_f32 v134, v112, v81
	v_dual_add_f32 v48, v48, v122 :: v_dual_mul_f32 v51, v99, v67
	v_fma_f32 v52, v96, v64, -v52
	s_delay_alu instid0(VALU_DEP_3) | instskip(SKIP_3) | instid1(VALU_DEP_4)
	v_dual_add_f32 v50, v50, v53 :: v_dual_fmac_f32 v133, v111, v78
	v_dual_mul_f32 v124, v92, v61 :: v_dual_mul_f32 v125, v94, v63
	v_mul_f32_e32 v53, v101, v69
	v_fma_f32 v51, v98, v66, -v51
	v_add_f32_e32 v50, v50, v52
	s_delay_alu instid0(VALU_DEP_4) | instskip(SKIP_4) | instid1(VALU_DEP_4)
	v_dual_fmac_f32 v124, v93, v60 :: v_dual_fmac_f32 v125, v95, v62
	v_add_f32_e32 v48, v48, v123
	v_mul_f32_e32 v52, v103, v71
	v_fma_f32 v53, v100, v68, -v53
	v_dual_add_f32 v50, v50, v51 :: v_dual_mul_f32 v51, v105, v73
	v_add_f32_e32 v48, v48, v124
	s_delay_alu instid0(VALU_DEP_4) | instskip(SKIP_1) | instid1(VALU_DEP_4)
	v_fma_f32 v52, v102, v70, -v52
	v_fmac_f32_e32 v126, v97, v64
	v_dual_add_f32 v50, v50, v53 :: v_dual_mul_f32 v53, v107, v75
	s_delay_alu instid0(VALU_DEP_4) | instskip(SKIP_1) | instid1(VALU_DEP_3)
	v_dual_add_f32 v48, v48, v125 :: v_dual_fmac_f32 v135, v119, v114
	v_fma_f32 v51, v104, v72, -v51
	v_add_f32_e32 v50, v50, v52
	v_fmac_f32_e32 v128, v101, v68
	v_fmac_f32_e32 v130, v105, v72
	v_mul_f32_e32 v52, v109, v77
	v_fma_f32 v53, v106, v74, -v53
	v_add_f32_e32 v50, v50, v51
	v_dual_mul_f32 v51, v111, v79 :: v_dual_add_f32 v48, v48, v126
	v_fmac_f32_e32 v132, v109, v76
	v_fma_f32 v52, v108, v76, -v52
	s_delay_alu instid0(VALU_DEP_4) | instskip(NEXT) | instid1(VALU_DEP_4)
	v_add_f32_e32 v50, v50, v53
	v_dual_mul_f32 v53, v113, v81 :: v_dual_add_f32 v48, v48, v127
	v_fma_f32 v51, v110, v78, -v51
	v_fmac_f32_e32 v134, v113, v80
	s_delay_alu instid0(VALU_DEP_4) | instskip(SKIP_3) | instid1(VALU_DEP_4)
	v_add_f32_e32 v50, v50, v52
	v_mul_f32_e32 v52, v119, v115
	v_add_f32_e32 v48, v48, v128
	v_fma_f32 v53, v112, v80, -v53
	v_add_f32_e32 v50, v50, v51
	s_delay_alu instid0(VALU_DEP_4) | instskip(NEXT) | instid1(VALU_DEP_4)
	v_fma_f32 v51, v118, v114, -v52
	v_add_f32_e32 v48, v48, v129
	s_delay_alu instid0(VALU_DEP_3) | instskip(NEXT) | instid1(VALU_DEP_2)
	v_add_f32_e32 v50, v50, v53
	v_add_f32_e32 v48, v48, v130
	s_delay_alu instid0(VALU_DEP_2) | instskip(NEXT) | instid1(VALU_DEP_2)
	v_add_f32_e32 v50, v50, v51
	v_add_f32_e32 v48, v48, v131
	s_wait_loadcnt 0x0
	s_delay_alu instid0(VALU_DEP_2) | instskip(NEXT) | instid1(VALU_DEP_2)
	v_sub_f32_e32 v50, v116, v50
	v_add_f32_e32 v48, v48, v132
	s_delay_alu instid0(VALU_DEP_1) | instskip(NEXT) | instid1(VALU_DEP_1)
	v_add_f32_e32 v48, v48, v133
	v_add_f32_e32 v48, v48, v134
	s_delay_alu instid0(VALU_DEP_1) | instskip(NEXT) | instid1(VALU_DEP_1)
	v_add_f32_e32 v48, v48, v135
	v_sub_f32_e32 v51, v117, v48
	scratch_store_b64 off, v[50:51], off offset:40
	v_cmpx_lt_u32_e32 4, v0
	s_cbranch_execz .LBB22_143
; %bb.142:
	scratch_load_b64 v[50:51], off, off offset:32
	v_mov_b32_e32 v48, v47
	scratch_store_b64 off, v[47:48], off offset:32
	s_wait_loadcnt 0x0
	ds_store_b64 v49, v[50:51]
.LBB22_143:
	s_wait_alu 0xfffe
	s_or_b32 exec_lo, exec_lo, s0
	s_wait_storecnt_dscnt 0x0
	s_barrier_signal -1
	s_barrier_wait -1
	global_inv scope:SCOPE_SE
	s_clause 0x9
	scratch_load_b128 v[50:53], off, off offset:40
	scratch_load_b128 v[54:57], off, off offset:56
	;; [unrolled: 1-line block ×9, first 2 shown]
	scratch_load_b64 v[122:123], off, off offset:32
	ds_load_2addr_b64 v[86:89], v47 offset0:29 offset1:30
	ds_load_2addr_b64 v[90:93], v47 offset0:31 offset1:32
	;; [unrolled: 1-line block ×9, first 2 shown]
	s_mov_b32 s0, exec_lo
	s_wait_loadcnt_dscnt 0x908
	v_dual_mul_f32 v47, v86, v51 :: v_dual_mul_f32 v48, v88, v53
	v_mul_f32_e32 v51, v87, v51
	s_wait_loadcnt_dscnt 0x807
	v_dual_mul_f32 v53, v89, v53 :: v_dual_mul_f32 v124, v90, v55
	s_delay_alu instid0(VALU_DEP_3) | instskip(NEXT) | instid1(VALU_DEP_3)
	v_dual_mul_f32 v125, v92, v57 :: v_dual_fmac_f32 v48, v89, v52
	v_fma_f32 v51, v86, v50, -v51
	v_fmac_f32_e32 v47, v87, v50
	v_mul_f32_e32 v50, v91, v55
	v_fma_f32 v52, v88, v52, -v53
	v_mul_f32_e32 v53, v93, v57
	v_dual_add_f32 v51, 0, v51 :: v_dual_fmac_f32 v124, v91, v54
	s_delay_alu instid0(VALU_DEP_4) | instskip(SKIP_2) | instid1(VALU_DEP_3)
	v_fma_f32 v50, v90, v54, -v50
	s_wait_loadcnt_dscnt 0x706
	v_dual_mul_f32 v126, v94, v59 :: v_dual_mul_f32 v127, v96, v61
	v_add_f32_e32 v51, v51, v52
	v_fmac_f32_e32 v125, v93, v56
	v_fma_f32 v52, v92, v56, -v53
	s_wait_loadcnt_dscnt 0x605
	v_dual_mul_f32 v128, v98, v63 :: v_dual_mul_f32 v129, v100, v65
	v_dual_add_f32 v50, v51, v50 :: v_dual_mul_f32 v51, v97, v61
	v_fmac_f32_e32 v126, v95, v58
	s_wait_loadcnt_dscnt 0x504
	v_dual_mul_f32 v130, v102, v67 :: v_dual_mul_f32 v131, v104, v69
	s_delay_alu instid0(VALU_DEP_3) | instskip(SKIP_3) | instid1(VALU_DEP_4)
	v_dual_add_f32 v50, v50, v52 :: v_dual_add_f32 v47, 0, v47
	v_mul_f32_e32 v52, v99, v63
	v_fma_f32 v51, v96, v60, -v51
	v_dual_fmac_f32 v127, v97, v60 :: v_dual_fmac_f32 v128, v99, v62
	v_add_f32_e32 v47, v47, v48
	v_mul_f32_e32 v48, v95, v59
	v_fma_f32 v52, v98, v62, -v52
	v_dual_fmac_f32 v129, v101, v64 :: v_dual_fmac_f32 v130, v103, v66
	s_wait_loadcnt_dscnt 0x403
	v_dual_mul_f32 v132, v106, v71 :: v_dual_mul_f32 v133, v108, v73
	v_fma_f32 v48, v94, v58, -v48
	s_wait_loadcnt_dscnt 0x302
	v_dual_mul_f32 v134, v110, v75 :: v_dual_mul_f32 v135, v112, v77
	s_wait_loadcnt_dscnt 0x201
	v_dual_mul_f32 v136, v114, v79 :: v_dual_mul_f32 v137, v116, v81
	v_add_f32_e32 v48, v50, v48
	v_mul_f32_e32 v50, v101, v65
	v_dual_fmac_f32 v134, v111, v74 :: v_dual_fmac_f32 v135, v113, v76
	s_delay_alu instid0(VALU_DEP_4) | instskip(NEXT) | instid1(VALU_DEP_4)
	v_dual_fmac_f32 v136, v115, v78 :: v_dual_fmac_f32 v137, v117, v80
	v_dual_add_f32 v48, v48, v51 :: v_dual_add_f32 v47, v47, v124
	v_mul_f32_e32 v51, v103, v67
	v_fma_f32 v50, v100, v64, -v50
	v_fmac_f32_e32 v131, v105, v68
	s_delay_alu instid0(VALU_DEP_4)
	v_add_f32_e32 v48, v48, v52
	v_mul_f32_e32 v52, v105, v69
	v_add_f32_e32 v47, v47, v125
	v_fma_f32 v51, v102, v66, -v51
	v_fmac_f32_e32 v132, v107, v70
	v_add_f32_e32 v48, v48, v50
	v_mul_f32_e32 v50, v107, v71
	v_add_f32_e32 v47, v47, v126
	v_fma_f32 v52, v104, v68, -v52
	s_delay_alu instid0(VALU_DEP_4) | instskip(SKIP_1) | instid1(VALU_DEP_4)
	v_dual_fmac_f32 v133, v109, v72 :: v_dual_add_f32 v48, v48, v51
	v_mul_f32_e32 v51, v109, v73
	v_add_f32_e32 v47, v47, v127
	v_fma_f32 v50, v106, v70, -v50
	s_wait_loadcnt_dscnt 0x100
	v_dual_mul_f32 v138, v118, v83 :: v_dual_mul_f32 v139, v120, v85
	v_add_f32_e32 v48, v48, v52
	v_add_f32_e32 v47, v47, v128
	v_fma_f32 v51, v108, v72, -v51
	v_mul_f32_e32 v52, v111, v75
	v_dual_fmac_f32 v138, v119, v82 :: v_dual_fmac_f32 v139, v121, v84
	s_delay_alu instid0(VALU_DEP_4) | instskip(SKIP_1) | instid1(VALU_DEP_4)
	v_dual_add_f32 v48, v48, v50 :: v_dual_add_f32 v47, v47, v129
	v_mul_f32_e32 v50, v113, v77
	v_fma_f32 v52, v110, v74, -v52
	s_delay_alu instid0(VALU_DEP_3) | instskip(SKIP_1) | instid1(VALU_DEP_4)
	v_dual_add_f32 v48, v48, v51 :: v_dual_add_f32 v47, v47, v130
	v_mul_f32_e32 v51, v115, v79
	v_fma_f32 v50, v112, v76, -v50
	s_delay_alu instid0(VALU_DEP_3) | instskip(SKIP_1) | instid1(VALU_DEP_4)
	;; [unrolled: 4-line block ×4, first 2 shown]
	v_dual_add_f32 v48, v48, v51 :: v_dual_add_f32 v47, v47, v133
	v_mul_f32_e32 v51, v121, v85
	v_fma_f32 v50, v118, v82, -v50
	s_delay_alu instid0(VALU_DEP_3) | instskip(NEXT) | instid1(VALU_DEP_3)
	v_dual_add_f32 v48, v48, v52 :: v_dual_add_f32 v47, v47, v134
	v_fma_f32 v51, v120, v84, -v51
	s_delay_alu instid0(VALU_DEP_2) | instskip(NEXT) | instid1(VALU_DEP_1)
	v_dual_add_f32 v48, v48, v50 :: v_dual_add_f32 v47, v47, v135
	v_dual_add_f32 v48, v48, v51 :: v_dual_add_f32 v47, v47, v136
	s_delay_alu instid0(VALU_DEP_1) | instskip(NEXT) | instid1(VALU_DEP_1)
	v_add_f32_e32 v47, v47, v137
	v_add_f32_e32 v47, v47, v138
	s_wait_loadcnt 0x0
	s_delay_alu instid0(VALU_DEP_1) | instskip(NEXT) | instid1(VALU_DEP_1)
	v_dual_add_f32 v50, v47, v139 :: v_dual_sub_f32 v47, v122, v48
	v_sub_f32_e32 v48, v123, v50
	scratch_store_b64 off, v[47:48], off offset:32
	v_cmpx_lt_u32_e32 3, v0
	s_cbranch_execz .LBB22_145
; %bb.144:
	scratch_load_b64 v[47:48], off, off offset:24
	v_mov_b32_e32 v50, 0
	s_delay_alu instid0(VALU_DEP_1)
	v_mov_b32_e32 v51, v50
	scratch_store_b64 off, v[50:51], off offset:24
	s_wait_loadcnt 0x0
	ds_store_b64 v49, v[47:48]
.LBB22_145:
	s_wait_alu 0xfffe
	s_or_b32 exec_lo, exec_lo, s0
	s_wait_storecnt_dscnt 0x0
	s_barrier_signal -1
	s_barrier_wait -1
	global_inv scope:SCOPE_SE
	s_clause 0xa
	scratch_load_b128 v[50:53], off, off offset:32
	scratch_load_b128 v[54:57], off, off offset:48
	;; [unrolled: 1-line block ×9, first 2 shown]
	scratch_load_b64 v[122:123], off, off offset:176
	scratch_load_b64 v[124:125], off, off offset:24
	v_mov_b32_e32 v47, 0
	ds_load_b128 v[86:89], v47 offset:224
	ds_load_b128 v[90:93], v47 offset:240
	;; [unrolled: 1-line block ×9, first 2 shown]
	ds_load_b64 v[126:127], v47 offset:368
	s_mov_b32 s0, exec_lo
	s_wait_loadcnt_dscnt 0xa09
	v_mul_f32_e32 v48, v86, v51
	s_wait_loadcnt_dscnt 0x908
	v_dual_mul_f32 v128, v88, v53 :: v_dual_mul_f32 v129, v90, v55
	v_mul_f32_e32 v51, v87, v51
	s_delay_alu instid0(VALU_DEP_3)
	v_dual_mul_f32 v53, v89, v53 :: v_dual_fmac_f32 v48, v87, v50
	s_wait_loadcnt_dscnt 0x807
	v_dual_mul_f32 v130, v92, v57 :: v_dual_mul_f32 v131, v94, v59
	s_wait_loadcnt_dscnt 0x100
	v_dual_mul_f32 v142, v116, v81 :: v_dual_mul_f32 v145, v126, v123
	v_fma_f32 v51, v86, v50, -v51
	v_mul_f32_e32 v50, v91, v55
	v_fmac_f32_e32 v128, v89, v52
	v_fma_f32 v52, v88, v52, -v53
	v_dual_add_f32 v48, 0, v48 :: v_dual_mul_f32 v53, v93, v57
	v_add_f32_e32 v51, 0, v51
	v_fmac_f32_e32 v129, v91, v54
	v_fma_f32 v50, v90, v54, -v50
	s_delay_alu instid0(VALU_DEP_4)
	v_add_f32_e32 v48, v48, v128
	v_fma_f32 v53, v92, v56, -v53
	v_add_f32_e32 v51, v51, v52
	v_mul_f32_e32 v52, v95, v59
	v_dual_mul_f32 v134, v100, v65 :: v_dual_mul_f32 v135, v102, v67
	v_add_f32_e32 v48, v48, v129
	s_delay_alu instid0(VALU_DEP_4) | instskip(NEXT) | instid1(VALU_DEP_4)
	v_dual_add_f32 v50, v51, v50 :: v_dual_mul_f32 v51, v97, v61
	v_fma_f32 v52, v94, v58, -v52
	v_dual_mul_f32 v136, v104, v69 :: v_dual_mul_f32 v137, v106, v71
	s_delay_alu instid0(VALU_DEP_3) | instskip(NEXT) | instid1(VALU_DEP_4)
	v_dual_add_f32 v50, v50, v53 :: v_dual_mul_f32 v53, v99, v63
	v_fma_f32 v51, v96, v60, -v51
	v_dual_mul_f32 v138, v108, v73 :: v_dual_mul_f32 v139, v110, v75
	s_delay_alu instid0(VALU_DEP_3) | instskip(SKIP_3) | instid1(VALU_DEP_4)
	v_dual_add_f32 v50, v50, v52 :: v_dual_fmac_f32 v135, v103, v66
	v_dual_fmac_f32 v130, v93, v56 :: v_dual_fmac_f32 v131, v95, v58
	v_dual_mul_f32 v52, v101, v65 :: v_dual_fmac_f32 v137, v107, v70
	v_fma_f32 v53, v98, v62, -v53
	v_dual_add_f32 v50, v50, v51 :: v_dual_fmac_f32 v139, v111, v74
	v_dual_mul_f32 v140, v112, v77 :: v_dual_mul_f32 v141, v114, v79
	v_dual_add_f32 v48, v48, v130 :: v_dual_mul_f32 v51, v103, v67
	v_fma_f32 v52, v100, v64, -v52
	s_delay_alu instid0(VALU_DEP_3) | instskip(SKIP_1) | instid1(VALU_DEP_4)
	v_dual_add_f32 v50, v50, v53 :: v_dual_fmac_f32 v141, v115, v78
	v_mul_f32_e32 v53, v105, v69
	v_fma_f32 v51, v102, v66, -v51
	v_dual_mul_f32 v132, v96, v61 :: v_dual_mul_f32 v133, v98, v63
	s_delay_alu instid0(VALU_DEP_4) | instskip(SKIP_2) | instid1(VALU_DEP_4)
	v_add_f32_e32 v50, v50, v52
	v_mul_f32_e32 v52, v107, v71
	v_fma_f32 v53, v104, v68, -v53
	v_dual_fmac_f32 v132, v97, v60 :: v_dual_fmac_f32 v133, v99, v62
	s_delay_alu instid0(VALU_DEP_4) | instskip(SKIP_2) | instid1(VALU_DEP_3)
	v_dual_add_f32 v50, v50, v51 :: v_dual_fmac_f32 v145, v127, v122
	v_dual_add_f32 v48, v48, v131 :: v_dual_mul_f32 v51, v109, v73
	v_fma_f32 v52, v106, v70, -v52
	v_dual_add_f32 v50, v50, v53 :: v_dual_mul_f32 v53, v111, v75
	s_delay_alu instid0(VALU_DEP_3) | instskip(NEXT) | instid1(VALU_DEP_4)
	v_add_f32_e32 v48, v48, v132
	v_fma_f32 v51, v108, v72, -v51
	v_dual_mul_f32 v143, v118, v83 :: v_dual_mul_f32 v144, v120, v85
	s_delay_alu instid0(VALU_DEP_4)
	v_add_f32_e32 v50, v50, v52
	v_mul_f32_e32 v52, v113, v77
	v_fma_f32 v53, v110, v74, -v53
	v_fmac_f32_e32 v134, v101, v64
	v_dual_add_f32 v48, v48, v133 :: v_dual_fmac_f32 v143, v119, v82
	v_add_f32_e32 v50, v50, v51
	v_mul_f32_e32 v51, v115, v79
	v_fma_f32 v52, v112, v76, -v52
	s_delay_alu instid0(VALU_DEP_4)
	v_add_f32_e32 v48, v48, v134
	v_fmac_f32_e32 v136, v105, v68
	v_add_f32_e32 v50, v50, v53
	v_mul_f32_e32 v53, v117, v81
	v_fma_f32 v51, v114, v78, -v51
	v_fmac_f32_e32 v138, v109, v72
	v_fmac_f32_e32 v140, v113, v76
	v_add_f32_e32 v50, v50, v52
	v_fma_f32 v53, v116, v80, -v53
	v_mul_f32_e32 v52, v119, v83
	v_fmac_f32_e32 v142, v117, v80
	v_fmac_f32_e32 v144, v121, v84
	v_dual_add_f32 v50, v50, v51 :: v_dual_mul_f32 v51, v121, v85
	v_add_f32_e32 v48, v48, v135
	v_fma_f32 v52, v118, v82, -v52
	s_delay_alu instid0(VALU_DEP_3) | instskip(NEXT) | instid1(VALU_DEP_3)
	v_dual_add_f32 v50, v50, v53 :: v_dual_mul_f32 v53, v127, v123
	v_add_f32_e32 v48, v48, v136
	v_fma_f32 v51, v120, v84, -v51
	s_delay_alu instid0(VALU_DEP_3) | instskip(NEXT) | instid1(VALU_DEP_4)
	v_add_f32_e32 v50, v50, v52
	v_fma_f32 v52, v126, v122, -v53
	s_delay_alu instid0(VALU_DEP_4) | instskip(NEXT) | instid1(VALU_DEP_3)
	v_add_f32_e32 v48, v48, v137
	v_add_f32_e32 v50, v50, v51
	s_delay_alu instid0(VALU_DEP_2) | instskip(NEXT) | instid1(VALU_DEP_2)
	v_add_f32_e32 v48, v48, v138
	v_add_f32_e32 v50, v50, v52
	s_delay_alu instid0(VALU_DEP_2) | instskip(SKIP_1) | instid1(VALU_DEP_2)
	v_add_f32_e32 v48, v48, v139
	s_wait_loadcnt 0x0
	v_sub_f32_e32 v50, v124, v50
	s_delay_alu instid0(VALU_DEP_2) | instskip(NEXT) | instid1(VALU_DEP_1)
	v_add_f32_e32 v48, v48, v140
	v_add_f32_e32 v48, v48, v141
	s_delay_alu instid0(VALU_DEP_1) | instskip(NEXT) | instid1(VALU_DEP_1)
	v_add_f32_e32 v48, v48, v142
	v_add_f32_e32 v48, v48, v143
	s_delay_alu instid0(VALU_DEP_1) | instskip(NEXT) | instid1(VALU_DEP_1)
	v_add_f32_e32 v48, v48, v144
	v_add_f32_e32 v48, v48, v145
	s_delay_alu instid0(VALU_DEP_1)
	v_sub_f32_e32 v51, v125, v48
	scratch_store_b64 off, v[50:51], off offset:24
	v_cmpx_lt_u32_e32 2, v0
	s_cbranch_execz .LBB22_147
; %bb.146:
	scratch_load_b64 v[50:51], off, off offset:16
	v_mov_b32_e32 v48, v47
	scratch_store_b64 off, v[47:48], off offset:16
	s_wait_loadcnt 0x0
	ds_store_b64 v49, v[50:51]
.LBB22_147:
	s_wait_alu 0xfffe
	s_or_b32 exec_lo, exec_lo, s0
	s_wait_storecnt_dscnt 0x0
	s_barrier_signal -1
	s_barrier_wait -1
	global_inv scope:SCOPE_SE
	s_clause 0xa
	scratch_load_b128 v[50:53], off, off offset:24
	scratch_load_b128 v[54:57], off, off offset:40
	;; [unrolled: 1-line block ×10, first 2 shown]
	scratch_load_b64 v[130:131], off, off offset:16
	ds_load_2addr_b64 v[90:93], v47 offset0:27 offset1:28
	ds_load_2addr_b64 v[94:97], v47 offset0:29 offset1:30
	;; [unrolled: 1-line block ×10, first 2 shown]
	s_mov_b32 s0, exec_lo
	s_wait_loadcnt_dscnt 0xa09
	v_dual_mul_f32 v47, v90, v51 :: v_dual_mul_f32 v48, v92, v53
	v_mul_f32_e32 v51, v91, v51
	s_wait_loadcnt_dscnt 0x908
	v_dual_mul_f32 v53, v93, v53 :: v_dual_mul_f32 v132, v94, v55
	s_delay_alu instid0(VALU_DEP_3) | instskip(NEXT) | instid1(VALU_DEP_3)
	v_dual_mul_f32 v133, v96, v57 :: v_dual_fmac_f32 v48, v93, v52
	v_fma_f32 v51, v90, v50, -v51
	v_fmac_f32_e32 v47, v91, v50
	v_mul_f32_e32 v50, v95, v55
	v_fma_f32 v52, v92, v52, -v53
	v_mul_f32_e32 v53, v97, v57
	v_dual_add_f32 v51, 0, v51 :: v_dual_fmac_f32 v132, v95, v54
	s_delay_alu instid0(VALU_DEP_4) | instskip(SKIP_2) | instid1(VALU_DEP_3)
	v_fma_f32 v50, v94, v54, -v50
	s_wait_loadcnt_dscnt 0x807
	v_dual_mul_f32 v134, v98, v59 :: v_dual_mul_f32 v135, v100, v61
	v_add_f32_e32 v51, v51, v52
	v_fmac_f32_e32 v133, v97, v56
	v_fma_f32 v52, v96, v56, -v53
	s_wait_loadcnt_dscnt 0x706
	v_dual_mul_f32 v136, v102, v63 :: v_dual_mul_f32 v137, v104, v65
	v_dual_add_f32 v50, v51, v50 :: v_dual_mul_f32 v51, v101, v61
	v_fmac_f32_e32 v134, v99, v58
	s_wait_loadcnt_dscnt 0x605
	v_dual_mul_f32 v138, v106, v67 :: v_dual_mul_f32 v139, v108, v69
	s_delay_alu instid0(VALU_DEP_3) | instskip(SKIP_3) | instid1(VALU_DEP_4)
	v_dual_add_f32 v50, v50, v52 :: v_dual_add_f32 v47, 0, v47
	v_mul_f32_e32 v52, v103, v63
	v_fma_f32 v51, v100, v60, -v51
	v_dual_fmac_f32 v135, v101, v60 :: v_dual_fmac_f32 v136, v103, v62
	v_add_f32_e32 v47, v47, v48
	v_mul_f32_e32 v48, v99, v59
	v_fma_f32 v52, v102, v62, -v52
	v_dual_fmac_f32 v137, v105, v64 :: v_dual_fmac_f32 v138, v107, v66
	s_wait_loadcnt_dscnt 0x504
	v_dual_mul_f32 v140, v110, v71 :: v_dual_mul_f32 v141, v112, v73
	v_fma_f32 v48, v98, v58, -v48
	s_wait_loadcnt_dscnt 0x403
	v_dual_mul_f32 v142, v114, v75 :: v_dual_mul_f32 v143, v116, v77
	s_wait_loadcnt_dscnt 0x302
	v_dual_mul_f32 v144, v118, v79 :: v_dual_mul_f32 v145, v120, v81
	v_add_f32_e32 v48, v50, v48
	v_mul_f32_e32 v50, v105, v65
	v_dual_fmac_f32 v142, v115, v74 :: v_dual_fmac_f32 v143, v117, v76
	s_delay_alu instid0(VALU_DEP_4) | instskip(NEXT) | instid1(VALU_DEP_4)
	v_dual_fmac_f32 v144, v119, v78 :: v_dual_fmac_f32 v145, v121, v80
	v_dual_add_f32 v48, v48, v51 :: v_dual_add_f32 v47, v47, v132
	v_mul_f32_e32 v51, v107, v67
	v_fma_f32 v50, v104, v64, -v50
	v_fmac_f32_e32 v139, v109, v68
	s_delay_alu instid0(VALU_DEP_4)
	v_add_f32_e32 v48, v48, v52
	v_mul_f32_e32 v52, v109, v69
	v_add_f32_e32 v47, v47, v133
	v_fma_f32 v51, v106, v66, -v51
	v_fmac_f32_e32 v140, v111, v70
	v_add_f32_e32 v48, v48, v50
	v_mul_f32_e32 v50, v111, v71
	v_add_f32_e32 v47, v47, v134
	v_fma_f32 v52, v108, v68, -v52
	s_delay_alu instid0(VALU_DEP_4) | instskip(SKIP_1) | instid1(VALU_DEP_4)
	v_dual_fmac_f32 v141, v113, v72 :: v_dual_add_f32 v48, v48, v51
	v_mul_f32_e32 v51, v113, v73
	v_add_f32_e32 v47, v47, v135
	v_fma_f32 v50, v110, v70, -v50
	s_wait_loadcnt_dscnt 0x201
	v_dual_mul_f32 v146, v122, v83 :: v_dual_mul_f32 v147, v124, v85
	v_add_f32_e32 v48, v48, v52
	v_add_f32_e32 v47, v47, v136
	v_fma_f32 v51, v112, v72, -v51
	v_mul_f32_e32 v52, v115, v75
	s_wait_loadcnt_dscnt 0x100
	v_dual_mul_f32 v148, v126, v87 :: v_dual_mul_f32 v149, v128, v89
	v_dual_add_f32 v48, v48, v50 :: v_dual_add_f32 v47, v47, v137
	v_mul_f32_e32 v50, v117, v77
	v_fma_f32 v52, v114, v74, -v52
	v_dual_fmac_f32 v146, v123, v82 :: v_dual_fmac_f32 v147, v125, v84
	s_delay_alu instid0(VALU_DEP_4) | instskip(SKIP_3) | instid1(VALU_DEP_4)
	v_dual_add_f32 v48, v48, v51 :: v_dual_add_f32 v47, v47, v138
	v_mul_f32_e32 v51, v119, v79
	v_fma_f32 v50, v116, v76, -v50
	v_fmac_f32_e32 v149, v129, v88
	v_dual_add_f32 v48, v48, v52 :: v_dual_add_f32 v47, v47, v139
	v_mul_f32_e32 v52, v121, v81
	v_fma_f32 v51, v118, v78, -v51
	s_delay_alu instid0(VALU_DEP_3) | instskip(SKIP_1) | instid1(VALU_DEP_4)
	v_dual_add_f32 v48, v48, v50 :: v_dual_add_f32 v47, v47, v140
	v_mul_f32_e32 v50, v123, v83
	v_fma_f32 v52, v120, v80, -v52
	s_delay_alu instid0(VALU_DEP_3) | instskip(SKIP_1) | instid1(VALU_DEP_4)
	;; [unrolled: 4-line block ×4, first 2 shown]
	v_dual_add_f32 v48, v48, v50 :: v_dual_add_f32 v47, v47, v143
	v_mul_f32_e32 v50, v129, v89
	v_fma_f32 v52, v126, v86, -v52
	s_delay_alu instid0(VALU_DEP_3) | instskip(NEXT) | instid1(VALU_DEP_3)
	v_dual_add_f32 v48, v48, v51 :: v_dual_add_f32 v47, v47, v144
	v_fma_f32 v50, v128, v88, -v50
	s_delay_alu instid0(VALU_DEP_2) | instskip(NEXT) | instid1(VALU_DEP_1)
	v_dual_add_f32 v48, v48, v52 :: v_dual_add_f32 v47, v47, v145
	v_add_f32_e32 v48, v48, v50
	s_delay_alu instid0(VALU_DEP_2) | instskip(SKIP_1) | instid1(VALU_DEP_2)
	v_add_f32_e32 v47, v47, v146
	v_fmac_f32_e32 v148, v127, v86
	v_add_f32_e32 v47, v47, v147
	s_delay_alu instid0(VALU_DEP_1) | instskip(SKIP_1) | instid1(VALU_DEP_1)
	v_add_f32_e32 v47, v47, v148
	s_wait_loadcnt 0x0
	v_dual_add_f32 v50, v47, v149 :: v_dual_sub_f32 v47, v130, v48
	s_delay_alu instid0(VALU_DEP_1)
	v_sub_f32_e32 v48, v131, v50
	scratch_store_b64 off, v[47:48], off offset:16
	v_cmpx_lt_u32_e32 1, v0
	s_cbranch_execz .LBB22_149
; %bb.148:
	scratch_load_b64 v[47:48], off, off offset:8
	v_mov_b32_e32 v50, 0
	s_delay_alu instid0(VALU_DEP_1)
	v_mov_b32_e32 v51, v50
	scratch_store_b64 off, v[50:51], off offset:8
	s_wait_loadcnt 0x0
	ds_store_b64 v49, v[47:48]
.LBB22_149:
	s_wait_alu 0xfffe
	s_or_b32 exec_lo, exec_lo, s0
	s_wait_storecnt_dscnt 0x0
	s_barrier_signal -1
	s_barrier_wait -1
	global_inv scope:SCOPE_SE
	s_clause 0xb
	scratch_load_b128 v[50:53], off, off offset:16
	scratch_load_b128 v[54:57], off, off offset:32
	;; [unrolled: 1-line block ×10, first 2 shown]
	scratch_load_b64 v[130:131], off, off offset:176
	scratch_load_b64 v[132:133], off, off offset:8
	v_mov_b32_e32 v47, 0
	ds_load_b128 v[90:93], v47 offset:208
	ds_load_b128 v[94:97], v47 offset:224
	;; [unrolled: 1-line block ×10, first 2 shown]
	ds_load_b64 v[134:135], v47 offset:368
	s_mov_b32 s0, exec_lo
	s_wait_loadcnt_dscnt 0xb0a
	v_mul_f32_e32 v48, v90, v51
	s_wait_loadcnt_dscnt 0xa09
	v_dual_mul_f32 v136, v92, v53 :: v_dual_mul_f32 v137, v94, v55
	v_mul_f32_e32 v53, v93, v53
	v_dual_mul_f32 v51, v91, v51 :: v_dual_mul_f32 v138, v96, v57
	s_wait_loadcnt_dscnt 0x908
	v_dual_mul_f32 v139, v98, v59 :: v_dual_fmac_f32 v48, v91, v50
	s_wait_loadcnt_dscnt 0x302
	v_mul_f32_e32 v152, v124, v85
	v_fma_f32 v51, v90, v50, -v51
	s_wait_loadcnt_dscnt 0x100
	v_mul_f32_e32 v155, v134, v131
	v_mul_f32_e32 v50, v95, v55
	v_fmac_f32_e32 v136, v93, v52
	v_fma_f32 v52, v92, v52, -v53
	v_dual_add_f32 v51, 0, v51 :: v_dual_add_f32 v48, 0, v48
	v_mul_f32_e32 v53, v97, v57
	v_fmac_f32_e32 v137, v95, v54
	v_fma_f32 v50, v94, v54, -v50
	v_dual_mul_f32 v142, v104, v65 :: v_dual_mul_f32 v143, v106, v67
	v_add_f32_e32 v48, v48, v136
	v_add_f32_e32 v51, v51, v52
	v_mul_f32_e32 v52, v99, v59
	v_fma_f32 v53, v96, v56, -v53
	v_dual_mul_f32 v144, v108, v69 :: v_dual_mul_f32 v145, v110, v71
	v_add_f32_e32 v48, v48, v137
	v_dual_add_f32 v50, v51, v50 :: v_dual_mul_f32 v51, v101, v61
	v_fma_f32 v52, v98, v58, -v52
	v_dual_mul_f32 v146, v112, v73 :: v_dual_mul_f32 v147, v114, v75
	s_delay_alu instid0(VALU_DEP_3) | instskip(NEXT) | instid1(VALU_DEP_4)
	v_dual_add_f32 v50, v50, v53 :: v_dual_mul_f32 v53, v103, v63
	v_fma_f32 v51, v100, v60, -v51
	v_dual_fmac_f32 v138, v97, v56 :: v_dual_fmac_f32 v139, v99, v58
	s_delay_alu instid0(VALU_DEP_3) | instskip(SKIP_2) | instid1(VALU_DEP_3)
	v_dual_add_f32 v50, v50, v52 :: v_dual_fmac_f32 v143, v107, v66
	v_dual_mul_f32 v52, v105, v65 :: v_dual_fmac_f32 v145, v111, v70
	v_fma_f32 v53, v102, v62, -v53
	v_dual_add_f32 v50, v50, v51 :: v_dual_fmac_f32 v147, v115, v74
	v_dual_mul_f32 v148, v116, v77 :: v_dual_mul_f32 v149, v118, v79
	v_dual_add_f32 v48, v48, v138 :: v_dual_mul_f32 v51, v107, v67
	v_fma_f32 v52, v104, v64, -v52
	s_delay_alu instid0(VALU_DEP_3) | instskip(SKIP_1) | instid1(VALU_DEP_4)
	v_dual_add_f32 v50, v50, v53 :: v_dual_fmac_f32 v149, v119, v78
	v_mul_f32_e32 v53, v109, v69
	v_fma_f32 v51, v106, v66, -v51
	v_dual_mul_f32 v140, v100, v61 :: v_dual_mul_f32 v141, v102, v63
	s_delay_alu instid0(VALU_DEP_4) | instskip(SKIP_3) | instid1(VALU_DEP_3)
	v_add_f32_e32 v50, v50, v52
	v_dual_mul_f32 v153, v126, v87 :: v_dual_mul_f32 v154, v128, v89
	v_mul_f32_e32 v52, v111, v71
	v_fma_f32 v53, v108, v68, -v53
	v_dual_add_f32 v50, v50, v51 :: v_dual_fmac_f32 v153, v127, v86
	v_dual_fmac_f32 v140, v101, v60 :: v_dual_fmac_f32 v141, v103, v62
	v_dual_add_f32 v48, v48, v139 :: v_dual_mul_f32 v51, v113, v73
	v_fma_f32 v52, v110, v70, -v52
	s_delay_alu instid0(VALU_DEP_4) | instskip(NEXT) | instid1(VALU_DEP_3)
	v_dual_add_f32 v50, v50, v53 :: v_dual_mul_f32 v53, v115, v75
	v_add_f32_e32 v48, v48, v140
	s_delay_alu instid0(VALU_DEP_4) | instskip(SKIP_1) | instid1(VALU_DEP_4)
	v_fma_f32 v51, v112, v72, -v51
	v_dual_mul_f32 v150, v120, v81 :: v_dual_mul_f32 v151, v122, v83
	v_add_f32_e32 v50, v50, v52
	v_mul_f32_e32 v52, v117, v77
	v_fma_f32 v53, v114, v74, -v53
	v_fmac_f32_e32 v142, v105, v64
	v_dual_add_f32 v48, v48, v141 :: v_dual_fmac_f32 v151, v123, v82
	v_add_f32_e32 v50, v50, v51
	v_mul_f32_e32 v51, v119, v79
	v_fma_f32 v52, v116, v76, -v52
	s_delay_alu instid0(VALU_DEP_4)
	v_add_f32_e32 v48, v48, v142
	v_fmac_f32_e32 v144, v109, v68
	v_add_f32_e32 v50, v50, v53
	v_mul_f32_e32 v53, v121, v81
	v_fma_f32 v51, v118, v78, -v51
	v_dual_fmac_f32 v155, v135, v130 :: v_dual_fmac_f32 v146, v113, v72
	s_delay_alu instid0(VALU_DEP_4) | instskip(NEXT) | instid1(VALU_DEP_4)
	v_add_f32_e32 v50, v50, v52
	v_fma_f32 v53, v120, v80, -v53
	v_fmac_f32_e32 v148, v117, v76
	v_mul_f32_e32 v52, v123, v83
	v_fmac_f32_e32 v150, v121, v80
	v_dual_add_f32 v50, v50, v51 :: v_dual_mul_f32 v51, v125, v85
	v_add_f32_e32 v48, v48, v143
	s_delay_alu instid0(VALU_DEP_4) | instskip(SKIP_1) | instid1(VALU_DEP_4)
	v_fma_f32 v52, v122, v82, -v52
	v_fmac_f32_e32 v152, v125, v84
	v_dual_add_f32 v50, v50, v53 :: v_dual_mul_f32 v53, v127, v87
	s_delay_alu instid0(VALU_DEP_4) | instskip(SKIP_2) | instid1(VALU_DEP_4)
	v_add_f32_e32 v48, v48, v144
	v_fma_f32 v51, v124, v84, -v51
	v_fmac_f32_e32 v154, v129, v88
	v_add_f32_e32 v50, v50, v52
	v_mul_f32_e32 v52, v129, v89
	v_add_f32_e32 v48, v48, v145
	v_fma_f32 v53, v126, v86, -v53
	s_delay_alu instid0(VALU_DEP_4) | instskip(NEXT) | instid1(VALU_DEP_3)
	v_add_f32_e32 v50, v50, v51
	v_dual_mul_f32 v51, v135, v131 :: v_dual_add_f32 v48, v48, v146
	v_fma_f32 v52, v128, v88, -v52
	s_delay_alu instid0(VALU_DEP_3) | instskip(NEXT) | instid1(VALU_DEP_3)
	v_add_f32_e32 v50, v50, v53
	v_fma_f32 v51, v134, v130, -v51
	s_delay_alu instid0(VALU_DEP_4) | instskip(NEXT) | instid1(VALU_DEP_3)
	v_add_f32_e32 v48, v48, v147
	v_add_f32_e32 v50, v50, v52
	s_delay_alu instid0(VALU_DEP_2) | instskip(NEXT) | instid1(VALU_DEP_2)
	v_add_f32_e32 v48, v48, v148
	v_add_f32_e32 v50, v50, v51
	s_delay_alu instid0(VALU_DEP_2) | instskip(SKIP_1) | instid1(VALU_DEP_2)
	v_add_f32_e32 v48, v48, v149
	s_wait_loadcnt 0x0
	v_sub_f32_e32 v50, v132, v50
	s_delay_alu instid0(VALU_DEP_2) | instskip(NEXT) | instid1(VALU_DEP_1)
	v_add_f32_e32 v48, v48, v150
	v_add_f32_e32 v48, v48, v151
	s_delay_alu instid0(VALU_DEP_1) | instskip(NEXT) | instid1(VALU_DEP_1)
	v_add_f32_e32 v48, v48, v152
	v_add_f32_e32 v48, v48, v153
	s_delay_alu instid0(VALU_DEP_1) | instskip(NEXT) | instid1(VALU_DEP_1)
	v_add_f32_e32 v48, v48, v154
	v_add_f32_e32 v48, v48, v155
	s_delay_alu instid0(VALU_DEP_1)
	v_sub_f32_e32 v51, v133, v48
	scratch_store_b64 off, v[50:51], off offset:8
	v_cmpx_ne_u32_e32 0, v0
	s_cbranch_execz .LBB22_151
; %bb.150:
	scratch_load_b64 v[50:51], off, off
	v_mov_b32_e32 v48, v47
	scratch_store_b64 off, v[47:48], off
	s_wait_loadcnt 0x0
	ds_store_b64 v49, v[50:51]
.LBB22_151:
	s_wait_alu 0xfffe
	s_or_b32 exec_lo, exec_lo, s0
	s_wait_storecnt_dscnt 0x0
	s_barrier_signal -1
	s_barrier_wait -1
	global_inv scope:SCOPE_SE
	s_clause 0xb
	scratch_load_b128 v[48:51], off, off offset:8
	scratch_load_b128 v[52:55], off, off offset:24
	;; [unrolled: 1-line block ×11, first 2 shown]
	scratch_load_b64 v[136:137], off, off
	ds_load_2addr_b64 v[92:95], v47 offset0:25 offset1:26
	ds_load_2addr_b64 v[96:99], v47 offset0:27 offset1:28
	;; [unrolled: 1-line block ×11, first 2 shown]
	s_and_b32 vcc_lo, exec_lo, s18
	s_wait_loadcnt_dscnt 0xb0a
	v_dual_mul_f32 v0, v92, v49 :: v_dual_mul_f32 v47, v94, v51
	s_wait_loadcnt_dscnt 0xa09
	v_dual_mul_f32 v51, v95, v51 :: v_dual_mul_f32 v138, v96, v53
	s_delay_alu instid0(VALU_DEP_2) | instskip(SKIP_2) | instid1(VALU_DEP_4)
	v_dual_mul_f32 v139, v98, v55 :: v_dual_fmac_f32 v0, v93, v48
	v_mul_f32_e32 v49, v93, v49
	v_fmac_f32_e32 v47, v95, v50
	v_fma_f32 v50, v94, v50, -v51
	s_wait_loadcnt_dscnt 0x908
	v_dual_mul_f32 v140, v100, v57 :: v_dual_mul_f32 v141, v102, v59
	v_add_f32_e32 v0, 0, v0
	v_fma_f32 v49, v92, v48, -v49
	v_mul_f32_e32 v48, v97, v53
	v_dual_fmac_f32 v138, v97, v52 :: v_dual_fmac_f32 v139, v99, v54
	s_delay_alu instid0(VALU_DEP_3) | instskip(NEXT) | instid1(VALU_DEP_3)
	v_dual_fmac_f32 v140, v101, v56 :: v_dual_add_f32 v49, 0, v49
	v_fma_f32 v48, v96, v52, -v48
	v_dual_add_f32 v0, v0, v47 :: v_dual_mul_f32 v47, v101, v57
	s_wait_loadcnt_dscnt 0x807
	v_dual_mul_f32 v142, v104, v61 :: v_dual_mul_f32 v143, v106, v63
	v_add_f32_e32 v49, v49, v50
	s_delay_alu instid0(VALU_DEP_3) | instskip(SKIP_1) | instid1(VALU_DEP_3)
	v_dual_mul_f32 v51, v99, v55 :: v_dual_add_f32 v0, v0, v138
	v_fma_f32 v47, v100, v56, -v47
	v_dual_fmac_f32 v141, v103, v58 :: v_dual_add_f32 v48, v49, v48
	s_delay_alu instid0(VALU_DEP_3) | instskip(SKIP_3) | instid1(VALU_DEP_4)
	v_fma_f32 v50, v98, v54, -v51
	v_mul_f32_e32 v49, v103, v59
	v_add_f32_e32 v0, v0, v139
	v_dual_fmac_f32 v142, v105, v60 :: v_dual_fmac_f32 v143, v107, v62
	v_add_f32_e32 v48, v48, v50
	v_mul_f32_e32 v50, v105, v61
	v_fma_f32 v49, v102, v58, -v49
	s_wait_loadcnt_dscnt 0x706
	v_dual_mul_f32 v144, v108, v65 :: v_dual_mul_f32 v145, v110, v67
	v_add_f32_e32 v47, v48, v47
	v_add_f32_e32 v0, v0, v140
	v_mul_f32_e32 v48, v107, v63
	v_fma_f32 v50, v104, v60, -v50
	v_dual_fmac_f32 v144, v109, v64 :: v_dual_fmac_f32 v145, v111, v66
	v_add_f32_e32 v47, v47, v49
	v_add_f32_e32 v0, v0, v141
	v_mul_f32_e32 v49, v109, v65
	v_fma_f32 v48, v106, v62, -v48
	s_wait_loadcnt_dscnt 0x605
	v_dual_mul_f32 v146, v112, v69 :: v_dual_mul_f32 v147, v114, v71
	v_add_f32_e32 v47, v47, v50
	v_add_f32_e32 v0, v0, v142
	v_mul_f32_e32 v50, v111, v67
	v_fma_f32 v49, v108, v64, -v49
	s_wait_loadcnt_dscnt 0x504
	v_dual_mul_f32 v148, v116, v73 :: v_dual_mul_f32 v149, v118, v75
	v_dual_add_f32 v47, v47, v48 :: v_dual_add_f32 v0, v0, v143
	v_mul_f32_e32 v48, v113, v69
	v_fma_f32 v50, v110, v66, -v50
	v_dual_fmac_f32 v146, v113, v68 :: v_dual_fmac_f32 v147, v115, v70
	s_delay_alu instid0(VALU_DEP_4) | instskip(SKIP_3) | instid1(VALU_DEP_4)
	v_dual_add_f32 v47, v47, v49 :: v_dual_add_f32 v0, v0, v144
	v_mul_f32_e32 v49, v115, v71
	v_fma_f32 v48, v112, v68, -v48
	v_fmac_f32_e32 v149, v119, v74
	v_dual_add_f32 v47, v47, v50 :: v_dual_add_f32 v0, v0, v145
	v_mul_f32_e32 v50, v117, v73
	v_fma_f32 v49, v114, v70, -v49
	s_wait_loadcnt_dscnt 0x403
	v_dual_mul_f32 v150, v120, v77 :: v_dual_mul_f32 v151, v122, v79
	v_dual_add_f32 v47, v47, v48 :: v_dual_add_f32 v0, v0, v146
	v_mul_f32_e32 v48, v119, v75
	v_fma_f32 v50, v116, v72, -v50
	s_delay_alu instid0(VALU_DEP_4) | instskip(NEXT) | instid1(VALU_DEP_4)
	v_fmac_f32_e32 v151, v123, v78
	v_dual_add_f32 v47, v47, v49 :: v_dual_fmac_f32 v148, v117, v72
	v_mul_f32_e32 v49, v121, v77
	v_fma_f32 v48, v118, v74, -v48
	s_wait_loadcnt_dscnt 0x302
	v_dual_mul_f32 v152, v124, v81 :: v_dual_mul_f32 v153, v126, v83
	v_dual_add_f32 v47, v47, v50 :: v_dual_add_f32 v0, v0, v147
	v_mul_f32_e32 v50, v123, v79
	v_fma_f32 v49, v120, v76, -v49
	s_wait_loadcnt_dscnt 0x201
	v_dual_mul_f32 v154, v128, v85 :: v_dual_mul_f32 v155, v130, v87
	v_add_f32_e32 v47, v47, v48
	v_add_f32_e32 v0, v0, v148
	v_fmac_f32_e32 v150, v121, v76
	v_fma_f32 v50, v122, v78, -v50
	v_dual_fmac_f32 v152, v125, v80 :: v_dual_fmac_f32 v153, v127, v82
	v_add_f32_e32 v47, v47, v49
	v_mul_f32_e32 v48, v125, v81
	v_dual_add_f32 v0, v0, v149 :: v_dual_mul_f32 v49, v127, v83
	v_fmac_f32_e32 v155, v131, v86
	s_delay_alu instid0(VALU_DEP_4) | instskip(NEXT) | instid1(VALU_DEP_4)
	v_add_f32_e32 v47, v47, v50
	v_fma_f32 v48, v124, v80, -v48
	s_delay_alu instid0(VALU_DEP_4)
	v_add_f32_e32 v0, v0, v150
	v_mul_f32_e32 v50, v129, v85
	v_fma_f32 v49, v126, v82, -v49
	s_wait_loadcnt_dscnt 0x100
	v_dual_mul_f32 v156, v132, v89 :: v_dual_mul_f32 v157, v134, v91
	v_dual_add_f32 v47, v47, v48 :: v_dual_add_f32 v0, v0, v151
	v_mul_f32_e32 v48, v131, v87
	v_fma_f32 v50, v128, v84, -v50
	s_delay_alu instid0(VALU_DEP_4) | instskip(NEXT) | instid1(VALU_DEP_4)
	v_dual_fmac_f32 v154, v129, v84 :: v_dual_fmac_f32 v157, v135, v90
	v_dual_add_f32 v47, v47, v49 :: v_dual_add_f32 v0, v0, v152
	v_mul_f32_e32 v49, v133, v89
	v_fma_f32 v48, v130, v86, -v48
	s_delay_alu instid0(VALU_DEP_3) | instskip(SKIP_1) | instid1(VALU_DEP_4)
	v_dual_add_f32 v47, v47, v50 :: v_dual_add_f32 v0, v0, v153
	v_mul_f32_e32 v50, v135, v91
	v_fma_f32 v49, v132, v88, -v49
	s_delay_alu instid0(VALU_DEP_3) | instskip(NEXT) | instid1(VALU_DEP_3)
	v_dual_add_f32 v47, v47, v48 :: v_dual_add_f32 v0, v0, v154
	v_fma_f32 v48, v134, v90, -v50
	s_delay_alu instid0(VALU_DEP_2) | instskip(NEXT) | instid1(VALU_DEP_1)
	v_dual_add_f32 v47, v47, v49 :: v_dual_add_f32 v0, v0, v155
	v_add_f32_e32 v47, v47, v48
	s_wait_loadcnt 0x0
	s_delay_alu instid0(VALU_DEP_1) | instskip(NEXT) | instid1(VALU_DEP_1)
	v_dual_fmac_f32 v156, v133, v88 :: v_dual_sub_f32 v47, v136, v47
	v_add_f32_e32 v0, v0, v156
	s_delay_alu instid0(VALU_DEP_1) | instskip(NEXT) | instid1(VALU_DEP_1)
	v_add_f32_e32 v0, v0, v157
	v_sub_f32_e32 v48, v137, v0
	scratch_store_b64 off, v[47:48], off
	s_wait_alu 0xfffe
	s_cbranch_vccz .LBB22_196
; %bb.152:
	v_mov_b32_e32 v0, 0
	global_load_b32 v47, v0, s[2:3] offset:84
	s_wait_loadcnt 0x0
	v_cmp_ne_u32_e32 vcc_lo, 22, v47
	s_cbranch_vccz .LBB22_154
; %bb.153:
	v_lshlrev_b32_e32 v47, 3, v47
	s_delay_alu instid0(VALU_DEP_1)
	v_mov_b32_e32 v51, v47
	scratch_load_b64 v[47:48], v51, off offset:-8
	scratch_load_b64 v[49:50], off, off offset:168
	s_wait_loadcnt 0x1
	scratch_store_b64 off, v[47:48], off offset:168
	s_wait_loadcnt 0x0
	scratch_store_b64 v51, v[49:50], off offset:-8
.LBB22_154:
	global_load_b32 v0, v0, s[2:3] offset:80
	s_wait_loadcnt 0x0
	v_cmp_eq_u32_e32 vcc_lo, 21, v0
	s_cbranch_vccnz .LBB22_156
; %bb.155:
	v_lshlrev_b32_e32 v0, 3, v0
	scratch_load_b64 v[47:48], v0, off offset:-8
	scratch_load_b64 v[49:50], off, off offset:160
	s_wait_loadcnt 0x1
	scratch_store_b64 off, v[47:48], off offset:160
	s_wait_loadcnt 0x0
	scratch_store_b64 v0, v[49:50], off offset:-8
.LBB22_156:
	v_mov_b32_e32 v0, 0
	global_load_b32 v47, v0, s[2:3] offset:76
	s_wait_loadcnt 0x0
	v_cmp_eq_u32_e32 vcc_lo, 20, v47
	s_cbranch_vccnz .LBB22_158
; %bb.157:
	v_lshlrev_b32_e32 v47, 3, v47
	s_delay_alu instid0(VALU_DEP_1)
	v_mov_b32_e32 v51, v47
	scratch_load_b64 v[47:48], v51, off offset:-8
	scratch_load_b64 v[49:50], off, off offset:152
	s_wait_loadcnt 0x1
	scratch_store_b64 off, v[47:48], off offset:152
	s_wait_loadcnt 0x0
	scratch_store_b64 v51, v[49:50], off offset:-8
.LBB22_158:
	global_load_b32 v0, v0, s[2:3] offset:72
	s_wait_loadcnt 0x0
	v_cmp_eq_u32_e32 vcc_lo, 19, v0
	s_cbranch_vccnz .LBB22_160
; %bb.159:
	v_lshlrev_b32_e32 v0, 3, v0
	scratch_load_b64 v[47:48], v0, off offset:-8
	scratch_load_b64 v[49:50], off, off offset:144
	s_wait_loadcnt 0x1
	scratch_store_b64 off, v[47:48], off offset:144
	s_wait_loadcnt 0x0
	scratch_store_b64 v0, v[49:50], off offset:-8
.LBB22_160:
	v_mov_b32_e32 v0, 0
	global_load_b32 v47, v0, s[2:3] offset:68
	s_wait_loadcnt 0x0
	v_cmp_eq_u32_e32 vcc_lo, 18, v47
	s_cbranch_vccnz .LBB22_162
; %bb.161:
	v_lshlrev_b32_e32 v47, 3, v47
	s_delay_alu instid0(VALU_DEP_1)
	v_mov_b32_e32 v51, v47
	scratch_load_b64 v[47:48], v51, off offset:-8
	scratch_load_b64 v[49:50], off, off offset:136
	s_wait_loadcnt 0x1
	scratch_store_b64 off, v[47:48], off offset:136
	s_wait_loadcnt 0x0
	scratch_store_b64 v51, v[49:50], off offset:-8
.LBB22_162:
	;; [unrolled: 29-line block ×10, first 2 shown]
	global_load_b32 v0, v0, s[2:3]
	s_wait_loadcnt 0x0
	v_cmp_eq_u32_e32 vcc_lo, 1, v0
	s_cbranch_vccnz .LBB22_196
; %bb.195:
	v_lshlrev_b32_e32 v0, 3, v0
	scratch_load_b64 v[47:48], v0, off offset:-8
	scratch_load_b64 v[49:50], off, off
	s_wait_loadcnt 0x1
	scratch_store_b64 off, v[47:48], off
	s_wait_loadcnt 0x0
	scratch_store_b64 v0, v[49:50], off offset:-8
.LBB22_196:
	s_clause 0xb
	scratch_load_b128 v[47:50], off, off
	scratch_load_b128 v[51:54], off, off offset:16
	scratch_load_b128 v[55:58], off, off offset:32
	scratch_load_b128 v[59:62], off, off offset:48
	scratch_load_b128 v[63:66], off, off offset:64
	scratch_load_b128 v[67:70], off, off offset:80
	scratch_load_b128 v[71:74], off, off offset:96
	scratch_load_b128 v[75:78], off, off offset:112
	scratch_load_b128 v[79:82], off, off offset:128
	scratch_load_b128 v[83:86], off, off offset:144
	scratch_load_b128 v[87:90], off, off offset:160
	scratch_load_b64 v[91:92], off, off offset:176
	s_wait_loadcnt 0xb
	s_clause 0x1
	global_store_b64 v[1:2], v[47:48], off
	global_store_b64 v[3:4], v[49:50], off
	s_wait_loadcnt 0xa
	s_clause 0x1
	global_store_b64 v[5:6], v[51:52], off
	global_store_b64 v[7:8], v[53:54], off
	;; [unrolled: 4-line block ×11, first 2 shown]
	s_wait_loadcnt 0x0
	global_store_b64 v[45:46], v[91:92], off
	s_nop 0
	s_sendmsg sendmsg(MSG_DEALLOC_VGPRS)
	s_endpgm
	.section	.rodata,"a",@progbits
	.p2align	6, 0x0
	.amdhsa_kernel _ZN9rocsolver6v33100L18getri_kernel_smallILi23E19rocblas_complex_numIfEPS3_EEvT1_iilPiilS6_bb
		.amdhsa_group_segment_fixed_size 376
		.amdhsa_private_segment_fixed_size 192
		.amdhsa_kernarg_size 60
		.amdhsa_user_sgpr_count 2
		.amdhsa_user_sgpr_dispatch_ptr 0
		.amdhsa_user_sgpr_queue_ptr 0
		.amdhsa_user_sgpr_kernarg_segment_ptr 1
		.amdhsa_user_sgpr_dispatch_id 0
		.amdhsa_user_sgpr_private_segment_size 0
		.amdhsa_wavefront_size32 1
		.amdhsa_uses_dynamic_stack 0
		.amdhsa_enable_private_segment 1
		.amdhsa_system_sgpr_workgroup_id_x 1
		.amdhsa_system_sgpr_workgroup_id_y 0
		.amdhsa_system_sgpr_workgroup_id_z 0
		.amdhsa_system_sgpr_workgroup_info 0
		.amdhsa_system_vgpr_workitem_id 0
		.amdhsa_next_free_vgpr 158
		.amdhsa_next_free_sgpr 19
		.amdhsa_reserve_vcc 1
		.amdhsa_float_round_mode_32 0
		.amdhsa_float_round_mode_16_64 0
		.amdhsa_float_denorm_mode_32 3
		.amdhsa_float_denorm_mode_16_64 3
		.amdhsa_fp16_overflow 0
		.amdhsa_workgroup_processor_mode 1
		.amdhsa_memory_ordered 1
		.amdhsa_forward_progress 1
		.amdhsa_inst_pref_size 195
		.amdhsa_round_robin_scheduling 0
		.amdhsa_exception_fp_ieee_invalid_op 0
		.amdhsa_exception_fp_denorm_src 0
		.amdhsa_exception_fp_ieee_div_zero 0
		.amdhsa_exception_fp_ieee_overflow 0
		.amdhsa_exception_fp_ieee_underflow 0
		.amdhsa_exception_fp_ieee_inexact 0
		.amdhsa_exception_int_div_zero 0
	.end_amdhsa_kernel
	.section	.text._ZN9rocsolver6v33100L18getri_kernel_smallILi23E19rocblas_complex_numIfEPS3_EEvT1_iilPiilS6_bb,"axG",@progbits,_ZN9rocsolver6v33100L18getri_kernel_smallILi23E19rocblas_complex_numIfEPS3_EEvT1_iilPiilS6_bb,comdat
.Lfunc_end22:
	.size	_ZN9rocsolver6v33100L18getri_kernel_smallILi23E19rocblas_complex_numIfEPS3_EEvT1_iilPiilS6_bb, .Lfunc_end22-_ZN9rocsolver6v33100L18getri_kernel_smallILi23E19rocblas_complex_numIfEPS3_EEvT1_iilPiilS6_bb
                                        ; -- End function
	.set _ZN9rocsolver6v33100L18getri_kernel_smallILi23E19rocblas_complex_numIfEPS3_EEvT1_iilPiilS6_bb.num_vgpr, 158
	.set _ZN9rocsolver6v33100L18getri_kernel_smallILi23E19rocblas_complex_numIfEPS3_EEvT1_iilPiilS6_bb.num_agpr, 0
	.set _ZN9rocsolver6v33100L18getri_kernel_smallILi23E19rocblas_complex_numIfEPS3_EEvT1_iilPiilS6_bb.numbered_sgpr, 19
	.set _ZN9rocsolver6v33100L18getri_kernel_smallILi23E19rocblas_complex_numIfEPS3_EEvT1_iilPiilS6_bb.num_named_barrier, 0
	.set _ZN9rocsolver6v33100L18getri_kernel_smallILi23E19rocblas_complex_numIfEPS3_EEvT1_iilPiilS6_bb.private_seg_size, 192
	.set _ZN9rocsolver6v33100L18getri_kernel_smallILi23E19rocblas_complex_numIfEPS3_EEvT1_iilPiilS6_bb.uses_vcc, 1
	.set _ZN9rocsolver6v33100L18getri_kernel_smallILi23E19rocblas_complex_numIfEPS3_EEvT1_iilPiilS6_bb.uses_flat_scratch, 1
	.set _ZN9rocsolver6v33100L18getri_kernel_smallILi23E19rocblas_complex_numIfEPS3_EEvT1_iilPiilS6_bb.has_dyn_sized_stack, 0
	.set _ZN9rocsolver6v33100L18getri_kernel_smallILi23E19rocblas_complex_numIfEPS3_EEvT1_iilPiilS6_bb.has_recursion, 0
	.set _ZN9rocsolver6v33100L18getri_kernel_smallILi23E19rocblas_complex_numIfEPS3_EEvT1_iilPiilS6_bb.has_indirect_call, 0
	.section	.AMDGPU.csdata,"",@progbits
; Kernel info:
; codeLenInByte = 24960
; TotalNumSgprs: 21
; NumVgprs: 158
; ScratchSize: 192
; MemoryBound: 0
; FloatMode: 240
; IeeeMode: 1
; LDSByteSize: 376 bytes/workgroup (compile time only)
; SGPRBlocks: 0
; VGPRBlocks: 19
; NumSGPRsForWavesPerEU: 21
; NumVGPRsForWavesPerEU: 158
; Occupancy: 9
; WaveLimiterHint : 1
; COMPUTE_PGM_RSRC2:SCRATCH_EN: 1
; COMPUTE_PGM_RSRC2:USER_SGPR: 2
; COMPUTE_PGM_RSRC2:TRAP_HANDLER: 0
; COMPUTE_PGM_RSRC2:TGID_X_EN: 1
; COMPUTE_PGM_RSRC2:TGID_Y_EN: 0
; COMPUTE_PGM_RSRC2:TGID_Z_EN: 0
; COMPUTE_PGM_RSRC2:TIDIG_COMP_CNT: 0
	.section	.text._ZN9rocsolver6v33100L18getri_kernel_smallILi24E19rocblas_complex_numIfEPS3_EEvT1_iilPiilS6_bb,"axG",@progbits,_ZN9rocsolver6v33100L18getri_kernel_smallILi24E19rocblas_complex_numIfEPS3_EEvT1_iilPiilS6_bb,comdat
	.globl	_ZN9rocsolver6v33100L18getri_kernel_smallILi24E19rocblas_complex_numIfEPS3_EEvT1_iilPiilS6_bb ; -- Begin function _ZN9rocsolver6v33100L18getri_kernel_smallILi24E19rocblas_complex_numIfEPS3_EEvT1_iilPiilS6_bb
	.p2align	8
	.type	_ZN9rocsolver6v33100L18getri_kernel_smallILi24E19rocblas_complex_numIfEPS3_EEvT1_iilPiilS6_bb,@function
_ZN9rocsolver6v33100L18getri_kernel_smallILi24E19rocblas_complex_numIfEPS3_EEvT1_iilPiilS6_bb: ; @_ZN9rocsolver6v33100L18getri_kernel_smallILi24E19rocblas_complex_numIfEPS3_EEvT1_iilPiilS6_bb
; %bb.0:
	s_mov_b32 s2, exec_lo
	v_cmpx_gt_u32_e32 24, v0
	s_cbranch_execz .LBB23_110
; %bb.1:
	s_clause 0x2
	s_load_b32 s2, s[0:1], 0x38
	s_load_b128 s[12:15], s[0:1], 0x10
	s_load_b128 s[4:7], s[0:1], 0x28
	s_mov_b32 s16, ttmp9
	s_wait_kmcnt 0x0
	s_bitcmp1_b32 s2, 8
	s_cselect_b32 s18, -1, 0
	s_bfe_u32 s2, s2, 0x10008
	s_ashr_i32 s17, ttmp9, 31
	s_cmp_eq_u32 s2, 0
                                        ; implicit-def: $sgpr2_sgpr3
	s_cbranch_scc1 .LBB23_3
; %bb.2:
	s_load_b32 s2, s[0:1], 0x20
	s_mul_u64 s[4:5], s[4:5], s[16:17]
	s_delay_alu instid0(SALU_CYCLE_1) | instskip(NEXT) | instid1(SALU_CYCLE_1)
	s_lshl_b64 s[4:5], s[4:5], 2
	s_add_nc_u64 s[4:5], s[14:15], s[4:5]
	s_wait_kmcnt 0x0
	s_ashr_i32 s3, s2, 31
	s_delay_alu instid0(SALU_CYCLE_1) | instskip(NEXT) | instid1(SALU_CYCLE_1)
	s_lshl_b64 s[2:3], s[2:3], 2
	s_add_nc_u64 s[2:3], s[4:5], s[2:3]
.LBB23_3:
	s_clause 0x1
	s_load_b128 s[8:11], s[0:1], 0x0
	s_load_b32 s4, s[0:1], 0x38
	s_mul_u64 s[0:1], s[12:13], s[16:17]
	v_lshlrev_b32_e32 v55, 3, v0
	s_lshl_b64 s[0:1], s[0:1], 3
	s_wait_kmcnt 0x0
	v_add3_u32 v3, s11, s11, v0
	s_ashr_i32 s13, s10, 31
	s_mov_b32 s12, s10
	s_add_nc_u64 s[0:1], s[8:9], s[0:1]
	s_lshl_b64 s[12:13], s[12:13], 3
	v_add_nc_u32_e32 v5, s11, v3
	v_ashrrev_i32_e32 v4, 31, v3
	s_add_nc_u64 s[0:1], s[0:1], s[12:13]
	s_ashr_i32 s9, s11, 31
	v_add_co_u32 v1, s5, s0, v55
	v_add_nc_u32_e32 v9, s11, v5
	v_ashrrev_i32_e32 v6, 31, v5
	s_mov_b32 s8, s11
	v_lshlrev_b64_e32 v[7:8], 3, v[3:4]
	v_add_co_ci_u32_e64 v2, null, s1, 0, s5
	v_add_nc_u32_e32 v13, s11, v9
	s_lshl_b64 s[8:9], s[8:9], 3
	v_lshlrev_b64_e32 v[11:12], 3, v[5:6]
	v_add_co_u32 v3, vcc_lo, v1, s8
	s_delay_alu instid0(VALU_DEP_3) | instskip(SKIP_3) | instid1(VALU_DEP_4)
	v_add_nc_u32_e32 v15, s11, v13
	v_ashrrev_i32_e32 v14, 31, v13
	v_add_co_ci_u32_e64 v4, null, s9, v2, vcc_lo
	v_add_co_u32 v5, vcc_lo, s0, v7
	v_ashrrev_i32_e32 v16, 31, v15
	v_add_nc_u32_e32 v17, s11, v15
	s_wait_alu 0xfffd
	v_add_co_ci_u32_e64 v6, null, s1, v8, vcc_lo
	v_add_co_u32 v7, vcc_lo, s0, v11
	v_ashrrev_i32_e32 v10, 31, v9
	s_wait_alu 0xfffd
	v_add_co_ci_u32_e64 v8, null, s1, v12, vcc_lo
	v_lshlrev_b64_e32 v[11:12], 3, v[13:14]
	v_lshlrev_b64_e32 v[13:14], 3, v[15:16]
	v_add_nc_u32_e32 v15, s11, v17
	v_lshlrev_b64_e32 v[9:10], 3, v[9:10]
	v_ashrrev_i32_e32 v18, 31, v17
	global_load_b64 v[49:50], v55, s[0:1]
	s_bitcmp0_b32 s4, 0
	v_add_nc_u32_e32 v19, s11, v15
	v_ashrrev_i32_e32 v16, 31, v15
	v_add_co_u32 v9, vcc_lo, s0, v9
	v_lshlrev_b64_e32 v[17:18], 3, v[17:18]
	s_delay_alu instid0(VALU_DEP_4)
	v_add_nc_u32_e32 v23, s11, v19
	s_wait_alu 0xfffd
	v_add_co_ci_u32_e64 v10, null, s1, v10, vcc_lo
	v_add_co_u32 v11, vcc_lo, s0, v11
	v_lshlrev_b64_e32 v[21:22], 3, v[15:16]
	s_wait_alu 0xfffd
	v_add_co_ci_u32_e64 v12, null, s1, v12, vcc_lo
	v_add_co_u32 v13, vcc_lo, s0, v13
	v_ashrrev_i32_e32 v24, 31, v23
	v_add_nc_u32_e32 v25, s11, v23
	s_wait_alu 0xfffd
	v_add_co_ci_u32_e64 v14, null, s1, v14, vcc_lo
	v_add_co_u32 v15, vcc_lo, s0, v17
	s_wait_alu 0xfffd
	v_add_co_ci_u32_e64 v16, null, s1, v18, vcc_lo
	v_add_co_u32 v17, vcc_lo, s0, v21
	s_wait_alu 0xfffd
	v_add_co_ci_u32_e64 v18, null, s1, v22, vcc_lo
	v_lshlrev_b64_e32 v[21:22], 3, v[23:24]
	v_add_nc_u32_e32 v23, s11, v25
	v_ashrrev_i32_e32 v20, 31, v19
	v_ashrrev_i32_e32 v26, 31, v25
	s_clause 0x7
	global_load_b64 v[51:52], v[3:4], off
	global_load_b64 v[56:57], v[5:6], off
	;; [unrolled: 1-line block ×8, first 2 shown]
	v_add_nc_u32_e32 v27, s11, v23
	v_lshlrev_b64_e32 v[19:20], 3, v[19:20]
	v_ashrrev_i32_e32 v24, 31, v23
	v_lshlrev_b64_e32 v[25:26], 3, v[25:26]
	s_delay_alu instid0(VALU_DEP_4)
	v_add_nc_u32_e32 v31, s11, v27
	v_ashrrev_i32_e32 v28, 31, v27
	v_add_co_u32 v19, vcc_lo, s0, v19
	v_lshlrev_b64_e32 v[29:30], 3, v[23:24]
	s_wait_alu 0xfffd
	v_add_co_ci_u32_e64 v20, null, s1, v20, vcc_lo
	v_add_co_u32 v21, vcc_lo, s0, v21
	v_ashrrev_i32_e32 v32, 31, v31
	v_add_nc_u32_e32 v33, s11, v31
	s_wait_alu 0xfffd
	v_add_co_ci_u32_e64 v22, null, s1, v22, vcc_lo
	v_add_co_u32 v23, vcc_lo, s0, v25
	s_wait_alu 0xfffd
	v_add_co_ci_u32_e64 v24, null, s1, v26, vcc_lo
	v_add_co_u32 v25, vcc_lo, s0, v29
	s_wait_alu 0xfffd
	v_add_co_ci_u32_e64 v26, null, s1, v30, vcc_lo
	v_lshlrev_b64_e32 v[29:30], 3, v[31:32]
	v_add_nc_u32_e32 v31, s11, v33
	v_ashrrev_i32_e32 v34, 31, v33
	v_lshlrev_b64_e32 v[27:28], 3, v[27:28]
	s_clause 0x3
	global_load_b64 v[70:71], v[19:20], off
	global_load_b64 v[72:73], v[21:22], off
	;; [unrolled: 1-line block ×4, first 2 shown]
	v_add_nc_u32_e32 v35, s11, v31
	v_ashrrev_i32_e32 v32, 31, v31
	v_lshlrev_b64_e32 v[33:34], 3, v[33:34]
	v_add_co_u32 v27, vcc_lo, s0, v27
	s_delay_alu instid0(VALU_DEP_4) | instskip(NEXT) | instid1(VALU_DEP_4)
	v_add_nc_u32_e32 v39, s11, v35
	v_lshlrev_b64_e32 v[37:38], 3, v[31:32]
	s_wait_alu 0xfffd
	v_add_co_ci_u32_e64 v28, null, s1, v28, vcc_lo
	v_add_co_u32 v29, vcc_lo, s0, v29
	v_ashrrev_i32_e32 v40, 31, v39
	v_add_nc_u32_e32 v41, s11, v39
	s_wait_alu 0xfffd
	v_add_co_ci_u32_e64 v30, null, s1, v30, vcc_lo
	v_add_co_u32 v31, vcc_lo, s0, v33
	s_wait_alu 0xfffd
	v_add_co_ci_u32_e64 v32, null, s1, v34, vcc_lo
	v_add_co_u32 v33, vcc_lo, s0, v37
	s_wait_alu 0xfffd
	v_add_co_ci_u32_e64 v34, null, s1, v38, vcc_lo
	v_lshlrev_b64_e32 v[37:38], 3, v[39:40]
	v_add_nc_u32_e32 v39, s11, v41
	v_ashrrev_i32_e32 v36, 31, v35
	v_ashrrev_i32_e32 v42, 31, v41
	s_clause 0x3
	global_load_b64 v[78:79], v[27:28], off
	global_load_b64 v[80:81], v[29:30], off
	;; [unrolled: 1-line block ×4, first 2 shown]
	v_add_nc_u32_e32 v43, s11, v39
	v_lshlrev_b64_e32 v[35:36], 3, v[35:36]
	v_ashrrev_i32_e32 v40, 31, v39
	v_lshlrev_b64_e32 v[41:42], 3, v[41:42]
	s_delay_alu instid0(VALU_DEP_4) | instskip(SKIP_3) | instid1(VALU_DEP_4)
	v_add_nc_u32_e32 v47, s11, v43
	v_ashrrev_i32_e32 v44, 31, v43
	v_add_co_u32 v35, vcc_lo, s0, v35
	v_lshlrev_b64_e32 v[45:46], 3, v[39:40]
	v_add_nc_u32_e32 v53, s11, v47
	s_wait_alu 0xfffd
	v_add_co_ci_u32_e64 v36, null, s1, v36, vcc_lo
	v_add_co_u32 v37, vcc_lo, s0, v37
	v_ashrrev_i32_e32 v48, 31, v47
	s_wait_alu 0xfffd
	v_add_co_ci_u32_e64 v38, null, s1, v38, vcc_lo
	v_add_co_u32 v39, vcc_lo, s0, v41
	v_ashrrev_i32_e32 v54, 31, v53
	s_wait_alu 0xfffd
	v_add_co_ci_u32_e64 v40, null, s1, v42, vcc_lo
	v_lshlrev_b64_e32 v[43:44], 3, v[43:44]
	v_add_co_u32 v41, vcc_lo, s0, v45
	s_wait_alu 0xfffd
	v_add_co_ci_u32_e64 v42, null, s1, v46, vcc_lo
	v_lshlrev_b64_e32 v[45:46], 3, v[47:48]
	v_lshlrev_b64_e32 v[47:48], 3, v[53:54]
	v_add_co_u32 v43, vcc_lo, s0, v43
	s_wait_alu 0xfffd
	v_add_co_ci_u32_e64 v44, null, s1, v44, vcc_lo
	s_delay_alu instid0(VALU_DEP_4)
	v_add_co_u32 v45, vcc_lo, s0, v45
	s_wait_alu 0xfffd
	v_add_co_ci_u32_e64 v46, null, s1, v46, vcc_lo
	v_add_co_u32 v47, vcc_lo, s0, v47
	s_wait_alu 0xfffd
	v_add_co_ci_u32_e64 v48, null, s1, v48, vcc_lo
	s_clause 0x6
	global_load_b64 v[86:87], v[35:36], off
	global_load_b64 v[88:89], v[37:38], off
	;; [unrolled: 1-line block ×7, first 2 shown]
	s_mov_b32 s1, -1
	s_wait_loadcnt 0x16
	scratch_store_b128 off, v[49:52], off
	s_wait_loadcnt 0x14
	scratch_store_b128 off, v[56:59], off offset:16
	s_wait_loadcnt 0x12
	scratch_store_b128 off, v[60:63], off offset:32
	;; [unrolled: 2-line block ×11, first 2 shown]
	s_cbranch_scc1 .LBB23_108
; %bb.4:
	v_cmp_eq_u32_e64 s0, 0, v0
	s_and_saveexec_b32 s1, s0
; %bb.5:
	v_mov_b32_e32 v49, 0
	ds_store_b32 v49, v49 offset:384
; %bb.6:
	s_wait_alu 0xfffe
	s_or_b32 exec_lo, exec_lo, s1
	s_wait_storecnt_dscnt 0x0
	s_barrier_signal -1
	s_barrier_wait -1
	global_inv scope:SCOPE_SE
	scratch_load_b64 v[49:50], v55, off
	s_wait_loadcnt 0x0
	v_cmp_eq_f32_e32 vcc_lo, 0, v49
	v_cmp_eq_f32_e64 s1, 0, v50
	s_and_b32 s1, vcc_lo, s1
	s_wait_alu 0xfffe
	s_and_saveexec_b32 s4, s1
	s_cbranch_execz .LBB23_10
; %bb.7:
	v_mov_b32_e32 v49, 0
	s_mov_b32 s5, 0
	ds_load_b32 v50, v49 offset:384
	s_wait_dscnt 0x0
	v_readfirstlane_b32 s1, v50
	v_add_nc_u32_e32 v50, 1, v0
	s_cmp_eq_u32 s1, 0
	s_delay_alu instid0(VALU_DEP_1)
	v_cmp_gt_i32_e32 vcc_lo, s1, v50
	s_cselect_b32 s8, -1, 0
	s_wait_alu 0xfffe
	s_or_b32 s8, s8, vcc_lo
	s_wait_alu 0xfffe
	s_and_b32 exec_lo, exec_lo, s8
	s_cbranch_execz .LBB23_10
; %bb.8:
	v_mov_b32_e32 v51, s1
.LBB23_9:                               ; =>This Inner Loop Header: Depth=1
	ds_cmpstore_rtn_b32 v51, v49, v50, v51 offset:384
	s_wait_dscnt 0x0
	v_cmp_ne_u32_e32 vcc_lo, 0, v51
	v_cmp_le_i32_e64 s1, v51, v50
	s_and_b32 s1, vcc_lo, s1
	s_wait_alu 0xfffe
	s_and_b32 s1, exec_lo, s1
	s_wait_alu 0xfffe
	s_or_b32 s5, s1, s5
	s_wait_alu 0xfffe
	s_and_not1_b32 exec_lo, exec_lo, s5
	s_cbranch_execnz .LBB23_9
.LBB23_10:
	s_wait_alu 0xfffe
	s_or_b32 exec_lo, exec_lo, s4
	v_mov_b32_e32 v49, 0
	s_barrier_signal -1
	s_barrier_wait -1
	global_inv scope:SCOPE_SE
	ds_load_b32 v50, v49 offset:384
	s_and_saveexec_b32 s1, s0
	s_cbranch_execz .LBB23_12
; %bb.11:
	s_lshl_b64 s[4:5], s[16:17], 2
	s_wait_alu 0xfffe
	s_add_nc_u64 s[4:5], s[6:7], s[4:5]
	s_wait_dscnt 0x0
	global_store_b32 v49, v50, s[4:5]
.LBB23_12:
	s_wait_alu 0xfffe
	s_or_b32 exec_lo, exec_lo, s1
	s_wait_dscnt 0x0
	v_cmp_ne_u32_e32 vcc_lo, 0, v50
	s_mov_b32 s1, 0
	s_cbranch_vccnz .LBB23_108
; %bb.13:
	v_mov_b32_e32 v56, v55
                                        ; implicit-def: $vgpr51
                                        ; implicit-def: $vgpr53
	scratch_load_b64 v[49:50], v56, off
	s_wait_loadcnt 0x0
	v_cmp_ngt_f32_e64 s1, |v49|, |v50|
	s_wait_alu 0xfffe
	s_and_saveexec_b32 s4, s1
	s_wait_alu 0xfffe
	s_xor_b32 s1, exec_lo, s4
	s_cbranch_execz .LBB23_15
; %bb.14:
	v_div_scale_f32 v51, null, v50, v50, v49
	v_div_scale_f32 v54, vcc_lo, v49, v50, v49
	s_delay_alu instid0(VALU_DEP_2) | instskip(NEXT) | instid1(TRANS32_DEP_1)
	v_rcp_f32_e32 v52, v51
	v_fma_f32 v53, -v51, v52, 1.0
	s_delay_alu instid0(VALU_DEP_1) | instskip(NEXT) | instid1(VALU_DEP_1)
	v_fmac_f32_e32 v52, v53, v52
	v_mul_f32_e32 v53, v54, v52
	s_delay_alu instid0(VALU_DEP_1) | instskip(NEXT) | instid1(VALU_DEP_1)
	v_fma_f32 v57, -v51, v53, v54
	v_fmac_f32_e32 v53, v57, v52
	s_delay_alu instid0(VALU_DEP_1) | instskip(SKIP_1) | instid1(VALU_DEP_1)
	v_fma_f32 v51, -v51, v53, v54
	s_wait_alu 0xfffd
	v_div_fmas_f32 v51, v51, v52, v53
	s_delay_alu instid0(VALU_DEP_1) | instskip(NEXT) | instid1(VALU_DEP_1)
	v_div_fixup_f32 v51, v51, v50, v49
	v_fmac_f32_e32 v50, v49, v51
	s_delay_alu instid0(VALU_DEP_1) | instskip(NEXT) | instid1(VALU_DEP_1)
	v_div_scale_f32 v49, null, v50, v50, 1.0
	v_rcp_f32_e32 v52, v49
	s_delay_alu instid0(TRANS32_DEP_1) | instskip(NEXT) | instid1(VALU_DEP_1)
	v_fma_f32 v53, -v49, v52, 1.0
	v_fmac_f32_e32 v52, v53, v52
	v_div_scale_f32 v53, vcc_lo, 1.0, v50, 1.0
	s_delay_alu instid0(VALU_DEP_1) | instskip(NEXT) | instid1(VALU_DEP_1)
	v_mul_f32_e32 v54, v53, v52
	v_fma_f32 v57, -v49, v54, v53
	s_delay_alu instid0(VALU_DEP_1) | instskip(NEXT) | instid1(VALU_DEP_1)
	v_fmac_f32_e32 v54, v57, v52
	v_fma_f32 v49, -v49, v54, v53
	s_wait_alu 0xfffd
	s_delay_alu instid0(VALU_DEP_1) | instskip(NEXT) | instid1(VALU_DEP_1)
	v_div_fmas_f32 v49, v49, v52, v54
	v_div_fixup_f32 v49, v49, v50, 1.0
	s_delay_alu instid0(VALU_DEP_1) | instskip(SKIP_1) | instid1(VALU_DEP_2)
	v_mul_f32_e32 v51, v51, v49
	v_xor_b32_e32 v52, 0x80000000, v49
                                        ; implicit-def: $vgpr49_vgpr50
	v_xor_b32_e32 v53, 0x80000000, v51
.LBB23_15:
	s_wait_alu 0xfffe
	s_and_not1_saveexec_b32 s1, s1
	s_cbranch_execz .LBB23_17
; %bb.16:
	v_div_scale_f32 v51, null, v49, v49, v50
	v_div_scale_f32 v54, vcc_lo, v50, v49, v50
	s_delay_alu instid0(VALU_DEP_2) | instskip(NEXT) | instid1(TRANS32_DEP_1)
	v_rcp_f32_e32 v52, v51
	v_fma_f32 v53, -v51, v52, 1.0
	s_delay_alu instid0(VALU_DEP_1) | instskip(NEXT) | instid1(VALU_DEP_1)
	v_fmac_f32_e32 v52, v53, v52
	v_mul_f32_e32 v53, v54, v52
	s_delay_alu instid0(VALU_DEP_1) | instskip(NEXT) | instid1(VALU_DEP_1)
	v_fma_f32 v57, -v51, v53, v54
	v_fmac_f32_e32 v53, v57, v52
	s_delay_alu instid0(VALU_DEP_1) | instskip(SKIP_1) | instid1(VALU_DEP_1)
	v_fma_f32 v51, -v51, v53, v54
	s_wait_alu 0xfffd
	v_div_fmas_f32 v51, v51, v52, v53
	s_delay_alu instid0(VALU_DEP_1) | instskip(NEXT) | instid1(VALU_DEP_1)
	v_div_fixup_f32 v52, v51, v49, v50
	v_fmac_f32_e32 v49, v50, v52
	s_delay_alu instid0(VALU_DEP_1) | instskip(SKIP_1) | instid1(VALU_DEP_2)
	v_div_scale_f32 v50, null, v49, v49, 1.0
	v_div_scale_f32 v54, vcc_lo, 1.0, v49, 1.0
	v_rcp_f32_e32 v51, v50
	s_delay_alu instid0(TRANS32_DEP_1) | instskip(NEXT) | instid1(VALU_DEP_1)
	v_fma_f32 v53, -v50, v51, 1.0
	v_fmac_f32_e32 v51, v53, v51
	s_delay_alu instid0(VALU_DEP_1) | instskip(NEXT) | instid1(VALU_DEP_1)
	v_mul_f32_e32 v53, v54, v51
	v_fma_f32 v57, -v50, v53, v54
	s_delay_alu instid0(VALU_DEP_1) | instskip(NEXT) | instid1(VALU_DEP_1)
	v_fmac_f32_e32 v53, v57, v51
	v_fma_f32 v50, -v50, v53, v54
	s_wait_alu 0xfffd
	s_delay_alu instid0(VALU_DEP_1) | instskip(NEXT) | instid1(VALU_DEP_1)
	v_div_fmas_f32 v50, v50, v51, v53
	v_div_fixup_f32 v51, v50, v49, 1.0
	s_delay_alu instid0(VALU_DEP_1)
	v_xor_b32_e32 v53, 0x80000000, v51
	v_mul_f32_e64 v52, v52, -v51
.LBB23_17:
	s_wait_alu 0xfffe
	s_or_b32 exec_lo, exec_lo, s1
	scratch_store_b64 v56, v[51:52], off
	scratch_load_b64 v[50:51], off, off offset:8
	v_xor_b32_e32 v54, 0x80000000, v52
	v_add_nc_u32_e32 v49, 0xc0, v55
	s_wait_loadcnt 0x0
	ds_store_2addr_b64 v55, v[53:54], v[50:51] offset1:24
	s_wait_storecnt_dscnt 0x0
	s_barrier_signal -1
	s_barrier_wait -1
	global_inv scope:SCOPE_SE
	s_and_saveexec_b32 s1, s0
	s_cbranch_execz .LBB23_19
; %bb.18:
	scratch_load_b64 v[50:51], v56, off
	ds_load_b64 v[52:53], v49
	v_mov_b32_e32 v54, 0
	ds_load_b64 v[57:58], v54 offset:8
	s_wait_loadcnt_dscnt 0x1
	v_mul_f32_e32 v54, v52, v51
	v_mul_f32_e32 v51, v53, v51
	s_delay_alu instid0(VALU_DEP_2) | instskip(NEXT) | instid1(VALU_DEP_2)
	v_fmac_f32_e32 v54, v53, v50
	v_fma_f32 v50, v52, v50, -v51
	s_delay_alu instid0(VALU_DEP_2) | instskip(NEXT) | instid1(VALU_DEP_2)
	v_add_f32_e32 v52, 0, v54
	v_add_f32_e32 v50, 0, v50
	s_wait_dscnt 0x0
	s_delay_alu instid0(VALU_DEP_2) | instskip(NEXT) | instid1(VALU_DEP_2)
	v_mul_f32_e32 v53, v52, v58
	v_mul_f32_e32 v51, v50, v58
	s_delay_alu instid0(VALU_DEP_2) | instskip(NEXT) | instid1(VALU_DEP_2)
	v_fma_f32 v50, v50, v57, -v53
	v_fmac_f32_e32 v51, v52, v57
	scratch_store_b64 off, v[50:51], off offset:8
.LBB23_19:
	s_wait_alu 0xfffe
	s_or_b32 exec_lo, exec_lo, s1
	s_wait_loadcnt 0x0
	s_wait_storecnt 0x0
	s_barrier_signal -1
	s_barrier_wait -1
	global_inv scope:SCOPE_SE
	scratch_load_b64 v[50:51], off, off offset:16
	s_mov_b32 s1, exec_lo
	s_wait_loadcnt 0x0
	ds_store_b64 v49, v[50:51]
	s_wait_dscnt 0x0
	s_barrier_signal -1
	s_barrier_wait -1
	global_inv scope:SCOPE_SE
	v_cmpx_gt_u32_e32 2, v0
	s_cbranch_execz .LBB23_23
; %bb.20:
	scratch_load_b64 v[50:51], v56, off
	ds_load_b64 v[52:53], v49
	s_wait_loadcnt_dscnt 0x0
	v_mul_f32_e32 v54, v53, v51
	v_mul_f32_e32 v57, v52, v51
	s_delay_alu instid0(VALU_DEP_2) | instskip(NEXT) | instid1(VALU_DEP_2)
	v_fma_f32 v51, v52, v50, -v54
	v_fmac_f32_e32 v57, v53, v50
	s_delay_alu instid0(VALU_DEP_1)
	v_dual_add_f32 v51, 0, v51 :: v_dual_add_f32 v50, 0, v57
	s_and_saveexec_b32 s4, s0
	s_cbranch_execz .LBB23_22
; %bb.21:
	scratch_load_b64 v[52:53], off, off offset:8
	v_mov_b32_e32 v54, 0
	ds_load_b64 v[57:58], v54 offset:200
	s_wait_loadcnt_dscnt 0x0
	v_mul_f32_e32 v54, v57, v53
	v_mul_f32_e32 v53, v58, v53
	s_delay_alu instid0(VALU_DEP_2) | instskip(NEXT) | instid1(VALU_DEP_2)
	v_fmac_f32_e32 v54, v58, v52
	v_fma_f32 v52, v57, v52, -v53
	s_delay_alu instid0(VALU_DEP_1)
	v_dual_add_f32 v50, v50, v54 :: v_dual_add_f32 v51, v51, v52
.LBB23_22:
	s_wait_alu 0xfffe
	s_or_b32 exec_lo, exec_lo, s4
	v_mov_b32_e32 v52, 0
	ds_load_b64 v[52:53], v52 offset:16
	s_wait_dscnt 0x0
	v_mul_f32_e32 v57, v50, v53
	v_mul_f32_e32 v54, v51, v53
	s_delay_alu instid0(VALU_DEP_2) | instskip(NEXT) | instid1(VALU_DEP_2)
	v_fma_f32 v53, v51, v52, -v57
	v_fmac_f32_e32 v54, v50, v52
	scratch_store_b64 off, v[53:54], off offset:16
.LBB23_23:
	s_wait_alu 0xfffe
	s_or_b32 exec_lo, exec_lo, s1
	s_wait_loadcnt 0x0
	s_wait_storecnt 0x0
	s_barrier_signal -1
	s_barrier_wait -1
	global_inv scope:SCOPE_SE
	scratch_load_b64 v[51:52], off, off offset:24
	v_add_nc_u32_e32 v50, -1, v0
	s_mov_b32 s0, exec_lo
	s_wait_loadcnt 0x0
	ds_store_b64 v49, v[51:52]
	s_wait_dscnt 0x0
	s_barrier_signal -1
	s_barrier_wait -1
	global_inv scope:SCOPE_SE
	v_cmpx_gt_u32_e32 3, v0
	s_cbranch_execz .LBB23_27
; %bb.24:
	v_dual_mov_b32 v51, 0 :: v_dual_add_nc_u32 v52, -1, v0
	v_dual_mov_b32 v54, v55 :: v_dual_add_nc_u32 v53, 0xc0, v55
	v_mov_b32_e32 v57, 0
	s_mov_b32 s1, 0
.LBB23_25:                              ; =>This Inner Loop Header: Depth=1
	scratch_load_b64 v[58:59], v54, off
	ds_load_b64 v[60:61], v53
	v_add_nc_u32_e32 v52, 1, v52
	v_add_nc_u32_e32 v53, 8, v53
	s_delay_alu instid0(VALU_DEP_2)
	v_cmp_lt_u32_e32 vcc_lo, 1, v52
	s_wait_alu 0xfffe
	s_or_b32 s1, vcc_lo, s1
	s_wait_loadcnt_dscnt 0x0
	v_mul_f32_e32 v62, v61, v59
	v_mul_f32_e32 v59, v60, v59
	s_delay_alu instid0(VALU_DEP_2) | instskip(NEXT) | instid1(VALU_DEP_2)
	v_fma_f32 v60, v60, v58, -v62
	v_fmac_f32_e32 v59, v61, v58
	s_delay_alu instid0(VALU_DEP_2) | instskip(NEXT) | instid1(VALU_DEP_2)
	v_dual_add_f32 v57, v57, v60 :: v_dual_add_nc_u32 v54, 8, v54
	v_add_f32_e32 v51, v51, v59
	s_wait_alu 0xfffe
	s_and_not1_b32 exec_lo, exec_lo, s1
	s_cbranch_execnz .LBB23_25
; %bb.26:
	s_or_b32 exec_lo, exec_lo, s1
	v_mov_b32_e32 v52, 0
	ds_load_b64 v[52:53], v52 offset:24
	s_wait_dscnt 0x0
	v_mul_f32_e32 v58, v51, v53
	v_mul_f32_e32 v54, v57, v53
	s_delay_alu instid0(VALU_DEP_2) | instskip(NEXT) | instid1(VALU_DEP_2)
	v_fma_f32 v53, v57, v52, -v58
	v_fmac_f32_e32 v54, v51, v52
	scratch_store_b64 off, v[53:54], off offset:24
.LBB23_27:
	s_wait_alu 0xfffe
	s_or_b32 exec_lo, exec_lo, s0
	s_wait_loadcnt 0x0
	s_wait_storecnt 0x0
	s_barrier_signal -1
	s_barrier_wait -1
	global_inv scope:SCOPE_SE
	scratch_load_b64 v[51:52], off, off offset:32
	s_mov_b32 s0, exec_lo
	s_wait_loadcnt 0x0
	ds_store_b64 v49, v[51:52]
	s_wait_dscnt 0x0
	s_barrier_signal -1
	s_barrier_wait -1
	global_inv scope:SCOPE_SE
	v_cmpx_gt_u32_e32 4, v0
	s_cbranch_execz .LBB23_31
; %bb.28:
	v_dual_mov_b32 v51, 0 :: v_dual_add_nc_u32 v52, -1, v0
	v_dual_mov_b32 v54, v55 :: v_dual_add_nc_u32 v53, 0xc0, v55
	v_mov_b32_e32 v57, 0
	s_mov_b32 s1, 0
.LBB23_29:                              ; =>This Inner Loop Header: Depth=1
	scratch_load_b64 v[58:59], v54, off
	ds_load_b64 v[60:61], v53
	v_add_nc_u32_e32 v52, 1, v52
	v_add_nc_u32_e32 v53, 8, v53
	s_delay_alu instid0(VALU_DEP_2)
	v_cmp_lt_u32_e32 vcc_lo, 2, v52
	s_wait_alu 0xfffe
	s_or_b32 s1, vcc_lo, s1
	s_wait_loadcnt_dscnt 0x0
	v_mul_f32_e32 v62, v61, v59
	v_mul_f32_e32 v59, v60, v59
	s_delay_alu instid0(VALU_DEP_2) | instskip(NEXT) | instid1(VALU_DEP_2)
	v_fma_f32 v60, v60, v58, -v62
	v_fmac_f32_e32 v59, v61, v58
	s_delay_alu instid0(VALU_DEP_2) | instskip(NEXT) | instid1(VALU_DEP_2)
	v_dual_add_f32 v57, v57, v60 :: v_dual_add_nc_u32 v54, 8, v54
	v_add_f32_e32 v51, v51, v59
	s_wait_alu 0xfffe
	s_and_not1_b32 exec_lo, exec_lo, s1
	s_cbranch_execnz .LBB23_29
; %bb.30:
	s_or_b32 exec_lo, exec_lo, s1
	v_mov_b32_e32 v52, 0
	ds_load_b64 v[52:53], v52 offset:32
	s_wait_dscnt 0x0
	v_mul_f32_e32 v58, v51, v53
	v_mul_f32_e32 v54, v57, v53
	s_delay_alu instid0(VALU_DEP_2) | instskip(NEXT) | instid1(VALU_DEP_2)
	v_fma_f32 v53, v57, v52, -v58
	v_fmac_f32_e32 v54, v51, v52
	scratch_store_b64 off, v[53:54], off offset:32
.LBB23_31:
	s_wait_alu 0xfffe
	s_or_b32 exec_lo, exec_lo, s0
	s_wait_loadcnt 0x0
	s_wait_storecnt 0x0
	s_barrier_signal -1
	s_barrier_wait -1
	global_inv scope:SCOPE_SE
	scratch_load_b64 v[51:52], off, off offset:40
	;; [unrolled: 55-line block ×19, first 2 shown]
	s_mov_b32 s0, exec_lo
	s_wait_loadcnt 0x0
	ds_store_b64 v49, v[51:52]
	s_wait_dscnt 0x0
	s_barrier_signal -1
	s_barrier_wait -1
	global_inv scope:SCOPE_SE
	v_cmpx_gt_u32_e32 22, v0
	s_cbranch_execz .LBB23_103
; %bb.100:
	v_dual_mov_b32 v51, 0 :: v_dual_add_nc_u32 v52, -1, v0
	v_dual_mov_b32 v54, v55 :: v_dual_add_nc_u32 v53, 0xc0, v55
	v_mov_b32_e32 v55, 0
	s_mov_b32 s1, 0
.LBB23_101:                             ; =>This Inner Loop Header: Depth=1
	scratch_load_b64 v[57:58], v54, off
	ds_load_b64 v[59:60], v53
	v_add_nc_u32_e32 v54, 8, v54
	v_add_nc_u32_e32 v52, 1, v52
	;; [unrolled: 1-line block ×3, first 2 shown]
	s_delay_alu instid0(VALU_DEP_2)
	v_cmp_lt_u32_e32 vcc_lo, 20, v52
	s_wait_alu 0xfffe
	s_or_b32 s1, vcc_lo, s1
	s_wait_loadcnt_dscnt 0x0
	v_mul_f32_e32 v61, v60, v58
	v_mul_f32_e32 v58, v59, v58
	s_delay_alu instid0(VALU_DEP_2) | instskip(NEXT) | instid1(VALU_DEP_1)
	v_fma_f32 v59, v59, v57, -v61
	v_dual_fmac_f32 v58, v60, v57 :: v_dual_add_f32 v55, v55, v59
	s_delay_alu instid0(VALU_DEP_1)
	v_add_f32_e32 v51, v51, v58
	s_wait_alu 0xfffe
	s_and_not1_b32 exec_lo, exec_lo, s1
	s_cbranch_execnz .LBB23_101
; %bb.102:
	s_or_b32 exec_lo, exec_lo, s1
	v_mov_b32_e32 v52, 0
	ds_load_b64 v[52:53], v52 offset:176
	s_wait_dscnt 0x0
	v_mul_f32_e32 v57, v51, v53
	v_mul_f32_e32 v54, v55, v53
	s_delay_alu instid0(VALU_DEP_2) | instskip(NEXT) | instid1(VALU_DEP_2)
	v_fma_f32 v53, v55, v52, -v57
	v_fmac_f32_e32 v54, v51, v52
	scratch_store_b64 off, v[53:54], off offset:176
.LBB23_103:
	s_wait_alu 0xfffe
	s_or_b32 exec_lo, exec_lo, s0
	s_wait_loadcnt 0x0
	s_wait_storecnt 0x0
	s_barrier_signal -1
	s_barrier_wait -1
	global_inv scope:SCOPE_SE
	scratch_load_b64 v[51:52], off, off offset:184
	s_mov_b32 s0, exec_lo
	s_wait_loadcnt 0x0
	ds_store_b64 v49, v[51:52]
	s_wait_dscnt 0x0
	s_barrier_signal -1
	s_barrier_wait -1
	global_inv scope:SCOPE_SE
	v_cmpx_ne_u32_e32 23, v0
	s_cbranch_execz .LBB23_107
; %bb.104:
	v_dual_mov_b32 v51, 0 :: v_dual_mov_b32 v52, 0
	s_mov_b32 s1, 0
.LBB23_105:                             ; =>This Inner Loop Header: Depth=1
	scratch_load_b64 v[53:54], v56, off
	ds_load_b64 v[57:58], v49
	v_add_nc_u32_e32 v50, 1, v50
	v_add_nc_u32_e32 v49, 8, v49
	;; [unrolled: 1-line block ×3, first 2 shown]
	s_delay_alu instid0(VALU_DEP_3)
	v_cmp_lt_u32_e32 vcc_lo, 21, v50
	s_wait_alu 0xfffe
	s_or_b32 s1, vcc_lo, s1
	s_wait_loadcnt_dscnt 0x0
	v_mul_f32_e32 v55, v58, v54
	v_mul_f32_e32 v54, v57, v54
	s_delay_alu instid0(VALU_DEP_2) | instskip(NEXT) | instid1(VALU_DEP_2)
	v_fma_f32 v55, v57, v53, -v55
	v_fmac_f32_e32 v54, v58, v53
	s_delay_alu instid0(VALU_DEP_1)
	v_dual_add_f32 v52, v52, v55 :: v_dual_add_f32 v51, v51, v54
	s_wait_alu 0xfffe
	s_and_not1_b32 exec_lo, exec_lo, s1
	s_cbranch_execnz .LBB23_105
; %bb.106:
	s_or_b32 exec_lo, exec_lo, s1
	v_mov_b32_e32 v49, 0
	ds_load_b64 v[49:50], v49 offset:184
	s_wait_dscnt 0x0
	v_mul_f32_e32 v54, v51, v50
	v_mul_f32_e32 v53, v52, v50
	s_delay_alu instid0(VALU_DEP_2) | instskip(NEXT) | instid1(VALU_DEP_2)
	v_fma_f32 v52, v52, v49, -v54
	v_fmac_f32_e32 v53, v51, v49
	scratch_store_b64 off, v[52:53], off offset:184
.LBB23_107:
	s_wait_alu 0xfffe
	s_or_b32 exec_lo, exec_lo, s0
	s_mov_b32 s1, -1
	s_wait_loadcnt 0x0
	s_wait_storecnt 0x0
	s_barrier_signal -1
	s_barrier_wait -1
	global_inv scope:SCOPE_SE
.LBB23_108:
	s_wait_alu 0xfffe
	s_and_b32 vcc_lo, exec_lo, s1
	s_wait_alu 0xfffe
	s_cbranch_vccz .LBB23_110
; %bb.109:
	v_mov_b32_e32 v49, 0
	s_lshl_b64 s[0:1], s[16:17], 2
	s_wait_alu 0xfffe
	s_add_nc_u64 s[0:1], s[6:7], s[0:1]
	global_load_b32 v49, v49, s[0:1]
	s_wait_loadcnt 0x0
	v_cmp_ne_u32_e32 vcc_lo, 0, v49
	s_cbranch_vccz .LBB23_111
.LBB23_110:
	s_nop 0
	s_sendmsg sendmsg(MSG_DEALLOC_VGPRS)
	s_endpgm
.LBB23_111:
	v_lshl_add_u32 v51, v0, 3, 0xc0
	s_mov_b32 s0, exec_lo
	v_cmpx_eq_u32_e32 23, v0
	s_cbranch_execz .LBB23_113
; %bb.112:
	scratch_load_b64 v[49:50], off, off offset:176
	v_mov_b32_e32 v52, 0
	s_delay_alu instid0(VALU_DEP_1)
	v_mov_b32_e32 v53, v52
	scratch_store_b64 off, v[52:53], off offset:176
	s_wait_loadcnt 0x0
	ds_store_b64 v51, v[49:50]
.LBB23_113:
	s_wait_alu 0xfffe
	s_or_b32 exec_lo, exec_lo, s0
	s_wait_storecnt_dscnt 0x0
	s_barrier_signal -1
	s_barrier_wait -1
	global_inv scope:SCOPE_SE
	s_clause 0x1
	scratch_load_b64 v[52:53], off, off offset:184
	scratch_load_b64 v[54:55], off, off offset:176
	v_mov_b32_e32 v49, 0
	s_mov_b32 s0, exec_lo
	ds_load_b64 v[56:57], v49 offset:376
	s_wait_loadcnt_dscnt 0x100
	v_mul_f32_e32 v50, v57, v53
	s_delay_alu instid0(VALU_DEP_1) | instskip(NEXT) | instid1(VALU_DEP_1)
	v_fma_f32 v50, v56, v52, -v50
	v_dual_mul_f32 v53, v56, v53 :: v_dual_add_f32 v50, 0, v50
	s_wait_loadcnt 0x0
	s_delay_alu instid0(VALU_DEP_1) | instskip(NEXT) | instid1(VALU_DEP_1)
	v_dual_fmac_f32 v53, v57, v52 :: v_dual_sub_f32 v52, v54, v50
	v_add_f32_e32 v53, 0, v53
	s_delay_alu instid0(VALU_DEP_1)
	v_sub_f32_e32 v53, v55, v53
	scratch_store_b64 off, v[52:53], off offset:176
	v_cmpx_lt_u32_e32 21, v0
	s_cbranch_execz .LBB23_115
; %bb.114:
	scratch_load_b64 v[52:53], off, off offset:168
	v_mov_b32_e32 v50, v49
	scratch_store_b64 off, v[49:50], off offset:168
	s_wait_loadcnt 0x0
	ds_store_b64 v51, v[52:53]
.LBB23_115:
	s_wait_alu 0xfffe
	s_or_b32 exec_lo, exec_lo, s0
	s_wait_storecnt_dscnt 0x0
	s_barrier_signal -1
	s_barrier_wait -1
	global_inv scope:SCOPE_SE
	s_clause 0x1
	scratch_load_b128 v[52:55], off, off offset:176
	scratch_load_b64 v[60:61], off, off offset:168
	ds_load_b128 v[56:59], v49 offset:368
	s_mov_b32 s0, exec_lo
	s_wait_loadcnt_dscnt 0x100
	v_mul_f32_e32 v50, v56, v53
	s_delay_alu instid0(VALU_DEP_1) | instskip(SKIP_2) | instid1(VALU_DEP_1)
	v_fmac_f32_e32 v50, v57, v52
	v_mul_f32_e32 v49, v57, v53
	v_mul_f32_e32 v53, v58, v55
	v_fmac_f32_e32 v53, v59, v54
	s_delay_alu instid0(VALU_DEP_4) | instskip(NEXT) | instid1(VALU_DEP_4)
	v_dual_add_f32 v50, 0, v50 :: v_dual_mul_f32 v55, v59, v55
	v_fma_f32 v49, v56, v52, -v49
	s_delay_alu instid0(VALU_DEP_2) | instskip(NEXT) | instid1(VALU_DEP_3)
	v_add_f32_e32 v50, v50, v53
	v_fma_f32 v52, v58, v54, -v55
	s_wait_loadcnt 0x0
	s_delay_alu instid0(VALU_DEP_2) | instskip(NEXT) | instid1(VALU_DEP_1)
	v_dual_add_f32 v49, 0, v49 :: v_dual_sub_f32 v50, v61, v50
	v_add_f32_e32 v49, v49, v52
	s_delay_alu instid0(VALU_DEP_1)
	v_sub_f32_e32 v49, v60, v49
	scratch_store_b64 off, v[49:50], off offset:168
	v_cmpx_lt_u32_e32 20, v0
	s_cbranch_execz .LBB23_117
; %bb.116:
	scratch_load_b64 v[49:50], off, off offset:160
	v_mov_b32_e32 v52, 0
	s_delay_alu instid0(VALU_DEP_1)
	v_mov_b32_e32 v53, v52
	scratch_store_b64 off, v[52:53], off offset:160
	s_wait_loadcnt 0x0
	ds_store_b64 v51, v[49:50]
.LBB23_117:
	s_wait_alu 0xfffe
	s_or_b32 exec_lo, exec_lo, s0
	s_wait_storecnt_dscnt 0x0
	s_barrier_signal -1
	s_barrier_wait -1
	global_inv scope:SCOPE_SE
	s_clause 0x2
	scratch_load_b128 v[52:55], off, off offset:168
	scratch_load_b64 v[60:61], off, off offset:184
	scratch_load_b64 v[62:63], off, off offset:160
	v_mov_b32_e32 v49, 0
	ds_load_2addr_b64 v[56:59], v49 offset0:45 offset1:46
	ds_load_b64 v[64:65], v49 offset:376
	s_mov_b32 s0, exec_lo
	s_wait_loadcnt_dscnt 0x201
	v_mul_f32_e32 v50, v57, v53
	v_dual_mul_f32 v53, v56, v53 :: v_dual_mul_f32 v66, v58, v55
	v_mul_f32_e32 v55, v59, v55
	s_wait_loadcnt_dscnt 0x100
	v_mul_f32_e32 v67, v64, v61
	v_fma_f32 v50, v56, v52, -v50
	v_fmac_f32_e32 v53, v57, v52
	v_mul_f32_e32 v52, v65, v61
	v_fmac_f32_e32 v66, v59, v54
	v_fma_f32 v54, v58, v54, -v55
	s_delay_alu instid0(VALU_DEP_4) | instskip(NEXT) | instid1(VALU_DEP_4)
	v_dual_add_f32 v50, 0, v50 :: v_dual_add_f32 v53, 0, v53
	v_fma_f32 v52, v64, v60, -v52
	s_delay_alu instid0(VALU_DEP_2) | instskip(NEXT) | instid1(VALU_DEP_1)
	v_add_f32_e32 v50, v50, v54
	v_dual_add_f32 v53, v53, v66 :: v_dual_add_f32 v50, v50, v52
	s_wait_loadcnt 0x0
	s_delay_alu instid0(VALU_DEP_1) | instskip(NEXT) | instid1(VALU_DEP_1)
	v_dual_fmac_f32 v67, v65, v60 :: v_dual_sub_f32 v52, v62, v50
	v_add_f32_e32 v53, v53, v67
	s_delay_alu instid0(VALU_DEP_1)
	v_sub_f32_e32 v53, v63, v53
	scratch_store_b64 off, v[52:53], off offset:160
	v_cmpx_lt_u32_e32 19, v0
	s_cbranch_execz .LBB23_119
; %bb.118:
	scratch_load_b64 v[52:53], off, off offset:152
	v_mov_b32_e32 v50, v49
	scratch_store_b64 off, v[49:50], off offset:152
	s_wait_loadcnt 0x0
	ds_store_b64 v51, v[52:53]
.LBB23_119:
	s_wait_alu 0xfffe
	s_or_b32 exec_lo, exec_lo, s0
	s_wait_storecnt_dscnt 0x0
	s_barrier_signal -1
	s_barrier_wait -1
	global_inv scope:SCOPE_SE
	s_clause 0x2
	scratch_load_b128 v[52:55], off, off offset:160
	scratch_load_b128 v[56:59], off, off offset:176
	scratch_load_b64 v[68:69], off, off offset:152
	ds_load_b128 v[60:63], v49 offset:352
	ds_load_b128 v[64:67], v49 offset:368
	s_mov_b32 s0, exec_lo
	s_wait_loadcnt_dscnt 0x201
	v_mul_f32_e32 v50, v61, v53
	s_wait_loadcnt_dscnt 0x100
	v_dual_mul_f32 v70, v64, v57 :: v_dual_mul_f32 v71, v66, v59
	s_delay_alu instid0(VALU_DEP_2) | instskip(SKIP_2) | instid1(VALU_DEP_4)
	v_fma_f32 v50, v60, v52, -v50
	v_mul_f32_e32 v49, v60, v53
	v_mul_f32_e32 v53, v62, v55
	v_dual_mul_f32 v55, v63, v55 :: v_dual_fmac_f32 v70, v65, v56
	s_delay_alu instid0(VALU_DEP_3) | instskip(NEXT) | instid1(VALU_DEP_3)
	v_dual_add_f32 v50, 0, v50 :: v_dual_fmac_f32 v49, v61, v52
	v_dual_mul_f32 v52, v65, v57 :: v_dual_fmac_f32 v53, v63, v54
	s_delay_alu instid0(VALU_DEP_3) | instskip(SKIP_1) | instid1(VALU_DEP_3)
	v_fma_f32 v54, v62, v54, -v55
	v_fmac_f32_e32 v71, v67, v58
	v_fma_f32 v52, v64, v56, -v52
	s_delay_alu instid0(VALU_DEP_3) | instskip(NEXT) | instid1(VALU_DEP_1)
	v_dual_add_f32 v50, v50, v54 :: v_dual_add_f32 v49, 0, v49
	v_dual_add_f32 v50, v50, v52 :: v_dual_mul_f32 v55, v67, v59
	s_delay_alu instid0(VALU_DEP_2) | instskip(NEXT) | instid1(VALU_DEP_2)
	v_add_f32_e32 v49, v49, v53
	v_fma_f32 v53, v66, v58, -v55
	s_delay_alu instid0(VALU_DEP_1) | instskip(SKIP_1) | instid1(VALU_DEP_1)
	v_dual_add_f32 v49, v49, v70 :: v_dual_add_f32 v50, v50, v53
	s_wait_loadcnt 0x0
	v_dual_add_f32 v52, v49, v71 :: v_dual_sub_f32 v49, v68, v50
	s_delay_alu instid0(VALU_DEP_1)
	v_sub_f32_e32 v50, v69, v52
	scratch_store_b64 off, v[49:50], off offset:152
	v_cmpx_lt_u32_e32 18, v0
	s_cbranch_execz .LBB23_121
; %bb.120:
	scratch_load_b64 v[49:50], off, off offset:144
	v_mov_b32_e32 v52, 0
	s_delay_alu instid0(VALU_DEP_1)
	v_mov_b32_e32 v53, v52
	scratch_store_b64 off, v[52:53], off offset:144
	s_wait_loadcnt 0x0
	ds_store_b64 v51, v[49:50]
.LBB23_121:
	s_wait_alu 0xfffe
	s_or_b32 exec_lo, exec_lo, s0
	s_wait_storecnt_dscnt 0x0
	s_barrier_signal -1
	s_barrier_wait -1
	global_inv scope:SCOPE_SE
	s_clause 0x3
	scratch_load_b128 v[52:55], off, off offset:152
	scratch_load_b128 v[56:59], off, off offset:168
	scratch_load_b64 v[68:69], off, off offset:184
	scratch_load_b64 v[70:71], off, off offset:144
	v_mov_b32_e32 v49, 0
	ds_load_2addr_b64 v[60:63], v49 offset0:43 offset1:44
	ds_load_2addr_b64 v[64:67], v49 offset0:45 offset1:46
	ds_load_b64 v[72:73], v49 offset:376
	s_mov_b32 s0, exec_lo
	s_wait_loadcnt_dscnt 0x302
	v_mul_f32_e32 v50, v60, v53
	v_dual_mul_f32 v74, v62, v55 :: v_dual_mul_f32 v53, v61, v53
	s_wait_loadcnt_dscnt 0x100
	v_mul_f32_e32 v77, v72, v69
	v_dual_mul_f32 v75, v64, v57 :: v_dual_mul_f32 v76, v66, v59
	v_dual_fmac_f32 v50, v61, v52 :: v_dual_mul_f32 v55, v63, v55
	v_fma_f32 v53, v60, v52, -v53
	v_fmac_f32_e32 v74, v63, v54
	v_mul_f32_e32 v52, v65, v57
	s_delay_alu instid0(VALU_DEP_4) | instskip(SKIP_3) | instid1(VALU_DEP_4)
	v_add_f32_e32 v50, 0, v50
	v_fma_f32 v54, v62, v54, -v55
	v_add_f32_e32 v53, 0, v53
	v_mul_f32_e32 v55, v67, v59
	v_dual_fmac_f32 v75, v65, v56 :: v_dual_add_f32 v50, v50, v74
	v_dual_fmac_f32 v76, v67, v58 :: v_dual_fmac_f32 v77, v73, v68
	s_delay_alu instid0(VALU_DEP_4) | instskip(SKIP_1) | instid1(VALU_DEP_4)
	v_add_f32_e32 v53, v53, v54
	v_fma_f32 v52, v64, v56, -v52
	v_add_f32_e32 v50, v50, v75
	v_fma_f32 v55, v66, v58, -v55
	s_delay_alu instid0(VALU_DEP_3) | instskip(NEXT) | instid1(VALU_DEP_3)
	v_add_f32_e32 v52, v53, v52
	v_add_f32_e32 v50, v50, v76
	s_delay_alu instid0(VALU_DEP_2) | instskip(NEXT) | instid1(VALU_DEP_2)
	v_add_f32_e32 v52, v52, v55
	v_add_f32_e32 v50, v50, v77
	v_mul_f32_e32 v54, v73, v69
	s_delay_alu instid0(VALU_DEP_1) | instskip(SKIP_1) | instid1(VALU_DEP_1)
	v_fma_f32 v53, v72, v68, -v54
	s_wait_loadcnt 0x0
	v_dual_add_f32 v52, v52, v53 :: v_dual_sub_f32 v53, v71, v50
	s_delay_alu instid0(VALU_DEP_1)
	v_sub_f32_e32 v52, v70, v52
	scratch_store_b64 off, v[52:53], off offset:144
	v_cmpx_lt_u32_e32 17, v0
	s_cbranch_execz .LBB23_123
; %bb.122:
	scratch_load_b64 v[52:53], off, off offset:136
	v_mov_b32_e32 v50, v49
	scratch_store_b64 off, v[49:50], off offset:136
	s_wait_loadcnt 0x0
	ds_store_b64 v51, v[52:53]
.LBB23_123:
	s_wait_alu 0xfffe
	s_or_b32 exec_lo, exec_lo, s0
	s_wait_storecnt_dscnt 0x0
	s_barrier_signal -1
	s_barrier_wait -1
	global_inv scope:SCOPE_SE
	s_clause 0x3
	scratch_load_b128 v[52:55], off, off offset:144
	scratch_load_b128 v[56:59], off, off offset:160
	;; [unrolled: 1-line block ×3, first 2 shown]
	scratch_load_b64 v[76:77], off, off offset:136
	ds_load_b128 v[64:67], v49 offset:336
	ds_load_b128 v[68:71], v49 offset:352
	;; [unrolled: 1-line block ×3, first 2 shown]
	s_mov_b32 s0, exec_lo
	s_wait_loadcnt_dscnt 0x302
	v_dual_mul_f32 v49, v64, v53 :: v_dual_mul_f32 v50, v66, v55
	v_mul_f32_e32 v53, v65, v53
	s_wait_loadcnt_dscnt 0x201
	v_dual_mul_f32 v55, v67, v55 :: v_dual_mul_f32 v78, v68, v57
	s_delay_alu instid0(VALU_DEP_3) | instskip(NEXT) | instid1(VALU_DEP_3)
	v_dual_mul_f32 v79, v70, v59 :: v_dual_fmac_f32 v50, v67, v54
	v_fma_f32 v53, v64, v52, -v53
	v_fmac_f32_e32 v49, v65, v52
	v_mul_f32_e32 v52, v69, v57
	v_fma_f32 v54, v66, v54, -v55
	v_mul_f32_e32 v55, v71, v59
	v_dual_add_f32 v53, 0, v53 :: v_dual_fmac_f32 v78, v69, v56
	s_delay_alu instid0(VALU_DEP_4) | instskip(SKIP_2) | instid1(VALU_DEP_3)
	v_fma_f32 v52, v68, v56, -v52
	s_wait_loadcnt_dscnt 0x100
	v_dual_mul_f32 v80, v72, v61 :: v_dual_mul_f32 v81, v74, v63
	v_add_f32_e32 v53, v53, v54
	v_fmac_f32_e32 v79, v71, v58
	v_fma_f32 v54, v70, v58, -v55
	s_delay_alu instid0(VALU_DEP_4) | instskip(NEXT) | instid1(VALU_DEP_4)
	v_dual_fmac_f32 v80, v73, v60 :: v_dual_fmac_f32 v81, v75, v62
	v_add_f32_e32 v52, v53, v52
	s_delay_alu instid0(VALU_DEP_1) | instskip(SKIP_1) | instid1(VALU_DEP_1)
	v_dual_add_f32 v52, v52, v54 :: v_dual_add_f32 v49, 0, v49
	v_mul_f32_e32 v53, v75, v63
	v_fma_f32 v53, v74, v62, -v53
	s_delay_alu instid0(VALU_DEP_3) | instskip(SKIP_1) | instid1(VALU_DEP_1)
	v_add_f32_e32 v49, v49, v50
	v_mul_f32_e32 v50, v73, v61
	v_fma_f32 v50, v72, v60, -v50
	s_delay_alu instid0(VALU_DEP_1) | instskip(NEXT) | instid1(VALU_DEP_1)
	v_add_f32_e32 v50, v52, v50
	v_dual_add_f32 v50, v50, v53 :: v_dual_add_f32 v49, v49, v78
	s_delay_alu instid0(VALU_DEP_1) | instskip(NEXT) | instid1(VALU_DEP_1)
	v_add_f32_e32 v49, v49, v79
	v_add_f32_e32 v49, v49, v80
	s_wait_loadcnt 0x0
	s_delay_alu instid0(VALU_DEP_1) | instskip(NEXT) | instid1(VALU_DEP_1)
	v_dual_add_f32 v52, v49, v81 :: v_dual_sub_f32 v49, v76, v50
	v_sub_f32_e32 v50, v77, v52
	scratch_store_b64 off, v[49:50], off offset:136
	v_cmpx_lt_u32_e32 16, v0
	s_cbranch_execz .LBB23_125
; %bb.124:
	scratch_load_b64 v[49:50], off, off offset:128
	v_mov_b32_e32 v52, 0
	s_delay_alu instid0(VALU_DEP_1)
	v_mov_b32_e32 v53, v52
	scratch_store_b64 off, v[52:53], off offset:128
	s_wait_loadcnt 0x0
	ds_store_b64 v51, v[49:50]
.LBB23_125:
	s_wait_alu 0xfffe
	s_or_b32 exec_lo, exec_lo, s0
	s_wait_storecnt_dscnt 0x0
	s_barrier_signal -1
	s_barrier_wait -1
	global_inv scope:SCOPE_SE
	s_clause 0x4
	scratch_load_b128 v[52:55], off, off offset:136
	scratch_load_b128 v[56:59], off, off offset:152
	;; [unrolled: 1-line block ×3, first 2 shown]
	scratch_load_b64 v[76:77], off, off offset:184
	scratch_load_b64 v[78:79], off, off offset:128
	v_mov_b32_e32 v49, 0
	ds_load_2addr_b64 v[64:67], v49 offset0:41 offset1:42
	ds_load_2addr_b64 v[68:71], v49 offset0:43 offset1:44
	;; [unrolled: 1-line block ×3, first 2 shown]
	ds_load_b64 v[80:81], v49 offset:376
	s_mov_b32 s0, exec_lo
	s_wait_loadcnt_dscnt 0x403
	v_mul_f32_e32 v50, v64, v53
	s_wait_loadcnt_dscnt 0x302
	v_dual_mul_f32 v82, v66, v55 :: v_dual_mul_f32 v83, v68, v57
	v_dual_mul_f32 v84, v70, v59 :: v_dual_mul_f32 v53, v65, v53
	s_wait_loadcnt_dscnt 0x100
	v_dual_mul_f32 v87, v80, v77 :: v_dual_fmac_f32 v50, v65, v52
	v_mul_f32_e32 v55, v67, v55
	v_dual_mul_f32 v85, v72, v61 :: v_dual_mul_f32 v86, v74, v63
	v_fma_f32 v53, v64, v52, -v53
	v_fmac_f32_e32 v82, v67, v54
	v_add_f32_e32 v50, 0, v50
	v_mul_f32_e32 v52, v69, v57
	v_fma_f32 v54, v66, v54, -v55
	v_add_f32_e32 v53, 0, v53
	v_mul_f32_e32 v55, v71, v59
	v_dual_fmac_f32 v83, v69, v56 :: v_dual_add_f32 v50, v50, v82
	v_dual_fmac_f32 v84, v71, v58 :: v_dual_fmac_f32 v85, v73, v60
	s_delay_alu instid0(VALU_DEP_4) | instskip(SKIP_1) | instid1(VALU_DEP_4)
	v_add_f32_e32 v53, v53, v54
	v_dual_fmac_f32 v86, v75, v62 :: v_dual_fmac_f32 v87, v81, v76
	v_add_f32_e32 v50, v50, v83
	v_fma_f32 v52, v68, v56, -v52
	v_mul_f32_e32 v54, v73, v61
	v_fma_f32 v55, v70, v58, -v55
	s_delay_alu instid0(VALU_DEP_4) | instskip(NEXT) | instid1(VALU_DEP_1)
	v_add_f32_e32 v50, v50, v84
	v_add_f32_e32 v50, v50, v85
	s_delay_alu instid0(VALU_DEP_1) | instskip(NEXT) | instid1(VALU_DEP_1)
	v_add_f32_e32 v50, v50, v86
	v_add_f32_e32 v50, v50, v87
	v_dual_add_f32 v52, v53, v52 :: v_dual_mul_f32 v53, v75, v63
	v_fma_f32 v54, v72, v60, -v54
	s_delay_alu instid0(VALU_DEP_2) | instskip(NEXT) | instid1(VALU_DEP_3)
	v_dual_add_f32 v52, v52, v55 :: v_dual_mul_f32 v55, v81, v77
	v_fma_f32 v53, v74, v62, -v53
	s_delay_alu instid0(VALU_DEP_2) | instskip(NEXT) | instid1(VALU_DEP_3)
	v_add_f32_e32 v52, v52, v54
	v_fma_f32 v54, v80, v76, -v55
	s_wait_loadcnt 0x0
	s_delay_alu instid0(VALU_DEP_2) | instskip(NEXT) | instid1(VALU_DEP_1)
	v_dual_add_f32 v52, v52, v53 :: v_dual_sub_f32 v53, v79, v50
	v_add_f32_e32 v52, v52, v54
	s_delay_alu instid0(VALU_DEP_1)
	v_sub_f32_e32 v52, v78, v52
	scratch_store_b64 off, v[52:53], off offset:128
	v_cmpx_lt_u32_e32 15, v0
	s_cbranch_execz .LBB23_127
; %bb.126:
	scratch_load_b64 v[52:53], off, off offset:120
	v_mov_b32_e32 v50, v49
	scratch_store_b64 off, v[49:50], off offset:120
	s_wait_loadcnt 0x0
	ds_store_b64 v51, v[52:53]
.LBB23_127:
	s_wait_alu 0xfffe
	s_or_b32 exec_lo, exec_lo, s0
	s_wait_storecnt_dscnt 0x0
	s_barrier_signal -1
	s_barrier_wait -1
	global_inv scope:SCOPE_SE
	s_clause 0x4
	scratch_load_b128 v[52:55], off, off offset:128
	scratch_load_b128 v[56:59], off, off offset:144
	;; [unrolled: 1-line block ×4, first 2 shown]
	scratch_load_b64 v[84:85], off, off offset:120
	ds_load_b128 v[68:71], v49 offset:320
	ds_load_b128 v[72:75], v49 offset:336
	;; [unrolled: 1-line block ×4, first 2 shown]
	s_mov_b32 s0, exec_lo
	s_wait_loadcnt_dscnt 0x403
	v_dual_mul_f32 v49, v68, v53 :: v_dual_mul_f32 v50, v70, v55
	v_mul_f32_e32 v53, v69, v53
	s_wait_loadcnt_dscnt 0x302
	v_dual_mul_f32 v55, v71, v55 :: v_dual_mul_f32 v86, v72, v57
	s_delay_alu instid0(VALU_DEP_3) | instskip(NEXT) | instid1(VALU_DEP_3)
	v_dual_mul_f32 v87, v74, v59 :: v_dual_fmac_f32 v50, v71, v54
	v_fma_f32 v53, v68, v52, -v53
	v_fmac_f32_e32 v49, v69, v52
	v_mul_f32_e32 v52, v73, v57
	v_fma_f32 v54, v70, v54, -v55
	v_mul_f32_e32 v55, v75, v59
	v_dual_add_f32 v53, 0, v53 :: v_dual_fmac_f32 v86, v73, v56
	s_delay_alu instid0(VALU_DEP_4) | instskip(SKIP_2) | instid1(VALU_DEP_3)
	v_fma_f32 v52, v72, v56, -v52
	s_wait_loadcnt_dscnt 0x201
	v_dual_mul_f32 v88, v76, v61 :: v_dual_mul_f32 v89, v78, v63
	v_add_f32_e32 v53, v53, v54
	v_fmac_f32_e32 v87, v75, v58
	v_fma_f32 v54, v74, v58, -v55
	s_wait_loadcnt_dscnt 0x100
	v_dual_mul_f32 v90, v80, v65 :: v_dual_mul_f32 v91, v82, v67
	v_dual_add_f32 v52, v53, v52 :: v_dual_mul_f32 v53, v79, v63
	v_dual_fmac_f32 v88, v77, v60 :: v_dual_fmac_f32 v89, v79, v62
	s_delay_alu instid0(VALU_DEP_3) | instskip(NEXT) | instid1(VALU_DEP_3)
	v_fmac_f32_e32 v90, v81, v64
	v_dual_add_f32 v52, v52, v54 :: v_dual_add_f32 v49, 0, v49
	v_mul_f32_e32 v54, v81, v65
	v_fma_f32 v53, v78, v62, -v53
	v_fmac_f32_e32 v91, v83, v66
	s_delay_alu instid0(VALU_DEP_4) | instskip(SKIP_2) | instid1(VALU_DEP_2)
	v_add_f32_e32 v49, v49, v50
	v_mul_f32_e32 v50, v77, v61
	v_fma_f32 v54, v80, v64, -v54
	v_fma_f32 v50, v76, v60, -v50
	s_delay_alu instid0(VALU_DEP_1) | instskip(SKIP_1) | instid1(VALU_DEP_2)
	v_add_f32_e32 v50, v52, v50
	v_mul_f32_e32 v52, v83, v67
	v_add_f32_e32 v50, v50, v53
	s_delay_alu instid0(VALU_DEP_2) | instskip(NEXT) | instid1(VALU_DEP_2)
	v_fma_f32 v52, v82, v66, -v52
	v_add_f32_e32 v50, v50, v54
	s_delay_alu instid0(VALU_DEP_1) | instskip(NEXT) | instid1(VALU_DEP_1)
	v_dual_add_f32 v49, v49, v86 :: v_dual_add_f32 v50, v50, v52
	v_add_f32_e32 v49, v49, v87
	s_delay_alu instid0(VALU_DEP_1) | instskip(NEXT) | instid1(VALU_DEP_1)
	v_add_f32_e32 v49, v49, v88
	v_add_f32_e32 v49, v49, v89
	s_delay_alu instid0(VALU_DEP_1) | instskip(SKIP_1) | instid1(VALU_DEP_1)
	v_add_f32_e32 v49, v49, v90
	s_wait_loadcnt 0x0
	v_dual_add_f32 v52, v49, v91 :: v_dual_sub_f32 v49, v84, v50
	s_delay_alu instid0(VALU_DEP_1)
	v_sub_f32_e32 v50, v85, v52
	scratch_store_b64 off, v[49:50], off offset:120
	v_cmpx_lt_u32_e32 14, v0
	s_cbranch_execz .LBB23_129
; %bb.128:
	scratch_load_b64 v[49:50], off, off offset:112
	v_mov_b32_e32 v52, 0
	s_delay_alu instid0(VALU_DEP_1)
	v_mov_b32_e32 v53, v52
	scratch_store_b64 off, v[52:53], off offset:112
	s_wait_loadcnt 0x0
	ds_store_b64 v51, v[49:50]
.LBB23_129:
	s_wait_alu 0xfffe
	s_or_b32 exec_lo, exec_lo, s0
	s_wait_storecnt_dscnt 0x0
	s_barrier_signal -1
	s_barrier_wait -1
	global_inv scope:SCOPE_SE
	s_clause 0x5
	scratch_load_b128 v[52:55], off, off offset:120
	scratch_load_b128 v[56:59], off, off offset:136
	;; [unrolled: 1-line block ×4, first 2 shown]
	scratch_load_b64 v[84:85], off, off offset:184
	scratch_load_b64 v[86:87], off, off offset:112
	v_mov_b32_e32 v49, 0
	ds_load_2addr_b64 v[68:71], v49 offset0:39 offset1:40
	ds_load_2addr_b64 v[72:75], v49 offset0:41 offset1:42
	;; [unrolled: 1-line block ×4, first 2 shown]
	ds_load_b64 v[88:89], v49 offset:376
	s_mov_b32 s0, exec_lo
	s_wait_loadcnt_dscnt 0x504
	v_mul_f32_e32 v50, v68, v53
	s_wait_loadcnt_dscnt 0x403
	v_dual_mul_f32 v90, v70, v55 :: v_dual_mul_f32 v91, v72, v57
	s_wait_loadcnt_dscnt 0x302
	v_dual_mul_f32 v94, v78, v63 :: v_dual_mul_f32 v53, v69, v53
	s_wait_loadcnt_dscnt 0x100
	v_dual_mul_f32 v97, v88, v85 :: v_dual_fmac_f32 v50, v69, v52
	v_mul_f32_e32 v55, v71, v55
	v_dual_mul_f32 v92, v74, v59 :: v_dual_mul_f32 v93, v76, v61
	v_fma_f32 v53, v68, v52, -v53
	v_fmac_f32_e32 v90, v71, v54
	v_add_f32_e32 v50, 0, v50
	v_mul_f32_e32 v52, v73, v57
	v_fma_f32 v54, v70, v54, -v55
	v_add_f32_e32 v53, 0, v53
	v_mul_f32_e32 v55, v75, v59
	v_dual_fmac_f32 v91, v73, v56 :: v_dual_add_f32 v50, v50, v90
	v_dual_fmac_f32 v92, v75, v58 :: v_dual_fmac_f32 v93, v77, v60
	s_delay_alu instid0(VALU_DEP_4) | instskip(SKIP_1) | instid1(VALU_DEP_4)
	v_add_f32_e32 v53, v53, v54
	v_dual_mul_f32 v95, v80, v65 :: v_dual_mul_f32 v96, v82, v67
	v_add_f32_e32 v50, v50, v91
	v_dual_fmac_f32 v94, v79, v62 :: v_dual_fmac_f32 v97, v89, v84
	s_delay_alu instid0(VALU_DEP_3) | instskip(NEXT) | instid1(VALU_DEP_3)
	v_dual_fmac_f32 v95, v81, v64 :: v_dual_fmac_f32 v96, v83, v66
	v_add_f32_e32 v50, v50, v92
	v_fma_f32 v52, v72, v56, -v52
	v_mul_f32_e32 v54, v77, v61
	v_fma_f32 v55, v74, v58, -v55
	s_delay_alu instid0(VALU_DEP_4) | instskip(NEXT) | instid1(VALU_DEP_1)
	v_add_f32_e32 v50, v50, v93
	v_add_f32_e32 v50, v50, v94
	s_delay_alu instid0(VALU_DEP_1) | instskip(NEXT) | instid1(VALU_DEP_1)
	v_add_f32_e32 v50, v50, v95
	v_add_f32_e32 v50, v50, v96
	s_delay_alu instid0(VALU_DEP_1) | instskip(SKIP_2) | instid1(VALU_DEP_2)
	v_add_f32_e32 v50, v50, v97
	v_dual_add_f32 v52, v53, v52 :: v_dual_mul_f32 v53, v79, v63
	v_fma_f32 v54, v76, v60, -v54
	v_dual_add_f32 v52, v52, v55 :: v_dual_mul_f32 v55, v81, v65
	s_delay_alu instid0(VALU_DEP_3) | instskip(NEXT) | instid1(VALU_DEP_2)
	v_fma_f32 v53, v78, v62, -v53
	v_add_f32_e32 v52, v52, v54
	v_mul_f32_e32 v54, v83, v67
	s_delay_alu instid0(VALU_DEP_4) | instskip(NEXT) | instid1(VALU_DEP_3)
	v_fma_f32 v55, v80, v64, -v55
	v_add_f32_e32 v52, v52, v53
	v_mul_f32_e32 v53, v89, v85
	s_delay_alu instid0(VALU_DEP_4) | instskip(NEXT) | instid1(VALU_DEP_3)
	v_fma_f32 v54, v82, v66, -v54
	v_add_f32_e32 v52, v52, v55
	s_delay_alu instid0(VALU_DEP_3) | instskip(NEXT) | instid1(VALU_DEP_2)
	v_fma_f32 v53, v88, v84, -v53
	v_add_f32_e32 v52, v52, v54
	s_wait_loadcnt 0x0
	s_delay_alu instid0(VALU_DEP_1) | instskip(NEXT) | instid1(VALU_DEP_1)
	v_dual_add_f32 v52, v52, v53 :: v_dual_sub_f32 v53, v87, v50
	v_sub_f32_e32 v52, v86, v52
	scratch_store_b64 off, v[52:53], off offset:112
	v_cmpx_lt_u32_e32 13, v0
	s_cbranch_execz .LBB23_131
; %bb.130:
	scratch_load_b64 v[52:53], off, off offset:104
	v_mov_b32_e32 v50, v49
	scratch_store_b64 off, v[49:50], off offset:104
	s_wait_loadcnt 0x0
	ds_store_b64 v51, v[52:53]
.LBB23_131:
	s_wait_alu 0xfffe
	s_or_b32 exec_lo, exec_lo, s0
	s_wait_storecnt_dscnt 0x0
	s_barrier_signal -1
	s_barrier_wait -1
	global_inv scope:SCOPE_SE
	s_clause 0x5
	scratch_load_b128 v[52:55], off, off offset:112
	scratch_load_b128 v[56:59], off, off offset:128
	scratch_load_b128 v[60:63], off, off offset:144
	scratch_load_b128 v[64:67], off, off offset:160
	scratch_load_b128 v[68:71], off, off offset:176
	scratch_load_b64 v[92:93], off, off offset:104
	ds_load_b128 v[72:75], v49 offset:304
	ds_load_b128 v[76:79], v49 offset:320
	ds_load_b128 v[80:83], v49 offset:336
	ds_load_b128 v[84:87], v49 offset:352
	ds_load_b128 v[88:91], v49 offset:368
	s_mov_b32 s0, exec_lo
	s_wait_loadcnt_dscnt 0x504
	v_dual_mul_f32 v49, v72, v53 :: v_dual_mul_f32 v50, v74, v55
	v_mul_f32_e32 v53, v73, v53
	s_wait_loadcnt_dscnt 0x403
	v_dual_mul_f32 v55, v75, v55 :: v_dual_mul_f32 v94, v76, v57
	s_delay_alu instid0(VALU_DEP_3) | instskip(NEXT) | instid1(VALU_DEP_3)
	v_dual_mul_f32 v95, v78, v59 :: v_dual_fmac_f32 v50, v75, v54
	v_fma_f32 v53, v72, v52, -v53
	v_fmac_f32_e32 v49, v73, v52
	v_mul_f32_e32 v52, v77, v57
	v_fma_f32 v54, v74, v54, -v55
	v_mul_f32_e32 v55, v79, v59
	v_dual_add_f32 v53, 0, v53 :: v_dual_fmac_f32 v94, v77, v56
	s_delay_alu instid0(VALU_DEP_4) | instskip(SKIP_2) | instid1(VALU_DEP_3)
	v_fma_f32 v52, v76, v56, -v52
	s_wait_loadcnt_dscnt 0x302
	v_dual_mul_f32 v96, v80, v61 :: v_dual_mul_f32 v97, v82, v63
	v_add_f32_e32 v53, v53, v54
	v_fmac_f32_e32 v95, v79, v58
	v_fma_f32 v54, v78, v58, -v55
	s_wait_loadcnt_dscnt 0x201
	v_dual_mul_f32 v98, v84, v65 :: v_dual_mul_f32 v99, v86, v67
	v_dual_add_f32 v52, v53, v52 :: v_dual_mul_f32 v53, v83, v63
	v_fmac_f32_e32 v96, v81, v60
	s_wait_loadcnt_dscnt 0x100
	v_dual_mul_f32 v100, v88, v69 :: v_dual_mul_f32 v101, v90, v71
	s_delay_alu instid0(VALU_DEP_3) | instskip(SKIP_3) | instid1(VALU_DEP_4)
	v_dual_add_f32 v52, v52, v54 :: v_dual_add_f32 v49, 0, v49
	v_mul_f32_e32 v54, v85, v65
	v_fma_f32 v53, v82, v62, -v53
	v_dual_fmac_f32 v97, v83, v62 :: v_dual_fmac_f32 v98, v85, v64
	v_add_f32_e32 v49, v49, v50
	v_mul_f32_e32 v50, v81, v61
	v_fma_f32 v54, v84, v64, -v54
	v_dual_fmac_f32 v99, v87, v66 :: v_dual_fmac_f32 v100, v89, v68
	s_delay_alu instid0(VALU_DEP_3) | instskip(NEXT) | instid1(VALU_DEP_1)
	v_fma_f32 v50, v80, v60, -v50
	v_add_f32_e32 v50, v52, v50
	v_mul_f32_e32 v52, v87, v67
	s_delay_alu instid0(VALU_DEP_2) | instskip(SKIP_1) | instid1(VALU_DEP_3)
	v_dual_add_f32 v50, v50, v53 :: v_dual_add_f32 v49, v49, v94
	v_mul_f32_e32 v53, v89, v69
	v_fma_f32 v52, v86, v66, -v52
	s_delay_alu instid0(VALU_DEP_3) | instskip(SKIP_3) | instid1(VALU_DEP_4)
	v_add_f32_e32 v50, v50, v54
	v_mul_f32_e32 v54, v91, v71
	v_add_f32_e32 v49, v49, v95
	v_fma_f32 v53, v88, v68, -v53
	v_dual_add_f32 v50, v50, v52 :: v_dual_fmac_f32 v101, v91, v70
	s_delay_alu instid0(VALU_DEP_3) | instskip(SKIP_1) | instid1(VALU_DEP_3)
	v_add_f32_e32 v49, v49, v96
	v_fma_f32 v52, v90, v70, -v54
	v_add_f32_e32 v50, v50, v53
	s_delay_alu instid0(VALU_DEP_1) | instskip(NEXT) | instid1(VALU_DEP_1)
	v_dual_add_f32 v49, v49, v97 :: v_dual_add_f32 v50, v50, v52
	v_add_f32_e32 v49, v49, v98
	s_delay_alu instid0(VALU_DEP_1) | instskip(NEXT) | instid1(VALU_DEP_1)
	v_add_f32_e32 v49, v49, v99
	v_add_f32_e32 v49, v49, v100
	s_wait_loadcnt 0x0
	s_delay_alu instid0(VALU_DEP_1) | instskip(NEXT) | instid1(VALU_DEP_1)
	v_dual_add_f32 v52, v49, v101 :: v_dual_sub_f32 v49, v92, v50
	v_sub_f32_e32 v50, v93, v52
	scratch_store_b64 off, v[49:50], off offset:104
	v_cmpx_lt_u32_e32 12, v0
	s_cbranch_execz .LBB23_133
; %bb.132:
	scratch_load_b64 v[49:50], off, off offset:96
	v_mov_b32_e32 v52, 0
	s_delay_alu instid0(VALU_DEP_1)
	v_mov_b32_e32 v53, v52
	scratch_store_b64 off, v[52:53], off offset:96
	s_wait_loadcnt 0x0
	ds_store_b64 v51, v[49:50]
.LBB23_133:
	s_wait_alu 0xfffe
	s_or_b32 exec_lo, exec_lo, s0
	s_wait_storecnt_dscnt 0x0
	s_barrier_signal -1
	s_barrier_wait -1
	global_inv scope:SCOPE_SE
	s_clause 0x6
	scratch_load_b128 v[52:55], off, off offset:104
	scratch_load_b128 v[56:59], off, off offset:120
	;; [unrolled: 1-line block ×5, first 2 shown]
	scratch_load_b64 v[92:93], off, off offset:184
	scratch_load_b64 v[94:95], off, off offset:96
	v_mov_b32_e32 v49, 0
	ds_load_2addr_b64 v[72:75], v49 offset0:37 offset1:38
	ds_load_2addr_b64 v[76:79], v49 offset0:39 offset1:40
	;; [unrolled: 1-line block ×5, first 2 shown]
	ds_load_b64 v[96:97], v49 offset:376
	s_mov_b32 s0, exec_lo
	s_wait_loadcnt_dscnt 0x605
	v_mul_f32_e32 v50, v72, v53
	v_dual_mul_f32 v53, v73, v53 :: v_dual_mul_f32 v98, v74, v55
	s_wait_loadcnt_dscnt 0x302
	v_dual_mul_f32 v99, v76, v57 :: v_dual_mul_f32 v104, v86, v67
	s_wait_loadcnt_dscnt 0x100
	v_dual_mul_f32 v107, v96, v93 :: v_dual_fmac_f32 v50, v73, v52
	v_mul_f32_e32 v55, v75, v55
	v_fma_f32 v53, v72, v52, -v53
	v_mul_f32_e32 v52, v77, v57
	v_fmac_f32_e32 v98, v75, v54
	v_add_f32_e32 v50, 0, v50
	v_fma_f32 v54, v74, v54, -v55
	v_add_f32_e32 v53, 0, v53
	v_mul_f32_e32 v55, v79, v59
	s_delay_alu instid0(VALU_DEP_4) | instskip(SKIP_1) | instid1(VALU_DEP_4)
	v_dual_fmac_f32 v99, v77, v56 :: v_dual_add_f32 v50, v50, v98
	v_fma_f32 v52, v76, v56, -v52
	v_dual_add_f32 v53, v53, v54 :: v_dual_mul_f32 v100, v78, v59
	v_mul_f32_e32 v101, v80, v61
	v_mul_f32_e32 v54, v81, v61
	v_fma_f32 v55, v78, v58, -v55
	v_add_f32_e32 v50, v50, v99
	v_add_f32_e32 v52, v53, v52
	v_dual_fmac_f32 v100, v79, v58 :: v_dual_fmac_f32 v101, v81, v60
	v_mul_f32_e32 v53, v83, v63
	v_fma_f32 v54, v80, v60, -v54
	s_delay_alu instid0(VALU_DEP_4) | instskip(SKIP_4) | instid1(VALU_DEP_3)
	v_dual_add_f32 v52, v52, v55 :: v_dual_mul_f32 v55, v85, v65
	v_dual_mul_f32 v102, v82, v63 :: v_dual_mul_f32 v103, v84, v65
	v_dual_mul_f32 v105, v88, v69 :: v_dual_mul_f32 v106, v90, v71
	v_add_f32_e32 v50, v50, v100
	v_fma_f32 v53, v82, v62, -v53
	v_dual_add_f32 v52, v52, v54 :: v_dual_fmac_f32 v105, v89, v68
	v_dual_fmac_f32 v102, v83, v62 :: v_dual_fmac_f32 v103, v85, v64
	v_mul_f32_e32 v54, v87, v67
	s_delay_alu instid0(VALU_DEP_3)
	v_add_f32_e32 v52, v52, v53
	v_mul_f32_e32 v53, v89, v69
	v_dual_add_f32 v50, v50, v101 :: v_dual_fmac_f32 v107, v97, v92
	v_fma_f32 v55, v84, v64, -v55
	v_fmac_f32_e32 v104, v87, v66
	v_fma_f32 v54, v86, v66, -v54
	s_delay_alu instid0(VALU_DEP_4)
	v_add_f32_e32 v50, v50, v102
	v_fma_f32 v53, v88, v68, -v53
	v_add_f32_e32 v52, v52, v55
	v_mul_f32_e32 v55, v91, v71
	v_fmac_f32_e32 v106, v91, v70
	v_add_f32_e32 v50, v50, v103
	s_delay_alu instid0(VALU_DEP_4) | instskip(SKIP_2) | instid1(VALU_DEP_4)
	v_add_f32_e32 v52, v52, v54
	v_mul_f32_e32 v54, v97, v93
	v_fma_f32 v55, v90, v70, -v55
	v_add_f32_e32 v50, v50, v104
	s_delay_alu instid0(VALU_DEP_4) | instskip(NEXT) | instid1(VALU_DEP_4)
	v_add_f32_e32 v52, v52, v53
	v_fma_f32 v53, v96, v92, -v54
	s_delay_alu instid0(VALU_DEP_3) | instskip(NEXT) | instid1(VALU_DEP_3)
	v_add_f32_e32 v50, v50, v105
	v_add_f32_e32 v52, v52, v55
	s_delay_alu instid0(VALU_DEP_2) | instskip(NEXT) | instid1(VALU_DEP_2)
	v_add_f32_e32 v50, v50, v106
	v_add_f32_e32 v52, v52, v53
	s_delay_alu instid0(VALU_DEP_2) | instskip(SKIP_1) | instid1(VALU_DEP_1)
	v_add_f32_e32 v50, v50, v107
	s_wait_loadcnt 0x0
	v_dual_sub_f32 v52, v94, v52 :: v_dual_sub_f32 v53, v95, v50
	scratch_store_b64 off, v[52:53], off offset:96
	v_cmpx_lt_u32_e32 11, v0
	s_cbranch_execz .LBB23_135
; %bb.134:
	scratch_load_b64 v[52:53], off, off offset:88
	v_mov_b32_e32 v50, v49
	scratch_store_b64 off, v[49:50], off offset:88
	s_wait_loadcnt 0x0
	ds_store_b64 v51, v[52:53]
.LBB23_135:
	s_wait_alu 0xfffe
	s_or_b32 exec_lo, exec_lo, s0
	s_wait_storecnt_dscnt 0x0
	s_barrier_signal -1
	s_barrier_wait -1
	global_inv scope:SCOPE_SE
	s_clause 0x6
	scratch_load_b128 v[52:55], off, off offset:96
	scratch_load_b128 v[56:59], off, off offset:112
	;; [unrolled: 1-line block ×6, first 2 shown]
	scratch_load_b64 v[100:101], off, off offset:88
	ds_load_b128 v[76:79], v49 offset:288
	ds_load_b128 v[80:83], v49 offset:304
	;; [unrolled: 1-line block ×6, first 2 shown]
	s_mov_b32 s0, exec_lo
	s_wait_loadcnt_dscnt 0x605
	v_dual_mul_f32 v49, v76, v53 :: v_dual_mul_f32 v50, v78, v55
	v_mul_f32_e32 v53, v77, v53
	s_wait_loadcnt_dscnt 0x504
	v_dual_mul_f32 v55, v79, v55 :: v_dual_mul_f32 v102, v80, v57
	s_delay_alu instid0(VALU_DEP_3) | instskip(NEXT) | instid1(VALU_DEP_3)
	v_dual_mul_f32 v103, v82, v59 :: v_dual_fmac_f32 v50, v79, v54
	v_fma_f32 v53, v76, v52, -v53
	v_fmac_f32_e32 v49, v77, v52
	v_mul_f32_e32 v52, v81, v57
	v_fma_f32 v54, v78, v54, -v55
	v_mul_f32_e32 v55, v83, v59
	v_dual_add_f32 v53, 0, v53 :: v_dual_fmac_f32 v102, v81, v56
	s_delay_alu instid0(VALU_DEP_4) | instskip(SKIP_2) | instid1(VALU_DEP_3)
	v_fma_f32 v52, v80, v56, -v52
	s_wait_loadcnt_dscnt 0x403
	v_dual_mul_f32 v104, v84, v61 :: v_dual_mul_f32 v105, v86, v63
	v_add_f32_e32 v53, v53, v54
	v_fmac_f32_e32 v103, v83, v58
	v_fma_f32 v54, v82, v58, -v55
	s_wait_loadcnt_dscnt 0x302
	v_dual_mul_f32 v106, v88, v65 :: v_dual_mul_f32 v107, v90, v67
	v_dual_add_f32 v52, v53, v52 :: v_dual_mul_f32 v53, v87, v63
	v_fmac_f32_e32 v104, v85, v60
	s_wait_loadcnt_dscnt 0x201
	v_dual_mul_f32 v108, v92, v69 :: v_dual_mul_f32 v109, v94, v71
	s_delay_alu instid0(VALU_DEP_3) | instskip(SKIP_3) | instid1(VALU_DEP_4)
	v_dual_add_f32 v52, v52, v54 :: v_dual_add_f32 v49, 0, v49
	v_mul_f32_e32 v54, v89, v65
	v_fma_f32 v53, v86, v62, -v53
	v_dual_fmac_f32 v105, v87, v62 :: v_dual_fmac_f32 v106, v89, v64
	v_add_f32_e32 v49, v49, v50
	v_mul_f32_e32 v50, v85, v61
	v_fma_f32 v54, v88, v64, -v54
	v_dual_fmac_f32 v107, v91, v66 :: v_dual_fmac_f32 v108, v93, v68
	s_wait_loadcnt_dscnt 0x100
	v_dual_mul_f32 v110, v96, v73 :: v_dual_mul_f32 v111, v98, v75
	v_fma_f32 v50, v84, v60, -v50
	s_delay_alu instid0(VALU_DEP_2) | instskip(NEXT) | instid1(VALU_DEP_3)
	v_dual_fmac_f32 v109, v95, v70 :: v_dual_fmac_f32 v110, v97, v72
	v_fmac_f32_e32 v111, v99, v74
	s_delay_alu instid0(VALU_DEP_3) | instskip(SKIP_1) | instid1(VALU_DEP_2)
	v_add_f32_e32 v50, v52, v50
	v_mul_f32_e32 v52, v91, v67
	v_dual_add_f32 v50, v50, v53 :: v_dual_add_f32 v49, v49, v102
	v_mul_f32_e32 v53, v93, v69
	s_delay_alu instid0(VALU_DEP_3) | instskip(NEXT) | instid1(VALU_DEP_3)
	v_fma_f32 v52, v90, v66, -v52
	v_add_f32_e32 v50, v50, v54
	v_mul_f32_e32 v54, v95, v71
	v_add_f32_e32 v49, v49, v103
	v_fma_f32 v53, v92, v68, -v53
	s_delay_alu instid0(VALU_DEP_4) | instskip(SKIP_1) | instid1(VALU_DEP_4)
	v_add_f32_e32 v50, v50, v52
	v_mul_f32_e32 v52, v97, v73
	v_add_f32_e32 v49, v49, v104
	v_fma_f32 v54, v94, v70, -v54
	s_delay_alu instid0(VALU_DEP_4) | instskip(NEXT) | instid1(VALU_DEP_3)
	v_dual_add_f32 v50, v50, v53 :: v_dual_mul_f32 v53, v99, v75
	v_add_f32_e32 v49, v49, v105
	v_fma_f32 v52, v96, v72, -v52
	s_delay_alu instid0(VALU_DEP_3) | instskip(NEXT) | instid1(VALU_DEP_4)
	v_add_f32_e32 v50, v50, v54
	v_fma_f32 v53, v98, v74, -v53
	s_delay_alu instid0(VALU_DEP_2) | instskip(NEXT) | instid1(VALU_DEP_1)
	v_dual_add_f32 v49, v49, v106 :: v_dual_add_f32 v50, v50, v52
	v_dual_add_f32 v49, v49, v107 :: v_dual_add_f32 v50, v50, v53
	s_delay_alu instid0(VALU_DEP_1) | instskip(NEXT) | instid1(VALU_DEP_1)
	v_add_f32_e32 v49, v49, v108
	v_add_f32_e32 v49, v49, v109
	s_delay_alu instid0(VALU_DEP_1) | instskip(SKIP_1) | instid1(VALU_DEP_1)
	v_add_f32_e32 v49, v49, v110
	s_wait_loadcnt 0x0
	v_dual_add_f32 v52, v49, v111 :: v_dual_sub_f32 v49, v100, v50
	s_delay_alu instid0(VALU_DEP_1)
	v_sub_f32_e32 v50, v101, v52
	scratch_store_b64 off, v[49:50], off offset:88
	v_cmpx_lt_u32_e32 10, v0
	s_cbranch_execz .LBB23_137
; %bb.136:
	scratch_load_b64 v[49:50], off, off offset:80
	v_mov_b32_e32 v52, 0
	s_delay_alu instid0(VALU_DEP_1)
	v_mov_b32_e32 v53, v52
	scratch_store_b64 off, v[52:53], off offset:80
	s_wait_loadcnt 0x0
	ds_store_b64 v51, v[49:50]
.LBB23_137:
	s_wait_alu 0xfffe
	s_or_b32 exec_lo, exec_lo, s0
	s_wait_storecnt_dscnt 0x0
	s_barrier_signal -1
	s_barrier_wait -1
	global_inv scope:SCOPE_SE
	s_clause 0x7
	scratch_load_b128 v[52:55], off, off offset:88
	scratch_load_b128 v[56:59], off, off offset:104
	scratch_load_b128 v[60:63], off, off offset:120
	scratch_load_b128 v[64:67], off, off offset:136
	scratch_load_b128 v[68:71], off, off offset:152
	scratch_load_b128 v[72:75], off, off offset:168
	scratch_load_b64 v[100:101], off, off offset:184
	scratch_load_b64 v[102:103], off, off offset:80
	v_mov_b32_e32 v49, 0
	ds_load_2addr_b64 v[76:79], v49 offset0:35 offset1:36
	ds_load_2addr_b64 v[80:83], v49 offset0:37 offset1:38
	;; [unrolled: 1-line block ×6, first 2 shown]
	ds_load_b64 v[104:105], v49 offset:376
	s_mov_b32 s0, exec_lo
	s_wait_loadcnt_dscnt 0x706
	v_mul_f32_e32 v50, v76, v53
	v_dual_mul_f32 v53, v77, v53 :: v_dual_mul_f32 v106, v78, v55
	s_wait_loadcnt_dscnt 0x302
	v_dual_mul_f32 v107, v80, v57 :: v_dual_mul_f32 v114, v94, v71
	v_mul_f32_e32 v55, v79, v55
	s_wait_loadcnt_dscnt 0x100
	v_dual_mul_f32 v117, v104, v101 :: v_dual_fmac_f32 v50, v77, v52
	v_fma_f32 v53, v76, v52, -v53
	v_mul_f32_e32 v52, v81, v57
	v_fmac_f32_e32 v106, v79, v54
	v_fma_f32 v54, v78, v54, -v55
	v_dual_add_f32 v50, 0, v50 :: v_dual_mul_f32 v55, v83, v59
	v_add_f32_e32 v53, 0, v53
	v_fmac_f32_e32 v107, v81, v56
	v_fma_f32 v52, v80, v56, -v52
	s_delay_alu instid0(VALU_DEP_4)
	v_add_f32_e32 v50, v50, v106
	v_fma_f32 v55, v82, v58, -v55
	v_add_f32_e32 v53, v53, v54
	v_mul_f32_e32 v54, v85, v61
	v_dual_mul_f32 v108, v82, v59 :: v_dual_mul_f32 v109, v84, v61
	v_add_f32_e32 v50, v50, v107
	s_delay_alu instid0(VALU_DEP_4) | instskip(NEXT) | instid1(VALU_DEP_4)
	v_dual_add_f32 v52, v53, v52 :: v_dual_mul_f32 v53, v87, v63
	v_fma_f32 v54, v84, v60, -v54
	v_dual_mul_f32 v112, v90, v67 :: v_dual_mul_f32 v113, v92, v69
	s_delay_alu instid0(VALU_DEP_3) | instskip(NEXT) | instid1(VALU_DEP_4)
	v_dual_add_f32 v52, v52, v55 :: v_dual_mul_f32 v55, v89, v65
	v_fma_f32 v53, v86, v62, -v53
	v_dual_mul_f32 v115, v96, v73 :: v_dual_mul_f32 v116, v98, v75
	s_delay_alu instid0(VALU_DEP_3) | instskip(SKIP_1) | instid1(VALU_DEP_3)
	v_dual_add_f32 v52, v52, v54 :: v_dual_fmac_f32 v113, v93, v68
	v_dual_fmac_f32 v108, v83, v58 :: v_dual_fmac_f32 v109, v85, v60
	v_dual_mul_f32 v54, v91, v67 :: v_dual_fmac_f32 v115, v97, v72
	v_fma_f32 v55, v88, v64, -v55
	s_delay_alu instid0(VALU_DEP_4) | instskip(SKIP_3) | instid1(VALU_DEP_4)
	v_dual_add_f32 v52, v52, v53 :: v_dual_fmac_f32 v117, v105, v100
	v_dual_mul_f32 v110, v86, v63 :: v_dual_mul_f32 v111, v88, v65
	v_dual_add_f32 v50, v50, v108 :: v_dual_mul_f32 v53, v93, v69
	v_fma_f32 v54, v90, v66, -v54
	v_add_f32_e32 v52, v52, v55
	s_delay_alu instid0(VALU_DEP_4) | instskip(NEXT) | instid1(VALU_DEP_4)
	v_dual_fmac_f32 v110, v87, v62 :: v_dual_fmac_f32 v111, v89, v64
	v_dual_add_f32 v50, v50, v109 :: v_dual_mul_f32 v55, v95, v71
	v_fma_f32 v53, v92, v68, -v53
	s_delay_alu instid0(VALU_DEP_4)
	v_add_f32_e32 v52, v52, v54
	v_fmac_f32_e32 v112, v91, v66
	v_mul_f32_e32 v54, v97, v73
	v_fma_f32 v55, v94, v70, -v55
	v_fmac_f32_e32 v114, v95, v70
	v_dual_add_f32 v52, v52, v53 :: v_dual_mul_f32 v53, v99, v75
	v_add_f32_e32 v50, v50, v110
	v_fma_f32 v54, v96, v72, -v54
	v_fmac_f32_e32 v116, v99, v74
	s_delay_alu instid0(VALU_DEP_4) | instskip(NEXT) | instid1(VALU_DEP_4)
	v_dual_add_f32 v52, v52, v55 :: v_dual_mul_f32 v55, v105, v101
	v_add_f32_e32 v50, v50, v111
	v_fma_f32 v53, v98, v74, -v53
	s_delay_alu instid0(VALU_DEP_3) | instskip(NEXT) | instid1(VALU_DEP_4)
	v_add_f32_e32 v52, v52, v54
	v_fma_f32 v54, v104, v100, -v55
	s_delay_alu instid0(VALU_DEP_4) | instskip(NEXT) | instid1(VALU_DEP_3)
	v_add_f32_e32 v50, v50, v112
	v_add_f32_e32 v52, v52, v53
	s_delay_alu instid0(VALU_DEP_2) | instskip(NEXT) | instid1(VALU_DEP_2)
	v_add_f32_e32 v50, v50, v113
	v_add_f32_e32 v52, v52, v54
	s_delay_alu instid0(VALU_DEP_2) | instskip(SKIP_1) | instid1(VALU_DEP_2)
	v_add_f32_e32 v50, v50, v114
	s_wait_loadcnt 0x0
	v_sub_f32_e32 v52, v102, v52
	s_delay_alu instid0(VALU_DEP_2) | instskip(NEXT) | instid1(VALU_DEP_1)
	v_add_f32_e32 v50, v50, v115
	v_add_f32_e32 v50, v50, v116
	s_delay_alu instid0(VALU_DEP_1) | instskip(NEXT) | instid1(VALU_DEP_1)
	v_add_f32_e32 v50, v50, v117
	v_sub_f32_e32 v53, v103, v50
	scratch_store_b64 off, v[52:53], off offset:80
	v_cmpx_lt_u32_e32 9, v0
	s_cbranch_execz .LBB23_139
; %bb.138:
	scratch_load_b64 v[52:53], off, off offset:72
	v_mov_b32_e32 v50, v49
	scratch_store_b64 off, v[49:50], off offset:72
	s_wait_loadcnt 0x0
	ds_store_b64 v51, v[52:53]
.LBB23_139:
	s_wait_alu 0xfffe
	s_or_b32 exec_lo, exec_lo, s0
	s_wait_storecnt_dscnt 0x0
	s_barrier_signal -1
	s_barrier_wait -1
	global_inv scope:SCOPE_SE
	s_clause 0x7
	scratch_load_b128 v[52:55], off, off offset:80
	scratch_load_b128 v[56:59], off, off offset:96
	;; [unrolled: 1-line block ×7, first 2 shown]
	scratch_load_b64 v[108:109], off, off offset:72
	ds_load_b128 v[80:83], v49 offset:272
	ds_load_b128 v[84:87], v49 offset:288
	;; [unrolled: 1-line block ×7, first 2 shown]
	s_mov_b32 s0, exec_lo
	s_wait_loadcnt_dscnt 0x706
	v_dual_mul_f32 v49, v80, v53 :: v_dual_mul_f32 v50, v82, v55
	v_mul_f32_e32 v53, v81, v53
	s_wait_loadcnt_dscnt 0x605
	v_dual_mul_f32 v55, v83, v55 :: v_dual_mul_f32 v110, v84, v57
	s_delay_alu instid0(VALU_DEP_3) | instskip(NEXT) | instid1(VALU_DEP_3)
	v_dual_mul_f32 v111, v86, v59 :: v_dual_fmac_f32 v50, v83, v54
	v_fma_f32 v53, v80, v52, -v53
	v_fmac_f32_e32 v49, v81, v52
	v_mul_f32_e32 v52, v85, v57
	v_fma_f32 v54, v82, v54, -v55
	v_mul_f32_e32 v55, v87, v59
	v_dual_add_f32 v53, 0, v53 :: v_dual_fmac_f32 v110, v85, v56
	s_delay_alu instid0(VALU_DEP_4) | instskip(SKIP_2) | instid1(VALU_DEP_3)
	v_fma_f32 v52, v84, v56, -v52
	s_wait_loadcnt_dscnt 0x504
	v_dual_mul_f32 v112, v88, v61 :: v_dual_mul_f32 v113, v90, v63
	v_add_f32_e32 v53, v53, v54
	v_fmac_f32_e32 v111, v87, v58
	v_fma_f32 v54, v86, v58, -v55
	s_wait_loadcnt_dscnt 0x403
	v_dual_mul_f32 v114, v92, v65 :: v_dual_mul_f32 v115, v94, v67
	v_dual_add_f32 v52, v53, v52 :: v_dual_mul_f32 v53, v91, v63
	v_fmac_f32_e32 v112, v89, v60
	s_wait_loadcnt_dscnt 0x302
	v_dual_mul_f32 v116, v96, v69 :: v_dual_mul_f32 v117, v98, v71
	s_delay_alu instid0(VALU_DEP_3) | instskip(SKIP_3) | instid1(VALU_DEP_4)
	v_dual_add_f32 v52, v52, v54 :: v_dual_add_f32 v49, 0, v49
	v_mul_f32_e32 v54, v93, v65
	v_fma_f32 v53, v90, v62, -v53
	v_dual_fmac_f32 v113, v91, v62 :: v_dual_fmac_f32 v114, v93, v64
	v_add_f32_e32 v49, v49, v50
	v_mul_f32_e32 v50, v89, v61
	v_fma_f32 v54, v92, v64, -v54
	v_dual_fmac_f32 v115, v95, v66 :: v_dual_fmac_f32 v116, v97, v68
	s_wait_loadcnt_dscnt 0x201
	v_dual_mul_f32 v118, v100, v73 :: v_dual_mul_f32 v119, v102, v75
	v_fma_f32 v50, v88, v60, -v50
	s_wait_loadcnt_dscnt 0x100
	v_dual_mul_f32 v120, v104, v77 :: v_dual_mul_f32 v121, v106, v79
	s_delay_alu instid0(VALU_DEP_3) | instskip(NEXT) | instid1(VALU_DEP_3)
	v_dual_fmac_f32 v117, v99, v70 :: v_dual_fmac_f32 v118, v101, v72
	v_add_f32_e32 v50, v52, v50
	v_mul_f32_e32 v52, v95, v67
	s_delay_alu instid0(VALU_DEP_4) | instskip(NEXT) | instid1(VALU_DEP_3)
	v_dual_fmac_f32 v120, v105, v76 :: v_dual_fmac_f32 v121, v107, v78
	v_dual_fmac_f32 v119, v103, v74 :: v_dual_add_f32 v50, v50, v53
	v_add_f32_e32 v49, v49, v110
	v_mul_f32_e32 v53, v97, v69
	v_fma_f32 v52, v94, v66, -v52
	s_delay_alu instid0(VALU_DEP_4) | instskip(SKIP_3) | instid1(VALU_DEP_4)
	v_add_f32_e32 v50, v50, v54
	v_mul_f32_e32 v54, v99, v71
	v_add_f32_e32 v49, v49, v111
	v_fma_f32 v53, v96, v68, -v53
	v_add_f32_e32 v50, v50, v52
	v_mul_f32_e32 v52, v101, v73
	s_delay_alu instid0(VALU_DEP_4) | instskip(SKIP_1) | instid1(VALU_DEP_4)
	v_add_f32_e32 v49, v49, v112
	v_fma_f32 v54, v98, v70, -v54
	v_dual_add_f32 v50, v50, v53 :: v_dual_mul_f32 v53, v103, v75
	s_delay_alu instid0(VALU_DEP_3) | instskip(SKIP_1) | instid1(VALU_DEP_3)
	v_add_f32_e32 v49, v49, v113
	v_fma_f32 v52, v100, v72, -v52
	v_add_f32_e32 v50, v50, v54
	s_delay_alu instid0(VALU_DEP_4) | instskip(NEXT) | instid1(VALU_DEP_4)
	v_fma_f32 v53, v102, v74, -v53
	v_add_f32_e32 v49, v49, v114
	v_mul_f32_e32 v54, v105, v77
	s_delay_alu instid0(VALU_DEP_4) | instskip(SKIP_1) | instid1(VALU_DEP_4)
	v_add_f32_e32 v50, v50, v52
	v_mul_f32_e32 v52, v107, v79
	v_add_f32_e32 v49, v49, v115
	s_delay_alu instid0(VALU_DEP_4) | instskip(NEXT) | instid1(VALU_DEP_4)
	v_fma_f32 v54, v104, v76, -v54
	v_add_f32_e32 v50, v50, v53
	s_delay_alu instid0(VALU_DEP_4) | instskip(NEXT) | instid1(VALU_DEP_2)
	v_fma_f32 v52, v106, v78, -v52
	v_dual_add_f32 v49, v49, v116 :: v_dual_add_f32 v50, v50, v54
	s_delay_alu instid0(VALU_DEP_1) | instskip(NEXT) | instid1(VALU_DEP_1)
	v_dual_add_f32 v49, v49, v117 :: v_dual_add_f32 v50, v50, v52
	v_add_f32_e32 v49, v49, v118
	s_delay_alu instid0(VALU_DEP_1) | instskip(NEXT) | instid1(VALU_DEP_1)
	v_add_f32_e32 v49, v49, v119
	v_add_f32_e32 v49, v49, v120
	s_wait_loadcnt 0x0
	s_delay_alu instid0(VALU_DEP_1) | instskip(NEXT) | instid1(VALU_DEP_1)
	v_dual_add_f32 v52, v49, v121 :: v_dual_sub_f32 v49, v108, v50
	v_sub_f32_e32 v50, v109, v52
	scratch_store_b64 off, v[49:50], off offset:72
	v_cmpx_lt_u32_e32 8, v0
	s_cbranch_execz .LBB23_141
; %bb.140:
	scratch_load_b64 v[49:50], off, off offset:64
	v_mov_b32_e32 v52, 0
	s_delay_alu instid0(VALU_DEP_1)
	v_mov_b32_e32 v53, v52
	scratch_store_b64 off, v[52:53], off offset:64
	s_wait_loadcnt 0x0
	ds_store_b64 v51, v[49:50]
.LBB23_141:
	s_wait_alu 0xfffe
	s_or_b32 exec_lo, exec_lo, s0
	s_wait_storecnt_dscnt 0x0
	s_barrier_signal -1
	s_barrier_wait -1
	global_inv scope:SCOPE_SE
	s_clause 0x8
	scratch_load_b128 v[52:55], off, off offset:72
	scratch_load_b128 v[56:59], off, off offset:88
	scratch_load_b128 v[60:63], off, off offset:104
	scratch_load_b128 v[64:67], off, off offset:120
	scratch_load_b128 v[68:71], off, off offset:136
	scratch_load_b128 v[72:75], off, off offset:152
	scratch_load_b128 v[76:79], off, off offset:168
	scratch_load_b64 v[108:109], off, off offset:184
	scratch_load_b64 v[110:111], off, off offset:64
	v_mov_b32_e32 v49, 0
	ds_load_2addr_b64 v[80:83], v49 offset0:33 offset1:34
	ds_load_2addr_b64 v[84:87], v49 offset0:35 offset1:36
	;; [unrolled: 1-line block ×7, first 2 shown]
	ds_load_b64 v[112:113], v49 offset:376
	s_mov_b32 s0, exec_lo
	s_wait_loadcnt_dscnt 0x807
	v_mul_f32_e32 v50, v80, v53
	v_dual_mul_f32 v53, v81, v53 :: v_dual_mul_f32 v114, v82, v55
	s_wait_loadcnt_dscnt 0x706
	v_mul_f32_e32 v115, v84, v57
	v_mul_f32_e32 v55, v83, v55
	s_wait_loadcnt_dscnt 0x302
	v_mul_f32_e32 v124, v102, v75
	v_fma_f32 v53, v80, v52, -v53
	s_wait_loadcnt_dscnt 0x100
	v_dual_mul_f32 v127, v112, v109 :: v_dual_fmac_f32 v50, v81, v52
	v_mul_f32_e32 v52, v85, v57
	s_delay_alu instid0(VALU_DEP_3) | instskip(SKIP_1) | instid1(VALU_DEP_4)
	v_dual_fmac_f32 v114, v83, v54 :: v_dual_add_f32 v53, 0, v53
	v_fma_f32 v54, v82, v54, -v55
	v_dual_add_f32 v50, 0, v50 :: v_dual_mul_f32 v55, v87, v59
	v_fmac_f32_e32 v115, v85, v56
	v_fma_f32 v52, v84, v56, -v52
	v_dual_mul_f32 v116, v86, v59 :: v_dual_mul_f32 v117, v88, v61
	s_delay_alu instid0(VALU_DEP_4)
	v_add_f32_e32 v50, v50, v114
	v_add_f32_e32 v53, v53, v54
	v_mul_f32_e32 v54, v89, v61
	v_fma_f32 v55, v86, v58, -v55
	v_dual_mul_f32 v120, v94, v67 :: v_dual_mul_f32 v121, v96, v69
	v_add_f32_e32 v50, v50, v115
	v_dual_add_f32 v52, v53, v52 :: v_dual_mul_f32 v53, v91, v63
	v_fma_f32 v54, v88, v60, -v54
	v_dual_mul_f32 v122, v98, v71 :: v_dual_mul_f32 v123, v100, v73
	s_delay_alu instid0(VALU_DEP_3) | instskip(NEXT) | instid1(VALU_DEP_4)
	v_dual_add_f32 v52, v52, v55 :: v_dual_mul_f32 v55, v93, v65
	v_fma_f32 v53, v90, v62, -v53
	v_dual_mul_f32 v125, v104, v77 :: v_dual_mul_f32 v126, v106, v79
	s_delay_alu instid0(VALU_DEP_3) | instskip(SKIP_3) | instid1(VALU_DEP_4)
	v_dual_add_f32 v52, v52, v54 :: v_dual_fmac_f32 v121, v97, v68
	v_dual_fmac_f32 v116, v87, v58 :: v_dual_fmac_f32 v117, v89, v60
	v_dual_mul_f32 v54, v95, v67 :: v_dual_fmac_f32 v123, v101, v72
	v_fma_f32 v55, v92, v64, -v55
	v_dual_add_f32 v52, v52, v53 :: v_dual_fmac_f32 v125, v105, v76
	s_delay_alu instid0(VALU_DEP_4) | instskip(NEXT) | instid1(VALU_DEP_4)
	v_dual_add_f32 v50, v50, v116 :: v_dual_mul_f32 v53, v97, v69
	v_fma_f32 v54, v94, v66, -v54
	s_delay_alu instid0(VALU_DEP_3) | instskip(SKIP_3) | instid1(VALU_DEP_4)
	v_dual_add_f32 v52, v52, v55 :: v_dual_fmac_f32 v127, v113, v108
	v_dual_mul_f32 v118, v90, v63 :: v_dual_mul_f32 v119, v92, v65
	v_mul_f32_e32 v55, v99, v71
	v_fma_f32 v53, v96, v68, -v53
	v_add_f32_e32 v52, v52, v54
	s_delay_alu instid0(VALU_DEP_4) | instskip(SKIP_4) | instid1(VALU_DEP_4)
	v_dual_fmac_f32 v118, v91, v62 :: v_dual_fmac_f32 v119, v93, v64
	v_add_f32_e32 v50, v50, v117
	v_mul_f32_e32 v54, v101, v73
	v_fma_f32 v55, v98, v70, -v55
	v_dual_add_f32 v52, v52, v53 :: v_dual_mul_f32 v53, v103, v75
	v_add_f32_e32 v50, v50, v118
	s_delay_alu instid0(VALU_DEP_4) | instskip(SKIP_1) | instid1(VALU_DEP_4)
	v_fma_f32 v54, v100, v72, -v54
	v_fmac_f32_e32 v120, v95, v66
	v_dual_add_f32 v52, v52, v55 :: v_dual_mul_f32 v55, v105, v77
	s_delay_alu instid0(VALU_DEP_4) | instskip(SKIP_2) | instid1(VALU_DEP_4)
	v_add_f32_e32 v50, v50, v119
	v_fma_f32 v53, v102, v74, -v53
	v_fmac_f32_e32 v122, v99, v70
	v_add_f32_e32 v52, v52, v54
	v_fmac_f32_e32 v124, v103, v74
	v_mul_f32_e32 v54, v107, v79
	v_fma_f32 v55, v104, v76, -v55
	v_fmac_f32_e32 v126, v107, v78
	v_add_f32_e32 v52, v52, v53
	v_dual_mul_f32 v53, v113, v109 :: v_dual_add_f32 v50, v50, v120
	v_fma_f32 v54, v106, v78, -v54
	s_delay_alu instid0(VALU_DEP_3) | instskip(NEXT) | instid1(VALU_DEP_3)
	v_add_f32_e32 v52, v52, v55
	v_fma_f32 v53, v112, v108, -v53
	s_delay_alu instid0(VALU_DEP_4) | instskip(NEXT) | instid1(VALU_DEP_3)
	v_add_f32_e32 v50, v50, v121
	v_add_f32_e32 v52, v52, v54
	s_delay_alu instid0(VALU_DEP_2) | instskip(NEXT) | instid1(VALU_DEP_2)
	v_add_f32_e32 v50, v50, v122
	v_add_f32_e32 v52, v52, v53
	s_delay_alu instid0(VALU_DEP_2) | instskip(SKIP_1) | instid1(VALU_DEP_2)
	v_add_f32_e32 v50, v50, v123
	s_wait_loadcnt 0x0
	v_sub_f32_e32 v52, v110, v52
	s_delay_alu instid0(VALU_DEP_2) | instskip(NEXT) | instid1(VALU_DEP_1)
	v_add_f32_e32 v50, v50, v124
	v_add_f32_e32 v50, v50, v125
	s_delay_alu instid0(VALU_DEP_1) | instskip(NEXT) | instid1(VALU_DEP_1)
	v_add_f32_e32 v50, v50, v126
	v_add_f32_e32 v50, v50, v127
	s_delay_alu instid0(VALU_DEP_1)
	v_sub_f32_e32 v53, v111, v50
	scratch_store_b64 off, v[52:53], off offset:64
	v_cmpx_lt_u32_e32 7, v0
	s_cbranch_execz .LBB23_143
; %bb.142:
	scratch_load_b64 v[52:53], off, off offset:56
	v_mov_b32_e32 v50, v49
	scratch_store_b64 off, v[49:50], off offset:56
	s_wait_loadcnt 0x0
	ds_store_b64 v51, v[52:53]
.LBB23_143:
	s_wait_alu 0xfffe
	s_or_b32 exec_lo, exec_lo, s0
	s_wait_storecnt_dscnt 0x0
	s_barrier_signal -1
	s_barrier_wait -1
	global_inv scope:SCOPE_SE
	s_clause 0x8
	scratch_load_b128 v[52:55], off, off offset:64
	scratch_load_b128 v[56:59], off, off offset:80
	;; [unrolled: 1-line block ×8, first 2 shown]
	scratch_load_b64 v[116:117], off, off offset:56
	ds_load_b128 v[84:87], v49 offset:256
	ds_load_b128 v[88:91], v49 offset:272
	;; [unrolled: 1-line block ×8, first 2 shown]
	s_mov_b32 s0, exec_lo
	s_wait_loadcnt_dscnt 0x807
	v_dual_mul_f32 v49, v84, v53 :: v_dual_mul_f32 v50, v86, v55
	v_mul_f32_e32 v53, v85, v53
	s_wait_loadcnt_dscnt 0x706
	v_dual_mul_f32 v55, v87, v55 :: v_dual_mul_f32 v118, v88, v57
	s_delay_alu instid0(VALU_DEP_3) | instskip(NEXT) | instid1(VALU_DEP_3)
	v_dual_mul_f32 v119, v90, v59 :: v_dual_fmac_f32 v50, v87, v54
	v_fma_f32 v53, v84, v52, -v53
	v_fmac_f32_e32 v49, v85, v52
	v_mul_f32_e32 v52, v89, v57
	v_fma_f32 v54, v86, v54, -v55
	v_mul_f32_e32 v55, v91, v59
	v_dual_add_f32 v53, 0, v53 :: v_dual_fmac_f32 v118, v89, v56
	s_delay_alu instid0(VALU_DEP_4) | instskip(SKIP_2) | instid1(VALU_DEP_3)
	v_fma_f32 v52, v88, v56, -v52
	s_wait_loadcnt_dscnt 0x605
	v_dual_mul_f32 v120, v92, v61 :: v_dual_mul_f32 v121, v94, v63
	v_add_f32_e32 v53, v53, v54
	v_fmac_f32_e32 v119, v91, v58
	v_fma_f32 v54, v90, v58, -v55
	s_wait_loadcnt_dscnt 0x504
	v_dual_mul_f32 v122, v96, v65 :: v_dual_mul_f32 v123, v98, v67
	v_dual_add_f32 v52, v53, v52 :: v_dual_mul_f32 v53, v95, v63
	v_fmac_f32_e32 v120, v93, v60
	s_wait_loadcnt_dscnt 0x403
	v_dual_mul_f32 v124, v100, v69 :: v_dual_mul_f32 v125, v102, v71
	s_delay_alu instid0(VALU_DEP_3) | instskip(SKIP_3) | instid1(VALU_DEP_4)
	v_dual_add_f32 v52, v52, v54 :: v_dual_add_f32 v49, 0, v49
	v_mul_f32_e32 v54, v97, v65
	v_fma_f32 v53, v94, v62, -v53
	v_dual_fmac_f32 v121, v95, v62 :: v_dual_fmac_f32 v122, v97, v64
	v_add_f32_e32 v49, v49, v50
	v_mul_f32_e32 v50, v93, v61
	v_fma_f32 v54, v96, v64, -v54
	v_dual_fmac_f32 v123, v99, v66 :: v_dual_fmac_f32 v124, v101, v68
	s_wait_loadcnt_dscnt 0x302
	v_dual_mul_f32 v126, v104, v73 :: v_dual_mul_f32 v127, v106, v75
	v_fma_f32 v50, v92, v60, -v50
	s_wait_loadcnt_dscnt 0x201
	v_dual_mul_f32 v128, v108, v77 :: v_dual_mul_f32 v129, v110, v79
	s_wait_loadcnt_dscnt 0x100
	v_dual_mul_f32 v130, v112, v81 :: v_dual_mul_f32 v131, v114, v83
	v_add_f32_e32 v50, v52, v50
	v_mul_f32_e32 v52, v99, v67
	v_dual_fmac_f32 v128, v109, v76 :: v_dual_fmac_f32 v129, v111, v78
	s_delay_alu instid0(VALU_DEP_4) | instskip(NEXT) | instid1(VALU_DEP_4)
	v_dual_fmac_f32 v130, v113, v80 :: v_dual_fmac_f32 v131, v115, v82
	v_dual_add_f32 v50, v50, v53 :: v_dual_add_f32 v49, v49, v118
	v_mul_f32_e32 v53, v101, v69
	v_fma_f32 v52, v98, v66, -v52
	v_fmac_f32_e32 v125, v103, v70
	s_delay_alu instid0(VALU_DEP_4)
	v_add_f32_e32 v50, v50, v54
	v_mul_f32_e32 v54, v103, v71
	v_add_f32_e32 v49, v49, v119
	v_fma_f32 v53, v100, v68, -v53
	v_fmac_f32_e32 v126, v105, v72
	v_add_f32_e32 v50, v50, v52
	v_mul_f32_e32 v52, v105, v73
	v_add_f32_e32 v49, v49, v120
	v_fma_f32 v54, v102, v70, -v54
	s_delay_alu instid0(VALU_DEP_4) | instskip(SKIP_1) | instid1(VALU_DEP_4)
	v_dual_fmac_f32 v127, v107, v74 :: v_dual_add_f32 v50, v50, v53
	v_mul_f32_e32 v53, v107, v75
	v_add_f32_e32 v49, v49, v121
	v_fma_f32 v52, v104, v72, -v52
	s_delay_alu instid0(VALU_DEP_4) | instskip(NEXT) | instid1(VALU_DEP_4)
	v_add_f32_e32 v50, v50, v54
	v_fma_f32 v53, v106, v74, -v53
	s_delay_alu instid0(VALU_DEP_4) | instskip(SKIP_1) | instid1(VALU_DEP_4)
	v_add_f32_e32 v49, v49, v122
	v_mul_f32_e32 v54, v109, v77
	v_add_f32_e32 v50, v50, v52
	v_mul_f32_e32 v52, v111, v79
	s_delay_alu instid0(VALU_DEP_4) | instskip(NEXT) | instid1(VALU_DEP_4)
	v_add_f32_e32 v49, v49, v123
	v_fma_f32 v54, v108, v76, -v54
	s_delay_alu instid0(VALU_DEP_4) | instskip(SKIP_1) | instid1(VALU_DEP_4)
	v_add_f32_e32 v50, v50, v53
	v_mul_f32_e32 v53, v113, v81
	v_add_f32_e32 v49, v49, v124
	v_fma_f32 v52, v110, v78, -v52
	s_delay_alu instid0(VALU_DEP_4) | instskip(NEXT) | instid1(VALU_DEP_3)
	v_add_f32_e32 v50, v50, v54
	v_dual_mul_f32 v54, v115, v83 :: v_dual_add_f32 v49, v49, v125
	v_fma_f32 v53, v112, v80, -v53
	s_delay_alu instid0(VALU_DEP_3) | instskip(NEXT) | instid1(VALU_DEP_3)
	v_add_f32_e32 v50, v50, v52
	v_fma_f32 v52, v114, v82, -v54
	s_delay_alu instid0(VALU_DEP_2) | instskip(NEXT) | instid1(VALU_DEP_1)
	v_dual_add_f32 v49, v49, v126 :: v_dual_add_f32 v50, v50, v53
	v_dual_add_f32 v49, v49, v127 :: v_dual_add_f32 v50, v50, v52
	s_delay_alu instid0(VALU_DEP_1) | instskip(NEXT) | instid1(VALU_DEP_1)
	v_add_f32_e32 v49, v49, v128
	v_add_f32_e32 v49, v49, v129
	s_delay_alu instid0(VALU_DEP_1) | instskip(SKIP_1) | instid1(VALU_DEP_1)
	v_add_f32_e32 v49, v49, v130
	s_wait_loadcnt 0x0
	v_dual_add_f32 v52, v49, v131 :: v_dual_sub_f32 v49, v116, v50
	s_delay_alu instid0(VALU_DEP_1)
	v_sub_f32_e32 v50, v117, v52
	scratch_store_b64 off, v[49:50], off offset:56
	v_cmpx_lt_u32_e32 6, v0
	s_cbranch_execz .LBB23_145
; %bb.144:
	scratch_load_b64 v[49:50], off, off offset:48
	v_mov_b32_e32 v52, 0
	s_delay_alu instid0(VALU_DEP_1)
	v_mov_b32_e32 v53, v52
	scratch_store_b64 off, v[52:53], off offset:48
	s_wait_loadcnt 0x0
	ds_store_b64 v51, v[49:50]
.LBB23_145:
	s_wait_alu 0xfffe
	s_or_b32 exec_lo, exec_lo, s0
	s_wait_storecnt_dscnt 0x0
	s_barrier_signal -1
	s_barrier_wait -1
	global_inv scope:SCOPE_SE
	s_clause 0x9
	scratch_load_b128 v[52:55], off, off offset:56
	scratch_load_b128 v[56:59], off, off offset:72
	;; [unrolled: 1-line block ×8, first 2 shown]
	scratch_load_b64 v[116:117], off, off offset:184
	scratch_load_b64 v[118:119], off, off offset:48
	v_mov_b32_e32 v49, 0
	ds_load_2addr_b64 v[84:87], v49 offset0:31 offset1:32
	ds_load_2addr_b64 v[88:91], v49 offset0:33 offset1:34
	;; [unrolled: 1-line block ×8, first 2 shown]
	ds_load_b64 v[120:121], v49 offset:376
	s_mov_b32 s0, exec_lo
	s_wait_loadcnt_dscnt 0x908
	v_mul_f32_e32 v50, v84, v53
	s_wait_loadcnt_dscnt 0x807
	v_dual_mul_f32 v122, v86, v55 :: v_dual_mul_f32 v123, v88, v57
	v_mul_f32_e32 v53, v85, v53
	s_delay_alu instid0(VALU_DEP_3)
	v_dual_mul_f32 v55, v87, v55 :: v_dual_fmac_f32 v50, v85, v52
	s_wait_loadcnt_dscnt 0x302
	v_mul_f32_e32 v134, v110, v79
	v_dual_mul_f32 v124, v90, v59 :: v_dual_mul_f32 v125, v92, v61
	s_wait_loadcnt_dscnt 0x100
	v_mul_f32_e32 v137, v120, v117
	v_fma_f32 v53, v84, v52, -v53
	v_mul_f32_e32 v52, v89, v57
	v_fmac_f32_e32 v122, v87, v54
	v_fma_f32 v54, v86, v54, -v55
	v_dual_add_f32 v50, 0, v50 :: v_dual_mul_f32 v55, v91, v59
	v_add_f32_e32 v53, 0, v53
	v_fmac_f32_e32 v123, v89, v56
	v_fma_f32 v52, v88, v56, -v52
	s_delay_alu instid0(VALU_DEP_4)
	v_add_f32_e32 v50, v50, v122
	v_fma_f32 v55, v90, v58, -v55
	v_add_f32_e32 v53, v53, v54
	v_mul_f32_e32 v54, v93, v61
	v_dual_mul_f32 v128, v98, v67 :: v_dual_mul_f32 v129, v100, v69
	v_add_f32_e32 v50, v50, v123
	s_delay_alu instid0(VALU_DEP_4) | instskip(NEXT) | instid1(VALU_DEP_4)
	v_dual_add_f32 v52, v53, v52 :: v_dual_mul_f32 v53, v95, v63
	v_fma_f32 v54, v92, v60, -v54
	v_dual_mul_f32 v130, v102, v71 :: v_dual_mul_f32 v131, v104, v73
	s_delay_alu instid0(VALU_DEP_3) | instskip(NEXT) | instid1(VALU_DEP_4)
	v_dual_add_f32 v52, v52, v55 :: v_dual_mul_f32 v55, v97, v65
	v_fma_f32 v53, v94, v62, -v53
	v_dual_mul_f32 v132, v106, v75 :: v_dual_mul_f32 v133, v108, v77
	s_delay_alu instid0(VALU_DEP_3) | instskip(SKIP_3) | instid1(VALU_DEP_4)
	v_dual_add_f32 v52, v52, v54 :: v_dual_fmac_f32 v129, v101, v68
	v_dual_fmac_f32 v124, v91, v58 :: v_dual_fmac_f32 v125, v93, v60
	v_dual_mul_f32 v54, v99, v67 :: v_dual_fmac_f32 v131, v105, v72
	v_fma_f32 v55, v96, v64, -v55
	v_dual_add_f32 v52, v52, v53 :: v_dual_fmac_f32 v133, v109, v76
	v_dual_mul_f32 v135, v112, v81 :: v_dual_mul_f32 v136, v114, v83
	v_dual_add_f32 v50, v50, v124 :: v_dual_mul_f32 v53, v101, v69
	v_fma_f32 v54, v98, v66, -v54
	s_delay_alu instid0(VALU_DEP_3) | instskip(SKIP_3) | instid1(VALU_DEP_4)
	v_dual_add_f32 v52, v52, v55 :: v_dual_fmac_f32 v135, v113, v80
	v_dual_mul_f32 v126, v94, v63 :: v_dual_mul_f32 v127, v96, v65
	v_mul_f32_e32 v55, v103, v71
	v_fma_f32 v53, v100, v68, -v53
	v_add_f32_e32 v52, v52, v54
	s_delay_alu instid0(VALU_DEP_4) | instskip(SKIP_4) | instid1(VALU_DEP_4)
	v_dual_fmac_f32 v126, v95, v62 :: v_dual_fmac_f32 v127, v97, v64
	v_add_f32_e32 v50, v50, v125
	v_mul_f32_e32 v54, v105, v73
	v_fma_f32 v55, v102, v70, -v55
	v_dual_add_f32 v52, v52, v53 :: v_dual_mul_f32 v53, v107, v75
	v_add_f32_e32 v50, v50, v126
	s_delay_alu instid0(VALU_DEP_4) | instskip(SKIP_1) | instid1(VALU_DEP_4)
	v_fma_f32 v54, v104, v72, -v54
	v_fmac_f32_e32 v128, v99, v66
	v_dual_add_f32 v52, v52, v55 :: v_dual_mul_f32 v55, v109, v77
	s_delay_alu instid0(VALU_DEP_4) | instskip(SKIP_1) | instid1(VALU_DEP_3)
	v_dual_add_f32 v50, v50, v127 :: v_dual_fmac_f32 v137, v121, v116
	v_fma_f32 v53, v106, v74, -v53
	v_add_f32_e32 v52, v52, v54
	v_fmac_f32_e32 v130, v103, v70
	v_fmac_f32_e32 v132, v107, v74
	v_mul_f32_e32 v54, v111, v79
	v_fma_f32 v55, v108, v76, -v55
	v_add_f32_e32 v52, v52, v53
	v_dual_mul_f32 v53, v113, v81 :: v_dual_add_f32 v50, v50, v128
	v_fmac_f32_e32 v134, v111, v78
	v_fma_f32 v54, v110, v78, -v54
	s_delay_alu instid0(VALU_DEP_4) | instskip(NEXT) | instid1(VALU_DEP_4)
	v_add_f32_e32 v52, v52, v55
	v_dual_mul_f32 v55, v115, v83 :: v_dual_add_f32 v50, v50, v129
	v_fma_f32 v53, v112, v80, -v53
	v_fmac_f32_e32 v136, v115, v82
	s_delay_alu instid0(VALU_DEP_4) | instskip(SKIP_3) | instid1(VALU_DEP_4)
	v_add_f32_e32 v52, v52, v54
	v_mul_f32_e32 v54, v121, v117
	v_add_f32_e32 v50, v50, v130
	v_fma_f32 v55, v114, v82, -v55
	v_add_f32_e32 v52, v52, v53
	s_delay_alu instid0(VALU_DEP_4) | instskip(NEXT) | instid1(VALU_DEP_4)
	v_fma_f32 v53, v120, v116, -v54
	v_add_f32_e32 v50, v50, v131
	s_delay_alu instid0(VALU_DEP_3) | instskip(NEXT) | instid1(VALU_DEP_2)
	v_add_f32_e32 v52, v52, v55
	v_add_f32_e32 v50, v50, v132
	s_delay_alu instid0(VALU_DEP_2) | instskip(NEXT) | instid1(VALU_DEP_2)
	v_add_f32_e32 v52, v52, v53
	v_add_f32_e32 v50, v50, v133
	s_wait_loadcnt 0x0
	s_delay_alu instid0(VALU_DEP_2) | instskip(NEXT) | instid1(VALU_DEP_2)
	v_sub_f32_e32 v52, v118, v52
	v_add_f32_e32 v50, v50, v134
	s_delay_alu instid0(VALU_DEP_1) | instskip(NEXT) | instid1(VALU_DEP_1)
	v_add_f32_e32 v50, v50, v135
	v_add_f32_e32 v50, v50, v136
	s_delay_alu instid0(VALU_DEP_1) | instskip(NEXT) | instid1(VALU_DEP_1)
	v_add_f32_e32 v50, v50, v137
	v_sub_f32_e32 v53, v119, v50
	scratch_store_b64 off, v[52:53], off offset:48
	v_cmpx_lt_u32_e32 5, v0
	s_cbranch_execz .LBB23_147
; %bb.146:
	scratch_load_b64 v[52:53], off, off offset:40
	v_mov_b32_e32 v50, v49
	scratch_store_b64 off, v[49:50], off offset:40
	s_wait_loadcnt 0x0
	ds_store_b64 v51, v[52:53]
.LBB23_147:
	s_wait_alu 0xfffe
	s_or_b32 exec_lo, exec_lo, s0
	s_wait_storecnt_dscnt 0x0
	s_barrier_signal -1
	s_barrier_wait -1
	global_inv scope:SCOPE_SE
	s_clause 0x9
	scratch_load_b128 v[52:55], off, off offset:48
	scratch_load_b128 v[56:59], off, off offset:64
	;; [unrolled: 1-line block ×9, first 2 shown]
	scratch_load_b64 v[124:125], off, off offset:40
	ds_load_b128 v[88:91], v49 offset:240
	ds_load_b128 v[92:95], v49 offset:256
	;; [unrolled: 1-line block ×9, first 2 shown]
	s_mov_b32 s0, exec_lo
	s_wait_loadcnt_dscnt 0x908
	v_dual_mul_f32 v49, v88, v53 :: v_dual_mul_f32 v50, v90, v55
	v_mul_f32_e32 v53, v89, v53
	s_wait_loadcnt_dscnt 0x807
	v_dual_mul_f32 v55, v91, v55 :: v_dual_mul_f32 v126, v92, v57
	s_delay_alu instid0(VALU_DEP_3) | instskip(NEXT) | instid1(VALU_DEP_3)
	v_dual_mul_f32 v127, v94, v59 :: v_dual_fmac_f32 v50, v91, v54
	v_fma_f32 v53, v88, v52, -v53
	v_fmac_f32_e32 v49, v89, v52
	v_mul_f32_e32 v52, v93, v57
	v_fma_f32 v54, v90, v54, -v55
	v_mul_f32_e32 v55, v95, v59
	v_dual_add_f32 v53, 0, v53 :: v_dual_fmac_f32 v126, v93, v56
	s_delay_alu instid0(VALU_DEP_4) | instskip(SKIP_2) | instid1(VALU_DEP_3)
	v_fma_f32 v52, v92, v56, -v52
	s_wait_loadcnt_dscnt 0x706
	v_dual_mul_f32 v128, v96, v61 :: v_dual_mul_f32 v129, v98, v63
	v_add_f32_e32 v53, v53, v54
	v_fmac_f32_e32 v127, v95, v58
	v_fma_f32 v54, v94, v58, -v55
	s_wait_loadcnt_dscnt 0x605
	v_dual_mul_f32 v130, v100, v65 :: v_dual_mul_f32 v131, v102, v67
	v_dual_add_f32 v52, v53, v52 :: v_dual_mul_f32 v53, v99, v63
	v_fmac_f32_e32 v128, v97, v60
	s_wait_loadcnt_dscnt 0x504
	v_dual_mul_f32 v132, v104, v69 :: v_dual_mul_f32 v133, v106, v71
	s_delay_alu instid0(VALU_DEP_3) | instskip(SKIP_3) | instid1(VALU_DEP_4)
	v_dual_add_f32 v52, v52, v54 :: v_dual_add_f32 v49, 0, v49
	v_mul_f32_e32 v54, v101, v65
	v_fma_f32 v53, v98, v62, -v53
	v_dual_fmac_f32 v129, v99, v62 :: v_dual_fmac_f32 v130, v101, v64
	v_add_f32_e32 v49, v49, v50
	v_mul_f32_e32 v50, v97, v61
	v_fma_f32 v54, v100, v64, -v54
	v_dual_fmac_f32 v131, v103, v66 :: v_dual_fmac_f32 v132, v105, v68
	s_wait_loadcnt_dscnt 0x403
	v_dual_mul_f32 v134, v108, v73 :: v_dual_mul_f32 v135, v110, v75
	v_fma_f32 v50, v96, v60, -v50
	s_wait_loadcnt_dscnt 0x302
	v_dual_mul_f32 v136, v112, v77 :: v_dual_mul_f32 v137, v114, v79
	s_wait_loadcnt_dscnt 0x201
	v_dual_mul_f32 v138, v116, v81 :: v_dual_mul_f32 v139, v118, v83
	v_add_f32_e32 v50, v52, v50
	v_mul_f32_e32 v52, v103, v67
	v_dual_fmac_f32 v136, v113, v76 :: v_dual_fmac_f32 v137, v115, v78
	s_delay_alu instid0(VALU_DEP_4) | instskip(NEXT) | instid1(VALU_DEP_4)
	v_dual_fmac_f32 v138, v117, v80 :: v_dual_fmac_f32 v139, v119, v82
	v_dual_add_f32 v50, v50, v53 :: v_dual_add_f32 v49, v49, v126
	v_mul_f32_e32 v53, v105, v69
	v_fma_f32 v52, v102, v66, -v52
	v_fmac_f32_e32 v133, v107, v70
	s_delay_alu instid0(VALU_DEP_4)
	v_add_f32_e32 v50, v50, v54
	v_mul_f32_e32 v54, v107, v71
	v_add_f32_e32 v49, v49, v127
	v_fma_f32 v53, v104, v68, -v53
	v_fmac_f32_e32 v134, v109, v72
	v_add_f32_e32 v50, v50, v52
	v_mul_f32_e32 v52, v109, v73
	v_add_f32_e32 v49, v49, v128
	v_fma_f32 v54, v106, v70, -v54
	s_delay_alu instid0(VALU_DEP_4) | instskip(SKIP_1) | instid1(VALU_DEP_4)
	v_dual_fmac_f32 v135, v111, v74 :: v_dual_add_f32 v50, v50, v53
	v_mul_f32_e32 v53, v111, v75
	v_add_f32_e32 v49, v49, v129
	v_fma_f32 v52, v108, v72, -v52
	s_wait_loadcnt_dscnt 0x100
	v_dual_mul_f32 v140, v120, v85 :: v_dual_mul_f32 v141, v122, v87
	v_add_f32_e32 v50, v50, v54
	v_add_f32_e32 v49, v49, v130
	v_fma_f32 v53, v110, v74, -v53
	v_mul_f32_e32 v54, v113, v77
	v_dual_fmac_f32 v140, v121, v84 :: v_dual_fmac_f32 v141, v123, v86
	s_delay_alu instid0(VALU_DEP_4) | instskip(SKIP_1) | instid1(VALU_DEP_4)
	v_dual_add_f32 v50, v50, v52 :: v_dual_add_f32 v49, v49, v131
	v_mul_f32_e32 v52, v115, v79
	v_fma_f32 v54, v112, v76, -v54
	s_delay_alu instid0(VALU_DEP_3) | instskip(SKIP_1) | instid1(VALU_DEP_4)
	v_dual_add_f32 v50, v50, v53 :: v_dual_add_f32 v49, v49, v132
	v_mul_f32_e32 v53, v117, v81
	v_fma_f32 v52, v114, v78, -v52
	s_delay_alu instid0(VALU_DEP_3) | instskip(SKIP_1) | instid1(VALU_DEP_4)
	;; [unrolled: 4-line block ×4, first 2 shown]
	v_dual_add_f32 v50, v50, v53 :: v_dual_add_f32 v49, v49, v135
	v_mul_f32_e32 v53, v123, v87
	v_fma_f32 v52, v120, v84, -v52
	s_delay_alu instid0(VALU_DEP_3) | instskip(NEXT) | instid1(VALU_DEP_3)
	v_dual_add_f32 v50, v50, v54 :: v_dual_add_f32 v49, v49, v136
	v_fma_f32 v53, v122, v86, -v53
	s_delay_alu instid0(VALU_DEP_2) | instskip(NEXT) | instid1(VALU_DEP_1)
	v_dual_add_f32 v50, v50, v52 :: v_dual_add_f32 v49, v49, v137
	v_dual_add_f32 v50, v50, v53 :: v_dual_add_f32 v49, v49, v138
	s_delay_alu instid0(VALU_DEP_1) | instskip(NEXT) | instid1(VALU_DEP_1)
	v_add_f32_e32 v49, v49, v139
	v_add_f32_e32 v49, v49, v140
	s_wait_loadcnt 0x0
	s_delay_alu instid0(VALU_DEP_1) | instskip(NEXT) | instid1(VALU_DEP_1)
	v_dual_add_f32 v52, v49, v141 :: v_dual_sub_f32 v49, v124, v50
	v_sub_f32_e32 v50, v125, v52
	scratch_store_b64 off, v[49:50], off offset:40
	v_cmpx_lt_u32_e32 4, v0
	s_cbranch_execz .LBB23_149
; %bb.148:
	scratch_load_b64 v[49:50], off, off offset:32
	v_mov_b32_e32 v52, 0
	s_delay_alu instid0(VALU_DEP_1)
	v_mov_b32_e32 v53, v52
	scratch_store_b64 off, v[52:53], off offset:32
	s_wait_loadcnt 0x0
	ds_store_b64 v51, v[49:50]
.LBB23_149:
	s_wait_alu 0xfffe
	s_or_b32 exec_lo, exec_lo, s0
	s_wait_storecnt_dscnt 0x0
	s_barrier_signal -1
	s_barrier_wait -1
	global_inv scope:SCOPE_SE
	s_clause 0xa
	scratch_load_b128 v[52:55], off, off offset:40
	scratch_load_b128 v[56:59], off, off offset:56
	scratch_load_b128 v[60:63], off, off offset:72
	scratch_load_b128 v[64:67], off, off offset:88
	scratch_load_b128 v[68:71], off, off offset:104
	scratch_load_b128 v[72:75], off, off offset:120
	scratch_load_b128 v[76:79], off, off offset:136
	scratch_load_b128 v[80:83], off, off offset:152
	scratch_load_b128 v[84:87], off, off offset:168
	scratch_load_b64 v[124:125], off, off offset:184
	scratch_load_b64 v[126:127], off, off offset:32
	v_mov_b32_e32 v49, 0
	ds_load_2addr_b64 v[88:91], v49 offset0:29 offset1:30
	ds_load_2addr_b64 v[92:95], v49 offset0:31 offset1:32
	;; [unrolled: 1-line block ×9, first 2 shown]
	ds_load_b64 v[128:129], v49 offset:376
	s_mov_b32 s0, exec_lo
	s_wait_loadcnt_dscnt 0xa09
	v_mul_f32_e32 v50, v88, v53
	s_wait_loadcnt_dscnt 0x908
	v_dual_mul_f32 v130, v90, v55 :: v_dual_mul_f32 v131, v92, v57
	v_mul_f32_e32 v53, v89, v53
	s_delay_alu instid0(VALU_DEP_3)
	v_dual_mul_f32 v55, v91, v55 :: v_dual_fmac_f32 v50, v89, v52
	s_wait_loadcnt_dscnt 0x807
	v_dual_mul_f32 v132, v94, v59 :: v_dual_mul_f32 v133, v96, v61
	s_wait_loadcnt_dscnt 0x100
	v_dual_mul_f32 v144, v118, v83 :: v_dual_mul_f32 v147, v128, v125
	v_fma_f32 v53, v88, v52, -v53
	v_mul_f32_e32 v52, v93, v57
	v_fmac_f32_e32 v130, v91, v54
	v_fma_f32 v54, v90, v54, -v55
	v_dual_add_f32 v50, 0, v50 :: v_dual_mul_f32 v55, v95, v59
	v_add_f32_e32 v53, 0, v53
	v_fmac_f32_e32 v131, v93, v56
	v_fma_f32 v52, v92, v56, -v52
	s_delay_alu instid0(VALU_DEP_4)
	v_add_f32_e32 v50, v50, v130
	v_fma_f32 v55, v94, v58, -v55
	v_add_f32_e32 v53, v53, v54
	v_mul_f32_e32 v54, v97, v61
	v_dual_mul_f32 v136, v102, v67 :: v_dual_mul_f32 v137, v104, v69
	v_add_f32_e32 v50, v50, v131
	s_delay_alu instid0(VALU_DEP_4) | instskip(NEXT) | instid1(VALU_DEP_4)
	v_dual_add_f32 v52, v53, v52 :: v_dual_mul_f32 v53, v99, v63
	v_fma_f32 v54, v96, v60, -v54
	v_dual_mul_f32 v138, v106, v71 :: v_dual_mul_f32 v139, v108, v73
	s_delay_alu instid0(VALU_DEP_3) | instskip(NEXT) | instid1(VALU_DEP_4)
	v_dual_add_f32 v52, v52, v55 :: v_dual_mul_f32 v55, v101, v65
	v_fma_f32 v53, v98, v62, -v53
	v_dual_mul_f32 v140, v110, v75 :: v_dual_mul_f32 v141, v112, v77
	s_delay_alu instid0(VALU_DEP_3) | instskip(SKIP_3) | instid1(VALU_DEP_4)
	v_dual_add_f32 v52, v52, v54 :: v_dual_fmac_f32 v137, v105, v68
	v_dual_fmac_f32 v132, v95, v58 :: v_dual_fmac_f32 v133, v97, v60
	v_dual_mul_f32 v54, v103, v67 :: v_dual_fmac_f32 v139, v109, v72
	v_fma_f32 v55, v100, v64, -v55
	v_dual_add_f32 v52, v52, v53 :: v_dual_fmac_f32 v141, v113, v76
	v_dual_mul_f32 v142, v114, v79 :: v_dual_mul_f32 v143, v116, v81
	v_dual_add_f32 v50, v50, v132 :: v_dual_mul_f32 v53, v105, v69
	v_fma_f32 v54, v102, v66, -v54
	s_delay_alu instid0(VALU_DEP_3) | instskip(SKIP_1) | instid1(VALU_DEP_4)
	v_dual_add_f32 v52, v52, v55 :: v_dual_fmac_f32 v143, v117, v80
	v_mul_f32_e32 v55, v107, v71
	v_fma_f32 v53, v104, v68, -v53
	v_dual_mul_f32 v134, v98, v63 :: v_dual_mul_f32 v135, v100, v65
	s_delay_alu instid0(VALU_DEP_4) | instskip(SKIP_2) | instid1(VALU_DEP_4)
	v_add_f32_e32 v52, v52, v54
	v_mul_f32_e32 v54, v109, v73
	v_fma_f32 v55, v106, v70, -v55
	v_dual_fmac_f32 v134, v99, v62 :: v_dual_fmac_f32 v135, v101, v64
	s_delay_alu instid0(VALU_DEP_4) | instskip(SKIP_2) | instid1(VALU_DEP_3)
	v_dual_add_f32 v52, v52, v53 :: v_dual_fmac_f32 v147, v129, v124
	v_dual_add_f32 v50, v50, v133 :: v_dual_mul_f32 v53, v111, v75
	v_fma_f32 v54, v108, v72, -v54
	v_dual_add_f32 v52, v52, v55 :: v_dual_mul_f32 v55, v113, v77
	s_delay_alu instid0(VALU_DEP_3) | instskip(NEXT) | instid1(VALU_DEP_4)
	v_add_f32_e32 v50, v50, v134
	v_fma_f32 v53, v110, v74, -v53
	v_dual_mul_f32 v145, v120, v85 :: v_dual_mul_f32 v146, v122, v87
	s_delay_alu instid0(VALU_DEP_4)
	v_add_f32_e32 v52, v52, v54
	v_mul_f32_e32 v54, v115, v79
	v_fma_f32 v55, v112, v76, -v55
	v_fmac_f32_e32 v136, v103, v66
	v_dual_add_f32 v50, v50, v135 :: v_dual_fmac_f32 v145, v121, v84
	v_add_f32_e32 v52, v52, v53
	v_mul_f32_e32 v53, v117, v81
	v_fma_f32 v54, v114, v78, -v54
	s_delay_alu instid0(VALU_DEP_4)
	v_add_f32_e32 v50, v50, v136
	v_fmac_f32_e32 v138, v107, v70
	v_add_f32_e32 v52, v52, v55
	v_mul_f32_e32 v55, v119, v83
	v_fma_f32 v53, v116, v80, -v53
	v_fmac_f32_e32 v140, v111, v74
	v_fmac_f32_e32 v142, v115, v78
	v_add_f32_e32 v52, v52, v54
	v_fma_f32 v55, v118, v82, -v55
	v_mul_f32_e32 v54, v121, v85
	v_fmac_f32_e32 v144, v119, v82
	v_fmac_f32_e32 v146, v123, v86
	v_dual_add_f32 v52, v52, v53 :: v_dual_mul_f32 v53, v123, v87
	v_add_f32_e32 v50, v50, v137
	v_fma_f32 v54, v120, v84, -v54
	s_delay_alu instid0(VALU_DEP_3) | instskip(NEXT) | instid1(VALU_DEP_3)
	v_dual_add_f32 v52, v52, v55 :: v_dual_mul_f32 v55, v129, v125
	v_add_f32_e32 v50, v50, v138
	v_fma_f32 v53, v122, v86, -v53
	s_delay_alu instid0(VALU_DEP_3) | instskip(NEXT) | instid1(VALU_DEP_4)
	v_add_f32_e32 v52, v52, v54
	v_fma_f32 v54, v128, v124, -v55
	s_delay_alu instid0(VALU_DEP_4) | instskip(NEXT) | instid1(VALU_DEP_3)
	v_add_f32_e32 v50, v50, v139
	v_add_f32_e32 v52, v52, v53
	s_delay_alu instid0(VALU_DEP_2) | instskip(NEXT) | instid1(VALU_DEP_2)
	v_add_f32_e32 v50, v50, v140
	v_add_f32_e32 v52, v52, v54
	s_delay_alu instid0(VALU_DEP_2) | instskip(SKIP_1) | instid1(VALU_DEP_2)
	v_add_f32_e32 v50, v50, v141
	s_wait_loadcnt 0x0
	v_sub_f32_e32 v52, v126, v52
	s_delay_alu instid0(VALU_DEP_2) | instskip(NEXT) | instid1(VALU_DEP_1)
	v_add_f32_e32 v50, v50, v142
	v_add_f32_e32 v50, v50, v143
	s_delay_alu instid0(VALU_DEP_1) | instskip(NEXT) | instid1(VALU_DEP_1)
	v_add_f32_e32 v50, v50, v144
	v_add_f32_e32 v50, v50, v145
	s_delay_alu instid0(VALU_DEP_1) | instskip(NEXT) | instid1(VALU_DEP_1)
	v_add_f32_e32 v50, v50, v146
	v_add_f32_e32 v50, v50, v147
	s_delay_alu instid0(VALU_DEP_1)
	v_sub_f32_e32 v53, v127, v50
	scratch_store_b64 off, v[52:53], off offset:32
	v_cmpx_lt_u32_e32 3, v0
	s_cbranch_execz .LBB23_151
; %bb.150:
	scratch_load_b64 v[52:53], off, off offset:24
	v_mov_b32_e32 v50, v49
	scratch_store_b64 off, v[49:50], off offset:24
	s_wait_loadcnt 0x0
	ds_store_b64 v51, v[52:53]
.LBB23_151:
	s_wait_alu 0xfffe
	s_or_b32 exec_lo, exec_lo, s0
	s_wait_storecnt_dscnt 0x0
	s_barrier_signal -1
	s_barrier_wait -1
	global_inv scope:SCOPE_SE
	s_clause 0xa
	scratch_load_b128 v[52:55], off, off offset:32
	scratch_load_b128 v[56:59], off, off offset:48
	;; [unrolled: 1-line block ×10, first 2 shown]
	scratch_load_b64 v[132:133], off, off offset:24
	ds_load_b128 v[92:95], v49 offset:224
	ds_load_b128 v[96:99], v49 offset:240
	;; [unrolled: 1-line block ×10, first 2 shown]
	s_mov_b32 s0, exec_lo
	s_wait_loadcnt_dscnt 0xa09
	v_dual_mul_f32 v49, v92, v53 :: v_dual_mul_f32 v50, v94, v55
	v_mul_f32_e32 v53, v93, v53
	s_wait_loadcnt_dscnt 0x908
	v_dual_mul_f32 v55, v95, v55 :: v_dual_mul_f32 v134, v96, v57
	s_delay_alu instid0(VALU_DEP_3) | instskip(NEXT) | instid1(VALU_DEP_3)
	v_dual_mul_f32 v135, v98, v59 :: v_dual_fmac_f32 v50, v95, v54
	v_fma_f32 v53, v92, v52, -v53
	v_fmac_f32_e32 v49, v93, v52
	v_mul_f32_e32 v52, v97, v57
	v_fma_f32 v54, v94, v54, -v55
	v_mul_f32_e32 v55, v99, v59
	v_dual_add_f32 v53, 0, v53 :: v_dual_fmac_f32 v134, v97, v56
	s_delay_alu instid0(VALU_DEP_4) | instskip(SKIP_2) | instid1(VALU_DEP_3)
	v_fma_f32 v52, v96, v56, -v52
	s_wait_loadcnt_dscnt 0x807
	v_dual_mul_f32 v136, v100, v61 :: v_dual_mul_f32 v137, v102, v63
	v_add_f32_e32 v53, v53, v54
	v_fmac_f32_e32 v135, v99, v58
	v_fma_f32 v54, v98, v58, -v55
	s_wait_loadcnt_dscnt 0x706
	v_dual_mul_f32 v138, v104, v65 :: v_dual_mul_f32 v139, v106, v67
	v_dual_add_f32 v52, v53, v52 :: v_dual_mul_f32 v53, v103, v63
	v_fmac_f32_e32 v136, v101, v60
	s_wait_loadcnt_dscnt 0x605
	v_dual_mul_f32 v140, v108, v69 :: v_dual_mul_f32 v141, v110, v71
	s_delay_alu instid0(VALU_DEP_3) | instskip(SKIP_3) | instid1(VALU_DEP_4)
	v_dual_add_f32 v52, v52, v54 :: v_dual_add_f32 v49, 0, v49
	v_mul_f32_e32 v54, v105, v65
	v_fma_f32 v53, v102, v62, -v53
	v_dual_fmac_f32 v137, v103, v62 :: v_dual_fmac_f32 v138, v105, v64
	v_add_f32_e32 v49, v49, v50
	v_mul_f32_e32 v50, v101, v61
	v_fma_f32 v54, v104, v64, -v54
	v_dual_fmac_f32 v139, v107, v66 :: v_dual_fmac_f32 v140, v109, v68
	s_wait_loadcnt_dscnt 0x504
	v_dual_mul_f32 v142, v112, v73 :: v_dual_mul_f32 v143, v114, v75
	v_fma_f32 v50, v100, v60, -v50
	s_wait_loadcnt_dscnt 0x403
	v_dual_mul_f32 v144, v116, v77 :: v_dual_mul_f32 v145, v118, v79
	s_wait_loadcnt_dscnt 0x302
	v_dual_mul_f32 v146, v120, v81 :: v_dual_mul_f32 v147, v122, v83
	v_add_f32_e32 v50, v52, v50
	v_mul_f32_e32 v52, v107, v67
	v_dual_fmac_f32 v144, v117, v76 :: v_dual_fmac_f32 v145, v119, v78
	s_delay_alu instid0(VALU_DEP_4) | instskip(NEXT) | instid1(VALU_DEP_4)
	v_dual_fmac_f32 v146, v121, v80 :: v_dual_fmac_f32 v147, v123, v82
	v_dual_add_f32 v50, v50, v53 :: v_dual_add_f32 v49, v49, v134
	v_mul_f32_e32 v53, v109, v69
	v_fma_f32 v52, v106, v66, -v52
	v_fmac_f32_e32 v141, v111, v70
	s_delay_alu instid0(VALU_DEP_4)
	v_add_f32_e32 v50, v50, v54
	v_mul_f32_e32 v54, v111, v71
	v_add_f32_e32 v49, v49, v135
	v_fma_f32 v53, v108, v68, -v53
	v_fmac_f32_e32 v142, v113, v72
	v_add_f32_e32 v50, v50, v52
	v_mul_f32_e32 v52, v113, v73
	v_add_f32_e32 v49, v49, v136
	v_fma_f32 v54, v110, v70, -v54
	s_delay_alu instid0(VALU_DEP_4) | instskip(SKIP_1) | instid1(VALU_DEP_4)
	v_dual_fmac_f32 v143, v115, v74 :: v_dual_add_f32 v50, v50, v53
	v_mul_f32_e32 v53, v115, v75
	v_add_f32_e32 v49, v49, v137
	v_fma_f32 v52, v112, v72, -v52
	s_wait_loadcnt_dscnt 0x201
	v_dual_mul_f32 v148, v124, v85 :: v_dual_mul_f32 v149, v126, v87
	v_add_f32_e32 v50, v50, v54
	v_add_f32_e32 v49, v49, v138
	v_fma_f32 v53, v114, v74, -v53
	v_mul_f32_e32 v54, v117, v77
	s_wait_loadcnt_dscnt 0x100
	v_dual_mul_f32 v150, v128, v89 :: v_dual_mul_f32 v151, v130, v91
	v_dual_add_f32 v50, v50, v52 :: v_dual_add_f32 v49, v49, v139
	v_mul_f32_e32 v52, v119, v79
	v_fma_f32 v54, v116, v76, -v54
	v_dual_fmac_f32 v148, v125, v84 :: v_dual_fmac_f32 v149, v127, v86
	s_delay_alu instid0(VALU_DEP_4) | instskip(SKIP_3) | instid1(VALU_DEP_4)
	v_dual_add_f32 v50, v50, v53 :: v_dual_add_f32 v49, v49, v140
	v_mul_f32_e32 v53, v121, v81
	v_fma_f32 v52, v118, v78, -v52
	v_fmac_f32_e32 v151, v131, v90
	v_dual_add_f32 v50, v50, v54 :: v_dual_add_f32 v49, v49, v141
	v_mul_f32_e32 v54, v123, v83
	v_fma_f32 v53, v120, v80, -v53
	s_delay_alu instid0(VALU_DEP_3) | instskip(SKIP_1) | instid1(VALU_DEP_4)
	v_dual_add_f32 v50, v50, v52 :: v_dual_add_f32 v49, v49, v142
	v_mul_f32_e32 v52, v125, v85
	v_fma_f32 v54, v122, v82, -v54
	s_delay_alu instid0(VALU_DEP_3) | instskip(SKIP_1) | instid1(VALU_DEP_4)
	;; [unrolled: 4-line block ×4, first 2 shown]
	v_dual_add_f32 v50, v50, v52 :: v_dual_add_f32 v49, v49, v145
	v_mul_f32_e32 v52, v131, v91
	v_fma_f32 v54, v128, v88, -v54
	s_delay_alu instid0(VALU_DEP_3) | instskip(NEXT) | instid1(VALU_DEP_3)
	v_dual_add_f32 v50, v50, v53 :: v_dual_add_f32 v49, v49, v146
	v_fma_f32 v52, v130, v90, -v52
	s_delay_alu instid0(VALU_DEP_2) | instskip(NEXT) | instid1(VALU_DEP_1)
	v_dual_add_f32 v50, v50, v54 :: v_dual_add_f32 v49, v49, v147
	v_add_f32_e32 v50, v50, v52
	s_delay_alu instid0(VALU_DEP_2) | instskip(SKIP_1) | instid1(VALU_DEP_2)
	v_add_f32_e32 v49, v49, v148
	v_fmac_f32_e32 v150, v129, v88
	v_add_f32_e32 v49, v49, v149
	s_delay_alu instid0(VALU_DEP_1) | instskip(SKIP_1) | instid1(VALU_DEP_1)
	v_add_f32_e32 v49, v49, v150
	s_wait_loadcnt 0x0
	v_dual_add_f32 v52, v49, v151 :: v_dual_sub_f32 v49, v132, v50
	s_delay_alu instid0(VALU_DEP_1)
	v_sub_f32_e32 v50, v133, v52
	scratch_store_b64 off, v[49:50], off offset:24
	v_cmpx_lt_u32_e32 2, v0
	s_cbranch_execz .LBB23_153
; %bb.152:
	scratch_load_b64 v[49:50], off, off offset:16
	v_mov_b32_e32 v52, 0
	s_delay_alu instid0(VALU_DEP_1)
	v_mov_b32_e32 v53, v52
	scratch_store_b64 off, v[52:53], off offset:16
	s_wait_loadcnt 0x0
	ds_store_b64 v51, v[49:50]
.LBB23_153:
	s_wait_alu 0xfffe
	s_or_b32 exec_lo, exec_lo, s0
	s_wait_storecnt_dscnt 0x0
	s_barrier_signal -1
	s_barrier_wait -1
	global_inv scope:SCOPE_SE
	s_clause 0xb
	scratch_load_b128 v[52:55], off, off offset:24
	scratch_load_b128 v[56:59], off, off offset:40
	;; [unrolled: 1-line block ×10, first 2 shown]
	scratch_load_b64 v[132:133], off, off offset:184
	scratch_load_b64 v[134:135], off, off offset:16
	v_mov_b32_e32 v49, 0
	ds_load_2addr_b64 v[92:95], v49 offset0:27 offset1:28
	ds_load_2addr_b64 v[96:99], v49 offset0:29 offset1:30
	;; [unrolled: 1-line block ×10, first 2 shown]
	ds_load_b64 v[136:137], v49 offset:376
	s_mov_b32 s0, exec_lo
	s_wait_loadcnt_dscnt 0xb0a
	v_mul_f32_e32 v50, v92, v53
	s_wait_loadcnt_dscnt 0xa09
	v_dual_mul_f32 v138, v94, v55 :: v_dual_mul_f32 v139, v96, v57
	v_mul_f32_e32 v55, v95, v55
	v_dual_mul_f32 v53, v93, v53 :: v_dual_mul_f32 v140, v98, v59
	s_wait_loadcnt_dscnt 0x908
	v_dual_mul_f32 v141, v100, v61 :: v_dual_fmac_f32 v50, v93, v52
	s_wait_loadcnt_dscnt 0x302
	v_mul_f32_e32 v154, v126, v87
	v_fma_f32 v53, v92, v52, -v53
	s_wait_loadcnt_dscnt 0x100
	v_mul_f32_e32 v157, v136, v133
	v_mul_f32_e32 v52, v97, v57
	v_fmac_f32_e32 v138, v95, v54
	v_fma_f32 v54, v94, v54, -v55
	v_dual_add_f32 v53, 0, v53 :: v_dual_add_f32 v50, 0, v50
	v_mul_f32_e32 v55, v99, v59
	v_fmac_f32_e32 v139, v97, v56
	v_fma_f32 v52, v96, v56, -v52
	v_dual_mul_f32 v144, v106, v67 :: v_dual_mul_f32 v145, v108, v69
	v_add_f32_e32 v50, v50, v138
	v_add_f32_e32 v53, v53, v54
	v_mul_f32_e32 v54, v101, v61
	v_fma_f32 v55, v98, v58, -v55
	v_dual_mul_f32 v146, v110, v71 :: v_dual_mul_f32 v147, v112, v73
	v_add_f32_e32 v50, v50, v139
	v_dual_add_f32 v52, v53, v52 :: v_dual_mul_f32 v53, v103, v63
	v_fma_f32 v54, v100, v60, -v54
	v_dual_mul_f32 v148, v114, v75 :: v_dual_mul_f32 v149, v116, v77
	s_delay_alu instid0(VALU_DEP_3) | instskip(NEXT) | instid1(VALU_DEP_4)
	v_dual_add_f32 v52, v52, v55 :: v_dual_mul_f32 v55, v105, v65
	v_fma_f32 v53, v102, v62, -v53
	v_dual_fmac_f32 v140, v99, v58 :: v_dual_fmac_f32 v141, v101, v60
	s_delay_alu instid0(VALU_DEP_3) | instskip(SKIP_2) | instid1(VALU_DEP_3)
	v_dual_add_f32 v52, v52, v54 :: v_dual_fmac_f32 v145, v109, v68
	v_dual_mul_f32 v54, v107, v67 :: v_dual_fmac_f32 v147, v113, v72
	v_fma_f32 v55, v104, v64, -v55
	v_dual_add_f32 v52, v52, v53 :: v_dual_fmac_f32 v149, v117, v76
	v_dual_mul_f32 v150, v118, v79 :: v_dual_mul_f32 v151, v120, v81
	v_dual_add_f32 v50, v50, v140 :: v_dual_mul_f32 v53, v109, v69
	v_fma_f32 v54, v106, v66, -v54
	s_delay_alu instid0(VALU_DEP_3) | instskip(SKIP_1) | instid1(VALU_DEP_4)
	v_dual_add_f32 v52, v52, v55 :: v_dual_fmac_f32 v151, v121, v80
	v_mul_f32_e32 v55, v111, v71
	v_fma_f32 v53, v108, v68, -v53
	v_dual_mul_f32 v142, v102, v63 :: v_dual_mul_f32 v143, v104, v65
	s_delay_alu instid0(VALU_DEP_4) | instskip(SKIP_3) | instid1(VALU_DEP_3)
	v_add_f32_e32 v52, v52, v54
	v_dual_mul_f32 v155, v128, v89 :: v_dual_mul_f32 v156, v130, v91
	v_mul_f32_e32 v54, v113, v73
	v_fma_f32 v55, v110, v70, -v55
	v_dual_add_f32 v52, v52, v53 :: v_dual_fmac_f32 v155, v129, v88
	v_dual_fmac_f32 v142, v103, v62 :: v_dual_fmac_f32 v143, v105, v64
	v_dual_add_f32 v50, v50, v141 :: v_dual_mul_f32 v53, v115, v75
	v_fma_f32 v54, v112, v72, -v54
	s_delay_alu instid0(VALU_DEP_4) | instskip(NEXT) | instid1(VALU_DEP_3)
	v_dual_add_f32 v52, v52, v55 :: v_dual_mul_f32 v55, v117, v77
	v_add_f32_e32 v50, v50, v142
	s_delay_alu instid0(VALU_DEP_4) | instskip(SKIP_1) | instid1(VALU_DEP_4)
	v_fma_f32 v53, v114, v74, -v53
	v_dual_mul_f32 v152, v122, v83 :: v_dual_mul_f32 v153, v124, v85
	v_add_f32_e32 v52, v52, v54
	v_mul_f32_e32 v54, v119, v79
	v_fma_f32 v55, v116, v76, -v55
	v_fmac_f32_e32 v144, v107, v66
	v_dual_add_f32 v50, v50, v143 :: v_dual_fmac_f32 v153, v125, v84
	v_add_f32_e32 v52, v52, v53
	v_mul_f32_e32 v53, v121, v81
	v_fma_f32 v54, v118, v78, -v54
	s_delay_alu instid0(VALU_DEP_4)
	v_add_f32_e32 v50, v50, v144
	v_fmac_f32_e32 v146, v111, v70
	v_add_f32_e32 v52, v52, v55
	v_mul_f32_e32 v55, v123, v83
	v_fma_f32 v53, v120, v80, -v53
	v_dual_fmac_f32 v157, v137, v132 :: v_dual_fmac_f32 v148, v115, v74
	s_delay_alu instid0(VALU_DEP_4) | instskip(NEXT) | instid1(VALU_DEP_4)
	v_add_f32_e32 v52, v52, v54
	v_fma_f32 v55, v122, v82, -v55
	v_fmac_f32_e32 v150, v119, v78
	v_mul_f32_e32 v54, v125, v85
	v_fmac_f32_e32 v152, v123, v82
	v_dual_add_f32 v52, v52, v53 :: v_dual_mul_f32 v53, v127, v87
	v_add_f32_e32 v50, v50, v145
	s_delay_alu instid0(VALU_DEP_4) | instskip(SKIP_1) | instid1(VALU_DEP_4)
	v_fma_f32 v54, v124, v84, -v54
	v_fmac_f32_e32 v154, v127, v86
	v_dual_add_f32 v52, v52, v55 :: v_dual_mul_f32 v55, v129, v89
	s_delay_alu instid0(VALU_DEP_4) | instskip(SKIP_2) | instid1(VALU_DEP_4)
	v_add_f32_e32 v50, v50, v146
	v_fma_f32 v53, v126, v86, -v53
	v_fmac_f32_e32 v156, v131, v90
	v_add_f32_e32 v52, v52, v54
	v_mul_f32_e32 v54, v131, v91
	v_add_f32_e32 v50, v50, v147
	v_fma_f32 v55, v128, v88, -v55
	s_delay_alu instid0(VALU_DEP_4) | instskip(NEXT) | instid1(VALU_DEP_3)
	v_add_f32_e32 v52, v52, v53
	v_dual_mul_f32 v53, v137, v133 :: v_dual_add_f32 v50, v50, v148
	v_fma_f32 v54, v130, v90, -v54
	s_delay_alu instid0(VALU_DEP_3) | instskip(NEXT) | instid1(VALU_DEP_3)
	v_add_f32_e32 v52, v52, v55
	v_fma_f32 v53, v136, v132, -v53
	s_delay_alu instid0(VALU_DEP_4) | instskip(NEXT) | instid1(VALU_DEP_3)
	v_add_f32_e32 v50, v50, v149
	v_add_f32_e32 v52, v52, v54
	s_delay_alu instid0(VALU_DEP_2) | instskip(NEXT) | instid1(VALU_DEP_2)
	v_add_f32_e32 v50, v50, v150
	v_add_f32_e32 v52, v52, v53
	s_delay_alu instid0(VALU_DEP_2) | instskip(SKIP_1) | instid1(VALU_DEP_2)
	v_add_f32_e32 v50, v50, v151
	s_wait_loadcnt 0x0
	v_sub_f32_e32 v52, v134, v52
	s_delay_alu instid0(VALU_DEP_2) | instskip(NEXT) | instid1(VALU_DEP_1)
	v_add_f32_e32 v50, v50, v152
	v_add_f32_e32 v50, v50, v153
	s_delay_alu instid0(VALU_DEP_1) | instskip(NEXT) | instid1(VALU_DEP_1)
	v_add_f32_e32 v50, v50, v154
	v_add_f32_e32 v50, v50, v155
	s_delay_alu instid0(VALU_DEP_1) | instskip(NEXT) | instid1(VALU_DEP_1)
	v_add_f32_e32 v50, v50, v156
	v_add_f32_e32 v50, v50, v157
	s_delay_alu instid0(VALU_DEP_1)
	v_sub_f32_e32 v53, v135, v50
	scratch_store_b64 off, v[52:53], off offset:16
	v_cmpx_lt_u32_e32 1, v0
	s_cbranch_execz .LBB23_155
; %bb.154:
	scratch_load_b64 v[52:53], off, off offset:8
	v_mov_b32_e32 v50, v49
	scratch_store_b64 off, v[49:50], off offset:8
	s_wait_loadcnt 0x0
	ds_store_b64 v51, v[52:53]
.LBB23_155:
	s_wait_alu 0xfffe
	s_or_b32 exec_lo, exec_lo, s0
	s_wait_storecnt_dscnt 0x0
	s_barrier_signal -1
	s_barrier_wait -1
	global_inv scope:SCOPE_SE
	s_clause 0xb
	scratch_load_b128 v[52:55], off, off offset:16
	scratch_load_b128 v[56:59], off, off offset:32
	;; [unrolled: 1-line block ×11, first 2 shown]
	scratch_load_b64 v[140:141], off, off offset:8
	ds_load_b128 v[96:99], v49 offset:208
	ds_load_b128 v[100:103], v49 offset:224
	;; [unrolled: 1-line block ×11, first 2 shown]
	s_mov_b32 s0, exec_lo
	s_wait_loadcnt_dscnt 0xb0a
	v_dual_mul_f32 v49, v96, v53 :: v_dual_mul_f32 v50, v98, v55
	v_mul_f32_e32 v53, v97, v53
	s_wait_loadcnt_dscnt 0xa09
	v_dual_mul_f32 v55, v99, v55 :: v_dual_mul_f32 v142, v100, v57
	s_delay_alu instid0(VALU_DEP_3) | instskip(NEXT) | instid1(VALU_DEP_3)
	v_dual_mul_f32 v143, v102, v59 :: v_dual_fmac_f32 v50, v99, v54
	v_fma_f32 v53, v96, v52, -v53
	v_fmac_f32_e32 v49, v97, v52
	v_mul_f32_e32 v52, v101, v57
	v_fma_f32 v54, v98, v54, -v55
	v_mul_f32_e32 v55, v103, v59
	v_dual_add_f32 v53, 0, v53 :: v_dual_fmac_f32 v142, v101, v56
	s_delay_alu instid0(VALU_DEP_4) | instskip(SKIP_2) | instid1(VALU_DEP_3)
	v_fma_f32 v52, v100, v56, -v52
	s_wait_loadcnt_dscnt 0x908
	v_dual_mul_f32 v144, v104, v61 :: v_dual_mul_f32 v145, v106, v63
	v_add_f32_e32 v53, v53, v54
	v_fmac_f32_e32 v143, v103, v58
	v_fma_f32 v54, v102, v58, -v55
	s_wait_loadcnt_dscnt 0x807
	v_dual_mul_f32 v146, v108, v65 :: v_dual_mul_f32 v147, v110, v67
	v_dual_add_f32 v52, v53, v52 :: v_dual_mul_f32 v53, v107, v63
	v_fmac_f32_e32 v144, v105, v60
	s_wait_loadcnt_dscnt 0x706
	v_dual_mul_f32 v148, v112, v69 :: v_dual_mul_f32 v149, v114, v71
	s_delay_alu instid0(VALU_DEP_3) | instskip(SKIP_3) | instid1(VALU_DEP_4)
	v_dual_add_f32 v52, v52, v54 :: v_dual_add_f32 v49, 0, v49
	v_mul_f32_e32 v54, v109, v65
	v_fma_f32 v53, v106, v62, -v53
	v_dual_fmac_f32 v145, v107, v62 :: v_dual_fmac_f32 v146, v109, v64
	v_add_f32_e32 v49, v49, v50
	v_mul_f32_e32 v50, v105, v61
	v_fma_f32 v54, v108, v64, -v54
	v_dual_fmac_f32 v147, v111, v66 :: v_dual_fmac_f32 v148, v113, v68
	s_wait_loadcnt_dscnt 0x605
	v_dual_mul_f32 v150, v116, v73 :: v_dual_mul_f32 v151, v118, v75
	v_fma_f32 v50, v104, v60, -v50
	s_wait_loadcnt_dscnt 0x504
	v_dual_mul_f32 v152, v120, v77 :: v_dual_mul_f32 v153, v122, v79
	s_wait_loadcnt_dscnt 0x403
	v_dual_mul_f32 v154, v124, v81 :: v_dual_mul_f32 v155, v126, v83
	v_add_f32_e32 v50, v52, v50
	v_mul_f32_e32 v52, v111, v67
	v_dual_fmac_f32 v152, v121, v76 :: v_dual_fmac_f32 v153, v123, v78
	s_delay_alu instid0(VALU_DEP_4) | instskip(NEXT) | instid1(VALU_DEP_4)
	v_dual_fmac_f32 v154, v125, v80 :: v_dual_fmac_f32 v155, v127, v82
	v_dual_add_f32 v50, v50, v53 :: v_dual_add_f32 v49, v49, v142
	v_mul_f32_e32 v53, v113, v69
	v_fma_f32 v52, v110, v66, -v52
	v_fmac_f32_e32 v149, v115, v70
	s_delay_alu instid0(VALU_DEP_4)
	v_add_f32_e32 v50, v50, v54
	v_mul_f32_e32 v54, v115, v71
	v_add_f32_e32 v49, v49, v143
	v_fma_f32 v53, v112, v68, -v53
	v_fmac_f32_e32 v150, v117, v72
	v_add_f32_e32 v50, v50, v52
	v_mul_f32_e32 v52, v117, v73
	v_add_f32_e32 v49, v49, v144
	v_fma_f32 v54, v114, v70, -v54
	s_delay_alu instid0(VALU_DEP_4) | instskip(SKIP_1) | instid1(VALU_DEP_4)
	v_dual_fmac_f32 v151, v119, v74 :: v_dual_add_f32 v50, v50, v53
	v_mul_f32_e32 v53, v119, v75
	v_add_f32_e32 v49, v49, v145
	v_fma_f32 v52, v116, v72, -v52
	s_wait_loadcnt_dscnt 0x302
	v_dual_mul_f32 v156, v128, v85 :: v_dual_mul_f32 v157, v130, v87
	v_add_f32_e32 v50, v50, v54
	v_add_f32_e32 v49, v49, v146
	v_fma_f32 v53, v118, v74, -v53
	v_mul_f32_e32 v54, v121, v77
	s_wait_loadcnt_dscnt 0x201
	v_dual_mul_f32 v158, v132, v89 :: v_dual_mul_f32 v159, v134, v91
	v_dual_add_f32 v50, v50, v52 :: v_dual_add_f32 v49, v49, v147
	v_mul_f32_e32 v52, v123, v79
	v_fma_f32 v54, v120, v76, -v54
	v_dual_fmac_f32 v156, v129, v84 :: v_dual_fmac_f32 v157, v131, v86
	s_delay_alu instid0(VALU_DEP_4)
	v_dual_add_f32 v50, v50, v53 :: v_dual_add_f32 v49, v49, v148
	v_mul_f32_e32 v53, v125, v81
	v_fma_f32 v52, v122, v78, -v52
	s_wait_loadcnt_dscnt 0x100
	v_dual_mul_f32 v160, v136, v93 :: v_dual_mul_f32 v161, v138, v95
	v_dual_add_f32 v49, v49, v149 :: v_dual_add_f32 v50, v50, v54
	v_mul_f32_e32 v54, v127, v83
	v_fma_f32 v53, v124, v80, -v53
	s_delay_alu instid0(VALU_DEP_4) | instskip(NEXT) | instid1(VALU_DEP_4)
	v_dual_fmac_f32 v158, v133, v88 :: v_dual_fmac_f32 v161, v139, v94
	v_dual_add_f32 v49, v49, v150 :: v_dual_add_f32 v50, v50, v52
	v_mul_f32_e32 v52, v129, v85
	v_fma_f32 v54, v126, v82, -v54
	v_fmac_f32_e32 v159, v135, v90
	s_delay_alu instid0(VALU_DEP_4) | instskip(SKIP_2) | instid1(VALU_DEP_3)
	v_dual_add_f32 v49, v49, v151 :: v_dual_add_f32 v50, v50, v53
	v_mul_f32_e32 v53, v131, v87
	v_fma_f32 v52, v128, v84, -v52
	v_dual_add_f32 v49, v49, v152 :: v_dual_add_f32 v50, v50, v54
	v_mul_f32_e32 v54, v133, v89
	s_delay_alu instid0(VALU_DEP_4) | instskip(NEXT) | instid1(VALU_DEP_3)
	v_fma_f32 v53, v130, v86, -v53
	v_dual_add_f32 v49, v49, v153 :: v_dual_add_f32 v50, v50, v52
	v_mul_f32_e32 v52, v135, v91
	s_delay_alu instid0(VALU_DEP_4) | instskip(NEXT) | instid1(VALU_DEP_3)
	;; [unrolled: 4-line block ×4, first 2 shown]
	v_fma_f32 v53, v136, v92, -v53
	v_add_f32_e32 v49, v49, v156
	s_delay_alu instid0(VALU_DEP_4) | instskip(NEXT) | instid1(VALU_DEP_4)
	v_add_f32_e32 v50, v50, v52
	v_fma_f32 v52, v138, v94, -v54
	s_delay_alu instid0(VALU_DEP_3) | instskip(NEXT) | instid1(VALU_DEP_1)
	v_add_f32_e32 v49, v49, v157
	v_dual_add_f32 v50, v50, v53 :: v_dual_add_f32 v49, v49, v158
	s_delay_alu instid0(VALU_DEP_1) | instskip(SKIP_1) | instid1(VALU_DEP_3)
	v_add_f32_e32 v50, v50, v52
	v_fmac_f32_e32 v160, v137, v92
	v_add_f32_e32 v49, v49, v159
	s_delay_alu instid0(VALU_DEP_1) | instskip(SKIP_1) | instid1(VALU_DEP_1)
	v_add_f32_e32 v49, v49, v160
	s_wait_loadcnt 0x0
	v_dual_add_f32 v52, v49, v161 :: v_dual_sub_f32 v49, v140, v50
	s_delay_alu instid0(VALU_DEP_1)
	v_sub_f32_e32 v50, v141, v52
	scratch_store_b64 off, v[49:50], off offset:8
	v_cmpx_ne_u32_e32 0, v0
	s_cbranch_execz .LBB23_157
; %bb.156:
	scratch_load_b64 v[49:50], off, off
	v_mov_b32_e32 v52, 0
	s_delay_alu instid0(VALU_DEP_1)
	v_mov_b32_e32 v53, v52
	scratch_store_b64 off, v[52:53], off
	s_wait_loadcnt 0x0
	ds_store_b64 v51, v[49:50]
.LBB23_157:
	s_wait_alu 0xfffe
	s_or_b32 exec_lo, exec_lo, s0
	s_wait_storecnt_dscnt 0x0
	s_barrier_signal -1
	s_barrier_wait -1
	global_inv scope:SCOPE_SE
	s_clause 0xc
	scratch_load_b128 v[49:52], off, off offset:8
	scratch_load_b128 v[53:56], off, off offset:24
	;; [unrolled: 1-line block ×11, first 2 shown]
	scratch_load_b64 v[137:138], off, off offset:184
	scratch_load_b64 v[139:140], off, off
	v_mov_b32_e32 v0, 0
	ds_load_2addr_b64 v[93:96], v0 offset0:25 offset1:26
	ds_load_2addr_b64 v[97:100], v0 offset0:27 offset1:28
	;; [unrolled: 1-line block ×11, first 2 shown]
	ds_load_b64 v[141:142], v0 offset:376
	s_and_b32 vcc_lo, exec_lo, s18
	s_wait_loadcnt_dscnt 0xc0b
	v_dual_mul_f32 v143, v93, v50 :: v_dual_mul_f32 v144, v95, v52
	s_wait_loadcnt_dscnt 0xb0a
	v_dual_mul_f32 v145, v97, v54 :: v_dual_mul_f32 v52, v96, v52
	;; [unrolled: 2-line block ×3, first 2 shown]
	v_dual_fmac_f32 v143, v94, v49 :: v_dual_fmac_f32 v144, v96, v51
	s_delay_alu instid0(VALU_DEP_3) | instskip(SKIP_1) | instid1(VALU_DEP_4)
	v_fmac_f32_e32 v145, v98, v53
	v_fma_f32 v51, v95, v51, -v52
	v_dual_fmac_f32 v146, v100, v55 :: v_dual_fmac_f32 v147, v102, v57
	s_delay_alu instid0(VALU_DEP_4)
	v_add_f32_e32 v52, 0, v143
	v_mul_f32_e32 v50, v94, v50
	s_wait_loadcnt_dscnt 0x908
	v_dual_mul_f32 v148, v103, v60 :: v_dual_mul_f32 v149, v105, v62
	s_wait_loadcnt_dscnt 0x807
	v_dual_mul_f32 v150, v107, v64 :: v_dual_mul_f32 v151, v109, v66
	v_fma_f32 v50, v93, v49, -v50
	v_dual_mul_f32 v49, v98, v54 :: v_dual_mul_f32 v54, v100, v56
	v_dual_fmac_f32 v148, v104, v59 :: v_dual_fmac_f32 v149, v106, v61
	s_delay_alu instid0(VALU_DEP_3) | instskip(NEXT) | instid1(VALU_DEP_3)
	v_add_f32_e32 v50, 0, v50
	v_fma_f32 v49, v97, v53, -v49
	s_delay_alu instid0(VALU_DEP_4) | instskip(SKIP_1) | instid1(VALU_DEP_4)
	v_fma_f32 v53, v99, v55, -v54
	v_dual_fmac_f32 v150, v108, v63 :: v_dual_fmac_f32 v151, v110, v65
	v_add_f32_e32 v50, v50, v51
	s_wait_loadcnt_dscnt 0x706
	v_dual_mul_f32 v152, v111, v68 :: v_dual_mul_f32 v153, v113, v70
	s_wait_loadcnt_dscnt 0x605
	v_dual_mul_f32 v154, v115, v72 :: v_dual_mul_f32 v155, v117, v74
	v_add_f32_e32 v49, v50, v49
	v_add_f32_e32 v51, v52, v144
	v_dual_fmac_f32 v152, v112, v67 :: v_dual_fmac_f32 v153, v114, v69
	s_wait_loadcnt_dscnt 0x504
	v_dual_mul_f32 v156, v119, v76 :: v_dual_mul_f32 v157, v121, v78
	s_delay_alu instid0(VALU_DEP_3)
	v_dual_add_f32 v50, v51, v145 :: v_dual_mul_f32 v51, v104, v60
	v_add_f32_e32 v49, v49, v53
	v_dual_mul_f32 v53, v106, v62 :: v_dual_mul_f32 v158, v123, v80
	s_wait_loadcnt_dscnt 0x403
	v_mul_f32_e32 v159, v125, v82
	v_fma_f32 v51, v103, v59, -v51
	v_mul_f32_e32 v52, v102, v58
	v_fma_f32 v53, v105, v61, -v53
	v_dual_fmac_f32 v157, v122, v77 :: v_dual_fmac_f32 v158, v124, v79
	s_wait_loadcnt_dscnt 0x302
	v_dual_mul_f32 v160, v127, v84 :: v_dual_mul_f32 v161, v129, v86
	v_fma_f32 v52, v101, v57, -v52
	v_add_f32_e32 v50, v50, v146
	s_delay_alu instid0(VALU_DEP_3) | instskip(SKIP_4) | instid1(VALU_DEP_3)
	v_dual_fmac_f32 v159, v126, v81 :: v_dual_fmac_f32 v160, v128, v83
	s_wait_loadcnt_dscnt 0x201
	v_dual_mul_f32 v162, v131, v88 :: v_dual_mul_f32 v163, v133, v90
	v_add_f32_e32 v49, v49, v52
	v_dual_mul_f32 v52, v108, v64 :: v_dual_fmac_f32 v161, v130, v85
	v_fmac_f32_e32 v162, v132, v87
	s_wait_loadcnt_dscnt 0x100
	v_dual_mul_f32 v164, v135, v92 :: v_dual_mul_f32 v165, v141, v138
	v_add_f32_e32 v49, v49, v51
	v_add_f32_e32 v50, v50, v147
	v_mul_f32_e32 v51, v110, v66
	v_fma_f32 v52, v107, v63, -v52
	v_fmac_f32_e32 v163, v134, v89
	v_add_f32_e32 v49, v49, v53
	v_mul_f32_e32 v53, v112, v68
	v_fma_f32 v51, v109, v65, -v51
	v_dual_fmac_f32 v165, v142, v137 :: v_dual_fmac_f32 v154, v116, v71
	s_delay_alu instid0(VALU_DEP_4) | instskip(SKIP_4) | instid1(VALU_DEP_4)
	v_add_f32_e32 v49, v49, v52
	v_add_f32_e32 v50, v50, v148
	v_mul_f32_e32 v52, v114, v70
	v_fma_f32 v53, v111, v67, -v53
	v_fmac_f32_e32 v155, v118, v73
	v_dual_add_f32 v49, v49, v51 :: v_dual_add_f32 v50, v50, v149
	v_mul_f32_e32 v51, v116, v72
	v_fma_f32 v52, v113, v69, -v52
	s_delay_alu instid0(VALU_DEP_3) | instskip(NEXT) | instid1(VALU_DEP_4)
	v_dual_fmac_f32 v156, v120, v75 :: v_dual_add_f32 v49, v49, v53
	v_add_f32_e32 v50, v50, v150
	s_delay_alu instid0(VALU_DEP_4) | instskip(SKIP_1) | instid1(VALU_DEP_3)
	v_fma_f32 v51, v115, v71, -v51
	v_dual_mul_f32 v53, v118, v74 :: v_dual_fmac_f32 v164, v136, v91
	v_dual_add_f32 v49, v49, v52 :: v_dual_add_f32 v50, v50, v151
	v_mul_f32_e32 v52, v120, v76
	s_delay_alu instid0(VALU_DEP_3) | instskip(NEXT) | instid1(VALU_DEP_3)
	v_fma_f32 v53, v117, v73, -v53
	v_dual_add_f32 v49, v49, v51 :: v_dual_add_f32 v50, v50, v152
	v_mul_f32_e32 v51, v122, v78
	s_delay_alu instid0(VALU_DEP_4) | instskip(NEXT) | instid1(VALU_DEP_3)
	v_fma_f32 v52, v119, v75, -v52
	v_add_f32_e32 v49, v49, v53
	s_delay_alu instid0(VALU_DEP_4) | instskip(NEXT) | instid1(VALU_DEP_4)
	v_dual_add_f32 v50, v50, v153 :: v_dual_mul_f32 v53, v124, v80
	v_fma_f32 v51, v121, v77, -v51
	s_delay_alu instid0(VALU_DEP_3) | instskip(NEXT) | instid1(VALU_DEP_3)
	v_dual_add_f32 v49, v49, v52 :: v_dual_mul_f32 v52, v126, v82
	v_add_f32_e32 v50, v50, v154
	s_delay_alu instid0(VALU_DEP_4) | instskip(NEXT) | instid1(VALU_DEP_3)
	v_fma_f32 v53, v123, v79, -v53
	v_add_f32_e32 v49, v49, v51
	s_delay_alu instid0(VALU_DEP_3) | instskip(SKIP_1) | instid1(VALU_DEP_2)
	v_dual_mul_f32 v51, v128, v84 :: v_dual_add_f32 v50, v50, v155
	v_fma_f32 v52, v125, v81, -v52
	v_fma_f32 v51, v127, v83, -v51
	s_delay_alu instid0(VALU_DEP_3) | instskip(NEXT) | instid1(VALU_DEP_1)
	v_add_f32_e32 v50, v50, v156
	v_add_f32_e32 v50, v50, v157
	v_add_f32_e32 v49, v49, v53
	v_mul_f32_e32 v53, v130, v86
	s_delay_alu instid0(VALU_DEP_2) | instskip(SKIP_1) | instid1(VALU_DEP_3)
	v_dual_add_f32 v50, v50, v158 :: v_dual_add_f32 v49, v49, v52
	v_mul_f32_e32 v52, v132, v88
	v_fma_f32 v53, v129, v85, -v53
	s_delay_alu instid0(VALU_DEP_3) | instskip(NEXT) | instid1(VALU_DEP_4)
	v_add_f32_e32 v50, v50, v159
	v_add_f32_e32 v49, v49, v51
	v_mul_f32_e32 v51, v134, v90
	v_fma_f32 v52, v131, v87, -v52
	s_delay_alu instid0(VALU_DEP_4) | instskip(NEXT) | instid1(VALU_DEP_3)
	v_add_f32_e32 v50, v50, v160
	v_fma_f32 v51, v133, v89, -v51
	s_delay_alu instid0(VALU_DEP_2) | instskip(SKIP_1) | instid1(VALU_DEP_2)
	v_add_f32_e32 v50, v50, v161
	v_add_f32_e32 v49, v49, v53
	v_dual_mul_f32 v53, v136, v92 :: v_dual_add_f32 v50, v50, v162
	s_delay_alu instid0(VALU_DEP_2) | instskip(NEXT) | instid1(VALU_DEP_2)
	v_dual_add_f32 v49, v49, v52 :: v_dual_mul_f32 v52, v142, v138
	v_fma_f32 v53, v135, v91, -v53
	s_delay_alu instid0(VALU_DEP_3) | instskip(NEXT) | instid1(VALU_DEP_3)
	v_add_f32_e32 v50, v50, v163
	v_add_f32_e32 v49, v49, v51
	s_delay_alu instid0(VALU_DEP_4) | instskip(NEXT) | instid1(VALU_DEP_2)
	v_fma_f32 v51, v141, v137, -v52
	v_dual_add_f32 v50, v50, v164 :: v_dual_add_f32 v49, v49, v53
	s_delay_alu instid0(VALU_DEP_1) | instskip(SKIP_1) | instid1(VALU_DEP_1)
	v_dual_add_f32 v50, v50, v165 :: v_dual_add_f32 v49, v49, v51
	s_wait_loadcnt 0x0
	v_dual_sub_f32 v50, v140, v50 :: v_dual_sub_f32 v49, v139, v49
	scratch_store_b64 off, v[49:50], off
	s_wait_alu 0xfffe
	s_cbranch_vccz .LBB23_204
; %bb.158:
	global_load_b32 v0, v0, s[2:3] offset:88
	s_wait_loadcnt 0x0
	v_cmp_ne_u32_e32 vcc_lo, 23, v0
	s_cbranch_vccz .LBB23_160
; %bb.159:
	v_lshlrev_b32_e32 v0, 3, v0
	scratch_load_b64 v[49:50], v0, off offset:-8
	scratch_load_b64 v[51:52], off, off offset:176
	s_wait_loadcnt 0x1
	scratch_store_b64 off, v[49:50], off offset:176
	s_wait_loadcnt 0x0
	scratch_store_b64 v0, v[51:52], off offset:-8
.LBB23_160:
	v_mov_b32_e32 v0, 0
	global_load_b32 v49, v0, s[2:3] offset:84
	s_wait_loadcnt 0x0
	v_cmp_eq_u32_e32 vcc_lo, 22, v49
	s_cbranch_vccnz .LBB23_162
; %bb.161:
	v_lshlrev_b32_e32 v49, 3, v49
	s_delay_alu instid0(VALU_DEP_1)
	v_mov_b32_e32 v53, v49
	scratch_load_b64 v[49:50], v53, off offset:-8
	scratch_load_b64 v[51:52], off, off offset:168
	s_wait_loadcnt 0x1
	scratch_store_b64 off, v[49:50], off offset:168
	s_wait_loadcnt 0x0
	scratch_store_b64 v53, v[51:52], off offset:-8
.LBB23_162:
	global_load_b32 v0, v0, s[2:3] offset:80
	s_wait_loadcnt 0x0
	v_cmp_eq_u32_e32 vcc_lo, 21, v0
	s_cbranch_vccnz .LBB23_164
; %bb.163:
	v_lshlrev_b32_e32 v0, 3, v0
	scratch_load_b64 v[49:50], v0, off offset:-8
	scratch_load_b64 v[51:52], off, off offset:160
	s_wait_loadcnt 0x1
	scratch_store_b64 off, v[49:50], off offset:160
	s_wait_loadcnt 0x0
	scratch_store_b64 v0, v[51:52], off offset:-8
.LBB23_164:
	v_mov_b32_e32 v0, 0
	global_load_b32 v49, v0, s[2:3] offset:76
	s_wait_loadcnt 0x0
	v_cmp_eq_u32_e32 vcc_lo, 20, v49
	s_cbranch_vccnz .LBB23_166
; %bb.165:
	v_lshlrev_b32_e32 v49, 3, v49
	s_delay_alu instid0(VALU_DEP_1)
	v_mov_b32_e32 v53, v49
	scratch_load_b64 v[49:50], v53, off offset:-8
	scratch_load_b64 v[51:52], off, off offset:152
	s_wait_loadcnt 0x1
	scratch_store_b64 off, v[49:50], off offset:152
	s_wait_loadcnt 0x0
	scratch_store_b64 v53, v[51:52], off offset:-8
.LBB23_166:
	global_load_b32 v0, v0, s[2:3] offset:72
	s_wait_loadcnt 0x0
	v_cmp_eq_u32_e32 vcc_lo, 19, v0
	s_cbranch_vccnz .LBB23_168
; %bb.167:
	v_lshlrev_b32_e32 v0, 3, v0
	scratch_load_b64 v[49:50], v0, off offset:-8
	scratch_load_b64 v[51:52], off, off offset:144
	s_wait_loadcnt 0x1
	scratch_store_b64 off, v[49:50], off offset:144
	s_wait_loadcnt 0x0
	scratch_store_b64 v0, v[51:52], off offset:-8
.LBB23_168:
	;; [unrolled: 29-line block ×10, first 2 shown]
	v_mov_b32_e32 v0, 0
	global_load_b32 v49, v0, s[2:3] offset:4
	s_wait_loadcnt 0x0
	v_cmp_eq_u32_e32 vcc_lo, 2, v49
	s_cbranch_vccnz .LBB23_202
; %bb.201:
	v_lshlrev_b32_e32 v49, 3, v49
	s_delay_alu instid0(VALU_DEP_1)
	v_mov_b32_e32 v53, v49
	scratch_load_b64 v[49:50], v53, off offset:-8
	scratch_load_b64 v[51:52], off, off offset:8
	s_wait_loadcnt 0x1
	scratch_store_b64 off, v[49:50], off offset:8
	s_wait_loadcnt 0x0
	scratch_store_b64 v53, v[51:52], off offset:-8
.LBB23_202:
	global_load_b32 v0, v0, s[2:3]
	s_wait_loadcnt 0x0
	v_cmp_eq_u32_e32 vcc_lo, 1, v0
	s_cbranch_vccnz .LBB23_204
; %bb.203:
	v_lshlrev_b32_e32 v0, 3, v0
	scratch_load_b64 v[49:50], v0, off offset:-8
	scratch_load_b64 v[51:52], off, off
	s_wait_loadcnt 0x1
	scratch_store_b64 off, v[49:50], off
	s_wait_loadcnt 0x0
	scratch_store_b64 v0, v[51:52], off offset:-8
.LBB23_204:
	s_clause 0xb
	scratch_load_b128 v[49:52], off, off
	scratch_load_b128 v[53:56], off, off offset:16
	scratch_load_b128 v[57:60], off, off offset:32
	;; [unrolled: 1-line block ×11, first 2 shown]
	s_wait_loadcnt 0xb
	s_clause 0x1
	global_store_b64 v[1:2], v[49:50], off
	global_store_b64 v[3:4], v[51:52], off
	s_wait_loadcnt 0xa
	s_clause 0x1
	global_store_b64 v[5:6], v[53:54], off
	global_store_b64 v[7:8], v[55:56], off
	s_wait_loadcnt 0x9
	s_clause 0x1
	global_store_b64 v[9:10], v[57:58], off
	global_store_b64 v[11:12], v[59:60], off
	s_wait_loadcnt 0x8
	s_clause 0x1
	global_store_b64 v[13:14], v[61:62], off
	global_store_b64 v[15:16], v[63:64], off
	s_wait_loadcnt 0x7
	s_clause 0x1
	global_store_b64 v[17:18], v[65:66], off
	global_store_b64 v[19:20], v[67:68], off
	s_wait_loadcnt 0x6
	s_clause 0x1
	global_store_b64 v[21:22], v[69:70], off
	global_store_b64 v[23:24], v[71:72], off
	s_wait_loadcnt 0x5
	s_clause 0x1
	global_store_b64 v[25:26], v[73:74], off
	global_store_b64 v[27:28], v[75:76], off
	s_wait_loadcnt 0x4
	s_clause 0x1
	global_store_b64 v[29:30], v[77:78], off
	global_store_b64 v[31:32], v[79:80], off
	s_wait_loadcnt 0x3
	s_clause 0x1
	global_store_b64 v[33:34], v[81:82], off
	global_store_b64 v[35:36], v[83:84], off
	s_wait_loadcnt 0x2
	s_clause 0x1
	global_store_b64 v[37:38], v[85:86], off
	global_store_b64 v[39:40], v[87:88], off
	s_wait_loadcnt 0x1
	s_clause 0x1
	global_store_b64 v[41:42], v[89:90], off
	global_store_b64 v[43:44], v[91:92], off
	s_wait_loadcnt 0x0
	s_clause 0x1
	global_store_b64 v[45:46], v[93:94], off
	global_store_b64 v[47:48], v[95:96], off
	s_nop 0
	s_sendmsg sendmsg(MSG_DEALLOC_VGPRS)
	s_endpgm
	.section	.rodata,"a",@progbits
	.p2align	6, 0x0
	.amdhsa_kernel _ZN9rocsolver6v33100L18getri_kernel_smallILi24E19rocblas_complex_numIfEPS3_EEvT1_iilPiilS6_bb
		.amdhsa_group_segment_fixed_size 388
		.amdhsa_private_segment_fixed_size 208
		.amdhsa_kernarg_size 60
		.amdhsa_user_sgpr_count 2
		.amdhsa_user_sgpr_dispatch_ptr 0
		.amdhsa_user_sgpr_queue_ptr 0
		.amdhsa_user_sgpr_kernarg_segment_ptr 1
		.amdhsa_user_sgpr_dispatch_id 0
		.amdhsa_user_sgpr_private_segment_size 0
		.amdhsa_wavefront_size32 1
		.amdhsa_uses_dynamic_stack 0
		.amdhsa_enable_private_segment 1
		.amdhsa_system_sgpr_workgroup_id_x 1
		.amdhsa_system_sgpr_workgroup_id_y 0
		.amdhsa_system_sgpr_workgroup_id_z 0
		.amdhsa_system_sgpr_workgroup_info 0
		.amdhsa_system_vgpr_workitem_id 0
		.amdhsa_next_free_vgpr 166
		.amdhsa_next_free_sgpr 19
		.amdhsa_reserve_vcc 1
		.amdhsa_float_round_mode_32 0
		.amdhsa_float_round_mode_16_64 0
		.amdhsa_float_denorm_mode_32 3
		.amdhsa_float_denorm_mode_16_64 3
		.amdhsa_fp16_overflow 0
		.amdhsa_workgroup_processor_mode 1
		.amdhsa_memory_ordered 1
		.amdhsa_forward_progress 1
		.amdhsa_inst_pref_size 208
		.amdhsa_round_robin_scheduling 0
		.amdhsa_exception_fp_ieee_invalid_op 0
		.amdhsa_exception_fp_denorm_src 0
		.amdhsa_exception_fp_ieee_div_zero 0
		.amdhsa_exception_fp_ieee_overflow 0
		.amdhsa_exception_fp_ieee_underflow 0
		.amdhsa_exception_fp_ieee_inexact 0
		.amdhsa_exception_int_div_zero 0
	.end_amdhsa_kernel
	.section	.text._ZN9rocsolver6v33100L18getri_kernel_smallILi24E19rocblas_complex_numIfEPS3_EEvT1_iilPiilS6_bb,"axG",@progbits,_ZN9rocsolver6v33100L18getri_kernel_smallILi24E19rocblas_complex_numIfEPS3_EEvT1_iilPiilS6_bb,comdat
.Lfunc_end23:
	.size	_ZN9rocsolver6v33100L18getri_kernel_smallILi24E19rocblas_complex_numIfEPS3_EEvT1_iilPiilS6_bb, .Lfunc_end23-_ZN9rocsolver6v33100L18getri_kernel_smallILi24E19rocblas_complex_numIfEPS3_EEvT1_iilPiilS6_bb
                                        ; -- End function
	.set _ZN9rocsolver6v33100L18getri_kernel_smallILi24E19rocblas_complex_numIfEPS3_EEvT1_iilPiilS6_bb.num_vgpr, 166
	.set _ZN9rocsolver6v33100L18getri_kernel_smallILi24E19rocblas_complex_numIfEPS3_EEvT1_iilPiilS6_bb.num_agpr, 0
	.set _ZN9rocsolver6v33100L18getri_kernel_smallILi24E19rocblas_complex_numIfEPS3_EEvT1_iilPiilS6_bb.numbered_sgpr, 19
	.set _ZN9rocsolver6v33100L18getri_kernel_smallILi24E19rocblas_complex_numIfEPS3_EEvT1_iilPiilS6_bb.num_named_barrier, 0
	.set _ZN9rocsolver6v33100L18getri_kernel_smallILi24E19rocblas_complex_numIfEPS3_EEvT1_iilPiilS6_bb.private_seg_size, 208
	.set _ZN9rocsolver6v33100L18getri_kernel_smallILi24E19rocblas_complex_numIfEPS3_EEvT1_iilPiilS6_bb.uses_vcc, 1
	.set _ZN9rocsolver6v33100L18getri_kernel_smallILi24E19rocblas_complex_numIfEPS3_EEvT1_iilPiilS6_bb.uses_flat_scratch, 1
	.set _ZN9rocsolver6v33100L18getri_kernel_smallILi24E19rocblas_complex_numIfEPS3_EEvT1_iilPiilS6_bb.has_dyn_sized_stack, 0
	.set _ZN9rocsolver6v33100L18getri_kernel_smallILi24E19rocblas_complex_numIfEPS3_EEvT1_iilPiilS6_bb.has_recursion, 0
	.set _ZN9rocsolver6v33100L18getri_kernel_smallILi24E19rocblas_complex_numIfEPS3_EEvT1_iilPiilS6_bb.has_indirect_call, 0
	.section	.AMDGPU.csdata,"",@progbits
; Kernel info:
; codeLenInByte = 26568
; TotalNumSgprs: 21
; NumVgprs: 166
; ScratchSize: 208
; MemoryBound: 0
; FloatMode: 240
; IeeeMode: 1
; LDSByteSize: 388 bytes/workgroup (compile time only)
; SGPRBlocks: 0
; VGPRBlocks: 20
; NumSGPRsForWavesPerEU: 21
; NumVGPRsForWavesPerEU: 166
; Occupancy: 9
; WaveLimiterHint : 1
; COMPUTE_PGM_RSRC2:SCRATCH_EN: 1
; COMPUTE_PGM_RSRC2:USER_SGPR: 2
; COMPUTE_PGM_RSRC2:TRAP_HANDLER: 0
; COMPUTE_PGM_RSRC2:TGID_X_EN: 1
; COMPUTE_PGM_RSRC2:TGID_Y_EN: 0
; COMPUTE_PGM_RSRC2:TGID_Z_EN: 0
; COMPUTE_PGM_RSRC2:TIDIG_COMP_CNT: 0
	.section	.text._ZN9rocsolver6v33100L18getri_kernel_smallILi25E19rocblas_complex_numIfEPS3_EEvT1_iilPiilS6_bb,"axG",@progbits,_ZN9rocsolver6v33100L18getri_kernel_smallILi25E19rocblas_complex_numIfEPS3_EEvT1_iilPiilS6_bb,comdat
	.globl	_ZN9rocsolver6v33100L18getri_kernel_smallILi25E19rocblas_complex_numIfEPS3_EEvT1_iilPiilS6_bb ; -- Begin function _ZN9rocsolver6v33100L18getri_kernel_smallILi25E19rocblas_complex_numIfEPS3_EEvT1_iilPiilS6_bb
	.p2align	8
	.type	_ZN9rocsolver6v33100L18getri_kernel_smallILi25E19rocblas_complex_numIfEPS3_EEvT1_iilPiilS6_bb,@function
_ZN9rocsolver6v33100L18getri_kernel_smallILi25E19rocblas_complex_numIfEPS3_EEvT1_iilPiilS6_bb: ; @_ZN9rocsolver6v33100L18getri_kernel_smallILi25E19rocblas_complex_numIfEPS3_EEvT1_iilPiilS6_bb
; %bb.0:
	s_mov_b32 s2, exec_lo
	v_cmpx_gt_u32_e32 25, v0
	s_cbranch_execz .LBB24_114
; %bb.1:
	s_clause 0x2
	s_load_b32 s2, s[0:1], 0x38
	s_load_b128 s[12:15], s[0:1], 0x10
	s_load_b128 s[4:7], s[0:1], 0x28
	s_mov_b32 s16, ttmp9
	s_wait_kmcnt 0x0
	s_bitcmp1_b32 s2, 8
	s_cselect_b32 s18, -1, 0
	s_bfe_u32 s2, s2, 0x10008
	s_ashr_i32 s17, ttmp9, 31
	s_cmp_eq_u32 s2, 0
                                        ; implicit-def: $sgpr2_sgpr3
	s_cbranch_scc1 .LBB24_3
; %bb.2:
	s_load_b32 s2, s[0:1], 0x20
	s_mul_u64 s[4:5], s[4:5], s[16:17]
	s_delay_alu instid0(SALU_CYCLE_1) | instskip(NEXT) | instid1(SALU_CYCLE_1)
	s_lshl_b64 s[4:5], s[4:5], 2
	s_add_nc_u64 s[4:5], s[14:15], s[4:5]
	s_wait_kmcnt 0x0
	s_ashr_i32 s3, s2, 31
	s_delay_alu instid0(SALU_CYCLE_1) | instskip(NEXT) | instid1(SALU_CYCLE_1)
	s_lshl_b64 s[2:3], s[2:3], 2
	s_add_nc_u64 s[2:3], s[4:5], s[2:3]
.LBB24_3:
	s_clause 0x1
	s_load_b128 s[8:11], s[0:1], 0x0
	s_load_b32 s4, s[0:1], 0x38
	s_mul_u64 s[0:1], s[12:13], s[16:17]
	v_lshlrev_b32_e32 v57, 3, v0
	s_lshl_b64 s[0:1], s[0:1], 3
	s_wait_kmcnt 0x0
	v_add3_u32 v3, s11, s11, v0
	s_ashr_i32 s13, s10, 31
	s_mov_b32 s12, s10
	s_add_nc_u64 s[0:1], s[8:9], s[0:1]
	s_lshl_b64 s[12:13], s[12:13], 3
	v_add_nc_u32_e32 v5, s11, v3
	v_ashrrev_i32_e32 v4, 31, v3
	s_add_nc_u64 s[0:1], s[0:1], s[12:13]
	s_ashr_i32 s9, s11, 31
	v_add_co_u32 v1, s5, s0, v57
	v_add_nc_u32_e32 v7, s11, v5
	v_ashrrev_i32_e32 v6, 31, v5
	s_mov_b32 s8, s11
	v_lshlrev_b64_e32 v[9:10], 3, v[3:4]
	v_add_co_ci_u32_e64 v2, null, s1, 0, s5
	v_add_nc_u32_e32 v13, s11, v7
	s_lshl_b64 s[8:9], s[8:9], 3
	v_lshlrev_b64_e32 v[11:12], 3, v[5:6]
	v_ashrrev_i32_e32 v8, 31, v7
	v_add_co_u32 v3, vcc_lo, v1, s8
	v_ashrrev_i32_e32 v14, 31, v13
	v_add_nc_u32_e32 v15, s11, v13
	v_add_co_ci_u32_e64 v4, null, s9, v2, vcc_lo
	v_add_co_u32 v5, vcc_lo, s0, v9
	s_wait_alu 0xfffd
	v_add_co_ci_u32_e64 v6, null, s1, v10, vcc_lo
	v_lshlrev_b64_e32 v[9:10], 3, v[7:8]
	v_add_co_u32 v7, vcc_lo, s0, v11
	s_wait_alu 0xfffd
	v_add_co_ci_u32_e64 v8, null, s1, v12, vcc_lo
	v_lshlrev_b64_e32 v[11:12], 3, v[13:14]
	v_add_nc_u32_e32 v13, s11, v15
	v_ashrrev_i32_e32 v16, 31, v15
	v_add_co_u32 v9, vcc_lo, s0, v9
	s_wait_alu 0xfffd
	v_add_co_ci_u32_e64 v10, null, s1, v10, vcc_lo
	v_add_nc_u32_e32 v17, s11, v13
	v_ashrrev_i32_e32 v14, 31, v13
	v_lshlrev_b64_e32 v[15:16], 3, v[15:16]
	v_add_co_u32 v11, vcc_lo, s0, v11
	s_delay_alu instid0(VALU_DEP_4) | instskip(NEXT) | instid1(VALU_DEP_4)
	v_add_nc_u32_e32 v21, s11, v17
	v_lshlrev_b64_e32 v[19:20], 3, v[13:14]
	s_wait_alu 0xfffd
	v_add_co_ci_u32_e64 v12, null, s1, v12, vcc_lo
	v_add_co_u32 v13, vcc_lo, s0, v15
	v_ashrrev_i32_e32 v22, 31, v21
	v_add_nc_u32_e32 v23, s11, v21
	s_wait_alu 0xfffd
	v_add_co_ci_u32_e64 v14, null, s1, v16, vcc_lo
	v_add_co_u32 v15, vcc_lo, s0, v19
	s_wait_alu 0xfffd
	v_add_co_ci_u32_e64 v16, null, s1, v20, vcc_lo
	v_lshlrev_b64_e32 v[19:20], 3, v[21:22]
	v_add_nc_u32_e32 v21, s11, v23
	v_ashrrev_i32_e32 v18, 31, v17
	v_ashrrev_i32_e32 v24, 31, v23
	s_clause 0x4
	global_load_b64 v[51:52], v57, s[0:1]
	global_load_b64 v[53:54], v[3:4], off
	global_load_b64 v[58:59], v[5:6], off
	;; [unrolled: 1-line block ×4, first 2 shown]
	v_add_nc_u32_e32 v25, s11, v21
	v_lshlrev_b64_e32 v[17:18], 3, v[17:18]
	v_ashrrev_i32_e32 v22, 31, v21
	v_lshlrev_b64_e32 v[23:24], 3, v[23:24]
	s_bitcmp0_b32 s4, 0
	v_add_nc_u32_e32 v29, s11, v25
	v_ashrrev_i32_e32 v26, 31, v25
	v_add_co_u32 v17, vcc_lo, s0, v17
	v_lshlrev_b64_e32 v[27:28], 3, v[21:22]
	s_wait_alu 0xfffd
	v_add_co_ci_u32_e64 v18, null, s1, v18, vcc_lo
	v_add_co_u32 v19, vcc_lo, s0, v19
	v_ashrrev_i32_e32 v30, 31, v29
	v_add_nc_u32_e32 v31, s11, v29
	s_wait_alu 0xfffd
	v_add_co_ci_u32_e64 v20, null, s1, v20, vcc_lo
	v_add_co_u32 v21, vcc_lo, s0, v23
	s_wait_alu 0xfffd
	v_add_co_ci_u32_e64 v22, null, s1, v24, vcc_lo
	v_add_co_u32 v23, vcc_lo, s0, v27
	s_wait_alu 0xfffd
	v_add_co_ci_u32_e64 v24, null, s1, v28, vcc_lo
	v_lshlrev_b64_e32 v[27:28], 3, v[29:30]
	v_add_nc_u32_e32 v29, s11, v31
	v_ashrrev_i32_e32 v32, 31, v31
	v_lshlrev_b64_e32 v[25:26], 3, v[25:26]
	s_clause 0x3
	global_load_b64 v[64:65], v[11:12], off
	global_load_b64 v[66:67], v[13:14], off
	;; [unrolled: 1-line block ×4, first 2 shown]
	v_add_nc_u32_e32 v33, s11, v29
	v_ashrrev_i32_e32 v30, 31, v29
	v_lshlrev_b64_e32 v[31:32], 3, v[31:32]
	v_add_co_u32 v25, vcc_lo, s0, v25
	s_delay_alu instid0(VALU_DEP_4) | instskip(NEXT) | instid1(VALU_DEP_4)
	v_add_nc_u32_e32 v37, s11, v33
	v_lshlrev_b64_e32 v[35:36], 3, v[29:30]
	s_wait_alu 0xfffd
	v_add_co_ci_u32_e64 v26, null, s1, v26, vcc_lo
	v_add_co_u32 v27, vcc_lo, s0, v27
	v_ashrrev_i32_e32 v38, 31, v37
	v_add_nc_u32_e32 v39, s11, v37
	s_wait_alu 0xfffd
	v_add_co_ci_u32_e64 v28, null, s1, v28, vcc_lo
	v_add_co_u32 v29, vcc_lo, s0, v31
	s_wait_alu 0xfffd
	v_add_co_ci_u32_e64 v30, null, s1, v32, vcc_lo
	v_add_co_u32 v31, vcc_lo, s0, v35
	s_wait_alu 0xfffd
	v_add_co_ci_u32_e64 v32, null, s1, v36, vcc_lo
	v_lshlrev_b64_e32 v[35:36], 3, v[37:38]
	v_add_nc_u32_e32 v37, s11, v39
	v_ashrrev_i32_e32 v34, 31, v33
	v_ashrrev_i32_e32 v40, 31, v39
	s_clause 0x3
	global_load_b64 v[72:73], v[19:20], off
	global_load_b64 v[74:75], v[21:22], off
	;; [unrolled: 1-line block ×4, first 2 shown]
	v_add_nc_u32_e32 v41, s11, v37
	v_lshlrev_b64_e32 v[33:34], 3, v[33:34]
	v_ashrrev_i32_e32 v38, 31, v37
	v_lshlrev_b64_e32 v[39:40], 3, v[39:40]
	s_delay_alu instid0(VALU_DEP_4)
	v_add_nc_u32_e32 v45, s11, v41
	v_ashrrev_i32_e32 v42, 31, v41
	v_add_co_u32 v33, vcc_lo, s0, v33
	v_lshlrev_b64_e32 v[43:44], 3, v[37:38]
	s_wait_alu 0xfffd
	v_add_co_ci_u32_e64 v34, null, s1, v34, vcc_lo
	v_add_co_u32 v35, vcc_lo, s0, v35
	v_ashrrev_i32_e32 v46, 31, v45
	v_add_nc_u32_e32 v47, s11, v45
	s_wait_alu 0xfffd
	v_add_co_ci_u32_e64 v36, null, s1, v36, vcc_lo
	v_add_co_u32 v37, vcc_lo, s0, v39
	s_wait_alu 0xfffd
	v_add_co_ci_u32_e64 v38, null, s1, v40, vcc_lo
	v_add_co_u32 v39, vcc_lo, s0, v43
	s_wait_alu 0xfffd
	v_add_co_ci_u32_e64 v40, null, s1, v44, vcc_lo
	v_lshlrev_b64_e32 v[43:44], 3, v[45:46]
	v_add_nc_u32_e32 v45, s11, v47
	v_ashrrev_i32_e32 v48, 31, v47
	v_lshlrev_b64_e32 v[41:42], 3, v[41:42]
	s_clause 0x3
	global_load_b64 v[80:81], v[27:28], off
	global_load_b64 v[82:83], v[29:30], off
	;; [unrolled: 1-line block ×4, first 2 shown]
	v_add_nc_u32_e32 v49, s11, v45
	v_ashrrev_i32_e32 v46, 31, v45
	v_lshlrev_b64_e32 v[47:48], 3, v[47:48]
	v_add_co_u32 v41, vcc_lo, s0, v41
	s_delay_alu instid0(VALU_DEP_4) | instskip(NEXT) | instid1(VALU_DEP_4)
	v_ashrrev_i32_e32 v50, 31, v49
	v_lshlrev_b64_e32 v[55:56], 3, v[45:46]
	s_wait_alu 0xfffd
	v_add_co_ci_u32_e64 v42, null, s1, v42, vcc_lo
	v_add_co_u32 v43, vcc_lo, s0, v43
	v_lshlrev_b64_e32 v[49:50], 3, v[49:50]
	s_wait_alu 0xfffd
	v_add_co_ci_u32_e64 v44, null, s1, v44, vcc_lo
	v_add_co_u32 v45, vcc_lo, s0, v47
	s_wait_alu 0xfffd
	v_add_co_ci_u32_e64 v46, null, s1, v48, vcc_lo
	v_add_co_u32 v47, vcc_lo, s0, v55
	;; [unrolled: 3-line block ×3, first 2 shown]
	s_wait_alu 0xfffd
	v_add_co_ci_u32_e64 v50, null, s1, v50, vcc_lo
	s_clause 0x7
	global_load_b64 v[88:89], v[35:36], off
	global_load_b64 v[90:91], v[37:38], off
	;; [unrolled: 1-line block ×8, first 2 shown]
	s_mov_b32 s1, -1
	s_wait_loadcnt 0x17
	scratch_store_b128 off, v[51:54], off
	s_wait_loadcnt 0x15
	scratch_store_b128 off, v[58:61], off offset:16
	s_wait_loadcnt 0x13
	scratch_store_b128 off, v[62:65], off offset:32
	;; [unrolled: 2-line block ×11, first 2 shown]
	s_wait_loadcnt 0x0
	scratch_store_b64 off, v[55:56], off offset:192
	s_cbranch_scc1 .LBB24_112
; %bb.4:
	v_cmp_eq_u32_e64 s0, 0, v0
	s_and_saveexec_b32 s1, s0
; %bb.5:
	v_mov_b32_e32 v51, 0
	ds_store_b32 v51, v51 offset:200
; %bb.6:
	s_wait_alu 0xfffe
	s_or_b32 exec_lo, exec_lo, s1
	s_wait_storecnt_dscnt 0x0
	s_barrier_signal -1
	s_barrier_wait -1
	global_inv scope:SCOPE_SE
	scratch_load_b64 v[51:52], v57, off
	s_wait_loadcnt 0x0
	v_cmp_eq_f32_e32 vcc_lo, 0, v51
	v_cmp_eq_f32_e64 s1, 0, v52
	s_and_b32 s1, vcc_lo, s1
	s_wait_alu 0xfffe
	s_and_saveexec_b32 s4, s1
	s_cbranch_execz .LBB24_10
; %bb.7:
	v_mov_b32_e32 v51, 0
	s_mov_b32 s5, 0
	ds_load_b32 v52, v51 offset:200
	s_wait_dscnt 0x0
	v_readfirstlane_b32 s1, v52
	v_add_nc_u32_e32 v52, 1, v0
	s_cmp_eq_u32 s1, 0
	s_delay_alu instid0(VALU_DEP_1)
	v_cmp_gt_i32_e32 vcc_lo, s1, v52
	s_cselect_b32 s8, -1, 0
	s_wait_alu 0xfffe
	s_or_b32 s8, s8, vcc_lo
	s_wait_alu 0xfffe
	s_and_b32 exec_lo, exec_lo, s8
	s_cbranch_execz .LBB24_10
; %bb.8:
	v_mov_b32_e32 v53, s1
.LBB24_9:                               ; =>This Inner Loop Header: Depth=1
	ds_cmpstore_rtn_b32 v53, v51, v52, v53 offset:200
	s_wait_dscnt 0x0
	v_cmp_ne_u32_e32 vcc_lo, 0, v53
	v_cmp_le_i32_e64 s1, v53, v52
	s_and_b32 s1, vcc_lo, s1
	s_wait_alu 0xfffe
	s_and_b32 s1, exec_lo, s1
	s_wait_alu 0xfffe
	s_or_b32 s5, s1, s5
	s_wait_alu 0xfffe
	s_and_not1_b32 exec_lo, exec_lo, s5
	s_cbranch_execnz .LBB24_9
.LBB24_10:
	s_wait_alu 0xfffe
	s_or_b32 exec_lo, exec_lo, s4
	v_mov_b32_e32 v51, 0
	s_barrier_signal -1
	s_barrier_wait -1
	global_inv scope:SCOPE_SE
	ds_load_b32 v52, v51 offset:200
	s_and_saveexec_b32 s1, s0
	s_cbranch_execz .LBB24_12
; %bb.11:
	s_lshl_b64 s[4:5], s[16:17], 2
	s_wait_alu 0xfffe
	s_add_nc_u64 s[4:5], s[6:7], s[4:5]
	s_wait_dscnt 0x0
	global_store_b32 v51, v52, s[4:5]
.LBB24_12:
	s_wait_alu 0xfffe
	s_or_b32 exec_lo, exec_lo, s1
	s_wait_dscnt 0x0
	v_cmp_ne_u32_e32 vcc_lo, 0, v52
	s_mov_b32 s1, 0
	s_cbranch_vccnz .LBB24_112
; %bb.13:
	v_mov_b32_e32 v58, v57
                                        ; implicit-def: $vgpr53
                                        ; implicit-def: $vgpr55
	scratch_load_b64 v[51:52], v58, off
	s_wait_loadcnt 0x0
	v_cmp_ngt_f32_e64 s1, |v51|, |v52|
	s_wait_alu 0xfffe
	s_and_saveexec_b32 s4, s1
	s_wait_alu 0xfffe
	s_xor_b32 s1, exec_lo, s4
	s_cbranch_execz .LBB24_15
; %bb.14:
	v_div_scale_f32 v53, null, v52, v52, v51
	v_div_scale_f32 v56, vcc_lo, v51, v52, v51
	s_delay_alu instid0(VALU_DEP_2) | instskip(NEXT) | instid1(TRANS32_DEP_1)
	v_rcp_f32_e32 v54, v53
	v_fma_f32 v55, -v53, v54, 1.0
	s_delay_alu instid0(VALU_DEP_1) | instskip(NEXT) | instid1(VALU_DEP_1)
	v_fmac_f32_e32 v54, v55, v54
	v_mul_f32_e32 v55, v56, v54
	s_delay_alu instid0(VALU_DEP_1) | instskip(NEXT) | instid1(VALU_DEP_1)
	v_fma_f32 v59, -v53, v55, v56
	v_fmac_f32_e32 v55, v59, v54
	s_delay_alu instid0(VALU_DEP_1) | instskip(SKIP_1) | instid1(VALU_DEP_1)
	v_fma_f32 v53, -v53, v55, v56
	s_wait_alu 0xfffd
	v_div_fmas_f32 v53, v53, v54, v55
	s_delay_alu instid0(VALU_DEP_1) | instskip(NEXT) | instid1(VALU_DEP_1)
	v_div_fixup_f32 v53, v53, v52, v51
	v_fmac_f32_e32 v52, v51, v53
	s_delay_alu instid0(VALU_DEP_1) | instskip(NEXT) | instid1(VALU_DEP_1)
	v_div_scale_f32 v51, null, v52, v52, 1.0
	v_rcp_f32_e32 v54, v51
	s_delay_alu instid0(TRANS32_DEP_1) | instskip(NEXT) | instid1(VALU_DEP_1)
	v_fma_f32 v55, -v51, v54, 1.0
	v_fmac_f32_e32 v54, v55, v54
	v_div_scale_f32 v55, vcc_lo, 1.0, v52, 1.0
	s_delay_alu instid0(VALU_DEP_1) | instskip(NEXT) | instid1(VALU_DEP_1)
	v_mul_f32_e32 v56, v55, v54
	v_fma_f32 v59, -v51, v56, v55
	s_delay_alu instid0(VALU_DEP_1) | instskip(NEXT) | instid1(VALU_DEP_1)
	v_fmac_f32_e32 v56, v59, v54
	v_fma_f32 v51, -v51, v56, v55
	s_wait_alu 0xfffd
	s_delay_alu instid0(VALU_DEP_1) | instskip(NEXT) | instid1(VALU_DEP_1)
	v_div_fmas_f32 v51, v51, v54, v56
	v_div_fixup_f32 v51, v51, v52, 1.0
	s_delay_alu instid0(VALU_DEP_1) | instskip(SKIP_1) | instid1(VALU_DEP_2)
	v_mul_f32_e32 v53, v53, v51
	v_xor_b32_e32 v54, 0x80000000, v51
                                        ; implicit-def: $vgpr51_vgpr52
	v_xor_b32_e32 v55, 0x80000000, v53
.LBB24_15:
	s_wait_alu 0xfffe
	s_and_not1_saveexec_b32 s1, s1
	s_cbranch_execz .LBB24_17
; %bb.16:
	v_div_scale_f32 v53, null, v51, v51, v52
	v_div_scale_f32 v56, vcc_lo, v52, v51, v52
	s_delay_alu instid0(VALU_DEP_2) | instskip(NEXT) | instid1(TRANS32_DEP_1)
	v_rcp_f32_e32 v54, v53
	v_fma_f32 v55, -v53, v54, 1.0
	s_delay_alu instid0(VALU_DEP_1) | instskip(NEXT) | instid1(VALU_DEP_1)
	v_fmac_f32_e32 v54, v55, v54
	v_mul_f32_e32 v55, v56, v54
	s_delay_alu instid0(VALU_DEP_1) | instskip(NEXT) | instid1(VALU_DEP_1)
	v_fma_f32 v59, -v53, v55, v56
	v_fmac_f32_e32 v55, v59, v54
	s_delay_alu instid0(VALU_DEP_1) | instskip(SKIP_1) | instid1(VALU_DEP_1)
	v_fma_f32 v53, -v53, v55, v56
	s_wait_alu 0xfffd
	v_div_fmas_f32 v53, v53, v54, v55
	s_delay_alu instid0(VALU_DEP_1) | instskip(NEXT) | instid1(VALU_DEP_1)
	v_div_fixup_f32 v54, v53, v51, v52
	v_fmac_f32_e32 v51, v52, v54
	s_delay_alu instid0(VALU_DEP_1) | instskip(SKIP_1) | instid1(VALU_DEP_2)
	v_div_scale_f32 v52, null, v51, v51, 1.0
	v_div_scale_f32 v56, vcc_lo, 1.0, v51, 1.0
	v_rcp_f32_e32 v53, v52
	s_delay_alu instid0(TRANS32_DEP_1) | instskip(NEXT) | instid1(VALU_DEP_1)
	v_fma_f32 v55, -v52, v53, 1.0
	v_fmac_f32_e32 v53, v55, v53
	s_delay_alu instid0(VALU_DEP_1) | instskip(NEXT) | instid1(VALU_DEP_1)
	v_mul_f32_e32 v55, v56, v53
	v_fma_f32 v59, -v52, v55, v56
	s_delay_alu instid0(VALU_DEP_1) | instskip(NEXT) | instid1(VALU_DEP_1)
	v_fmac_f32_e32 v55, v59, v53
	v_fma_f32 v52, -v52, v55, v56
	s_wait_alu 0xfffd
	s_delay_alu instid0(VALU_DEP_1) | instskip(NEXT) | instid1(VALU_DEP_1)
	v_div_fmas_f32 v52, v52, v53, v55
	v_div_fixup_f32 v53, v52, v51, 1.0
	s_delay_alu instid0(VALU_DEP_1)
	v_xor_b32_e32 v55, 0x80000000, v53
	v_mul_f32_e64 v54, v54, -v53
.LBB24_17:
	s_wait_alu 0xfffe
	s_or_b32 exec_lo, exec_lo, s1
	scratch_store_b64 v58, v[53:54], off
	scratch_load_b64 v[52:53], off, off offset:8
	v_xor_b32_e32 v56, 0x80000000, v54
	v_add_nc_u32_e32 v51, 0xd0, v57
	s_wait_loadcnt 0x0
	ds_store_2addr_b64 v57, v[55:56], v[52:53] offset1:26
	s_wait_storecnt_dscnt 0x0
	s_barrier_signal -1
	s_barrier_wait -1
	global_inv scope:SCOPE_SE
	s_and_saveexec_b32 s1, s0
	s_cbranch_execz .LBB24_19
; %bb.18:
	scratch_load_b64 v[52:53], v58, off
	ds_load_b64 v[54:55], v51
	v_mov_b32_e32 v56, 0
	ds_load_b64 v[59:60], v56 offset:8
	s_wait_loadcnt_dscnt 0x1
	v_mul_f32_e32 v56, v54, v53
	v_mul_f32_e32 v53, v55, v53
	s_delay_alu instid0(VALU_DEP_2) | instskip(NEXT) | instid1(VALU_DEP_2)
	v_fmac_f32_e32 v56, v55, v52
	v_fma_f32 v52, v54, v52, -v53
	s_delay_alu instid0(VALU_DEP_2) | instskip(NEXT) | instid1(VALU_DEP_2)
	v_add_f32_e32 v54, 0, v56
	v_add_f32_e32 v52, 0, v52
	s_wait_dscnt 0x0
	s_delay_alu instid0(VALU_DEP_2) | instskip(NEXT) | instid1(VALU_DEP_2)
	v_mul_f32_e32 v55, v54, v60
	v_mul_f32_e32 v53, v52, v60
	s_delay_alu instid0(VALU_DEP_2) | instskip(NEXT) | instid1(VALU_DEP_2)
	v_fma_f32 v52, v52, v59, -v55
	v_fmac_f32_e32 v53, v54, v59
	scratch_store_b64 off, v[52:53], off offset:8
.LBB24_19:
	s_wait_alu 0xfffe
	s_or_b32 exec_lo, exec_lo, s1
	s_wait_loadcnt 0x0
	s_wait_storecnt 0x0
	s_barrier_signal -1
	s_barrier_wait -1
	global_inv scope:SCOPE_SE
	scratch_load_b64 v[52:53], off, off offset:16
	s_mov_b32 s1, exec_lo
	s_wait_loadcnt 0x0
	ds_store_b64 v51, v[52:53]
	s_wait_dscnt 0x0
	s_barrier_signal -1
	s_barrier_wait -1
	global_inv scope:SCOPE_SE
	v_cmpx_gt_u32_e32 2, v0
	s_cbranch_execz .LBB24_23
; %bb.20:
	scratch_load_b64 v[52:53], v58, off
	ds_load_b64 v[54:55], v51
	s_wait_loadcnt_dscnt 0x0
	v_mul_f32_e32 v56, v55, v53
	v_mul_f32_e32 v59, v54, v53
	s_delay_alu instid0(VALU_DEP_2) | instskip(NEXT) | instid1(VALU_DEP_2)
	v_fma_f32 v53, v54, v52, -v56
	v_fmac_f32_e32 v59, v55, v52
	s_delay_alu instid0(VALU_DEP_1)
	v_dual_add_f32 v53, 0, v53 :: v_dual_add_f32 v52, 0, v59
	s_and_saveexec_b32 s4, s0
	s_cbranch_execz .LBB24_22
; %bb.21:
	scratch_load_b64 v[54:55], off, off offset:8
	v_mov_b32_e32 v56, 0
	ds_load_b64 v[59:60], v56 offset:216
	s_wait_loadcnt_dscnt 0x0
	v_mul_f32_e32 v56, v59, v55
	v_mul_f32_e32 v55, v60, v55
	s_delay_alu instid0(VALU_DEP_2) | instskip(NEXT) | instid1(VALU_DEP_2)
	v_fmac_f32_e32 v56, v60, v54
	v_fma_f32 v54, v59, v54, -v55
	s_delay_alu instid0(VALU_DEP_1)
	v_dual_add_f32 v52, v52, v56 :: v_dual_add_f32 v53, v53, v54
.LBB24_22:
	s_wait_alu 0xfffe
	s_or_b32 exec_lo, exec_lo, s4
	v_mov_b32_e32 v54, 0
	ds_load_b64 v[54:55], v54 offset:16
	s_wait_dscnt 0x0
	v_mul_f32_e32 v59, v52, v55
	v_mul_f32_e32 v56, v53, v55
	s_delay_alu instid0(VALU_DEP_2) | instskip(NEXT) | instid1(VALU_DEP_2)
	v_fma_f32 v55, v53, v54, -v59
	v_fmac_f32_e32 v56, v52, v54
	scratch_store_b64 off, v[55:56], off offset:16
.LBB24_23:
	s_wait_alu 0xfffe
	s_or_b32 exec_lo, exec_lo, s1
	s_wait_loadcnt 0x0
	s_wait_storecnt 0x0
	s_barrier_signal -1
	s_barrier_wait -1
	global_inv scope:SCOPE_SE
	scratch_load_b64 v[53:54], off, off offset:24
	v_add_nc_u32_e32 v52, -1, v0
	s_mov_b32 s0, exec_lo
	s_wait_loadcnt 0x0
	ds_store_b64 v51, v[53:54]
	s_wait_dscnt 0x0
	s_barrier_signal -1
	s_barrier_wait -1
	global_inv scope:SCOPE_SE
	v_cmpx_gt_u32_e32 3, v0
	s_cbranch_execz .LBB24_27
; %bb.24:
	v_dual_mov_b32 v53, 0 :: v_dual_add_nc_u32 v54, -1, v0
	v_dual_mov_b32 v56, v57 :: v_dual_add_nc_u32 v55, 0xd0, v57
	v_mov_b32_e32 v59, 0
	s_mov_b32 s1, 0
.LBB24_25:                              ; =>This Inner Loop Header: Depth=1
	scratch_load_b64 v[60:61], v56, off
	ds_load_b64 v[62:63], v55
	v_add_nc_u32_e32 v54, 1, v54
	v_add_nc_u32_e32 v55, 8, v55
	s_delay_alu instid0(VALU_DEP_2)
	v_cmp_lt_u32_e32 vcc_lo, 1, v54
	s_wait_alu 0xfffe
	s_or_b32 s1, vcc_lo, s1
	s_wait_loadcnt_dscnt 0x0
	v_mul_f32_e32 v64, v63, v61
	v_mul_f32_e32 v61, v62, v61
	s_delay_alu instid0(VALU_DEP_2) | instskip(NEXT) | instid1(VALU_DEP_2)
	v_fma_f32 v62, v62, v60, -v64
	v_fmac_f32_e32 v61, v63, v60
	s_delay_alu instid0(VALU_DEP_2) | instskip(NEXT) | instid1(VALU_DEP_2)
	v_dual_add_f32 v59, v59, v62 :: v_dual_add_nc_u32 v56, 8, v56
	v_add_f32_e32 v53, v53, v61
	s_wait_alu 0xfffe
	s_and_not1_b32 exec_lo, exec_lo, s1
	s_cbranch_execnz .LBB24_25
; %bb.26:
	s_or_b32 exec_lo, exec_lo, s1
	v_mov_b32_e32 v54, 0
	ds_load_b64 v[54:55], v54 offset:24
	s_wait_dscnt 0x0
	v_mul_f32_e32 v60, v53, v55
	v_mul_f32_e32 v56, v59, v55
	s_delay_alu instid0(VALU_DEP_2) | instskip(NEXT) | instid1(VALU_DEP_2)
	v_fma_f32 v55, v59, v54, -v60
	v_fmac_f32_e32 v56, v53, v54
	scratch_store_b64 off, v[55:56], off offset:24
.LBB24_27:
	s_wait_alu 0xfffe
	s_or_b32 exec_lo, exec_lo, s0
	s_wait_loadcnt 0x0
	s_wait_storecnt 0x0
	s_barrier_signal -1
	s_barrier_wait -1
	global_inv scope:SCOPE_SE
	scratch_load_b64 v[53:54], off, off offset:32
	s_mov_b32 s0, exec_lo
	s_wait_loadcnt 0x0
	ds_store_b64 v51, v[53:54]
	s_wait_dscnt 0x0
	s_barrier_signal -1
	s_barrier_wait -1
	global_inv scope:SCOPE_SE
	v_cmpx_gt_u32_e32 4, v0
	s_cbranch_execz .LBB24_31
; %bb.28:
	v_dual_mov_b32 v53, 0 :: v_dual_add_nc_u32 v54, -1, v0
	v_dual_mov_b32 v56, v57 :: v_dual_add_nc_u32 v55, 0xd0, v57
	v_mov_b32_e32 v59, 0
	s_mov_b32 s1, 0
.LBB24_29:                              ; =>This Inner Loop Header: Depth=1
	scratch_load_b64 v[60:61], v56, off
	ds_load_b64 v[62:63], v55
	v_add_nc_u32_e32 v54, 1, v54
	v_add_nc_u32_e32 v55, 8, v55
	s_delay_alu instid0(VALU_DEP_2)
	v_cmp_lt_u32_e32 vcc_lo, 2, v54
	s_wait_alu 0xfffe
	s_or_b32 s1, vcc_lo, s1
	s_wait_loadcnt_dscnt 0x0
	v_mul_f32_e32 v64, v63, v61
	v_mul_f32_e32 v61, v62, v61
	s_delay_alu instid0(VALU_DEP_2) | instskip(NEXT) | instid1(VALU_DEP_2)
	v_fma_f32 v62, v62, v60, -v64
	v_fmac_f32_e32 v61, v63, v60
	s_delay_alu instid0(VALU_DEP_2) | instskip(NEXT) | instid1(VALU_DEP_2)
	v_dual_add_f32 v59, v59, v62 :: v_dual_add_nc_u32 v56, 8, v56
	v_add_f32_e32 v53, v53, v61
	s_wait_alu 0xfffe
	s_and_not1_b32 exec_lo, exec_lo, s1
	s_cbranch_execnz .LBB24_29
; %bb.30:
	s_or_b32 exec_lo, exec_lo, s1
	v_mov_b32_e32 v54, 0
	ds_load_b64 v[54:55], v54 offset:32
	s_wait_dscnt 0x0
	v_mul_f32_e32 v60, v53, v55
	v_mul_f32_e32 v56, v59, v55
	s_delay_alu instid0(VALU_DEP_2) | instskip(NEXT) | instid1(VALU_DEP_2)
	v_fma_f32 v55, v59, v54, -v60
	v_fmac_f32_e32 v56, v53, v54
	scratch_store_b64 off, v[55:56], off offset:32
.LBB24_31:
	s_wait_alu 0xfffe
	s_or_b32 exec_lo, exec_lo, s0
	s_wait_loadcnt 0x0
	s_wait_storecnt 0x0
	s_barrier_signal -1
	s_barrier_wait -1
	global_inv scope:SCOPE_SE
	scratch_load_b64 v[53:54], off, off offset:40
	;; [unrolled: 55-line block ×19, first 2 shown]
	s_mov_b32 s0, exec_lo
	s_wait_loadcnt 0x0
	ds_store_b64 v51, v[53:54]
	s_wait_dscnt 0x0
	s_barrier_signal -1
	s_barrier_wait -1
	global_inv scope:SCOPE_SE
	v_cmpx_gt_u32_e32 22, v0
	s_cbranch_execz .LBB24_103
; %bb.100:
	v_dual_mov_b32 v53, 0 :: v_dual_add_nc_u32 v54, -1, v0
	v_dual_mov_b32 v56, v57 :: v_dual_add_nc_u32 v55, 0xd0, v57
	v_mov_b32_e32 v59, 0
	s_mov_b32 s1, 0
.LBB24_101:                             ; =>This Inner Loop Header: Depth=1
	scratch_load_b64 v[60:61], v56, off
	ds_load_b64 v[62:63], v55
	v_add_nc_u32_e32 v54, 1, v54
	v_add_nc_u32_e32 v55, 8, v55
	s_delay_alu instid0(VALU_DEP_2)
	v_cmp_lt_u32_e32 vcc_lo, 20, v54
	s_wait_alu 0xfffe
	s_or_b32 s1, vcc_lo, s1
	s_wait_loadcnt_dscnt 0x0
	v_mul_f32_e32 v64, v63, v61
	v_mul_f32_e32 v61, v62, v61
	s_delay_alu instid0(VALU_DEP_2) | instskip(NEXT) | instid1(VALU_DEP_2)
	v_fma_f32 v62, v62, v60, -v64
	v_fmac_f32_e32 v61, v63, v60
	s_delay_alu instid0(VALU_DEP_2) | instskip(NEXT) | instid1(VALU_DEP_2)
	v_dual_add_f32 v59, v59, v62 :: v_dual_add_nc_u32 v56, 8, v56
	v_add_f32_e32 v53, v53, v61
	s_wait_alu 0xfffe
	s_and_not1_b32 exec_lo, exec_lo, s1
	s_cbranch_execnz .LBB24_101
; %bb.102:
	s_or_b32 exec_lo, exec_lo, s1
	v_mov_b32_e32 v54, 0
	ds_load_b64 v[54:55], v54 offset:176
	s_wait_dscnt 0x0
	v_mul_f32_e32 v60, v53, v55
	v_mul_f32_e32 v56, v59, v55
	s_delay_alu instid0(VALU_DEP_2) | instskip(NEXT) | instid1(VALU_DEP_2)
	v_fma_f32 v55, v59, v54, -v60
	v_fmac_f32_e32 v56, v53, v54
	scratch_store_b64 off, v[55:56], off offset:176
.LBB24_103:
	s_wait_alu 0xfffe
	s_or_b32 exec_lo, exec_lo, s0
	s_wait_loadcnt 0x0
	s_wait_storecnt 0x0
	s_barrier_signal -1
	s_barrier_wait -1
	global_inv scope:SCOPE_SE
	scratch_load_b64 v[53:54], off, off offset:184
	s_mov_b32 s0, exec_lo
	s_wait_loadcnt 0x0
	ds_store_b64 v51, v[53:54]
	s_wait_dscnt 0x0
	s_barrier_signal -1
	s_barrier_wait -1
	global_inv scope:SCOPE_SE
	v_cmpx_gt_u32_e32 23, v0
	s_cbranch_execz .LBB24_107
; %bb.104:
	v_dual_mov_b32 v53, 0 :: v_dual_add_nc_u32 v54, -1, v0
	v_dual_mov_b32 v56, v57 :: v_dual_add_nc_u32 v55, 0xd0, v57
	v_mov_b32_e32 v57, 0
	s_mov_b32 s1, 0
.LBB24_105:                             ; =>This Inner Loop Header: Depth=1
	scratch_load_b64 v[59:60], v56, off
	ds_load_b64 v[61:62], v55
	v_add_nc_u32_e32 v56, 8, v56
	v_add_nc_u32_e32 v54, 1, v54
	;; [unrolled: 1-line block ×3, first 2 shown]
	s_delay_alu instid0(VALU_DEP_2)
	v_cmp_lt_u32_e32 vcc_lo, 21, v54
	s_wait_alu 0xfffe
	s_or_b32 s1, vcc_lo, s1
	s_wait_loadcnt_dscnt 0x0
	v_mul_f32_e32 v63, v62, v60
	v_mul_f32_e32 v60, v61, v60
	s_delay_alu instid0(VALU_DEP_2) | instskip(NEXT) | instid1(VALU_DEP_1)
	v_fma_f32 v61, v61, v59, -v63
	v_dual_fmac_f32 v60, v62, v59 :: v_dual_add_f32 v57, v57, v61
	s_delay_alu instid0(VALU_DEP_1)
	v_add_f32_e32 v53, v53, v60
	s_wait_alu 0xfffe
	s_and_not1_b32 exec_lo, exec_lo, s1
	s_cbranch_execnz .LBB24_105
; %bb.106:
	s_or_b32 exec_lo, exec_lo, s1
	v_mov_b32_e32 v54, 0
	ds_load_b64 v[54:55], v54 offset:184
	s_wait_dscnt 0x0
	v_mul_f32_e32 v59, v53, v55
	v_mul_f32_e32 v56, v57, v55
	s_delay_alu instid0(VALU_DEP_2) | instskip(NEXT) | instid1(VALU_DEP_2)
	v_fma_f32 v55, v57, v54, -v59
	v_fmac_f32_e32 v56, v53, v54
	scratch_store_b64 off, v[55:56], off offset:184
.LBB24_107:
	s_wait_alu 0xfffe
	s_or_b32 exec_lo, exec_lo, s0
	s_wait_loadcnt 0x0
	s_wait_storecnt 0x0
	s_barrier_signal -1
	s_barrier_wait -1
	global_inv scope:SCOPE_SE
	scratch_load_b64 v[53:54], off, off offset:192
	s_mov_b32 s0, exec_lo
	s_wait_loadcnt 0x0
	ds_store_b64 v51, v[53:54]
	s_wait_dscnt 0x0
	s_barrier_signal -1
	s_barrier_wait -1
	global_inv scope:SCOPE_SE
	v_cmpx_ne_u32_e32 24, v0
	s_cbranch_execz .LBB24_111
; %bb.108:
	v_dual_mov_b32 v53, 0 :: v_dual_mov_b32 v54, 0
	s_mov_b32 s1, 0
.LBB24_109:                             ; =>This Inner Loop Header: Depth=1
	scratch_load_b64 v[55:56], v58, off
	ds_load_b64 v[59:60], v51
	v_add_nc_u32_e32 v52, 1, v52
	v_add_nc_u32_e32 v51, 8, v51
	;; [unrolled: 1-line block ×3, first 2 shown]
	s_delay_alu instid0(VALU_DEP_3)
	v_cmp_lt_u32_e32 vcc_lo, 22, v52
	s_wait_alu 0xfffe
	s_or_b32 s1, vcc_lo, s1
	s_wait_loadcnt_dscnt 0x0
	v_mul_f32_e32 v57, v60, v56
	v_mul_f32_e32 v56, v59, v56
	s_delay_alu instid0(VALU_DEP_2) | instskip(NEXT) | instid1(VALU_DEP_2)
	v_fma_f32 v57, v59, v55, -v57
	v_fmac_f32_e32 v56, v60, v55
	s_delay_alu instid0(VALU_DEP_1)
	v_dual_add_f32 v54, v54, v57 :: v_dual_add_f32 v53, v53, v56
	s_wait_alu 0xfffe
	s_and_not1_b32 exec_lo, exec_lo, s1
	s_cbranch_execnz .LBB24_109
; %bb.110:
	s_or_b32 exec_lo, exec_lo, s1
	v_mov_b32_e32 v51, 0
	ds_load_b64 v[51:52], v51 offset:192
	s_wait_dscnt 0x0
	v_mul_f32_e32 v56, v53, v52
	v_mul_f32_e32 v55, v54, v52
	s_delay_alu instid0(VALU_DEP_2) | instskip(NEXT) | instid1(VALU_DEP_2)
	v_fma_f32 v54, v54, v51, -v56
	v_fmac_f32_e32 v55, v53, v51
	scratch_store_b64 off, v[54:55], off offset:192
.LBB24_111:
	s_wait_alu 0xfffe
	s_or_b32 exec_lo, exec_lo, s0
	s_mov_b32 s1, -1
	s_wait_loadcnt 0x0
	s_wait_storecnt 0x0
	s_barrier_signal -1
	s_barrier_wait -1
	global_inv scope:SCOPE_SE
.LBB24_112:
	s_wait_alu 0xfffe
	s_and_b32 vcc_lo, exec_lo, s1
	s_wait_alu 0xfffe
	s_cbranch_vccz .LBB24_114
; %bb.113:
	v_mov_b32_e32 v51, 0
	s_lshl_b64 s[0:1], s[16:17], 2
	s_wait_alu 0xfffe
	s_add_nc_u64 s[0:1], s[6:7], s[0:1]
	global_load_b32 v51, v51, s[0:1]
	s_wait_loadcnt 0x0
	v_cmp_ne_u32_e32 vcc_lo, 0, v51
	s_cbranch_vccz .LBB24_115
.LBB24_114:
	s_nop 0
	s_sendmsg sendmsg(MSG_DEALLOC_VGPRS)
	s_endpgm
.LBB24_115:
	v_lshl_add_u32 v53, v0, 3, 0xd0
	s_mov_b32 s0, exec_lo
	v_cmpx_eq_u32_e32 24, v0
	s_cbranch_execz .LBB24_117
; %bb.116:
	scratch_load_b64 v[51:52], off, off offset:184
	v_mov_b32_e32 v54, 0
	s_delay_alu instid0(VALU_DEP_1)
	v_mov_b32_e32 v55, v54
	scratch_store_b64 off, v[54:55], off offset:184
	s_wait_loadcnt 0x0
	ds_store_b64 v53, v[51:52]
.LBB24_117:
	s_wait_alu 0xfffe
	s_or_b32 exec_lo, exec_lo, s0
	s_wait_storecnt_dscnt 0x0
	s_barrier_signal -1
	s_barrier_wait -1
	global_inv scope:SCOPE_SE
	s_clause 0x1
	scratch_load_b64 v[54:55], off, off offset:192
	scratch_load_b64 v[56:57], off, off offset:184
	v_mov_b32_e32 v51, 0
	s_mov_b32 s0, exec_lo
	ds_load_b64 v[58:59], v51 offset:400
	s_wait_loadcnt_dscnt 0x100
	v_mul_f32_e32 v52, v59, v55
	s_delay_alu instid0(VALU_DEP_1) | instskip(NEXT) | instid1(VALU_DEP_1)
	v_fma_f32 v52, v58, v54, -v52
	v_dual_mul_f32 v55, v58, v55 :: v_dual_add_f32 v52, 0, v52
	s_wait_loadcnt 0x0
	s_delay_alu instid0(VALU_DEP_1) | instskip(NEXT) | instid1(VALU_DEP_1)
	v_dual_fmac_f32 v55, v59, v54 :: v_dual_sub_f32 v54, v56, v52
	v_add_f32_e32 v55, 0, v55
	s_delay_alu instid0(VALU_DEP_1)
	v_sub_f32_e32 v55, v57, v55
	scratch_store_b64 off, v[54:55], off offset:184
	v_cmpx_lt_u32_e32 22, v0
	s_cbranch_execz .LBB24_119
; %bb.118:
	scratch_load_b64 v[54:55], off, off offset:176
	v_mov_b32_e32 v52, v51
	scratch_store_b64 off, v[51:52], off offset:176
	s_wait_loadcnt 0x0
	ds_store_b64 v53, v[54:55]
.LBB24_119:
	s_wait_alu 0xfffe
	s_or_b32 exec_lo, exec_lo, s0
	s_wait_storecnt_dscnt 0x0
	s_barrier_signal -1
	s_barrier_wait -1
	global_inv scope:SCOPE_SE
	s_clause 0x1
	scratch_load_b128 v[54:57], off, off offset:184
	scratch_load_b64 v[62:63], off, off offset:176
	ds_load_2addr_b64 v[58:61], v51 offset0:49 offset1:50
	s_mov_b32 s0, exec_lo
	s_wait_loadcnt_dscnt 0x100
	v_mul_f32_e32 v52, v58, v55
	s_delay_alu instid0(VALU_DEP_1) | instskip(SKIP_2) | instid1(VALU_DEP_1)
	v_fmac_f32_e32 v52, v59, v54
	v_mul_f32_e32 v51, v59, v55
	v_mul_f32_e32 v55, v60, v57
	v_fmac_f32_e32 v55, v61, v56
	s_delay_alu instid0(VALU_DEP_4) | instskip(NEXT) | instid1(VALU_DEP_4)
	v_dual_add_f32 v52, 0, v52 :: v_dual_mul_f32 v57, v61, v57
	v_fma_f32 v51, v58, v54, -v51
	s_delay_alu instid0(VALU_DEP_2) | instskip(NEXT) | instid1(VALU_DEP_3)
	v_add_f32_e32 v52, v52, v55
	v_fma_f32 v54, v60, v56, -v57
	s_wait_loadcnt 0x0
	s_delay_alu instid0(VALU_DEP_2) | instskip(NEXT) | instid1(VALU_DEP_1)
	v_dual_add_f32 v51, 0, v51 :: v_dual_sub_f32 v52, v63, v52
	v_add_f32_e32 v51, v51, v54
	s_delay_alu instid0(VALU_DEP_1)
	v_sub_f32_e32 v51, v62, v51
	scratch_store_b64 off, v[51:52], off offset:176
	v_cmpx_lt_u32_e32 21, v0
	s_cbranch_execz .LBB24_121
; %bb.120:
	scratch_load_b64 v[51:52], off, off offset:168
	v_mov_b32_e32 v54, 0
	s_delay_alu instid0(VALU_DEP_1)
	v_mov_b32_e32 v55, v54
	scratch_store_b64 off, v[54:55], off offset:168
	s_wait_loadcnt 0x0
	ds_store_b64 v53, v[51:52]
.LBB24_121:
	s_wait_alu 0xfffe
	s_or_b32 exec_lo, exec_lo, s0
	s_wait_storecnt_dscnt 0x0
	s_barrier_signal -1
	s_barrier_wait -1
	global_inv scope:SCOPE_SE
	s_clause 0x2
	scratch_load_b128 v[54:57], off, off offset:176
	scratch_load_b64 v[62:63], off, off offset:192
	scratch_load_b64 v[64:65], off, off offset:168
	v_mov_b32_e32 v51, 0
	ds_load_b128 v[58:61], v51 offset:384
	ds_load_b64 v[66:67], v51 offset:400
	s_mov_b32 s0, exec_lo
	s_wait_loadcnt_dscnt 0x201
	v_mul_f32_e32 v52, v59, v55
	v_dual_mul_f32 v55, v58, v55 :: v_dual_mul_f32 v68, v60, v57
	v_mul_f32_e32 v57, v61, v57
	s_wait_loadcnt_dscnt 0x100
	v_mul_f32_e32 v69, v66, v63
	v_fma_f32 v52, v58, v54, -v52
	v_fmac_f32_e32 v55, v59, v54
	v_mul_f32_e32 v54, v67, v63
	v_fmac_f32_e32 v68, v61, v56
	v_fma_f32 v56, v60, v56, -v57
	s_delay_alu instid0(VALU_DEP_4) | instskip(NEXT) | instid1(VALU_DEP_4)
	v_dual_add_f32 v52, 0, v52 :: v_dual_add_f32 v55, 0, v55
	v_fma_f32 v54, v66, v62, -v54
	s_delay_alu instid0(VALU_DEP_2) | instskip(NEXT) | instid1(VALU_DEP_1)
	v_add_f32_e32 v52, v52, v56
	v_dual_add_f32 v55, v55, v68 :: v_dual_add_f32 v52, v52, v54
	s_wait_loadcnt 0x0
	s_delay_alu instid0(VALU_DEP_1) | instskip(NEXT) | instid1(VALU_DEP_1)
	v_dual_fmac_f32 v69, v67, v62 :: v_dual_sub_f32 v54, v64, v52
	v_add_f32_e32 v55, v55, v69
	s_delay_alu instid0(VALU_DEP_1)
	v_sub_f32_e32 v55, v65, v55
	scratch_store_b64 off, v[54:55], off offset:168
	v_cmpx_lt_u32_e32 20, v0
	s_cbranch_execz .LBB24_123
; %bb.122:
	scratch_load_b64 v[54:55], off, off offset:160
	v_mov_b32_e32 v52, v51
	scratch_store_b64 off, v[51:52], off offset:160
	s_wait_loadcnt 0x0
	ds_store_b64 v53, v[54:55]
.LBB24_123:
	s_wait_alu 0xfffe
	s_or_b32 exec_lo, exec_lo, s0
	s_wait_storecnt_dscnt 0x0
	s_barrier_signal -1
	s_barrier_wait -1
	global_inv scope:SCOPE_SE
	s_clause 0x2
	scratch_load_b128 v[54:57], off, off offset:168
	scratch_load_b128 v[58:61], off, off offset:184
	scratch_load_b64 v[70:71], off, off offset:160
	ds_load_2addr_b64 v[62:65], v51 offset0:47 offset1:48
	ds_load_2addr_b64 v[66:69], v51 offset0:49 offset1:50
	s_mov_b32 s0, exec_lo
	s_wait_loadcnt_dscnt 0x201
	v_mul_f32_e32 v52, v63, v55
	s_wait_loadcnt_dscnt 0x100
	v_dual_mul_f32 v72, v66, v59 :: v_dual_mul_f32 v73, v68, v61
	s_delay_alu instid0(VALU_DEP_2) | instskip(SKIP_2) | instid1(VALU_DEP_4)
	v_fma_f32 v52, v62, v54, -v52
	v_mul_f32_e32 v51, v62, v55
	v_mul_f32_e32 v55, v64, v57
	v_dual_mul_f32 v57, v65, v57 :: v_dual_fmac_f32 v72, v67, v58
	s_delay_alu instid0(VALU_DEP_3) | instskip(NEXT) | instid1(VALU_DEP_3)
	v_dual_add_f32 v52, 0, v52 :: v_dual_fmac_f32 v51, v63, v54
	v_dual_mul_f32 v54, v67, v59 :: v_dual_fmac_f32 v55, v65, v56
	s_delay_alu instid0(VALU_DEP_3) | instskip(SKIP_1) | instid1(VALU_DEP_3)
	v_fma_f32 v56, v64, v56, -v57
	v_fmac_f32_e32 v73, v69, v60
	v_fma_f32 v54, v66, v58, -v54
	s_delay_alu instid0(VALU_DEP_3) | instskip(NEXT) | instid1(VALU_DEP_1)
	v_dual_add_f32 v52, v52, v56 :: v_dual_add_f32 v51, 0, v51
	v_dual_add_f32 v52, v52, v54 :: v_dual_mul_f32 v57, v69, v61
	s_delay_alu instid0(VALU_DEP_2) | instskip(NEXT) | instid1(VALU_DEP_2)
	v_add_f32_e32 v51, v51, v55
	v_fma_f32 v55, v68, v60, -v57
	s_delay_alu instid0(VALU_DEP_1) | instskip(SKIP_1) | instid1(VALU_DEP_1)
	v_dual_add_f32 v51, v51, v72 :: v_dual_add_f32 v52, v52, v55
	s_wait_loadcnt 0x0
	v_dual_add_f32 v54, v51, v73 :: v_dual_sub_f32 v51, v70, v52
	s_delay_alu instid0(VALU_DEP_1)
	v_sub_f32_e32 v52, v71, v54
	scratch_store_b64 off, v[51:52], off offset:160
	v_cmpx_lt_u32_e32 19, v0
	s_cbranch_execz .LBB24_125
; %bb.124:
	scratch_load_b64 v[51:52], off, off offset:152
	v_mov_b32_e32 v54, 0
	s_delay_alu instid0(VALU_DEP_1)
	v_mov_b32_e32 v55, v54
	scratch_store_b64 off, v[54:55], off offset:152
	s_wait_loadcnt 0x0
	ds_store_b64 v53, v[51:52]
.LBB24_125:
	s_wait_alu 0xfffe
	s_or_b32 exec_lo, exec_lo, s0
	s_wait_storecnt_dscnt 0x0
	s_barrier_signal -1
	s_barrier_wait -1
	global_inv scope:SCOPE_SE
	s_clause 0x3
	scratch_load_b128 v[54:57], off, off offset:160
	scratch_load_b128 v[58:61], off, off offset:176
	scratch_load_b64 v[70:71], off, off offset:192
	scratch_load_b64 v[72:73], off, off offset:152
	v_mov_b32_e32 v51, 0
	ds_load_b128 v[62:65], v51 offset:368
	ds_load_b128 v[66:69], v51 offset:384
	ds_load_b64 v[74:75], v51 offset:400
	s_mov_b32 s0, exec_lo
	s_wait_loadcnt_dscnt 0x302
	v_mul_f32_e32 v52, v62, v55
	v_dual_mul_f32 v76, v64, v57 :: v_dual_mul_f32 v55, v63, v55
	s_wait_loadcnt_dscnt 0x100
	v_mul_f32_e32 v79, v74, v71
	v_dual_mul_f32 v77, v66, v59 :: v_dual_mul_f32 v78, v68, v61
	v_dual_fmac_f32 v52, v63, v54 :: v_dual_mul_f32 v57, v65, v57
	v_fma_f32 v55, v62, v54, -v55
	v_fmac_f32_e32 v76, v65, v56
	v_mul_f32_e32 v54, v67, v59
	s_delay_alu instid0(VALU_DEP_4) | instskip(SKIP_3) | instid1(VALU_DEP_4)
	v_add_f32_e32 v52, 0, v52
	v_fma_f32 v56, v64, v56, -v57
	v_add_f32_e32 v55, 0, v55
	v_mul_f32_e32 v57, v69, v61
	v_dual_fmac_f32 v77, v67, v58 :: v_dual_add_f32 v52, v52, v76
	v_dual_fmac_f32 v78, v69, v60 :: v_dual_fmac_f32 v79, v75, v70
	s_delay_alu instid0(VALU_DEP_4) | instskip(SKIP_1) | instid1(VALU_DEP_4)
	v_add_f32_e32 v55, v55, v56
	v_fma_f32 v54, v66, v58, -v54
	v_add_f32_e32 v52, v52, v77
	v_fma_f32 v57, v68, v60, -v57
	s_delay_alu instid0(VALU_DEP_3) | instskip(NEXT) | instid1(VALU_DEP_3)
	v_add_f32_e32 v54, v55, v54
	v_add_f32_e32 v52, v52, v78
	s_delay_alu instid0(VALU_DEP_2) | instskip(NEXT) | instid1(VALU_DEP_2)
	v_add_f32_e32 v54, v54, v57
	v_add_f32_e32 v52, v52, v79
	v_mul_f32_e32 v56, v75, v71
	s_delay_alu instid0(VALU_DEP_1) | instskip(SKIP_1) | instid1(VALU_DEP_1)
	v_fma_f32 v55, v74, v70, -v56
	s_wait_loadcnt 0x0
	v_dual_add_f32 v54, v54, v55 :: v_dual_sub_f32 v55, v73, v52
	s_delay_alu instid0(VALU_DEP_1)
	v_sub_f32_e32 v54, v72, v54
	scratch_store_b64 off, v[54:55], off offset:152
	v_cmpx_lt_u32_e32 18, v0
	s_cbranch_execz .LBB24_127
; %bb.126:
	scratch_load_b64 v[54:55], off, off offset:144
	v_mov_b32_e32 v52, v51
	scratch_store_b64 off, v[51:52], off offset:144
	s_wait_loadcnt 0x0
	ds_store_b64 v53, v[54:55]
.LBB24_127:
	s_wait_alu 0xfffe
	s_or_b32 exec_lo, exec_lo, s0
	s_wait_storecnt_dscnt 0x0
	s_barrier_signal -1
	s_barrier_wait -1
	global_inv scope:SCOPE_SE
	s_clause 0x3
	scratch_load_b128 v[54:57], off, off offset:152
	scratch_load_b128 v[58:61], off, off offset:168
	;; [unrolled: 1-line block ×3, first 2 shown]
	scratch_load_b64 v[78:79], off, off offset:144
	ds_load_2addr_b64 v[66:69], v51 offset0:45 offset1:46
	ds_load_2addr_b64 v[70:73], v51 offset0:47 offset1:48
	;; [unrolled: 1-line block ×3, first 2 shown]
	s_mov_b32 s0, exec_lo
	s_wait_loadcnt_dscnt 0x302
	v_dual_mul_f32 v51, v66, v55 :: v_dual_mul_f32 v52, v68, v57
	v_mul_f32_e32 v55, v67, v55
	s_wait_loadcnt_dscnt 0x201
	v_dual_mul_f32 v57, v69, v57 :: v_dual_mul_f32 v80, v70, v59
	s_delay_alu instid0(VALU_DEP_3) | instskip(NEXT) | instid1(VALU_DEP_3)
	v_dual_mul_f32 v81, v72, v61 :: v_dual_fmac_f32 v52, v69, v56
	v_fma_f32 v55, v66, v54, -v55
	v_fmac_f32_e32 v51, v67, v54
	v_mul_f32_e32 v54, v71, v59
	v_fma_f32 v56, v68, v56, -v57
	v_mul_f32_e32 v57, v73, v61
	v_dual_add_f32 v55, 0, v55 :: v_dual_fmac_f32 v80, v71, v58
	s_delay_alu instid0(VALU_DEP_4) | instskip(SKIP_2) | instid1(VALU_DEP_3)
	v_fma_f32 v54, v70, v58, -v54
	s_wait_loadcnt_dscnt 0x100
	v_dual_mul_f32 v82, v74, v63 :: v_dual_mul_f32 v83, v76, v65
	v_add_f32_e32 v55, v55, v56
	v_fmac_f32_e32 v81, v73, v60
	v_fma_f32 v56, v72, v60, -v57
	s_delay_alu instid0(VALU_DEP_4) | instskip(NEXT) | instid1(VALU_DEP_4)
	v_dual_fmac_f32 v82, v75, v62 :: v_dual_fmac_f32 v83, v77, v64
	v_add_f32_e32 v54, v55, v54
	s_delay_alu instid0(VALU_DEP_1) | instskip(SKIP_1) | instid1(VALU_DEP_1)
	v_dual_add_f32 v54, v54, v56 :: v_dual_add_f32 v51, 0, v51
	v_mul_f32_e32 v55, v77, v65
	v_fma_f32 v55, v76, v64, -v55
	s_delay_alu instid0(VALU_DEP_3) | instskip(SKIP_1) | instid1(VALU_DEP_1)
	v_add_f32_e32 v51, v51, v52
	v_mul_f32_e32 v52, v75, v63
	v_fma_f32 v52, v74, v62, -v52
	s_delay_alu instid0(VALU_DEP_1) | instskip(NEXT) | instid1(VALU_DEP_1)
	v_add_f32_e32 v52, v54, v52
	v_dual_add_f32 v52, v52, v55 :: v_dual_add_f32 v51, v51, v80
	s_delay_alu instid0(VALU_DEP_1) | instskip(NEXT) | instid1(VALU_DEP_1)
	v_add_f32_e32 v51, v51, v81
	v_add_f32_e32 v51, v51, v82
	s_wait_loadcnt 0x0
	s_delay_alu instid0(VALU_DEP_1) | instskip(NEXT) | instid1(VALU_DEP_1)
	v_dual_add_f32 v54, v51, v83 :: v_dual_sub_f32 v51, v78, v52
	v_sub_f32_e32 v52, v79, v54
	scratch_store_b64 off, v[51:52], off offset:144
	v_cmpx_lt_u32_e32 17, v0
	s_cbranch_execz .LBB24_129
; %bb.128:
	scratch_load_b64 v[51:52], off, off offset:136
	v_mov_b32_e32 v54, 0
	s_delay_alu instid0(VALU_DEP_1)
	v_mov_b32_e32 v55, v54
	scratch_store_b64 off, v[54:55], off offset:136
	s_wait_loadcnt 0x0
	ds_store_b64 v53, v[51:52]
.LBB24_129:
	s_wait_alu 0xfffe
	s_or_b32 exec_lo, exec_lo, s0
	s_wait_storecnt_dscnt 0x0
	s_barrier_signal -1
	s_barrier_wait -1
	global_inv scope:SCOPE_SE
	s_clause 0x4
	scratch_load_b128 v[54:57], off, off offset:144
	scratch_load_b128 v[58:61], off, off offset:160
	;; [unrolled: 1-line block ×3, first 2 shown]
	scratch_load_b64 v[78:79], off, off offset:192
	scratch_load_b64 v[80:81], off, off offset:136
	v_mov_b32_e32 v51, 0
	ds_load_b128 v[66:69], v51 offset:352
	ds_load_b128 v[70:73], v51 offset:368
	;; [unrolled: 1-line block ×3, first 2 shown]
	ds_load_b64 v[82:83], v51 offset:400
	s_mov_b32 s0, exec_lo
	s_wait_loadcnt_dscnt 0x403
	v_mul_f32_e32 v52, v66, v55
	s_wait_loadcnt_dscnt 0x302
	v_dual_mul_f32 v84, v68, v57 :: v_dual_mul_f32 v85, v70, v59
	v_dual_mul_f32 v86, v72, v61 :: v_dual_mul_f32 v55, v67, v55
	s_wait_loadcnt_dscnt 0x100
	v_dual_mul_f32 v89, v82, v79 :: v_dual_fmac_f32 v52, v67, v54
	v_mul_f32_e32 v57, v69, v57
	v_dual_mul_f32 v87, v74, v63 :: v_dual_mul_f32 v88, v76, v65
	v_fma_f32 v55, v66, v54, -v55
	v_fmac_f32_e32 v84, v69, v56
	v_add_f32_e32 v52, 0, v52
	v_mul_f32_e32 v54, v71, v59
	v_fma_f32 v56, v68, v56, -v57
	v_add_f32_e32 v55, 0, v55
	v_mul_f32_e32 v57, v73, v61
	v_dual_fmac_f32 v85, v71, v58 :: v_dual_add_f32 v52, v52, v84
	v_dual_fmac_f32 v86, v73, v60 :: v_dual_fmac_f32 v87, v75, v62
	s_delay_alu instid0(VALU_DEP_4) | instskip(SKIP_1) | instid1(VALU_DEP_4)
	v_add_f32_e32 v55, v55, v56
	v_dual_fmac_f32 v88, v77, v64 :: v_dual_fmac_f32 v89, v83, v78
	v_add_f32_e32 v52, v52, v85
	v_fma_f32 v54, v70, v58, -v54
	v_mul_f32_e32 v56, v75, v63
	v_fma_f32 v57, v72, v60, -v57
	s_delay_alu instid0(VALU_DEP_4) | instskip(NEXT) | instid1(VALU_DEP_1)
	v_add_f32_e32 v52, v52, v86
	v_add_f32_e32 v52, v52, v87
	s_delay_alu instid0(VALU_DEP_1) | instskip(NEXT) | instid1(VALU_DEP_1)
	v_add_f32_e32 v52, v52, v88
	v_add_f32_e32 v52, v52, v89
	v_dual_add_f32 v54, v55, v54 :: v_dual_mul_f32 v55, v77, v65
	v_fma_f32 v56, v74, v62, -v56
	s_delay_alu instid0(VALU_DEP_2) | instskip(NEXT) | instid1(VALU_DEP_3)
	v_dual_add_f32 v54, v54, v57 :: v_dual_mul_f32 v57, v83, v79
	v_fma_f32 v55, v76, v64, -v55
	s_delay_alu instid0(VALU_DEP_2) | instskip(NEXT) | instid1(VALU_DEP_3)
	v_add_f32_e32 v54, v54, v56
	v_fma_f32 v56, v82, v78, -v57
	s_wait_loadcnt 0x0
	s_delay_alu instid0(VALU_DEP_2) | instskip(NEXT) | instid1(VALU_DEP_1)
	v_dual_add_f32 v54, v54, v55 :: v_dual_sub_f32 v55, v81, v52
	v_add_f32_e32 v54, v54, v56
	s_delay_alu instid0(VALU_DEP_1)
	v_sub_f32_e32 v54, v80, v54
	scratch_store_b64 off, v[54:55], off offset:136
	v_cmpx_lt_u32_e32 16, v0
	s_cbranch_execz .LBB24_131
; %bb.130:
	scratch_load_b64 v[54:55], off, off offset:128
	v_mov_b32_e32 v52, v51
	scratch_store_b64 off, v[51:52], off offset:128
	s_wait_loadcnt 0x0
	ds_store_b64 v53, v[54:55]
.LBB24_131:
	s_wait_alu 0xfffe
	s_or_b32 exec_lo, exec_lo, s0
	s_wait_storecnt_dscnt 0x0
	s_barrier_signal -1
	s_barrier_wait -1
	global_inv scope:SCOPE_SE
	s_clause 0x4
	scratch_load_b128 v[54:57], off, off offset:136
	scratch_load_b128 v[58:61], off, off offset:152
	;; [unrolled: 1-line block ×4, first 2 shown]
	scratch_load_b64 v[86:87], off, off offset:128
	ds_load_2addr_b64 v[70:73], v51 offset0:43 offset1:44
	ds_load_2addr_b64 v[74:77], v51 offset0:45 offset1:46
	ds_load_2addr_b64 v[78:81], v51 offset0:47 offset1:48
	ds_load_2addr_b64 v[82:85], v51 offset0:49 offset1:50
	s_mov_b32 s0, exec_lo
	s_wait_loadcnt_dscnt 0x403
	v_dual_mul_f32 v51, v70, v55 :: v_dual_mul_f32 v52, v72, v57
	v_mul_f32_e32 v55, v71, v55
	s_wait_loadcnt_dscnt 0x302
	v_dual_mul_f32 v57, v73, v57 :: v_dual_mul_f32 v88, v74, v59
	s_delay_alu instid0(VALU_DEP_3) | instskip(NEXT) | instid1(VALU_DEP_3)
	v_dual_mul_f32 v89, v76, v61 :: v_dual_fmac_f32 v52, v73, v56
	v_fma_f32 v55, v70, v54, -v55
	v_fmac_f32_e32 v51, v71, v54
	v_mul_f32_e32 v54, v75, v59
	v_fma_f32 v56, v72, v56, -v57
	v_mul_f32_e32 v57, v77, v61
	v_dual_add_f32 v55, 0, v55 :: v_dual_fmac_f32 v88, v75, v58
	s_delay_alu instid0(VALU_DEP_4) | instskip(SKIP_2) | instid1(VALU_DEP_3)
	v_fma_f32 v54, v74, v58, -v54
	s_wait_loadcnt_dscnt 0x201
	v_dual_mul_f32 v90, v78, v63 :: v_dual_mul_f32 v91, v80, v65
	v_add_f32_e32 v55, v55, v56
	v_fmac_f32_e32 v89, v77, v60
	v_fma_f32 v56, v76, v60, -v57
	s_wait_loadcnt_dscnt 0x100
	v_dual_mul_f32 v92, v82, v67 :: v_dual_mul_f32 v93, v84, v69
	v_dual_add_f32 v54, v55, v54 :: v_dual_mul_f32 v55, v81, v65
	v_dual_fmac_f32 v90, v79, v62 :: v_dual_fmac_f32 v91, v81, v64
	s_delay_alu instid0(VALU_DEP_3) | instskip(NEXT) | instid1(VALU_DEP_3)
	v_fmac_f32_e32 v92, v83, v66
	v_dual_add_f32 v54, v54, v56 :: v_dual_add_f32 v51, 0, v51
	v_mul_f32_e32 v56, v83, v67
	v_fma_f32 v55, v80, v64, -v55
	v_fmac_f32_e32 v93, v85, v68
	s_delay_alu instid0(VALU_DEP_4) | instskip(SKIP_2) | instid1(VALU_DEP_2)
	v_add_f32_e32 v51, v51, v52
	v_mul_f32_e32 v52, v79, v63
	v_fma_f32 v56, v82, v66, -v56
	v_fma_f32 v52, v78, v62, -v52
	s_delay_alu instid0(VALU_DEP_1) | instskip(SKIP_1) | instid1(VALU_DEP_2)
	v_add_f32_e32 v52, v54, v52
	v_mul_f32_e32 v54, v85, v69
	v_add_f32_e32 v52, v52, v55
	s_delay_alu instid0(VALU_DEP_2) | instskip(NEXT) | instid1(VALU_DEP_2)
	v_fma_f32 v54, v84, v68, -v54
	v_add_f32_e32 v52, v52, v56
	s_delay_alu instid0(VALU_DEP_1) | instskip(NEXT) | instid1(VALU_DEP_1)
	v_dual_add_f32 v51, v51, v88 :: v_dual_add_f32 v52, v52, v54
	v_add_f32_e32 v51, v51, v89
	s_delay_alu instid0(VALU_DEP_1) | instskip(NEXT) | instid1(VALU_DEP_1)
	v_add_f32_e32 v51, v51, v90
	v_add_f32_e32 v51, v51, v91
	s_delay_alu instid0(VALU_DEP_1) | instskip(SKIP_1) | instid1(VALU_DEP_1)
	v_add_f32_e32 v51, v51, v92
	s_wait_loadcnt 0x0
	v_dual_add_f32 v54, v51, v93 :: v_dual_sub_f32 v51, v86, v52
	s_delay_alu instid0(VALU_DEP_1)
	v_sub_f32_e32 v52, v87, v54
	scratch_store_b64 off, v[51:52], off offset:128
	v_cmpx_lt_u32_e32 15, v0
	s_cbranch_execz .LBB24_133
; %bb.132:
	scratch_load_b64 v[51:52], off, off offset:120
	v_mov_b32_e32 v54, 0
	s_delay_alu instid0(VALU_DEP_1)
	v_mov_b32_e32 v55, v54
	scratch_store_b64 off, v[54:55], off offset:120
	s_wait_loadcnt 0x0
	ds_store_b64 v53, v[51:52]
.LBB24_133:
	s_wait_alu 0xfffe
	s_or_b32 exec_lo, exec_lo, s0
	s_wait_storecnt_dscnt 0x0
	s_barrier_signal -1
	s_barrier_wait -1
	global_inv scope:SCOPE_SE
	s_clause 0x5
	scratch_load_b128 v[54:57], off, off offset:128
	scratch_load_b128 v[58:61], off, off offset:144
	scratch_load_b128 v[62:65], off, off offset:160
	scratch_load_b128 v[66:69], off, off offset:176
	scratch_load_b64 v[86:87], off, off offset:192
	scratch_load_b64 v[88:89], off, off offset:120
	v_mov_b32_e32 v51, 0
	ds_load_b128 v[70:73], v51 offset:336
	ds_load_b128 v[74:77], v51 offset:352
	;; [unrolled: 1-line block ×4, first 2 shown]
	ds_load_b64 v[90:91], v51 offset:400
	s_mov_b32 s0, exec_lo
	s_wait_loadcnt_dscnt 0x504
	v_mul_f32_e32 v52, v70, v55
	s_wait_loadcnt_dscnt 0x403
	v_dual_mul_f32 v92, v72, v57 :: v_dual_mul_f32 v93, v74, v59
	s_wait_loadcnt_dscnt 0x302
	v_dual_mul_f32 v96, v80, v65 :: v_dual_mul_f32 v55, v71, v55
	s_wait_loadcnt_dscnt 0x100
	v_dual_mul_f32 v99, v90, v87 :: v_dual_fmac_f32 v52, v71, v54
	v_mul_f32_e32 v57, v73, v57
	v_dual_mul_f32 v94, v76, v61 :: v_dual_mul_f32 v95, v78, v63
	v_fma_f32 v55, v70, v54, -v55
	v_fmac_f32_e32 v92, v73, v56
	v_add_f32_e32 v52, 0, v52
	v_mul_f32_e32 v54, v75, v59
	v_fma_f32 v56, v72, v56, -v57
	v_add_f32_e32 v55, 0, v55
	v_mul_f32_e32 v57, v77, v61
	v_dual_fmac_f32 v93, v75, v58 :: v_dual_add_f32 v52, v52, v92
	v_dual_fmac_f32 v94, v77, v60 :: v_dual_fmac_f32 v95, v79, v62
	s_delay_alu instid0(VALU_DEP_4) | instskip(SKIP_1) | instid1(VALU_DEP_4)
	v_add_f32_e32 v55, v55, v56
	v_dual_mul_f32 v97, v82, v67 :: v_dual_mul_f32 v98, v84, v69
	v_add_f32_e32 v52, v52, v93
	v_dual_fmac_f32 v96, v81, v64 :: v_dual_fmac_f32 v99, v91, v86
	s_delay_alu instid0(VALU_DEP_3) | instskip(NEXT) | instid1(VALU_DEP_3)
	v_dual_fmac_f32 v97, v83, v66 :: v_dual_fmac_f32 v98, v85, v68
	v_add_f32_e32 v52, v52, v94
	v_fma_f32 v54, v74, v58, -v54
	v_mul_f32_e32 v56, v79, v63
	v_fma_f32 v57, v76, v60, -v57
	s_delay_alu instid0(VALU_DEP_4) | instskip(NEXT) | instid1(VALU_DEP_1)
	v_add_f32_e32 v52, v52, v95
	v_add_f32_e32 v52, v52, v96
	s_delay_alu instid0(VALU_DEP_1) | instskip(NEXT) | instid1(VALU_DEP_1)
	v_add_f32_e32 v52, v52, v97
	v_add_f32_e32 v52, v52, v98
	s_delay_alu instid0(VALU_DEP_1) | instskip(SKIP_2) | instid1(VALU_DEP_2)
	v_add_f32_e32 v52, v52, v99
	v_dual_add_f32 v54, v55, v54 :: v_dual_mul_f32 v55, v81, v65
	v_fma_f32 v56, v78, v62, -v56
	v_dual_add_f32 v54, v54, v57 :: v_dual_mul_f32 v57, v83, v67
	s_delay_alu instid0(VALU_DEP_3) | instskip(NEXT) | instid1(VALU_DEP_2)
	v_fma_f32 v55, v80, v64, -v55
	v_add_f32_e32 v54, v54, v56
	v_mul_f32_e32 v56, v85, v69
	s_delay_alu instid0(VALU_DEP_4) | instskip(NEXT) | instid1(VALU_DEP_3)
	v_fma_f32 v57, v82, v66, -v57
	v_add_f32_e32 v54, v54, v55
	v_mul_f32_e32 v55, v91, v87
	s_delay_alu instid0(VALU_DEP_4) | instskip(NEXT) | instid1(VALU_DEP_3)
	v_fma_f32 v56, v84, v68, -v56
	v_add_f32_e32 v54, v54, v57
	s_delay_alu instid0(VALU_DEP_3) | instskip(NEXT) | instid1(VALU_DEP_2)
	v_fma_f32 v55, v90, v86, -v55
	v_add_f32_e32 v54, v54, v56
	s_wait_loadcnt 0x0
	s_delay_alu instid0(VALU_DEP_1) | instskip(NEXT) | instid1(VALU_DEP_1)
	v_dual_add_f32 v54, v54, v55 :: v_dual_sub_f32 v55, v89, v52
	v_sub_f32_e32 v54, v88, v54
	scratch_store_b64 off, v[54:55], off offset:120
	v_cmpx_lt_u32_e32 14, v0
	s_cbranch_execz .LBB24_135
; %bb.134:
	scratch_load_b64 v[54:55], off, off offset:112
	v_mov_b32_e32 v52, v51
	scratch_store_b64 off, v[51:52], off offset:112
	s_wait_loadcnt 0x0
	ds_store_b64 v53, v[54:55]
.LBB24_135:
	s_wait_alu 0xfffe
	s_or_b32 exec_lo, exec_lo, s0
	s_wait_storecnt_dscnt 0x0
	s_barrier_signal -1
	s_barrier_wait -1
	global_inv scope:SCOPE_SE
	s_clause 0x5
	scratch_load_b128 v[54:57], off, off offset:120
	scratch_load_b128 v[58:61], off, off offset:136
	;; [unrolled: 1-line block ×5, first 2 shown]
	scratch_load_b64 v[94:95], off, off offset:112
	ds_load_2addr_b64 v[74:77], v51 offset0:41 offset1:42
	ds_load_2addr_b64 v[78:81], v51 offset0:43 offset1:44
	;; [unrolled: 1-line block ×5, first 2 shown]
	s_mov_b32 s0, exec_lo
	s_wait_loadcnt_dscnt 0x504
	v_dual_mul_f32 v51, v74, v55 :: v_dual_mul_f32 v52, v76, v57
	v_mul_f32_e32 v55, v75, v55
	s_wait_loadcnt_dscnt 0x403
	v_dual_mul_f32 v57, v77, v57 :: v_dual_mul_f32 v96, v78, v59
	s_delay_alu instid0(VALU_DEP_3) | instskip(NEXT) | instid1(VALU_DEP_3)
	v_dual_mul_f32 v97, v80, v61 :: v_dual_fmac_f32 v52, v77, v56
	v_fma_f32 v55, v74, v54, -v55
	v_fmac_f32_e32 v51, v75, v54
	v_mul_f32_e32 v54, v79, v59
	v_fma_f32 v56, v76, v56, -v57
	v_mul_f32_e32 v57, v81, v61
	v_dual_add_f32 v55, 0, v55 :: v_dual_fmac_f32 v96, v79, v58
	s_delay_alu instid0(VALU_DEP_4) | instskip(SKIP_2) | instid1(VALU_DEP_3)
	v_fma_f32 v54, v78, v58, -v54
	s_wait_loadcnt_dscnt 0x302
	v_dual_mul_f32 v98, v82, v63 :: v_dual_mul_f32 v99, v84, v65
	v_add_f32_e32 v55, v55, v56
	v_fmac_f32_e32 v97, v81, v60
	v_fma_f32 v56, v80, v60, -v57
	s_wait_loadcnt_dscnt 0x201
	v_dual_mul_f32 v100, v86, v67 :: v_dual_mul_f32 v101, v88, v69
	v_dual_add_f32 v54, v55, v54 :: v_dual_mul_f32 v55, v85, v65
	v_fmac_f32_e32 v98, v83, v62
	s_wait_loadcnt_dscnt 0x100
	v_dual_mul_f32 v102, v90, v71 :: v_dual_mul_f32 v103, v92, v73
	s_delay_alu instid0(VALU_DEP_3) | instskip(SKIP_3) | instid1(VALU_DEP_4)
	v_dual_add_f32 v54, v54, v56 :: v_dual_add_f32 v51, 0, v51
	v_mul_f32_e32 v56, v87, v67
	v_fma_f32 v55, v84, v64, -v55
	v_dual_fmac_f32 v99, v85, v64 :: v_dual_fmac_f32 v100, v87, v66
	v_add_f32_e32 v51, v51, v52
	v_mul_f32_e32 v52, v83, v63
	v_fma_f32 v56, v86, v66, -v56
	v_dual_fmac_f32 v101, v89, v68 :: v_dual_fmac_f32 v102, v91, v70
	s_delay_alu instid0(VALU_DEP_3) | instskip(NEXT) | instid1(VALU_DEP_1)
	v_fma_f32 v52, v82, v62, -v52
	v_add_f32_e32 v52, v54, v52
	v_mul_f32_e32 v54, v89, v69
	s_delay_alu instid0(VALU_DEP_2) | instskip(SKIP_1) | instid1(VALU_DEP_3)
	v_dual_add_f32 v52, v52, v55 :: v_dual_add_f32 v51, v51, v96
	v_mul_f32_e32 v55, v91, v71
	v_fma_f32 v54, v88, v68, -v54
	s_delay_alu instid0(VALU_DEP_3) | instskip(SKIP_3) | instid1(VALU_DEP_4)
	v_add_f32_e32 v52, v52, v56
	v_mul_f32_e32 v56, v93, v73
	v_add_f32_e32 v51, v51, v97
	v_fma_f32 v55, v90, v70, -v55
	v_dual_add_f32 v52, v52, v54 :: v_dual_fmac_f32 v103, v93, v72
	s_delay_alu instid0(VALU_DEP_3) | instskip(SKIP_1) | instid1(VALU_DEP_3)
	v_add_f32_e32 v51, v51, v98
	v_fma_f32 v54, v92, v72, -v56
	v_add_f32_e32 v52, v52, v55
	s_delay_alu instid0(VALU_DEP_1) | instskip(NEXT) | instid1(VALU_DEP_1)
	v_dual_add_f32 v51, v51, v99 :: v_dual_add_f32 v52, v52, v54
	v_add_f32_e32 v51, v51, v100
	s_delay_alu instid0(VALU_DEP_1) | instskip(NEXT) | instid1(VALU_DEP_1)
	v_add_f32_e32 v51, v51, v101
	v_add_f32_e32 v51, v51, v102
	s_wait_loadcnt 0x0
	s_delay_alu instid0(VALU_DEP_1) | instskip(NEXT) | instid1(VALU_DEP_1)
	v_dual_add_f32 v54, v51, v103 :: v_dual_sub_f32 v51, v94, v52
	v_sub_f32_e32 v52, v95, v54
	scratch_store_b64 off, v[51:52], off offset:112
	v_cmpx_lt_u32_e32 13, v0
	s_cbranch_execz .LBB24_137
; %bb.136:
	scratch_load_b64 v[51:52], off, off offset:104
	v_mov_b32_e32 v54, 0
	s_delay_alu instid0(VALU_DEP_1)
	v_mov_b32_e32 v55, v54
	scratch_store_b64 off, v[54:55], off offset:104
	s_wait_loadcnt 0x0
	ds_store_b64 v53, v[51:52]
.LBB24_137:
	s_wait_alu 0xfffe
	s_or_b32 exec_lo, exec_lo, s0
	s_wait_storecnt_dscnt 0x0
	s_barrier_signal -1
	s_barrier_wait -1
	global_inv scope:SCOPE_SE
	s_clause 0x6
	scratch_load_b128 v[54:57], off, off offset:112
	scratch_load_b128 v[58:61], off, off offset:128
	;; [unrolled: 1-line block ×5, first 2 shown]
	scratch_load_b64 v[94:95], off, off offset:192
	scratch_load_b64 v[96:97], off, off offset:104
	v_mov_b32_e32 v51, 0
	ds_load_b128 v[74:77], v51 offset:320
	ds_load_b128 v[78:81], v51 offset:336
	;; [unrolled: 1-line block ×5, first 2 shown]
	ds_load_b64 v[98:99], v51 offset:400
	s_mov_b32 s0, exec_lo
	s_wait_loadcnt_dscnt 0x605
	v_mul_f32_e32 v52, v74, v55
	v_dual_mul_f32 v55, v75, v55 :: v_dual_mul_f32 v100, v76, v57
	s_wait_loadcnt_dscnt 0x302
	v_dual_mul_f32 v101, v78, v59 :: v_dual_mul_f32 v106, v88, v69
	s_wait_loadcnt_dscnt 0x100
	v_dual_mul_f32 v109, v98, v95 :: v_dual_fmac_f32 v52, v75, v54
	v_mul_f32_e32 v57, v77, v57
	v_fma_f32 v55, v74, v54, -v55
	v_mul_f32_e32 v54, v79, v59
	v_fmac_f32_e32 v100, v77, v56
	v_add_f32_e32 v52, 0, v52
	v_fma_f32 v56, v76, v56, -v57
	v_add_f32_e32 v55, 0, v55
	v_mul_f32_e32 v57, v81, v61
	s_delay_alu instid0(VALU_DEP_4) | instskip(SKIP_1) | instid1(VALU_DEP_4)
	v_dual_fmac_f32 v101, v79, v58 :: v_dual_add_f32 v52, v52, v100
	v_fma_f32 v54, v78, v58, -v54
	v_dual_add_f32 v55, v55, v56 :: v_dual_mul_f32 v102, v80, v61
	v_mul_f32_e32 v103, v82, v63
	v_mul_f32_e32 v56, v83, v63
	v_fma_f32 v57, v80, v60, -v57
	v_add_f32_e32 v52, v52, v101
	v_add_f32_e32 v54, v55, v54
	v_dual_fmac_f32 v102, v81, v60 :: v_dual_fmac_f32 v103, v83, v62
	v_mul_f32_e32 v55, v85, v65
	v_fma_f32 v56, v82, v62, -v56
	s_delay_alu instid0(VALU_DEP_4) | instskip(SKIP_4) | instid1(VALU_DEP_3)
	v_dual_add_f32 v54, v54, v57 :: v_dual_mul_f32 v57, v87, v67
	v_dual_mul_f32 v104, v84, v65 :: v_dual_mul_f32 v105, v86, v67
	v_dual_mul_f32 v107, v90, v71 :: v_dual_mul_f32 v108, v92, v73
	v_add_f32_e32 v52, v52, v102
	v_fma_f32 v55, v84, v64, -v55
	v_dual_add_f32 v54, v54, v56 :: v_dual_fmac_f32 v107, v91, v70
	v_dual_fmac_f32 v104, v85, v64 :: v_dual_fmac_f32 v105, v87, v66
	v_mul_f32_e32 v56, v89, v69
	s_delay_alu instid0(VALU_DEP_3)
	v_add_f32_e32 v54, v54, v55
	v_mul_f32_e32 v55, v91, v71
	v_dual_add_f32 v52, v52, v103 :: v_dual_fmac_f32 v109, v99, v94
	v_fma_f32 v57, v86, v66, -v57
	v_fmac_f32_e32 v106, v89, v68
	v_fma_f32 v56, v88, v68, -v56
	s_delay_alu instid0(VALU_DEP_4)
	v_add_f32_e32 v52, v52, v104
	v_fma_f32 v55, v90, v70, -v55
	v_add_f32_e32 v54, v54, v57
	v_mul_f32_e32 v57, v93, v73
	v_fmac_f32_e32 v108, v93, v72
	v_add_f32_e32 v52, v52, v105
	s_delay_alu instid0(VALU_DEP_4) | instskip(SKIP_2) | instid1(VALU_DEP_4)
	v_add_f32_e32 v54, v54, v56
	v_mul_f32_e32 v56, v99, v95
	v_fma_f32 v57, v92, v72, -v57
	v_add_f32_e32 v52, v52, v106
	s_delay_alu instid0(VALU_DEP_4) | instskip(NEXT) | instid1(VALU_DEP_4)
	v_add_f32_e32 v54, v54, v55
	v_fma_f32 v55, v98, v94, -v56
	s_delay_alu instid0(VALU_DEP_3) | instskip(NEXT) | instid1(VALU_DEP_3)
	v_add_f32_e32 v52, v52, v107
	v_add_f32_e32 v54, v54, v57
	s_delay_alu instid0(VALU_DEP_2) | instskip(NEXT) | instid1(VALU_DEP_2)
	v_add_f32_e32 v52, v52, v108
	v_add_f32_e32 v54, v54, v55
	s_delay_alu instid0(VALU_DEP_2) | instskip(SKIP_1) | instid1(VALU_DEP_1)
	v_add_f32_e32 v52, v52, v109
	s_wait_loadcnt 0x0
	v_dual_sub_f32 v54, v96, v54 :: v_dual_sub_f32 v55, v97, v52
	scratch_store_b64 off, v[54:55], off offset:104
	v_cmpx_lt_u32_e32 12, v0
	s_cbranch_execz .LBB24_139
; %bb.138:
	scratch_load_b64 v[54:55], off, off offset:96
	v_mov_b32_e32 v52, v51
	scratch_store_b64 off, v[51:52], off offset:96
	s_wait_loadcnt 0x0
	ds_store_b64 v53, v[54:55]
.LBB24_139:
	s_wait_alu 0xfffe
	s_or_b32 exec_lo, exec_lo, s0
	s_wait_storecnt_dscnt 0x0
	s_barrier_signal -1
	s_barrier_wait -1
	global_inv scope:SCOPE_SE
	s_clause 0x6
	scratch_load_b128 v[54:57], off, off offset:104
	scratch_load_b128 v[58:61], off, off offset:120
	scratch_load_b128 v[62:65], off, off offset:136
	scratch_load_b128 v[66:69], off, off offset:152
	scratch_load_b128 v[70:73], off, off offset:168
	scratch_load_b128 v[74:77], off, off offset:184
	scratch_load_b64 v[102:103], off, off offset:96
	ds_load_2addr_b64 v[78:81], v51 offset0:39 offset1:40
	ds_load_2addr_b64 v[82:85], v51 offset0:41 offset1:42
	;; [unrolled: 1-line block ×6, first 2 shown]
	s_mov_b32 s0, exec_lo
	s_wait_loadcnt_dscnt 0x605
	v_dual_mul_f32 v51, v78, v55 :: v_dual_mul_f32 v52, v80, v57
	v_mul_f32_e32 v55, v79, v55
	s_wait_loadcnt_dscnt 0x504
	v_dual_mul_f32 v57, v81, v57 :: v_dual_mul_f32 v104, v82, v59
	s_delay_alu instid0(VALU_DEP_3) | instskip(NEXT) | instid1(VALU_DEP_3)
	v_dual_mul_f32 v105, v84, v61 :: v_dual_fmac_f32 v52, v81, v56
	v_fma_f32 v55, v78, v54, -v55
	v_fmac_f32_e32 v51, v79, v54
	v_mul_f32_e32 v54, v83, v59
	v_fma_f32 v56, v80, v56, -v57
	v_mul_f32_e32 v57, v85, v61
	v_dual_add_f32 v55, 0, v55 :: v_dual_fmac_f32 v104, v83, v58
	s_delay_alu instid0(VALU_DEP_4) | instskip(SKIP_2) | instid1(VALU_DEP_3)
	v_fma_f32 v54, v82, v58, -v54
	s_wait_loadcnt_dscnt 0x403
	v_dual_mul_f32 v106, v86, v63 :: v_dual_mul_f32 v107, v88, v65
	v_add_f32_e32 v55, v55, v56
	v_fmac_f32_e32 v105, v85, v60
	v_fma_f32 v56, v84, v60, -v57
	s_wait_loadcnt_dscnt 0x302
	v_dual_mul_f32 v108, v90, v67 :: v_dual_mul_f32 v109, v92, v69
	v_dual_add_f32 v54, v55, v54 :: v_dual_mul_f32 v55, v89, v65
	v_fmac_f32_e32 v106, v87, v62
	s_wait_loadcnt_dscnt 0x201
	v_dual_mul_f32 v110, v94, v71 :: v_dual_mul_f32 v111, v96, v73
	s_delay_alu instid0(VALU_DEP_3) | instskip(SKIP_3) | instid1(VALU_DEP_4)
	v_dual_add_f32 v54, v54, v56 :: v_dual_add_f32 v51, 0, v51
	v_mul_f32_e32 v56, v91, v67
	v_fma_f32 v55, v88, v64, -v55
	v_dual_fmac_f32 v107, v89, v64 :: v_dual_fmac_f32 v108, v91, v66
	v_add_f32_e32 v51, v51, v52
	v_mul_f32_e32 v52, v87, v63
	v_fma_f32 v56, v90, v66, -v56
	v_dual_fmac_f32 v109, v93, v68 :: v_dual_fmac_f32 v110, v95, v70
	s_wait_loadcnt_dscnt 0x100
	v_dual_mul_f32 v112, v98, v75 :: v_dual_mul_f32 v113, v100, v77
	v_fma_f32 v52, v86, v62, -v52
	s_delay_alu instid0(VALU_DEP_2) | instskip(NEXT) | instid1(VALU_DEP_3)
	v_dual_fmac_f32 v111, v97, v72 :: v_dual_fmac_f32 v112, v99, v74
	v_fmac_f32_e32 v113, v101, v76
	s_delay_alu instid0(VALU_DEP_3) | instskip(SKIP_1) | instid1(VALU_DEP_2)
	v_add_f32_e32 v52, v54, v52
	v_mul_f32_e32 v54, v93, v69
	v_dual_add_f32 v52, v52, v55 :: v_dual_add_f32 v51, v51, v104
	v_mul_f32_e32 v55, v95, v71
	s_delay_alu instid0(VALU_DEP_3) | instskip(NEXT) | instid1(VALU_DEP_3)
	v_fma_f32 v54, v92, v68, -v54
	v_add_f32_e32 v52, v52, v56
	v_mul_f32_e32 v56, v97, v73
	v_add_f32_e32 v51, v51, v105
	v_fma_f32 v55, v94, v70, -v55
	s_delay_alu instid0(VALU_DEP_4) | instskip(SKIP_1) | instid1(VALU_DEP_4)
	v_add_f32_e32 v52, v52, v54
	v_mul_f32_e32 v54, v99, v75
	v_add_f32_e32 v51, v51, v106
	v_fma_f32 v56, v96, v72, -v56
	s_delay_alu instid0(VALU_DEP_4) | instskip(NEXT) | instid1(VALU_DEP_3)
	v_dual_add_f32 v52, v52, v55 :: v_dual_mul_f32 v55, v101, v77
	v_add_f32_e32 v51, v51, v107
	v_fma_f32 v54, v98, v74, -v54
	s_delay_alu instid0(VALU_DEP_3) | instskip(NEXT) | instid1(VALU_DEP_4)
	v_add_f32_e32 v52, v52, v56
	v_fma_f32 v55, v100, v76, -v55
	s_delay_alu instid0(VALU_DEP_2) | instskip(NEXT) | instid1(VALU_DEP_1)
	v_dual_add_f32 v51, v51, v108 :: v_dual_add_f32 v52, v52, v54
	v_dual_add_f32 v51, v51, v109 :: v_dual_add_f32 v52, v52, v55
	s_delay_alu instid0(VALU_DEP_1) | instskip(NEXT) | instid1(VALU_DEP_1)
	v_add_f32_e32 v51, v51, v110
	v_add_f32_e32 v51, v51, v111
	s_delay_alu instid0(VALU_DEP_1) | instskip(SKIP_1) | instid1(VALU_DEP_1)
	v_add_f32_e32 v51, v51, v112
	s_wait_loadcnt 0x0
	v_dual_add_f32 v54, v51, v113 :: v_dual_sub_f32 v51, v102, v52
	s_delay_alu instid0(VALU_DEP_1)
	v_sub_f32_e32 v52, v103, v54
	scratch_store_b64 off, v[51:52], off offset:96
	v_cmpx_lt_u32_e32 11, v0
	s_cbranch_execz .LBB24_141
; %bb.140:
	scratch_load_b64 v[51:52], off, off offset:88
	v_mov_b32_e32 v54, 0
	s_delay_alu instid0(VALU_DEP_1)
	v_mov_b32_e32 v55, v54
	scratch_store_b64 off, v[54:55], off offset:88
	s_wait_loadcnt 0x0
	ds_store_b64 v53, v[51:52]
.LBB24_141:
	s_wait_alu 0xfffe
	s_or_b32 exec_lo, exec_lo, s0
	s_wait_storecnt_dscnt 0x0
	s_barrier_signal -1
	s_barrier_wait -1
	global_inv scope:SCOPE_SE
	s_clause 0x7
	scratch_load_b128 v[54:57], off, off offset:96
	scratch_load_b128 v[58:61], off, off offset:112
	;; [unrolled: 1-line block ×6, first 2 shown]
	scratch_load_b64 v[102:103], off, off offset:192
	scratch_load_b64 v[104:105], off, off offset:88
	v_mov_b32_e32 v51, 0
	ds_load_b128 v[78:81], v51 offset:304
	ds_load_b128 v[82:85], v51 offset:320
	;; [unrolled: 1-line block ×6, first 2 shown]
	ds_load_b64 v[106:107], v51 offset:400
	s_mov_b32 s0, exec_lo
	s_wait_loadcnt_dscnt 0x706
	v_mul_f32_e32 v52, v78, v55
	v_dual_mul_f32 v55, v79, v55 :: v_dual_mul_f32 v108, v80, v57
	s_wait_loadcnt_dscnt 0x302
	v_dual_mul_f32 v109, v82, v59 :: v_dual_mul_f32 v116, v96, v73
	v_mul_f32_e32 v57, v81, v57
	s_wait_loadcnt_dscnt 0x100
	v_dual_mul_f32 v119, v106, v103 :: v_dual_fmac_f32 v52, v79, v54
	v_fma_f32 v55, v78, v54, -v55
	v_mul_f32_e32 v54, v83, v59
	v_fmac_f32_e32 v108, v81, v56
	v_fma_f32 v56, v80, v56, -v57
	v_dual_add_f32 v52, 0, v52 :: v_dual_mul_f32 v57, v85, v61
	v_add_f32_e32 v55, 0, v55
	v_fmac_f32_e32 v109, v83, v58
	v_fma_f32 v54, v82, v58, -v54
	s_delay_alu instid0(VALU_DEP_4)
	v_add_f32_e32 v52, v52, v108
	v_fma_f32 v57, v84, v60, -v57
	v_add_f32_e32 v55, v55, v56
	v_mul_f32_e32 v56, v87, v63
	v_dual_mul_f32 v110, v84, v61 :: v_dual_mul_f32 v111, v86, v63
	v_add_f32_e32 v52, v52, v109
	s_delay_alu instid0(VALU_DEP_4) | instskip(NEXT) | instid1(VALU_DEP_4)
	v_dual_add_f32 v54, v55, v54 :: v_dual_mul_f32 v55, v89, v65
	v_fma_f32 v56, v86, v62, -v56
	v_dual_mul_f32 v114, v92, v69 :: v_dual_mul_f32 v115, v94, v71
	s_delay_alu instid0(VALU_DEP_3) | instskip(NEXT) | instid1(VALU_DEP_4)
	v_dual_add_f32 v54, v54, v57 :: v_dual_mul_f32 v57, v91, v67
	v_fma_f32 v55, v88, v64, -v55
	v_dual_mul_f32 v117, v98, v75 :: v_dual_mul_f32 v118, v100, v77
	s_delay_alu instid0(VALU_DEP_3) | instskip(SKIP_1) | instid1(VALU_DEP_3)
	v_dual_add_f32 v54, v54, v56 :: v_dual_fmac_f32 v115, v95, v70
	v_dual_fmac_f32 v110, v85, v60 :: v_dual_fmac_f32 v111, v87, v62
	v_dual_mul_f32 v56, v93, v69 :: v_dual_fmac_f32 v117, v99, v74
	v_fma_f32 v57, v90, v66, -v57
	s_delay_alu instid0(VALU_DEP_4) | instskip(SKIP_3) | instid1(VALU_DEP_4)
	v_dual_add_f32 v54, v54, v55 :: v_dual_fmac_f32 v119, v107, v102
	v_dual_mul_f32 v112, v88, v65 :: v_dual_mul_f32 v113, v90, v67
	v_dual_add_f32 v52, v52, v110 :: v_dual_mul_f32 v55, v95, v71
	v_fma_f32 v56, v92, v68, -v56
	v_add_f32_e32 v54, v54, v57
	s_delay_alu instid0(VALU_DEP_4) | instskip(NEXT) | instid1(VALU_DEP_4)
	v_dual_fmac_f32 v112, v89, v64 :: v_dual_fmac_f32 v113, v91, v66
	v_dual_add_f32 v52, v52, v111 :: v_dual_mul_f32 v57, v97, v73
	v_fma_f32 v55, v94, v70, -v55
	s_delay_alu instid0(VALU_DEP_4)
	v_add_f32_e32 v54, v54, v56
	v_fmac_f32_e32 v114, v93, v68
	v_mul_f32_e32 v56, v99, v75
	v_fma_f32 v57, v96, v72, -v57
	v_fmac_f32_e32 v116, v97, v72
	v_dual_add_f32 v54, v54, v55 :: v_dual_mul_f32 v55, v101, v77
	v_add_f32_e32 v52, v52, v112
	v_fma_f32 v56, v98, v74, -v56
	v_fmac_f32_e32 v118, v101, v76
	s_delay_alu instid0(VALU_DEP_4) | instskip(NEXT) | instid1(VALU_DEP_4)
	v_dual_add_f32 v54, v54, v57 :: v_dual_mul_f32 v57, v107, v103
	v_add_f32_e32 v52, v52, v113
	v_fma_f32 v55, v100, v76, -v55
	s_delay_alu instid0(VALU_DEP_3) | instskip(NEXT) | instid1(VALU_DEP_4)
	v_add_f32_e32 v54, v54, v56
	v_fma_f32 v56, v106, v102, -v57
	s_delay_alu instid0(VALU_DEP_4) | instskip(NEXT) | instid1(VALU_DEP_3)
	v_add_f32_e32 v52, v52, v114
	v_add_f32_e32 v54, v54, v55
	s_delay_alu instid0(VALU_DEP_2) | instskip(NEXT) | instid1(VALU_DEP_2)
	v_add_f32_e32 v52, v52, v115
	v_add_f32_e32 v54, v54, v56
	s_delay_alu instid0(VALU_DEP_2) | instskip(SKIP_1) | instid1(VALU_DEP_2)
	v_add_f32_e32 v52, v52, v116
	s_wait_loadcnt 0x0
	v_sub_f32_e32 v54, v104, v54
	s_delay_alu instid0(VALU_DEP_2) | instskip(NEXT) | instid1(VALU_DEP_1)
	v_add_f32_e32 v52, v52, v117
	v_add_f32_e32 v52, v52, v118
	s_delay_alu instid0(VALU_DEP_1) | instskip(NEXT) | instid1(VALU_DEP_1)
	v_add_f32_e32 v52, v52, v119
	v_sub_f32_e32 v55, v105, v52
	scratch_store_b64 off, v[54:55], off offset:88
	v_cmpx_lt_u32_e32 10, v0
	s_cbranch_execz .LBB24_143
; %bb.142:
	scratch_load_b64 v[54:55], off, off offset:80
	v_mov_b32_e32 v52, v51
	scratch_store_b64 off, v[51:52], off offset:80
	s_wait_loadcnt 0x0
	ds_store_b64 v53, v[54:55]
.LBB24_143:
	s_wait_alu 0xfffe
	s_or_b32 exec_lo, exec_lo, s0
	s_wait_storecnt_dscnt 0x0
	s_barrier_signal -1
	s_barrier_wait -1
	global_inv scope:SCOPE_SE
	s_clause 0x7
	scratch_load_b128 v[54:57], off, off offset:88
	scratch_load_b128 v[58:61], off, off offset:104
	;; [unrolled: 1-line block ×7, first 2 shown]
	scratch_load_b64 v[110:111], off, off offset:80
	ds_load_2addr_b64 v[82:85], v51 offset0:37 offset1:38
	ds_load_2addr_b64 v[86:89], v51 offset0:39 offset1:40
	;; [unrolled: 1-line block ×7, first 2 shown]
	s_mov_b32 s0, exec_lo
	s_wait_loadcnt_dscnt 0x706
	v_dual_mul_f32 v51, v82, v55 :: v_dual_mul_f32 v52, v84, v57
	v_mul_f32_e32 v55, v83, v55
	s_wait_loadcnt_dscnt 0x605
	v_dual_mul_f32 v57, v85, v57 :: v_dual_mul_f32 v112, v86, v59
	s_delay_alu instid0(VALU_DEP_3) | instskip(NEXT) | instid1(VALU_DEP_3)
	v_dual_mul_f32 v113, v88, v61 :: v_dual_fmac_f32 v52, v85, v56
	v_fma_f32 v55, v82, v54, -v55
	v_fmac_f32_e32 v51, v83, v54
	v_mul_f32_e32 v54, v87, v59
	v_fma_f32 v56, v84, v56, -v57
	v_mul_f32_e32 v57, v89, v61
	v_dual_add_f32 v55, 0, v55 :: v_dual_fmac_f32 v112, v87, v58
	s_delay_alu instid0(VALU_DEP_4) | instskip(SKIP_2) | instid1(VALU_DEP_3)
	v_fma_f32 v54, v86, v58, -v54
	s_wait_loadcnt_dscnt 0x504
	v_dual_mul_f32 v114, v90, v63 :: v_dual_mul_f32 v115, v92, v65
	v_add_f32_e32 v55, v55, v56
	v_fmac_f32_e32 v113, v89, v60
	v_fma_f32 v56, v88, v60, -v57
	s_wait_loadcnt_dscnt 0x403
	v_dual_mul_f32 v116, v94, v67 :: v_dual_mul_f32 v117, v96, v69
	v_dual_add_f32 v54, v55, v54 :: v_dual_mul_f32 v55, v93, v65
	v_fmac_f32_e32 v114, v91, v62
	s_wait_loadcnt_dscnt 0x302
	v_dual_mul_f32 v118, v98, v71 :: v_dual_mul_f32 v119, v100, v73
	s_delay_alu instid0(VALU_DEP_3) | instskip(SKIP_3) | instid1(VALU_DEP_4)
	v_dual_add_f32 v54, v54, v56 :: v_dual_add_f32 v51, 0, v51
	v_mul_f32_e32 v56, v95, v67
	v_fma_f32 v55, v92, v64, -v55
	v_dual_fmac_f32 v115, v93, v64 :: v_dual_fmac_f32 v116, v95, v66
	v_add_f32_e32 v51, v51, v52
	v_mul_f32_e32 v52, v91, v63
	v_fma_f32 v56, v94, v66, -v56
	v_dual_fmac_f32 v117, v97, v68 :: v_dual_fmac_f32 v118, v99, v70
	s_wait_loadcnt_dscnt 0x201
	v_dual_mul_f32 v120, v102, v75 :: v_dual_mul_f32 v121, v104, v77
	v_fma_f32 v52, v90, v62, -v52
	s_wait_loadcnt_dscnt 0x100
	v_dual_mul_f32 v122, v106, v79 :: v_dual_mul_f32 v123, v108, v81
	s_delay_alu instid0(VALU_DEP_3) | instskip(NEXT) | instid1(VALU_DEP_3)
	v_dual_fmac_f32 v119, v101, v72 :: v_dual_fmac_f32 v120, v103, v74
	v_add_f32_e32 v52, v54, v52
	v_mul_f32_e32 v54, v97, v69
	s_delay_alu instid0(VALU_DEP_4) | instskip(NEXT) | instid1(VALU_DEP_3)
	v_dual_fmac_f32 v122, v107, v78 :: v_dual_fmac_f32 v123, v109, v80
	v_dual_fmac_f32 v121, v105, v76 :: v_dual_add_f32 v52, v52, v55
	v_add_f32_e32 v51, v51, v112
	v_mul_f32_e32 v55, v99, v71
	v_fma_f32 v54, v96, v68, -v54
	s_delay_alu instid0(VALU_DEP_4) | instskip(SKIP_3) | instid1(VALU_DEP_4)
	v_add_f32_e32 v52, v52, v56
	v_mul_f32_e32 v56, v101, v73
	v_add_f32_e32 v51, v51, v113
	v_fma_f32 v55, v98, v70, -v55
	v_add_f32_e32 v52, v52, v54
	v_mul_f32_e32 v54, v103, v75
	s_delay_alu instid0(VALU_DEP_4) | instskip(SKIP_1) | instid1(VALU_DEP_4)
	v_add_f32_e32 v51, v51, v114
	v_fma_f32 v56, v100, v72, -v56
	v_dual_add_f32 v52, v52, v55 :: v_dual_mul_f32 v55, v105, v77
	s_delay_alu instid0(VALU_DEP_3) | instskip(SKIP_1) | instid1(VALU_DEP_3)
	v_add_f32_e32 v51, v51, v115
	v_fma_f32 v54, v102, v74, -v54
	v_add_f32_e32 v52, v52, v56
	s_delay_alu instid0(VALU_DEP_4) | instskip(NEXT) | instid1(VALU_DEP_4)
	v_fma_f32 v55, v104, v76, -v55
	v_add_f32_e32 v51, v51, v116
	v_mul_f32_e32 v56, v107, v79
	s_delay_alu instid0(VALU_DEP_4) | instskip(SKIP_1) | instid1(VALU_DEP_4)
	v_add_f32_e32 v52, v52, v54
	v_mul_f32_e32 v54, v109, v81
	v_add_f32_e32 v51, v51, v117
	s_delay_alu instid0(VALU_DEP_4) | instskip(NEXT) | instid1(VALU_DEP_4)
	v_fma_f32 v56, v106, v78, -v56
	v_add_f32_e32 v52, v52, v55
	s_delay_alu instid0(VALU_DEP_4) | instskip(NEXT) | instid1(VALU_DEP_2)
	v_fma_f32 v54, v108, v80, -v54
	v_dual_add_f32 v51, v51, v118 :: v_dual_add_f32 v52, v52, v56
	s_delay_alu instid0(VALU_DEP_1) | instskip(NEXT) | instid1(VALU_DEP_1)
	v_dual_add_f32 v51, v51, v119 :: v_dual_add_f32 v52, v52, v54
	v_add_f32_e32 v51, v51, v120
	s_delay_alu instid0(VALU_DEP_1) | instskip(NEXT) | instid1(VALU_DEP_1)
	v_add_f32_e32 v51, v51, v121
	v_add_f32_e32 v51, v51, v122
	s_wait_loadcnt 0x0
	s_delay_alu instid0(VALU_DEP_1) | instskip(NEXT) | instid1(VALU_DEP_1)
	v_dual_add_f32 v54, v51, v123 :: v_dual_sub_f32 v51, v110, v52
	v_sub_f32_e32 v52, v111, v54
	scratch_store_b64 off, v[51:52], off offset:80
	v_cmpx_lt_u32_e32 9, v0
	s_cbranch_execz .LBB24_145
; %bb.144:
	scratch_load_b64 v[51:52], off, off offset:72
	v_mov_b32_e32 v54, 0
	s_delay_alu instid0(VALU_DEP_1)
	v_mov_b32_e32 v55, v54
	scratch_store_b64 off, v[54:55], off offset:72
	s_wait_loadcnt 0x0
	ds_store_b64 v53, v[51:52]
.LBB24_145:
	s_wait_alu 0xfffe
	s_or_b32 exec_lo, exec_lo, s0
	s_wait_storecnt_dscnt 0x0
	s_barrier_signal -1
	s_barrier_wait -1
	global_inv scope:SCOPE_SE
	s_clause 0x8
	scratch_load_b128 v[54:57], off, off offset:80
	scratch_load_b128 v[58:61], off, off offset:96
	scratch_load_b128 v[62:65], off, off offset:112
	scratch_load_b128 v[66:69], off, off offset:128
	scratch_load_b128 v[70:73], off, off offset:144
	scratch_load_b128 v[74:77], off, off offset:160
	scratch_load_b128 v[78:81], off, off offset:176
	scratch_load_b64 v[110:111], off, off offset:192
	scratch_load_b64 v[112:113], off, off offset:72
	v_mov_b32_e32 v51, 0
	ds_load_b128 v[82:85], v51 offset:288
	ds_load_b128 v[86:89], v51 offset:304
	;; [unrolled: 1-line block ×7, first 2 shown]
	ds_load_b64 v[114:115], v51 offset:400
	s_mov_b32 s0, exec_lo
	s_wait_loadcnt_dscnt 0x807
	v_mul_f32_e32 v52, v82, v55
	v_dual_mul_f32 v55, v83, v55 :: v_dual_mul_f32 v116, v84, v57
	s_wait_loadcnt_dscnt 0x706
	v_mul_f32_e32 v117, v86, v59
	v_mul_f32_e32 v57, v85, v57
	s_wait_loadcnt_dscnt 0x302
	v_mul_f32_e32 v126, v104, v77
	v_fma_f32 v55, v82, v54, -v55
	s_wait_loadcnt_dscnt 0x100
	v_dual_mul_f32 v129, v114, v111 :: v_dual_fmac_f32 v52, v83, v54
	v_mul_f32_e32 v54, v87, v59
	s_delay_alu instid0(VALU_DEP_3) | instskip(SKIP_1) | instid1(VALU_DEP_4)
	v_dual_fmac_f32 v116, v85, v56 :: v_dual_add_f32 v55, 0, v55
	v_fma_f32 v56, v84, v56, -v57
	v_dual_add_f32 v52, 0, v52 :: v_dual_mul_f32 v57, v89, v61
	v_fmac_f32_e32 v117, v87, v58
	v_fma_f32 v54, v86, v58, -v54
	v_dual_mul_f32 v118, v88, v61 :: v_dual_mul_f32 v119, v90, v63
	s_delay_alu instid0(VALU_DEP_4)
	v_add_f32_e32 v52, v52, v116
	v_add_f32_e32 v55, v55, v56
	v_mul_f32_e32 v56, v91, v63
	v_fma_f32 v57, v88, v60, -v57
	v_dual_mul_f32 v122, v96, v69 :: v_dual_mul_f32 v123, v98, v71
	v_add_f32_e32 v52, v52, v117
	v_dual_add_f32 v54, v55, v54 :: v_dual_mul_f32 v55, v93, v65
	v_fma_f32 v56, v90, v62, -v56
	v_dual_mul_f32 v124, v100, v73 :: v_dual_mul_f32 v125, v102, v75
	s_delay_alu instid0(VALU_DEP_3) | instskip(NEXT) | instid1(VALU_DEP_4)
	v_dual_add_f32 v54, v54, v57 :: v_dual_mul_f32 v57, v95, v67
	v_fma_f32 v55, v92, v64, -v55
	v_dual_mul_f32 v127, v106, v79 :: v_dual_mul_f32 v128, v108, v81
	s_delay_alu instid0(VALU_DEP_3) | instskip(SKIP_3) | instid1(VALU_DEP_4)
	v_dual_add_f32 v54, v54, v56 :: v_dual_fmac_f32 v123, v99, v70
	v_dual_fmac_f32 v118, v89, v60 :: v_dual_fmac_f32 v119, v91, v62
	v_dual_mul_f32 v56, v97, v69 :: v_dual_fmac_f32 v125, v103, v74
	v_fma_f32 v57, v94, v66, -v57
	v_dual_add_f32 v54, v54, v55 :: v_dual_fmac_f32 v127, v107, v78
	s_delay_alu instid0(VALU_DEP_4) | instskip(NEXT) | instid1(VALU_DEP_4)
	v_dual_add_f32 v52, v52, v118 :: v_dual_mul_f32 v55, v99, v71
	v_fma_f32 v56, v96, v68, -v56
	s_delay_alu instid0(VALU_DEP_3) | instskip(SKIP_3) | instid1(VALU_DEP_4)
	v_dual_add_f32 v54, v54, v57 :: v_dual_fmac_f32 v129, v115, v110
	v_dual_mul_f32 v120, v92, v65 :: v_dual_mul_f32 v121, v94, v67
	v_mul_f32_e32 v57, v101, v73
	v_fma_f32 v55, v98, v70, -v55
	v_add_f32_e32 v54, v54, v56
	s_delay_alu instid0(VALU_DEP_4) | instskip(SKIP_4) | instid1(VALU_DEP_4)
	v_dual_fmac_f32 v120, v93, v64 :: v_dual_fmac_f32 v121, v95, v66
	v_add_f32_e32 v52, v52, v119
	v_mul_f32_e32 v56, v103, v75
	v_fma_f32 v57, v100, v72, -v57
	v_dual_add_f32 v54, v54, v55 :: v_dual_mul_f32 v55, v105, v77
	v_add_f32_e32 v52, v52, v120
	s_delay_alu instid0(VALU_DEP_4) | instskip(SKIP_1) | instid1(VALU_DEP_4)
	v_fma_f32 v56, v102, v74, -v56
	v_fmac_f32_e32 v122, v97, v68
	v_dual_add_f32 v54, v54, v57 :: v_dual_mul_f32 v57, v107, v79
	s_delay_alu instid0(VALU_DEP_4) | instskip(SKIP_2) | instid1(VALU_DEP_4)
	v_add_f32_e32 v52, v52, v121
	v_fma_f32 v55, v104, v76, -v55
	v_fmac_f32_e32 v124, v101, v72
	v_add_f32_e32 v54, v54, v56
	v_fmac_f32_e32 v126, v105, v76
	v_mul_f32_e32 v56, v109, v81
	v_fma_f32 v57, v106, v78, -v57
	v_fmac_f32_e32 v128, v109, v80
	v_add_f32_e32 v54, v54, v55
	v_dual_mul_f32 v55, v115, v111 :: v_dual_add_f32 v52, v52, v122
	v_fma_f32 v56, v108, v80, -v56
	s_delay_alu instid0(VALU_DEP_3) | instskip(NEXT) | instid1(VALU_DEP_3)
	v_add_f32_e32 v54, v54, v57
	v_fma_f32 v55, v114, v110, -v55
	s_delay_alu instid0(VALU_DEP_4) | instskip(NEXT) | instid1(VALU_DEP_3)
	v_add_f32_e32 v52, v52, v123
	v_add_f32_e32 v54, v54, v56
	s_delay_alu instid0(VALU_DEP_2) | instskip(NEXT) | instid1(VALU_DEP_2)
	v_add_f32_e32 v52, v52, v124
	v_add_f32_e32 v54, v54, v55
	s_delay_alu instid0(VALU_DEP_2) | instskip(SKIP_1) | instid1(VALU_DEP_2)
	v_add_f32_e32 v52, v52, v125
	s_wait_loadcnt 0x0
	v_sub_f32_e32 v54, v112, v54
	s_delay_alu instid0(VALU_DEP_2) | instskip(NEXT) | instid1(VALU_DEP_1)
	v_add_f32_e32 v52, v52, v126
	v_add_f32_e32 v52, v52, v127
	s_delay_alu instid0(VALU_DEP_1) | instskip(NEXT) | instid1(VALU_DEP_1)
	v_add_f32_e32 v52, v52, v128
	v_add_f32_e32 v52, v52, v129
	s_delay_alu instid0(VALU_DEP_1)
	v_sub_f32_e32 v55, v113, v52
	scratch_store_b64 off, v[54:55], off offset:72
	v_cmpx_lt_u32_e32 8, v0
	s_cbranch_execz .LBB24_147
; %bb.146:
	scratch_load_b64 v[54:55], off, off offset:64
	v_mov_b32_e32 v52, v51
	scratch_store_b64 off, v[51:52], off offset:64
	s_wait_loadcnt 0x0
	ds_store_b64 v53, v[54:55]
.LBB24_147:
	s_wait_alu 0xfffe
	s_or_b32 exec_lo, exec_lo, s0
	s_wait_storecnt_dscnt 0x0
	s_barrier_signal -1
	s_barrier_wait -1
	global_inv scope:SCOPE_SE
	s_clause 0x8
	scratch_load_b128 v[54:57], off, off offset:72
	scratch_load_b128 v[58:61], off, off offset:88
	;; [unrolled: 1-line block ×8, first 2 shown]
	scratch_load_b64 v[118:119], off, off offset:64
	ds_load_2addr_b64 v[86:89], v51 offset0:35 offset1:36
	ds_load_2addr_b64 v[90:93], v51 offset0:37 offset1:38
	;; [unrolled: 1-line block ×8, first 2 shown]
	s_mov_b32 s0, exec_lo
	s_wait_loadcnt_dscnt 0x807
	v_dual_mul_f32 v51, v86, v55 :: v_dual_mul_f32 v52, v88, v57
	v_mul_f32_e32 v55, v87, v55
	s_wait_loadcnt_dscnt 0x706
	v_dual_mul_f32 v57, v89, v57 :: v_dual_mul_f32 v120, v90, v59
	s_delay_alu instid0(VALU_DEP_3) | instskip(NEXT) | instid1(VALU_DEP_3)
	v_dual_mul_f32 v121, v92, v61 :: v_dual_fmac_f32 v52, v89, v56
	v_fma_f32 v55, v86, v54, -v55
	v_fmac_f32_e32 v51, v87, v54
	v_mul_f32_e32 v54, v91, v59
	v_fma_f32 v56, v88, v56, -v57
	v_mul_f32_e32 v57, v93, v61
	v_dual_add_f32 v55, 0, v55 :: v_dual_fmac_f32 v120, v91, v58
	s_delay_alu instid0(VALU_DEP_4) | instskip(SKIP_2) | instid1(VALU_DEP_3)
	v_fma_f32 v54, v90, v58, -v54
	s_wait_loadcnt_dscnt 0x605
	v_dual_mul_f32 v122, v94, v63 :: v_dual_mul_f32 v123, v96, v65
	v_add_f32_e32 v55, v55, v56
	v_fmac_f32_e32 v121, v93, v60
	v_fma_f32 v56, v92, v60, -v57
	s_wait_loadcnt_dscnt 0x504
	v_dual_mul_f32 v124, v98, v67 :: v_dual_mul_f32 v125, v100, v69
	v_dual_add_f32 v54, v55, v54 :: v_dual_mul_f32 v55, v97, v65
	v_fmac_f32_e32 v122, v95, v62
	s_wait_loadcnt_dscnt 0x403
	v_dual_mul_f32 v126, v102, v71 :: v_dual_mul_f32 v127, v104, v73
	s_delay_alu instid0(VALU_DEP_3) | instskip(SKIP_3) | instid1(VALU_DEP_4)
	v_dual_add_f32 v54, v54, v56 :: v_dual_add_f32 v51, 0, v51
	v_mul_f32_e32 v56, v99, v67
	v_fma_f32 v55, v96, v64, -v55
	v_dual_fmac_f32 v123, v97, v64 :: v_dual_fmac_f32 v124, v99, v66
	v_add_f32_e32 v51, v51, v52
	v_mul_f32_e32 v52, v95, v63
	v_fma_f32 v56, v98, v66, -v56
	v_dual_fmac_f32 v125, v101, v68 :: v_dual_fmac_f32 v126, v103, v70
	s_wait_loadcnt_dscnt 0x302
	v_dual_mul_f32 v128, v106, v75 :: v_dual_mul_f32 v129, v108, v77
	v_fma_f32 v52, v94, v62, -v52
	s_wait_loadcnt_dscnt 0x201
	v_dual_mul_f32 v130, v110, v79 :: v_dual_mul_f32 v131, v112, v81
	s_wait_loadcnt_dscnt 0x100
	v_dual_mul_f32 v132, v114, v83 :: v_dual_mul_f32 v133, v116, v85
	v_add_f32_e32 v52, v54, v52
	v_mul_f32_e32 v54, v101, v69
	v_dual_fmac_f32 v130, v111, v78 :: v_dual_fmac_f32 v131, v113, v80
	s_delay_alu instid0(VALU_DEP_4) | instskip(NEXT) | instid1(VALU_DEP_4)
	v_dual_fmac_f32 v132, v115, v82 :: v_dual_fmac_f32 v133, v117, v84
	v_dual_add_f32 v52, v52, v55 :: v_dual_add_f32 v51, v51, v120
	v_mul_f32_e32 v55, v103, v71
	v_fma_f32 v54, v100, v68, -v54
	v_fmac_f32_e32 v127, v105, v72
	s_delay_alu instid0(VALU_DEP_4)
	v_add_f32_e32 v52, v52, v56
	v_mul_f32_e32 v56, v105, v73
	v_add_f32_e32 v51, v51, v121
	v_fma_f32 v55, v102, v70, -v55
	v_fmac_f32_e32 v128, v107, v74
	v_add_f32_e32 v52, v52, v54
	v_mul_f32_e32 v54, v107, v75
	v_add_f32_e32 v51, v51, v122
	v_fma_f32 v56, v104, v72, -v56
	s_delay_alu instid0(VALU_DEP_4) | instskip(SKIP_1) | instid1(VALU_DEP_4)
	v_dual_fmac_f32 v129, v109, v76 :: v_dual_add_f32 v52, v52, v55
	v_mul_f32_e32 v55, v109, v77
	v_add_f32_e32 v51, v51, v123
	v_fma_f32 v54, v106, v74, -v54
	s_delay_alu instid0(VALU_DEP_4) | instskip(NEXT) | instid1(VALU_DEP_4)
	v_add_f32_e32 v52, v52, v56
	v_fma_f32 v55, v108, v76, -v55
	s_delay_alu instid0(VALU_DEP_4) | instskip(SKIP_1) | instid1(VALU_DEP_4)
	v_add_f32_e32 v51, v51, v124
	v_mul_f32_e32 v56, v111, v79
	v_add_f32_e32 v52, v52, v54
	v_mul_f32_e32 v54, v113, v81
	s_delay_alu instid0(VALU_DEP_4) | instskip(NEXT) | instid1(VALU_DEP_4)
	v_add_f32_e32 v51, v51, v125
	v_fma_f32 v56, v110, v78, -v56
	s_delay_alu instid0(VALU_DEP_4) | instskip(SKIP_1) | instid1(VALU_DEP_4)
	v_add_f32_e32 v52, v52, v55
	v_mul_f32_e32 v55, v115, v83
	v_add_f32_e32 v51, v51, v126
	v_fma_f32 v54, v112, v80, -v54
	s_delay_alu instid0(VALU_DEP_4) | instskip(NEXT) | instid1(VALU_DEP_3)
	v_add_f32_e32 v52, v52, v56
	v_dual_mul_f32 v56, v117, v85 :: v_dual_add_f32 v51, v51, v127
	v_fma_f32 v55, v114, v82, -v55
	s_delay_alu instid0(VALU_DEP_3) | instskip(NEXT) | instid1(VALU_DEP_3)
	v_add_f32_e32 v52, v52, v54
	v_fma_f32 v54, v116, v84, -v56
	s_delay_alu instid0(VALU_DEP_2) | instskip(NEXT) | instid1(VALU_DEP_1)
	v_dual_add_f32 v51, v51, v128 :: v_dual_add_f32 v52, v52, v55
	v_dual_add_f32 v51, v51, v129 :: v_dual_add_f32 v52, v52, v54
	s_delay_alu instid0(VALU_DEP_1) | instskip(NEXT) | instid1(VALU_DEP_1)
	v_add_f32_e32 v51, v51, v130
	v_add_f32_e32 v51, v51, v131
	s_delay_alu instid0(VALU_DEP_1) | instskip(SKIP_1) | instid1(VALU_DEP_1)
	v_add_f32_e32 v51, v51, v132
	s_wait_loadcnt 0x0
	v_dual_add_f32 v54, v51, v133 :: v_dual_sub_f32 v51, v118, v52
	s_delay_alu instid0(VALU_DEP_1)
	v_sub_f32_e32 v52, v119, v54
	scratch_store_b64 off, v[51:52], off offset:64
	v_cmpx_lt_u32_e32 7, v0
	s_cbranch_execz .LBB24_149
; %bb.148:
	scratch_load_b64 v[51:52], off, off offset:56
	v_mov_b32_e32 v54, 0
	s_delay_alu instid0(VALU_DEP_1)
	v_mov_b32_e32 v55, v54
	scratch_store_b64 off, v[54:55], off offset:56
	s_wait_loadcnt 0x0
	ds_store_b64 v53, v[51:52]
.LBB24_149:
	s_wait_alu 0xfffe
	s_or_b32 exec_lo, exec_lo, s0
	s_wait_storecnt_dscnt 0x0
	s_barrier_signal -1
	s_barrier_wait -1
	global_inv scope:SCOPE_SE
	s_clause 0x9
	scratch_load_b128 v[54:57], off, off offset:64
	scratch_load_b128 v[58:61], off, off offset:80
	;; [unrolled: 1-line block ×8, first 2 shown]
	scratch_load_b64 v[118:119], off, off offset:192
	scratch_load_b64 v[120:121], off, off offset:56
	v_mov_b32_e32 v51, 0
	ds_load_b128 v[86:89], v51 offset:272
	ds_load_b128 v[90:93], v51 offset:288
	;; [unrolled: 1-line block ×8, first 2 shown]
	ds_load_b64 v[122:123], v51 offset:400
	s_mov_b32 s0, exec_lo
	s_wait_loadcnt_dscnt 0x908
	v_mul_f32_e32 v52, v86, v55
	s_wait_loadcnt_dscnt 0x807
	v_dual_mul_f32 v124, v88, v57 :: v_dual_mul_f32 v125, v90, v59
	v_mul_f32_e32 v55, v87, v55
	s_delay_alu instid0(VALU_DEP_3)
	v_dual_mul_f32 v57, v89, v57 :: v_dual_fmac_f32 v52, v87, v54
	s_wait_loadcnt_dscnt 0x302
	v_mul_f32_e32 v136, v112, v81
	v_dual_mul_f32 v126, v92, v61 :: v_dual_mul_f32 v127, v94, v63
	s_wait_loadcnt_dscnt 0x100
	v_mul_f32_e32 v139, v122, v119
	v_fma_f32 v55, v86, v54, -v55
	v_mul_f32_e32 v54, v91, v59
	v_fmac_f32_e32 v124, v89, v56
	v_fma_f32 v56, v88, v56, -v57
	v_dual_add_f32 v52, 0, v52 :: v_dual_mul_f32 v57, v93, v61
	v_add_f32_e32 v55, 0, v55
	v_fmac_f32_e32 v125, v91, v58
	v_fma_f32 v54, v90, v58, -v54
	s_delay_alu instid0(VALU_DEP_4)
	v_add_f32_e32 v52, v52, v124
	v_fma_f32 v57, v92, v60, -v57
	v_add_f32_e32 v55, v55, v56
	v_mul_f32_e32 v56, v95, v63
	v_dual_mul_f32 v130, v100, v69 :: v_dual_mul_f32 v131, v102, v71
	v_add_f32_e32 v52, v52, v125
	s_delay_alu instid0(VALU_DEP_4) | instskip(NEXT) | instid1(VALU_DEP_4)
	v_dual_add_f32 v54, v55, v54 :: v_dual_mul_f32 v55, v97, v65
	v_fma_f32 v56, v94, v62, -v56
	v_dual_mul_f32 v132, v104, v73 :: v_dual_mul_f32 v133, v106, v75
	s_delay_alu instid0(VALU_DEP_3) | instskip(NEXT) | instid1(VALU_DEP_4)
	v_dual_add_f32 v54, v54, v57 :: v_dual_mul_f32 v57, v99, v67
	v_fma_f32 v55, v96, v64, -v55
	v_dual_mul_f32 v134, v108, v77 :: v_dual_mul_f32 v135, v110, v79
	s_delay_alu instid0(VALU_DEP_3) | instskip(SKIP_3) | instid1(VALU_DEP_4)
	v_dual_add_f32 v54, v54, v56 :: v_dual_fmac_f32 v131, v103, v70
	v_dual_fmac_f32 v126, v93, v60 :: v_dual_fmac_f32 v127, v95, v62
	v_dual_mul_f32 v56, v101, v69 :: v_dual_fmac_f32 v133, v107, v74
	v_fma_f32 v57, v98, v66, -v57
	v_dual_add_f32 v54, v54, v55 :: v_dual_fmac_f32 v135, v111, v78
	v_dual_mul_f32 v137, v114, v83 :: v_dual_mul_f32 v138, v116, v85
	v_dual_add_f32 v52, v52, v126 :: v_dual_mul_f32 v55, v103, v71
	v_fma_f32 v56, v100, v68, -v56
	s_delay_alu instid0(VALU_DEP_3) | instskip(SKIP_3) | instid1(VALU_DEP_4)
	v_dual_add_f32 v54, v54, v57 :: v_dual_fmac_f32 v137, v115, v82
	v_dual_mul_f32 v128, v96, v65 :: v_dual_mul_f32 v129, v98, v67
	v_mul_f32_e32 v57, v105, v73
	v_fma_f32 v55, v102, v70, -v55
	v_add_f32_e32 v54, v54, v56
	s_delay_alu instid0(VALU_DEP_4) | instskip(SKIP_4) | instid1(VALU_DEP_4)
	v_dual_fmac_f32 v128, v97, v64 :: v_dual_fmac_f32 v129, v99, v66
	v_add_f32_e32 v52, v52, v127
	v_mul_f32_e32 v56, v107, v75
	v_fma_f32 v57, v104, v72, -v57
	v_dual_add_f32 v54, v54, v55 :: v_dual_mul_f32 v55, v109, v77
	v_add_f32_e32 v52, v52, v128
	s_delay_alu instid0(VALU_DEP_4) | instskip(SKIP_1) | instid1(VALU_DEP_4)
	v_fma_f32 v56, v106, v74, -v56
	v_fmac_f32_e32 v130, v101, v68
	v_dual_add_f32 v54, v54, v57 :: v_dual_mul_f32 v57, v111, v79
	s_delay_alu instid0(VALU_DEP_4) | instskip(SKIP_1) | instid1(VALU_DEP_3)
	v_dual_add_f32 v52, v52, v129 :: v_dual_fmac_f32 v139, v123, v118
	v_fma_f32 v55, v108, v76, -v55
	v_add_f32_e32 v54, v54, v56
	v_fmac_f32_e32 v132, v105, v72
	v_fmac_f32_e32 v134, v109, v76
	v_mul_f32_e32 v56, v113, v81
	v_fma_f32 v57, v110, v78, -v57
	v_add_f32_e32 v54, v54, v55
	v_dual_mul_f32 v55, v115, v83 :: v_dual_add_f32 v52, v52, v130
	v_fmac_f32_e32 v136, v113, v80
	v_fma_f32 v56, v112, v80, -v56
	s_delay_alu instid0(VALU_DEP_4) | instskip(NEXT) | instid1(VALU_DEP_4)
	v_add_f32_e32 v54, v54, v57
	v_dual_mul_f32 v57, v117, v85 :: v_dual_add_f32 v52, v52, v131
	v_fma_f32 v55, v114, v82, -v55
	v_fmac_f32_e32 v138, v117, v84
	s_delay_alu instid0(VALU_DEP_4) | instskip(SKIP_3) | instid1(VALU_DEP_4)
	v_add_f32_e32 v54, v54, v56
	v_mul_f32_e32 v56, v123, v119
	v_add_f32_e32 v52, v52, v132
	v_fma_f32 v57, v116, v84, -v57
	v_add_f32_e32 v54, v54, v55
	s_delay_alu instid0(VALU_DEP_4) | instskip(NEXT) | instid1(VALU_DEP_4)
	v_fma_f32 v55, v122, v118, -v56
	v_add_f32_e32 v52, v52, v133
	s_delay_alu instid0(VALU_DEP_3) | instskip(NEXT) | instid1(VALU_DEP_2)
	v_add_f32_e32 v54, v54, v57
	v_add_f32_e32 v52, v52, v134
	s_delay_alu instid0(VALU_DEP_2) | instskip(NEXT) | instid1(VALU_DEP_2)
	v_add_f32_e32 v54, v54, v55
	v_add_f32_e32 v52, v52, v135
	s_wait_loadcnt 0x0
	s_delay_alu instid0(VALU_DEP_2) | instskip(NEXT) | instid1(VALU_DEP_2)
	v_sub_f32_e32 v54, v120, v54
	v_add_f32_e32 v52, v52, v136
	s_delay_alu instid0(VALU_DEP_1) | instskip(NEXT) | instid1(VALU_DEP_1)
	v_add_f32_e32 v52, v52, v137
	v_add_f32_e32 v52, v52, v138
	s_delay_alu instid0(VALU_DEP_1) | instskip(NEXT) | instid1(VALU_DEP_1)
	v_add_f32_e32 v52, v52, v139
	v_sub_f32_e32 v55, v121, v52
	scratch_store_b64 off, v[54:55], off offset:56
	v_cmpx_lt_u32_e32 6, v0
	s_cbranch_execz .LBB24_151
; %bb.150:
	scratch_load_b64 v[54:55], off, off offset:48
	v_mov_b32_e32 v52, v51
	scratch_store_b64 off, v[51:52], off offset:48
	s_wait_loadcnt 0x0
	ds_store_b64 v53, v[54:55]
.LBB24_151:
	s_wait_alu 0xfffe
	s_or_b32 exec_lo, exec_lo, s0
	s_wait_storecnt_dscnt 0x0
	s_barrier_signal -1
	s_barrier_wait -1
	global_inv scope:SCOPE_SE
	s_clause 0x9
	scratch_load_b128 v[54:57], off, off offset:56
	scratch_load_b128 v[58:61], off, off offset:72
	;; [unrolled: 1-line block ×9, first 2 shown]
	scratch_load_b64 v[126:127], off, off offset:48
	ds_load_2addr_b64 v[90:93], v51 offset0:33 offset1:34
	ds_load_2addr_b64 v[94:97], v51 offset0:35 offset1:36
	;; [unrolled: 1-line block ×9, first 2 shown]
	s_mov_b32 s0, exec_lo
	s_wait_loadcnt_dscnt 0x908
	v_dual_mul_f32 v51, v90, v55 :: v_dual_mul_f32 v52, v92, v57
	v_mul_f32_e32 v55, v91, v55
	s_wait_loadcnt_dscnt 0x807
	v_dual_mul_f32 v57, v93, v57 :: v_dual_mul_f32 v128, v94, v59
	s_delay_alu instid0(VALU_DEP_3) | instskip(NEXT) | instid1(VALU_DEP_3)
	v_dual_mul_f32 v129, v96, v61 :: v_dual_fmac_f32 v52, v93, v56
	v_fma_f32 v55, v90, v54, -v55
	v_fmac_f32_e32 v51, v91, v54
	v_mul_f32_e32 v54, v95, v59
	v_fma_f32 v56, v92, v56, -v57
	v_mul_f32_e32 v57, v97, v61
	v_dual_add_f32 v55, 0, v55 :: v_dual_fmac_f32 v128, v95, v58
	s_delay_alu instid0(VALU_DEP_4) | instskip(SKIP_2) | instid1(VALU_DEP_3)
	v_fma_f32 v54, v94, v58, -v54
	s_wait_loadcnt_dscnt 0x706
	v_dual_mul_f32 v130, v98, v63 :: v_dual_mul_f32 v131, v100, v65
	v_add_f32_e32 v55, v55, v56
	v_fmac_f32_e32 v129, v97, v60
	v_fma_f32 v56, v96, v60, -v57
	s_wait_loadcnt_dscnt 0x605
	v_dual_mul_f32 v132, v102, v67 :: v_dual_mul_f32 v133, v104, v69
	v_dual_add_f32 v54, v55, v54 :: v_dual_mul_f32 v55, v101, v65
	v_fmac_f32_e32 v130, v99, v62
	s_wait_loadcnt_dscnt 0x504
	v_dual_mul_f32 v134, v106, v71 :: v_dual_mul_f32 v135, v108, v73
	s_delay_alu instid0(VALU_DEP_3) | instskip(SKIP_3) | instid1(VALU_DEP_4)
	v_dual_add_f32 v54, v54, v56 :: v_dual_add_f32 v51, 0, v51
	v_mul_f32_e32 v56, v103, v67
	v_fma_f32 v55, v100, v64, -v55
	v_dual_fmac_f32 v131, v101, v64 :: v_dual_fmac_f32 v132, v103, v66
	v_add_f32_e32 v51, v51, v52
	v_mul_f32_e32 v52, v99, v63
	v_fma_f32 v56, v102, v66, -v56
	v_dual_fmac_f32 v133, v105, v68 :: v_dual_fmac_f32 v134, v107, v70
	s_wait_loadcnt_dscnt 0x403
	v_dual_mul_f32 v136, v110, v75 :: v_dual_mul_f32 v137, v112, v77
	v_fma_f32 v52, v98, v62, -v52
	s_wait_loadcnt_dscnt 0x302
	v_dual_mul_f32 v138, v114, v79 :: v_dual_mul_f32 v139, v116, v81
	s_wait_loadcnt_dscnt 0x201
	v_dual_mul_f32 v140, v118, v83 :: v_dual_mul_f32 v141, v120, v85
	v_add_f32_e32 v52, v54, v52
	v_mul_f32_e32 v54, v105, v69
	v_dual_fmac_f32 v138, v115, v78 :: v_dual_fmac_f32 v139, v117, v80
	s_delay_alu instid0(VALU_DEP_4) | instskip(NEXT) | instid1(VALU_DEP_4)
	v_dual_fmac_f32 v140, v119, v82 :: v_dual_fmac_f32 v141, v121, v84
	v_dual_add_f32 v52, v52, v55 :: v_dual_add_f32 v51, v51, v128
	v_mul_f32_e32 v55, v107, v71
	v_fma_f32 v54, v104, v68, -v54
	v_fmac_f32_e32 v135, v109, v72
	s_delay_alu instid0(VALU_DEP_4)
	v_add_f32_e32 v52, v52, v56
	v_mul_f32_e32 v56, v109, v73
	v_add_f32_e32 v51, v51, v129
	v_fma_f32 v55, v106, v70, -v55
	v_fmac_f32_e32 v136, v111, v74
	v_add_f32_e32 v52, v52, v54
	v_mul_f32_e32 v54, v111, v75
	v_add_f32_e32 v51, v51, v130
	v_fma_f32 v56, v108, v72, -v56
	s_delay_alu instid0(VALU_DEP_4) | instskip(SKIP_1) | instid1(VALU_DEP_4)
	v_dual_fmac_f32 v137, v113, v76 :: v_dual_add_f32 v52, v52, v55
	v_mul_f32_e32 v55, v113, v77
	v_add_f32_e32 v51, v51, v131
	v_fma_f32 v54, v110, v74, -v54
	s_wait_loadcnt_dscnt 0x100
	v_dual_mul_f32 v142, v122, v87 :: v_dual_mul_f32 v143, v124, v89
	v_add_f32_e32 v52, v52, v56
	v_add_f32_e32 v51, v51, v132
	v_fma_f32 v55, v112, v76, -v55
	v_mul_f32_e32 v56, v115, v79
	v_dual_fmac_f32 v142, v123, v86 :: v_dual_fmac_f32 v143, v125, v88
	s_delay_alu instid0(VALU_DEP_4) | instskip(SKIP_1) | instid1(VALU_DEP_4)
	v_dual_add_f32 v52, v52, v54 :: v_dual_add_f32 v51, v51, v133
	v_mul_f32_e32 v54, v117, v81
	v_fma_f32 v56, v114, v78, -v56
	s_delay_alu instid0(VALU_DEP_3) | instskip(SKIP_1) | instid1(VALU_DEP_4)
	v_dual_add_f32 v52, v52, v55 :: v_dual_add_f32 v51, v51, v134
	v_mul_f32_e32 v55, v119, v83
	v_fma_f32 v54, v116, v80, -v54
	s_delay_alu instid0(VALU_DEP_3) | instskip(SKIP_1) | instid1(VALU_DEP_4)
	;; [unrolled: 4-line block ×4, first 2 shown]
	v_dual_add_f32 v52, v52, v55 :: v_dual_add_f32 v51, v51, v137
	v_mul_f32_e32 v55, v125, v89
	v_fma_f32 v54, v122, v86, -v54
	s_delay_alu instid0(VALU_DEP_3) | instskip(NEXT) | instid1(VALU_DEP_3)
	v_dual_add_f32 v52, v52, v56 :: v_dual_add_f32 v51, v51, v138
	v_fma_f32 v55, v124, v88, -v55
	s_delay_alu instid0(VALU_DEP_2) | instskip(NEXT) | instid1(VALU_DEP_1)
	v_dual_add_f32 v52, v52, v54 :: v_dual_add_f32 v51, v51, v139
	v_dual_add_f32 v52, v52, v55 :: v_dual_add_f32 v51, v51, v140
	s_delay_alu instid0(VALU_DEP_1) | instskip(NEXT) | instid1(VALU_DEP_1)
	v_add_f32_e32 v51, v51, v141
	v_add_f32_e32 v51, v51, v142
	s_wait_loadcnt 0x0
	s_delay_alu instid0(VALU_DEP_1) | instskip(NEXT) | instid1(VALU_DEP_1)
	v_dual_add_f32 v54, v51, v143 :: v_dual_sub_f32 v51, v126, v52
	v_sub_f32_e32 v52, v127, v54
	scratch_store_b64 off, v[51:52], off offset:48
	v_cmpx_lt_u32_e32 5, v0
	s_cbranch_execz .LBB24_153
; %bb.152:
	scratch_load_b64 v[51:52], off, off offset:40
	v_mov_b32_e32 v54, 0
	s_delay_alu instid0(VALU_DEP_1)
	v_mov_b32_e32 v55, v54
	scratch_store_b64 off, v[54:55], off offset:40
	s_wait_loadcnt 0x0
	ds_store_b64 v53, v[51:52]
.LBB24_153:
	s_wait_alu 0xfffe
	s_or_b32 exec_lo, exec_lo, s0
	s_wait_storecnt_dscnt 0x0
	s_barrier_signal -1
	s_barrier_wait -1
	global_inv scope:SCOPE_SE
	s_clause 0xa
	scratch_load_b128 v[54:57], off, off offset:48
	scratch_load_b128 v[58:61], off, off offset:64
	;; [unrolled: 1-line block ×9, first 2 shown]
	scratch_load_b64 v[126:127], off, off offset:192
	scratch_load_b64 v[128:129], off, off offset:40
	v_mov_b32_e32 v51, 0
	ds_load_b128 v[90:93], v51 offset:256
	ds_load_b128 v[94:97], v51 offset:272
	;; [unrolled: 1-line block ×9, first 2 shown]
	ds_load_b64 v[130:131], v51 offset:400
	s_mov_b32 s0, exec_lo
	s_wait_loadcnt_dscnt 0xa09
	v_mul_f32_e32 v52, v90, v55
	s_wait_loadcnt_dscnt 0x908
	v_dual_mul_f32 v132, v92, v57 :: v_dual_mul_f32 v133, v94, v59
	v_mul_f32_e32 v55, v91, v55
	s_delay_alu instid0(VALU_DEP_3)
	v_dual_mul_f32 v57, v93, v57 :: v_dual_fmac_f32 v52, v91, v54
	s_wait_loadcnt_dscnt 0x807
	v_dual_mul_f32 v134, v96, v61 :: v_dual_mul_f32 v135, v98, v63
	s_wait_loadcnt_dscnt 0x100
	v_dual_mul_f32 v146, v120, v85 :: v_dual_mul_f32 v149, v130, v127
	v_fma_f32 v55, v90, v54, -v55
	v_mul_f32_e32 v54, v95, v59
	v_fmac_f32_e32 v132, v93, v56
	v_fma_f32 v56, v92, v56, -v57
	v_dual_add_f32 v52, 0, v52 :: v_dual_mul_f32 v57, v97, v61
	v_add_f32_e32 v55, 0, v55
	v_fmac_f32_e32 v133, v95, v58
	v_fma_f32 v54, v94, v58, -v54
	s_delay_alu instid0(VALU_DEP_4)
	v_add_f32_e32 v52, v52, v132
	v_fma_f32 v57, v96, v60, -v57
	v_add_f32_e32 v55, v55, v56
	v_mul_f32_e32 v56, v99, v63
	v_dual_mul_f32 v138, v104, v69 :: v_dual_mul_f32 v139, v106, v71
	v_add_f32_e32 v52, v52, v133
	s_delay_alu instid0(VALU_DEP_4) | instskip(NEXT) | instid1(VALU_DEP_4)
	v_dual_add_f32 v54, v55, v54 :: v_dual_mul_f32 v55, v101, v65
	v_fma_f32 v56, v98, v62, -v56
	v_dual_mul_f32 v140, v108, v73 :: v_dual_mul_f32 v141, v110, v75
	s_delay_alu instid0(VALU_DEP_3) | instskip(NEXT) | instid1(VALU_DEP_4)
	v_dual_add_f32 v54, v54, v57 :: v_dual_mul_f32 v57, v103, v67
	v_fma_f32 v55, v100, v64, -v55
	v_dual_mul_f32 v142, v112, v77 :: v_dual_mul_f32 v143, v114, v79
	s_delay_alu instid0(VALU_DEP_3) | instskip(SKIP_3) | instid1(VALU_DEP_4)
	v_dual_add_f32 v54, v54, v56 :: v_dual_fmac_f32 v139, v107, v70
	v_dual_fmac_f32 v134, v97, v60 :: v_dual_fmac_f32 v135, v99, v62
	v_dual_mul_f32 v56, v105, v69 :: v_dual_fmac_f32 v141, v111, v74
	v_fma_f32 v57, v102, v66, -v57
	v_dual_add_f32 v54, v54, v55 :: v_dual_fmac_f32 v143, v115, v78
	v_dual_mul_f32 v144, v116, v81 :: v_dual_mul_f32 v145, v118, v83
	v_dual_add_f32 v52, v52, v134 :: v_dual_mul_f32 v55, v107, v71
	v_fma_f32 v56, v104, v68, -v56
	s_delay_alu instid0(VALU_DEP_3) | instskip(SKIP_1) | instid1(VALU_DEP_4)
	v_dual_add_f32 v54, v54, v57 :: v_dual_fmac_f32 v145, v119, v82
	v_mul_f32_e32 v57, v109, v73
	v_fma_f32 v55, v106, v70, -v55
	v_dual_mul_f32 v136, v100, v65 :: v_dual_mul_f32 v137, v102, v67
	s_delay_alu instid0(VALU_DEP_4) | instskip(SKIP_2) | instid1(VALU_DEP_4)
	v_add_f32_e32 v54, v54, v56
	v_mul_f32_e32 v56, v111, v75
	v_fma_f32 v57, v108, v72, -v57
	v_dual_fmac_f32 v136, v101, v64 :: v_dual_fmac_f32 v137, v103, v66
	s_delay_alu instid0(VALU_DEP_4) | instskip(SKIP_2) | instid1(VALU_DEP_3)
	v_dual_add_f32 v54, v54, v55 :: v_dual_fmac_f32 v149, v131, v126
	v_dual_add_f32 v52, v52, v135 :: v_dual_mul_f32 v55, v113, v77
	v_fma_f32 v56, v110, v74, -v56
	v_dual_add_f32 v54, v54, v57 :: v_dual_mul_f32 v57, v115, v79
	s_delay_alu instid0(VALU_DEP_3) | instskip(NEXT) | instid1(VALU_DEP_4)
	v_add_f32_e32 v52, v52, v136
	v_fma_f32 v55, v112, v76, -v55
	v_dual_mul_f32 v147, v122, v87 :: v_dual_mul_f32 v148, v124, v89
	s_delay_alu instid0(VALU_DEP_4)
	v_add_f32_e32 v54, v54, v56
	v_mul_f32_e32 v56, v117, v81
	v_fma_f32 v57, v114, v78, -v57
	v_fmac_f32_e32 v138, v105, v68
	v_dual_add_f32 v52, v52, v137 :: v_dual_fmac_f32 v147, v123, v86
	v_add_f32_e32 v54, v54, v55
	v_mul_f32_e32 v55, v119, v83
	v_fma_f32 v56, v116, v80, -v56
	s_delay_alu instid0(VALU_DEP_4)
	v_add_f32_e32 v52, v52, v138
	v_fmac_f32_e32 v140, v109, v72
	v_add_f32_e32 v54, v54, v57
	v_mul_f32_e32 v57, v121, v85
	v_fma_f32 v55, v118, v82, -v55
	v_fmac_f32_e32 v142, v113, v76
	v_fmac_f32_e32 v144, v117, v80
	v_add_f32_e32 v54, v54, v56
	v_fma_f32 v57, v120, v84, -v57
	v_mul_f32_e32 v56, v123, v87
	v_fmac_f32_e32 v146, v121, v84
	v_fmac_f32_e32 v148, v125, v88
	v_dual_add_f32 v54, v54, v55 :: v_dual_mul_f32 v55, v125, v89
	v_add_f32_e32 v52, v52, v139
	v_fma_f32 v56, v122, v86, -v56
	s_delay_alu instid0(VALU_DEP_3) | instskip(NEXT) | instid1(VALU_DEP_3)
	v_dual_add_f32 v54, v54, v57 :: v_dual_mul_f32 v57, v131, v127
	v_add_f32_e32 v52, v52, v140
	v_fma_f32 v55, v124, v88, -v55
	s_delay_alu instid0(VALU_DEP_3) | instskip(NEXT) | instid1(VALU_DEP_4)
	v_add_f32_e32 v54, v54, v56
	v_fma_f32 v56, v130, v126, -v57
	s_delay_alu instid0(VALU_DEP_4) | instskip(NEXT) | instid1(VALU_DEP_3)
	v_add_f32_e32 v52, v52, v141
	v_add_f32_e32 v54, v54, v55
	s_delay_alu instid0(VALU_DEP_2) | instskip(NEXT) | instid1(VALU_DEP_2)
	v_add_f32_e32 v52, v52, v142
	v_add_f32_e32 v54, v54, v56
	s_delay_alu instid0(VALU_DEP_2) | instskip(SKIP_1) | instid1(VALU_DEP_2)
	v_add_f32_e32 v52, v52, v143
	s_wait_loadcnt 0x0
	v_sub_f32_e32 v54, v128, v54
	s_delay_alu instid0(VALU_DEP_2) | instskip(NEXT) | instid1(VALU_DEP_1)
	v_add_f32_e32 v52, v52, v144
	v_add_f32_e32 v52, v52, v145
	s_delay_alu instid0(VALU_DEP_1) | instskip(NEXT) | instid1(VALU_DEP_1)
	v_add_f32_e32 v52, v52, v146
	v_add_f32_e32 v52, v52, v147
	s_delay_alu instid0(VALU_DEP_1) | instskip(NEXT) | instid1(VALU_DEP_1)
	v_add_f32_e32 v52, v52, v148
	v_add_f32_e32 v52, v52, v149
	s_delay_alu instid0(VALU_DEP_1)
	v_sub_f32_e32 v55, v129, v52
	scratch_store_b64 off, v[54:55], off offset:40
	v_cmpx_lt_u32_e32 4, v0
	s_cbranch_execz .LBB24_155
; %bb.154:
	scratch_load_b64 v[54:55], off, off offset:32
	v_mov_b32_e32 v52, v51
	scratch_store_b64 off, v[51:52], off offset:32
	s_wait_loadcnt 0x0
	ds_store_b64 v53, v[54:55]
.LBB24_155:
	s_wait_alu 0xfffe
	s_or_b32 exec_lo, exec_lo, s0
	s_wait_storecnt_dscnt 0x0
	s_barrier_signal -1
	s_barrier_wait -1
	global_inv scope:SCOPE_SE
	s_clause 0xa
	scratch_load_b128 v[54:57], off, off offset:40
	scratch_load_b128 v[58:61], off, off offset:56
	;; [unrolled: 1-line block ×10, first 2 shown]
	scratch_load_b64 v[134:135], off, off offset:32
	ds_load_2addr_b64 v[94:97], v51 offset0:31 offset1:32
	ds_load_2addr_b64 v[98:101], v51 offset0:33 offset1:34
	;; [unrolled: 1-line block ×10, first 2 shown]
	s_mov_b32 s0, exec_lo
	s_wait_loadcnt_dscnt 0xa09
	v_dual_mul_f32 v51, v94, v55 :: v_dual_mul_f32 v52, v96, v57
	v_mul_f32_e32 v55, v95, v55
	s_wait_loadcnt_dscnt 0x908
	v_dual_mul_f32 v57, v97, v57 :: v_dual_mul_f32 v136, v98, v59
	s_delay_alu instid0(VALU_DEP_3) | instskip(NEXT) | instid1(VALU_DEP_3)
	v_dual_mul_f32 v137, v100, v61 :: v_dual_fmac_f32 v52, v97, v56
	v_fma_f32 v55, v94, v54, -v55
	v_fmac_f32_e32 v51, v95, v54
	v_mul_f32_e32 v54, v99, v59
	v_fma_f32 v56, v96, v56, -v57
	v_mul_f32_e32 v57, v101, v61
	v_dual_add_f32 v55, 0, v55 :: v_dual_fmac_f32 v136, v99, v58
	s_delay_alu instid0(VALU_DEP_4) | instskip(SKIP_2) | instid1(VALU_DEP_3)
	v_fma_f32 v54, v98, v58, -v54
	s_wait_loadcnt_dscnt 0x807
	v_dual_mul_f32 v138, v102, v63 :: v_dual_mul_f32 v139, v104, v65
	v_add_f32_e32 v55, v55, v56
	v_fmac_f32_e32 v137, v101, v60
	v_fma_f32 v56, v100, v60, -v57
	s_wait_loadcnt_dscnt 0x706
	v_dual_mul_f32 v140, v106, v67 :: v_dual_mul_f32 v141, v108, v69
	v_dual_add_f32 v54, v55, v54 :: v_dual_mul_f32 v55, v105, v65
	v_fmac_f32_e32 v138, v103, v62
	s_wait_loadcnt_dscnt 0x605
	v_dual_mul_f32 v142, v110, v71 :: v_dual_mul_f32 v143, v112, v73
	s_delay_alu instid0(VALU_DEP_3) | instskip(SKIP_3) | instid1(VALU_DEP_4)
	v_dual_add_f32 v54, v54, v56 :: v_dual_add_f32 v51, 0, v51
	v_mul_f32_e32 v56, v107, v67
	v_fma_f32 v55, v104, v64, -v55
	v_dual_fmac_f32 v139, v105, v64 :: v_dual_fmac_f32 v140, v107, v66
	v_add_f32_e32 v51, v51, v52
	v_mul_f32_e32 v52, v103, v63
	v_fma_f32 v56, v106, v66, -v56
	v_dual_fmac_f32 v141, v109, v68 :: v_dual_fmac_f32 v142, v111, v70
	s_wait_loadcnt_dscnt 0x504
	v_dual_mul_f32 v144, v114, v75 :: v_dual_mul_f32 v145, v116, v77
	v_fma_f32 v52, v102, v62, -v52
	s_wait_loadcnt_dscnt 0x403
	v_dual_mul_f32 v146, v118, v79 :: v_dual_mul_f32 v147, v120, v81
	s_wait_loadcnt_dscnt 0x302
	v_dual_mul_f32 v148, v122, v83 :: v_dual_mul_f32 v149, v124, v85
	v_add_f32_e32 v52, v54, v52
	v_mul_f32_e32 v54, v109, v69
	v_dual_fmac_f32 v146, v119, v78 :: v_dual_fmac_f32 v147, v121, v80
	s_delay_alu instid0(VALU_DEP_4) | instskip(NEXT) | instid1(VALU_DEP_4)
	v_dual_fmac_f32 v148, v123, v82 :: v_dual_fmac_f32 v149, v125, v84
	v_dual_add_f32 v52, v52, v55 :: v_dual_add_f32 v51, v51, v136
	v_mul_f32_e32 v55, v111, v71
	v_fma_f32 v54, v108, v68, -v54
	v_fmac_f32_e32 v143, v113, v72
	s_delay_alu instid0(VALU_DEP_4)
	v_add_f32_e32 v52, v52, v56
	v_mul_f32_e32 v56, v113, v73
	v_add_f32_e32 v51, v51, v137
	v_fma_f32 v55, v110, v70, -v55
	v_fmac_f32_e32 v144, v115, v74
	v_add_f32_e32 v52, v52, v54
	v_mul_f32_e32 v54, v115, v75
	v_add_f32_e32 v51, v51, v138
	v_fma_f32 v56, v112, v72, -v56
	s_delay_alu instid0(VALU_DEP_4) | instskip(SKIP_1) | instid1(VALU_DEP_4)
	v_dual_fmac_f32 v145, v117, v76 :: v_dual_add_f32 v52, v52, v55
	v_mul_f32_e32 v55, v117, v77
	v_add_f32_e32 v51, v51, v139
	v_fma_f32 v54, v114, v74, -v54
	s_wait_loadcnt_dscnt 0x201
	v_dual_mul_f32 v150, v126, v87 :: v_dual_mul_f32 v151, v128, v89
	v_add_f32_e32 v52, v52, v56
	v_add_f32_e32 v51, v51, v140
	v_fma_f32 v55, v116, v76, -v55
	v_mul_f32_e32 v56, v119, v79
	s_wait_loadcnt_dscnt 0x100
	v_dual_mul_f32 v152, v130, v91 :: v_dual_mul_f32 v153, v132, v93
	v_dual_add_f32 v52, v52, v54 :: v_dual_add_f32 v51, v51, v141
	v_mul_f32_e32 v54, v121, v81
	v_fma_f32 v56, v118, v78, -v56
	v_dual_fmac_f32 v150, v127, v86 :: v_dual_fmac_f32 v151, v129, v88
	s_delay_alu instid0(VALU_DEP_4) | instskip(SKIP_3) | instid1(VALU_DEP_4)
	v_dual_add_f32 v52, v52, v55 :: v_dual_add_f32 v51, v51, v142
	v_mul_f32_e32 v55, v123, v83
	v_fma_f32 v54, v120, v80, -v54
	v_fmac_f32_e32 v153, v133, v92
	v_dual_add_f32 v52, v52, v56 :: v_dual_add_f32 v51, v51, v143
	v_mul_f32_e32 v56, v125, v85
	v_fma_f32 v55, v122, v82, -v55
	s_delay_alu instid0(VALU_DEP_3) | instskip(SKIP_1) | instid1(VALU_DEP_4)
	v_dual_add_f32 v52, v52, v54 :: v_dual_add_f32 v51, v51, v144
	v_mul_f32_e32 v54, v127, v87
	v_fma_f32 v56, v124, v84, -v56
	s_delay_alu instid0(VALU_DEP_3) | instskip(SKIP_1) | instid1(VALU_DEP_4)
	;; [unrolled: 4-line block ×4, first 2 shown]
	v_dual_add_f32 v52, v52, v54 :: v_dual_add_f32 v51, v51, v147
	v_mul_f32_e32 v54, v133, v93
	v_fma_f32 v56, v130, v90, -v56
	s_delay_alu instid0(VALU_DEP_3) | instskip(NEXT) | instid1(VALU_DEP_3)
	v_dual_add_f32 v52, v52, v55 :: v_dual_add_f32 v51, v51, v148
	v_fma_f32 v54, v132, v92, -v54
	s_delay_alu instid0(VALU_DEP_2) | instskip(NEXT) | instid1(VALU_DEP_1)
	v_dual_add_f32 v52, v52, v56 :: v_dual_add_f32 v51, v51, v149
	v_add_f32_e32 v52, v52, v54
	s_delay_alu instid0(VALU_DEP_2) | instskip(SKIP_1) | instid1(VALU_DEP_2)
	v_add_f32_e32 v51, v51, v150
	v_fmac_f32_e32 v152, v131, v90
	v_add_f32_e32 v51, v51, v151
	s_delay_alu instid0(VALU_DEP_1) | instskip(SKIP_1) | instid1(VALU_DEP_1)
	v_add_f32_e32 v51, v51, v152
	s_wait_loadcnt 0x0
	v_dual_add_f32 v54, v51, v153 :: v_dual_sub_f32 v51, v134, v52
	s_delay_alu instid0(VALU_DEP_1)
	v_sub_f32_e32 v52, v135, v54
	scratch_store_b64 off, v[51:52], off offset:32
	v_cmpx_lt_u32_e32 3, v0
	s_cbranch_execz .LBB24_157
; %bb.156:
	scratch_load_b64 v[51:52], off, off offset:24
	v_mov_b32_e32 v54, 0
	s_delay_alu instid0(VALU_DEP_1)
	v_mov_b32_e32 v55, v54
	scratch_store_b64 off, v[54:55], off offset:24
	s_wait_loadcnt 0x0
	ds_store_b64 v53, v[51:52]
.LBB24_157:
	s_wait_alu 0xfffe
	s_or_b32 exec_lo, exec_lo, s0
	s_wait_storecnt_dscnt 0x0
	s_barrier_signal -1
	s_barrier_wait -1
	global_inv scope:SCOPE_SE
	s_clause 0xb
	scratch_load_b128 v[54:57], off, off offset:32
	scratch_load_b128 v[58:61], off, off offset:48
	;; [unrolled: 1-line block ×10, first 2 shown]
	scratch_load_b64 v[134:135], off, off offset:192
	scratch_load_b64 v[136:137], off, off offset:24
	v_mov_b32_e32 v51, 0
	ds_load_b128 v[94:97], v51 offset:240
	ds_load_b128 v[98:101], v51 offset:256
	;; [unrolled: 1-line block ×10, first 2 shown]
	ds_load_b64 v[138:139], v51 offset:400
	s_mov_b32 s0, exec_lo
	s_wait_loadcnt_dscnt 0xb0a
	v_mul_f32_e32 v52, v94, v55
	s_wait_loadcnt_dscnt 0xa09
	v_dual_mul_f32 v140, v96, v57 :: v_dual_mul_f32 v141, v98, v59
	v_mul_f32_e32 v57, v97, v57
	v_dual_mul_f32 v55, v95, v55 :: v_dual_mul_f32 v142, v100, v61
	s_wait_loadcnt_dscnt 0x908
	v_dual_mul_f32 v143, v102, v63 :: v_dual_fmac_f32 v52, v95, v54
	s_wait_loadcnt_dscnt 0x302
	v_mul_f32_e32 v156, v128, v89
	v_fma_f32 v55, v94, v54, -v55
	s_wait_loadcnt_dscnt 0x100
	v_mul_f32_e32 v159, v138, v135
	v_mul_f32_e32 v54, v99, v59
	v_fmac_f32_e32 v140, v97, v56
	v_fma_f32 v56, v96, v56, -v57
	v_dual_add_f32 v55, 0, v55 :: v_dual_add_f32 v52, 0, v52
	v_mul_f32_e32 v57, v101, v61
	v_fmac_f32_e32 v141, v99, v58
	v_fma_f32 v54, v98, v58, -v54
	v_dual_mul_f32 v146, v108, v69 :: v_dual_mul_f32 v147, v110, v71
	v_add_f32_e32 v52, v52, v140
	v_add_f32_e32 v55, v55, v56
	v_mul_f32_e32 v56, v103, v63
	v_fma_f32 v57, v100, v60, -v57
	v_dual_mul_f32 v148, v112, v73 :: v_dual_mul_f32 v149, v114, v75
	v_add_f32_e32 v52, v52, v141
	v_dual_add_f32 v54, v55, v54 :: v_dual_mul_f32 v55, v105, v65
	v_fma_f32 v56, v102, v62, -v56
	v_dual_mul_f32 v150, v116, v77 :: v_dual_mul_f32 v151, v118, v79
	s_delay_alu instid0(VALU_DEP_3) | instskip(NEXT) | instid1(VALU_DEP_4)
	v_dual_add_f32 v54, v54, v57 :: v_dual_mul_f32 v57, v107, v67
	v_fma_f32 v55, v104, v64, -v55
	v_dual_fmac_f32 v142, v101, v60 :: v_dual_fmac_f32 v143, v103, v62
	s_delay_alu instid0(VALU_DEP_3) | instskip(SKIP_2) | instid1(VALU_DEP_3)
	v_dual_add_f32 v54, v54, v56 :: v_dual_fmac_f32 v147, v111, v70
	v_dual_mul_f32 v56, v109, v69 :: v_dual_fmac_f32 v149, v115, v74
	v_fma_f32 v57, v106, v66, -v57
	v_dual_add_f32 v54, v54, v55 :: v_dual_fmac_f32 v151, v119, v78
	v_dual_mul_f32 v152, v120, v81 :: v_dual_mul_f32 v153, v122, v83
	v_dual_add_f32 v52, v52, v142 :: v_dual_mul_f32 v55, v111, v71
	v_fma_f32 v56, v108, v68, -v56
	s_delay_alu instid0(VALU_DEP_3) | instskip(SKIP_1) | instid1(VALU_DEP_4)
	v_dual_add_f32 v54, v54, v57 :: v_dual_fmac_f32 v153, v123, v82
	v_mul_f32_e32 v57, v113, v73
	v_fma_f32 v55, v110, v70, -v55
	v_dual_mul_f32 v144, v104, v65 :: v_dual_mul_f32 v145, v106, v67
	s_delay_alu instid0(VALU_DEP_4) | instskip(SKIP_3) | instid1(VALU_DEP_3)
	v_add_f32_e32 v54, v54, v56
	v_dual_mul_f32 v157, v130, v91 :: v_dual_mul_f32 v158, v132, v93
	v_mul_f32_e32 v56, v115, v75
	v_fma_f32 v57, v112, v72, -v57
	v_dual_add_f32 v54, v54, v55 :: v_dual_fmac_f32 v157, v131, v90
	v_dual_fmac_f32 v144, v105, v64 :: v_dual_fmac_f32 v145, v107, v66
	v_dual_add_f32 v52, v52, v143 :: v_dual_mul_f32 v55, v117, v77
	v_fma_f32 v56, v114, v74, -v56
	s_delay_alu instid0(VALU_DEP_4) | instskip(NEXT) | instid1(VALU_DEP_3)
	v_dual_add_f32 v54, v54, v57 :: v_dual_mul_f32 v57, v119, v79
	v_add_f32_e32 v52, v52, v144
	s_delay_alu instid0(VALU_DEP_4) | instskip(SKIP_1) | instid1(VALU_DEP_4)
	v_fma_f32 v55, v116, v76, -v55
	v_dual_mul_f32 v154, v124, v85 :: v_dual_mul_f32 v155, v126, v87
	v_add_f32_e32 v54, v54, v56
	v_mul_f32_e32 v56, v121, v81
	v_fma_f32 v57, v118, v78, -v57
	v_fmac_f32_e32 v146, v109, v68
	v_dual_add_f32 v52, v52, v145 :: v_dual_fmac_f32 v155, v127, v86
	v_add_f32_e32 v54, v54, v55
	v_mul_f32_e32 v55, v123, v83
	v_fma_f32 v56, v120, v80, -v56
	s_delay_alu instid0(VALU_DEP_4)
	v_add_f32_e32 v52, v52, v146
	v_fmac_f32_e32 v148, v113, v72
	v_add_f32_e32 v54, v54, v57
	v_mul_f32_e32 v57, v125, v85
	v_fma_f32 v55, v122, v82, -v55
	v_dual_fmac_f32 v159, v139, v134 :: v_dual_fmac_f32 v150, v117, v76
	s_delay_alu instid0(VALU_DEP_4) | instskip(NEXT) | instid1(VALU_DEP_4)
	v_add_f32_e32 v54, v54, v56
	v_fma_f32 v57, v124, v84, -v57
	v_fmac_f32_e32 v152, v121, v80
	v_mul_f32_e32 v56, v127, v87
	v_fmac_f32_e32 v154, v125, v84
	v_dual_add_f32 v54, v54, v55 :: v_dual_mul_f32 v55, v129, v89
	v_add_f32_e32 v52, v52, v147
	s_delay_alu instid0(VALU_DEP_4) | instskip(SKIP_1) | instid1(VALU_DEP_4)
	v_fma_f32 v56, v126, v86, -v56
	v_fmac_f32_e32 v156, v129, v88
	v_dual_add_f32 v54, v54, v57 :: v_dual_mul_f32 v57, v131, v91
	s_delay_alu instid0(VALU_DEP_4) | instskip(SKIP_2) | instid1(VALU_DEP_4)
	v_add_f32_e32 v52, v52, v148
	v_fma_f32 v55, v128, v88, -v55
	v_fmac_f32_e32 v158, v133, v92
	v_add_f32_e32 v54, v54, v56
	v_mul_f32_e32 v56, v133, v93
	v_add_f32_e32 v52, v52, v149
	v_fma_f32 v57, v130, v90, -v57
	s_delay_alu instid0(VALU_DEP_4) | instskip(NEXT) | instid1(VALU_DEP_3)
	v_add_f32_e32 v54, v54, v55
	v_dual_mul_f32 v55, v139, v135 :: v_dual_add_f32 v52, v52, v150
	v_fma_f32 v56, v132, v92, -v56
	s_delay_alu instid0(VALU_DEP_3) | instskip(NEXT) | instid1(VALU_DEP_3)
	v_add_f32_e32 v54, v54, v57
	v_fma_f32 v55, v138, v134, -v55
	s_delay_alu instid0(VALU_DEP_4) | instskip(NEXT) | instid1(VALU_DEP_3)
	v_add_f32_e32 v52, v52, v151
	v_add_f32_e32 v54, v54, v56
	s_delay_alu instid0(VALU_DEP_2) | instskip(NEXT) | instid1(VALU_DEP_2)
	v_add_f32_e32 v52, v52, v152
	v_add_f32_e32 v54, v54, v55
	s_delay_alu instid0(VALU_DEP_2) | instskip(SKIP_1) | instid1(VALU_DEP_2)
	v_add_f32_e32 v52, v52, v153
	s_wait_loadcnt 0x0
	v_sub_f32_e32 v54, v136, v54
	s_delay_alu instid0(VALU_DEP_2) | instskip(NEXT) | instid1(VALU_DEP_1)
	v_add_f32_e32 v52, v52, v154
	v_add_f32_e32 v52, v52, v155
	s_delay_alu instid0(VALU_DEP_1) | instskip(NEXT) | instid1(VALU_DEP_1)
	v_add_f32_e32 v52, v52, v156
	v_add_f32_e32 v52, v52, v157
	s_delay_alu instid0(VALU_DEP_1) | instskip(NEXT) | instid1(VALU_DEP_1)
	v_add_f32_e32 v52, v52, v158
	v_add_f32_e32 v52, v52, v159
	s_delay_alu instid0(VALU_DEP_1)
	v_sub_f32_e32 v55, v137, v52
	scratch_store_b64 off, v[54:55], off offset:24
	v_cmpx_lt_u32_e32 2, v0
	s_cbranch_execz .LBB24_159
; %bb.158:
	scratch_load_b64 v[54:55], off, off offset:16
	v_mov_b32_e32 v52, v51
	scratch_store_b64 off, v[51:52], off offset:16
	s_wait_loadcnt 0x0
	ds_store_b64 v53, v[54:55]
.LBB24_159:
	s_wait_alu 0xfffe
	s_or_b32 exec_lo, exec_lo, s0
	s_wait_storecnt_dscnt 0x0
	s_barrier_signal -1
	s_barrier_wait -1
	global_inv scope:SCOPE_SE
	s_clause 0xb
	scratch_load_b128 v[54:57], off, off offset:24
	scratch_load_b128 v[58:61], off, off offset:40
	;; [unrolled: 1-line block ×11, first 2 shown]
	scratch_load_b64 v[142:143], off, off offset:16
	ds_load_2addr_b64 v[98:101], v51 offset0:29 offset1:30
	ds_load_2addr_b64 v[102:105], v51 offset0:31 offset1:32
	;; [unrolled: 1-line block ×11, first 2 shown]
	s_mov_b32 s0, exec_lo
	s_wait_loadcnt_dscnt 0xb0a
	v_dual_mul_f32 v51, v98, v55 :: v_dual_mul_f32 v52, v100, v57
	v_mul_f32_e32 v55, v99, v55
	s_wait_loadcnt_dscnt 0xa09
	v_dual_mul_f32 v57, v101, v57 :: v_dual_mul_f32 v144, v102, v59
	s_delay_alu instid0(VALU_DEP_3) | instskip(NEXT) | instid1(VALU_DEP_3)
	v_dual_mul_f32 v145, v104, v61 :: v_dual_fmac_f32 v52, v101, v56
	v_fma_f32 v55, v98, v54, -v55
	v_fmac_f32_e32 v51, v99, v54
	v_mul_f32_e32 v54, v103, v59
	v_fma_f32 v56, v100, v56, -v57
	v_mul_f32_e32 v57, v105, v61
	v_dual_add_f32 v55, 0, v55 :: v_dual_fmac_f32 v144, v103, v58
	s_delay_alu instid0(VALU_DEP_4) | instskip(SKIP_2) | instid1(VALU_DEP_3)
	v_fma_f32 v54, v102, v58, -v54
	s_wait_loadcnt_dscnt 0x908
	v_dual_mul_f32 v146, v106, v63 :: v_dual_mul_f32 v147, v108, v65
	v_add_f32_e32 v55, v55, v56
	v_fmac_f32_e32 v145, v105, v60
	v_fma_f32 v56, v104, v60, -v57
	s_wait_loadcnt_dscnt 0x807
	v_dual_mul_f32 v148, v110, v67 :: v_dual_mul_f32 v149, v112, v69
	v_dual_add_f32 v54, v55, v54 :: v_dual_mul_f32 v55, v109, v65
	v_fmac_f32_e32 v146, v107, v62
	s_wait_loadcnt_dscnt 0x706
	v_dual_mul_f32 v150, v114, v71 :: v_dual_mul_f32 v151, v116, v73
	s_delay_alu instid0(VALU_DEP_3) | instskip(SKIP_3) | instid1(VALU_DEP_4)
	v_dual_add_f32 v54, v54, v56 :: v_dual_add_f32 v51, 0, v51
	v_mul_f32_e32 v56, v111, v67
	v_fma_f32 v55, v108, v64, -v55
	v_dual_fmac_f32 v147, v109, v64 :: v_dual_fmac_f32 v148, v111, v66
	v_add_f32_e32 v51, v51, v52
	v_mul_f32_e32 v52, v107, v63
	v_fma_f32 v56, v110, v66, -v56
	v_dual_fmac_f32 v149, v113, v68 :: v_dual_fmac_f32 v150, v115, v70
	s_wait_loadcnt_dscnt 0x605
	v_dual_mul_f32 v152, v118, v75 :: v_dual_mul_f32 v153, v120, v77
	v_fma_f32 v52, v106, v62, -v52
	s_wait_loadcnt_dscnt 0x504
	v_dual_mul_f32 v154, v122, v79 :: v_dual_mul_f32 v155, v124, v81
	s_wait_loadcnt_dscnt 0x403
	v_dual_mul_f32 v156, v126, v83 :: v_dual_mul_f32 v157, v128, v85
	v_add_f32_e32 v52, v54, v52
	v_mul_f32_e32 v54, v113, v69
	v_dual_fmac_f32 v154, v123, v78 :: v_dual_fmac_f32 v155, v125, v80
	s_delay_alu instid0(VALU_DEP_4) | instskip(NEXT) | instid1(VALU_DEP_4)
	v_dual_fmac_f32 v156, v127, v82 :: v_dual_fmac_f32 v157, v129, v84
	v_dual_add_f32 v52, v52, v55 :: v_dual_add_f32 v51, v51, v144
	v_mul_f32_e32 v55, v115, v71
	v_fma_f32 v54, v112, v68, -v54
	v_fmac_f32_e32 v151, v117, v72
	s_delay_alu instid0(VALU_DEP_4)
	v_add_f32_e32 v52, v52, v56
	v_mul_f32_e32 v56, v117, v73
	v_add_f32_e32 v51, v51, v145
	v_fma_f32 v55, v114, v70, -v55
	v_fmac_f32_e32 v152, v119, v74
	v_add_f32_e32 v52, v52, v54
	v_mul_f32_e32 v54, v119, v75
	v_add_f32_e32 v51, v51, v146
	v_fma_f32 v56, v116, v72, -v56
	s_delay_alu instid0(VALU_DEP_4) | instskip(SKIP_1) | instid1(VALU_DEP_4)
	v_dual_fmac_f32 v153, v121, v76 :: v_dual_add_f32 v52, v52, v55
	v_mul_f32_e32 v55, v121, v77
	v_add_f32_e32 v51, v51, v147
	v_fma_f32 v54, v118, v74, -v54
	s_wait_loadcnt_dscnt 0x302
	v_dual_mul_f32 v158, v130, v87 :: v_dual_mul_f32 v159, v132, v89
	v_add_f32_e32 v52, v52, v56
	v_add_f32_e32 v51, v51, v148
	v_fma_f32 v55, v120, v76, -v55
	v_mul_f32_e32 v56, v123, v79
	s_wait_loadcnt_dscnt 0x201
	v_dual_mul_f32 v160, v134, v91 :: v_dual_mul_f32 v161, v136, v93
	v_dual_add_f32 v52, v52, v54 :: v_dual_add_f32 v51, v51, v149
	v_mul_f32_e32 v54, v125, v81
	v_fma_f32 v56, v122, v78, -v56
	v_dual_fmac_f32 v158, v131, v86 :: v_dual_fmac_f32 v159, v133, v88
	s_delay_alu instid0(VALU_DEP_4)
	v_dual_add_f32 v52, v52, v55 :: v_dual_add_f32 v51, v51, v150
	v_mul_f32_e32 v55, v127, v83
	v_fma_f32 v54, v124, v80, -v54
	s_wait_loadcnt_dscnt 0x100
	v_dual_mul_f32 v162, v138, v95 :: v_dual_mul_f32 v163, v140, v97
	v_dual_add_f32 v51, v51, v151 :: v_dual_add_f32 v52, v52, v56
	v_mul_f32_e32 v56, v129, v85
	v_fma_f32 v55, v126, v82, -v55
	s_delay_alu instid0(VALU_DEP_4) | instskip(NEXT) | instid1(VALU_DEP_4)
	v_dual_fmac_f32 v160, v135, v90 :: v_dual_fmac_f32 v163, v141, v96
	v_dual_add_f32 v51, v51, v152 :: v_dual_add_f32 v52, v52, v54
	v_mul_f32_e32 v54, v131, v87
	v_fma_f32 v56, v128, v84, -v56
	v_fmac_f32_e32 v161, v137, v92
	s_delay_alu instid0(VALU_DEP_4) | instskip(SKIP_2) | instid1(VALU_DEP_3)
	v_dual_add_f32 v51, v51, v153 :: v_dual_add_f32 v52, v52, v55
	v_mul_f32_e32 v55, v133, v89
	v_fma_f32 v54, v130, v86, -v54
	v_dual_add_f32 v51, v51, v154 :: v_dual_add_f32 v52, v52, v56
	v_mul_f32_e32 v56, v135, v91
	s_delay_alu instid0(VALU_DEP_4) | instskip(NEXT) | instid1(VALU_DEP_3)
	v_fma_f32 v55, v132, v88, -v55
	v_dual_add_f32 v51, v51, v155 :: v_dual_add_f32 v52, v52, v54
	v_mul_f32_e32 v54, v137, v93
	s_delay_alu instid0(VALU_DEP_4) | instskip(NEXT) | instid1(VALU_DEP_3)
	;; [unrolled: 4-line block ×4, first 2 shown]
	v_fma_f32 v55, v138, v94, -v55
	v_add_f32_e32 v51, v51, v158
	s_delay_alu instid0(VALU_DEP_4) | instskip(NEXT) | instid1(VALU_DEP_4)
	v_add_f32_e32 v52, v52, v54
	v_fma_f32 v54, v140, v96, -v56
	s_delay_alu instid0(VALU_DEP_3) | instskip(NEXT) | instid1(VALU_DEP_1)
	v_add_f32_e32 v51, v51, v159
	v_dual_add_f32 v52, v52, v55 :: v_dual_add_f32 v51, v51, v160
	s_delay_alu instid0(VALU_DEP_1) | instskip(SKIP_1) | instid1(VALU_DEP_3)
	v_add_f32_e32 v52, v52, v54
	v_fmac_f32_e32 v162, v139, v94
	v_add_f32_e32 v51, v51, v161
	s_delay_alu instid0(VALU_DEP_1) | instskip(SKIP_1) | instid1(VALU_DEP_1)
	v_add_f32_e32 v51, v51, v162
	s_wait_loadcnt 0x0
	v_dual_add_f32 v54, v51, v163 :: v_dual_sub_f32 v51, v142, v52
	s_delay_alu instid0(VALU_DEP_1)
	v_sub_f32_e32 v52, v143, v54
	scratch_store_b64 off, v[51:52], off offset:16
	v_cmpx_lt_u32_e32 1, v0
	s_cbranch_execz .LBB24_161
; %bb.160:
	scratch_load_b64 v[51:52], off, off offset:8
	v_mov_b32_e32 v54, 0
	s_delay_alu instid0(VALU_DEP_1)
	v_mov_b32_e32 v55, v54
	scratch_store_b64 off, v[54:55], off offset:8
	s_wait_loadcnt 0x0
	ds_store_b64 v53, v[51:52]
.LBB24_161:
	s_wait_alu 0xfffe
	s_or_b32 exec_lo, exec_lo, s0
	s_wait_storecnt_dscnt 0x0
	s_barrier_signal -1
	s_barrier_wait -1
	global_inv scope:SCOPE_SE
	s_clause 0xc
	scratch_load_b128 v[54:57], off, off offset:16
	scratch_load_b128 v[58:61], off, off offset:32
	;; [unrolled: 1-line block ×11, first 2 shown]
	scratch_load_b64 v[142:143], off, off offset:192
	scratch_load_b64 v[144:145], off, off offset:8
	v_mov_b32_e32 v51, 0
	ds_load_b128 v[98:101], v51 offset:224
	ds_load_b128 v[102:105], v51 offset:240
	;; [unrolled: 1-line block ×11, first 2 shown]
	ds_load_b64 v[146:147], v51 offset:400
	s_mov_b32 s0, exec_lo
	s_wait_loadcnt_dscnt 0xc0b
	v_mul_f32_e32 v52, v98, v55
	s_wait_loadcnt_dscnt 0xb0a
	v_dual_mul_f32 v148, v100, v57 :: v_dual_mul_f32 v149, v102, v59
	v_mul_f32_e32 v57, v101, v57
	s_wait_loadcnt_dscnt 0xa09
	v_dual_mul_f32 v150, v104, v61 :: v_dual_mul_f32 v151, v106, v63
	v_mul_f32_e32 v55, v99, v55
	v_fmac_f32_e32 v52, v99, v54
	s_wait_loadcnt_dscnt 0x807
	v_dual_mul_f32 v154, v112, v69 :: v_dual_mul_f32 v155, v114, v71
	s_wait_loadcnt_dscnt 0x100
	v_dual_mul_f32 v166, v136, v93 :: v_dual_mul_f32 v169, v146, v143
	v_fma_f32 v55, v98, v54, -v55
	v_mul_f32_e32 v54, v103, v59
	v_fmac_f32_e32 v148, v101, v56
	v_fma_f32 v56, v100, v56, -v57
	v_dual_add_f32 v52, 0, v52 :: v_dual_mul_f32 v57, v105, v61
	v_add_f32_e32 v55, 0, v55
	v_fmac_f32_e32 v149, v103, v58
	v_fma_f32 v54, v102, v58, -v54
	s_delay_alu instid0(VALU_DEP_4)
	v_add_f32_e32 v52, v52, v148
	v_fma_f32 v57, v104, v60, -v57
	v_add_f32_e32 v55, v55, v56
	v_mul_f32_e32 v56, v107, v63
	v_dual_mul_f32 v156, v116, v73 :: v_dual_mul_f32 v157, v118, v75
	v_add_f32_e32 v52, v52, v149
	s_delay_alu instid0(VALU_DEP_4) | instskip(NEXT) | instid1(VALU_DEP_4)
	v_dual_add_f32 v54, v55, v54 :: v_dual_mul_f32 v55, v109, v65
	v_fma_f32 v56, v106, v62, -v56
	v_dual_mul_f32 v158, v120, v77 :: v_dual_mul_f32 v159, v122, v79
	s_delay_alu instid0(VALU_DEP_3) | instskip(NEXT) | instid1(VALU_DEP_4)
	v_dual_add_f32 v54, v54, v57 :: v_dual_mul_f32 v57, v111, v67
	v_fma_f32 v55, v108, v64, -v55
	v_dual_fmac_f32 v150, v105, v60 :: v_dual_fmac_f32 v151, v107, v62
	s_delay_alu instid0(VALU_DEP_3) | instskip(SKIP_2) | instid1(VALU_DEP_3)
	v_dual_add_f32 v54, v54, v56 :: v_dual_fmac_f32 v155, v115, v70
	v_dual_mul_f32 v56, v113, v69 :: v_dual_fmac_f32 v157, v119, v74
	v_fma_f32 v57, v110, v66, -v57
	v_dual_add_f32 v54, v54, v55 :: v_dual_fmac_f32 v159, v123, v78
	v_dual_mul_f32 v160, v124, v81 :: v_dual_mul_f32 v161, v126, v83
	v_dual_add_f32 v52, v52, v150 :: v_dual_mul_f32 v55, v115, v71
	v_fma_f32 v56, v112, v68, -v56
	s_delay_alu instid0(VALU_DEP_3) | instskip(SKIP_1) | instid1(VALU_DEP_4)
	v_dual_add_f32 v54, v54, v57 :: v_dual_fmac_f32 v161, v127, v82
	v_mul_f32_e32 v57, v117, v73
	v_fma_f32 v55, v114, v70, -v55
	v_dual_mul_f32 v152, v108, v65 :: v_dual_mul_f32 v153, v110, v67
	s_delay_alu instid0(VALU_DEP_4) | instskip(SKIP_3) | instid1(VALU_DEP_4)
	v_add_f32_e32 v54, v54, v56
	v_dual_mul_f32 v164, v132, v89 :: v_dual_mul_f32 v165, v134, v91
	v_mul_f32_e32 v56, v119, v75
	v_fma_f32 v57, v116, v72, -v57
	v_add_f32_e32 v54, v54, v55
	v_dual_fmac_f32 v152, v109, v64 :: v_dual_fmac_f32 v153, v111, v66
	v_dual_add_f32 v52, v52, v151 :: v_dual_mul_f32 v55, v121, v77
	v_fma_f32 v56, v118, v74, -v56
	s_delay_alu instid0(VALU_DEP_4) | instskip(NEXT) | instid1(VALU_DEP_3)
	v_dual_fmac_f32 v165, v135, v90 :: v_dual_add_f32 v54, v54, v57
	v_dual_add_f32 v52, v52, v152 :: v_dual_mul_f32 v57, v123, v79
	s_delay_alu instid0(VALU_DEP_4) | instskip(SKIP_1) | instid1(VALU_DEP_4)
	v_fma_f32 v55, v120, v76, -v55
	v_dual_mul_f32 v162, v128, v85 :: v_dual_mul_f32 v163, v130, v87
	v_add_f32_e32 v54, v54, v56
	v_mul_f32_e32 v56, v125, v81
	v_fma_f32 v57, v122, v78, -v57
	v_fmac_f32_e32 v154, v113, v68
	v_dual_add_f32 v52, v52, v153 :: v_dual_fmac_f32 v163, v131, v86
	v_add_f32_e32 v54, v54, v55
	v_mul_f32_e32 v55, v127, v83
	v_fma_f32 v56, v124, v80, -v56
	s_delay_alu instid0(VALU_DEP_4)
	v_dual_add_f32 v52, v52, v154 :: v_dual_mul_f32 v167, v138, v95
	v_mul_f32_e32 v168, v140, v97
	v_add_f32_e32 v54, v54, v57
	v_mul_f32_e32 v57, v129, v85
	v_fma_f32 v55, v126, v82, -v55
	v_dual_fmac_f32 v156, v117, v72 :: v_dual_fmac_f32 v167, v139, v94
	s_delay_alu instid0(VALU_DEP_4) | instskip(NEXT) | instid1(VALU_DEP_4)
	v_add_f32_e32 v54, v54, v56
	v_fma_f32 v57, v128, v84, -v57
	v_dual_fmac_f32 v158, v121, v76 :: v_dual_fmac_f32 v169, v147, v142
	v_fmac_f32_e32 v160, v125, v80
	s_delay_alu instid0(VALU_DEP_4) | instskip(SKIP_3) | instid1(VALU_DEP_4)
	v_dual_add_f32 v54, v54, v55 :: v_dual_mul_f32 v55, v133, v89
	v_add_f32_e32 v52, v52, v155
	v_mul_f32_e32 v56, v131, v87
	v_fmac_f32_e32 v162, v129, v84
	v_dual_add_f32 v54, v54, v57 :: v_dual_mul_f32 v57, v135, v91
	s_delay_alu instid0(VALU_DEP_4) | instskip(NEXT) | instid1(VALU_DEP_4)
	v_add_f32_e32 v52, v52, v156
	v_fma_f32 v56, v130, v86, -v56
	v_fmac_f32_e32 v164, v133, v88
	v_fma_f32 v55, v132, v88, -v55
	v_fma_f32 v57, v134, v90, -v57
	v_add_f32_e32 v52, v52, v157
	v_add_f32_e32 v54, v54, v56
	v_mul_f32_e32 v56, v137, v93
	v_fmac_f32_e32 v166, v137, v92
	v_fmac_f32_e32 v168, v141, v96
	v_add_f32_e32 v52, v52, v158
	v_add_f32_e32 v54, v54, v55
	v_mul_f32_e32 v55, v139, v95
	v_fma_f32 v56, v136, v92, -v56
	s_delay_alu instid0(VALU_DEP_4) | instskip(NEXT) | instid1(VALU_DEP_4)
	v_add_f32_e32 v52, v52, v159
	v_add_f32_e32 v54, v54, v57
	v_mul_f32_e32 v57, v141, v97
	v_fma_f32 v55, v138, v94, -v55
	s_delay_alu instid0(VALU_DEP_4) | instskip(NEXT) | instid1(VALU_DEP_4)
	;; [unrolled: 5-line block ×3, first 2 shown]
	v_add_f32_e32 v52, v52, v161
	v_add_f32_e32 v54, v54, v55
	s_delay_alu instid0(VALU_DEP_4) | instskip(NEXT) | instid1(VALU_DEP_3)
	v_fma_f32 v55, v146, v142, -v56
	v_add_f32_e32 v52, v52, v162
	s_delay_alu instid0(VALU_DEP_3) | instskip(NEXT) | instid1(VALU_DEP_2)
	v_add_f32_e32 v54, v54, v57
	v_add_f32_e32 v52, v52, v163
	s_delay_alu instid0(VALU_DEP_2) | instskip(NEXT) | instid1(VALU_DEP_2)
	v_add_f32_e32 v54, v54, v55
	v_add_f32_e32 v52, v52, v164
	s_wait_loadcnt 0x0
	s_delay_alu instid0(VALU_DEP_2) | instskip(NEXT) | instid1(VALU_DEP_2)
	v_sub_f32_e32 v54, v144, v54
	v_add_f32_e32 v52, v52, v165
	s_delay_alu instid0(VALU_DEP_1) | instskip(NEXT) | instid1(VALU_DEP_1)
	v_add_f32_e32 v52, v52, v166
	v_add_f32_e32 v52, v52, v167
	s_delay_alu instid0(VALU_DEP_1) | instskip(NEXT) | instid1(VALU_DEP_1)
	v_add_f32_e32 v52, v52, v168
	v_add_f32_e32 v52, v52, v169
	s_delay_alu instid0(VALU_DEP_1)
	v_sub_f32_e32 v55, v145, v52
	scratch_store_b64 off, v[54:55], off offset:8
	v_cmpx_ne_u32_e32 0, v0
	s_cbranch_execz .LBB24_163
; %bb.162:
	scratch_load_b64 v[54:55], off, off
	v_mov_b32_e32 v52, v51
	scratch_store_b64 off, v[51:52], off
	s_wait_loadcnt 0x0
	ds_store_b64 v53, v[54:55]
.LBB24_163:
	s_wait_alu 0xfffe
	s_or_b32 exec_lo, exec_lo, s0
	s_wait_storecnt_dscnt 0x0
	s_barrier_signal -1
	s_barrier_wait -1
	global_inv scope:SCOPE_SE
	s_clause 0xc
	scratch_load_b128 v[52:55], off, off offset:8
	scratch_load_b128 v[56:59], off, off offset:24
	;; [unrolled: 1-line block ×12, first 2 shown]
	scratch_load_b64 v[148:149], off, off
	ds_load_2addr_b64 v[100:103], v51 offset0:27 offset1:28
	ds_load_2addr_b64 v[104:107], v51 offset0:29 offset1:30
	;; [unrolled: 1-line block ×12, first 2 shown]
	s_and_b32 vcc_lo, exec_lo, s18
	s_wait_loadcnt_dscnt 0xc0b
	v_dual_mul_f32 v0, v100, v53 :: v_dual_mul_f32 v51, v102, v55
	s_wait_loadcnt_dscnt 0xb0a
	v_dual_mul_f32 v55, v103, v55 :: v_dual_mul_f32 v150, v104, v57
	s_delay_alu instid0(VALU_DEP_2) | instskip(SKIP_2) | instid1(VALU_DEP_4)
	v_dual_mul_f32 v151, v106, v59 :: v_dual_fmac_f32 v0, v101, v52
	v_mul_f32_e32 v53, v101, v53
	v_fmac_f32_e32 v51, v103, v54
	v_fma_f32 v54, v102, v54, -v55
	s_wait_loadcnt_dscnt 0xa09
	v_dual_mul_f32 v152, v108, v61 :: v_dual_mul_f32 v153, v110, v63
	v_add_f32_e32 v0, 0, v0
	v_fma_f32 v53, v100, v52, -v53
	v_mul_f32_e32 v52, v105, v57
	v_dual_fmac_f32 v150, v105, v56 :: v_dual_fmac_f32 v151, v107, v58
	s_delay_alu instid0(VALU_DEP_3) | instskip(NEXT) | instid1(VALU_DEP_3)
	v_dual_fmac_f32 v152, v109, v60 :: v_dual_add_f32 v53, 0, v53
	v_fma_f32 v52, v104, v56, -v52
	v_dual_add_f32 v0, v0, v51 :: v_dual_mul_f32 v51, v109, v61
	s_wait_loadcnt_dscnt 0x908
	v_dual_mul_f32 v154, v112, v65 :: v_dual_mul_f32 v155, v114, v67
	v_add_f32_e32 v53, v53, v54
	s_delay_alu instid0(VALU_DEP_3) | instskip(SKIP_1) | instid1(VALU_DEP_3)
	v_dual_mul_f32 v55, v107, v59 :: v_dual_add_f32 v0, v0, v150
	v_fma_f32 v51, v108, v60, -v51
	v_dual_fmac_f32 v153, v111, v62 :: v_dual_add_f32 v52, v53, v52
	s_delay_alu instid0(VALU_DEP_3) | instskip(SKIP_3) | instid1(VALU_DEP_4)
	v_fma_f32 v54, v106, v58, -v55
	v_mul_f32_e32 v53, v111, v63
	v_add_f32_e32 v0, v0, v151
	v_dual_fmac_f32 v154, v113, v64 :: v_dual_fmac_f32 v155, v115, v66
	v_add_f32_e32 v52, v52, v54
	v_mul_f32_e32 v54, v113, v65
	v_fma_f32 v53, v110, v62, -v53
	s_wait_loadcnt_dscnt 0x807
	v_dual_mul_f32 v156, v116, v69 :: v_dual_mul_f32 v157, v118, v71
	v_add_f32_e32 v51, v52, v51
	v_add_f32_e32 v0, v0, v152
	v_mul_f32_e32 v52, v115, v67
	v_fma_f32 v54, v112, v64, -v54
	v_dual_fmac_f32 v156, v117, v68 :: v_dual_fmac_f32 v157, v119, v70
	v_add_f32_e32 v51, v51, v53
	v_add_f32_e32 v0, v0, v153
	v_mul_f32_e32 v53, v117, v69
	v_fma_f32 v52, v114, v66, -v52
	s_wait_loadcnt_dscnt 0x706
	v_dual_mul_f32 v158, v120, v73 :: v_dual_mul_f32 v159, v122, v75
	v_add_f32_e32 v51, v51, v54
	v_add_f32_e32 v0, v0, v154
	v_mul_f32_e32 v54, v119, v71
	v_fma_f32 v53, v116, v68, -v53
	s_wait_loadcnt_dscnt 0x605
	v_dual_mul_f32 v160, v124, v77 :: v_dual_mul_f32 v161, v126, v79
	v_dual_add_f32 v51, v51, v52 :: v_dual_add_f32 v0, v0, v155
	v_mul_f32_e32 v52, v121, v73
	v_fma_f32 v54, v118, v70, -v54
	v_dual_fmac_f32 v158, v121, v72 :: v_dual_fmac_f32 v159, v123, v74
	s_delay_alu instid0(VALU_DEP_4) | instskip(SKIP_3) | instid1(VALU_DEP_4)
	v_dual_add_f32 v51, v51, v53 :: v_dual_add_f32 v0, v0, v156
	v_mul_f32_e32 v53, v123, v75
	v_fma_f32 v52, v120, v72, -v52
	v_fmac_f32_e32 v161, v127, v78
	v_dual_add_f32 v51, v51, v54 :: v_dual_add_f32 v0, v0, v157
	v_mul_f32_e32 v54, v125, v77
	v_fma_f32 v53, v122, v74, -v53
	s_wait_loadcnt_dscnt 0x504
	v_dual_mul_f32 v162, v128, v81 :: v_dual_mul_f32 v163, v130, v83
	v_dual_add_f32 v51, v51, v52 :: v_dual_add_f32 v0, v0, v158
	v_mul_f32_e32 v52, v127, v79
	v_fma_f32 v54, v124, v76, -v54
	s_delay_alu instid0(VALU_DEP_4) | instskip(NEXT) | instid1(VALU_DEP_4)
	v_fmac_f32_e32 v163, v131, v82
	v_dual_add_f32 v51, v51, v53 :: v_dual_fmac_f32 v160, v125, v76
	v_mul_f32_e32 v53, v129, v81
	v_fma_f32 v52, v126, v78, -v52
	s_wait_loadcnt_dscnt 0x403
	v_dual_mul_f32 v164, v132, v85 :: v_dual_mul_f32 v165, v134, v87
	v_dual_add_f32 v51, v51, v54 :: v_dual_add_f32 v0, v0, v159
	v_mul_f32_e32 v54, v131, v83
	v_fma_f32 v53, v128, v80, -v53
	s_wait_loadcnt_dscnt 0x302
	v_dual_mul_f32 v166, v136, v89 :: v_dual_mul_f32 v167, v138, v91
	v_add_f32_e32 v51, v51, v52
	v_add_f32_e32 v0, v0, v160
	v_fmac_f32_e32 v162, v129, v80
	v_fma_f32 v54, v130, v82, -v54
	v_dual_fmac_f32 v164, v133, v84 :: v_dual_fmac_f32 v165, v135, v86
	v_add_f32_e32 v51, v51, v53
	v_mul_f32_e32 v52, v133, v85
	v_dual_add_f32 v0, v0, v161 :: v_dual_mul_f32 v53, v135, v87
	v_fmac_f32_e32 v167, v139, v90
	s_delay_alu instid0(VALU_DEP_4) | instskip(NEXT) | instid1(VALU_DEP_4)
	v_add_f32_e32 v51, v51, v54
	v_fma_f32 v52, v132, v84, -v52
	s_delay_alu instid0(VALU_DEP_4)
	v_add_f32_e32 v0, v0, v162
	v_mul_f32_e32 v54, v137, v89
	v_fma_f32 v53, v134, v86, -v53
	s_wait_loadcnt_dscnt 0x201
	v_dual_mul_f32 v168, v140, v93 :: v_dual_mul_f32 v169, v142, v95
	v_dual_add_f32 v51, v51, v52 :: v_dual_add_f32 v0, v0, v163
	v_mul_f32_e32 v52, v139, v91
	v_fma_f32 v54, v136, v88, -v54
	s_delay_alu instid0(VALU_DEP_4) | instskip(NEXT) | instid1(VALU_DEP_4)
	v_dual_fmac_f32 v166, v137, v88 :: v_dual_fmac_f32 v169, v143, v94
	v_dual_add_f32 v51, v51, v53 :: v_dual_add_f32 v0, v0, v164
	v_mul_f32_e32 v53, v141, v93
	v_fma_f32 v52, v138, v90, -v52
	s_wait_loadcnt_dscnt 0x100
	v_dual_mul_f32 v170, v144, v97 :: v_dual_mul_f32 v171, v146, v99
	v_dual_add_f32 v51, v51, v54 :: v_dual_add_f32 v0, v0, v165
	v_mul_f32_e32 v54, v143, v95
	v_fma_f32 v53, v140, v92, -v53
	v_fmac_f32_e32 v168, v141, v92
	s_delay_alu instid0(VALU_DEP_4) | instskip(SKIP_2) | instid1(VALU_DEP_3)
	v_dual_add_f32 v51, v51, v52 :: v_dual_add_f32 v0, v0, v166
	v_dual_mul_f32 v52, v145, v97 :: v_dual_fmac_f32 v171, v147, v98
	v_fma_f32 v54, v142, v94, -v54
	v_dual_add_f32 v51, v51, v53 :: v_dual_add_f32 v0, v0, v167
	v_mul_f32_e32 v53, v147, v99
	s_delay_alu instid0(VALU_DEP_4) | instskip(NEXT) | instid1(VALU_DEP_3)
	v_fma_f32 v52, v144, v96, -v52
	v_add_f32_e32 v51, v51, v54
	s_delay_alu instid0(VALU_DEP_3) | instskip(NEXT) | instid1(VALU_DEP_2)
	v_fma_f32 v53, v146, v98, -v53
	v_add_f32_e32 v51, v51, v52
	s_delay_alu instid0(VALU_DEP_1) | instskip(SKIP_1) | instid1(VALU_DEP_2)
	v_dual_add_f32 v0, v0, v168 :: v_dual_add_f32 v51, v51, v53
	v_fmac_f32_e32 v170, v145, v96
	v_add_f32_e32 v0, v0, v169
	s_wait_loadcnt 0x0
	s_delay_alu instid0(VALU_DEP_3) | instskip(NEXT) | instid1(VALU_DEP_2)
	v_sub_f32_e32 v51, v148, v51
	v_add_f32_e32 v0, v0, v170
	s_delay_alu instid0(VALU_DEP_1) | instskip(NEXT) | instid1(VALU_DEP_1)
	v_add_f32_e32 v0, v0, v171
	v_sub_f32_e32 v52, v149, v0
	scratch_store_b64 off, v[51:52], off
	s_wait_alu 0xfffe
	s_cbranch_vccz .LBB24_212
; %bb.164:
	v_mov_b32_e32 v0, 0
	global_load_b32 v51, v0, s[2:3] offset:92
	s_wait_loadcnt 0x0
	v_cmp_ne_u32_e32 vcc_lo, 24, v51
	s_cbranch_vccz .LBB24_166
; %bb.165:
	v_lshlrev_b32_e32 v51, 3, v51
	s_delay_alu instid0(VALU_DEP_1)
	v_mov_b32_e32 v55, v51
	scratch_load_b64 v[51:52], v55, off offset:-8
	scratch_load_b64 v[53:54], off, off offset:184
	s_wait_loadcnt 0x1
	scratch_store_b64 off, v[51:52], off offset:184
	s_wait_loadcnt 0x0
	scratch_store_b64 v55, v[53:54], off offset:-8
.LBB24_166:
	global_load_b32 v0, v0, s[2:3] offset:88
	s_wait_loadcnt 0x0
	v_cmp_eq_u32_e32 vcc_lo, 23, v0
	s_cbranch_vccnz .LBB24_168
; %bb.167:
	v_lshlrev_b32_e32 v0, 3, v0
	scratch_load_b64 v[51:52], v0, off offset:-8
	scratch_load_b64 v[53:54], off, off offset:176
	s_wait_loadcnt 0x1
	scratch_store_b64 off, v[51:52], off offset:176
	s_wait_loadcnt 0x0
	scratch_store_b64 v0, v[53:54], off offset:-8
.LBB24_168:
	v_mov_b32_e32 v0, 0
	global_load_b32 v51, v0, s[2:3] offset:84
	s_wait_loadcnt 0x0
	v_cmp_eq_u32_e32 vcc_lo, 22, v51
	s_cbranch_vccnz .LBB24_170
; %bb.169:
	v_lshlrev_b32_e32 v51, 3, v51
	s_delay_alu instid0(VALU_DEP_1)
	v_mov_b32_e32 v55, v51
	scratch_load_b64 v[51:52], v55, off offset:-8
	scratch_load_b64 v[53:54], off, off offset:168
	s_wait_loadcnt 0x1
	scratch_store_b64 off, v[51:52], off offset:168
	s_wait_loadcnt 0x0
	scratch_store_b64 v55, v[53:54], off offset:-8
.LBB24_170:
	global_load_b32 v0, v0, s[2:3] offset:80
	s_wait_loadcnt 0x0
	v_cmp_eq_u32_e32 vcc_lo, 21, v0
	s_cbranch_vccnz .LBB24_172
; %bb.171:
	v_lshlrev_b32_e32 v0, 3, v0
	scratch_load_b64 v[51:52], v0, off offset:-8
	scratch_load_b64 v[53:54], off, off offset:160
	s_wait_loadcnt 0x1
	scratch_store_b64 off, v[51:52], off offset:160
	s_wait_loadcnt 0x0
	scratch_store_b64 v0, v[53:54], off offset:-8
.LBB24_172:
	v_mov_b32_e32 v0, 0
	global_load_b32 v51, v0, s[2:3] offset:76
	s_wait_loadcnt 0x0
	v_cmp_eq_u32_e32 vcc_lo, 20, v51
	s_cbranch_vccnz .LBB24_174
; %bb.173:
	v_lshlrev_b32_e32 v51, 3, v51
	s_delay_alu instid0(VALU_DEP_1)
	v_mov_b32_e32 v55, v51
	scratch_load_b64 v[51:52], v55, off offset:-8
	scratch_load_b64 v[53:54], off, off offset:152
	s_wait_loadcnt 0x1
	scratch_store_b64 off, v[51:52], off offset:152
	s_wait_loadcnt 0x0
	scratch_store_b64 v55, v[53:54], off offset:-8
.LBB24_174:
	;; [unrolled: 29-line block ×11, first 2 shown]
	global_load_b32 v0, v0, s[2:3]
	s_wait_loadcnt 0x0
	v_cmp_eq_u32_e32 vcc_lo, 1, v0
	s_cbranch_vccnz .LBB24_212
; %bb.211:
	v_lshlrev_b32_e32 v0, 3, v0
	scratch_load_b64 v[51:52], v0, off offset:-8
	scratch_load_b64 v[53:54], off, off
	s_wait_loadcnt 0x1
	scratch_store_b64 off, v[51:52], off
	s_wait_loadcnt 0x0
	scratch_store_b64 v0, v[53:54], off offset:-8
.LBB24_212:
	s_clause 0xc
	scratch_load_b128 v[51:54], off, off
	scratch_load_b128 v[55:58], off, off offset:16
	scratch_load_b128 v[59:62], off, off offset:32
	;; [unrolled: 1-line block ×11, first 2 shown]
	scratch_load_b64 v[99:100], off, off offset:192
	s_wait_loadcnt 0xc
	s_clause 0x1
	global_store_b64 v[1:2], v[51:52], off
	global_store_b64 v[3:4], v[53:54], off
	s_wait_loadcnt 0xb
	s_clause 0x1
	global_store_b64 v[5:6], v[55:56], off
	global_store_b64 v[7:8], v[57:58], off
	;; [unrolled: 4-line block ×12, first 2 shown]
	s_wait_loadcnt 0x0
	global_store_b64 v[49:50], v[99:100], off
	s_nop 0
	s_sendmsg sendmsg(MSG_DEALLOC_VGPRS)
	s_endpgm
	.section	.rodata,"a",@progbits
	.p2align	6, 0x0
	.amdhsa_kernel _ZN9rocsolver6v33100L18getri_kernel_smallILi25E19rocblas_complex_numIfEPS3_EEvT1_iilPiilS6_bb
		.amdhsa_group_segment_fixed_size 408
		.amdhsa_private_segment_fixed_size 208
		.amdhsa_kernarg_size 60
		.amdhsa_user_sgpr_count 2
		.amdhsa_user_sgpr_dispatch_ptr 0
		.amdhsa_user_sgpr_queue_ptr 0
		.amdhsa_user_sgpr_kernarg_segment_ptr 1
		.amdhsa_user_sgpr_dispatch_id 0
		.amdhsa_user_sgpr_private_segment_size 0
		.amdhsa_wavefront_size32 1
		.amdhsa_uses_dynamic_stack 0
		.amdhsa_enable_private_segment 1
		.amdhsa_system_sgpr_workgroup_id_x 1
		.amdhsa_system_sgpr_workgroup_id_y 0
		.amdhsa_system_sgpr_workgroup_id_z 0
		.amdhsa_system_sgpr_workgroup_info 0
		.amdhsa_system_vgpr_workitem_id 0
		.amdhsa_next_free_vgpr 172
		.amdhsa_next_free_sgpr 19
		.amdhsa_reserve_vcc 1
		.amdhsa_float_round_mode_32 0
		.amdhsa_float_round_mode_16_64 0
		.amdhsa_float_denorm_mode_32 3
		.amdhsa_float_denorm_mode_16_64 3
		.amdhsa_fp16_overflow 0
		.amdhsa_workgroup_processor_mode 1
		.amdhsa_memory_ordered 1
		.amdhsa_forward_progress 1
		.amdhsa_inst_pref_size 220
		.amdhsa_round_robin_scheduling 0
		.amdhsa_exception_fp_ieee_invalid_op 0
		.amdhsa_exception_fp_denorm_src 0
		.amdhsa_exception_fp_ieee_div_zero 0
		.amdhsa_exception_fp_ieee_overflow 0
		.amdhsa_exception_fp_ieee_underflow 0
		.amdhsa_exception_fp_ieee_inexact 0
		.amdhsa_exception_int_div_zero 0
	.end_amdhsa_kernel
	.section	.text._ZN9rocsolver6v33100L18getri_kernel_smallILi25E19rocblas_complex_numIfEPS3_EEvT1_iilPiilS6_bb,"axG",@progbits,_ZN9rocsolver6v33100L18getri_kernel_smallILi25E19rocblas_complex_numIfEPS3_EEvT1_iilPiilS6_bb,comdat
.Lfunc_end24:
	.size	_ZN9rocsolver6v33100L18getri_kernel_smallILi25E19rocblas_complex_numIfEPS3_EEvT1_iilPiilS6_bb, .Lfunc_end24-_ZN9rocsolver6v33100L18getri_kernel_smallILi25E19rocblas_complex_numIfEPS3_EEvT1_iilPiilS6_bb
                                        ; -- End function
	.set _ZN9rocsolver6v33100L18getri_kernel_smallILi25E19rocblas_complex_numIfEPS3_EEvT1_iilPiilS6_bb.num_vgpr, 172
	.set _ZN9rocsolver6v33100L18getri_kernel_smallILi25E19rocblas_complex_numIfEPS3_EEvT1_iilPiilS6_bb.num_agpr, 0
	.set _ZN9rocsolver6v33100L18getri_kernel_smallILi25E19rocblas_complex_numIfEPS3_EEvT1_iilPiilS6_bb.numbered_sgpr, 19
	.set _ZN9rocsolver6v33100L18getri_kernel_smallILi25E19rocblas_complex_numIfEPS3_EEvT1_iilPiilS6_bb.num_named_barrier, 0
	.set _ZN9rocsolver6v33100L18getri_kernel_smallILi25E19rocblas_complex_numIfEPS3_EEvT1_iilPiilS6_bb.private_seg_size, 208
	.set _ZN9rocsolver6v33100L18getri_kernel_smallILi25E19rocblas_complex_numIfEPS3_EEvT1_iilPiilS6_bb.uses_vcc, 1
	.set _ZN9rocsolver6v33100L18getri_kernel_smallILi25E19rocblas_complex_numIfEPS3_EEvT1_iilPiilS6_bb.uses_flat_scratch, 1
	.set _ZN9rocsolver6v33100L18getri_kernel_smallILi25E19rocblas_complex_numIfEPS3_EEvT1_iilPiilS6_bb.has_dyn_sized_stack, 0
	.set _ZN9rocsolver6v33100L18getri_kernel_smallILi25E19rocblas_complex_numIfEPS3_EEvT1_iilPiilS6_bb.has_recursion, 0
	.set _ZN9rocsolver6v33100L18getri_kernel_smallILi25E19rocblas_complex_numIfEPS3_EEvT1_iilPiilS6_bb.has_indirect_call, 0
	.section	.AMDGPU.csdata,"",@progbits
; Kernel info:
; codeLenInByte = 28136
; TotalNumSgprs: 21
; NumVgprs: 172
; ScratchSize: 208
; MemoryBound: 0
; FloatMode: 240
; IeeeMode: 1
; LDSByteSize: 408 bytes/workgroup (compile time only)
; SGPRBlocks: 0
; VGPRBlocks: 21
; NumSGPRsForWavesPerEU: 21
; NumVGPRsForWavesPerEU: 172
; Occupancy: 8
; WaveLimiterHint : 1
; COMPUTE_PGM_RSRC2:SCRATCH_EN: 1
; COMPUTE_PGM_RSRC2:USER_SGPR: 2
; COMPUTE_PGM_RSRC2:TRAP_HANDLER: 0
; COMPUTE_PGM_RSRC2:TGID_X_EN: 1
; COMPUTE_PGM_RSRC2:TGID_Y_EN: 0
; COMPUTE_PGM_RSRC2:TGID_Z_EN: 0
; COMPUTE_PGM_RSRC2:TIDIG_COMP_CNT: 0
	.section	.text._ZN9rocsolver6v33100L18getri_kernel_smallILi26E19rocblas_complex_numIfEPS3_EEvT1_iilPiilS6_bb,"axG",@progbits,_ZN9rocsolver6v33100L18getri_kernel_smallILi26E19rocblas_complex_numIfEPS3_EEvT1_iilPiilS6_bb,comdat
	.globl	_ZN9rocsolver6v33100L18getri_kernel_smallILi26E19rocblas_complex_numIfEPS3_EEvT1_iilPiilS6_bb ; -- Begin function _ZN9rocsolver6v33100L18getri_kernel_smallILi26E19rocblas_complex_numIfEPS3_EEvT1_iilPiilS6_bb
	.p2align	8
	.type	_ZN9rocsolver6v33100L18getri_kernel_smallILi26E19rocblas_complex_numIfEPS3_EEvT1_iilPiilS6_bb,@function
_ZN9rocsolver6v33100L18getri_kernel_smallILi26E19rocblas_complex_numIfEPS3_EEvT1_iilPiilS6_bb: ; @_ZN9rocsolver6v33100L18getri_kernel_smallILi26E19rocblas_complex_numIfEPS3_EEvT1_iilPiilS6_bb
; %bb.0:
	s_mov_b32 s2, exec_lo
	v_cmpx_gt_u32_e32 26, v0
	s_cbranch_execz .LBB25_118
; %bb.1:
	s_clause 0x2
	s_load_b32 s2, s[0:1], 0x38
	s_load_b128 s[12:15], s[0:1], 0x10
	s_load_b128 s[4:7], s[0:1], 0x28
	s_mov_b32 s16, ttmp9
	s_wait_kmcnt 0x0
	s_bitcmp1_b32 s2, 8
	s_cselect_b32 s18, -1, 0
	s_bfe_u32 s2, s2, 0x10008
	s_ashr_i32 s17, ttmp9, 31
	s_cmp_eq_u32 s2, 0
                                        ; implicit-def: $sgpr2_sgpr3
	s_cbranch_scc1 .LBB25_3
; %bb.2:
	s_load_b32 s2, s[0:1], 0x20
	s_mul_u64 s[4:5], s[4:5], s[16:17]
	s_delay_alu instid0(SALU_CYCLE_1) | instskip(NEXT) | instid1(SALU_CYCLE_1)
	s_lshl_b64 s[4:5], s[4:5], 2
	s_add_nc_u64 s[4:5], s[14:15], s[4:5]
	s_wait_kmcnt 0x0
	s_ashr_i32 s3, s2, 31
	s_delay_alu instid0(SALU_CYCLE_1) | instskip(NEXT) | instid1(SALU_CYCLE_1)
	s_lshl_b64 s[2:3], s[2:3], 2
	s_add_nc_u64 s[2:3], s[4:5], s[2:3]
.LBB25_3:
	s_clause 0x1
	s_load_b128 s[8:11], s[0:1], 0x0
	s_load_b32 s4, s[0:1], 0x38
	s_mul_u64 s[0:1], s[12:13], s[16:17]
	v_lshlrev_b32_e32 v59, 3, v0
	s_lshl_b64 s[0:1], s[0:1], 3
	s_wait_kmcnt 0x0
	v_add3_u32 v3, s11, s11, v0
	s_ashr_i32 s13, s10, 31
	s_mov_b32 s12, s10
	s_add_nc_u64 s[0:1], s[8:9], s[0:1]
	s_lshl_b64 s[12:13], s[12:13], 3
	v_add_nc_u32_e32 v5, s11, v3
	v_ashrrev_i32_e32 v4, 31, v3
	s_add_nc_u64 s[0:1], s[0:1], s[12:13]
	s_ashr_i32 s9, s11, 31
	v_add_co_u32 v1, s5, s0, v59
	v_add_nc_u32_e32 v7, s11, v5
	v_ashrrev_i32_e32 v6, 31, v5
	s_mov_b32 s8, s11
	v_lshlrev_b64_e32 v[9:10], 3, v[3:4]
	v_add_co_ci_u32_e64 v2, null, s1, 0, s5
	v_add_nc_u32_e32 v13, s11, v7
	s_lshl_b64 s[8:9], s[8:9], 3
	v_lshlrev_b64_e32 v[11:12], 3, v[5:6]
	v_ashrrev_i32_e32 v8, 31, v7
	v_add_co_u32 v3, vcc_lo, v1, s8
	v_add_nc_u32_e32 v15, s11, v13
	v_ashrrev_i32_e32 v14, 31, v13
	v_add_co_ci_u32_e64 v4, null, s9, v2, vcc_lo
	v_add_co_u32 v5, vcc_lo, s0, v9
	s_delay_alu instid0(VALU_DEP_4)
	v_ashrrev_i32_e32 v16, 31, v15
	v_add_nc_u32_e32 v17, s11, v15
	s_wait_alu 0xfffd
	v_add_co_ci_u32_e64 v6, null, s1, v10, vcc_lo
	v_lshlrev_b64_e32 v[9:10], 3, v[7:8]
	v_add_co_u32 v7, vcc_lo, s0, v11
	s_wait_alu 0xfffd
	v_add_co_ci_u32_e64 v8, null, s1, v12, vcc_lo
	v_lshlrev_b64_e32 v[11:12], 3, v[13:14]
	v_lshlrev_b64_e32 v[13:14], 3, v[15:16]
	v_add_nc_u32_e32 v15, s11, v17
	v_ashrrev_i32_e32 v18, 31, v17
	v_add_co_u32 v9, vcc_lo, s0, v9
	s_wait_alu 0xfffd
	v_add_co_ci_u32_e64 v10, null, s1, v10, vcc_lo
	v_add_nc_u32_e32 v19, s11, v15
	v_ashrrev_i32_e32 v16, 31, v15
	v_lshlrev_b64_e32 v[17:18], 3, v[17:18]
	v_add_co_u32 v11, vcc_lo, s0, v11
	s_delay_alu instid0(VALU_DEP_4) | instskip(NEXT) | instid1(VALU_DEP_4)
	v_add_nc_u32_e32 v21, s11, v19
	v_lshlrev_b64_e32 v[23:24], 3, v[15:16]
	s_wait_alu 0xfffd
	v_add_co_ci_u32_e64 v12, null, s1, v12, vcc_lo
	v_add_co_u32 v13, vcc_lo, s0, v13
	v_add_nc_u32_e32 v25, s11, v21
	s_wait_alu 0xfffd
	v_add_co_ci_u32_e64 v14, null, s1, v14, vcc_lo
	v_add_co_u32 v15, vcc_lo, s0, v17
	s_wait_alu 0xfffd
	v_add_co_ci_u32_e64 v16, null, s1, v18, vcc_lo
	v_add_co_u32 v17, vcc_lo, s0, v23
	v_add_nc_u32_e32 v23, s11, v25
	v_ashrrev_i32_e32 v20, 31, v19
	v_ashrrev_i32_e32 v22, 31, v21
	;; [unrolled: 1-line block ×3, first 2 shown]
	s_wait_alu 0xfffd
	v_add_co_ci_u32_e64 v18, null, s1, v24, vcc_lo
	v_add_nc_u32_e32 v27, s11, v23
	v_lshlrev_b64_e32 v[19:20], 3, v[19:20]
	v_ashrrev_i32_e32 v24, 31, v23
	v_lshlrev_b64_e32 v[21:22], 3, v[21:22]
	v_lshlrev_b64_e32 v[25:26], 3, v[25:26]
	v_add_nc_u32_e32 v31, s11, v27
	v_ashrrev_i32_e32 v28, 31, v27
	v_add_co_u32 v19, vcc_lo, s0, v19
	v_lshlrev_b64_e32 v[29:30], 3, v[23:24]
	s_wait_alu 0xfffd
	v_add_co_ci_u32_e64 v20, null, s1, v20, vcc_lo
	v_add_co_u32 v21, vcc_lo, s0, v21
	v_ashrrev_i32_e32 v32, 31, v31
	v_add_nc_u32_e32 v33, s11, v31
	s_wait_alu 0xfffd
	v_add_co_ci_u32_e64 v22, null, s1, v22, vcc_lo
	v_add_co_u32 v23, vcc_lo, s0, v25
	s_wait_alu 0xfffd
	v_add_co_ci_u32_e64 v24, null, s1, v26, vcc_lo
	v_add_co_u32 v25, vcc_lo, s0, v29
	s_wait_alu 0xfffd
	v_add_co_ci_u32_e64 v26, null, s1, v30, vcc_lo
	v_lshlrev_b64_e32 v[29:30], 3, v[31:32]
	v_add_nc_u32_e32 v31, s11, v33
	v_ashrrev_i32_e32 v34, 31, v33
	v_lshlrev_b64_e32 v[27:28], 3, v[27:28]
	s_clause 0x4
	global_load_b64 v[53:54], v59, s[0:1]
	global_load_b64 v[55:56], v[3:4], off
	global_load_b64 v[60:61], v[5:6], off
	;; [unrolled: 1-line block ×4, first 2 shown]
	v_add_nc_u32_e32 v35, s11, v31
	v_ashrrev_i32_e32 v32, 31, v31
	v_lshlrev_b64_e32 v[33:34], 3, v[33:34]
	v_add_co_u32 v27, vcc_lo, s0, v27
	s_delay_alu instid0(VALU_DEP_4) | instskip(NEXT) | instid1(VALU_DEP_4)
	v_add_nc_u32_e32 v39, s11, v35
	v_lshlrev_b64_e32 v[37:38], 3, v[31:32]
	s_wait_alu 0xfffd
	v_add_co_ci_u32_e64 v28, null, s1, v28, vcc_lo
	v_add_co_u32 v29, vcc_lo, s0, v29
	v_ashrrev_i32_e32 v40, 31, v39
	v_add_nc_u32_e32 v41, s11, v39
	s_wait_alu 0xfffd
	v_add_co_ci_u32_e64 v30, null, s1, v30, vcc_lo
	v_add_co_u32 v31, vcc_lo, s0, v33
	s_wait_alu 0xfffd
	v_add_co_ci_u32_e64 v32, null, s1, v34, vcc_lo
	v_add_co_u32 v33, vcc_lo, s0, v37
	s_wait_alu 0xfffd
	v_add_co_ci_u32_e64 v34, null, s1, v38, vcc_lo
	v_lshlrev_b64_e32 v[37:38], 3, v[39:40]
	v_add_nc_u32_e32 v39, s11, v41
	v_ashrrev_i32_e32 v36, 31, v35
	v_ashrrev_i32_e32 v42, 31, v41
	s_clause 0x7
	global_load_b64 v[66:67], v[11:12], off
	global_load_b64 v[68:69], v[13:14], off
	;; [unrolled: 1-line block ×8, first 2 shown]
	v_add_nc_u32_e32 v43, s11, v39
	v_lshlrev_b64_e32 v[35:36], 3, v[35:36]
	v_ashrrev_i32_e32 v40, 31, v39
	v_lshlrev_b64_e32 v[41:42], 3, v[41:42]
	s_clause 0x3
	global_load_b64 v[82:83], v[27:28], off
	global_load_b64 v[84:85], v[29:30], off
	;; [unrolled: 1-line block ×4, first 2 shown]
	v_add_nc_u32_e32 v47, s11, v43
	v_ashrrev_i32_e32 v44, 31, v43
	v_add_co_u32 v35, vcc_lo, s0, v35
	v_lshlrev_b64_e32 v[45:46], 3, v[39:40]
	s_wait_alu 0xfffd
	v_add_co_ci_u32_e64 v36, null, s1, v36, vcc_lo
	v_add_co_u32 v37, vcc_lo, s0, v37
	v_ashrrev_i32_e32 v48, 31, v47
	v_add_nc_u32_e32 v49, s11, v47
	s_wait_alu 0xfffd
	v_add_co_ci_u32_e64 v38, null, s1, v38, vcc_lo
	v_add_co_u32 v39, vcc_lo, s0, v41
	s_wait_alu 0xfffd
	v_add_co_ci_u32_e64 v40, null, s1, v42, vcc_lo
	v_add_co_u32 v41, vcc_lo, s0, v45
	s_wait_alu 0xfffd
	v_add_co_ci_u32_e64 v42, null, s1, v46, vcc_lo
	v_lshlrev_b64_e32 v[45:46], 3, v[47:48]
	v_add_nc_u32_e32 v47, s11, v49
	v_ashrrev_i32_e32 v50, 31, v49
	v_lshlrev_b64_e32 v[43:44], 3, v[43:44]
	s_clause 0x3
	global_load_b64 v[90:91], v[35:36], off
	global_load_b64 v[92:93], v[37:38], off
	;; [unrolled: 1-line block ×4, first 2 shown]
	s_bitcmp0_b32 s4, 0
	v_add_nc_u32_e32 v51, s11, v47
	v_ashrrev_i32_e32 v48, 31, v47
	v_lshlrev_b64_e32 v[49:50], 3, v[49:50]
	v_add_co_u32 v43, vcc_lo, s0, v43
	s_delay_alu instid0(VALU_DEP_4) | instskip(NEXT) | instid1(VALU_DEP_4)
	v_ashrrev_i32_e32 v52, 31, v51
	v_lshlrev_b64_e32 v[57:58], 3, v[47:48]
	s_wait_alu 0xfffd
	v_add_co_ci_u32_e64 v44, null, s1, v44, vcc_lo
	v_add_co_u32 v45, vcc_lo, s0, v45
	v_lshlrev_b64_e32 v[51:52], 3, v[51:52]
	s_wait_alu 0xfffd
	v_add_co_ci_u32_e64 v46, null, s1, v46, vcc_lo
	v_add_co_u32 v47, vcc_lo, s0, v49
	s_wait_alu 0xfffd
	v_add_co_ci_u32_e64 v48, null, s1, v50, vcc_lo
	v_add_co_u32 v49, vcc_lo, s0, v57
	;; [unrolled: 3-line block ×3, first 2 shown]
	s_wait_alu 0xfffd
	v_add_co_ci_u32_e64 v52, null, s1, v52, vcc_lo
	s_clause 0x4
	global_load_b64 v[98:99], v[43:44], off
	global_load_b64 v[100:101], v[45:46], off
	;; [unrolled: 1-line block ×5, first 2 shown]
	s_mov_b32 s1, -1
	s_wait_loadcnt 0x18
	scratch_store_b128 off, v[53:56], off
	s_wait_loadcnt 0x16
	scratch_store_b128 off, v[60:63], off offset:16
	s_wait_loadcnt 0x14
	scratch_store_b128 off, v[64:67], off offset:32
	;; [unrolled: 2-line block ×12, first 2 shown]
	s_cbranch_scc1 .LBB25_116
; %bb.4:
	v_cmp_eq_u32_e64 s0, 0, v0
	s_and_saveexec_b32 s1, s0
; %bb.5:
	v_mov_b32_e32 v53, 0
	ds_store_b32 v53, v53 offset:416
; %bb.6:
	s_wait_alu 0xfffe
	s_or_b32 exec_lo, exec_lo, s1
	s_wait_storecnt_dscnt 0x0
	s_barrier_signal -1
	s_barrier_wait -1
	global_inv scope:SCOPE_SE
	scratch_load_b64 v[53:54], v59, off
	s_wait_loadcnt 0x0
	v_cmp_eq_f32_e32 vcc_lo, 0, v53
	v_cmp_eq_f32_e64 s1, 0, v54
	s_and_b32 s1, vcc_lo, s1
	s_wait_alu 0xfffe
	s_and_saveexec_b32 s4, s1
	s_cbranch_execz .LBB25_10
; %bb.7:
	v_mov_b32_e32 v53, 0
	s_mov_b32 s5, 0
	ds_load_b32 v54, v53 offset:416
	s_wait_dscnt 0x0
	v_readfirstlane_b32 s1, v54
	v_add_nc_u32_e32 v54, 1, v0
	s_cmp_eq_u32 s1, 0
	s_delay_alu instid0(VALU_DEP_1)
	v_cmp_gt_i32_e32 vcc_lo, s1, v54
	s_cselect_b32 s8, -1, 0
	s_wait_alu 0xfffe
	s_or_b32 s8, s8, vcc_lo
	s_wait_alu 0xfffe
	s_and_b32 exec_lo, exec_lo, s8
	s_cbranch_execz .LBB25_10
; %bb.8:
	v_mov_b32_e32 v55, s1
.LBB25_9:                               ; =>This Inner Loop Header: Depth=1
	ds_cmpstore_rtn_b32 v55, v53, v54, v55 offset:416
	s_wait_dscnt 0x0
	v_cmp_ne_u32_e32 vcc_lo, 0, v55
	v_cmp_le_i32_e64 s1, v55, v54
	s_and_b32 s1, vcc_lo, s1
	s_wait_alu 0xfffe
	s_and_b32 s1, exec_lo, s1
	s_wait_alu 0xfffe
	s_or_b32 s5, s1, s5
	s_wait_alu 0xfffe
	s_and_not1_b32 exec_lo, exec_lo, s5
	s_cbranch_execnz .LBB25_9
.LBB25_10:
	s_wait_alu 0xfffe
	s_or_b32 exec_lo, exec_lo, s4
	v_mov_b32_e32 v53, 0
	s_barrier_signal -1
	s_barrier_wait -1
	global_inv scope:SCOPE_SE
	ds_load_b32 v54, v53 offset:416
	s_and_saveexec_b32 s1, s0
	s_cbranch_execz .LBB25_12
; %bb.11:
	s_lshl_b64 s[4:5], s[16:17], 2
	s_wait_alu 0xfffe
	s_add_nc_u64 s[4:5], s[6:7], s[4:5]
	s_wait_dscnt 0x0
	global_store_b32 v53, v54, s[4:5]
.LBB25_12:
	s_wait_alu 0xfffe
	s_or_b32 exec_lo, exec_lo, s1
	s_wait_dscnt 0x0
	v_cmp_ne_u32_e32 vcc_lo, 0, v54
	s_mov_b32 s1, 0
	s_cbranch_vccnz .LBB25_116
; %bb.13:
	v_mov_b32_e32 v60, v59
                                        ; implicit-def: $vgpr55
                                        ; implicit-def: $vgpr57
	scratch_load_b64 v[53:54], v60, off
	s_wait_loadcnt 0x0
	v_cmp_ngt_f32_e64 s1, |v53|, |v54|
	s_wait_alu 0xfffe
	s_and_saveexec_b32 s4, s1
	s_wait_alu 0xfffe
	s_xor_b32 s1, exec_lo, s4
	s_cbranch_execz .LBB25_15
; %bb.14:
	v_div_scale_f32 v55, null, v54, v54, v53
	v_div_scale_f32 v58, vcc_lo, v53, v54, v53
	s_delay_alu instid0(VALU_DEP_2) | instskip(NEXT) | instid1(TRANS32_DEP_1)
	v_rcp_f32_e32 v56, v55
	v_fma_f32 v57, -v55, v56, 1.0
	s_delay_alu instid0(VALU_DEP_1) | instskip(NEXT) | instid1(VALU_DEP_1)
	v_fmac_f32_e32 v56, v57, v56
	v_mul_f32_e32 v57, v58, v56
	s_delay_alu instid0(VALU_DEP_1) | instskip(NEXT) | instid1(VALU_DEP_1)
	v_fma_f32 v61, -v55, v57, v58
	v_fmac_f32_e32 v57, v61, v56
	s_delay_alu instid0(VALU_DEP_1) | instskip(SKIP_1) | instid1(VALU_DEP_1)
	v_fma_f32 v55, -v55, v57, v58
	s_wait_alu 0xfffd
	v_div_fmas_f32 v55, v55, v56, v57
	s_delay_alu instid0(VALU_DEP_1) | instskip(NEXT) | instid1(VALU_DEP_1)
	v_div_fixup_f32 v55, v55, v54, v53
	v_fmac_f32_e32 v54, v53, v55
	s_delay_alu instid0(VALU_DEP_1) | instskip(NEXT) | instid1(VALU_DEP_1)
	v_div_scale_f32 v53, null, v54, v54, 1.0
	v_rcp_f32_e32 v56, v53
	s_delay_alu instid0(TRANS32_DEP_1) | instskip(NEXT) | instid1(VALU_DEP_1)
	v_fma_f32 v57, -v53, v56, 1.0
	v_fmac_f32_e32 v56, v57, v56
	v_div_scale_f32 v57, vcc_lo, 1.0, v54, 1.0
	s_delay_alu instid0(VALU_DEP_1) | instskip(NEXT) | instid1(VALU_DEP_1)
	v_mul_f32_e32 v58, v57, v56
	v_fma_f32 v61, -v53, v58, v57
	s_delay_alu instid0(VALU_DEP_1) | instskip(NEXT) | instid1(VALU_DEP_1)
	v_fmac_f32_e32 v58, v61, v56
	v_fma_f32 v53, -v53, v58, v57
	s_wait_alu 0xfffd
	s_delay_alu instid0(VALU_DEP_1) | instskip(NEXT) | instid1(VALU_DEP_1)
	v_div_fmas_f32 v53, v53, v56, v58
	v_div_fixup_f32 v53, v53, v54, 1.0
	s_delay_alu instid0(VALU_DEP_1) | instskip(SKIP_1) | instid1(VALU_DEP_2)
	v_mul_f32_e32 v55, v55, v53
	v_xor_b32_e32 v56, 0x80000000, v53
                                        ; implicit-def: $vgpr53_vgpr54
	v_xor_b32_e32 v57, 0x80000000, v55
.LBB25_15:
	s_wait_alu 0xfffe
	s_and_not1_saveexec_b32 s1, s1
	s_cbranch_execz .LBB25_17
; %bb.16:
	v_div_scale_f32 v55, null, v53, v53, v54
	v_div_scale_f32 v58, vcc_lo, v54, v53, v54
	s_delay_alu instid0(VALU_DEP_2) | instskip(NEXT) | instid1(TRANS32_DEP_1)
	v_rcp_f32_e32 v56, v55
	v_fma_f32 v57, -v55, v56, 1.0
	s_delay_alu instid0(VALU_DEP_1) | instskip(NEXT) | instid1(VALU_DEP_1)
	v_fmac_f32_e32 v56, v57, v56
	v_mul_f32_e32 v57, v58, v56
	s_delay_alu instid0(VALU_DEP_1) | instskip(NEXT) | instid1(VALU_DEP_1)
	v_fma_f32 v61, -v55, v57, v58
	v_fmac_f32_e32 v57, v61, v56
	s_delay_alu instid0(VALU_DEP_1) | instskip(SKIP_1) | instid1(VALU_DEP_1)
	v_fma_f32 v55, -v55, v57, v58
	s_wait_alu 0xfffd
	v_div_fmas_f32 v55, v55, v56, v57
	s_delay_alu instid0(VALU_DEP_1) | instskip(NEXT) | instid1(VALU_DEP_1)
	v_div_fixup_f32 v56, v55, v53, v54
	v_fmac_f32_e32 v53, v54, v56
	s_delay_alu instid0(VALU_DEP_1) | instskip(SKIP_1) | instid1(VALU_DEP_2)
	v_div_scale_f32 v54, null, v53, v53, 1.0
	v_div_scale_f32 v58, vcc_lo, 1.0, v53, 1.0
	v_rcp_f32_e32 v55, v54
	s_delay_alu instid0(TRANS32_DEP_1) | instskip(NEXT) | instid1(VALU_DEP_1)
	v_fma_f32 v57, -v54, v55, 1.0
	v_fmac_f32_e32 v55, v57, v55
	s_delay_alu instid0(VALU_DEP_1) | instskip(NEXT) | instid1(VALU_DEP_1)
	v_mul_f32_e32 v57, v58, v55
	v_fma_f32 v61, -v54, v57, v58
	s_delay_alu instid0(VALU_DEP_1) | instskip(NEXT) | instid1(VALU_DEP_1)
	v_fmac_f32_e32 v57, v61, v55
	v_fma_f32 v54, -v54, v57, v58
	s_wait_alu 0xfffd
	s_delay_alu instid0(VALU_DEP_1) | instskip(NEXT) | instid1(VALU_DEP_1)
	v_div_fmas_f32 v54, v54, v55, v57
	v_div_fixup_f32 v55, v54, v53, 1.0
	s_delay_alu instid0(VALU_DEP_1)
	v_xor_b32_e32 v57, 0x80000000, v55
	v_mul_f32_e64 v56, v56, -v55
.LBB25_17:
	s_wait_alu 0xfffe
	s_or_b32 exec_lo, exec_lo, s1
	scratch_store_b64 v60, v[55:56], off
	scratch_load_b64 v[54:55], off, off offset:8
	v_xor_b32_e32 v58, 0x80000000, v56
	v_add_nc_u32_e32 v53, 0xd0, v59
	s_wait_loadcnt 0x0
	ds_store_2addr_b64 v59, v[57:58], v[54:55] offset1:26
	s_wait_storecnt_dscnt 0x0
	s_barrier_signal -1
	s_barrier_wait -1
	global_inv scope:SCOPE_SE
	s_and_saveexec_b32 s1, s0
	s_cbranch_execz .LBB25_19
; %bb.18:
	scratch_load_b64 v[54:55], v60, off
	ds_load_b64 v[56:57], v53
	v_mov_b32_e32 v58, 0
	ds_load_b64 v[61:62], v58 offset:8
	s_wait_loadcnt_dscnt 0x1
	v_mul_f32_e32 v58, v56, v55
	v_mul_f32_e32 v55, v57, v55
	s_delay_alu instid0(VALU_DEP_2) | instskip(NEXT) | instid1(VALU_DEP_2)
	v_fmac_f32_e32 v58, v57, v54
	v_fma_f32 v54, v56, v54, -v55
	s_delay_alu instid0(VALU_DEP_2) | instskip(NEXT) | instid1(VALU_DEP_2)
	v_add_f32_e32 v56, 0, v58
	v_add_f32_e32 v54, 0, v54
	s_wait_dscnt 0x0
	s_delay_alu instid0(VALU_DEP_2) | instskip(NEXT) | instid1(VALU_DEP_2)
	v_mul_f32_e32 v57, v56, v62
	v_mul_f32_e32 v55, v54, v62
	s_delay_alu instid0(VALU_DEP_2) | instskip(NEXT) | instid1(VALU_DEP_2)
	v_fma_f32 v54, v54, v61, -v57
	v_fmac_f32_e32 v55, v56, v61
	scratch_store_b64 off, v[54:55], off offset:8
.LBB25_19:
	s_wait_alu 0xfffe
	s_or_b32 exec_lo, exec_lo, s1
	s_wait_loadcnt 0x0
	s_wait_storecnt 0x0
	s_barrier_signal -1
	s_barrier_wait -1
	global_inv scope:SCOPE_SE
	scratch_load_b64 v[54:55], off, off offset:16
	s_mov_b32 s1, exec_lo
	s_wait_loadcnt 0x0
	ds_store_b64 v53, v[54:55]
	s_wait_dscnt 0x0
	s_barrier_signal -1
	s_barrier_wait -1
	global_inv scope:SCOPE_SE
	v_cmpx_gt_u32_e32 2, v0
	s_cbranch_execz .LBB25_23
; %bb.20:
	scratch_load_b64 v[54:55], v60, off
	ds_load_b64 v[56:57], v53
	s_wait_loadcnt_dscnt 0x0
	v_mul_f32_e32 v58, v57, v55
	v_mul_f32_e32 v61, v56, v55
	s_delay_alu instid0(VALU_DEP_2) | instskip(NEXT) | instid1(VALU_DEP_2)
	v_fma_f32 v55, v56, v54, -v58
	v_fmac_f32_e32 v61, v57, v54
	s_delay_alu instid0(VALU_DEP_1)
	v_dual_add_f32 v55, 0, v55 :: v_dual_add_f32 v54, 0, v61
	s_and_saveexec_b32 s4, s0
	s_cbranch_execz .LBB25_22
; %bb.21:
	scratch_load_b64 v[56:57], off, off offset:8
	v_mov_b32_e32 v58, 0
	ds_load_b64 v[61:62], v58 offset:216
	s_wait_loadcnt_dscnt 0x0
	v_mul_f32_e32 v58, v61, v57
	v_mul_f32_e32 v57, v62, v57
	s_delay_alu instid0(VALU_DEP_2) | instskip(NEXT) | instid1(VALU_DEP_2)
	v_fmac_f32_e32 v58, v62, v56
	v_fma_f32 v56, v61, v56, -v57
	s_delay_alu instid0(VALU_DEP_1)
	v_dual_add_f32 v54, v54, v58 :: v_dual_add_f32 v55, v55, v56
.LBB25_22:
	s_wait_alu 0xfffe
	s_or_b32 exec_lo, exec_lo, s4
	v_mov_b32_e32 v56, 0
	ds_load_b64 v[56:57], v56 offset:16
	s_wait_dscnt 0x0
	v_mul_f32_e32 v61, v54, v57
	v_mul_f32_e32 v58, v55, v57
	s_delay_alu instid0(VALU_DEP_2) | instskip(NEXT) | instid1(VALU_DEP_2)
	v_fma_f32 v57, v55, v56, -v61
	v_fmac_f32_e32 v58, v54, v56
	scratch_store_b64 off, v[57:58], off offset:16
.LBB25_23:
	s_wait_alu 0xfffe
	s_or_b32 exec_lo, exec_lo, s1
	s_wait_loadcnt 0x0
	s_wait_storecnt 0x0
	s_barrier_signal -1
	s_barrier_wait -1
	global_inv scope:SCOPE_SE
	scratch_load_b64 v[55:56], off, off offset:24
	v_add_nc_u32_e32 v54, -1, v0
	s_mov_b32 s0, exec_lo
	s_wait_loadcnt 0x0
	ds_store_b64 v53, v[55:56]
	s_wait_dscnt 0x0
	s_barrier_signal -1
	s_barrier_wait -1
	global_inv scope:SCOPE_SE
	v_cmpx_gt_u32_e32 3, v0
	s_cbranch_execz .LBB25_27
; %bb.24:
	v_dual_mov_b32 v55, 0 :: v_dual_add_nc_u32 v56, -1, v0
	v_dual_mov_b32 v58, v59 :: v_dual_add_nc_u32 v57, 0xd0, v59
	v_mov_b32_e32 v61, 0
	s_mov_b32 s1, 0
.LBB25_25:                              ; =>This Inner Loop Header: Depth=1
	scratch_load_b64 v[62:63], v58, off
	ds_load_b64 v[64:65], v57
	v_add_nc_u32_e32 v56, 1, v56
	v_add_nc_u32_e32 v57, 8, v57
	s_delay_alu instid0(VALU_DEP_2)
	v_cmp_lt_u32_e32 vcc_lo, 1, v56
	s_wait_alu 0xfffe
	s_or_b32 s1, vcc_lo, s1
	s_wait_loadcnt_dscnt 0x0
	v_mul_f32_e32 v66, v65, v63
	v_mul_f32_e32 v63, v64, v63
	s_delay_alu instid0(VALU_DEP_2) | instskip(NEXT) | instid1(VALU_DEP_2)
	v_fma_f32 v64, v64, v62, -v66
	v_fmac_f32_e32 v63, v65, v62
	s_delay_alu instid0(VALU_DEP_2) | instskip(NEXT) | instid1(VALU_DEP_2)
	v_dual_add_f32 v61, v61, v64 :: v_dual_add_nc_u32 v58, 8, v58
	v_add_f32_e32 v55, v55, v63
	s_wait_alu 0xfffe
	s_and_not1_b32 exec_lo, exec_lo, s1
	s_cbranch_execnz .LBB25_25
; %bb.26:
	s_or_b32 exec_lo, exec_lo, s1
	v_mov_b32_e32 v56, 0
	ds_load_b64 v[56:57], v56 offset:24
	s_wait_dscnt 0x0
	v_mul_f32_e32 v62, v55, v57
	v_mul_f32_e32 v58, v61, v57
	s_delay_alu instid0(VALU_DEP_2) | instskip(NEXT) | instid1(VALU_DEP_2)
	v_fma_f32 v57, v61, v56, -v62
	v_fmac_f32_e32 v58, v55, v56
	scratch_store_b64 off, v[57:58], off offset:24
.LBB25_27:
	s_wait_alu 0xfffe
	s_or_b32 exec_lo, exec_lo, s0
	s_wait_loadcnt 0x0
	s_wait_storecnt 0x0
	s_barrier_signal -1
	s_barrier_wait -1
	global_inv scope:SCOPE_SE
	scratch_load_b64 v[55:56], off, off offset:32
	s_mov_b32 s0, exec_lo
	s_wait_loadcnt 0x0
	ds_store_b64 v53, v[55:56]
	s_wait_dscnt 0x0
	s_barrier_signal -1
	s_barrier_wait -1
	global_inv scope:SCOPE_SE
	v_cmpx_gt_u32_e32 4, v0
	s_cbranch_execz .LBB25_31
; %bb.28:
	v_dual_mov_b32 v55, 0 :: v_dual_add_nc_u32 v56, -1, v0
	v_dual_mov_b32 v58, v59 :: v_dual_add_nc_u32 v57, 0xd0, v59
	v_mov_b32_e32 v61, 0
	s_mov_b32 s1, 0
.LBB25_29:                              ; =>This Inner Loop Header: Depth=1
	scratch_load_b64 v[62:63], v58, off
	ds_load_b64 v[64:65], v57
	v_add_nc_u32_e32 v56, 1, v56
	v_add_nc_u32_e32 v57, 8, v57
	s_delay_alu instid0(VALU_DEP_2)
	v_cmp_lt_u32_e32 vcc_lo, 2, v56
	s_wait_alu 0xfffe
	s_or_b32 s1, vcc_lo, s1
	s_wait_loadcnt_dscnt 0x0
	v_mul_f32_e32 v66, v65, v63
	v_mul_f32_e32 v63, v64, v63
	s_delay_alu instid0(VALU_DEP_2) | instskip(NEXT) | instid1(VALU_DEP_2)
	v_fma_f32 v64, v64, v62, -v66
	v_fmac_f32_e32 v63, v65, v62
	s_delay_alu instid0(VALU_DEP_2) | instskip(NEXT) | instid1(VALU_DEP_2)
	v_dual_add_f32 v61, v61, v64 :: v_dual_add_nc_u32 v58, 8, v58
	v_add_f32_e32 v55, v55, v63
	s_wait_alu 0xfffe
	s_and_not1_b32 exec_lo, exec_lo, s1
	s_cbranch_execnz .LBB25_29
; %bb.30:
	s_or_b32 exec_lo, exec_lo, s1
	v_mov_b32_e32 v56, 0
	ds_load_b64 v[56:57], v56 offset:32
	s_wait_dscnt 0x0
	v_mul_f32_e32 v62, v55, v57
	v_mul_f32_e32 v58, v61, v57
	s_delay_alu instid0(VALU_DEP_2) | instskip(NEXT) | instid1(VALU_DEP_2)
	v_fma_f32 v57, v61, v56, -v62
	v_fmac_f32_e32 v58, v55, v56
	scratch_store_b64 off, v[57:58], off offset:32
.LBB25_31:
	s_wait_alu 0xfffe
	s_or_b32 exec_lo, exec_lo, s0
	s_wait_loadcnt 0x0
	s_wait_storecnt 0x0
	s_barrier_signal -1
	s_barrier_wait -1
	global_inv scope:SCOPE_SE
	scratch_load_b64 v[55:56], off, off offset:40
	;; [unrolled: 55-line block ×19, first 2 shown]
	s_mov_b32 s0, exec_lo
	s_wait_loadcnt 0x0
	ds_store_b64 v53, v[55:56]
	s_wait_dscnt 0x0
	s_barrier_signal -1
	s_barrier_wait -1
	global_inv scope:SCOPE_SE
	v_cmpx_gt_u32_e32 22, v0
	s_cbranch_execz .LBB25_103
; %bb.100:
	v_dual_mov_b32 v55, 0 :: v_dual_add_nc_u32 v56, -1, v0
	v_dual_mov_b32 v58, v59 :: v_dual_add_nc_u32 v57, 0xd0, v59
	v_mov_b32_e32 v61, 0
	s_mov_b32 s1, 0
.LBB25_101:                             ; =>This Inner Loop Header: Depth=1
	scratch_load_b64 v[62:63], v58, off
	ds_load_b64 v[64:65], v57
	v_add_nc_u32_e32 v56, 1, v56
	v_add_nc_u32_e32 v57, 8, v57
	s_delay_alu instid0(VALU_DEP_2)
	v_cmp_lt_u32_e32 vcc_lo, 20, v56
	s_wait_alu 0xfffe
	s_or_b32 s1, vcc_lo, s1
	s_wait_loadcnt_dscnt 0x0
	v_mul_f32_e32 v66, v65, v63
	v_mul_f32_e32 v63, v64, v63
	s_delay_alu instid0(VALU_DEP_2) | instskip(NEXT) | instid1(VALU_DEP_2)
	v_fma_f32 v64, v64, v62, -v66
	v_fmac_f32_e32 v63, v65, v62
	s_delay_alu instid0(VALU_DEP_2) | instskip(NEXT) | instid1(VALU_DEP_2)
	v_dual_add_f32 v61, v61, v64 :: v_dual_add_nc_u32 v58, 8, v58
	v_add_f32_e32 v55, v55, v63
	s_wait_alu 0xfffe
	s_and_not1_b32 exec_lo, exec_lo, s1
	s_cbranch_execnz .LBB25_101
; %bb.102:
	s_or_b32 exec_lo, exec_lo, s1
	v_mov_b32_e32 v56, 0
	ds_load_b64 v[56:57], v56 offset:176
	s_wait_dscnt 0x0
	v_mul_f32_e32 v62, v55, v57
	v_mul_f32_e32 v58, v61, v57
	s_delay_alu instid0(VALU_DEP_2) | instskip(NEXT) | instid1(VALU_DEP_2)
	v_fma_f32 v57, v61, v56, -v62
	v_fmac_f32_e32 v58, v55, v56
	scratch_store_b64 off, v[57:58], off offset:176
.LBB25_103:
	s_wait_alu 0xfffe
	s_or_b32 exec_lo, exec_lo, s0
	s_wait_loadcnt 0x0
	s_wait_storecnt 0x0
	s_barrier_signal -1
	s_barrier_wait -1
	global_inv scope:SCOPE_SE
	scratch_load_b64 v[55:56], off, off offset:184
	s_mov_b32 s0, exec_lo
	s_wait_loadcnt 0x0
	ds_store_b64 v53, v[55:56]
	s_wait_dscnt 0x0
	s_barrier_signal -1
	s_barrier_wait -1
	global_inv scope:SCOPE_SE
	v_cmpx_gt_u32_e32 23, v0
	s_cbranch_execz .LBB25_107
; %bb.104:
	v_dual_mov_b32 v55, 0 :: v_dual_add_nc_u32 v56, -1, v0
	v_dual_mov_b32 v58, v59 :: v_dual_add_nc_u32 v57, 0xd0, v59
	v_mov_b32_e32 v61, 0
	s_mov_b32 s1, 0
.LBB25_105:                             ; =>This Inner Loop Header: Depth=1
	scratch_load_b64 v[62:63], v58, off
	ds_load_b64 v[64:65], v57
	v_add_nc_u32_e32 v56, 1, v56
	v_add_nc_u32_e32 v57, 8, v57
	s_delay_alu instid0(VALU_DEP_2)
	v_cmp_lt_u32_e32 vcc_lo, 21, v56
	s_wait_alu 0xfffe
	s_or_b32 s1, vcc_lo, s1
	s_wait_loadcnt_dscnt 0x0
	v_mul_f32_e32 v66, v65, v63
	v_mul_f32_e32 v63, v64, v63
	s_delay_alu instid0(VALU_DEP_2) | instskip(NEXT) | instid1(VALU_DEP_2)
	v_fma_f32 v64, v64, v62, -v66
	v_fmac_f32_e32 v63, v65, v62
	s_delay_alu instid0(VALU_DEP_2) | instskip(NEXT) | instid1(VALU_DEP_2)
	v_dual_add_f32 v61, v61, v64 :: v_dual_add_nc_u32 v58, 8, v58
	v_add_f32_e32 v55, v55, v63
	s_wait_alu 0xfffe
	s_and_not1_b32 exec_lo, exec_lo, s1
	s_cbranch_execnz .LBB25_105
; %bb.106:
	s_or_b32 exec_lo, exec_lo, s1
	v_mov_b32_e32 v56, 0
	ds_load_b64 v[56:57], v56 offset:184
	s_wait_dscnt 0x0
	v_mul_f32_e32 v62, v55, v57
	v_mul_f32_e32 v58, v61, v57
	s_delay_alu instid0(VALU_DEP_2) | instskip(NEXT) | instid1(VALU_DEP_2)
	v_fma_f32 v57, v61, v56, -v62
	v_fmac_f32_e32 v58, v55, v56
	scratch_store_b64 off, v[57:58], off offset:184
.LBB25_107:
	s_wait_alu 0xfffe
	s_or_b32 exec_lo, exec_lo, s0
	s_wait_loadcnt 0x0
	s_wait_storecnt 0x0
	s_barrier_signal -1
	s_barrier_wait -1
	global_inv scope:SCOPE_SE
	scratch_load_b64 v[55:56], off, off offset:192
	s_mov_b32 s0, exec_lo
	s_wait_loadcnt 0x0
	ds_store_b64 v53, v[55:56]
	s_wait_dscnt 0x0
	s_barrier_signal -1
	s_barrier_wait -1
	global_inv scope:SCOPE_SE
	v_cmpx_gt_u32_e32 24, v0
	s_cbranch_execz .LBB25_111
; %bb.108:
	v_dual_mov_b32 v55, 0 :: v_dual_add_nc_u32 v56, -1, v0
	v_dual_mov_b32 v58, v59 :: v_dual_add_nc_u32 v57, 0xd0, v59
	v_mov_b32_e32 v59, 0
	s_mov_b32 s1, 0
.LBB25_109:                             ; =>This Inner Loop Header: Depth=1
	scratch_load_b64 v[61:62], v58, off
	ds_load_b64 v[63:64], v57
	v_add_nc_u32_e32 v58, 8, v58
	v_add_nc_u32_e32 v56, 1, v56
	;; [unrolled: 1-line block ×3, first 2 shown]
	s_delay_alu instid0(VALU_DEP_2)
	v_cmp_lt_u32_e32 vcc_lo, 22, v56
	s_wait_alu 0xfffe
	s_or_b32 s1, vcc_lo, s1
	s_wait_loadcnt_dscnt 0x0
	v_mul_f32_e32 v65, v64, v62
	v_mul_f32_e32 v62, v63, v62
	s_delay_alu instid0(VALU_DEP_2) | instskip(NEXT) | instid1(VALU_DEP_1)
	v_fma_f32 v63, v63, v61, -v65
	v_dual_fmac_f32 v62, v64, v61 :: v_dual_add_f32 v59, v59, v63
	s_delay_alu instid0(VALU_DEP_1)
	v_add_f32_e32 v55, v55, v62
	s_wait_alu 0xfffe
	s_and_not1_b32 exec_lo, exec_lo, s1
	s_cbranch_execnz .LBB25_109
; %bb.110:
	s_or_b32 exec_lo, exec_lo, s1
	v_mov_b32_e32 v56, 0
	ds_load_b64 v[56:57], v56 offset:192
	s_wait_dscnt 0x0
	v_mul_f32_e32 v61, v55, v57
	v_mul_f32_e32 v58, v59, v57
	s_delay_alu instid0(VALU_DEP_2) | instskip(NEXT) | instid1(VALU_DEP_2)
	v_fma_f32 v57, v59, v56, -v61
	v_fmac_f32_e32 v58, v55, v56
	scratch_store_b64 off, v[57:58], off offset:192
.LBB25_111:
	s_wait_alu 0xfffe
	s_or_b32 exec_lo, exec_lo, s0
	s_wait_loadcnt 0x0
	s_wait_storecnt 0x0
	s_barrier_signal -1
	s_barrier_wait -1
	global_inv scope:SCOPE_SE
	scratch_load_b64 v[55:56], off, off offset:200
	s_mov_b32 s0, exec_lo
	s_wait_loadcnt 0x0
	ds_store_b64 v53, v[55:56]
	s_wait_dscnt 0x0
	s_barrier_signal -1
	s_barrier_wait -1
	global_inv scope:SCOPE_SE
	v_cmpx_ne_u32_e32 25, v0
	s_cbranch_execz .LBB25_115
; %bb.112:
	v_dual_mov_b32 v55, 0 :: v_dual_mov_b32 v56, 0
	s_mov_b32 s1, 0
.LBB25_113:                             ; =>This Inner Loop Header: Depth=1
	scratch_load_b64 v[57:58], v60, off
	ds_load_b64 v[61:62], v53
	v_add_nc_u32_e32 v54, 1, v54
	v_add_nc_u32_e32 v53, 8, v53
	;; [unrolled: 1-line block ×3, first 2 shown]
	s_delay_alu instid0(VALU_DEP_3)
	v_cmp_lt_u32_e32 vcc_lo, 23, v54
	s_wait_alu 0xfffe
	s_or_b32 s1, vcc_lo, s1
	s_wait_loadcnt_dscnt 0x0
	v_mul_f32_e32 v59, v62, v58
	v_mul_f32_e32 v58, v61, v58
	s_delay_alu instid0(VALU_DEP_2) | instskip(NEXT) | instid1(VALU_DEP_2)
	v_fma_f32 v59, v61, v57, -v59
	v_fmac_f32_e32 v58, v62, v57
	s_delay_alu instid0(VALU_DEP_1)
	v_dual_add_f32 v56, v56, v59 :: v_dual_add_f32 v55, v55, v58
	s_wait_alu 0xfffe
	s_and_not1_b32 exec_lo, exec_lo, s1
	s_cbranch_execnz .LBB25_113
; %bb.114:
	s_or_b32 exec_lo, exec_lo, s1
	v_mov_b32_e32 v53, 0
	ds_load_b64 v[53:54], v53 offset:200
	s_wait_dscnt 0x0
	v_mul_f32_e32 v58, v55, v54
	v_mul_f32_e32 v57, v56, v54
	s_delay_alu instid0(VALU_DEP_2) | instskip(NEXT) | instid1(VALU_DEP_2)
	v_fma_f32 v56, v56, v53, -v58
	v_fmac_f32_e32 v57, v55, v53
	scratch_store_b64 off, v[56:57], off offset:200
.LBB25_115:
	s_wait_alu 0xfffe
	s_or_b32 exec_lo, exec_lo, s0
	s_mov_b32 s1, -1
	s_wait_loadcnt 0x0
	s_wait_storecnt 0x0
	s_barrier_signal -1
	s_barrier_wait -1
	global_inv scope:SCOPE_SE
.LBB25_116:
	s_wait_alu 0xfffe
	s_and_b32 vcc_lo, exec_lo, s1
	s_wait_alu 0xfffe
	s_cbranch_vccz .LBB25_118
; %bb.117:
	v_mov_b32_e32 v53, 0
	s_lshl_b64 s[0:1], s[16:17], 2
	s_wait_alu 0xfffe
	s_add_nc_u64 s[0:1], s[6:7], s[0:1]
	global_load_b32 v53, v53, s[0:1]
	s_wait_loadcnt 0x0
	v_cmp_ne_u32_e32 vcc_lo, 0, v53
	s_cbranch_vccz .LBB25_119
.LBB25_118:
	s_nop 0
	s_sendmsg sendmsg(MSG_DEALLOC_VGPRS)
	s_endpgm
.LBB25_119:
	v_lshl_add_u32 v55, v0, 3, 0xd0
	s_mov_b32 s0, exec_lo
	v_cmpx_eq_u32_e32 25, v0
	s_cbranch_execz .LBB25_121
; %bb.120:
	scratch_load_b64 v[53:54], off, off offset:192
	v_mov_b32_e32 v56, 0
	s_delay_alu instid0(VALU_DEP_1)
	v_mov_b32_e32 v57, v56
	scratch_store_b64 off, v[56:57], off offset:192
	s_wait_loadcnt 0x0
	ds_store_b64 v55, v[53:54]
.LBB25_121:
	s_wait_alu 0xfffe
	s_or_b32 exec_lo, exec_lo, s0
	s_wait_storecnt_dscnt 0x0
	s_barrier_signal -1
	s_barrier_wait -1
	global_inv scope:SCOPE_SE
	s_clause 0x1
	scratch_load_b64 v[56:57], off, off offset:200
	scratch_load_b64 v[58:59], off, off offset:192
	v_mov_b32_e32 v53, 0
	s_mov_b32 s0, exec_lo
	ds_load_b64 v[60:61], v53 offset:408
	s_wait_loadcnt_dscnt 0x100
	v_mul_f32_e32 v54, v61, v57
	s_delay_alu instid0(VALU_DEP_1) | instskip(NEXT) | instid1(VALU_DEP_1)
	v_fma_f32 v54, v60, v56, -v54
	v_dual_mul_f32 v57, v60, v57 :: v_dual_add_f32 v54, 0, v54
	s_wait_loadcnt 0x0
	s_delay_alu instid0(VALU_DEP_1) | instskip(NEXT) | instid1(VALU_DEP_1)
	v_dual_fmac_f32 v57, v61, v56 :: v_dual_sub_f32 v56, v58, v54
	v_add_f32_e32 v57, 0, v57
	s_delay_alu instid0(VALU_DEP_1)
	v_sub_f32_e32 v57, v59, v57
	scratch_store_b64 off, v[56:57], off offset:192
	v_cmpx_lt_u32_e32 23, v0
	s_cbranch_execz .LBB25_123
; %bb.122:
	scratch_load_b64 v[56:57], off, off offset:184
	v_mov_b32_e32 v54, v53
	scratch_store_b64 off, v[53:54], off offset:184
	s_wait_loadcnt 0x0
	ds_store_b64 v55, v[56:57]
.LBB25_123:
	s_wait_alu 0xfffe
	s_or_b32 exec_lo, exec_lo, s0
	s_wait_storecnt_dscnt 0x0
	s_barrier_signal -1
	s_barrier_wait -1
	global_inv scope:SCOPE_SE
	s_clause 0x1
	scratch_load_b128 v[56:59], off, off offset:192
	scratch_load_b64 v[64:65], off, off offset:184
	ds_load_b128 v[60:63], v53 offset:400
	s_mov_b32 s0, exec_lo
	s_wait_loadcnt_dscnt 0x100
	v_mul_f32_e32 v54, v60, v57
	s_delay_alu instid0(VALU_DEP_1) | instskip(SKIP_2) | instid1(VALU_DEP_1)
	v_fmac_f32_e32 v54, v61, v56
	v_mul_f32_e32 v53, v61, v57
	v_mul_f32_e32 v57, v62, v59
	v_fmac_f32_e32 v57, v63, v58
	s_delay_alu instid0(VALU_DEP_4) | instskip(NEXT) | instid1(VALU_DEP_4)
	v_dual_add_f32 v54, 0, v54 :: v_dual_mul_f32 v59, v63, v59
	v_fma_f32 v53, v60, v56, -v53
	s_delay_alu instid0(VALU_DEP_2) | instskip(NEXT) | instid1(VALU_DEP_3)
	v_add_f32_e32 v54, v54, v57
	v_fma_f32 v56, v62, v58, -v59
	s_wait_loadcnt 0x0
	s_delay_alu instid0(VALU_DEP_2) | instskip(NEXT) | instid1(VALU_DEP_1)
	v_dual_add_f32 v53, 0, v53 :: v_dual_sub_f32 v54, v65, v54
	v_add_f32_e32 v53, v53, v56
	s_delay_alu instid0(VALU_DEP_1)
	v_sub_f32_e32 v53, v64, v53
	scratch_store_b64 off, v[53:54], off offset:184
	v_cmpx_lt_u32_e32 22, v0
	s_cbranch_execz .LBB25_125
; %bb.124:
	scratch_load_b64 v[53:54], off, off offset:176
	v_mov_b32_e32 v56, 0
	s_delay_alu instid0(VALU_DEP_1)
	v_mov_b32_e32 v57, v56
	scratch_store_b64 off, v[56:57], off offset:176
	s_wait_loadcnt 0x0
	ds_store_b64 v55, v[53:54]
.LBB25_125:
	s_wait_alu 0xfffe
	s_or_b32 exec_lo, exec_lo, s0
	s_wait_storecnt_dscnt 0x0
	s_barrier_signal -1
	s_barrier_wait -1
	global_inv scope:SCOPE_SE
	s_clause 0x2
	scratch_load_b128 v[56:59], off, off offset:184
	scratch_load_b64 v[64:65], off, off offset:200
	scratch_load_b64 v[66:67], off, off offset:176
	v_mov_b32_e32 v53, 0
	ds_load_2addr_b64 v[60:63], v53 offset0:49 offset1:50
	ds_load_b64 v[68:69], v53 offset:408
	s_mov_b32 s0, exec_lo
	s_wait_loadcnt_dscnt 0x201
	v_mul_f32_e32 v54, v61, v57
	v_dual_mul_f32 v57, v60, v57 :: v_dual_mul_f32 v70, v62, v59
	v_mul_f32_e32 v59, v63, v59
	s_wait_loadcnt_dscnt 0x100
	v_mul_f32_e32 v71, v68, v65
	v_fma_f32 v54, v60, v56, -v54
	v_fmac_f32_e32 v57, v61, v56
	v_mul_f32_e32 v56, v69, v65
	v_fmac_f32_e32 v70, v63, v58
	v_fma_f32 v58, v62, v58, -v59
	s_delay_alu instid0(VALU_DEP_4) | instskip(NEXT) | instid1(VALU_DEP_4)
	v_dual_add_f32 v54, 0, v54 :: v_dual_add_f32 v57, 0, v57
	v_fma_f32 v56, v68, v64, -v56
	s_delay_alu instid0(VALU_DEP_2) | instskip(NEXT) | instid1(VALU_DEP_1)
	v_add_f32_e32 v54, v54, v58
	v_dual_add_f32 v57, v57, v70 :: v_dual_add_f32 v54, v54, v56
	s_wait_loadcnt 0x0
	s_delay_alu instid0(VALU_DEP_1) | instskip(NEXT) | instid1(VALU_DEP_1)
	v_dual_fmac_f32 v71, v69, v64 :: v_dual_sub_f32 v56, v66, v54
	v_add_f32_e32 v57, v57, v71
	s_delay_alu instid0(VALU_DEP_1)
	v_sub_f32_e32 v57, v67, v57
	scratch_store_b64 off, v[56:57], off offset:176
	v_cmpx_lt_u32_e32 21, v0
	s_cbranch_execz .LBB25_127
; %bb.126:
	scratch_load_b64 v[56:57], off, off offset:168
	v_mov_b32_e32 v54, v53
	scratch_store_b64 off, v[53:54], off offset:168
	s_wait_loadcnt 0x0
	ds_store_b64 v55, v[56:57]
.LBB25_127:
	s_wait_alu 0xfffe
	s_or_b32 exec_lo, exec_lo, s0
	s_wait_storecnt_dscnt 0x0
	s_barrier_signal -1
	s_barrier_wait -1
	global_inv scope:SCOPE_SE
	s_clause 0x2
	scratch_load_b128 v[56:59], off, off offset:176
	scratch_load_b128 v[60:63], off, off offset:192
	scratch_load_b64 v[72:73], off, off offset:168
	ds_load_b128 v[64:67], v53 offset:384
	ds_load_b128 v[68:71], v53 offset:400
	s_mov_b32 s0, exec_lo
	s_wait_loadcnt_dscnt 0x201
	v_mul_f32_e32 v54, v65, v57
	s_wait_loadcnt_dscnt 0x100
	v_dual_mul_f32 v74, v68, v61 :: v_dual_mul_f32 v75, v70, v63
	s_delay_alu instid0(VALU_DEP_2) | instskip(SKIP_2) | instid1(VALU_DEP_4)
	v_fma_f32 v54, v64, v56, -v54
	v_mul_f32_e32 v53, v64, v57
	v_mul_f32_e32 v57, v66, v59
	v_dual_mul_f32 v59, v67, v59 :: v_dual_fmac_f32 v74, v69, v60
	s_delay_alu instid0(VALU_DEP_3) | instskip(NEXT) | instid1(VALU_DEP_3)
	v_dual_add_f32 v54, 0, v54 :: v_dual_fmac_f32 v53, v65, v56
	v_dual_mul_f32 v56, v69, v61 :: v_dual_fmac_f32 v57, v67, v58
	s_delay_alu instid0(VALU_DEP_3) | instskip(SKIP_1) | instid1(VALU_DEP_3)
	v_fma_f32 v58, v66, v58, -v59
	v_fmac_f32_e32 v75, v71, v62
	v_fma_f32 v56, v68, v60, -v56
	s_delay_alu instid0(VALU_DEP_3) | instskip(NEXT) | instid1(VALU_DEP_1)
	v_dual_add_f32 v54, v54, v58 :: v_dual_add_f32 v53, 0, v53
	v_dual_add_f32 v54, v54, v56 :: v_dual_mul_f32 v59, v71, v63
	s_delay_alu instid0(VALU_DEP_2) | instskip(NEXT) | instid1(VALU_DEP_2)
	v_add_f32_e32 v53, v53, v57
	v_fma_f32 v57, v70, v62, -v59
	s_delay_alu instid0(VALU_DEP_1) | instskip(SKIP_1) | instid1(VALU_DEP_1)
	v_dual_add_f32 v53, v53, v74 :: v_dual_add_f32 v54, v54, v57
	s_wait_loadcnt 0x0
	v_dual_add_f32 v56, v53, v75 :: v_dual_sub_f32 v53, v72, v54
	s_delay_alu instid0(VALU_DEP_1)
	v_sub_f32_e32 v54, v73, v56
	scratch_store_b64 off, v[53:54], off offset:168
	v_cmpx_lt_u32_e32 20, v0
	s_cbranch_execz .LBB25_129
; %bb.128:
	scratch_load_b64 v[53:54], off, off offset:160
	v_mov_b32_e32 v56, 0
	s_delay_alu instid0(VALU_DEP_1)
	v_mov_b32_e32 v57, v56
	scratch_store_b64 off, v[56:57], off offset:160
	s_wait_loadcnt 0x0
	ds_store_b64 v55, v[53:54]
.LBB25_129:
	s_wait_alu 0xfffe
	s_or_b32 exec_lo, exec_lo, s0
	s_wait_storecnt_dscnt 0x0
	s_barrier_signal -1
	s_barrier_wait -1
	global_inv scope:SCOPE_SE
	s_clause 0x3
	scratch_load_b128 v[56:59], off, off offset:168
	scratch_load_b128 v[60:63], off, off offset:184
	scratch_load_b64 v[72:73], off, off offset:200
	scratch_load_b64 v[74:75], off, off offset:160
	v_mov_b32_e32 v53, 0
	ds_load_2addr_b64 v[64:67], v53 offset0:47 offset1:48
	ds_load_2addr_b64 v[68:71], v53 offset0:49 offset1:50
	ds_load_b64 v[76:77], v53 offset:408
	s_mov_b32 s0, exec_lo
	s_wait_loadcnt_dscnt 0x302
	v_mul_f32_e32 v54, v64, v57
	v_dual_mul_f32 v78, v66, v59 :: v_dual_mul_f32 v57, v65, v57
	s_wait_loadcnt_dscnt 0x100
	v_mul_f32_e32 v81, v76, v73
	v_dual_mul_f32 v79, v68, v61 :: v_dual_mul_f32 v80, v70, v63
	v_dual_fmac_f32 v54, v65, v56 :: v_dual_mul_f32 v59, v67, v59
	v_fma_f32 v57, v64, v56, -v57
	v_fmac_f32_e32 v78, v67, v58
	v_mul_f32_e32 v56, v69, v61
	s_delay_alu instid0(VALU_DEP_4) | instskip(SKIP_3) | instid1(VALU_DEP_4)
	v_add_f32_e32 v54, 0, v54
	v_fma_f32 v58, v66, v58, -v59
	v_add_f32_e32 v57, 0, v57
	v_mul_f32_e32 v59, v71, v63
	v_dual_fmac_f32 v79, v69, v60 :: v_dual_add_f32 v54, v54, v78
	v_dual_fmac_f32 v80, v71, v62 :: v_dual_fmac_f32 v81, v77, v72
	s_delay_alu instid0(VALU_DEP_4) | instskip(SKIP_1) | instid1(VALU_DEP_4)
	v_add_f32_e32 v57, v57, v58
	v_fma_f32 v56, v68, v60, -v56
	v_add_f32_e32 v54, v54, v79
	v_fma_f32 v59, v70, v62, -v59
	s_delay_alu instid0(VALU_DEP_3) | instskip(NEXT) | instid1(VALU_DEP_3)
	v_add_f32_e32 v56, v57, v56
	v_add_f32_e32 v54, v54, v80
	s_delay_alu instid0(VALU_DEP_2) | instskip(NEXT) | instid1(VALU_DEP_2)
	v_add_f32_e32 v56, v56, v59
	v_add_f32_e32 v54, v54, v81
	v_mul_f32_e32 v58, v77, v73
	s_delay_alu instid0(VALU_DEP_1) | instskip(SKIP_1) | instid1(VALU_DEP_1)
	v_fma_f32 v57, v76, v72, -v58
	s_wait_loadcnt 0x0
	v_dual_add_f32 v56, v56, v57 :: v_dual_sub_f32 v57, v75, v54
	s_delay_alu instid0(VALU_DEP_1)
	v_sub_f32_e32 v56, v74, v56
	scratch_store_b64 off, v[56:57], off offset:160
	v_cmpx_lt_u32_e32 19, v0
	s_cbranch_execz .LBB25_131
; %bb.130:
	scratch_load_b64 v[56:57], off, off offset:152
	v_mov_b32_e32 v54, v53
	scratch_store_b64 off, v[53:54], off offset:152
	s_wait_loadcnt 0x0
	ds_store_b64 v55, v[56:57]
.LBB25_131:
	s_wait_alu 0xfffe
	s_or_b32 exec_lo, exec_lo, s0
	s_wait_storecnt_dscnt 0x0
	s_barrier_signal -1
	s_barrier_wait -1
	global_inv scope:SCOPE_SE
	s_clause 0x3
	scratch_load_b128 v[56:59], off, off offset:160
	scratch_load_b128 v[60:63], off, off offset:176
	;; [unrolled: 1-line block ×3, first 2 shown]
	scratch_load_b64 v[80:81], off, off offset:152
	ds_load_b128 v[68:71], v53 offset:368
	ds_load_b128 v[72:75], v53 offset:384
	;; [unrolled: 1-line block ×3, first 2 shown]
	s_mov_b32 s0, exec_lo
	s_wait_loadcnt_dscnt 0x302
	v_dual_mul_f32 v53, v68, v57 :: v_dual_mul_f32 v54, v70, v59
	v_mul_f32_e32 v57, v69, v57
	s_wait_loadcnt_dscnt 0x201
	v_dual_mul_f32 v59, v71, v59 :: v_dual_mul_f32 v82, v72, v61
	s_delay_alu instid0(VALU_DEP_3) | instskip(NEXT) | instid1(VALU_DEP_3)
	v_dual_mul_f32 v83, v74, v63 :: v_dual_fmac_f32 v54, v71, v58
	v_fma_f32 v57, v68, v56, -v57
	v_fmac_f32_e32 v53, v69, v56
	v_mul_f32_e32 v56, v73, v61
	v_fma_f32 v58, v70, v58, -v59
	v_mul_f32_e32 v59, v75, v63
	v_dual_add_f32 v57, 0, v57 :: v_dual_fmac_f32 v82, v73, v60
	s_delay_alu instid0(VALU_DEP_4) | instskip(SKIP_2) | instid1(VALU_DEP_3)
	v_fma_f32 v56, v72, v60, -v56
	s_wait_loadcnt_dscnt 0x100
	v_dual_mul_f32 v84, v76, v65 :: v_dual_mul_f32 v85, v78, v67
	v_add_f32_e32 v57, v57, v58
	v_fmac_f32_e32 v83, v75, v62
	v_fma_f32 v58, v74, v62, -v59
	s_delay_alu instid0(VALU_DEP_4) | instskip(NEXT) | instid1(VALU_DEP_4)
	v_dual_fmac_f32 v84, v77, v64 :: v_dual_fmac_f32 v85, v79, v66
	v_add_f32_e32 v56, v57, v56
	s_delay_alu instid0(VALU_DEP_1) | instskip(SKIP_1) | instid1(VALU_DEP_1)
	v_dual_add_f32 v56, v56, v58 :: v_dual_add_f32 v53, 0, v53
	v_mul_f32_e32 v57, v79, v67
	v_fma_f32 v57, v78, v66, -v57
	s_delay_alu instid0(VALU_DEP_3) | instskip(SKIP_1) | instid1(VALU_DEP_1)
	v_add_f32_e32 v53, v53, v54
	v_mul_f32_e32 v54, v77, v65
	v_fma_f32 v54, v76, v64, -v54
	s_delay_alu instid0(VALU_DEP_1) | instskip(NEXT) | instid1(VALU_DEP_1)
	v_add_f32_e32 v54, v56, v54
	v_dual_add_f32 v54, v54, v57 :: v_dual_add_f32 v53, v53, v82
	s_delay_alu instid0(VALU_DEP_1) | instskip(NEXT) | instid1(VALU_DEP_1)
	v_add_f32_e32 v53, v53, v83
	v_add_f32_e32 v53, v53, v84
	s_wait_loadcnt 0x0
	s_delay_alu instid0(VALU_DEP_1) | instskip(NEXT) | instid1(VALU_DEP_1)
	v_dual_add_f32 v56, v53, v85 :: v_dual_sub_f32 v53, v80, v54
	v_sub_f32_e32 v54, v81, v56
	scratch_store_b64 off, v[53:54], off offset:152
	v_cmpx_lt_u32_e32 18, v0
	s_cbranch_execz .LBB25_133
; %bb.132:
	scratch_load_b64 v[53:54], off, off offset:144
	v_mov_b32_e32 v56, 0
	s_delay_alu instid0(VALU_DEP_1)
	v_mov_b32_e32 v57, v56
	scratch_store_b64 off, v[56:57], off offset:144
	s_wait_loadcnt 0x0
	ds_store_b64 v55, v[53:54]
.LBB25_133:
	s_wait_alu 0xfffe
	s_or_b32 exec_lo, exec_lo, s0
	s_wait_storecnt_dscnt 0x0
	s_barrier_signal -1
	s_barrier_wait -1
	global_inv scope:SCOPE_SE
	s_clause 0x4
	scratch_load_b128 v[56:59], off, off offset:152
	scratch_load_b128 v[60:63], off, off offset:168
	;; [unrolled: 1-line block ×3, first 2 shown]
	scratch_load_b64 v[80:81], off, off offset:200
	scratch_load_b64 v[82:83], off, off offset:144
	v_mov_b32_e32 v53, 0
	ds_load_2addr_b64 v[68:71], v53 offset0:45 offset1:46
	ds_load_2addr_b64 v[72:75], v53 offset0:47 offset1:48
	;; [unrolled: 1-line block ×3, first 2 shown]
	ds_load_b64 v[84:85], v53 offset:408
	s_mov_b32 s0, exec_lo
	s_wait_loadcnt_dscnt 0x403
	v_mul_f32_e32 v54, v68, v57
	s_wait_loadcnt_dscnt 0x302
	v_dual_mul_f32 v86, v70, v59 :: v_dual_mul_f32 v87, v72, v61
	v_dual_mul_f32 v88, v74, v63 :: v_dual_mul_f32 v57, v69, v57
	s_wait_loadcnt_dscnt 0x100
	v_dual_mul_f32 v91, v84, v81 :: v_dual_fmac_f32 v54, v69, v56
	v_mul_f32_e32 v59, v71, v59
	v_dual_mul_f32 v89, v76, v65 :: v_dual_mul_f32 v90, v78, v67
	v_fma_f32 v57, v68, v56, -v57
	v_fmac_f32_e32 v86, v71, v58
	v_add_f32_e32 v54, 0, v54
	v_mul_f32_e32 v56, v73, v61
	v_fma_f32 v58, v70, v58, -v59
	v_add_f32_e32 v57, 0, v57
	v_mul_f32_e32 v59, v75, v63
	v_dual_fmac_f32 v87, v73, v60 :: v_dual_add_f32 v54, v54, v86
	v_dual_fmac_f32 v88, v75, v62 :: v_dual_fmac_f32 v89, v77, v64
	s_delay_alu instid0(VALU_DEP_4) | instskip(SKIP_1) | instid1(VALU_DEP_4)
	v_add_f32_e32 v57, v57, v58
	v_dual_fmac_f32 v90, v79, v66 :: v_dual_fmac_f32 v91, v85, v80
	v_add_f32_e32 v54, v54, v87
	v_fma_f32 v56, v72, v60, -v56
	v_mul_f32_e32 v58, v77, v65
	v_fma_f32 v59, v74, v62, -v59
	s_delay_alu instid0(VALU_DEP_4) | instskip(NEXT) | instid1(VALU_DEP_1)
	v_add_f32_e32 v54, v54, v88
	v_add_f32_e32 v54, v54, v89
	s_delay_alu instid0(VALU_DEP_1) | instskip(NEXT) | instid1(VALU_DEP_1)
	v_add_f32_e32 v54, v54, v90
	v_add_f32_e32 v54, v54, v91
	v_dual_add_f32 v56, v57, v56 :: v_dual_mul_f32 v57, v79, v67
	v_fma_f32 v58, v76, v64, -v58
	s_delay_alu instid0(VALU_DEP_2) | instskip(NEXT) | instid1(VALU_DEP_3)
	v_dual_add_f32 v56, v56, v59 :: v_dual_mul_f32 v59, v85, v81
	v_fma_f32 v57, v78, v66, -v57
	s_delay_alu instid0(VALU_DEP_2) | instskip(NEXT) | instid1(VALU_DEP_3)
	v_add_f32_e32 v56, v56, v58
	v_fma_f32 v58, v84, v80, -v59
	s_wait_loadcnt 0x0
	s_delay_alu instid0(VALU_DEP_2) | instskip(NEXT) | instid1(VALU_DEP_1)
	v_dual_add_f32 v56, v56, v57 :: v_dual_sub_f32 v57, v83, v54
	v_add_f32_e32 v56, v56, v58
	s_delay_alu instid0(VALU_DEP_1)
	v_sub_f32_e32 v56, v82, v56
	scratch_store_b64 off, v[56:57], off offset:144
	v_cmpx_lt_u32_e32 17, v0
	s_cbranch_execz .LBB25_135
; %bb.134:
	scratch_load_b64 v[56:57], off, off offset:136
	v_mov_b32_e32 v54, v53
	scratch_store_b64 off, v[53:54], off offset:136
	s_wait_loadcnt 0x0
	ds_store_b64 v55, v[56:57]
.LBB25_135:
	s_wait_alu 0xfffe
	s_or_b32 exec_lo, exec_lo, s0
	s_wait_storecnt_dscnt 0x0
	s_barrier_signal -1
	s_barrier_wait -1
	global_inv scope:SCOPE_SE
	s_clause 0x4
	scratch_load_b128 v[56:59], off, off offset:144
	scratch_load_b128 v[60:63], off, off offset:160
	;; [unrolled: 1-line block ×4, first 2 shown]
	scratch_load_b64 v[88:89], off, off offset:136
	ds_load_b128 v[72:75], v53 offset:352
	ds_load_b128 v[76:79], v53 offset:368
	;; [unrolled: 1-line block ×4, first 2 shown]
	s_mov_b32 s0, exec_lo
	s_wait_loadcnt_dscnt 0x403
	v_dual_mul_f32 v53, v72, v57 :: v_dual_mul_f32 v54, v74, v59
	v_mul_f32_e32 v57, v73, v57
	s_wait_loadcnt_dscnt 0x302
	v_dual_mul_f32 v59, v75, v59 :: v_dual_mul_f32 v90, v76, v61
	s_delay_alu instid0(VALU_DEP_3) | instskip(NEXT) | instid1(VALU_DEP_3)
	v_dual_mul_f32 v91, v78, v63 :: v_dual_fmac_f32 v54, v75, v58
	v_fma_f32 v57, v72, v56, -v57
	v_fmac_f32_e32 v53, v73, v56
	v_mul_f32_e32 v56, v77, v61
	v_fma_f32 v58, v74, v58, -v59
	v_mul_f32_e32 v59, v79, v63
	v_dual_add_f32 v57, 0, v57 :: v_dual_fmac_f32 v90, v77, v60
	s_delay_alu instid0(VALU_DEP_4) | instskip(SKIP_2) | instid1(VALU_DEP_3)
	v_fma_f32 v56, v76, v60, -v56
	s_wait_loadcnt_dscnt 0x201
	v_dual_mul_f32 v92, v80, v65 :: v_dual_mul_f32 v93, v82, v67
	v_add_f32_e32 v57, v57, v58
	v_fmac_f32_e32 v91, v79, v62
	v_fma_f32 v58, v78, v62, -v59
	s_wait_loadcnt_dscnt 0x100
	v_dual_mul_f32 v94, v84, v69 :: v_dual_mul_f32 v95, v86, v71
	v_dual_add_f32 v56, v57, v56 :: v_dual_mul_f32 v57, v83, v67
	v_dual_fmac_f32 v92, v81, v64 :: v_dual_fmac_f32 v93, v83, v66
	s_delay_alu instid0(VALU_DEP_3) | instskip(NEXT) | instid1(VALU_DEP_3)
	v_fmac_f32_e32 v94, v85, v68
	v_dual_add_f32 v56, v56, v58 :: v_dual_add_f32 v53, 0, v53
	v_mul_f32_e32 v58, v85, v69
	v_fma_f32 v57, v82, v66, -v57
	v_fmac_f32_e32 v95, v87, v70
	s_delay_alu instid0(VALU_DEP_4) | instskip(SKIP_2) | instid1(VALU_DEP_2)
	v_add_f32_e32 v53, v53, v54
	v_mul_f32_e32 v54, v81, v65
	v_fma_f32 v58, v84, v68, -v58
	v_fma_f32 v54, v80, v64, -v54
	s_delay_alu instid0(VALU_DEP_1) | instskip(SKIP_1) | instid1(VALU_DEP_2)
	v_add_f32_e32 v54, v56, v54
	v_mul_f32_e32 v56, v87, v71
	v_add_f32_e32 v54, v54, v57
	s_delay_alu instid0(VALU_DEP_2) | instskip(NEXT) | instid1(VALU_DEP_2)
	v_fma_f32 v56, v86, v70, -v56
	v_add_f32_e32 v54, v54, v58
	s_delay_alu instid0(VALU_DEP_1) | instskip(NEXT) | instid1(VALU_DEP_1)
	v_dual_add_f32 v53, v53, v90 :: v_dual_add_f32 v54, v54, v56
	v_add_f32_e32 v53, v53, v91
	s_delay_alu instid0(VALU_DEP_1) | instskip(NEXT) | instid1(VALU_DEP_1)
	v_add_f32_e32 v53, v53, v92
	v_add_f32_e32 v53, v53, v93
	s_delay_alu instid0(VALU_DEP_1) | instskip(SKIP_1) | instid1(VALU_DEP_1)
	v_add_f32_e32 v53, v53, v94
	s_wait_loadcnt 0x0
	v_dual_add_f32 v56, v53, v95 :: v_dual_sub_f32 v53, v88, v54
	s_delay_alu instid0(VALU_DEP_1)
	v_sub_f32_e32 v54, v89, v56
	scratch_store_b64 off, v[53:54], off offset:136
	v_cmpx_lt_u32_e32 16, v0
	s_cbranch_execz .LBB25_137
; %bb.136:
	scratch_load_b64 v[53:54], off, off offset:128
	v_mov_b32_e32 v56, 0
	s_delay_alu instid0(VALU_DEP_1)
	v_mov_b32_e32 v57, v56
	scratch_store_b64 off, v[56:57], off offset:128
	s_wait_loadcnt 0x0
	ds_store_b64 v55, v[53:54]
.LBB25_137:
	s_wait_alu 0xfffe
	s_or_b32 exec_lo, exec_lo, s0
	s_wait_storecnt_dscnt 0x0
	s_barrier_signal -1
	s_barrier_wait -1
	global_inv scope:SCOPE_SE
	s_clause 0x5
	scratch_load_b128 v[56:59], off, off offset:136
	scratch_load_b128 v[60:63], off, off offset:152
	;; [unrolled: 1-line block ×4, first 2 shown]
	scratch_load_b64 v[88:89], off, off offset:200
	scratch_load_b64 v[90:91], off, off offset:128
	v_mov_b32_e32 v53, 0
	ds_load_2addr_b64 v[72:75], v53 offset0:43 offset1:44
	ds_load_2addr_b64 v[76:79], v53 offset0:45 offset1:46
	;; [unrolled: 1-line block ×4, first 2 shown]
	ds_load_b64 v[92:93], v53 offset:408
	s_mov_b32 s0, exec_lo
	s_wait_loadcnt_dscnt 0x504
	v_mul_f32_e32 v54, v72, v57
	s_wait_loadcnt_dscnt 0x403
	v_dual_mul_f32 v94, v74, v59 :: v_dual_mul_f32 v95, v76, v61
	s_wait_loadcnt_dscnt 0x302
	v_dual_mul_f32 v98, v82, v67 :: v_dual_mul_f32 v57, v73, v57
	s_wait_loadcnt_dscnt 0x100
	v_dual_mul_f32 v101, v92, v89 :: v_dual_fmac_f32 v54, v73, v56
	v_mul_f32_e32 v59, v75, v59
	v_dual_mul_f32 v96, v78, v63 :: v_dual_mul_f32 v97, v80, v65
	v_fma_f32 v57, v72, v56, -v57
	v_fmac_f32_e32 v94, v75, v58
	v_add_f32_e32 v54, 0, v54
	v_mul_f32_e32 v56, v77, v61
	v_fma_f32 v58, v74, v58, -v59
	v_add_f32_e32 v57, 0, v57
	v_mul_f32_e32 v59, v79, v63
	v_dual_fmac_f32 v95, v77, v60 :: v_dual_add_f32 v54, v54, v94
	v_dual_fmac_f32 v96, v79, v62 :: v_dual_fmac_f32 v97, v81, v64
	s_delay_alu instid0(VALU_DEP_4) | instskip(SKIP_1) | instid1(VALU_DEP_4)
	v_add_f32_e32 v57, v57, v58
	v_dual_mul_f32 v99, v84, v69 :: v_dual_mul_f32 v100, v86, v71
	v_add_f32_e32 v54, v54, v95
	v_dual_fmac_f32 v98, v83, v66 :: v_dual_fmac_f32 v101, v93, v88
	s_delay_alu instid0(VALU_DEP_3) | instskip(NEXT) | instid1(VALU_DEP_3)
	v_dual_fmac_f32 v99, v85, v68 :: v_dual_fmac_f32 v100, v87, v70
	v_add_f32_e32 v54, v54, v96
	v_fma_f32 v56, v76, v60, -v56
	v_mul_f32_e32 v58, v81, v65
	v_fma_f32 v59, v78, v62, -v59
	s_delay_alu instid0(VALU_DEP_4) | instskip(NEXT) | instid1(VALU_DEP_1)
	v_add_f32_e32 v54, v54, v97
	v_add_f32_e32 v54, v54, v98
	s_delay_alu instid0(VALU_DEP_1) | instskip(NEXT) | instid1(VALU_DEP_1)
	v_add_f32_e32 v54, v54, v99
	v_add_f32_e32 v54, v54, v100
	s_delay_alu instid0(VALU_DEP_1) | instskip(SKIP_2) | instid1(VALU_DEP_2)
	v_add_f32_e32 v54, v54, v101
	v_dual_add_f32 v56, v57, v56 :: v_dual_mul_f32 v57, v83, v67
	v_fma_f32 v58, v80, v64, -v58
	v_dual_add_f32 v56, v56, v59 :: v_dual_mul_f32 v59, v85, v69
	s_delay_alu instid0(VALU_DEP_3) | instskip(NEXT) | instid1(VALU_DEP_2)
	v_fma_f32 v57, v82, v66, -v57
	v_add_f32_e32 v56, v56, v58
	v_mul_f32_e32 v58, v87, v71
	s_delay_alu instid0(VALU_DEP_4) | instskip(NEXT) | instid1(VALU_DEP_3)
	v_fma_f32 v59, v84, v68, -v59
	v_add_f32_e32 v56, v56, v57
	v_mul_f32_e32 v57, v93, v89
	s_delay_alu instid0(VALU_DEP_4) | instskip(NEXT) | instid1(VALU_DEP_3)
	v_fma_f32 v58, v86, v70, -v58
	v_add_f32_e32 v56, v56, v59
	s_delay_alu instid0(VALU_DEP_3) | instskip(NEXT) | instid1(VALU_DEP_2)
	v_fma_f32 v57, v92, v88, -v57
	v_add_f32_e32 v56, v56, v58
	s_wait_loadcnt 0x0
	s_delay_alu instid0(VALU_DEP_1) | instskip(NEXT) | instid1(VALU_DEP_1)
	v_dual_add_f32 v56, v56, v57 :: v_dual_sub_f32 v57, v91, v54
	v_sub_f32_e32 v56, v90, v56
	scratch_store_b64 off, v[56:57], off offset:128
	v_cmpx_lt_u32_e32 15, v0
	s_cbranch_execz .LBB25_139
; %bb.138:
	scratch_load_b64 v[56:57], off, off offset:120
	v_mov_b32_e32 v54, v53
	scratch_store_b64 off, v[53:54], off offset:120
	s_wait_loadcnt 0x0
	ds_store_b64 v55, v[56:57]
.LBB25_139:
	s_wait_alu 0xfffe
	s_or_b32 exec_lo, exec_lo, s0
	s_wait_storecnt_dscnt 0x0
	s_barrier_signal -1
	s_barrier_wait -1
	global_inv scope:SCOPE_SE
	s_clause 0x5
	scratch_load_b128 v[56:59], off, off offset:128
	scratch_load_b128 v[60:63], off, off offset:144
	scratch_load_b128 v[64:67], off, off offset:160
	scratch_load_b128 v[68:71], off, off offset:176
	scratch_load_b128 v[72:75], off, off offset:192
	scratch_load_b64 v[96:97], off, off offset:120
	ds_load_b128 v[76:79], v53 offset:336
	ds_load_b128 v[80:83], v53 offset:352
	;; [unrolled: 1-line block ×5, first 2 shown]
	s_mov_b32 s0, exec_lo
	s_wait_loadcnt_dscnt 0x504
	v_dual_mul_f32 v53, v76, v57 :: v_dual_mul_f32 v54, v78, v59
	v_mul_f32_e32 v57, v77, v57
	s_wait_loadcnt_dscnt 0x403
	v_dual_mul_f32 v59, v79, v59 :: v_dual_mul_f32 v98, v80, v61
	s_delay_alu instid0(VALU_DEP_3) | instskip(NEXT) | instid1(VALU_DEP_3)
	v_dual_mul_f32 v99, v82, v63 :: v_dual_fmac_f32 v54, v79, v58
	v_fma_f32 v57, v76, v56, -v57
	v_fmac_f32_e32 v53, v77, v56
	v_mul_f32_e32 v56, v81, v61
	v_fma_f32 v58, v78, v58, -v59
	v_mul_f32_e32 v59, v83, v63
	v_dual_add_f32 v57, 0, v57 :: v_dual_fmac_f32 v98, v81, v60
	s_delay_alu instid0(VALU_DEP_4) | instskip(SKIP_2) | instid1(VALU_DEP_3)
	v_fma_f32 v56, v80, v60, -v56
	s_wait_loadcnt_dscnt 0x302
	v_dual_mul_f32 v100, v84, v65 :: v_dual_mul_f32 v101, v86, v67
	v_add_f32_e32 v57, v57, v58
	v_fmac_f32_e32 v99, v83, v62
	v_fma_f32 v58, v82, v62, -v59
	s_wait_loadcnt_dscnt 0x201
	v_dual_mul_f32 v102, v88, v69 :: v_dual_mul_f32 v103, v90, v71
	v_dual_add_f32 v56, v57, v56 :: v_dual_mul_f32 v57, v87, v67
	v_fmac_f32_e32 v100, v85, v64
	s_wait_loadcnt_dscnt 0x100
	v_dual_mul_f32 v104, v92, v73 :: v_dual_mul_f32 v105, v94, v75
	s_delay_alu instid0(VALU_DEP_3) | instskip(SKIP_3) | instid1(VALU_DEP_4)
	v_dual_add_f32 v56, v56, v58 :: v_dual_add_f32 v53, 0, v53
	v_mul_f32_e32 v58, v89, v69
	v_fma_f32 v57, v86, v66, -v57
	v_dual_fmac_f32 v101, v87, v66 :: v_dual_fmac_f32 v102, v89, v68
	v_add_f32_e32 v53, v53, v54
	v_mul_f32_e32 v54, v85, v65
	v_fma_f32 v58, v88, v68, -v58
	v_dual_fmac_f32 v103, v91, v70 :: v_dual_fmac_f32 v104, v93, v72
	s_delay_alu instid0(VALU_DEP_3) | instskip(NEXT) | instid1(VALU_DEP_1)
	v_fma_f32 v54, v84, v64, -v54
	v_add_f32_e32 v54, v56, v54
	v_mul_f32_e32 v56, v91, v71
	s_delay_alu instid0(VALU_DEP_2) | instskip(SKIP_1) | instid1(VALU_DEP_3)
	v_dual_add_f32 v54, v54, v57 :: v_dual_add_f32 v53, v53, v98
	v_mul_f32_e32 v57, v93, v73
	v_fma_f32 v56, v90, v70, -v56
	s_delay_alu instid0(VALU_DEP_3) | instskip(SKIP_3) | instid1(VALU_DEP_4)
	v_add_f32_e32 v54, v54, v58
	v_mul_f32_e32 v58, v95, v75
	v_add_f32_e32 v53, v53, v99
	v_fma_f32 v57, v92, v72, -v57
	v_dual_add_f32 v54, v54, v56 :: v_dual_fmac_f32 v105, v95, v74
	s_delay_alu instid0(VALU_DEP_3) | instskip(SKIP_1) | instid1(VALU_DEP_3)
	v_add_f32_e32 v53, v53, v100
	v_fma_f32 v56, v94, v74, -v58
	v_add_f32_e32 v54, v54, v57
	s_delay_alu instid0(VALU_DEP_1) | instskip(NEXT) | instid1(VALU_DEP_1)
	v_dual_add_f32 v53, v53, v101 :: v_dual_add_f32 v54, v54, v56
	v_add_f32_e32 v53, v53, v102
	s_delay_alu instid0(VALU_DEP_1) | instskip(NEXT) | instid1(VALU_DEP_1)
	v_add_f32_e32 v53, v53, v103
	v_add_f32_e32 v53, v53, v104
	s_wait_loadcnt 0x0
	s_delay_alu instid0(VALU_DEP_1) | instskip(NEXT) | instid1(VALU_DEP_1)
	v_dual_add_f32 v56, v53, v105 :: v_dual_sub_f32 v53, v96, v54
	v_sub_f32_e32 v54, v97, v56
	scratch_store_b64 off, v[53:54], off offset:120
	v_cmpx_lt_u32_e32 14, v0
	s_cbranch_execz .LBB25_141
; %bb.140:
	scratch_load_b64 v[53:54], off, off offset:112
	v_mov_b32_e32 v56, 0
	s_delay_alu instid0(VALU_DEP_1)
	v_mov_b32_e32 v57, v56
	scratch_store_b64 off, v[56:57], off offset:112
	s_wait_loadcnt 0x0
	ds_store_b64 v55, v[53:54]
.LBB25_141:
	s_wait_alu 0xfffe
	s_or_b32 exec_lo, exec_lo, s0
	s_wait_storecnt_dscnt 0x0
	s_barrier_signal -1
	s_barrier_wait -1
	global_inv scope:SCOPE_SE
	s_clause 0x6
	scratch_load_b128 v[56:59], off, off offset:120
	scratch_load_b128 v[60:63], off, off offset:136
	;; [unrolled: 1-line block ×5, first 2 shown]
	scratch_load_b64 v[96:97], off, off offset:200
	scratch_load_b64 v[98:99], off, off offset:112
	v_mov_b32_e32 v53, 0
	ds_load_2addr_b64 v[76:79], v53 offset0:41 offset1:42
	ds_load_2addr_b64 v[80:83], v53 offset0:43 offset1:44
	ds_load_2addr_b64 v[84:87], v53 offset0:45 offset1:46
	ds_load_2addr_b64 v[88:91], v53 offset0:47 offset1:48
	ds_load_2addr_b64 v[92:95], v53 offset0:49 offset1:50
	ds_load_b64 v[100:101], v53 offset:408
	s_mov_b32 s0, exec_lo
	s_wait_loadcnt_dscnt 0x605
	v_mul_f32_e32 v54, v76, v57
	v_dual_mul_f32 v57, v77, v57 :: v_dual_mul_f32 v102, v78, v59
	s_wait_loadcnt_dscnt 0x302
	v_dual_mul_f32 v103, v80, v61 :: v_dual_mul_f32 v108, v90, v71
	s_wait_loadcnt_dscnt 0x100
	v_dual_mul_f32 v111, v100, v97 :: v_dual_fmac_f32 v54, v77, v56
	v_mul_f32_e32 v59, v79, v59
	v_fma_f32 v57, v76, v56, -v57
	v_mul_f32_e32 v56, v81, v61
	v_fmac_f32_e32 v102, v79, v58
	v_add_f32_e32 v54, 0, v54
	v_fma_f32 v58, v78, v58, -v59
	v_add_f32_e32 v57, 0, v57
	v_mul_f32_e32 v59, v83, v63
	s_delay_alu instid0(VALU_DEP_4) | instskip(SKIP_1) | instid1(VALU_DEP_4)
	v_dual_fmac_f32 v103, v81, v60 :: v_dual_add_f32 v54, v54, v102
	v_fma_f32 v56, v80, v60, -v56
	v_dual_add_f32 v57, v57, v58 :: v_dual_mul_f32 v104, v82, v63
	v_mul_f32_e32 v105, v84, v65
	v_mul_f32_e32 v58, v85, v65
	v_fma_f32 v59, v82, v62, -v59
	v_add_f32_e32 v54, v54, v103
	v_add_f32_e32 v56, v57, v56
	v_dual_fmac_f32 v104, v83, v62 :: v_dual_fmac_f32 v105, v85, v64
	v_mul_f32_e32 v57, v87, v67
	v_fma_f32 v58, v84, v64, -v58
	s_delay_alu instid0(VALU_DEP_4) | instskip(SKIP_4) | instid1(VALU_DEP_3)
	v_dual_add_f32 v56, v56, v59 :: v_dual_mul_f32 v59, v89, v69
	v_dual_mul_f32 v106, v86, v67 :: v_dual_mul_f32 v107, v88, v69
	v_dual_mul_f32 v109, v92, v73 :: v_dual_mul_f32 v110, v94, v75
	v_add_f32_e32 v54, v54, v104
	v_fma_f32 v57, v86, v66, -v57
	v_dual_add_f32 v56, v56, v58 :: v_dual_fmac_f32 v109, v93, v72
	v_dual_fmac_f32 v106, v87, v66 :: v_dual_fmac_f32 v107, v89, v68
	v_mul_f32_e32 v58, v91, v71
	s_delay_alu instid0(VALU_DEP_3)
	v_add_f32_e32 v56, v56, v57
	v_mul_f32_e32 v57, v93, v73
	v_dual_add_f32 v54, v54, v105 :: v_dual_fmac_f32 v111, v101, v96
	v_fma_f32 v59, v88, v68, -v59
	v_fmac_f32_e32 v108, v91, v70
	v_fma_f32 v58, v90, v70, -v58
	s_delay_alu instid0(VALU_DEP_4)
	v_add_f32_e32 v54, v54, v106
	v_fma_f32 v57, v92, v72, -v57
	v_add_f32_e32 v56, v56, v59
	v_mul_f32_e32 v59, v95, v75
	v_fmac_f32_e32 v110, v95, v74
	v_add_f32_e32 v54, v54, v107
	s_delay_alu instid0(VALU_DEP_4) | instskip(SKIP_2) | instid1(VALU_DEP_4)
	v_add_f32_e32 v56, v56, v58
	v_mul_f32_e32 v58, v101, v97
	v_fma_f32 v59, v94, v74, -v59
	v_add_f32_e32 v54, v54, v108
	s_delay_alu instid0(VALU_DEP_4) | instskip(NEXT) | instid1(VALU_DEP_4)
	v_add_f32_e32 v56, v56, v57
	v_fma_f32 v57, v100, v96, -v58
	s_delay_alu instid0(VALU_DEP_3) | instskip(NEXT) | instid1(VALU_DEP_3)
	v_add_f32_e32 v54, v54, v109
	v_add_f32_e32 v56, v56, v59
	s_delay_alu instid0(VALU_DEP_2) | instskip(NEXT) | instid1(VALU_DEP_2)
	v_add_f32_e32 v54, v54, v110
	v_add_f32_e32 v56, v56, v57
	s_delay_alu instid0(VALU_DEP_2) | instskip(SKIP_1) | instid1(VALU_DEP_1)
	v_add_f32_e32 v54, v54, v111
	s_wait_loadcnt 0x0
	v_dual_sub_f32 v56, v98, v56 :: v_dual_sub_f32 v57, v99, v54
	scratch_store_b64 off, v[56:57], off offset:112
	v_cmpx_lt_u32_e32 13, v0
	s_cbranch_execz .LBB25_143
; %bb.142:
	scratch_load_b64 v[56:57], off, off offset:104
	v_mov_b32_e32 v54, v53
	scratch_store_b64 off, v[53:54], off offset:104
	s_wait_loadcnt 0x0
	ds_store_b64 v55, v[56:57]
.LBB25_143:
	s_wait_alu 0xfffe
	s_or_b32 exec_lo, exec_lo, s0
	s_wait_storecnt_dscnt 0x0
	s_barrier_signal -1
	s_barrier_wait -1
	global_inv scope:SCOPE_SE
	s_clause 0x6
	scratch_load_b128 v[56:59], off, off offset:112
	scratch_load_b128 v[60:63], off, off offset:128
	;; [unrolled: 1-line block ×6, first 2 shown]
	scratch_load_b64 v[104:105], off, off offset:104
	ds_load_b128 v[80:83], v53 offset:320
	ds_load_b128 v[84:87], v53 offset:336
	;; [unrolled: 1-line block ×6, first 2 shown]
	s_mov_b32 s0, exec_lo
	s_wait_loadcnt_dscnt 0x605
	v_dual_mul_f32 v53, v80, v57 :: v_dual_mul_f32 v54, v82, v59
	v_mul_f32_e32 v57, v81, v57
	s_wait_loadcnt_dscnt 0x504
	v_dual_mul_f32 v59, v83, v59 :: v_dual_mul_f32 v106, v84, v61
	s_delay_alu instid0(VALU_DEP_3) | instskip(NEXT) | instid1(VALU_DEP_3)
	v_dual_mul_f32 v107, v86, v63 :: v_dual_fmac_f32 v54, v83, v58
	v_fma_f32 v57, v80, v56, -v57
	v_fmac_f32_e32 v53, v81, v56
	v_mul_f32_e32 v56, v85, v61
	v_fma_f32 v58, v82, v58, -v59
	v_mul_f32_e32 v59, v87, v63
	v_dual_add_f32 v57, 0, v57 :: v_dual_fmac_f32 v106, v85, v60
	s_delay_alu instid0(VALU_DEP_4) | instskip(SKIP_2) | instid1(VALU_DEP_3)
	v_fma_f32 v56, v84, v60, -v56
	s_wait_loadcnt_dscnt 0x403
	v_dual_mul_f32 v108, v88, v65 :: v_dual_mul_f32 v109, v90, v67
	v_add_f32_e32 v57, v57, v58
	v_fmac_f32_e32 v107, v87, v62
	v_fma_f32 v58, v86, v62, -v59
	s_wait_loadcnt_dscnt 0x302
	v_dual_mul_f32 v110, v92, v69 :: v_dual_mul_f32 v111, v94, v71
	v_dual_add_f32 v56, v57, v56 :: v_dual_mul_f32 v57, v91, v67
	v_fmac_f32_e32 v108, v89, v64
	s_wait_loadcnt_dscnt 0x201
	v_dual_mul_f32 v112, v96, v73 :: v_dual_mul_f32 v113, v98, v75
	s_delay_alu instid0(VALU_DEP_3) | instskip(SKIP_3) | instid1(VALU_DEP_4)
	v_dual_add_f32 v56, v56, v58 :: v_dual_add_f32 v53, 0, v53
	v_mul_f32_e32 v58, v93, v69
	v_fma_f32 v57, v90, v66, -v57
	v_dual_fmac_f32 v109, v91, v66 :: v_dual_fmac_f32 v110, v93, v68
	v_add_f32_e32 v53, v53, v54
	v_mul_f32_e32 v54, v89, v65
	v_fma_f32 v58, v92, v68, -v58
	v_dual_fmac_f32 v111, v95, v70 :: v_dual_fmac_f32 v112, v97, v72
	s_wait_loadcnt_dscnt 0x100
	v_dual_mul_f32 v114, v100, v77 :: v_dual_mul_f32 v115, v102, v79
	v_fma_f32 v54, v88, v64, -v54
	s_delay_alu instid0(VALU_DEP_2) | instskip(NEXT) | instid1(VALU_DEP_3)
	v_dual_fmac_f32 v113, v99, v74 :: v_dual_fmac_f32 v114, v101, v76
	v_fmac_f32_e32 v115, v103, v78
	s_delay_alu instid0(VALU_DEP_3) | instskip(SKIP_1) | instid1(VALU_DEP_2)
	v_add_f32_e32 v54, v56, v54
	v_mul_f32_e32 v56, v95, v71
	v_dual_add_f32 v54, v54, v57 :: v_dual_add_f32 v53, v53, v106
	v_mul_f32_e32 v57, v97, v73
	s_delay_alu instid0(VALU_DEP_3) | instskip(NEXT) | instid1(VALU_DEP_3)
	v_fma_f32 v56, v94, v70, -v56
	v_add_f32_e32 v54, v54, v58
	v_mul_f32_e32 v58, v99, v75
	v_add_f32_e32 v53, v53, v107
	v_fma_f32 v57, v96, v72, -v57
	s_delay_alu instid0(VALU_DEP_4) | instskip(SKIP_1) | instid1(VALU_DEP_4)
	v_add_f32_e32 v54, v54, v56
	v_mul_f32_e32 v56, v101, v77
	v_add_f32_e32 v53, v53, v108
	v_fma_f32 v58, v98, v74, -v58
	s_delay_alu instid0(VALU_DEP_4) | instskip(NEXT) | instid1(VALU_DEP_3)
	v_dual_add_f32 v54, v54, v57 :: v_dual_mul_f32 v57, v103, v79
	v_add_f32_e32 v53, v53, v109
	v_fma_f32 v56, v100, v76, -v56
	s_delay_alu instid0(VALU_DEP_3) | instskip(NEXT) | instid1(VALU_DEP_4)
	v_add_f32_e32 v54, v54, v58
	v_fma_f32 v57, v102, v78, -v57
	s_delay_alu instid0(VALU_DEP_2) | instskip(NEXT) | instid1(VALU_DEP_1)
	v_dual_add_f32 v53, v53, v110 :: v_dual_add_f32 v54, v54, v56
	v_dual_add_f32 v53, v53, v111 :: v_dual_add_f32 v54, v54, v57
	s_delay_alu instid0(VALU_DEP_1) | instskip(NEXT) | instid1(VALU_DEP_1)
	v_add_f32_e32 v53, v53, v112
	v_add_f32_e32 v53, v53, v113
	s_delay_alu instid0(VALU_DEP_1) | instskip(SKIP_1) | instid1(VALU_DEP_1)
	v_add_f32_e32 v53, v53, v114
	s_wait_loadcnt 0x0
	v_dual_add_f32 v56, v53, v115 :: v_dual_sub_f32 v53, v104, v54
	s_delay_alu instid0(VALU_DEP_1)
	v_sub_f32_e32 v54, v105, v56
	scratch_store_b64 off, v[53:54], off offset:104
	v_cmpx_lt_u32_e32 12, v0
	s_cbranch_execz .LBB25_145
; %bb.144:
	scratch_load_b64 v[53:54], off, off offset:96
	v_mov_b32_e32 v56, 0
	s_delay_alu instid0(VALU_DEP_1)
	v_mov_b32_e32 v57, v56
	scratch_store_b64 off, v[56:57], off offset:96
	s_wait_loadcnt 0x0
	ds_store_b64 v55, v[53:54]
.LBB25_145:
	s_wait_alu 0xfffe
	s_or_b32 exec_lo, exec_lo, s0
	s_wait_storecnt_dscnt 0x0
	s_barrier_signal -1
	s_barrier_wait -1
	global_inv scope:SCOPE_SE
	s_clause 0x7
	scratch_load_b128 v[56:59], off, off offset:104
	scratch_load_b128 v[60:63], off, off offset:120
	scratch_load_b128 v[64:67], off, off offset:136
	scratch_load_b128 v[68:71], off, off offset:152
	scratch_load_b128 v[72:75], off, off offset:168
	scratch_load_b128 v[76:79], off, off offset:184
	scratch_load_b64 v[104:105], off, off offset:200
	scratch_load_b64 v[106:107], off, off offset:96
	v_mov_b32_e32 v53, 0
	ds_load_2addr_b64 v[80:83], v53 offset0:39 offset1:40
	ds_load_2addr_b64 v[84:87], v53 offset0:41 offset1:42
	;; [unrolled: 1-line block ×6, first 2 shown]
	ds_load_b64 v[108:109], v53 offset:408
	s_mov_b32 s0, exec_lo
	s_wait_loadcnt_dscnt 0x706
	v_mul_f32_e32 v54, v80, v57
	v_dual_mul_f32 v57, v81, v57 :: v_dual_mul_f32 v110, v82, v59
	s_wait_loadcnt_dscnt 0x302
	v_dual_mul_f32 v111, v84, v61 :: v_dual_mul_f32 v118, v98, v75
	v_mul_f32_e32 v59, v83, v59
	s_wait_loadcnt_dscnt 0x100
	v_dual_mul_f32 v121, v108, v105 :: v_dual_fmac_f32 v54, v81, v56
	v_fma_f32 v57, v80, v56, -v57
	v_mul_f32_e32 v56, v85, v61
	v_fmac_f32_e32 v110, v83, v58
	v_fma_f32 v58, v82, v58, -v59
	v_dual_add_f32 v54, 0, v54 :: v_dual_mul_f32 v59, v87, v63
	v_add_f32_e32 v57, 0, v57
	v_fmac_f32_e32 v111, v85, v60
	v_fma_f32 v56, v84, v60, -v56
	s_delay_alu instid0(VALU_DEP_4)
	v_add_f32_e32 v54, v54, v110
	v_fma_f32 v59, v86, v62, -v59
	v_add_f32_e32 v57, v57, v58
	v_mul_f32_e32 v58, v89, v65
	v_dual_mul_f32 v112, v86, v63 :: v_dual_mul_f32 v113, v88, v65
	v_add_f32_e32 v54, v54, v111
	s_delay_alu instid0(VALU_DEP_4) | instskip(NEXT) | instid1(VALU_DEP_4)
	v_dual_add_f32 v56, v57, v56 :: v_dual_mul_f32 v57, v91, v67
	v_fma_f32 v58, v88, v64, -v58
	v_dual_mul_f32 v116, v94, v71 :: v_dual_mul_f32 v117, v96, v73
	s_delay_alu instid0(VALU_DEP_3) | instskip(NEXT) | instid1(VALU_DEP_4)
	v_dual_add_f32 v56, v56, v59 :: v_dual_mul_f32 v59, v93, v69
	v_fma_f32 v57, v90, v66, -v57
	v_dual_mul_f32 v119, v100, v77 :: v_dual_mul_f32 v120, v102, v79
	s_delay_alu instid0(VALU_DEP_3) | instskip(SKIP_1) | instid1(VALU_DEP_3)
	v_dual_add_f32 v56, v56, v58 :: v_dual_fmac_f32 v117, v97, v72
	v_dual_fmac_f32 v112, v87, v62 :: v_dual_fmac_f32 v113, v89, v64
	v_dual_mul_f32 v58, v95, v71 :: v_dual_fmac_f32 v119, v101, v76
	v_fma_f32 v59, v92, v68, -v59
	s_delay_alu instid0(VALU_DEP_4) | instskip(SKIP_3) | instid1(VALU_DEP_4)
	v_dual_add_f32 v56, v56, v57 :: v_dual_fmac_f32 v121, v109, v104
	v_dual_mul_f32 v114, v90, v67 :: v_dual_mul_f32 v115, v92, v69
	v_dual_add_f32 v54, v54, v112 :: v_dual_mul_f32 v57, v97, v73
	v_fma_f32 v58, v94, v70, -v58
	v_add_f32_e32 v56, v56, v59
	s_delay_alu instid0(VALU_DEP_4) | instskip(NEXT) | instid1(VALU_DEP_4)
	v_dual_fmac_f32 v114, v91, v66 :: v_dual_fmac_f32 v115, v93, v68
	v_dual_add_f32 v54, v54, v113 :: v_dual_mul_f32 v59, v99, v75
	v_fma_f32 v57, v96, v72, -v57
	s_delay_alu instid0(VALU_DEP_4)
	v_add_f32_e32 v56, v56, v58
	v_fmac_f32_e32 v116, v95, v70
	v_mul_f32_e32 v58, v101, v77
	v_fma_f32 v59, v98, v74, -v59
	v_fmac_f32_e32 v118, v99, v74
	v_dual_add_f32 v56, v56, v57 :: v_dual_mul_f32 v57, v103, v79
	v_add_f32_e32 v54, v54, v114
	v_fma_f32 v58, v100, v76, -v58
	v_fmac_f32_e32 v120, v103, v78
	s_delay_alu instid0(VALU_DEP_4) | instskip(NEXT) | instid1(VALU_DEP_4)
	v_dual_add_f32 v56, v56, v59 :: v_dual_mul_f32 v59, v109, v105
	v_add_f32_e32 v54, v54, v115
	v_fma_f32 v57, v102, v78, -v57
	s_delay_alu instid0(VALU_DEP_3) | instskip(NEXT) | instid1(VALU_DEP_4)
	v_add_f32_e32 v56, v56, v58
	v_fma_f32 v58, v108, v104, -v59
	s_delay_alu instid0(VALU_DEP_4) | instskip(NEXT) | instid1(VALU_DEP_3)
	v_add_f32_e32 v54, v54, v116
	v_add_f32_e32 v56, v56, v57
	s_delay_alu instid0(VALU_DEP_2) | instskip(NEXT) | instid1(VALU_DEP_2)
	v_add_f32_e32 v54, v54, v117
	v_add_f32_e32 v56, v56, v58
	s_delay_alu instid0(VALU_DEP_2) | instskip(SKIP_1) | instid1(VALU_DEP_2)
	v_add_f32_e32 v54, v54, v118
	s_wait_loadcnt 0x0
	v_sub_f32_e32 v56, v106, v56
	s_delay_alu instid0(VALU_DEP_2) | instskip(NEXT) | instid1(VALU_DEP_1)
	v_add_f32_e32 v54, v54, v119
	v_add_f32_e32 v54, v54, v120
	s_delay_alu instid0(VALU_DEP_1) | instskip(NEXT) | instid1(VALU_DEP_1)
	v_add_f32_e32 v54, v54, v121
	v_sub_f32_e32 v57, v107, v54
	scratch_store_b64 off, v[56:57], off offset:96
	v_cmpx_lt_u32_e32 11, v0
	s_cbranch_execz .LBB25_147
; %bb.146:
	scratch_load_b64 v[56:57], off, off offset:88
	v_mov_b32_e32 v54, v53
	scratch_store_b64 off, v[53:54], off offset:88
	s_wait_loadcnt 0x0
	ds_store_b64 v55, v[56:57]
.LBB25_147:
	s_wait_alu 0xfffe
	s_or_b32 exec_lo, exec_lo, s0
	s_wait_storecnt_dscnt 0x0
	s_barrier_signal -1
	s_barrier_wait -1
	global_inv scope:SCOPE_SE
	s_clause 0x7
	scratch_load_b128 v[56:59], off, off offset:96
	scratch_load_b128 v[60:63], off, off offset:112
	;; [unrolled: 1-line block ×7, first 2 shown]
	scratch_load_b64 v[112:113], off, off offset:88
	ds_load_b128 v[84:87], v53 offset:304
	ds_load_b128 v[88:91], v53 offset:320
	;; [unrolled: 1-line block ×7, first 2 shown]
	s_mov_b32 s0, exec_lo
	s_wait_loadcnt_dscnt 0x706
	v_dual_mul_f32 v53, v84, v57 :: v_dual_mul_f32 v54, v86, v59
	v_mul_f32_e32 v57, v85, v57
	s_wait_loadcnt_dscnt 0x605
	v_dual_mul_f32 v59, v87, v59 :: v_dual_mul_f32 v114, v88, v61
	s_delay_alu instid0(VALU_DEP_3) | instskip(NEXT) | instid1(VALU_DEP_3)
	v_dual_mul_f32 v115, v90, v63 :: v_dual_fmac_f32 v54, v87, v58
	v_fma_f32 v57, v84, v56, -v57
	v_fmac_f32_e32 v53, v85, v56
	v_mul_f32_e32 v56, v89, v61
	v_fma_f32 v58, v86, v58, -v59
	v_mul_f32_e32 v59, v91, v63
	v_dual_add_f32 v57, 0, v57 :: v_dual_fmac_f32 v114, v89, v60
	s_delay_alu instid0(VALU_DEP_4) | instskip(SKIP_2) | instid1(VALU_DEP_3)
	v_fma_f32 v56, v88, v60, -v56
	s_wait_loadcnt_dscnt 0x504
	v_dual_mul_f32 v116, v92, v65 :: v_dual_mul_f32 v117, v94, v67
	v_add_f32_e32 v57, v57, v58
	v_fmac_f32_e32 v115, v91, v62
	v_fma_f32 v58, v90, v62, -v59
	s_wait_loadcnt_dscnt 0x403
	v_dual_mul_f32 v118, v96, v69 :: v_dual_mul_f32 v119, v98, v71
	v_dual_add_f32 v56, v57, v56 :: v_dual_mul_f32 v57, v95, v67
	v_fmac_f32_e32 v116, v93, v64
	s_wait_loadcnt_dscnt 0x302
	v_dual_mul_f32 v120, v100, v73 :: v_dual_mul_f32 v121, v102, v75
	s_delay_alu instid0(VALU_DEP_3) | instskip(SKIP_3) | instid1(VALU_DEP_4)
	v_dual_add_f32 v56, v56, v58 :: v_dual_add_f32 v53, 0, v53
	v_mul_f32_e32 v58, v97, v69
	v_fma_f32 v57, v94, v66, -v57
	v_dual_fmac_f32 v117, v95, v66 :: v_dual_fmac_f32 v118, v97, v68
	v_add_f32_e32 v53, v53, v54
	v_mul_f32_e32 v54, v93, v65
	v_fma_f32 v58, v96, v68, -v58
	v_dual_fmac_f32 v119, v99, v70 :: v_dual_fmac_f32 v120, v101, v72
	s_wait_loadcnt_dscnt 0x201
	v_dual_mul_f32 v122, v104, v77 :: v_dual_mul_f32 v123, v106, v79
	v_fma_f32 v54, v92, v64, -v54
	s_wait_loadcnt_dscnt 0x100
	v_dual_mul_f32 v124, v108, v81 :: v_dual_mul_f32 v125, v110, v83
	s_delay_alu instid0(VALU_DEP_3) | instskip(NEXT) | instid1(VALU_DEP_3)
	v_dual_fmac_f32 v121, v103, v74 :: v_dual_fmac_f32 v122, v105, v76
	v_add_f32_e32 v54, v56, v54
	v_mul_f32_e32 v56, v99, v71
	s_delay_alu instid0(VALU_DEP_4) | instskip(NEXT) | instid1(VALU_DEP_3)
	v_dual_fmac_f32 v124, v109, v80 :: v_dual_fmac_f32 v125, v111, v82
	v_dual_fmac_f32 v123, v107, v78 :: v_dual_add_f32 v54, v54, v57
	v_add_f32_e32 v53, v53, v114
	v_mul_f32_e32 v57, v101, v73
	v_fma_f32 v56, v98, v70, -v56
	s_delay_alu instid0(VALU_DEP_4) | instskip(SKIP_3) | instid1(VALU_DEP_4)
	v_add_f32_e32 v54, v54, v58
	v_mul_f32_e32 v58, v103, v75
	v_add_f32_e32 v53, v53, v115
	v_fma_f32 v57, v100, v72, -v57
	v_add_f32_e32 v54, v54, v56
	v_mul_f32_e32 v56, v105, v77
	s_delay_alu instid0(VALU_DEP_4) | instskip(SKIP_1) | instid1(VALU_DEP_4)
	v_add_f32_e32 v53, v53, v116
	v_fma_f32 v58, v102, v74, -v58
	v_dual_add_f32 v54, v54, v57 :: v_dual_mul_f32 v57, v107, v79
	s_delay_alu instid0(VALU_DEP_3) | instskip(SKIP_1) | instid1(VALU_DEP_3)
	v_add_f32_e32 v53, v53, v117
	v_fma_f32 v56, v104, v76, -v56
	v_add_f32_e32 v54, v54, v58
	s_delay_alu instid0(VALU_DEP_4) | instskip(NEXT) | instid1(VALU_DEP_4)
	v_fma_f32 v57, v106, v78, -v57
	v_add_f32_e32 v53, v53, v118
	v_mul_f32_e32 v58, v109, v81
	s_delay_alu instid0(VALU_DEP_4) | instskip(SKIP_1) | instid1(VALU_DEP_4)
	v_add_f32_e32 v54, v54, v56
	v_mul_f32_e32 v56, v111, v83
	v_add_f32_e32 v53, v53, v119
	s_delay_alu instid0(VALU_DEP_4) | instskip(NEXT) | instid1(VALU_DEP_4)
	v_fma_f32 v58, v108, v80, -v58
	v_add_f32_e32 v54, v54, v57
	s_delay_alu instid0(VALU_DEP_4) | instskip(NEXT) | instid1(VALU_DEP_2)
	v_fma_f32 v56, v110, v82, -v56
	v_dual_add_f32 v53, v53, v120 :: v_dual_add_f32 v54, v54, v58
	s_delay_alu instid0(VALU_DEP_1) | instskip(NEXT) | instid1(VALU_DEP_1)
	v_dual_add_f32 v53, v53, v121 :: v_dual_add_f32 v54, v54, v56
	v_add_f32_e32 v53, v53, v122
	s_delay_alu instid0(VALU_DEP_1) | instskip(NEXT) | instid1(VALU_DEP_1)
	v_add_f32_e32 v53, v53, v123
	v_add_f32_e32 v53, v53, v124
	s_wait_loadcnt 0x0
	s_delay_alu instid0(VALU_DEP_1) | instskip(NEXT) | instid1(VALU_DEP_1)
	v_dual_add_f32 v56, v53, v125 :: v_dual_sub_f32 v53, v112, v54
	v_sub_f32_e32 v54, v113, v56
	scratch_store_b64 off, v[53:54], off offset:88
	v_cmpx_lt_u32_e32 10, v0
	s_cbranch_execz .LBB25_149
; %bb.148:
	scratch_load_b64 v[53:54], off, off offset:80
	v_mov_b32_e32 v56, 0
	s_delay_alu instid0(VALU_DEP_1)
	v_mov_b32_e32 v57, v56
	scratch_store_b64 off, v[56:57], off offset:80
	s_wait_loadcnt 0x0
	ds_store_b64 v55, v[53:54]
.LBB25_149:
	s_wait_alu 0xfffe
	s_or_b32 exec_lo, exec_lo, s0
	s_wait_storecnt_dscnt 0x0
	s_barrier_signal -1
	s_barrier_wait -1
	global_inv scope:SCOPE_SE
	s_clause 0x8
	scratch_load_b128 v[56:59], off, off offset:88
	scratch_load_b128 v[60:63], off, off offset:104
	;; [unrolled: 1-line block ×7, first 2 shown]
	scratch_load_b64 v[112:113], off, off offset:200
	scratch_load_b64 v[114:115], off, off offset:80
	v_mov_b32_e32 v53, 0
	ds_load_2addr_b64 v[84:87], v53 offset0:37 offset1:38
	ds_load_2addr_b64 v[88:91], v53 offset0:39 offset1:40
	;; [unrolled: 1-line block ×7, first 2 shown]
	ds_load_b64 v[116:117], v53 offset:408
	s_mov_b32 s0, exec_lo
	s_wait_loadcnt_dscnt 0x807
	v_mul_f32_e32 v54, v84, v57
	v_dual_mul_f32 v57, v85, v57 :: v_dual_mul_f32 v118, v86, v59
	s_wait_loadcnt_dscnt 0x706
	v_mul_f32_e32 v119, v88, v61
	v_mul_f32_e32 v59, v87, v59
	s_wait_loadcnt_dscnt 0x302
	v_mul_f32_e32 v128, v106, v79
	v_fma_f32 v57, v84, v56, -v57
	s_wait_loadcnt_dscnt 0x100
	v_dual_mul_f32 v131, v116, v113 :: v_dual_fmac_f32 v54, v85, v56
	v_mul_f32_e32 v56, v89, v61
	s_delay_alu instid0(VALU_DEP_3) | instskip(SKIP_1) | instid1(VALU_DEP_4)
	v_dual_fmac_f32 v118, v87, v58 :: v_dual_add_f32 v57, 0, v57
	v_fma_f32 v58, v86, v58, -v59
	v_dual_add_f32 v54, 0, v54 :: v_dual_mul_f32 v59, v91, v63
	v_fmac_f32_e32 v119, v89, v60
	v_fma_f32 v56, v88, v60, -v56
	v_dual_mul_f32 v120, v90, v63 :: v_dual_mul_f32 v121, v92, v65
	s_delay_alu instid0(VALU_DEP_4)
	v_add_f32_e32 v54, v54, v118
	v_add_f32_e32 v57, v57, v58
	v_mul_f32_e32 v58, v93, v65
	v_fma_f32 v59, v90, v62, -v59
	v_dual_mul_f32 v124, v98, v71 :: v_dual_mul_f32 v125, v100, v73
	v_add_f32_e32 v54, v54, v119
	v_dual_add_f32 v56, v57, v56 :: v_dual_mul_f32 v57, v95, v67
	v_fma_f32 v58, v92, v64, -v58
	v_dual_mul_f32 v126, v102, v75 :: v_dual_mul_f32 v127, v104, v77
	s_delay_alu instid0(VALU_DEP_3) | instskip(NEXT) | instid1(VALU_DEP_4)
	v_dual_add_f32 v56, v56, v59 :: v_dual_mul_f32 v59, v97, v69
	v_fma_f32 v57, v94, v66, -v57
	v_dual_mul_f32 v129, v108, v81 :: v_dual_mul_f32 v130, v110, v83
	s_delay_alu instid0(VALU_DEP_3) | instskip(SKIP_3) | instid1(VALU_DEP_4)
	v_dual_add_f32 v56, v56, v58 :: v_dual_fmac_f32 v125, v101, v72
	v_dual_fmac_f32 v120, v91, v62 :: v_dual_fmac_f32 v121, v93, v64
	v_dual_mul_f32 v58, v99, v71 :: v_dual_fmac_f32 v127, v105, v76
	v_fma_f32 v59, v96, v68, -v59
	v_dual_add_f32 v56, v56, v57 :: v_dual_fmac_f32 v129, v109, v80
	s_delay_alu instid0(VALU_DEP_4) | instskip(NEXT) | instid1(VALU_DEP_4)
	v_dual_add_f32 v54, v54, v120 :: v_dual_mul_f32 v57, v101, v73
	v_fma_f32 v58, v98, v70, -v58
	s_delay_alu instid0(VALU_DEP_3) | instskip(SKIP_3) | instid1(VALU_DEP_4)
	v_dual_add_f32 v56, v56, v59 :: v_dual_fmac_f32 v131, v117, v112
	v_dual_mul_f32 v122, v94, v67 :: v_dual_mul_f32 v123, v96, v69
	v_mul_f32_e32 v59, v103, v75
	v_fma_f32 v57, v100, v72, -v57
	v_add_f32_e32 v56, v56, v58
	s_delay_alu instid0(VALU_DEP_4) | instskip(SKIP_4) | instid1(VALU_DEP_4)
	v_dual_fmac_f32 v122, v95, v66 :: v_dual_fmac_f32 v123, v97, v68
	v_add_f32_e32 v54, v54, v121
	v_mul_f32_e32 v58, v105, v77
	v_fma_f32 v59, v102, v74, -v59
	v_dual_add_f32 v56, v56, v57 :: v_dual_mul_f32 v57, v107, v79
	v_add_f32_e32 v54, v54, v122
	s_delay_alu instid0(VALU_DEP_4) | instskip(SKIP_1) | instid1(VALU_DEP_4)
	v_fma_f32 v58, v104, v76, -v58
	v_fmac_f32_e32 v124, v99, v70
	v_dual_add_f32 v56, v56, v59 :: v_dual_mul_f32 v59, v109, v81
	s_delay_alu instid0(VALU_DEP_4) | instskip(SKIP_2) | instid1(VALU_DEP_4)
	v_add_f32_e32 v54, v54, v123
	v_fma_f32 v57, v106, v78, -v57
	v_fmac_f32_e32 v126, v103, v74
	v_add_f32_e32 v56, v56, v58
	v_fmac_f32_e32 v128, v107, v78
	v_mul_f32_e32 v58, v111, v83
	v_fma_f32 v59, v108, v80, -v59
	v_fmac_f32_e32 v130, v111, v82
	v_add_f32_e32 v56, v56, v57
	v_dual_mul_f32 v57, v117, v113 :: v_dual_add_f32 v54, v54, v124
	v_fma_f32 v58, v110, v82, -v58
	s_delay_alu instid0(VALU_DEP_3) | instskip(NEXT) | instid1(VALU_DEP_3)
	v_add_f32_e32 v56, v56, v59
	v_fma_f32 v57, v116, v112, -v57
	s_delay_alu instid0(VALU_DEP_4) | instskip(NEXT) | instid1(VALU_DEP_3)
	v_add_f32_e32 v54, v54, v125
	v_add_f32_e32 v56, v56, v58
	s_delay_alu instid0(VALU_DEP_2) | instskip(NEXT) | instid1(VALU_DEP_2)
	v_add_f32_e32 v54, v54, v126
	v_add_f32_e32 v56, v56, v57
	s_delay_alu instid0(VALU_DEP_2) | instskip(SKIP_1) | instid1(VALU_DEP_2)
	v_add_f32_e32 v54, v54, v127
	s_wait_loadcnt 0x0
	v_sub_f32_e32 v56, v114, v56
	s_delay_alu instid0(VALU_DEP_2) | instskip(NEXT) | instid1(VALU_DEP_1)
	v_add_f32_e32 v54, v54, v128
	v_add_f32_e32 v54, v54, v129
	s_delay_alu instid0(VALU_DEP_1) | instskip(NEXT) | instid1(VALU_DEP_1)
	v_add_f32_e32 v54, v54, v130
	v_add_f32_e32 v54, v54, v131
	s_delay_alu instid0(VALU_DEP_1)
	v_sub_f32_e32 v57, v115, v54
	scratch_store_b64 off, v[56:57], off offset:80
	v_cmpx_lt_u32_e32 9, v0
	s_cbranch_execz .LBB25_151
; %bb.150:
	scratch_load_b64 v[56:57], off, off offset:72
	v_mov_b32_e32 v54, v53
	scratch_store_b64 off, v[53:54], off offset:72
	s_wait_loadcnt 0x0
	ds_store_b64 v55, v[56:57]
.LBB25_151:
	s_wait_alu 0xfffe
	s_or_b32 exec_lo, exec_lo, s0
	s_wait_storecnt_dscnt 0x0
	s_barrier_signal -1
	s_barrier_wait -1
	global_inv scope:SCOPE_SE
	s_clause 0x8
	scratch_load_b128 v[56:59], off, off offset:80
	scratch_load_b128 v[60:63], off, off offset:96
	;; [unrolled: 1-line block ×8, first 2 shown]
	scratch_load_b64 v[120:121], off, off offset:72
	ds_load_b128 v[88:91], v53 offset:288
	ds_load_b128 v[92:95], v53 offset:304
	;; [unrolled: 1-line block ×8, first 2 shown]
	s_mov_b32 s0, exec_lo
	s_wait_loadcnt_dscnt 0x807
	v_dual_mul_f32 v53, v88, v57 :: v_dual_mul_f32 v54, v90, v59
	v_mul_f32_e32 v57, v89, v57
	s_wait_loadcnt_dscnt 0x706
	v_dual_mul_f32 v59, v91, v59 :: v_dual_mul_f32 v122, v92, v61
	s_delay_alu instid0(VALU_DEP_3) | instskip(NEXT) | instid1(VALU_DEP_3)
	v_dual_mul_f32 v123, v94, v63 :: v_dual_fmac_f32 v54, v91, v58
	v_fma_f32 v57, v88, v56, -v57
	v_fmac_f32_e32 v53, v89, v56
	v_mul_f32_e32 v56, v93, v61
	v_fma_f32 v58, v90, v58, -v59
	v_mul_f32_e32 v59, v95, v63
	v_dual_add_f32 v57, 0, v57 :: v_dual_fmac_f32 v122, v93, v60
	s_delay_alu instid0(VALU_DEP_4) | instskip(SKIP_2) | instid1(VALU_DEP_3)
	v_fma_f32 v56, v92, v60, -v56
	s_wait_loadcnt_dscnt 0x605
	v_dual_mul_f32 v124, v96, v65 :: v_dual_mul_f32 v125, v98, v67
	v_add_f32_e32 v57, v57, v58
	v_fmac_f32_e32 v123, v95, v62
	v_fma_f32 v58, v94, v62, -v59
	s_wait_loadcnt_dscnt 0x504
	v_dual_mul_f32 v126, v100, v69 :: v_dual_mul_f32 v127, v102, v71
	v_dual_add_f32 v56, v57, v56 :: v_dual_mul_f32 v57, v99, v67
	v_fmac_f32_e32 v124, v97, v64
	s_wait_loadcnt_dscnt 0x403
	v_dual_mul_f32 v128, v104, v73 :: v_dual_mul_f32 v129, v106, v75
	s_delay_alu instid0(VALU_DEP_3) | instskip(SKIP_3) | instid1(VALU_DEP_4)
	v_dual_add_f32 v56, v56, v58 :: v_dual_add_f32 v53, 0, v53
	v_mul_f32_e32 v58, v101, v69
	v_fma_f32 v57, v98, v66, -v57
	v_dual_fmac_f32 v125, v99, v66 :: v_dual_fmac_f32 v126, v101, v68
	v_add_f32_e32 v53, v53, v54
	v_mul_f32_e32 v54, v97, v65
	v_fma_f32 v58, v100, v68, -v58
	v_dual_fmac_f32 v127, v103, v70 :: v_dual_fmac_f32 v128, v105, v72
	s_wait_loadcnt_dscnt 0x302
	v_dual_mul_f32 v130, v108, v77 :: v_dual_mul_f32 v131, v110, v79
	v_fma_f32 v54, v96, v64, -v54
	s_wait_loadcnt_dscnt 0x201
	v_dual_mul_f32 v132, v112, v81 :: v_dual_mul_f32 v133, v114, v83
	s_wait_loadcnt_dscnt 0x100
	v_dual_mul_f32 v134, v116, v85 :: v_dual_mul_f32 v135, v118, v87
	v_add_f32_e32 v54, v56, v54
	v_mul_f32_e32 v56, v103, v71
	v_dual_fmac_f32 v132, v113, v80 :: v_dual_fmac_f32 v133, v115, v82
	s_delay_alu instid0(VALU_DEP_4) | instskip(NEXT) | instid1(VALU_DEP_4)
	v_dual_fmac_f32 v134, v117, v84 :: v_dual_fmac_f32 v135, v119, v86
	v_dual_add_f32 v54, v54, v57 :: v_dual_add_f32 v53, v53, v122
	v_mul_f32_e32 v57, v105, v73
	v_fma_f32 v56, v102, v70, -v56
	v_fmac_f32_e32 v129, v107, v74
	s_delay_alu instid0(VALU_DEP_4)
	v_add_f32_e32 v54, v54, v58
	v_mul_f32_e32 v58, v107, v75
	v_add_f32_e32 v53, v53, v123
	v_fma_f32 v57, v104, v72, -v57
	v_fmac_f32_e32 v130, v109, v76
	v_add_f32_e32 v54, v54, v56
	v_mul_f32_e32 v56, v109, v77
	v_add_f32_e32 v53, v53, v124
	v_fma_f32 v58, v106, v74, -v58
	s_delay_alu instid0(VALU_DEP_4) | instskip(SKIP_1) | instid1(VALU_DEP_4)
	v_dual_fmac_f32 v131, v111, v78 :: v_dual_add_f32 v54, v54, v57
	v_mul_f32_e32 v57, v111, v79
	v_add_f32_e32 v53, v53, v125
	v_fma_f32 v56, v108, v76, -v56
	s_delay_alu instid0(VALU_DEP_4) | instskip(NEXT) | instid1(VALU_DEP_4)
	v_add_f32_e32 v54, v54, v58
	v_fma_f32 v57, v110, v78, -v57
	s_delay_alu instid0(VALU_DEP_4) | instskip(SKIP_1) | instid1(VALU_DEP_4)
	v_add_f32_e32 v53, v53, v126
	v_mul_f32_e32 v58, v113, v81
	v_add_f32_e32 v54, v54, v56
	v_mul_f32_e32 v56, v115, v83
	s_delay_alu instid0(VALU_DEP_4) | instskip(NEXT) | instid1(VALU_DEP_4)
	v_add_f32_e32 v53, v53, v127
	v_fma_f32 v58, v112, v80, -v58
	s_delay_alu instid0(VALU_DEP_4) | instskip(SKIP_1) | instid1(VALU_DEP_4)
	v_add_f32_e32 v54, v54, v57
	v_mul_f32_e32 v57, v117, v85
	v_add_f32_e32 v53, v53, v128
	v_fma_f32 v56, v114, v82, -v56
	s_delay_alu instid0(VALU_DEP_4) | instskip(NEXT) | instid1(VALU_DEP_3)
	v_add_f32_e32 v54, v54, v58
	v_dual_mul_f32 v58, v119, v87 :: v_dual_add_f32 v53, v53, v129
	v_fma_f32 v57, v116, v84, -v57
	s_delay_alu instid0(VALU_DEP_3) | instskip(NEXT) | instid1(VALU_DEP_3)
	v_add_f32_e32 v54, v54, v56
	v_fma_f32 v56, v118, v86, -v58
	s_delay_alu instid0(VALU_DEP_2) | instskip(NEXT) | instid1(VALU_DEP_1)
	v_dual_add_f32 v53, v53, v130 :: v_dual_add_f32 v54, v54, v57
	v_dual_add_f32 v53, v53, v131 :: v_dual_add_f32 v54, v54, v56
	s_delay_alu instid0(VALU_DEP_1) | instskip(NEXT) | instid1(VALU_DEP_1)
	v_add_f32_e32 v53, v53, v132
	v_add_f32_e32 v53, v53, v133
	s_delay_alu instid0(VALU_DEP_1) | instskip(SKIP_1) | instid1(VALU_DEP_1)
	v_add_f32_e32 v53, v53, v134
	s_wait_loadcnt 0x0
	v_dual_add_f32 v56, v53, v135 :: v_dual_sub_f32 v53, v120, v54
	s_delay_alu instid0(VALU_DEP_1)
	v_sub_f32_e32 v54, v121, v56
	scratch_store_b64 off, v[53:54], off offset:72
	v_cmpx_lt_u32_e32 8, v0
	s_cbranch_execz .LBB25_153
; %bb.152:
	scratch_load_b64 v[53:54], off, off offset:64
	v_mov_b32_e32 v56, 0
	s_delay_alu instid0(VALU_DEP_1)
	v_mov_b32_e32 v57, v56
	scratch_store_b64 off, v[56:57], off offset:64
	s_wait_loadcnt 0x0
	ds_store_b64 v55, v[53:54]
.LBB25_153:
	s_wait_alu 0xfffe
	s_or_b32 exec_lo, exec_lo, s0
	s_wait_storecnt_dscnt 0x0
	s_barrier_signal -1
	s_barrier_wait -1
	global_inv scope:SCOPE_SE
	s_clause 0x9
	scratch_load_b128 v[56:59], off, off offset:72
	scratch_load_b128 v[60:63], off, off offset:88
	;; [unrolled: 1-line block ×8, first 2 shown]
	scratch_load_b64 v[120:121], off, off offset:200
	scratch_load_b64 v[122:123], off, off offset:64
	v_mov_b32_e32 v53, 0
	ds_load_2addr_b64 v[88:91], v53 offset0:35 offset1:36
	ds_load_2addr_b64 v[92:95], v53 offset0:37 offset1:38
	;; [unrolled: 1-line block ×8, first 2 shown]
	ds_load_b64 v[124:125], v53 offset:408
	s_mov_b32 s0, exec_lo
	s_wait_loadcnt_dscnt 0x908
	v_mul_f32_e32 v54, v88, v57
	s_wait_loadcnt_dscnt 0x807
	v_dual_mul_f32 v126, v90, v59 :: v_dual_mul_f32 v127, v92, v61
	v_mul_f32_e32 v57, v89, v57
	s_delay_alu instid0(VALU_DEP_3)
	v_dual_mul_f32 v59, v91, v59 :: v_dual_fmac_f32 v54, v89, v56
	s_wait_loadcnt_dscnt 0x302
	v_mul_f32_e32 v138, v114, v83
	v_dual_mul_f32 v128, v94, v63 :: v_dual_mul_f32 v129, v96, v65
	s_wait_loadcnt_dscnt 0x100
	v_mul_f32_e32 v141, v124, v121
	v_fma_f32 v57, v88, v56, -v57
	v_mul_f32_e32 v56, v93, v61
	v_fmac_f32_e32 v126, v91, v58
	v_fma_f32 v58, v90, v58, -v59
	v_dual_add_f32 v54, 0, v54 :: v_dual_mul_f32 v59, v95, v63
	v_add_f32_e32 v57, 0, v57
	v_fmac_f32_e32 v127, v93, v60
	v_fma_f32 v56, v92, v60, -v56
	s_delay_alu instid0(VALU_DEP_4)
	v_add_f32_e32 v54, v54, v126
	v_fma_f32 v59, v94, v62, -v59
	v_add_f32_e32 v57, v57, v58
	v_mul_f32_e32 v58, v97, v65
	v_dual_mul_f32 v132, v102, v71 :: v_dual_mul_f32 v133, v104, v73
	v_add_f32_e32 v54, v54, v127
	s_delay_alu instid0(VALU_DEP_4) | instskip(NEXT) | instid1(VALU_DEP_4)
	v_dual_add_f32 v56, v57, v56 :: v_dual_mul_f32 v57, v99, v67
	v_fma_f32 v58, v96, v64, -v58
	v_dual_mul_f32 v134, v106, v75 :: v_dual_mul_f32 v135, v108, v77
	s_delay_alu instid0(VALU_DEP_3) | instskip(NEXT) | instid1(VALU_DEP_4)
	v_dual_add_f32 v56, v56, v59 :: v_dual_mul_f32 v59, v101, v69
	v_fma_f32 v57, v98, v66, -v57
	v_dual_mul_f32 v136, v110, v79 :: v_dual_mul_f32 v137, v112, v81
	s_delay_alu instid0(VALU_DEP_3) | instskip(SKIP_3) | instid1(VALU_DEP_4)
	v_dual_add_f32 v56, v56, v58 :: v_dual_fmac_f32 v133, v105, v72
	v_dual_fmac_f32 v128, v95, v62 :: v_dual_fmac_f32 v129, v97, v64
	v_dual_mul_f32 v58, v103, v71 :: v_dual_fmac_f32 v135, v109, v76
	v_fma_f32 v59, v100, v68, -v59
	v_dual_add_f32 v56, v56, v57 :: v_dual_fmac_f32 v137, v113, v80
	v_dual_mul_f32 v139, v116, v85 :: v_dual_mul_f32 v140, v118, v87
	v_dual_add_f32 v54, v54, v128 :: v_dual_mul_f32 v57, v105, v73
	v_fma_f32 v58, v102, v70, -v58
	s_delay_alu instid0(VALU_DEP_3) | instskip(SKIP_3) | instid1(VALU_DEP_4)
	v_dual_add_f32 v56, v56, v59 :: v_dual_fmac_f32 v139, v117, v84
	v_dual_mul_f32 v130, v98, v67 :: v_dual_mul_f32 v131, v100, v69
	v_mul_f32_e32 v59, v107, v75
	v_fma_f32 v57, v104, v72, -v57
	v_add_f32_e32 v56, v56, v58
	s_delay_alu instid0(VALU_DEP_4) | instskip(SKIP_4) | instid1(VALU_DEP_4)
	v_dual_fmac_f32 v130, v99, v66 :: v_dual_fmac_f32 v131, v101, v68
	v_add_f32_e32 v54, v54, v129
	v_mul_f32_e32 v58, v109, v77
	v_fma_f32 v59, v106, v74, -v59
	v_dual_add_f32 v56, v56, v57 :: v_dual_mul_f32 v57, v111, v79
	v_add_f32_e32 v54, v54, v130
	s_delay_alu instid0(VALU_DEP_4) | instskip(SKIP_1) | instid1(VALU_DEP_4)
	v_fma_f32 v58, v108, v76, -v58
	v_fmac_f32_e32 v132, v103, v70
	v_dual_add_f32 v56, v56, v59 :: v_dual_mul_f32 v59, v113, v81
	s_delay_alu instid0(VALU_DEP_4) | instskip(SKIP_1) | instid1(VALU_DEP_3)
	v_dual_add_f32 v54, v54, v131 :: v_dual_fmac_f32 v141, v125, v120
	v_fma_f32 v57, v110, v78, -v57
	v_add_f32_e32 v56, v56, v58
	v_fmac_f32_e32 v134, v107, v74
	v_fmac_f32_e32 v136, v111, v78
	v_mul_f32_e32 v58, v115, v83
	v_fma_f32 v59, v112, v80, -v59
	v_add_f32_e32 v56, v56, v57
	v_dual_mul_f32 v57, v117, v85 :: v_dual_add_f32 v54, v54, v132
	v_fmac_f32_e32 v138, v115, v82
	v_fma_f32 v58, v114, v82, -v58
	s_delay_alu instid0(VALU_DEP_4) | instskip(NEXT) | instid1(VALU_DEP_4)
	v_add_f32_e32 v56, v56, v59
	v_dual_mul_f32 v59, v119, v87 :: v_dual_add_f32 v54, v54, v133
	v_fma_f32 v57, v116, v84, -v57
	v_fmac_f32_e32 v140, v119, v86
	s_delay_alu instid0(VALU_DEP_4) | instskip(SKIP_3) | instid1(VALU_DEP_4)
	v_add_f32_e32 v56, v56, v58
	v_mul_f32_e32 v58, v125, v121
	v_add_f32_e32 v54, v54, v134
	v_fma_f32 v59, v118, v86, -v59
	v_add_f32_e32 v56, v56, v57
	s_delay_alu instid0(VALU_DEP_4) | instskip(NEXT) | instid1(VALU_DEP_4)
	v_fma_f32 v57, v124, v120, -v58
	v_add_f32_e32 v54, v54, v135
	s_delay_alu instid0(VALU_DEP_3) | instskip(NEXT) | instid1(VALU_DEP_2)
	v_add_f32_e32 v56, v56, v59
	v_add_f32_e32 v54, v54, v136
	s_delay_alu instid0(VALU_DEP_2) | instskip(NEXT) | instid1(VALU_DEP_2)
	v_add_f32_e32 v56, v56, v57
	v_add_f32_e32 v54, v54, v137
	s_wait_loadcnt 0x0
	s_delay_alu instid0(VALU_DEP_2) | instskip(NEXT) | instid1(VALU_DEP_2)
	v_sub_f32_e32 v56, v122, v56
	v_add_f32_e32 v54, v54, v138
	s_delay_alu instid0(VALU_DEP_1) | instskip(NEXT) | instid1(VALU_DEP_1)
	v_add_f32_e32 v54, v54, v139
	v_add_f32_e32 v54, v54, v140
	s_delay_alu instid0(VALU_DEP_1) | instskip(NEXT) | instid1(VALU_DEP_1)
	v_add_f32_e32 v54, v54, v141
	v_sub_f32_e32 v57, v123, v54
	scratch_store_b64 off, v[56:57], off offset:64
	v_cmpx_lt_u32_e32 7, v0
	s_cbranch_execz .LBB25_155
; %bb.154:
	scratch_load_b64 v[56:57], off, off offset:56
	v_mov_b32_e32 v54, v53
	scratch_store_b64 off, v[53:54], off offset:56
	s_wait_loadcnt 0x0
	ds_store_b64 v55, v[56:57]
.LBB25_155:
	s_wait_alu 0xfffe
	s_or_b32 exec_lo, exec_lo, s0
	s_wait_storecnt_dscnt 0x0
	s_barrier_signal -1
	s_barrier_wait -1
	global_inv scope:SCOPE_SE
	s_clause 0x9
	scratch_load_b128 v[56:59], off, off offset:64
	scratch_load_b128 v[60:63], off, off offset:80
	;; [unrolled: 1-line block ×9, first 2 shown]
	scratch_load_b64 v[128:129], off, off offset:56
	ds_load_b128 v[92:95], v53 offset:272
	ds_load_b128 v[96:99], v53 offset:288
	;; [unrolled: 1-line block ×9, first 2 shown]
	s_mov_b32 s0, exec_lo
	s_wait_loadcnt_dscnt 0x908
	v_dual_mul_f32 v53, v92, v57 :: v_dual_mul_f32 v54, v94, v59
	v_mul_f32_e32 v57, v93, v57
	s_wait_loadcnt_dscnt 0x807
	v_dual_mul_f32 v59, v95, v59 :: v_dual_mul_f32 v130, v96, v61
	s_delay_alu instid0(VALU_DEP_3) | instskip(NEXT) | instid1(VALU_DEP_3)
	v_dual_mul_f32 v131, v98, v63 :: v_dual_fmac_f32 v54, v95, v58
	v_fma_f32 v57, v92, v56, -v57
	v_fmac_f32_e32 v53, v93, v56
	v_mul_f32_e32 v56, v97, v61
	v_fma_f32 v58, v94, v58, -v59
	v_mul_f32_e32 v59, v99, v63
	v_dual_add_f32 v57, 0, v57 :: v_dual_fmac_f32 v130, v97, v60
	s_delay_alu instid0(VALU_DEP_4) | instskip(SKIP_2) | instid1(VALU_DEP_3)
	v_fma_f32 v56, v96, v60, -v56
	s_wait_loadcnt_dscnt 0x706
	v_dual_mul_f32 v132, v100, v65 :: v_dual_mul_f32 v133, v102, v67
	v_add_f32_e32 v57, v57, v58
	v_fmac_f32_e32 v131, v99, v62
	v_fma_f32 v58, v98, v62, -v59
	s_wait_loadcnt_dscnt 0x605
	v_dual_mul_f32 v134, v104, v69 :: v_dual_mul_f32 v135, v106, v71
	v_dual_add_f32 v56, v57, v56 :: v_dual_mul_f32 v57, v103, v67
	v_fmac_f32_e32 v132, v101, v64
	s_wait_loadcnt_dscnt 0x504
	v_dual_mul_f32 v136, v108, v73 :: v_dual_mul_f32 v137, v110, v75
	s_delay_alu instid0(VALU_DEP_3) | instskip(SKIP_3) | instid1(VALU_DEP_4)
	v_dual_add_f32 v56, v56, v58 :: v_dual_add_f32 v53, 0, v53
	v_mul_f32_e32 v58, v105, v69
	v_fma_f32 v57, v102, v66, -v57
	v_dual_fmac_f32 v133, v103, v66 :: v_dual_fmac_f32 v134, v105, v68
	v_add_f32_e32 v53, v53, v54
	v_mul_f32_e32 v54, v101, v65
	v_fma_f32 v58, v104, v68, -v58
	v_dual_fmac_f32 v135, v107, v70 :: v_dual_fmac_f32 v136, v109, v72
	s_wait_loadcnt_dscnt 0x403
	v_dual_mul_f32 v138, v112, v77 :: v_dual_mul_f32 v139, v114, v79
	v_fma_f32 v54, v100, v64, -v54
	s_wait_loadcnt_dscnt 0x302
	v_dual_mul_f32 v140, v116, v81 :: v_dual_mul_f32 v141, v118, v83
	s_wait_loadcnt_dscnt 0x201
	v_dual_mul_f32 v142, v120, v85 :: v_dual_mul_f32 v143, v122, v87
	v_add_f32_e32 v54, v56, v54
	v_mul_f32_e32 v56, v107, v71
	v_dual_fmac_f32 v140, v117, v80 :: v_dual_fmac_f32 v141, v119, v82
	s_delay_alu instid0(VALU_DEP_4) | instskip(NEXT) | instid1(VALU_DEP_4)
	v_dual_fmac_f32 v142, v121, v84 :: v_dual_fmac_f32 v143, v123, v86
	v_dual_add_f32 v54, v54, v57 :: v_dual_add_f32 v53, v53, v130
	v_mul_f32_e32 v57, v109, v73
	v_fma_f32 v56, v106, v70, -v56
	v_fmac_f32_e32 v137, v111, v74
	s_delay_alu instid0(VALU_DEP_4)
	v_add_f32_e32 v54, v54, v58
	v_mul_f32_e32 v58, v111, v75
	v_add_f32_e32 v53, v53, v131
	v_fma_f32 v57, v108, v72, -v57
	v_fmac_f32_e32 v138, v113, v76
	v_add_f32_e32 v54, v54, v56
	v_mul_f32_e32 v56, v113, v77
	v_add_f32_e32 v53, v53, v132
	v_fma_f32 v58, v110, v74, -v58
	s_delay_alu instid0(VALU_DEP_4) | instskip(SKIP_1) | instid1(VALU_DEP_4)
	v_dual_fmac_f32 v139, v115, v78 :: v_dual_add_f32 v54, v54, v57
	v_mul_f32_e32 v57, v115, v79
	v_add_f32_e32 v53, v53, v133
	v_fma_f32 v56, v112, v76, -v56
	s_wait_loadcnt_dscnt 0x100
	v_dual_mul_f32 v144, v124, v89 :: v_dual_mul_f32 v145, v126, v91
	v_add_f32_e32 v54, v54, v58
	v_add_f32_e32 v53, v53, v134
	v_fma_f32 v57, v114, v78, -v57
	v_mul_f32_e32 v58, v117, v81
	v_dual_fmac_f32 v144, v125, v88 :: v_dual_fmac_f32 v145, v127, v90
	s_delay_alu instid0(VALU_DEP_4) | instskip(SKIP_1) | instid1(VALU_DEP_4)
	v_dual_add_f32 v54, v54, v56 :: v_dual_add_f32 v53, v53, v135
	v_mul_f32_e32 v56, v119, v83
	v_fma_f32 v58, v116, v80, -v58
	s_delay_alu instid0(VALU_DEP_3) | instskip(SKIP_1) | instid1(VALU_DEP_4)
	v_dual_add_f32 v54, v54, v57 :: v_dual_add_f32 v53, v53, v136
	v_mul_f32_e32 v57, v121, v85
	v_fma_f32 v56, v118, v82, -v56
	s_delay_alu instid0(VALU_DEP_3) | instskip(SKIP_1) | instid1(VALU_DEP_4)
	;; [unrolled: 4-line block ×4, first 2 shown]
	v_dual_add_f32 v54, v54, v57 :: v_dual_add_f32 v53, v53, v139
	v_mul_f32_e32 v57, v127, v91
	v_fma_f32 v56, v124, v88, -v56
	s_delay_alu instid0(VALU_DEP_3) | instskip(NEXT) | instid1(VALU_DEP_3)
	v_dual_add_f32 v54, v54, v58 :: v_dual_add_f32 v53, v53, v140
	v_fma_f32 v57, v126, v90, -v57
	s_delay_alu instid0(VALU_DEP_2) | instskip(NEXT) | instid1(VALU_DEP_1)
	v_dual_add_f32 v54, v54, v56 :: v_dual_add_f32 v53, v53, v141
	v_dual_add_f32 v54, v54, v57 :: v_dual_add_f32 v53, v53, v142
	s_delay_alu instid0(VALU_DEP_1) | instskip(NEXT) | instid1(VALU_DEP_1)
	v_add_f32_e32 v53, v53, v143
	v_add_f32_e32 v53, v53, v144
	s_wait_loadcnt 0x0
	s_delay_alu instid0(VALU_DEP_1) | instskip(NEXT) | instid1(VALU_DEP_1)
	v_dual_add_f32 v56, v53, v145 :: v_dual_sub_f32 v53, v128, v54
	v_sub_f32_e32 v54, v129, v56
	scratch_store_b64 off, v[53:54], off offset:56
	v_cmpx_lt_u32_e32 6, v0
	s_cbranch_execz .LBB25_157
; %bb.156:
	scratch_load_b64 v[53:54], off, off offset:48
	v_mov_b32_e32 v56, 0
	s_delay_alu instid0(VALU_DEP_1)
	v_mov_b32_e32 v57, v56
	scratch_store_b64 off, v[56:57], off offset:48
	s_wait_loadcnt 0x0
	ds_store_b64 v55, v[53:54]
.LBB25_157:
	s_wait_alu 0xfffe
	s_or_b32 exec_lo, exec_lo, s0
	s_wait_storecnt_dscnt 0x0
	s_barrier_signal -1
	s_barrier_wait -1
	global_inv scope:SCOPE_SE
	s_clause 0xa
	scratch_load_b128 v[56:59], off, off offset:56
	scratch_load_b128 v[60:63], off, off offset:72
	;; [unrolled: 1-line block ×9, first 2 shown]
	scratch_load_b64 v[128:129], off, off offset:200
	scratch_load_b64 v[130:131], off, off offset:48
	v_mov_b32_e32 v53, 0
	ds_load_2addr_b64 v[92:95], v53 offset0:33 offset1:34
	ds_load_2addr_b64 v[96:99], v53 offset0:35 offset1:36
	;; [unrolled: 1-line block ×9, first 2 shown]
	ds_load_b64 v[132:133], v53 offset:408
	s_mov_b32 s0, exec_lo
	s_wait_loadcnt_dscnt 0xa09
	v_mul_f32_e32 v54, v92, v57
	s_wait_loadcnt_dscnt 0x908
	v_dual_mul_f32 v134, v94, v59 :: v_dual_mul_f32 v135, v96, v61
	v_mul_f32_e32 v57, v93, v57
	s_delay_alu instid0(VALU_DEP_3)
	v_dual_mul_f32 v59, v95, v59 :: v_dual_fmac_f32 v54, v93, v56
	s_wait_loadcnt_dscnt 0x807
	v_dual_mul_f32 v136, v98, v63 :: v_dual_mul_f32 v137, v100, v65
	s_wait_loadcnt_dscnt 0x100
	v_dual_mul_f32 v148, v122, v87 :: v_dual_mul_f32 v151, v132, v129
	v_fma_f32 v57, v92, v56, -v57
	v_mul_f32_e32 v56, v97, v61
	v_fmac_f32_e32 v134, v95, v58
	v_fma_f32 v58, v94, v58, -v59
	v_dual_add_f32 v54, 0, v54 :: v_dual_mul_f32 v59, v99, v63
	v_add_f32_e32 v57, 0, v57
	v_fmac_f32_e32 v135, v97, v60
	v_fma_f32 v56, v96, v60, -v56
	s_delay_alu instid0(VALU_DEP_4)
	v_add_f32_e32 v54, v54, v134
	v_fma_f32 v59, v98, v62, -v59
	v_add_f32_e32 v57, v57, v58
	v_mul_f32_e32 v58, v101, v65
	v_dual_mul_f32 v140, v106, v71 :: v_dual_mul_f32 v141, v108, v73
	v_add_f32_e32 v54, v54, v135
	s_delay_alu instid0(VALU_DEP_4) | instskip(NEXT) | instid1(VALU_DEP_4)
	v_dual_add_f32 v56, v57, v56 :: v_dual_mul_f32 v57, v103, v67
	v_fma_f32 v58, v100, v64, -v58
	v_dual_mul_f32 v142, v110, v75 :: v_dual_mul_f32 v143, v112, v77
	s_delay_alu instid0(VALU_DEP_3) | instskip(NEXT) | instid1(VALU_DEP_4)
	v_dual_add_f32 v56, v56, v59 :: v_dual_mul_f32 v59, v105, v69
	v_fma_f32 v57, v102, v66, -v57
	v_dual_mul_f32 v144, v114, v79 :: v_dual_mul_f32 v145, v116, v81
	s_delay_alu instid0(VALU_DEP_3) | instskip(SKIP_3) | instid1(VALU_DEP_4)
	v_dual_add_f32 v56, v56, v58 :: v_dual_fmac_f32 v141, v109, v72
	v_dual_fmac_f32 v136, v99, v62 :: v_dual_fmac_f32 v137, v101, v64
	v_dual_mul_f32 v58, v107, v71 :: v_dual_fmac_f32 v143, v113, v76
	v_fma_f32 v59, v104, v68, -v59
	v_dual_add_f32 v56, v56, v57 :: v_dual_fmac_f32 v145, v117, v80
	v_dual_mul_f32 v146, v118, v83 :: v_dual_mul_f32 v147, v120, v85
	v_dual_add_f32 v54, v54, v136 :: v_dual_mul_f32 v57, v109, v73
	v_fma_f32 v58, v106, v70, -v58
	s_delay_alu instid0(VALU_DEP_3) | instskip(SKIP_1) | instid1(VALU_DEP_4)
	v_dual_add_f32 v56, v56, v59 :: v_dual_fmac_f32 v147, v121, v84
	v_mul_f32_e32 v59, v111, v75
	v_fma_f32 v57, v108, v72, -v57
	v_dual_mul_f32 v138, v102, v67 :: v_dual_mul_f32 v139, v104, v69
	s_delay_alu instid0(VALU_DEP_4) | instskip(SKIP_2) | instid1(VALU_DEP_4)
	v_add_f32_e32 v56, v56, v58
	v_mul_f32_e32 v58, v113, v77
	v_fma_f32 v59, v110, v74, -v59
	v_dual_fmac_f32 v138, v103, v66 :: v_dual_fmac_f32 v139, v105, v68
	s_delay_alu instid0(VALU_DEP_4) | instskip(SKIP_2) | instid1(VALU_DEP_3)
	v_dual_add_f32 v56, v56, v57 :: v_dual_fmac_f32 v151, v133, v128
	v_dual_add_f32 v54, v54, v137 :: v_dual_mul_f32 v57, v115, v79
	v_fma_f32 v58, v112, v76, -v58
	v_dual_add_f32 v56, v56, v59 :: v_dual_mul_f32 v59, v117, v81
	s_delay_alu instid0(VALU_DEP_3) | instskip(NEXT) | instid1(VALU_DEP_4)
	v_add_f32_e32 v54, v54, v138
	v_fma_f32 v57, v114, v78, -v57
	v_dual_mul_f32 v149, v124, v89 :: v_dual_mul_f32 v150, v126, v91
	s_delay_alu instid0(VALU_DEP_4)
	v_add_f32_e32 v56, v56, v58
	v_mul_f32_e32 v58, v119, v83
	v_fma_f32 v59, v116, v80, -v59
	v_fmac_f32_e32 v140, v107, v70
	v_dual_add_f32 v54, v54, v139 :: v_dual_fmac_f32 v149, v125, v88
	v_add_f32_e32 v56, v56, v57
	v_mul_f32_e32 v57, v121, v85
	v_fma_f32 v58, v118, v82, -v58
	s_delay_alu instid0(VALU_DEP_4)
	v_add_f32_e32 v54, v54, v140
	v_fmac_f32_e32 v142, v111, v74
	v_add_f32_e32 v56, v56, v59
	v_mul_f32_e32 v59, v123, v87
	v_fma_f32 v57, v120, v84, -v57
	v_fmac_f32_e32 v144, v115, v78
	v_fmac_f32_e32 v146, v119, v82
	v_add_f32_e32 v56, v56, v58
	v_fma_f32 v59, v122, v86, -v59
	v_mul_f32_e32 v58, v125, v89
	v_fmac_f32_e32 v148, v123, v86
	v_fmac_f32_e32 v150, v127, v90
	v_dual_add_f32 v56, v56, v57 :: v_dual_mul_f32 v57, v127, v91
	v_add_f32_e32 v54, v54, v141
	v_fma_f32 v58, v124, v88, -v58
	s_delay_alu instid0(VALU_DEP_3) | instskip(NEXT) | instid1(VALU_DEP_3)
	v_dual_add_f32 v56, v56, v59 :: v_dual_mul_f32 v59, v133, v129
	v_add_f32_e32 v54, v54, v142
	v_fma_f32 v57, v126, v90, -v57
	s_delay_alu instid0(VALU_DEP_3) | instskip(NEXT) | instid1(VALU_DEP_4)
	v_add_f32_e32 v56, v56, v58
	v_fma_f32 v58, v132, v128, -v59
	s_delay_alu instid0(VALU_DEP_4) | instskip(NEXT) | instid1(VALU_DEP_3)
	v_add_f32_e32 v54, v54, v143
	v_add_f32_e32 v56, v56, v57
	s_delay_alu instid0(VALU_DEP_2) | instskip(NEXT) | instid1(VALU_DEP_2)
	v_add_f32_e32 v54, v54, v144
	v_add_f32_e32 v56, v56, v58
	s_delay_alu instid0(VALU_DEP_2) | instskip(SKIP_1) | instid1(VALU_DEP_2)
	v_add_f32_e32 v54, v54, v145
	s_wait_loadcnt 0x0
	v_sub_f32_e32 v56, v130, v56
	s_delay_alu instid0(VALU_DEP_2) | instskip(NEXT) | instid1(VALU_DEP_1)
	v_add_f32_e32 v54, v54, v146
	v_add_f32_e32 v54, v54, v147
	s_delay_alu instid0(VALU_DEP_1) | instskip(NEXT) | instid1(VALU_DEP_1)
	v_add_f32_e32 v54, v54, v148
	v_add_f32_e32 v54, v54, v149
	s_delay_alu instid0(VALU_DEP_1) | instskip(NEXT) | instid1(VALU_DEP_1)
	v_add_f32_e32 v54, v54, v150
	v_add_f32_e32 v54, v54, v151
	s_delay_alu instid0(VALU_DEP_1)
	v_sub_f32_e32 v57, v131, v54
	scratch_store_b64 off, v[56:57], off offset:48
	v_cmpx_lt_u32_e32 5, v0
	s_cbranch_execz .LBB25_159
; %bb.158:
	scratch_load_b64 v[56:57], off, off offset:40
	v_mov_b32_e32 v54, v53
	scratch_store_b64 off, v[53:54], off offset:40
	s_wait_loadcnt 0x0
	ds_store_b64 v55, v[56:57]
.LBB25_159:
	s_wait_alu 0xfffe
	s_or_b32 exec_lo, exec_lo, s0
	s_wait_storecnt_dscnt 0x0
	s_barrier_signal -1
	s_barrier_wait -1
	global_inv scope:SCOPE_SE
	s_clause 0xa
	scratch_load_b128 v[56:59], off, off offset:48
	scratch_load_b128 v[60:63], off, off offset:64
	;; [unrolled: 1-line block ×10, first 2 shown]
	scratch_load_b64 v[136:137], off, off offset:40
	ds_load_b128 v[96:99], v53 offset:256
	ds_load_b128 v[100:103], v53 offset:272
	;; [unrolled: 1-line block ×10, first 2 shown]
	s_mov_b32 s0, exec_lo
	s_wait_loadcnt_dscnt 0xa09
	v_dual_mul_f32 v53, v96, v57 :: v_dual_mul_f32 v54, v98, v59
	v_mul_f32_e32 v57, v97, v57
	s_wait_loadcnt_dscnt 0x908
	v_dual_mul_f32 v59, v99, v59 :: v_dual_mul_f32 v138, v100, v61
	s_delay_alu instid0(VALU_DEP_3) | instskip(NEXT) | instid1(VALU_DEP_3)
	v_dual_mul_f32 v139, v102, v63 :: v_dual_fmac_f32 v54, v99, v58
	v_fma_f32 v57, v96, v56, -v57
	v_fmac_f32_e32 v53, v97, v56
	v_mul_f32_e32 v56, v101, v61
	v_fma_f32 v58, v98, v58, -v59
	v_mul_f32_e32 v59, v103, v63
	v_dual_add_f32 v57, 0, v57 :: v_dual_fmac_f32 v138, v101, v60
	s_delay_alu instid0(VALU_DEP_4) | instskip(SKIP_2) | instid1(VALU_DEP_3)
	v_fma_f32 v56, v100, v60, -v56
	s_wait_loadcnt_dscnt 0x807
	v_dual_mul_f32 v140, v104, v65 :: v_dual_mul_f32 v141, v106, v67
	v_add_f32_e32 v57, v57, v58
	v_fmac_f32_e32 v139, v103, v62
	v_fma_f32 v58, v102, v62, -v59
	s_wait_loadcnt_dscnt 0x706
	v_dual_mul_f32 v142, v108, v69 :: v_dual_mul_f32 v143, v110, v71
	v_dual_add_f32 v56, v57, v56 :: v_dual_mul_f32 v57, v107, v67
	v_fmac_f32_e32 v140, v105, v64
	s_wait_loadcnt_dscnt 0x605
	v_dual_mul_f32 v144, v112, v73 :: v_dual_mul_f32 v145, v114, v75
	s_delay_alu instid0(VALU_DEP_3) | instskip(SKIP_3) | instid1(VALU_DEP_4)
	v_dual_add_f32 v56, v56, v58 :: v_dual_add_f32 v53, 0, v53
	v_mul_f32_e32 v58, v109, v69
	v_fma_f32 v57, v106, v66, -v57
	v_dual_fmac_f32 v141, v107, v66 :: v_dual_fmac_f32 v142, v109, v68
	v_add_f32_e32 v53, v53, v54
	v_mul_f32_e32 v54, v105, v65
	v_fma_f32 v58, v108, v68, -v58
	v_dual_fmac_f32 v143, v111, v70 :: v_dual_fmac_f32 v144, v113, v72
	s_wait_loadcnt_dscnt 0x504
	v_dual_mul_f32 v146, v116, v77 :: v_dual_mul_f32 v147, v118, v79
	v_fma_f32 v54, v104, v64, -v54
	s_wait_loadcnt_dscnt 0x403
	v_dual_mul_f32 v148, v120, v81 :: v_dual_mul_f32 v149, v122, v83
	s_wait_loadcnt_dscnt 0x302
	v_dual_mul_f32 v150, v124, v85 :: v_dual_mul_f32 v151, v126, v87
	v_add_f32_e32 v54, v56, v54
	v_mul_f32_e32 v56, v111, v71
	v_dual_fmac_f32 v148, v121, v80 :: v_dual_fmac_f32 v149, v123, v82
	s_delay_alu instid0(VALU_DEP_4) | instskip(NEXT) | instid1(VALU_DEP_4)
	v_dual_fmac_f32 v150, v125, v84 :: v_dual_fmac_f32 v151, v127, v86
	v_dual_add_f32 v54, v54, v57 :: v_dual_add_f32 v53, v53, v138
	v_mul_f32_e32 v57, v113, v73
	v_fma_f32 v56, v110, v70, -v56
	v_fmac_f32_e32 v145, v115, v74
	s_delay_alu instid0(VALU_DEP_4)
	v_add_f32_e32 v54, v54, v58
	v_mul_f32_e32 v58, v115, v75
	v_add_f32_e32 v53, v53, v139
	v_fma_f32 v57, v112, v72, -v57
	v_fmac_f32_e32 v146, v117, v76
	v_add_f32_e32 v54, v54, v56
	v_mul_f32_e32 v56, v117, v77
	v_add_f32_e32 v53, v53, v140
	v_fma_f32 v58, v114, v74, -v58
	s_delay_alu instid0(VALU_DEP_4) | instskip(SKIP_1) | instid1(VALU_DEP_4)
	v_dual_fmac_f32 v147, v119, v78 :: v_dual_add_f32 v54, v54, v57
	v_mul_f32_e32 v57, v119, v79
	v_add_f32_e32 v53, v53, v141
	v_fma_f32 v56, v116, v76, -v56
	s_wait_loadcnt_dscnt 0x201
	v_dual_mul_f32 v152, v128, v89 :: v_dual_mul_f32 v153, v130, v91
	v_add_f32_e32 v54, v54, v58
	v_add_f32_e32 v53, v53, v142
	v_fma_f32 v57, v118, v78, -v57
	v_mul_f32_e32 v58, v121, v81
	s_wait_loadcnt_dscnt 0x100
	v_dual_mul_f32 v154, v132, v93 :: v_dual_mul_f32 v155, v134, v95
	v_dual_add_f32 v54, v54, v56 :: v_dual_add_f32 v53, v53, v143
	v_mul_f32_e32 v56, v123, v83
	v_fma_f32 v58, v120, v80, -v58
	v_dual_fmac_f32 v152, v129, v88 :: v_dual_fmac_f32 v153, v131, v90
	s_delay_alu instid0(VALU_DEP_4) | instskip(SKIP_3) | instid1(VALU_DEP_4)
	v_dual_add_f32 v54, v54, v57 :: v_dual_add_f32 v53, v53, v144
	v_mul_f32_e32 v57, v125, v85
	v_fma_f32 v56, v122, v82, -v56
	v_fmac_f32_e32 v155, v135, v94
	v_dual_add_f32 v54, v54, v58 :: v_dual_add_f32 v53, v53, v145
	v_mul_f32_e32 v58, v127, v87
	v_fma_f32 v57, v124, v84, -v57
	s_delay_alu instid0(VALU_DEP_3) | instskip(SKIP_1) | instid1(VALU_DEP_4)
	v_dual_add_f32 v54, v54, v56 :: v_dual_add_f32 v53, v53, v146
	v_mul_f32_e32 v56, v129, v89
	v_fma_f32 v58, v126, v86, -v58
	s_delay_alu instid0(VALU_DEP_3) | instskip(SKIP_1) | instid1(VALU_DEP_4)
	;; [unrolled: 4-line block ×4, first 2 shown]
	v_dual_add_f32 v54, v54, v56 :: v_dual_add_f32 v53, v53, v149
	v_mul_f32_e32 v56, v135, v95
	v_fma_f32 v58, v132, v92, -v58
	s_delay_alu instid0(VALU_DEP_3) | instskip(NEXT) | instid1(VALU_DEP_3)
	v_dual_add_f32 v54, v54, v57 :: v_dual_add_f32 v53, v53, v150
	v_fma_f32 v56, v134, v94, -v56
	s_delay_alu instid0(VALU_DEP_2) | instskip(NEXT) | instid1(VALU_DEP_1)
	v_dual_add_f32 v54, v54, v58 :: v_dual_add_f32 v53, v53, v151
	v_add_f32_e32 v54, v54, v56
	s_delay_alu instid0(VALU_DEP_2) | instskip(SKIP_1) | instid1(VALU_DEP_2)
	v_add_f32_e32 v53, v53, v152
	v_fmac_f32_e32 v154, v133, v92
	v_add_f32_e32 v53, v53, v153
	s_delay_alu instid0(VALU_DEP_1) | instskip(SKIP_1) | instid1(VALU_DEP_1)
	v_add_f32_e32 v53, v53, v154
	s_wait_loadcnt 0x0
	v_dual_add_f32 v56, v53, v155 :: v_dual_sub_f32 v53, v136, v54
	s_delay_alu instid0(VALU_DEP_1)
	v_sub_f32_e32 v54, v137, v56
	scratch_store_b64 off, v[53:54], off offset:40
	v_cmpx_lt_u32_e32 4, v0
	s_cbranch_execz .LBB25_161
; %bb.160:
	scratch_load_b64 v[53:54], off, off offset:32
	v_mov_b32_e32 v56, 0
	s_delay_alu instid0(VALU_DEP_1)
	v_mov_b32_e32 v57, v56
	scratch_store_b64 off, v[56:57], off offset:32
	s_wait_loadcnt 0x0
	ds_store_b64 v55, v[53:54]
.LBB25_161:
	s_wait_alu 0xfffe
	s_or_b32 exec_lo, exec_lo, s0
	s_wait_storecnt_dscnt 0x0
	s_barrier_signal -1
	s_barrier_wait -1
	global_inv scope:SCOPE_SE
	s_clause 0xb
	scratch_load_b128 v[56:59], off, off offset:40
	scratch_load_b128 v[60:63], off, off offset:56
	;; [unrolled: 1-line block ×10, first 2 shown]
	scratch_load_b64 v[136:137], off, off offset:200
	scratch_load_b64 v[138:139], off, off offset:32
	v_mov_b32_e32 v53, 0
	ds_load_2addr_b64 v[96:99], v53 offset0:31 offset1:32
	ds_load_2addr_b64 v[100:103], v53 offset0:33 offset1:34
	;; [unrolled: 1-line block ×10, first 2 shown]
	ds_load_b64 v[140:141], v53 offset:408
	s_mov_b32 s0, exec_lo
	s_wait_loadcnt_dscnt 0xb0a
	v_mul_f32_e32 v54, v96, v57
	s_wait_loadcnt_dscnt 0xa09
	v_dual_mul_f32 v142, v98, v59 :: v_dual_mul_f32 v143, v100, v61
	v_mul_f32_e32 v59, v99, v59
	v_dual_mul_f32 v57, v97, v57 :: v_dual_mul_f32 v144, v102, v63
	s_wait_loadcnt_dscnt 0x908
	v_dual_mul_f32 v145, v104, v65 :: v_dual_fmac_f32 v54, v97, v56
	s_wait_loadcnt_dscnt 0x302
	v_mul_f32_e32 v158, v130, v91
	v_fma_f32 v57, v96, v56, -v57
	s_wait_loadcnt_dscnt 0x100
	v_mul_f32_e32 v161, v140, v137
	v_mul_f32_e32 v56, v101, v61
	v_fmac_f32_e32 v142, v99, v58
	v_fma_f32 v58, v98, v58, -v59
	v_dual_add_f32 v57, 0, v57 :: v_dual_add_f32 v54, 0, v54
	v_mul_f32_e32 v59, v103, v63
	v_fmac_f32_e32 v143, v101, v60
	v_fma_f32 v56, v100, v60, -v56
	v_dual_mul_f32 v148, v110, v71 :: v_dual_mul_f32 v149, v112, v73
	v_add_f32_e32 v54, v54, v142
	v_add_f32_e32 v57, v57, v58
	v_mul_f32_e32 v58, v105, v65
	v_fma_f32 v59, v102, v62, -v59
	v_dual_mul_f32 v150, v114, v75 :: v_dual_mul_f32 v151, v116, v77
	v_add_f32_e32 v54, v54, v143
	v_dual_add_f32 v56, v57, v56 :: v_dual_mul_f32 v57, v107, v67
	v_fma_f32 v58, v104, v64, -v58
	v_dual_mul_f32 v152, v118, v79 :: v_dual_mul_f32 v153, v120, v81
	s_delay_alu instid0(VALU_DEP_3) | instskip(NEXT) | instid1(VALU_DEP_4)
	v_dual_add_f32 v56, v56, v59 :: v_dual_mul_f32 v59, v109, v69
	v_fma_f32 v57, v106, v66, -v57
	v_dual_fmac_f32 v144, v103, v62 :: v_dual_fmac_f32 v145, v105, v64
	s_delay_alu instid0(VALU_DEP_3) | instskip(SKIP_2) | instid1(VALU_DEP_3)
	v_dual_add_f32 v56, v56, v58 :: v_dual_fmac_f32 v149, v113, v72
	v_dual_mul_f32 v58, v111, v71 :: v_dual_fmac_f32 v151, v117, v76
	v_fma_f32 v59, v108, v68, -v59
	v_dual_add_f32 v56, v56, v57 :: v_dual_fmac_f32 v153, v121, v80
	v_dual_mul_f32 v154, v122, v83 :: v_dual_mul_f32 v155, v124, v85
	v_dual_add_f32 v54, v54, v144 :: v_dual_mul_f32 v57, v113, v73
	v_fma_f32 v58, v110, v70, -v58
	s_delay_alu instid0(VALU_DEP_3) | instskip(SKIP_1) | instid1(VALU_DEP_4)
	v_dual_add_f32 v56, v56, v59 :: v_dual_fmac_f32 v155, v125, v84
	v_mul_f32_e32 v59, v115, v75
	v_fma_f32 v57, v112, v72, -v57
	v_dual_mul_f32 v146, v106, v67 :: v_dual_mul_f32 v147, v108, v69
	s_delay_alu instid0(VALU_DEP_4) | instskip(SKIP_3) | instid1(VALU_DEP_3)
	v_add_f32_e32 v56, v56, v58
	v_dual_mul_f32 v159, v132, v93 :: v_dual_mul_f32 v160, v134, v95
	v_mul_f32_e32 v58, v117, v77
	v_fma_f32 v59, v114, v74, -v59
	v_dual_add_f32 v56, v56, v57 :: v_dual_fmac_f32 v159, v133, v92
	v_dual_fmac_f32 v146, v107, v66 :: v_dual_fmac_f32 v147, v109, v68
	v_dual_add_f32 v54, v54, v145 :: v_dual_mul_f32 v57, v119, v79
	v_fma_f32 v58, v116, v76, -v58
	s_delay_alu instid0(VALU_DEP_4) | instskip(NEXT) | instid1(VALU_DEP_3)
	v_dual_add_f32 v56, v56, v59 :: v_dual_mul_f32 v59, v121, v81
	v_add_f32_e32 v54, v54, v146
	s_delay_alu instid0(VALU_DEP_4) | instskip(SKIP_1) | instid1(VALU_DEP_4)
	v_fma_f32 v57, v118, v78, -v57
	v_dual_mul_f32 v156, v126, v87 :: v_dual_mul_f32 v157, v128, v89
	v_add_f32_e32 v56, v56, v58
	v_mul_f32_e32 v58, v123, v83
	v_fma_f32 v59, v120, v80, -v59
	v_fmac_f32_e32 v148, v111, v70
	v_dual_add_f32 v54, v54, v147 :: v_dual_fmac_f32 v157, v129, v88
	v_add_f32_e32 v56, v56, v57
	v_mul_f32_e32 v57, v125, v85
	v_fma_f32 v58, v122, v82, -v58
	s_delay_alu instid0(VALU_DEP_4)
	v_add_f32_e32 v54, v54, v148
	v_fmac_f32_e32 v150, v115, v74
	v_add_f32_e32 v56, v56, v59
	v_mul_f32_e32 v59, v127, v87
	v_fma_f32 v57, v124, v84, -v57
	v_dual_fmac_f32 v161, v141, v136 :: v_dual_fmac_f32 v152, v119, v78
	s_delay_alu instid0(VALU_DEP_4) | instskip(NEXT) | instid1(VALU_DEP_4)
	v_add_f32_e32 v56, v56, v58
	v_fma_f32 v59, v126, v86, -v59
	v_fmac_f32_e32 v154, v123, v82
	v_mul_f32_e32 v58, v129, v89
	v_fmac_f32_e32 v156, v127, v86
	v_dual_add_f32 v56, v56, v57 :: v_dual_mul_f32 v57, v131, v91
	v_add_f32_e32 v54, v54, v149
	s_delay_alu instid0(VALU_DEP_4) | instskip(SKIP_1) | instid1(VALU_DEP_4)
	v_fma_f32 v58, v128, v88, -v58
	v_fmac_f32_e32 v158, v131, v90
	v_dual_add_f32 v56, v56, v59 :: v_dual_mul_f32 v59, v133, v93
	s_delay_alu instid0(VALU_DEP_4) | instskip(SKIP_2) | instid1(VALU_DEP_4)
	v_add_f32_e32 v54, v54, v150
	v_fma_f32 v57, v130, v90, -v57
	v_fmac_f32_e32 v160, v135, v94
	v_add_f32_e32 v56, v56, v58
	v_mul_f32_e32 v58, v135, v95
	v_add_f32_e32 v54, v54, v151
	v_fma_f32 v59, v132, v92, -v59
	s_delay_alu instid0(VALU_DEP_4) | instskip(NEXT) | instid1(VALU_DEP_3)
	v_add_f32_e32 v56, v56, v57
	v_dual_mul_f32 v57, v141, v137 :: v_dual_add_f32 v54, v54, v152
	v_fma_f32 v58, v134, v94, -v58
	s_delay_alu instid0(VALU_DEP_3) | instskip(NEXT) | instid1(VALU_DEP_3)
	v_add_f32_e32 v56, v56, v59
	v_fma_f32 v57, v140, v136, -v57
	s_delay_alu instid0(VALU_DEP_4) | instskip(NEXT) | instid1(VALU_DEP_3)
	v_add_f32_e32 v54, v54, v153
	v_add_f32_e32 v56, v56, v58
	s_delay_alu instid0(VALU_DEP_2) | instskip(NEXT) | instid1(VALU_DEP_2)
	v_add_f32_e32 v54, v54, v154
	v_add_f32_e32 v56, v56, v57
	s_delay_alu instid0(VALU_DEP_2) | instskip(SKIP_1) | instid1(VALU_DEP_2)
	v_add_f32_e32 v54, v54, v155
	s_wait_loadcnt 0x0
	v_sub_f32_e32 v56, v138, v56
	s_delay_alu instid0(VALU_DEP_2) | instskip(NEXT) | instid1(VALU_DEP_1)
	v_add_f32_e32 v54, v54, v156
	v_add_f32_e32 v54, v54, v157
	s_delay_alu instid0(VALU_DEP_1) | instskip(NEXT) | instid1(VALU_DEP_1)
	v_add_f32_e32 v54, v54, v158
	v_add_f32_e32 v54, v54, v159
	s_delay_alu instid0(VALU_DEP_1) | instskip(NEXT) | instid1(VALU_DEP_1)
	v_add_f32_e32 v54, v54, v160
	v_add_f32_e32 v54, v54, v161
	s_delay_alu instid0(VALU_DEP_1)
	v_sub_f32_e32 v57, v139, v54
	scratch_store_b64 off, v[56:57], off offset:32
	v_cmpx_lt_u32_e32 3, v0
	s_cbranch_execz .LBB25_163
; %bb.162:
	scratch_load_b64 v[56:57], off, off offset:24
	v_mov_b32_e32 v54, v53
	scratch_store_b64 off, v[53:54], off offset:24
	s_wait_loadcnt 0x0
	ds_store_b64 v55, v[56:57]
.LBB25_163:
	s_wait_alu 0xfffe
	s_or_b32 exec_lo, exec_lo, s0
	s_wait_storecnt_dscnt 0x0
	s_barrier_signal -1
	s_barrier_wait -1
	global_inv scope:SCOPE_SE
	s_clause 0xb
	scratch_load_b128 v[56:59], off, off offset:32
	scratch_load_b128 v[60:63], off, off offset:48
	;; [unrolled: 1-line block ×11, first 2 shown]
	scratch_load_b64 v[144:145], off, off offset:24
	ds_load_b128 v[100:103], v53 offset:240
	ds_load_b128 v[104:107], v53 offset:256
	;; [unrolled: 1-line block ×11, first 2 shown]
	s_mov_b32 s0, exec_lo
	s_wait_loadcnt_dscnt 0xb0a
	v_dual_mul_f32 v53, v100, v57 :: v_dual_mul_f32 v54, v102, v59
	v_mul_f32_e32 v57, v101, v57
	s_wait_loadcnt_dscnt 0xa09
	v_dual_mul_f32 v59, v103, v59 :: v_dual_mul_f32 v146, v104, v61
	s_delay_alu instid0(VALU_DEP_3) | instskip(NEXT) | instid1(VALU_DEP_3)
	v_dual_mul_f32 v147, v106, v63 :: v_dual_fmac_f32 v54, v103, v58
	v_fma_f32 v57, v100, v56, -v57
	v_fmac_f32_e32 v53, v101, v56
	v_mul_f32_e32 v56, v105, v61
	v_fma_f32 v58, v102, v58, -v59
	v_mul_f32_e32 v59, v107, v63
	v_dual_add_f32 v57, 0, v57 :: v_dual_fmac_f32 v146, v105, v60
	s_delay_alu instid0(VALU_DEP_4) | instskip(SKIP_2) | instid1(VALU_DEP_3)
	v_fma_f32 v56, v104, v60, -v56
	s_wait_loadcnt_dscnt 0x908
	v_dual_mul_f32 v148, v108, v65 :: v_dual_mul_f32 v149, v110, v67
	v_add_f32_e32 v57, v57, v58
	v_fmac_f32_e32 v147, v107, v62
	v_fma_f32 v58, v106, v62, -v59
	s_wait_loadcnt_dscnt 0x807
	v_dual_mul_f32 v150, v112, v69 :: v_dual_mul_f32 v151, v114, v71
	v_dual_add_f32 v56, v57, v56 :: v_dual_mul_f32 v57, v111, v67
	v_fmac_f32_e32 v148, v109, v64
	s_wait_loadcnt_dscnt 0x706
	v_dual_mul_f32 v152, v116, v73 :: v_dual_mul_f32 v153, v118, v75
	s_delay_alu instid0(VALU_DEP_3) | instskip(SKIP_3) | instid1(VALU_DEP_4)
	v_dual_add_f32 v56, v56, v58 :: v_dual_add_f32 v53, 0, v53
	v_mul_f32_e32 v58, v113, v69
	v_fma_f32 v57, v110, v66, -v57
	v_dual_fmac_f32 v149, v111, v66 :: v_dual_fmac_f32 v150, v113, v68
	v_add_f32_e32 v53, v53, v54
	v_mul_f32_e32 v54, v109, v65
	v_fma_f32 v58, v112, v68, -v58
	v_dual_fmac_f32 v151, v115, v70 :: v_dual_fmac_f32 v152, v117, v72
	s_wait_loadcnt_dscnt 0x605
	v_dual_mul_f32 v154, v120, v77 :: v_dual_mul_f32 v155, v122, v79
	v_fma_f32 v54, v108, v64, -v54
	s_wait_loadcnt_dscnt 0x504
	v_dual_mul_f32 v156, v124, v81 :: v_dual_mul_f32 v157, v126, v83
	s_wait_loadcnt_dscnt 0x403
	v_dual_mul_f32 v158, v128, v85 :: v_dual_mul_f32 v159, v130, v87
	v_add_f32_e32 v54, v56, v54
	v_mul_f32_e32 v56, v115, v71
	v_dual_fmac_f32 v156, v125, v80 :: v_dual_fmac_f32 v157, v127, v82
	s_delay_alu instid0(VALU_DEP_4) | instskip(NEXT) | instid1(VALU_DEP_4)
	v_dual_fmac_f32 v158, v129, v84 :: v_dual_fmac_f32 v159, v131, v86
	v_dual_add_f32 v54, v54, v57 :: v_dual_add_f32 v53, v53, v146
	v_mul_f32_e32 v57, v117, v73
	v_fma_f32 v56, v114, v70, -v56
	v_fmac_f32_e32 v153, v119, v74
	s_delay_alu instid0(VALU_DEP_4)
	v_add_f32_e32 v54, v54, v58
	v_mul_f32_e32 v58, v119, v75
	v_add_f32_e32 v53, v53, v147
	v_fma_f32 v57, v116, v72, -v57
	v_fmac_f32_e32 v154, v121, v76
	v_add_f32_e32 v54, v54, v56
	v_mul_f32_e32 v56, v121, v77
	v_add_f32_e32 v53, v53, v148
	v_fma_f32 v58, v118, v74, -v58
	s_delay_alu instid0(VALU_DEP_4) | instskip(SKIP_1) | instid1(VALU_DEP_4)
	v_dual_fmac_f32 v155, v123, v78 :: v_dual_add_f32 v54, v54, v57
	v_mul_f32_e32 v57, v123, v79
	v_add_f32_e32 v53, v53, v149
	v_fma_f32 v56, v120, v76, -v56
	s_wait_loadcnt_dscnt 0x302
	v_dual_mul_f32 v160, v132, v89 :: v_dual_mul_f32 v161, v134, v91
	v_add_f32_e32 v54, v54, v58
	v_add_f32_e32 v53, v53, v150
	v_fma_f32 v57, v122, v78, -v57
	v_mul_f32_e32 v58, v125, v81
	s_wait_loadcnt_dscnt 0x201
	v_dual_mul_f32 v162, v136, v93 :: v_dual_mul_f32 v163, v138, v95
	v_dual_add_f32 v54, v54, v56 :: v_dual_add_f32 v53, v53, v151
	v_mul_f32_e32 v56, v127, v83
	v_fma_f32 v58, v124, v80, -v58
	v_dual_fmac_f32 v160, v133, v88 :: v_dual_fmac_f32 v161, v135, v90
	s_delay_alu instid0(VALU_DEP_4)
	v_dual_add_f32 v54, v54, v57 :: v_dual_add_f32 v53, v53, v152
	v_mul_f32_e32 v57, v129, v85
	v_fma_f32 v56, v126, v82, -v56
	s_wait_loadcnt_dscnt 0x100
	v_dual_mul_f32 v164, v140, v97 :: v_dual_mul_f32 v165, v142, v99
	v_dual_add_f32 v53, v53, v153 :: v_dual_add_f32 v54, v54, v58
	v_mul_f32_e32 v58, v131, v87
	v_fma_f32 v57, v128, v84, -v57
	s_delay_alu instid0(VALU_DEP_4) | instskip(NEXT) | instid1(VALU_DEP_4)
	v_dual_fmac_f32 v162, v137, v92 :: v_dual_fmac_f32 v165, v143, v98
	v_dual_add_f32 v53, v53, v154 :: v_dual_add_f32 v54, v54, v56
	v_mul_f32_e32 v56, v133, v89
	v_fma_f32 v58, v130, v86, -v58
	v_fmac_f32_e32 v163, v139, v94
	s_delay_alu instid0(VALU_DEP_4) | instskip(SKIP_2) | instid1(VALU_DEP_3)
	v_dual_add_f32 v53, v53, v155 :: v_dual_add_f32 v54, v54, v57
	v_mul_f32_e32 v57, v135, v91
	v_fma_f32 v56, v132, v88, -v56
	v_dual_add_f32 v53, v53, v156 :: v_dual_add_f32 v54, v54, v58
	v_mul_f32_e32 v58, v137, v93
	s_delay_alu instid0(VALU_DEP_4) | instskip(NEXT) | instid1(VALU_DEP_3)
	v_fma_f32 v57, v134, v90, -v57
	v_dual_add_f32 v53, v53, v157 :: v_dual_add_f32 v54, v54, v56
	v_mul_f32_e32 v56, v139, v95
	s_delay_alu instid0(VALU_DEP_4) | instskip(NEXT) | instid1(VALU_DEP_3)
	;; [unrolled: 4-line block ×4, first 2 shown]
	v_fma_f32 v57, v140, v96, -v57
	v_add_f32_e32 v53, v53, v160
	s_delay_alu instid0(VALU_DEP_4) | instskip(NEXT) | instid1(VALU_DEP_4)
	v_add_f32_e32 v54, v54, v56
	v_fma_f32 v56, v142, v98, -v58
	s_delay_alu instid0(VALU_DEP_3) | instskip(NEXT) | instid1(VALU_DEP_1)
	v_add_f32_e32 v53, v53, v161
	v_dual_add_f32 v54, v54, v57 :: v_dual_add_f32 v53, v53, v162
	s_delay_alu instid0(VALU_DEP_1) | instskip(SKIP_1) | instid1(VALU_DEP_3)
	v_add_f32_e32 v54, v54, v56
	v_fmac_f32_e32 v164, v141, v96
	v_add_f32_e32 v53, v53, v163
	s_delay_alu instid0(VALU_DEP_1) | instskip(SKIP_1) | instid1(VALU_DEP_1)
	v_add_f32_e32 v53, v53, v164
	s_wait_loadcnt 0x0
	v_dual_add_f32 v56, v53, v165 :: v_dual_sub_f32 v53, v144, v54
	s_delay_alu instid0(VALU_DEP_1)
	v_sub_f32_e32 v54, v145, v56
	scratch_store_b64 off, v[53:54], off offset:24
	v_cmpx_lt_u32_e32 2, v0
	s_cbranch_execz .LBB25_165
; %bb.164:
	scratch_load_b64 v[53:54], off, off offset:16
	v_mov_b32_e32 v56, 0
	s_delay_alu instid0(VALU_DEP_1)
	v_mov_b32_e32 v57, v56
	scratch_store_b64 off, v[56:57], off offset:16
	s_wait_loadcnt 0x0
	ds_store_b64 v55, v[53:54]
.LBB25_165:
	s_wait_alu 0xfffe
	s_or_b32 exec_lo, exec_lo, s0
	s_wait_storecnt_dscnt 0x0
	s_barrier_signal -1
	s_barrier_wait -1
	global_inv scope:SCOPE_SE
	s_clause 0xc
	scratch_load_b128 v[56:59], off, off offset:24
	scratch_load_b128 v[60:63], off, off offset:40
	scratch_load_b128 v[64:67], off, off offset:56
	scratch_load_b128 v[68:71], off, off offset:72
	scratch_load_b128 v[72:75], off, off offset:88
	scratch_load_b128 v[76:79], off, off offset:104
	scratch_load_b128 v[80:83], off, off offset:120
	scratch_load_b128 v[84:87], off, off offset:136
	scratch_load_b128 v[88:91], off, off offset:152
	scratch_load_b128 v[92:95], off, off offset:168
	scratch_load_b128 v[96:99], off, off offset:184
	scratch_load_b64 v[144:145], off, off offset:200
	scratch_load_b64 v[146:147], off, off offset:16
	v_mov_b32_e32 v53, 0
	ds_load_2addr_b64 v[100:103], v53 offset0:29 offset1:30
	ds_load_2addr_b64 v[104:107], v53 offset0:31 offset1:32
	;; [unrolled: 1-line block ×11, first 2 shown]
	ds_load_b64 v[148:149], v53 offset:408
	s_mov_b32 s0, exec_lo
	s_wait_loadcnt_dscnt 0xc0b
	v_mul_f32_e32 v54, v100, v57
	s_wait_loadcnt_dscnt 0xb0a
	v_dual_mul_f32 v150, v102, v59 :: v_dual_mul_f32 v151, v104, v61
	v_mul_f32_e32 v59, v103, v59
	s_wait_loadcnt_dscnt 0xa09
	v_dual_mul_f32 v152, v106, v63 :: v_dual_mul_f32 v153, v108, v65
	v_mul_f32_e32 v57, v101, v57
	v_fmac_f32_e32 v54, v101, v56
	s_wait_loadcnt_dscnt 0x807
	v_dual_mul_f32 v156, v114, v71 :: v_dual_mul_f32 v157, v116, v73
	s_wait_loadcnt_dscnt 0x100
	v_dual_mul_f32 v168, v138, v95 :: v_dual_mul_f32 v171, v148, v145
	v_fma_f32 v57, v100, v56, -v57
	v_mul_f32_e32 v56, v105, v61
	v_fmac_f32_e32 v150, v103, v58
	v_fma_f32 v58, v102, v58, -v59
	v_dual_add_f32 v54, 0, v54 :: v_dual_mul_f32 v59, v107, v63
	v_add_f32_e32 v57, 0, v57
	v_fmac_f32_e32 v151, v105, v60
	v_fma_f32 v56, v104, v60, -v56
	s_delay_alu instid0(VALU_DEP_4)
	v_add_f32_e32 v54, v54, v150
	v_fma_f32 v59, v106, v62, -v59
	v_add_f32_e32 v57, v57, v58
	v_mul_f32_e32 v58, v109, v65
	v_dual_mul_f32 v158, v118, v75 :: v_dual_mul_f32 v159, v120, v77
	v_add_f32_e32 v54, v54, v151
	s_delay_alu instid0(VALU_DEP_4) | instskip(NEXT) | instid1(VALU_DEP_4)
	v_dual_add_f32 v56, v57, v56 :: v_dual_mul_f32 v57, v111, v67
	v_fma_f32 v58, v108, v64, -v58
	v_dual_mul_f32 v160, v122, v79 :: v_dual_mul_f32 v161, v124, v81
	s_delay_alu instid0(VALU_DEP_3) | instskip(NEXT) | instid1(VALU_DEP_4)
	v_dual_add_f32 v56, v56, v59 :: v_dual_mul_f32 v59, v113, v69
	v_fma_f32 v57, v110, v66, -v57
	v_dual_fmac_f32 v152, v107, v62 :: v_dual_fmac_f32 v153, v109, v64
	s_delay_alu instid0(VALU_DEP_3) | instskip(SKIP_2) | instid1(VALU_DEP_3)
	v_dual_add_f32 v56, v56, v58 :: v_dual_fmac_f32 v157, v117, v72
	v_dual_mul_f32 v58, v115, v71 :: v_dual_fmac_f32 v159, v121, v76
	v_fma_f32 v59, v112, v68, -v59
	v_dual_add_f32 v56, v56, v57 :: v_dual_fmac_f32 v161, v125, v80
	v_dual_mul_f32 v162, v126, v83 :: v_dual_mul_f32 v163, v128, v85
	v_dual_add_f32 v54, v54, v152 :: v_dual_mul_f32 v57, v117, v73
	v_fma_f32 v58, v114, v70, -v58
	s_delay_alu instid0(VALU_DEP_3) | instskip(SKIP_1) | instid1(VALU_DEP_4)
	v_dual_add_f32 v56, v56, v59 :: v_dual_fmac_f32 v163, v129, v84
	v_mul_f32_e32 v59, v119, v75
	v_fma_f32 v57, v116, v72, -v57
	v_dual_mul_f32 v154, v110, v67 :: v_dual_mul_f32 v155, v112, v69
	s_delay_alu instid0(VALU_DEP_4) | instskip(SKIP_3) | instid1(VALU_DEP_4)
	v_add_f32_e32 v56, v56, v58
	v_dual_mul_f32 v166, v134, v91 :: v_dual_mul_f32 v167, v136, v93
	v_mul_f32_e32 v58, v121, v77
	v_fma_f32 v59, v118, v74, -v59
	v_add_f32_e32 v56, v56, v57
	v_dual_fmac_f32 v154, v111, v66 :: v_dual_fmac_f32 v155, v113, v68
	v_dual_add_f32 v54, v54, v153 :: v_dual_mul_f32 v57, v123, v79
	v_fma_f32 v58, v120, v76, -v58
	s_delay_alu instid0(VALU_DEP_4) | instskip(NEXT) | instid1(VALU_DEP_3)
	v_dual_fmac_f32 v167, v137, v92 :: v_dual_add_f32 v56, v56, v59
	v_dual_add_f32 v54, v54, v154 :: v_dual_mul_f32 v59, v125, v81
	s_delay_alu instid0(VALU_DEP_4) | instskip(SKIP_1) | instid1(VALU_DEP_4)
	v_fma_f32 v57, v122, v78, -v57
	v_dual_mul_f32 v164, v130, v87 :: v_dual_mul_f32 v165, v132, v89
	v_add_f32_e32 v56, v56, v58
	v_mul_f32_e32 v58, v127, v83
	v_fma_f32 v59, v124, v80, -v59
	v_fmac_f32_e32 v156, v115, v70
	v_dual_add_f32 v54, v54, v155 :: v_dual_fmac_f32 v165, v133, v88
	v_add_f32_e32 v56, v56, v57
	v_mul_f32_e32 v57, v129, v85
	v_fma_f32 v58, v126, v82, -v58
	s_delay_alu instid0(VALU_DEP_4)
	v_dual_add_f32 v54, v54, v156 :: v_dual_mul_f32 v169, v140, v97
	v_mul_f32_e32 v170, v142, v99
	v_add_f32_e32 v56, v56, v59
	v_mul_f32_e32 v59, v131, v87
	v_fma_f32 v57, v128, v84, -v57
	v_dual_fmac_f32 v158, v119, v74 :: v_dual_fmac_f32 v169, v141, v96
	s_delay_alu instid0(VALU_DEP_4) | instskip(NEXT) | instid1(VALU_DEP_4)
	v_add_f32_e32 v56, v56, v58
	v_fma_f32 v59, v130, v86, -v59
	v_dual_fmac_f32 v160, v123, v78 :: v_dual_fmac_f32 v171, v149, v144
	v_fmac_f32_e32 v162, v127, v82
	s_delay_alu instid0(VALU_DEP_4) | instskip(SKIP_3) | instid1(VALU_DEP_4)
	v_dual_add_f32 v56, v56, v57 :: v_dual_mul_f32 v57, v135, v91
	v_add_f32_e32 v54, v54, v157
	v_mul_f32_e32 v58, v133, v89
	v_fmac_f32_e32 v164, v131, v86
	v_dual_add_f32 v56, v56, v59 :: v_dual_mul_f32 v59, v137, v93
	s_delay_alu instid0(VALU_DEP_4) | instskip(NEXT) | instid1(VALU_DEP_4)
	v_add_f32_e32 v54, v54, v158
	v_fma_f32 v58, v132, v88, -v58
	v_fmac_f32_e32 v166, v135, v90
	v_fma_f32 v57, v134, v90, -v57
	v_fma_f32 v59, v136, v92, -v59
	v_add_f32_e32 v54, v54, v159
	v_add_f32_e32 v56, v56, v58
	v_mul_f32_e32 v58, v139, v95
	v_fmac_f32_e32 v168, v139, v94
	v_fmac_f32_e32 v170, v143, v98
	v_add_f32_e32 v54, v54, v160
	v_add_f32_e32 v56, v56, v57
	v_mul_f32_e32 v57, v141, v97
	v_fma_f32 v58, v138, v94, -v58
	s_delay_alu instid0(VALU_DEP_4) | instskip(NEXT) | instid1(VALU_DEP_4)
	v_add_f32_e32 v54, v54, v161
	v_add_f32_e32 v56, v56, v59
	v_mul_f32_e32 v59, v143, v99
	v_fma_f32 v57, v140, v96, -v57
	s_delay_alu instid0(VALU_DEP_4) | instskip(NEXT) | instid1(VALU_DEP_4)
	;; [unrolled: 5-line block ×3, first 2 shown]
	v_add_f32_e32 v54, v54, v163
	v_add_f32_e32 v56, v56, v57
	s_delay_alu instid0(VALU_DEP_4) | instskip(NEXT) | instid1(VALU_DEP_3)
	v_fma_f32 v57, v148, v144, -v58
	v_add_f32_e32 v54, v54, v164
	s_delay_alu instid0(VALU_DEP_3) | instskip(NEXT) | instid1(VALU_DEP_2)
	v_add_f32_e32 v56, v56, v59
	v_add_f32_e32 v54, v54, v165
	s_delay_alu instid0(VALU_DEP_2) | instskip(NEXT) | instid1(VALU_DEP_2)
	v_add_f32_e32 v56, v56, v57
	v_add_f32_e32 v54, v54, v166
	s_wait_loadcnt 0x0
	s_delay_alu instid0(VALU_DEP_2) | instskip(NEXT) | instid1(VALU_DEP_2)
	v_sub_f32_e32 v56, v146, v56
	v_add_f32_e32 v54, v54, v167
	s_delay_alu instid0(VALU_DEP_1) | instskip(NEXT) | instid1(VALU_DEP_1)
	v_add_f32_e32 v54, v54, v168
	v_add_f32_e32 v54, v54, v169
	s_delay_alu instid0(VALU_DEP_1) | instskip(NEXT) | instid1(VALU_DEP_1)
	v_add_f32_e32 v54, v54, v170
	v_add_f32_e32 v54, v54, v171
	s_delay_alu instid0(VALU_DEP_1)
	v_sub_f32_e32 v57, v147, v54
	scratch_store_b64 off, v[56:57], off offset:16
	v_cmpx_lt_u32_e32 1, v0
	s_cbranch_execz .LBB25_167
; %bb.166:
	scratch_load_b64 v[56:57], off, off offset:8
	v_mov_b32_e32 v54, v53
	scratch_store_b64 off, v[53:54], off offset:8
	s_wait_loadcnt 0x0
	ds_store_b64 v55, v[56:57]
.LBB25_167:
	s_wait_alu 0xfffe
	s_or_b32 exec_lo, exec_lo, s0
	s_wait_storecnt_dscnt 0x0
	s_barrier_signal -1
	s_barrier_wait -1
	global_inv scope:SCOPE_SE
	s_clause 0xc
	scratch_load_b128 v[56:59], off, off offset:16
	scratch_load_b128 v[60:63], off, off offset:32
	;; [unrolled: 1-line block ×12, first 2 shown]
	scratch_load_b64 v[152:153], off, off offset:8
	ds_load_b128 v[104:107], v53 offset:224
	ds_load_b128 v[108:111], v53 offset:240
	;; [unrolled: 1-line block ×12, first 2 shown]
	s_mov_b32 s0, exec_lo
	s_wait_loadcnt_dscnt 0xc0b
	v_dual_mul_f32 v53, v104, v57 :: v_dual_mul_f32 v54, v106, v59
	v_mul_f32_e32 v57, v105, v57
	s_wait_loadcnt_dscnt 0xb0a
	v_dual_mul_f32 v59, v107, v59 :: v_dual_mul_f32 v154, v108, v61
	s_delay_alu instid0(VALU_DEP_3) | instskip(NEXT) | instid1(VALU_DEP_3)
	v_dual_mul_f32 v155, v110, v63 :: v_dual_fmac_f32 v54, v107, v58
	v_fma_f32 v57, v104, v56, -v57
	v_fmac_f32_e32 v53, v105, v56
	v_mul_f32_e32 v56, v109, v61
	v_fma_f32 v58, v106, v58, -v59
	v_mul_f32_e32 v59, v111, v63
	v_dual_add_f32 v57, 0, v57 :: v_dual_fmac_f32 v154, v109, v60
	s_delay_alu instid0(VALU_DEP_4) | instskip(SKIP_2) | instid1(VALU_DEP_3)
	v_fma_f32 v56, v108, v60, -v56
	s_wait_loadcnt_dscnt 0xa09
	v_dual_mul_f32 v156, v112, v65 :: v_dual_mul_f32 v157, v114, v67
	v_add_f32_e32 v57, v57, v58
	v_fmac_f32_e32 v155, v111, v62
	v_fma_f32 v58, v110, v62, -v59
	s_wait_loadcnt_dscnt 0x908
	v_dual_mul_f32 v158, v116, v69 :: v_dual_mul_f32 v159, v118, v71
	v_dual_add_f32 v56, v57, v56 :: v_dual_mul_f32 v57, v115, v67
	v_fmac_f32_e32 v156, v113, v64
	s_wait_loadcnt_dscnt 0x807
	v_dual_mul_f32 v160, v120, v73 :: v_dual_mul_f32 v161, v122, v75
	s_delay_alu instid0(VALU_DEP_3) | instskip(SKIP_3) | instid1(VALU_DEP_4)
	v_dual_add_f32 v56, v56, v58 :: v_dual_add_f32 v53, 0, v53
	v_mul_f32_e32 v58, v117, v69
	v_fma_f32 v57, v114, v66, -v57
	v_dual_fmac_f32 v157, v115, v66 :: v_dual_fmac_f32 v158, v117, v68
	v_add_f32_e32 v53, v53, v54
	v_mul_f32_e32 v54, v113, v65
	v_fma_f32 v58, v116, v68, -v58
	v_dual_fmac_f32 v159, v119, v70 :: v_dual_fmac_f32 v160, v121, v72
	s_wait_loadcnt_dscnt 0x706
	v_dual_mul_f32 v162, v124, v77 :: v_dual_mul_f32 v163, v126, v79
	v_fma_f32 v54, v112, v64, -v54
	s_wait_loadcnt_dscnt 0x605
	v_dual_mul_f32 v164, v128, v81 :: v_dual_mul_f32 v165, v130, v83
	s_wait_loadcnt_dscnt 0x504
	v_dual_mul_f32 v166, v132, v85 :: v_dual_mul_f32 v167, v134, v87
	v_add_f32_e32 v54, v56, v54
	v_mul_f32_e32 v56, v119, v71
	v_dual_fmac_f32 v164, v129, v80 :: v_dual_fmac_f32 v165, v131, v82
	s_delay_alu instid0(VALU_DEP_4) | instskip(NEXT) | instid1(VALU_DEP_4)
	v_dual_fmac_f32 v166, v133, v84 :: v_dual_fmac_f32 v167, v135, v86
	v_dual_add_f32 v54, v54, v57 :: v_dual_add_f32 v53, v53, v154
	v_mul_f32_e32 v57, v121, v73
	v_fma_f32 v56, v118, v70, -v56
	v_fmac_f32_e32 v161, v123, v74
	s_delay_alu instid0(VALU_DEP_4)
	v_add_f32_e32 v54, v54, v58
	v_mul_f32_e32 v58, v123, v75
	v_add_f32_e32 v53, v53, v155
	v_fma_f32 v57, v120, v72, -v57
	v_fmac_f32_e32 v162, v125, v76
	v_add_f32_e32 v54, v54, v56
	v_mul_f32_e32 v56, v125, v77
	v_add_f32_e32 v53, v53, v156
	v_fma_f32 v58, v122, v74, -v58
	s_delay_alu instid0(VALU_DEP_4) | instskip(SKIP_1) | instid1(VALU_DEP_4)
	v_dual_fmac_f32 v163, v127, v78 :: v_dual_add_f32 v54, v54, v57
	v_mul_f32_e32 v57, v127, v79
	v_add_f32_e32 v53, v53, v157
	v_fma_f32 v56, v124, v76, -v56
	s_wait_loadcnt_dscnt 0x403
	v_dual_mul_f32 v168, v136, v89 :: v_dual_mul_f32 v169, v138, v91
	v_add_f32_e32 v54, v54, v58
	v_add_f32_e32 v53, v53, v158
	v_fma_f32 v57, v126, v78, -v57
	v_mul_f32_e32 v58, v129, v81
	s_wait_loadcnt_dscnt 0x302
	v_dual_mul_f32 v170, v140, v93 :: v_dual_mul_f32 v171, v142, v95
	v_dual_add_f32 v54, v54, v56 :: v_dual_add_f32 v53, v53, v159
	v_mul_f32_e32 v56, v131, v83
	v_fma_f32 v58, v128, v80, -v58
	v_dual_fmac_f32 v168, v137, v88 :: v_dual_fmac_f32 v169, v139, v90
	s_delay_alu instid0(VALU_DEP_4)
	v_dual_add_f32 v54, v54, v57 :: v_dual_add_f32 v53, v53, v160
	v_mul_f32_e32 v57, v133, v85
	v_fma_f32 v56, v130, v82, -v56
	s_wait_loadcnt_dscnt 0x201
	v_dual_mul_f32 v172, v144, v97 :: v_dual_mul_f32 v173, v146, v99
	v_dual_add_f32 v53, v53, v161 :: v_dual_add_f32 v54, v54, v58
	v_mul_f32_e32 v58, v135, v87
	v_fma_f32 v57, v132, v84, -v57
	s_delay_alu instid0(VALU_DEP_4) | instskip(NEXT) | instid1(VALU_DEP_4)
	v_dual_fmac_f32 v170, v141, v92 :: v_dual_fmac_f32 v173, v147, v98
	v_dual_add_f32 v53, v53, v162 :: v_dual_add_f32 v54, v54, v56
	v_mul_f32_e32 v56, v137, v89
	v_fma_f32 v58, v134, v86, -v58
	v_fmac_f32_e32 v171, v143, v94
	s_delay_alu instid0(VALU_DEP_4)
	v_dual_add_f32 v53, v53, v163 :: v_dual_add_f32 v54, v54, v57
	v_mul_f32_e32 v57, v139, v91
	v_fma_f32 v56, v136, v88, -v56
	s_wait_loadcnt_dscnt 0x100
	v_dual_mul_f32 v174, v148, v101 :: v_dual_mul_f32 v175, v150, v103
	v_dual_add_f32 v53, v53, v164 :: v_dual_add_f32 v54, v54, v58
	v_mul_f32_e32 v58, v141, v93
	v_fma_f32 v57, v138, v90, -v57
	v_fmac_f32_e32 v172, v145, v96
	s_delay_alu instid0(VALU_DEP_4) | instskip(SKIP_3) | instid1(VALU_DEP_4)
	v_dual_add_f32 v53, v53, v165 :: v_dual_add_f32 v54, v54, v56
	v_mul_f32_e32 v56, v143, v95
	v_fma_f32 v58, v140, v92, -v58
	v_fmac_f32_e32 v175, v151, v102
	v_dual_add_f32 v53, v53, v166 :: v_dual_add_f32 v54, v54, v57
	v_mul_f32_e32 v57, v145, v97
	v_fma_f32 v56, v142, v94, -v56
	s_delay_alu instid0(VALU_DEP_3) | instskip(SKIP_1) | instid1(VALU_DEP_4)
	v_dual_add_f32 v53, v53, v167 :: v_dual_add_f32 v54, v54, v58
	v_mul_f32_e32 v58, v147, v99
	v_fma_f32 v57, v144, v96, -v57
	s_delay_alu instid0(VALU_DEP_3) | instskip(NEXT) | instid1(VALU_DEP_4)
	v_add_f32_e32 v53, v53, v168
	v_add_f32_e32 v54, v54, v56
	v_mul_f32_e32 v56, v149, v101
	v_fma_f32 v58, v146, v98, -v58
	s_delay_alu instid0(VALU_DEP_4) | instskip(NEXT) | instid1(VALU_DEP_4)
	v_add_f32_e32 v53, v53, v169
	v_dual_add_f32 v54, v54, v57 :: v_dual_mul_f32 v57, v151, v103
	s_delay_alu instid0(VALU_DEP_4) | instskip(NEXT) | instid1(VALU_DEP_3)
	v_fma_f32 v56, v148, v100, -v56
	v_add_f32_e32 v53, v53, v170
	s_delay_alu instid0(VALU_DEP_3) | instskip(NEXT) | instid1(VALU_DEP_4)
	v_add_f32_e32 v54, v54, v58
	v_fma_f32 v57, v150, v102, -v57
	s_delay_alu instid0(VALU_DEP_2) | instskip(NEXT) | instid1(VALU_DEP_1)
	v_dual_add_f32 v53, v53, v171 :: v_dual_add_f32 v54, v54, v56
	v_dual_add_f32 v53, v53, v172 :: v_dual_add_f32 v54, v54, v57
	v_fmac_f32_e32 v174, v149, v100
	s_delay_alu instid0(VALU_DEP_2) | instskip(NEXT) | instid1(VALU_DEP_1)
	v_add_f32_e32 v53, v53, v173
	v_add_f32_e32 v53, v53, v174
	s_wait_loadcnt 0x0
	s_delay_alu instid0(VALU_DEP_1) | instskip(NEXT) | instid1(VALU_DEP_1)
	v_dual_add_f32 v56, v53, v175 :: v_dual_sub_f32 v53, v152, v54
	v_sub_f32_e32 v54, v153, v56
	scratch_store_b64 off, v[53:54], off offset:8
	v_cmpx_ne_u32_e32 0, v0
	s_cbranch_execz .LBB25_169
; %bb.168:
	scratch_load_b64 v[53:54], off, off
	v_mov_b32_e32 v56, 0
	s_delay_alu instid0(VALU_DEP_1)
	v_mov_b32_e32 v57, v56
	scratch_store_b64 off, v[56:57], off
	s_wait_loadcnt 0x0
	ds_store_b64 v55, v[53:54]
.LBB25_169:
	s_wait_alu 0xfffe
	s_or_b32 exec_lo, exec_lo, s0
	s_wait_storecnt_dscnt 0x0
	s_barrier_signal -1
	s_barrier_wait -1
	global_inv scope:SCOPE_SE
	s_clause 0xd
	scratch_load_b128 v[53:56], off, off offset:8
	scratch_load_b128 v[57:60], off, off offset:24
	;; [unrolled: 1-line block ×12, first 2 shown]
	scratch_load_b64 v[149:150], off, off offset:200
	scratch_load_b64 v[151:152], off, off
	v_mov_b32_e32 v0, 0
	ds_load_2addr_b64 v[101:104], v0 offset0:27 offset1:28
	ds_load_2addr_b64 v[105:108], v0 offset0:29 offset1:30
	;; [unrolled: 1-line block ×12, first 2 shown]
	ds_load_b64 v[153:154], v0 offset:408
	s_and_b32 vcc_lo, exec_lo, s18
	s_wait_loadcnt_dscnt 0xd0c
	v_dual_mul_f32 v155, v101, v54 :: v_dual_mul_f32 v156, v103, v56
	s_wait_loadcnt_dscnt 0xc0b
	v_dual_mul_f32 v157, v105, v58 :: v_dual_mul_f32 v56, v104, v56
	;; [unrolled: 2-line block ×3, first 2 shown]
	v_dual_fmac_f32 v155, v102, v53 :: v_dual_fmac_f32 v156, v104, v55
	s_delay_alu instid0(VALU_DEP_3) | instskip(SKIP_1) | instid1(VALU_DEP_4)
	v_fmac_f32_e32 v157, v106, v57
	v_fma_f32 v55, v103, v55, -v56
	v_dual_fmac_f32 v158, v108, v59 :: v_dual_fmac_f32 v159, v110, v61
	s_delay_alu instid0(VALU_DEP_4)
	v_add_f32_e32 v56, 0, v155
	v_mul_f32_e32 v54, v102, v54
	s_wait_loadcnt_dscnt 0xa09
	v_dual_mul_f32 v160, v111, v64 :: v_dual_mul_f32 v161, v113, v66
	s_wait_loadcnt_dscnt 0x908
	v_dual_mul_f32 v162, v115, v68 :: v_dual_mul_f32 v163, v117, v70
	v_fma_f32 v54, v101, v53, -v54
	v_dual_mul_f32 v53, v106, v58 :: v_dual_mul_f32 v58, v108, v60
	v_dual_fmac_f32 v160, v112, v63 :: v_dual_fmac_f32 v161, v114, v65
	s_delay_alu instid0(VALU_DEP_3) | instskip(NEXT) | instid1(VALU_DEP_3)
	v_add_f32_e32 v54, 0, v54
	v_fma_f32 v53, v105, v57, -v53
	s_delay_alu instid0(VALU_DEP_4) | instskip(SKIP_1) | instid1(VALU_DEP_4)
	v_fma_f32 v57, v107, v59, -v58
	v_dual_fmac_f32 v162, v116, v67 :: v_dual_fmac_f32 v163, v118, v69
	v_add_f32_e32 v54, v54, v55
	s_wait_loadcnt_dscnt 0x807
	v_dual_mul_f32 v164, v119, v72 :: v_dual_mul_f32 v165, v121, v74
	s_wait_loadcnt_dscnt 0x706
	v_dual_mul_f32 v166, v123, v76 :: v_dual_mul_f32 v167, v125, v78
	v_add_f32_e32 v53, v54, v53
	v_add_f32_e32 v55, v56, v156
	v_dual_fmac_f32 v164, v120, v71 :: v_dual_fmac_f32 v165, v122, v73
	s_wait_loadcnt_dscnt 0x605
	v_dual_mul_f32 v168, v127, v80 :: v_dual_mul_f32 v169, v129, v82
	s_delay_alu instid0(VALU_DEP_3)
	v_dual_add_f32 v54, v55, v157 :: v_dual_mul_f32 v55, v112, v64
	v_add_f32_e32 v53, v53, v57
	v_dual_mul_f32 v57, v114, v66 :: v_dual_mul_f32 v170, v131, v84
	s_wait_loadcnt_dscnt 0x504
	v_mul_f32_e32 v171, v133, v86
	v_fma_f32 v55, v111, v63, -v55
	v_mul_f32_e32 v56, v110, v62
	v_fma_f32 v57, v113, v65, -v57
	v_dual_fmac_f32 v169, v130, v81 :: v_dual_fmac_f32 v170, v132, v83
	s_wait_loadcnt_dscnt 0x403
	v_dual_mul_f32 v172, v135, v88 :: v_dual_mul_f32 v173, v137, v90
	v_fma_f32 v56, v109, v61, -v56
	v_add_f32_e32 v54, v54, v158
	s_delay_alu instid0(VALU_DEP_3) | instskip(SKIP_4) | instid1(VALU_DEP_3)
	v_dual_fmac_f32 v171, v134, v85 :: v_dual_fmac_f32 v172, v136, v87
	s_wait_loadcnt_dscnt 0x302
	v_dual_mul_f32 v174, v139, v92 :: v_dual_mul_f32 v175, v141, v94
	v_add_f32_e32 v53, v53, v56
	v_dual_mul_f32 v56, v116, v68 :: v_dual_fmac_f32 v173, v138, v89
	v_fmac_f32_e32 v174, v140, v91
	s_wait_loadcnt_dscnt 0x201
	v_dual_mul_f32 v176, v143, v96 :: v_dual_mul_f32 v177, v145, v98
	v_add_f32_e32 v53, v53, v55
	v_add_f32_e32 v54, v54, v159
	v_mul_f32_e32 v55, v118, v70
	v_fma_f32 v56, v115, v67, -v56
	s_wait_loadcnt_dscnt 0x100
	v_dual_mul_f32 v178, v147, v100 :: v_dual_mul_f32 v179, v153, v150
	v_add_f32_e32 v53, v53, v57
	v_fma_f32 v55, v117, v69, -v55
	v_mul_f32_e32 v57, v120, v72
	s_delay_alu instid0(VALU_DEP_4) | instskip(NEXT) | instid1(VALU_DEP_4)
	v_dual_fmac_f32 v175, v142, v93 :: v_dual_fmac_f32 v178, v148, v99
	v_add_f32_e32 v53, v53, v56
	v_add_f32_e32 v54, v54, v160
	v_mul_f32_e32 v56, v122, v74
	v_fma_f32 v57, v119, v71, -v57
	v_fmac_f32_e32 v166, v124, v75
	s_delay_alu instid0(VALU_DEP_4) | instskip(SKIP_3) | instid1(VALU_DEP_4)
	v_dual_add_f32 v53, v53, v55 :: v_dual_add_f32 v54, v54, v161
	v_mul_f32_e32 v55, v124, v76
	v_fma_f32 v56, v121, v73, -v56
	v_fmac_f32_e32 v167, v126, v77
	v_dual_add_f32 v53, v53, v57 :: v_dual_add_f32 v54, v54, v162
	s_delay_alu instid0(VALU_DEP_4) | instskip(SKIP_1) | instid1(VALU_DEP_3)
	v_fma_f32 v55, v123, v75, -v55
	v_dual_mul_f32 v57, v126, v78 :: v_dual_fmac_f32 v168, v128, v79
	v_dual_add_f32 v53, v53, v56 :: v_dual_add_f32 v54, v54, v163
	v_mul_f32_e32 v56, v128, v80
	s_delay_alu instid0(VALU_DEP_3) | instskip(SKIP_1) | instid1(VALU_DEP_4)
	v_fma_f32 v57, v125, v77, -v57
	v_fmac_f32_e32 v177, v146, v97
	v_dual_add_f32 v53, v53, v55 :: v_dual_add_f32 v54, v54, v164
	v_mul_f32_e32 v55, v130, v82
	v_fma_f32 v56, v127, v79, -v56
	v_fmac_f32_e32 v179, v154, v149
	s_delay_alu instid0(VALU_DEP_4) | instskip(SKIP_2) | instid1(VALU_DEP_3)
	v_add_f32_e32 v53, v53, v57
	v_dual_add_f32 v54, v54, v165 :: v_dual_mul_f32 v57, v132, v84
	v_fma_f32 v55, v129, v81, -v55
	v_dual_fmac_f32 v176, v144, v95 :: v_dual_add_f32 v53, v53, v56
	v_mul_f32_e32 v56, v134, v86
	s_delay_alu instid0(VALU_DEP_4) | instskip(SKIP_1) | instid1(VALU_DEP_4)
	v_add_f32_e32 v54, v54, v166
	v_fma_f32 v57, v131, v83, -v57
	v_add_f32_e32 v53, v53, v55
	s_delay_alu instid0(VALU_DEP_3) | instskip(SKIP_1) | instid1(VALU_DEP_2)
	v_dual_mul_f32 v55, v136, v88 :: v_dual_add_f32 v54, v54, v167
	v_fma_f32 v56, v133, v85, -v56
	v_fma_f32 v55, v135, v87, -v55
	s_delay_alu instid0(VALU_DEP_3) | instskip(NEXT) | instid1(VALU_DEP_1)
	v_add_f32_e32 v54, v54, v168
	v_add_f32_e32 v54, v54, v169
	;; [unrolled: 1-line block ×3, first 2 shown]
	v_mul_f32_e32 v57, v138, v90
	s_delay_alu instid0(VALU_DEP_2) | instskip(SKIP_1) | instid1(VALU_DEP_3)
	v_dual_add_f32 v54, v54, v170 :: v_dual_add_f32 v53, v53, v56
	v_mul_f32_e32 v56, v140, v92
	v_fma_f32 v57, v137, v89, -v57
	s_delay_alu instid0(VALU_DEP_3) | instskip(NEXT) | instid1(VALU_DEP_4)
	v_add_f32_e32 v54, v54, v171
	v_add_f32_e32 v53, v53, v55
	v_mul_f32_e32 v55, v142, v94
	v_fma_f32 v56, v139, v91, -v56
	s_delay_alu instid0(VALU_DEP_4) | instskip(NEXT) | instid1(VALU_DEP_3)
	v_add_f32_e32 v54, v54, v172
	v_fma_f32 v55, v141, v93, -v55
	s_delay_alu instid0(VALU_DEP_2) | instskip(SKIP_1) | instid1(VALU_DEP_2)
	v_add_f32_e32 v54, v54, v173
	v_add_f32_e32 v53, v53, v57
	v_dual_mul_f32 v57, v144, v96 :: v_dual_add_f32 v54, v54, v174
	s_delay_alu instid0(VALU_DEP_2) | instskip(NEXT) | instid1(VALU_DEP_2)
	v_dual_add_f32 v53, v53, v56 :: v_dual_mul_f32 v56, v146, v98
	v_fma_f32 v57, v143, v95, -v57
	s_delay_alu instid0(VALU_DEP_3) | instskip(NEXT) | instid1(VALU_DEP_3)
	v_add_f32_e32 v54, v54, v175
	v_add_f32_e32 v53, v53, v55
	v_mul_f32_e32 v55, v148, v100
	v_fma_f32 v56, v145, v97, -v56
	s_delay_alu instid0(VALU_DEP_4) | instskip(NEXT) | instid1(VALU_DEP_3)
	v_add_f32_e32 v54, v54, v176
	v_fma_f32 v55, v147, v99, -v55
	s_delay_alu instid0(VALU_DEP_2) | instskip(SKIP_2) | instid1(VALU_DEP_2)
	v_add_f32_e32 v54, v54, v177
	v_add_f32_e32 v53, v53, v57
	v_mul_f32_e32 v57, v154, v150
	v_dual_add_f32 v54, v54, v178 :: v_dual_add_f32 v53, v53, v56
	s_delay_alu instid0(VALU_DEP_2) | instskip(NEXT) | instid1(VALU_DEP_2)
	v_fma_f32 v56, v153, v149, -v57
	v_add_f32_e32 v54, v54, v179
	s_wait_loadcnt 0x0
	s_delay_alu instid0(VALU_DEP_1) | instskip(NEXT) | instid1(VALU_DEP_1)
	v_dual_add_f32 v53, v53, v55 :: v_dual_sub_f32 v54, v152, v54
	v_add_f32_e32 v53, v53, v56
	s_delay_alu instid0(VALU_DEP_1)
	v_sub_f32_e32 v53, v151, v53
	scratch_store_b64 off, v[53:54], off
	s_wait_alu 0xfffe
	s_cbranch_vccz .LBB25_220
; %bb.170:
	global_load_b32 v0, v0, s[2:3] offset:96
	s_wait_loadcnt 0x0
	v_cmp_ne_u32_e32 vcc_lo, 25, v0
	s_cbranch_vccz .LBB25_172
; %bb.171:
	v_lshlrev_b32_e32 v0, 3, v0
	scratch_load_b64 v[53:54], v0, off offset:-8
	scratch_load_b64 v[55:56], off, off offset:192
	s_wait_loadcnt 0x1
	scratch_store_b64 off, v[53:54], off offset:192
	s_wait_loadcnt 0x0
	scratch_store_b64 v0, v[55:56], off offset:-8
.LBB25_172:
	v_mov_b32_e32 v0, 0
	global_load_b32 v53, v0, s[2:3] offset:92
	s_wait_loadcnt 0x0
	v_cmp_eq_u32_e32 vcc_lo, 24, v53
	s_cbranch_vccnz .LBB25_174
; %bb.173:
	v_lshlrev_b32_e32 v53, 3, v53
	s_delay_alu instid0(VALU_DEP_1)
	v_mov_b32_e32 v57, v53
	scratch_load_b64 v[53:54], v57, off offset:-8
	scratch_load_b64 v[55:56], off, off offset:184
	s_wait_loadcnt 0x1
	scratch_store_b64 off, v[53:54], off offset:184
	s_wait_loadcnt 0x0
	scratch_store_b64 v57, v[55:56], off offset:-8
.LBB25_174:
	global_load_b32 v0, v0, s[2:3] offset:88
	s_wait_loadcnt 0x0
	v_cmp_eq_u32_e32 vcc_lo, 23, v0
	s_cbranch_vccnz .LBB25_176
; %bb.175:
	v_lshlrev_b32_e32 v0, 3, v0
	scratch_load_b64 v[53:54], v0, off offset:-8
	scratch_load_b64 v[55:56], off, off offset:176
	s_wait_loadcnt 0x1
	scratch_store_b64 off, v[53:54], off offset:176
	s_wait_loadcnt 0x0
	scratch_store_b64 v0, v[55:56], off offset:-8
.LBB25_176:
	v_mov_b32_e32 v0, 0
	global_load_b32 v53, v0, s[2:3] offset:84
	s_wait_loadcnt 0x0
	v_cmp_eq_u32_e32 vcc_lo, 22, v53
	s_cbranch_vccnz .LBB25_178
; %bb.177:
	v_lshlrev_b32_e32 v53, 3, v53
	s_delay_alu instid0(VALU_DEP_1)
	v_mov_b32_e32 v57, v53
	scratch_load_b64 v[53:54], v57, off offset:-8
	scratch_load_b64 v[55:56], off, off offset:168
	s_wait_loadcnt 0x1
	scratch_store_b64 off, v[53:54], off offset:168
	s_wait_loadcnt 0x0
	scratch_store_b64 v57, v[55:56], off offset:-8
.LBB25_178:
	global_load_b32 v0, v0, s[2:3] offset:80
	s_wait_loadcnt 0x0
	v_cmp_eq_u32_e32 vcc_lo, 21, v0
	s_cbranch_vccnz .LBB25_180
; %bb.179:
	v_lshlrev_b32_e32 v0, 3, v0
	scratch_load_b64 v[53:54], v0, off offset:-8
	scratch_load_b64 v[55:56], off, off offset:160
	s_wait_loadcnt 0x1
	scratch_store_b64 off, v[53:54], off offset:160
	s_wait_loadcnt 0x0
	scratch_store_b64 v0, v[55:56], off offset:-8
.LBB25_180:
	;; [unrolled: 29-line block ×11, first 2 shown]
	v_mov_b32_e32 v0, 0
	global_load_b32 v53, v0, s[2:3] offset:4
	s_wait_loadcnt 0x0
	v_cmp_eq_u32_e32 vcc_lo, 2, v53
	s_cbranch_vccnz .LBB25_218
; %bb.217:
	v_lshlrev_b32_e32 v53, 3, v53
	s_delay_alu instid0(VALU_DEP_1)
	v_mov_b32_e32 v57, v53
	scratch_load_b64 v[53:54], v57, off offset:-8
	scratch_load_b64 v[55:56], off, off offset:8
	s_wait_loadcnt 0x1
	scratch_store_b64 off, v[53:54], off offset:8
	s_wait_loadcnt 0x0
	scratch_store_b64 v57, v[55:56], off offset:-8
.LBB25_218:
	global_load_b32 v0, v0, s[2:3]
	s_wait_loadcnt 0x0
	v_cmp_eq_u32_e32 vcc_lo, 1, v0
	s_cbranch_vccnz .LBB25_220
; %bb.219:
	v_lshlrev_b32_e32 v0, 3, v0
	scratch_load_b64 v[53:54], v0, off offset:-8
	scratch_load_b64 v[55:56], off, off
	s_wait_loadcnt 0x1
	scratch_store_b64 off, v[53:54], off
	s_wait_loadcnt 0x0
	scratch_store_b64 v0, v[55:56], off offset:-8
.LBB25_220:
	s_clause 0xc
	scratch_load_b128 v[53:56], off, off
	scratch_load_b128 v[57:60], off, off offset:16
	scratch_load_b128 v[61:64], off, off offset:32
	;; [unrolled: 1-line block ×12, first 2 shown]
	s_wait_loadcnt 0xc
	s_clause 0x1
	global_store_b64 v[1:2], v[53:54], off
	global_store_b64 v[3:4], v[55:56], off
	s_wait_loadcnt 0xb
	s_clause 0x1
	global_store_b64 v[5:6], v[57:58], off
	global_store_b64 v[7:8], v[59:60], off
	;; [unrolled: 4-line block ×13, first 2 shown]
	s_nop 0
	s_sendmsg sendmsg(MSG_DEALLOC_VGPRS)
	s_endpgm
	.section	.rodata,"a",@progbits
	.p2align	6, 0x0
	.amdhsa_kernel _ZN9rocsolver6v33100L18getri_kernel_smallILi26E19rocblas_complex_numIfEPS3_EEvT1_iilPiilS6_bb
		.amdhsa_group_segment_fixed_size 420
		.amdhsa_private_segment_fixed_size 224
		.amdhsa_kernarg_size 60
		.amdhsa_user_sgpr_count 2
		.amdhsa_user_sgpr_dispatch_ptr 0
		.amdhsa_user_sgpr_queue_ptr 0
		.amdhsa_user_sgpr_kernarg_segment_ptr 1
		.amdhsa_user_sgpr_dispatch_id 0
		.amdhsa_user_sgpr_private_segment_size 0
		.amdhsa_wavefront_size32 1
		.amdhsa_uses_dynamic_stack 0
		.amdhsa_enable_private_segment 1
		.amdhsa_system_sgpr_workgroup_id_x 1
		.amdhsa_system_sgpr_workgroup_id_y 0
		.amdhsa_system_sgpr_workgroup_id_z 0
		.amdhsa_system_sgpr_workgroup_info 0
		.amdhsa_system_vgpr_workitem_id 0
		.amdhsa_next_free_vgpr 180
		.amdhsa_next_free_sgpr 19
		.amdhsa_reserve_vcc 1
		.amdhsa_float_round_mode_32 0
		.amdhsa_float_round_mode_16_64 0
		.amdhsa_float_denorm_mode_32 3
		.amdhsa_float_denorm_mode_16_64 3
		.amdhsa_fp16_overflow 0
		.amdhsa_workgroup_processor_mode 1
		.amdhsa_memory_ordered 1
		.amdhsa_forward_progress 1
		.amdhsa_inst_pref_size 233
		.amdhsa_round_robin_scheduling 0
		.amdhsa_exception_fp_ieee_invalid_op 0
		.amdhsa_exception_fp_denorm_src 0
		.amdhsa_exception_fp_ieee_div_zero 0
		.amdhsa_exception_fp_ieee_overflow 0
		.amdhsa_exception_fp_ieee_underflow 0
		.amdhsa_exception_fp_ieee_inexact 0
		.amdhsa_exception_int_div_zero 0
	.end_amdhsa_kernel
	.section	.text._ZN9rocsolver6v33100L18getri_kernel_smallILi26E19rocblas_complex_numIfEPS3_EEvT1_iilPiilS6_bb,"axG",@progbits,_ZN9rocsolver6v33100L18getri_kernel_smallILi26E19rocblas_complex_numIfEPS3_EEvT1_iilPiilS6_bb,comdat
.Lfunc_end25:
	.size	_ZN9rocsolver6v33100L18getri_kernel_smallILi26E19rocblas_complex_numIfEPS3_EEvT1_iilPiilS6_bb, .Lfunc_end25-_ZN9rocsolver6v33100L18getri_kernel_smallILi26E19rocblas_complex_numIfEPS3_EEvT1_iilPiilS6_bb
                                        ; -- End function
	.set _ZN9rocsolver6v33100L18getri_kernel_smallILi26E19rocblas_complex_numIfEPS3_EEvT1_iilPiilS6_bb.num_vgpr, 180
	.set _ZN9rocsolver6v33100L18getri_kernel_smallILi26E19rocblas_complex_numIfEPS3_EEvT1_iilPiilS6_bb.num_agpr, 0
	.set _ZN9rocsolver6v33100L18getri_kernel_smallILi26E19rocblas_complex_numIfEPS3_EEvT1_iilPiilS6_bb.numbered_sgpr, 19
	.set _ZN9rocsolver6v33100L18getri_kernel_smallILi26E19rocblas_complex_numIfEPS3_EEvT1_iilPiilS6_bb.num_named_barrier, 0
	.set _ZN9rocsolver6v33100L18getri_kernel_smallILi26E19rocblas_complex_numIfEPS3_EEvT1_iilPiilS6_bb.private_seg_size, 224
	.set _ZN9rocsolver6v33100L18getri_kernel_smallILi26E19rocblas_complex_numIfEPS3_EEvT1_iilPiilS6_bb.uses_vcc, 1
	.set _ZN9rocsolver6v33100L18getri_kernel_smallILi26E19rocblas_complex_numIfEPS3_EEvT1_iilPiilS6_bb.uses_flat_scratch, 1
	.set _ZN9rocsolver6v33100L18getri_kernel_smallILi26E19rocblas_complex_numIfEPS3_EEvT1_iilPiilS6_bb.has_dyn_sized_stack, 0
	.set _ZN9rocsolver6v33100L18getri_kernel_smallILi26E19rocblas_complex_numIfEPS3_EEvT1_iilPiilS6_bb.has_recursion, 0
	.set _ZN9rocsolver6v33100L18getri_kernel_smallILi26E19rocblas_complex_numIfEPS3_EEvT1_iilPiilS6_bb.has_indirect_call, 0
	.section	.AMDGPU.csdata,"",@progbits
; Kernel info:
; codeLenInByte = 29820
; TotalNumSgprs: 21
; NumVgprs: 180
; ScratchSize: 224
; MemoryBound: 0
; FloatMode: 240
; IeeeMode: 1
; LDSByteSize: 420 bytes/workgroup (compile time only)
; SGPRBlocks: 0
; VGPRBlocks: 22
; NumSGPRsForWavesPerEU: 21
; NumVGPRsForWavesPerEU: 180
; Occupancy: 8
; WaveLimiterHint : 1
; COMPUTE_PGM_RSRC2:SCRATCH_EN: 1
; COMPUTE_PGM_RSRC2:USER_SGPR: 2
; COMPUTE_PGM_RSRC2:TRAP_HANDLER: 0
; COMPUTE_PGM_RSRC2:TGID_X_EN: 1
; COMPUTE_PGM_RSRC2:TGID_Y_EN: 0
; COMPUTE_PGM_RSRC2:TGID_Z_EN: 0
; COMPUTE_PGM_RSRC2:TIDIG_COMP_CNT: 0
	.section	.text._ZN9rocsolver6v33100L18getri_kernel_smallILi27E19rocblas_complex_numIfEPS3_EEvT1_iilPiilS6_bb,"axG",@progbits,_ZN9rocsolver6v33100L18getri_kernel_smallILi27E19rocblas_complex_numIfEPS3_EEvT1_iilPiilS6_bb,comdat
	.globl	_ZN9rocsolver6v33100L18getri_kernel_smallILi27E19rocblas_complex_numIfEPS3_EEvT1_iilPiilS6_bb ; -- Begin function _ZN9rocsolver6v33100L18getri_kernel_smallILi27E19rocblas_complex_numIfEPS3_EEvT1_iilPiilS6_bb
	.p2align	8
	.type	_ZN9rocsolver6v33100L18getri_kernel_smallILi27E19rocblas_complex_numIfEPS3_EEvT1_iilPiilS6_bb,@function
_ZN9rocsolver6v33100L18getri_kernel_smallILi27E19rocblas_complex_numIfEPS3_EEvT1_iilPiilS6_bb: ; @_ZN9rocsolver6v33100L18getri_kernel_smallILi27E19rocblas_complex_numIfEPS3_EEvT1_iilPiilS6_bb
; %bb.0:
	s_mov_b32 s2, exec_lo
	v_cmpx_gt_u32_e32 27, v0
	s_cbranch_execz .LBB26_122
; %bb.1:
	s_clause 0x2
	s_load_b32 s2, s[0:1], 0x38
	s_load_b128 s[12:15], s[0:1], 0x10
	s_load_b128 s[4:7], s[0:1], 0x28
	s_mov_b32 s16, ttmp9
	s_wait_kmcnt 0x0
	s_bitcmp1_b32 s2, 8
	s_cselect_b32 s18, -1, 0
	s_bfe_u32 s2, s2, 0x10008
	s_ashr_i32 s17, ttmp9, 31
	s_cmp_eq_u32 s2, 0
                                        ; implicit-def: $sgpr2_sgpr3
	s_cbranch_scc1 .LBB26_3
; %bb.2:
	s_load_b32 s2, s[0:1], 0x20
	s_mul_u64 s[4:5], s[4:5], s[16:17]
	s_delay_alu instid0(SALU_CYCLE_1) | instskip(NEXT) | instid1(SALU_CYCLE_1)
	s_lshl_b64 s[4:5], s[4:5], 2
	s_add_nc_u64 s[4:5], s[14:15], s[4:5]
	s_wait_kmcnt 0x0
	s_ashr_i32 s3, s2, 31
	s_delay_alu instid0(SALU_CYCLE_1) | instskip(NEXT) | instid1(SALU_CYCLE_1)
	s_lshl_b64 s[2:3], s[2:3], 2
	s_add_nc_u64 s[2:3], s[4:5], s[2:3]
.LBB26_3:
	s_clause 0x1
	s_load_b128 s[8:11], s[0:1], 0x0
	s_load_b32 s4, s[0:1], 0x38
	s_mul_u64 s[0:1], s[12:13], s[16:17]
	v_lshlrev_b32_e32 v61, 3, v0
	s_lshl_b64 s[0:1], s[0:1], 3
	s_wait_kmcnt 0x0
	v_add3_u32 v3, s11, s11, v0
	s_ashr_i32 s13, s10, 31
	s_mov_b32 s12, s10
	s_add_nc_u64 s[0:1], s[8:9], s[0:1]
	s_lshl_b64 s[12:13], s[12:13], 3
	v_add_nc_u32_e32 v5, s11, v3
	v_ashrrev_i32_e32 v4, 31, v3
	s_add_nc_u64 s[0:1], s[0:1], s[12:13]
	s_ashr_i32 s9, s11, 31
	v_add_co_u32 v1, s5, s0, v61
	v_add_nc_u32_e32 v9, s11, v5
	v_ashrrev_i32_e32 v6, 31, v5
	s_mov_b32 s8, s11
	v_lshlrev_b64_e32 v[7:8], 3, v[3:4]
	v_add_co_ci_u32_e64 v2, null, s1, 0, s5
	v_add_nc_u32_e32 v13, s11, v9
	s_lshl_b64 s[8:9], s[8:9], 3
	v_lshlrev_b64_e32 v[11:12], 3, v[5:6]
	v_add_co_u32 v3, vcc_lo, v1, s8
	s_delay_alu instid0(VALU_DEP_3)
	v_ashrrev_i32_e32 v14, 31, v13
	v_add_nc_u32_e32 v15, s11, v13
	v_add_co_ci_u32_e64 v4, null, s9, v2, vcc_lo
	v_add_co_u32 v5, vcc_lo, s0, v7
	s_wait_alu 0xfffd
	v_add_co_ci_u32_e64 v6, null, s1, v8, vcc_lo
	v_add_co_u32 v7, vcc_lo, s0, v11
	s_wait_alu 0xfffd
	v_add_co_ci_u32_e64 v8, null, s1, v12, vcc_lo
	v_lshlrev_b64_e32 v[11:12], 3, v[13:14]
	v_add_nc_u32_e32 v13, s11, v15
	v_ashrrev_i32_e32 v10, 31, v9
	v_ashrrev_i32_e32 v16, 31, v15
	global_load_b64 v[55:56], v61, s[0:1]
	s_bitcmp0_b32 s4, 0
	v_add_nc_u32_e32 v17, s11, v13
	v_lshlrev_b64_e32 v[9:10], 3, v[9:10]
	v_ashrrev_i32_e32 v14, 31, v13
	v_lshlrev_b64_e32 v[15:16], 3, v[15:16]
	s_delay_alu instid0(VALU_DEP_4)
	v_add_nc_u32_e32 v21, s11, v17
	v_ashrrev_i32_e32 v18, 31, v17
	v_add_co_u32 v9, vcc_lo, s0, v9
	v_lshlrev_b64_e32 v[19:20], 3, v[13:14]
	s_wait_alu 0xfffd
	v_add_co_ci_u32_e64 v10, null, s1, v10, vcc_lo
	v_add_co_u32 v11, vcc_lo, s0, v11
	v_ashrrev_i32_e32 v22, 31, v21
	s_wait_alu 0xfffd
	v_add_co_ci_u32_e64 v12, null, s1, v12, vcc_lo
	v_add_co_u32 v13, vcc_lo, s0, v15
	s_wait_alu 0xfffd
	v_add_co_ci_u32_e64 v14, null, s1, v16, vcc_lo
	v_add_co_u32 v15, vcc_lo, s0, v19
	s_wait_alu 0xfffd
	v_add_co_ci_u32_e64 v16, null, s1, v20, vcc_lo
	v_lshlrev_b64_e32 v[19:20], 3, v[21:22]
	v_add_nc_u32_e32 v21, s11, v21
	v_lshlrev_b64_e32 v[17:18], 3, v[17:18]
	s_clause 0x3
	global_load_b64 v[57:58], v[3:4], off
	global_load_b64 v[62:63], v[5:6], off
	;; [unrolled: 1-line block ×4, first 2 shown]
	v_add_nc_u32_e32 v23, s11, v21
	v_ashrrev_i32_e32 v22, 31, v21
	v_add_co_u32 v17, vcc_lo, s0, v17
	s_wait_alu 0xfffd
	v_add_co_ci_u32_e64 v18, null, s1, v18, vcc_lo
	v_add_nc_u32_e32 v25, s11, v23
	v_ashrrev_i32_e32 v24, 31, v23
	v_lshlrev_b64_e32 v[21:22], 3, v[21:22]
	v_add_co_u32 v19, vcc_lo, s0, v19
	s_delay_alu instid0(VALU_DEP_4)
	v_add_nc_u32_e32 v27, s11, v25
	v_ashrrev_i32_e32 v26, 31, v25
	v_lshlrev_b64_e32 v[23:24], 3, v[23:24]
	s_wait_alu 0xfffd
	v_add_co_ci_u32_e64 v20, null, s1, v20, vcc_lo
	v_add_nc_u32_e32 v29, s11, v27
	v_ashrrev_i32_e32 v28, 31, v27
	v_lshlrev_b64_e32 v[25:26], 3, v[25:26]
	v_add_co_u32 v21, vcc_lo, s0, v21
	s_delay_alu instid0(VALU_DEP_4)
	v_add_nc_u32_e32 v31, s11, v29
	v_ashrrev_i32_e32 v30, 31, v29
	v_lshlrev_b64_e32 v[27:28], 3, v[27:28]
	s_wait_alu 0xfffd
	v_add_co_ci_u32_e64 v22, null, s1, v22, vcc_lo
	v_add_nc_u32_e32 v33, s11, v31
	v_ashrrev_i32_e32 v32, 31, v31
	v_add_co_u32 v23, vcc_lo, s0, v23
	v_lshlrev_b64_e32 v[29:30], 3, v[29:30]
	s_delay_alu instid0(VALU_DEP_4)
	v_add_nc_u32_e32 v35, s11, v33
	v_ashrrev_i32_e32 v34, 31, v33
	s_wait_alu 0xfffd
	v_add_co_ci_u32_e64 v24, null, s1, v24, vcc_lo
	v_add_co_u32 v25, vcc_lo, s0, v25
	v_add_nc_u32_e32 v37, s11, v35
	v_ashrrev_i32_e32 v36, 31, v35
	v_lshlrev_b64_e32 v[31:32], 3, v[31:32]
	s_wait_alu 0xfffd
	v_add_co_ci_u32_e64 v26, null, s1, v26, vcc_lo
	v_add_nc_u32_e32 v39, s11, v37
	v_ashrrev_i32_e32 v38, 31, v37
	v_add_co_u32 v27, vcc_lo, s0, v27
	v_lshlrev_b64_e32 v[33:34], 3, v[33:34]
	s_delay_alu instid0(VALU_DEP_4)
	v_add_nc_u32_e32 v41, s11, v39
	v_ashrrev_i32_e32 v40, 31, v39
	s_wait_alu 0xfffd
	v_add_co_ci_u32_e64 v28, null, s1, v28, vcc_lo
	v_add_co_u32 v29, vcc_lo, s0, v29
	v_add_nc_u32_e32 v43, s11, v41
	v_lshlrev_b64_e32 v[35:36], 3, v[35:36]
	v_ashrrev_i32_e32 v42, 31, v41
	s_wait_alu 0xfffd
	v_add_co_ci_u32_e64 v30, null, s1, v30, vcc_lo
	v_add_nc_u32_e32 v45, s11, v43
	v_add_co_u32 v31, vcc_lo, s0, v31
	v_lshlrev_b64_e32 v[37:38], 3, v[37:38]
	v_ashrrev_i32_e32 v44, 31, v43
	s_delay_alu instid0(VALU_DEP_4) | instskip(SKIP_3) | instid1(VALU_DEP_3)
	v_add_nc_u32_e32 v47, s11, v45
	s_wait_alu 0xfffd
	v_add_co_ci_u32_e64 v32, null, s1, v32, vcc_lo
	v_add_co_u32 v33, vcc_lo, s0, v33
	v_add_nc_u32_e32 v49, s11, v47
	v_lshlrev_b64_e32 v[39:40], 3, v[39:40]
	v_ashrrev_i32_e32 v46, 31, v45
	s_wait_alu 0xfffd
	v_add_co_ci_u32_e64 v34, null, s1, v34, vcc_lo
	v_add_nc_u32_e32 v51, s11, v49
	v_add_co_u32 v35, vcc_lo, s0, v35
	v_lshlrev_b64_e32 v[41:42], 3, v[41:42]
	v_ashrrev_i32_e32 v48, 31, v47
	s_wait_alu 0xfffd
	v_add_co_ci_u32_e64 v36, null, s1, v36, vcc_lo
	v_add_co_u32 v37, vcc_lo, s0, v37
	v_lshlrev_b64_e32 v[43:44], 3, v[43:44]
	v_add_nc_u32_e32 v53, s11, v51
	v_ashrrev_i32_e32 v50, 31, v49
	s_wait_alu 0xfffd
	v_add_co_ci_u32_e64 v38, null, s1, v38, vcc_lo
	v_add_co_u32 v39, vcc_lo, s0, v39
	v_lshlrev_b64_e32 v[45:46], 3, v[45:46]
	v_ashrrev_i32_e32 v52, 31, v51
	s_wait_alu 0xfffd
	v_add_co_ci_u32_e64 v40, null, s1, v40, vcc_lo
	v_add_co_u32 v41, vcc_lo, s0, v41
	v_lshlrev_b64_e32 v[47:48], 3, v[47:48]
	;; [unrolled: 5-line block ×3, first 2 shown]
	s_wait_alu 0xfffd
	v_add_co_ci_u32_e64 v44, null, s1, v44, vcc_lo
	v_add_co_u32 v45, vcc_lo, s0, v45
	v_lshlrev_b64_e32 v[51:52], 3, v[51:52]
	s_wait_alu 0xfffd
	v_add_co_ci_u32_e64 v46, null, s1, v46, vcc_lo
	v_add_co_u32 v47, vcc_lo, s0, v47
	v_lshlrev_b64_e32 v[53:54], 3, v[53:54]
	s_wait_alu 0xfffd
	v_add_co_ci_u32_e64 v48, null, s1, v48, vcc_lo
	v_add_co_u32 v49, vcc_lo, s0, v49
	s_wait_alu 0xfffd
	v_add_co_ci_u32_e64 v50, null, s1, v50, vcc_lo
	v_add_co_u32 v51, vcc_lo, s0, v51
	s_wait_alu 0xfffd
	v_add_co_ci_u32_e64 v52, null, s1, v52, vcc_lo
	v_add_co_u32 v53, vcc_lo, s0, v53
	s_clause 0x7
	global_load_b64 v[68:69], v[11:12], off
	global_load_b64 v[70:71], v[13:14], off
	global_load_b64 v[72:73], v[15:16], off
	global_load_b64 v[74:75], v[17:18], off
	global_load_b64 v[76:77], v[19:20], off
	global_load_b64 v[78:79], v[21:22], off
	global_load_b64 v[80:81], v[23:24], off
	global_load_b64 v[82:83], v[25:26], off
	s_wait_alu 0xfffd
	v_add_co_ci_u32_e64 v54, null, s1, v54, vcc_lo
	s_clause 0xd
	global_load_b64 v[84:85], v[27:28], off
	global_load_b64 v[86:87], v[29:30], off
	;; [unrolled: 1-line block ×14, first 2 shown]
	s_mov_b32 s1, -1
	s_wait_loadcnt 0x19
	scratch_store_b128 off, v[55:58], off
	s_wait_loadcnt 0x17
	scratch_store_b128 off, v[62:65], off offset:16
	s_wait_loadcnt 0x15
	scratch_store_b128 off, v[66:69], off offset:32
	;; [unrolled: 2-line block ×12, first 2 shown]
	s_wait_loadcnt 0x0
	scratch_store_b64 off, v[59:60], off offset:208
	s_cbranch_scc1 .LBB26_120
; %bb.4:
	v_cmp_eq_u32_e64 s0, 0, v0
	s_and_saveexec_b32 s1, s0
; %bb.5:
	v_mov_b32_e32 v55, 0
	ds_store_b32 v55, v55 offset:216
; %bb.6:
	s_wait_alu 0xfffe
	s_or_b32 exec_lo, exec_lo, s1
	s_wait_storecnt_dscnt 0x0
	s_barrier_signal -1
	s_barrier_wait -1
	global_inv scope:SCOPE_SE
	scratch_load_b64 v[55:56], v61, off
	s_wait_loadcnt 0x0
	v_cmp_eq_f32_e32 vcc_lo, 0, v55
	v_cmp_eq_f32_e64 s1, 0, v56
	s_and_b32 s1, vcc_lo, s1
	s_wait_alu 0xfffe
	s_and_saveexec_b32 s4, s1
	s_cbranch_execz .LBB26_10
; %bb.7:
	v_mov_b32_e32 v55, 0
	s_mov_b32 s5, 0
	ds_load_b32 v56, v55 offset:216
	s_wait_dscnt 0x0
	v_readfirstlane_b32 s1, v56
	v_add_nc_u32_e32 v56, 1, v0
	s_cmp_eq_u32 s1, 0
	s_delay_alu instid0(VALU_DEP_1)
	v_cmp_gt_i32_e32 vcc_lo, s1, v56
	s_cselect_b32 s8, -1, 0
	s_wait_alu 0xfffe
	s_or_b32 s8, s8, vcc_lo
	s_wait_alu 0xfffe
	s_and_b32 exec_lo, exec_lo, s8
	s_cbranch_execz .LBB26_10
; %bb.8:
	v_mov_b32_e32 v57, s1
.LBB26_9:                               ; =>This Inner Loop Header: Depth=1
	ds_cmpstore_rtn_b32 v57, v55, v56, v57 offset:216
	s_wait_dscnt 0x0
	v_cmp_ne_u32_e32 vcc_lo, 0, v57
	v_cmp_le_i32_e64 s1, v57, v56
	s_and_b32 s1, vcc_lo, s1
	s_wait_alu 0xfffe
	s_and_b32 s1, exec_lo, s1
	s_wait_alu 0xfffe
	s_or_b32 s5, s1, s5
	s_wait_alu 0xfffe
	s_and_not1_b32 exec_lo, exec_lo, s5
	s_cbranch_execnz .LBB26_9
.LBB26_10:
	s_wait_alu 0xfffe
	s_or_b32 exec_lo, exec_lo, s4
	v_mov_b32_e32 v55, 0
	s_barrier_signal -1
	s_barrier_wait -1
	global_inv scope:SCOPE_SE
	ds_load_b32 v56, v55 offset:216
	s_and_saveexec_b32 s1, s0
	s_cbranch_execz .LBB26_12
; %bb.11:
	s_lshl_b64 s[4:5], s[16:17], 2
	s_wait_alu 0xfffe
	s_add_nc_u64 s[4:5], s[6:7], s[4:5]
	s_wait_dscnt 0x0
	global_store_b32 v55, v56, s[4:5]
.LBB26_12:
	s_wait_alu 0xfffe
	s_or_b32 exec_lo, exec_lo, s1
	s_wait_dscnt 0x0
	v_cmp_ne_u32_e32 vcc_lo, 0, v56
	s_mov_b32 s1, 0
	s_cbranch_vccnz .LBB26_120
; %bb.13:
	v_mov_b32_e32 v62, v61
                                        ; implicit-def: $vgpr57
                                        ; implicit-def: $vgpr59
	scratch_load_b64 v[55:56], v62, off
	s_wait_loadcnt 0x0
	v_cmp_ngt_f32_e64 s1, |v55|, |v56|
	s_wait_alu 0xfffe
	s_and_saveexec_b32 s4, s1
	s_wait_alu 0xfffe
	s_xor_b32 s1, exec_lo, s4
	s_cbranch_execz .LBB26_15
; %bb.14:
	v_div_scale_f32 v57, null, v56, v56, v55
	v_div_scale_f32 v60, vcc_lo, v55, v56, v55
	s_delay_alu instid0(VALU_DEP_2) | instskip(NEXT) | instid1(TRANS32_DEP_1)
	v_rcp_f32_e32 v58, v57
	v_fma_f32 v59, -v57, v58, 1.0
	s_delay_alu instid0(VALU_DEP_1) | instskip(NEXT) | instid1(VALU_DEP_1)
	v_fmac_f32_e32 v58, v59, v58
	v_mul_f32_e32 v59, v60, v58
	s_delay_alu instid0(VALU_DEP_1) | instskip(NEXT) | instid1(VALU_DEP_1)
	v_fma_f32 v63, -v57, v59, v60
	v_fmac_f32_e32 v59, v63, v58
	s_delay_alu instid0(VALU_DEP_1) | instskip(SKIP_1) | instid1(VALU_DEP_1)
	v_fma_f32 v57, -v57, v59, v60
	s_wait_alu 0xfffd
	v_div_fmas_f32 v57, v57, v58, v59
	s_delay_alu instid0(VALU_DEP_1) | instskip(NEXT) | instid1(VALU_DEP_1)
	v_div_fixup_f32 v57, v57, v56, v55
	v_fmac_f32_e32 v56, v55, v57
	s_delay_alu instid0(VALU_DEP_1) | instskip(NEXT) | instid1(VALU_DEP_1)
	v_div_scale_f32 v55, null, v56, v56, 1.0
	v_rcp_f32_e32 v58, v55
	s_delay_alu instid0(TRANS32_DEP_1) | instskip(NEXT) | instid1(VALU_DEP_1)
	v_fma_f32 v59, -v55, v58, 1.0
	v_fmac_f32_e32 v58, v59, v58
	v_div_scale_f32 v59, vcc_lo, 1.0, v56, 1.0
	s_delay_alu instid0(VALU_DEP_1) | instskip(NEXT) | instid1(VALU_DEP_1)
	v_mul_f32_e32 v60, v59, v58
	v_fma_f32 v63, -v55, v60, v59
	s_delay_alu instid0(VALU_DEP_1) | instskip(NEXT) | instid1(VALU_DEP_1)
	v_fmac_f32_e32 v60, v63, v58
	v_fma_f32 v55, -v55, v60, v59
	s_wait_alu 0xfffd
	s_delay_alu instid0(VALU_DEP_1) | instskip(NEXT) | instid1(VALU_DEP_1)
	v_div_fmas_f32 v55, v55, v58, v60
	v_div_fixup_f32 v55, v55, v56, 1.0
	s_delay_alu instid0(VALU_DEP_1) | instskip(SKIP_1) | instid1(VALU_DEP_2)
	v_mul_f32_e32 v57, v57, v55
	v_xor_b32_e32 v58, 0x80000000, v55
                                        ; implicit-def: $vgpr55_vgpr56
	v_xor_b32_e32 v59, 0x80000000, v57
.LBB26_15:
	s_wait_alu 0xfffe
	s_and_not1_saveexec_b32 s1, s1
	s_cbranch_execz .LBB26_17
; %bb.16:
	v_div_scale_f32 v57, null, v55, v55, v56
	v_div_scale_f32 v60, vcc_lo, v56, v55, v56
	s_delay_alu instid0(VALU_DEP_2) | instskip(NEXT) | instid1(TRANS32_DEP_1)
	v_rcp_f32_e32 v58, v57
	v_fma_f32 v59, -v57, v58, 1.0
	s_delay_alu instid0(VALU_DEP_1) | instskip(NEXT) | instid1(VALU_DEP_1)
	v_fmac_f32_e32 v58, v59, v58
	v_mul_f32_e32 v59, v60, v58
	s_delay_alu instid0(VALU_DEP_1) | instskip(NEXT) | instid1(VALU_DEP_1)
	v_fma_f32 v63, -v57, v59, v60
	v_fmac_f32_e32 v59, v63, v58
	s_delay_alu instid0(VALU_DEP_1) | instskip(SKIP_1) | instid1(VALU_DEP_1)
	v_fma_f32 v57, -v57, v59, v60
	s_wait_alu 0xfffd
	v_div_fmas_f32 v57, v57, v58, v59
	s_delay_alu instid0(VALU_DEP_1) | instskip(NEXT) | instid1(VALU_DEP_1)
	v_div_fixup_f32 v58, v57, v55, v56
	v_fmac_f32_e32 v55, v56, v58
	s_delay_alu instid0(VALU_DEP_1) | instskip(SKIP_1) | instid1(VALU_DEP_2)
	v_div_scale_f32 v56, null, v55, v55, 1.0
	v_div_scale_f32 v60, vcc_lo, 1.0, v55, 1.0
	v_rcp_f32_e32 v57, v56
	s_delay_alu instid0(TRANS32_DEP_1) | instskip(NEXT) | instid1(VALU_DEP_1)
	v_fma_f32 v59, -v56, v57, 1.0
	v_fmac_f32_e32 v57, v59, v57
	s_delay_alu instid0(VALU_DEP_1) | instskip(NEXT) | instid1(VALU_DEP_1)
	v_mul_f32_e32 v59, v60, v57
	v_fma_f32 v63, -v56, v59, v60
	s_delay_alu instid0(VALU_DEP_1) | instskip(NEXT) | instid1(VALU_DEP_1)
	v_fmac_f32_e32 v59, v63, v57
	v_fma_f32 v56, -v56, v59, v60
	s_wait_alu 0xfffd
	s_delay_alu instid0(VALU_DEP_1) | instskip(NEXT) | instid1(VALU_DEP_1)
	v_div_fmas_f32 v56, v56, v57, v59
	v_div_fixup_f32 v57, v56, v55, 1.0
	s_delay_alu instid0(VALU_DEP_1)
	v_xor_b32_e32 v59, 0x80000000, v57
	v_mul_f32_e64 v58, v58, -v57
.LBB26_17:
	s_wait_alu 0xfffe
	s_or_b32 exec_lo, exec_lo, s1
	scratch_store_b64 v62, v[57:58], off
	scratch_load_b64 v[56:57], off, off offset:8
	v_xor_b32_e32 v60, 0x80000000, v58
	v_add_nc_u32_e32 v55, 0xe0, v61
	s_wait_loadcnt 0x0
	ds_store_2addr_b64 v61, v[59:60], v[56:57] offset1:28
	s_wait_storecnt_dscnt 0x0
	s_barrier_signal -1
	s_barrier_wait -1
	global_inv scope:SCOPE_SE
	s_and_saveexec_b32 s1, s0
	s_cbranch_execz .LBB26_19
; %bb.18:
	scratch_load_b64 v[56:57], v62, off
	ds_load_b64 v[58:59], v55
	v_mov_b32_e32 v60, 0
	ds_load_b64 v[63:64], v60 offset:8
	s_wait_loadcnt_dscnt 0x1
	v_mul_f32_e32 v60, v58, v57
	v_mul_f32_e32 v57, v59, v57
	s_delay_alu instid0(VALU_DEP_2) | instskip(NEXT) | instid1(VALU_DEP_2)
	v_fmac_f32_e32 v60, v59, v56
	v_fma_f32 v56, v58, v56, -v57
	s_delay_alu instid0(VALU_DEP_2) | instskip(NEXT) | instid1(VALU_DEP_2)
	v_add_f32_e32 v58, 0, v60
	v_add_f32_e32 v56, 0, v56
	s_wait_dscnt 0x0
	s_delay_alu instid0(VALU_DEP_2) | instskip(NEXT) | instid1(VALU_DEP_2)
	v_mul_f32_e32 v59, v58, v64
	v_mul_f32_e32 v57, v56, v64
	s_delay_alu instid0(VALU_DEP_2) | instskip(NEXT) | instid1(VALU_DEP_2)
	v_fma_f32 v56, v56, v63, -v59
	v_fmac_f32_e32 v57, v58, v63
	scratch_store_b64 off, v[56:57], off offset:8
.LBB26_19:
	s_wait_alu 0xfffe
	s_or_b32 exec_lo, exec_lo, s1
	s_wait_loadcnt 0x0
	s_wait_storecnt 0x0
	s_barrier_signal -1
	s_barrier_wait -1
	global_inv scope:SCOPE_SE
	scratch_load_b64 v[56:57], off, off offset:16
	s_mov_b32 s1, exec_lo
	s_wait_loadcnt 0x0
	ds_store_b64 v55, v[56:57]
	s_wait_dscnt 0x0
	s_barrier_signal -1
	s_barrier_wait -1
	global_inv scope:SCOPE_SE
	v_cmpx_gt_u32_e32 2, v0
	s_cbranch_execz .LBB26_23
; %bb.20:
	scratch_load_b64 v[56:57], v62, off
	ds_load_b64 v[58:59], v55
	s_wait_loadcnt_dscnt 0x0
	v_mul_f32_e32 v60, v59, v57
	v_mul_f32_e32 v63, v58, v57
	s_delay_alu instid0(VALU_DEP_2) | instskip(NEXT) | instid1(VALU_DEP_2)
	v_fma_f32 v57, v58, v56, -v60
	v_fmac_f32_e32 v63, v59, v56
	s_delay_alu instid0(VALU_DEP_1)
	v_dual_add_f32 v57, 0, v57 :: v_dual_add_f32 v56, 0, v63
	s_and_saveexec_b32 s4, s0
	s_cbranch_execz .LBB26_22
; %bb.21:
	scratch_load_b64 v[58:59], off, off offset:8
	v_mov_b32_e32 v60, 0
	ds_load_b64 v[63:64], v60 offset:232
	s_wait_loadcnt_dscnt 0x0
	v_mul_f32_e32 v60, v63, v59
	v_mul_f32_e32 v59, v64, v59
	s_delay_alu instid0(VALU_DEP_2) | instskip(NEXT) | instid1(VALU_DEP_2)
	v_fmac_f32_e32 v60, v64, v58
	v_fma_f32 v58, v63, v58, -v59
	s_delay_alu instid0(VALU_DEP_1)
	v_dual_add_f32 v56, v56, v60 :: v_dual_add_f32 v57, v57, v58
.LBB26_22:
	s_wait_alu 0xfffe
	s_or_b32 exec_lo, exec_lo, s4
	v_mov_b32_e32 v58, 0
	ds_load_b64 v[58:59], v58 offset:16
	s_wait_dscnt 0x0
	v_mul_f32_e32 v63, v56, v59
	v_mul_f32_e32 v60, v57, v59
	s_delay_alu instid0(VALU_DEP_2) | instskip(NEXT) | instid1(VALU_DEP_2)
	v_fma_f32 v59, v57, v58, -v63
	v_fmac_f32_e32 v60, v56, v58
	scratch_store_b64 off, v[59:60], off offset:16
.LBB26_23:
	s_wait_alu 0xfffe
	s_or_b32 exec_lo, exec_lo, s1
	s_wait_loadcnt 0x0
	s_wait_storecnt 0x0
	s_barrier_signal -1
	s_barrier_wait -1
	global_inv scope:SCOPE_SE
	scratch_load_b64 v[57:58], off, off offset:24
	v_add_nc_u32_e32 v56, -1, v0
	s_mov_b32 s0, exec_lo
	s_wait_loadcnt 0x0
	ds_store_b64 v55, v[57:58]
	s_wait_dscnt 0x0
	s_barrier_signal -1
	s_barrier_wait -1
	global_inv scope:SCOPE_SE
	v_cmpx_gt_u32_e32 3, v0
	s_cbranch_execz .LBB26_27
; %bb.24:
	v_dual_mov_b32 v57, 0 :: v_dual_add_nc_u32 v58, -1, v0
	v_dual_mov_b32 v60, v61 :: v_dual_add_nc_u32 v59, 0xe0, v61
	v_mov_b32_e32 v63, 0
	s_mov_b32 s1, 0
.LBB26_25:                              ; =>This Inner Loop Header: Depth=1
	scratch_load_b64 v[64:65], v60, off
	ds_load_b64 v[66:67], v59
	v_add_nc_u32_e32 v58, 1, v58
	v_add_nc_u32_e32 v59, 8, v59
	s_delay_alu instid0(VALU_DEP_2)
	v_cmp_lt_u32_e32 vcc_lo, 1, v58
	s_wait_alu 0xfffe
	s_or_b32 s1, vcc_lo, s1
	s_wait_loadcnt_dscnt 0x0
	v_mul_f32_e32 v68, v67, v65
	v_mul_f32_e32 v65, v66, v65
	s_delay_alu instid0(VALU_DEP_2) | instskip(NEXT) | instid1(VALU_DEP_2)
	v_fma_f32 v66, v66, v64, -v68
	v_fmac_f32_e32 v65, v67, v64
	s_delay_alu instid0(VALU_DEP_2) | instskip(NEXT) | instid1(VALU_DEP_2)
	v_dual_add_f32 v63, v63, v66 :: v_dual_add_nc_u32 v60, 8, v60
	v_add_f32_e32 v57, v57, v65
	s_wait_alu 0xfffe
	s_and_not1_b32 exec_lo, exec_lo, s1
	s_cbranch_execnz .LBB26_25
; %bb.26:
	s_or_b32 exec_lo, exec_lo, s1
	v_mov_b32_e32 v58, 0
	ds_load_b64 v[58:59], v58 offset:24
	s_wait_dscnt 0x0
	v_mul_f32_e32 v64, v57, v59
	v_mul_f32_e32 v60, v63, v59
	s_delay_alu instid0(VALU_DEP_2) | instskip(NEXT) | instid1(VALU_DEP_2)
	v_fma_f32 v59, v63, v58, -v64
	v_fmac_f32_e32 v60, v57, v58
	scratch_store_b64 off, v[59:60], off offset:24
.LBB26_27:
	s_wait_alu 0xfffe
	s_or_b32 exec_lo, exec_lo, s0
	s_wait_loadcnt 0x0
	s_wait_storecnt 0x0
	s_barrier_signal -1
	s_barrier_wait -1
	global_inv scope:SCOPE_SE
	scratch_load_b64 v[57:58], off, off offset:32
	s_mov_b32 s0, exec_lo
	s_wait_loadcnt 0x0
	ds_store_b64 v55, v[57:58]
	s_wait_dscnt 0x0
	s_barrier_signal -1
	s_barrier_wait -1
	global_inv scope:SCOPE_SE
	v_cmpx_gt_u32_e32 4, v0
	s_cbranch_execz .LBB26_31
; %bb.28:
	v_dual_mov_b32 v57, 0 :: v_dual_add_nc_u32 v58, -1, v0
	v_dual_mov_b32 v60, v61 :: v_dual_add_nc_u32 v59, 0xe0, v61
	v_mov_b32_e32 v63, 0
	s_mov_b32 s1, 0
.LBB26_29:                              ; =>This Inner Loop Header: Depth=1
	scratch_load_b64 v[64:65], v60, off
	ds_load_b64 v[66:67], v59
	v_add_nc_u32_e32 v58, 1, v58
	v_add_nc_u32_e32 v59, 8, v59
	s_delay_alu instid0(VALU_DEP_2)
	v_cmp_lt_u32_e32 vcc_lo, 2, v58
	s_wait_alu 0xfffe
	s_or_b32 s1, vcc_lo, s1
	s_wait_loadcnt_dscnt 0x0
	v_mul_f32_e32 v68, v67, v65
	v_mul_f32_e32 v65, v66, v65
	s_delay_alu instid0(VALU_DEP_2) | instskip(NEXT) | instid1(VALU_DEP_2)
	v_fma_f32 v66, v66, v64, -v68
	v_fmac_f32_e32 v65, v67, v64
	s_delay_alu instid0(VALU_DEP_2) | instskip(NEXT) | instid1(VALU_DEP_2)
	v_dual_add_f32 v63, v63, v66 :: v_dual_add_nc_u32 v60, 8, v60
	v_add_f32_e32 v57, v57, v65
	s_wait_alu 0xfffe
	s_and_not1_b32 exec_lo, exec_lo, s1
	s_cbranch_execnz .LBB26_29
; %bb.30:
	s_or_b32 exec_lo, exec_lo, s1
	v_mov_b32_e32 v58, 0
	ds_load_b64 v[58:59], v58 offset:32
	s_wait_dscnt 0x0
	v_mul_f32_e32 v64, v57, v59
	v_mul_f32_e32 v60, v63, v59
	s_delay_alu instid0(VALU_DEP_2) | instskip(NEXT) | instid1(VALU_DEP_2)
	v_fma_f32 v59, v63, v58, -v64
	v_fmac_f32_e32 v60, v57, v58
	scratch_store_b64 off, v[59:60], off offset:32
.LBB26_31:
	s_wait_alu 0xfffe
	s_or_b32 exec_lo, exec_lo, s0
	s_wait_loadcnt 0x0
	s_wait_storecnt 0x0
	s_barrier_signal -1
	s_barrier_wait -1
	global_inv scope:SCOPE_SE
	scratch_load_b64 v[57:58], off, off offset:40
	s_mov_b32 s0, exec_lo
	s_wait_loadcnt 0x0
	ds_store_b64 v55, v[57:58]
	s_wait_dscnt 0x0
	s_barrier_signal -1
	s_barrier_wait -1
	global_inv scope:SCOPE_SE
	v_cmpx_gt_u32_e32 5, v0
	s_cbranch_execz .LBB26_35
; %bb.32:
	v_dual_mov_b32 v57, 0 :: v_dual_add_nc_u32 v58, -1, v0
	v_dual_mov_b32 v60, v61 :: v_dual_add_nc_u32 v59, 0xe0, v61
	v_mov_b32_e32 v63, 0
	s_mov_b32 s1, 0
.LBB26_33:                              ; =>This Inner Loop Header: Depth=1
	scratch_load_b64 v[64:65], v60, off
	ds_load_b64 v[66:67], v59
	v_add_nc_u32_e32 v58, 1, v58
	v_add_nc_u32_e32 v59, 8, v59
	s_delay_alu instid0(VALU_DEP_2)
	v_cmp_lt_u32_e32 vcc_lo, 3, v58
	s_wait_alu 0xfffe
	s_or_b32 s1, vcc_lo, s1
	s_wait_loadcnt_dscnt 0x0
	v_mul_f32_e32 v68, v67, v65
	v_mul_f32_e32 v65, v66, v65
	s_delay_alu instid0(VALU_DEP_2) | instskip(NEXT) | instid1(VALU_DEP_2)
	v_fma_f32 v66, v66, v64, -v68
	v_fmac_f32_e32 v65, v67, v64
	s_delay_alu instid0(VALU_DEP_2) | instskip(NEXT) | instid1(VALU_DEP_2)
	v_dual_add_f32 v63, v63, v66 :: v_dual_add_nc_u32 v60, 8, v60
	v_add_f32_e32 v57, v57, v65
	s_wait_alu 0xfffe
	s_and_not1_b32 exec_lo, exec_lo, s1
	s_cbranch_execnz .LBB26_33
; %bb.34:
	s_or_b32 exec_lo, exec_lo, s1
	v_mov_b32_e32 v58, 0
	ds_load_b64 v[58:59], v58 offset:40
	s_wait_dscnt 0x0
	v_mul_f32_e32 v64, v57, v59
	v_mul_f32_e32 v60, v63, v59
	s_delay_alu instid0(VALU_DEP_2) | instskip(NEXT) | instid1(VALU_DEP_2)
	v_fma_f32 v59, v63, v58, -v64
	v_fmac_f32_e32 v60, v57, v58
	scratch_store_b64 off, v[59:60], off offset:40
.LBB26_35:
	s_wait_alu 0xfffe
	s_or_b32 exec_lo, exec_lo, s0
	s_wait_loadcnt 0x0
	s_wait_storecnt 0x0
	s_barrier_signal -1
	s_barrier_wait -1
	global_inv scope:SCOPE_SE
	scratch_load_b64 v[57:58], off, off offset:48
	s_mov_b32 s0, exec_lo
	s_wait_loadcnt 0x0
	ds_store_b64 v55, v[57:58]
	s_wait_dscnt 0x0
	s_barrier_signal -1
	s_barrier_wait -1
	global_inv scope:SCOPE_SE
	v_cmpx_gt_u32_e32 6, v0
	s_cbranch_execz .LBB26_39
; %bb.36:
	v_dual_mov_b32 v57, 0 :: v_dual_add_nc_u32 v58, -1, v0
	v_dual_mov_b32 v60, v61 :: v_dual_add_nc_u32 v59, 0xe0, v61
	v_mov_b32_e32 v63, 0
	s_mov_b32 s1, 0
.LBB26_37:                              ; =>This Inner Loop Header: Depth=1
	scratch_load_b64 v[64:65], v60, off
	ds_load_b64 v[66:67], v59
	v_add_nc_u32_e32 v58, 1, v58
	v_add_nc_u32_e32 v59, 8, v59
	s_delay_alu instid0(VALU_DEP_2)
	v_cmp_lt_u32_e32 vcc_lo, 4, v58
	s_wait_alu 0xfffe
	s_or_b32 s1, vcc_lo, s1
	s_wait_loadcnt_dscnt 0x0
	v_mul_f32_e32 v68, v67, v65
	v_mul_f32_e32 v65, v66, v65
	s_delay_alu instid0(VALU_DEP_2) | instskip(NEXT) | instid1(VALU_DEP_2)
	v_fma_f32 v66, v66, v64, -v68
	v_fmac_f32_e32 v65, v67, v64
	s_delay_alu instid0(VALU_DEP_2) | instskip(NEXT) | instid1(VALU_DEP_2)
	v_dual_add_f32 v63, v63, v66 :: v_dual_add_nc_u32 v60, 8, v60
	v_add_f32_e32 v57, v57, v65
	s_wait_alu 0xfffe
	s_and_not1_b32 exec_lo, exec_lo, s1
	s_cbranch_execnz .LBB26_37
; %bb.38:
	s_or_b32 exec_lo, exec_lo, s1
	v_mov_b32_e32 v58, 0
	ds_load_b64 v[58:59], v58 offset:48
	s_wait_dscnt 0x0
	v_mul_f32_e32 v64, v57, v59
	v_mul_f32_e32 v60, v63, v59
	s_delay_alu instid0(VALU_DEP_2) | instskip(NEXT) | instid1(VALU_DEP_2)
	v_fma_f32 v59, v63, v58, -v64
	v_fmac_f32_e32 v60, v57, v58
	scratch_store_b64 off, v[59:60], off offset:48
.LBB26_39:
	s_wait_alu 0xfffe
	s_or_b32 exec_lo, exec_lo, s0
	s_wait_loadcnt 0x0
	s_wait_storecnt 0x0
	s_barrier_signal -1
	s_barrier_wait -1
	global_inv scope:SCOPE_SE
	scratch_load_b64 v[57:58], off, off offset:56
	s_mov_b32 s0, exec_lo
	s_wait_loadcnt 0x0
	ds_store_b64 v55, v[57:58]
	s_wait_dscnt 0x0
	s_barrier_signal -1
	s_barrier_wait -1
	global_inv scope:SCOPE_SE
	v_cmpx_gt_u32_e32 7, v0
	s_cbranch_execz .LBB26_43
; %bb.40:
	v_dual_mov_b32 v57, 0 :: v_dual_add_nc_u32 v58, -1, v0
	v_dual_mov_b32 v60, v61 :: v_dual_add_nc_u32 v59, 0xe0, v61
	v_mov_b32_e32 v63, 0
	s_mov_b32 s1, 0
.LBB26_41:                              ; =>This Inner Loop Header: Depth=1
	scratch_load_b64 v[64:65], v60, off
	ds_load_b64 v[66:67], v59
	v_add_nc_u32_e32 v58, 1, v58
	v_add_nc_u32_e32 v59, 8, v59
	s_delay_alu instid0(VALU_DEP_2)
	v_cmp_lt_u32_e32 vcc_lo, 5, v58
	s_wait_alu 0xfffe
	s_or_b32 s1, vcc_lo, s1
	s_wait_loadcnt_dscnt 0x0
	v_mul_f32_e32 v68, v67, v65
	v_mul_f32_e32 v65, v66, v65
	s_delay_alu instid0(VALU_DEP_2) | instskip(NEXT) | instid1(VALU_DEP_2)
	v_fma_f32 v66, v66, v64, -v68
	v_fmac_f32_e32 v65, v67, v64
	s_delay_alu instid0(VALU_DEP_2) | instskip(NEXT) | instid1(VALU_DEP_2)
	v_dual_add_f32 v63, v63, v66 :: v_dual_add_nc_u32 v60, 8, v60
	v_add_f32_e32 v57, v57, v65
	s_wait_alu 0xfffe
	s_and_not1_b32 exec_lo, exec_lo, s1
	s_cbranch_execnz .LBB26_41
; %bb.42:
	s_or_b32 exec_lo, exec_lo, s1
	v_mov_b32_e32 v58, 0
	ds_load_b64 v[58:59], v58 offset:56
	s_wait_dscnt 0x0
	v_mul_f32_e32 v64, v57, v59
	v_mul_f32_e32 v60, v63, v59
	s_delay_alu instid0(VALU_DEP_2) | instskip(NEXT) | instid1(VALU_DEP_2)
	v_fma_f32 v59, v63, v58, -v64
	v_fmac_f32_e32 v60, v57, v58
	scratch_store_b64 off, v[59:60], off offset:56
.LBB26_43:
	s_wait_alu 0xfffe
	s_or_b32 exec_lo, exec_lo, s0
	s_wait_loadcnt 0x0
	s_wait_storecnt 0x0
	s_barrier_signal -1
	s_barrier_wait -1
	global_inv scope:SCOPE_SE
	scratch_load_b64 v[57:58], off, off offset:64
	s_mov_b32 s0, exec_lo
	s_wait_loadcnt 0x0
	ds_store_b64 v55, v[57:58]
	s_wait_dscnt 0x0
	s_barrier_signal -1
	s_barrier_wait -1
	global_inv scope:SCOPE_SE
	v_cmpx_gt_u32_e32 8, v0
	s_cbranch_execz .LBB26_47
; %bb.44:
	v_dual_mov_b32 v57, 0 :: v_dual_add_nc_u32 v58, -1, v0
	v_dual_mov_b32 v60, v61 :: v_dual_add_nc_u32 v59, 0xe0, v61
	v_mov_b32_e32 v63, 0
	s_mov_b32 s1, 0
.LBB26_45:                              ; =>This Inner Loop Header: Depth=1
	scratch_load_b64 v[64:65], v60, off
	ds_load_b64 v[66:67], v59
	v_add_nc_u32_e32 v58, 1, v58
	v_add_nc_u32_e32 v59, 8, v59
	s_delay_alu instid0(VALU_DEP_2)
	v_cmp_lt_u32_e32 vcc_lo, 6, v58
	s_wait_alu 0xfffe
	s_or_b32 s1, vcc_lo, s1
	s_wait_loadcnt_dscnt 0x0
	v_mul_f32_e32 v68, v67, v65
	v_mul_f32_e32 v65, v66, v65
	s_delay_alu instid0(VALU_DEP_2) | instskip(NEXT) | instid1(VALU_DEP_2)
	v_fma_f32 v66, v66, v64, -v68
	v_fmac_f32_e32 v65, v67, v64
	s_delay_alu instid0(VALU_DEP_2) | instskip(NEXT) | instid1(VALU_DEP_2)
	v_dual_add_f32 v63, v63, v66 :: v_dual_add_nc_u32 v60, 8, v60
	v_add_f32_e32 v57, v57, v65
	s_wait_alu 0xfffe
	s_and_not1_b32 exec_lo, exec_lo, s1
	s_cbranch_execnz .LBB26_45
; %bb.46:
	s_or_b32 exec_lo, exec_lo, s1
	v_mov_b32_e32 v58, 0
	ds_load_b64 v[58:59], v58 offset:64
	s_wait_dscnt 0x0
	v_mul_f32_e32 v64, v57, v59
	v_mul_f32_e32 v60, v63, v59
	s_delay_alu instid0(VALU_DEP_2) | instskip(NEXT) | instid1(VALU_DEP_2)
	v_fma_f32 v59, v63, v58, -v64
	v_fmac_f32_e32 v60, v57, v58
	scratch_store_b64 off, v[59:60], off offset:64
.LBB26_47:
	s_wait_alu 0xfffe
	s_or_b32 exec_lo, exec_lo, s0
	s_wait_loadcnt 0x0
	s_wait_storecnt 0x0
	s_barrier_signal -1
	s_barrier_wait -1
	global_inv scope:SCOPE_SE
	scratch_load_b64 v[57:58], off, off offset:72
	s_mov_b32 s0, exec_lo
	s_wait_loadcnt 0x0
	ds_store_b64 v55, v[57:58]
	s_wait_dscnt 0x0
	s_barrier_signal -1
	s_barrier_wait -1
	global_inv scope:SCOPE_SE
	v_cmpx_gt_u32_e32 9, v0
	s_cbranch_execz .LBB26_51
; %bb.48:
	v_dual_mov_b32 v57, 0 :: v_dual_add_nc_u32 v58, -1, v0
	v_dual_mov_b32 v60, v61 :: v_dual_add_nc_u32 v59, 0xe0, v61
	v_mov_b32_e32 v63, 0
	s_mov_b32 s1, 0
.LBB26_49:                              ; =>This Inner Loop Header: Depth=1
	scratch_load_b64 v[64:65], v60, off
	ds_load_b64 v[66:67], v59
	v_add_nc_u32_e32 v58, 1, v58
	v_add_nc_u32_e32 v59, 8, v59
	s_delay_alu instid0(VALU_DEP_2)
	v_cmp_lt_u32_e32 vcc_lo, 7, v58
	s_wait_alu 0xfffe
	s_or_b32 s1, vcc_lo, s1
	s_wait_loadcnt_dscnt 0x0
	v_mul_f32_e32 v68, v67, v65
	v_mul_f32_e32 v65, v66, v65
	s_delay_alu instid0(VALU_DEP_2) | instskip(NEXT) | instid1(VALU_DEP_2)
	v_fma_f32 v66, v66, v64, -v68
	v_fmac_f32_e32 v65, v67, v64
	s_delay_alu instid0(VALU_DEP_2) | instskip(NEXT) | instid1(VALU_DEP_2)
	v_dual_add_f32 v63, v63, v66 :: v_dual_add_nc_u32 v60, 8, v60
	v_add_f32_e32 v57, v57, v65
	s_wait_alu 0xfffe
	s_and_not1_b32 exec_lo, exec_lo, s1
	s_cbranch_execnz .LBB26_49
; %bb.50:
	s_or_b32 exec_lo, exec_lo, s1
	v_mov_b32_e32 v58, 0
	ds_load_b64 v[58:59], v58 offset:72
	s_wait_dscnt 0x0
	v_mul_f32_e32 v64, v57, v59
	v_mul_f32_e32 v60, v63, v59
	s_delay_alu instid0(VALU_DEP_2) | instskip(NEXT) | instid1(VALU_DEP_2)
	v_fma_f32 v59, v63, v58, -v64
	v_fmac_f32_e32 v60, v57, v58
	scratch_store_b64 off, v[59:60], off offset:72
.LBB26_51:
	s_wait_alu 0xfffe
	s_or_b32 exec_lo, exec_lo, s0
	s_wait_loadcnt 0x0
	s_wait_storecnt 0x0
	s_barrier_signal -1
	s_barrier_wait -1
	global_inv scope:SCOPE_SE
	scratch_load_b64 v[57:58], off, off offset:80
	s_mov_b32 s0, exec_lo
	s_wait_loadcnt 0x0
	ds_store_b64 v55, v[57:58]
	s_wait_dscnt 0x0
	s_barrier_signal -1
	s_barrier_wait -1
	global_inv scope:SCOPE_SE
	v_cmpx_gt_u32_e32 10, v0
	s_cbranch_execz .LBB26_55
; %bb.52:
	v_dual_mov_b32 v57, 0 :: v_dual_add_nc_u32 v58, -1, v0
	v_dual_mov_b32 v60, v61 :: v_dual_add_nc_u32 v59, 0xe0, v61
	v_mov_b32_e32 v63, 0
	s_mov_b32 s1, 0
.LBB26_53:                              ; =>This Inner Loop Header: Depth=1
	scratch_load_b64 v[64:65], v60, off
	ds_load_b64 v[66:67], v59
	v_add_nc_u32_e32 v58, 1, v58
	v_add_nc_u32_e32 v59, 8, v59
	s_delay_alu instid0(VALU_DEP_2)
	v_cmp_lt_u32_e32 vcc_lo, 8, v58
	s_wait_alu 0xfffe
	s_or_b32 s1, vcc_lo, s1
	s_wait_loadcnt_dscnt 0x0
	v_mul_f32_e32 v68, v67, v65
	v_mul_f32_e32 v65, v66, v65
	s_delay_alu instid0(VALU_DEP_2) | instskip(NEXT) | instid1(VALU_DEP_2)
	v_fma_f32 v66, v66, v64, -v68
	v_fmac_f32_e32 v65, v67, v64
	s_delay_alu instid0(VALU_DEP_2) | instskip(NEXT) | instid1(VALU_DEP_2)
	v_dual_add_f32 v63, v63, v66 :: v_dual_add_nc_u32 v60, 8, v60
	v_add_f32_e32 v57, v57, v65
	s_wait_alu 0xfffe
	s_and_not1_b32 exec_lo, exec_lo, s1
	s_cbranch_execnz .LBB26_53
; %bb.54:
	s_or_b32 exec_lo, exec_lo, s1
	v_mov_b32_e32 v58, 0
	ds_load_b64 v[58:59], v58 offset:80
	s_wait_dscnt 0x0
	v_mul_f32_e32 v64, v57, v59
	v_mul_f32_e32 v60, v63, v59
	s_delay_alu instid0(VALU_DEP_2) | instskip(NEXT) | instid1(VALU_DEP_2)
	v_fma_f32 v59, v63, v58, -v64
	v_fmac_f32_e32 v60, v57, v58
	scratch_store_b64 off, v[59:60], off offset:80
.LBB26_55:
	s_wait_alu 0xfffe
	s_or_b32 exec_lo, exec_lo, s0
	s_wait_loadcnt 0x0
	s_wait_storecnt 0x0
	s_barrier_signal -1
	s_barrier_wait -1
	global_inv scope:SCOPE_SE
	scratch_load_b64 v[57:58], off, off offset:88
	s_mov_b32 s0, exec_lo
	s_wait_loadcnt 0x0
	ds_store_b64 v55, v[57:58]
	s_wait_dscnt 0x0
	s_barrier_signal -1
	s_barrier_wait -1
	global_inv scope:SCOPE_SE
	v_cmpx_gt_u32_e32 11, v0
	s_cbranch_execz .LBB26_59
; %bb.56:
	v_dual_mov_b32 v57, 0 :: v_dual_add_nc_u32 v58, -1, v0
	v_dual_mov_b32 v60, v61 :: v_dual_add_nc_u32 v59, 0xe0, v61
	v_mov_b32_e32 v63, 0
	s_mov_b32 s1, 0
.LBB26_57:                              ; =>This Inner Loop Header: Depth=1
	scratch_load_b64 v[64:65], v60, off
	ds_load_b64 v[66:67], v59
	v_add_nc_u32_e32 v58, 1, v58
	v_add_nc_u32_e32 v59, 8, v59
	s_delay_alu instid0(VALU_DEP_2)
	v_cmp_lt_u32_e32 vcc_lo, 9, v58
	s_wait_alu 0xfffe
	s_or_b32 s1, vcc_lo, s1
	s_wait_loadcnt_dscnt 0x0
	v_mul_f32_e32 v68, v67, v65
	v_mul_f32_e32 v65, v66, v65
	s_delay_alu instid0(VALU_DEP_2) | instskip(NEXT) | instid1(VALU_DEP_2)
	v_fma_f32 v66, v66, v64, -v68
	v_fmac_f32_e32 v65, v67, v64
	s_delay_alu instid0(VALU_DEP_2) | instskip(NEXT) | instid1(VALU_DEP_2)
	v_dual_add_f32 v63, v63, v66 :: v_dual_add_nc_u32 v60, 8, v60
	v_add_f32_e32 v57, v57, v65
	s_wait_alu 0xfffe
	s_and_not1_b32 exec_lo, exec_lo, s1
	s_cbranch_execnz .LBB26_57
; %bb.58:
	s_or_b32 exec_lo, exec_lo, s1
	v_mov_b32_e32 v58, 0
	ds_load_b64 v[58:59], v58 offset:88
	s_wait_dscnt 0x0
	v_mul_f32_e32 v64, v57, v59
	v_mul_f32_e32 v60, v63, v59
	s_delay_alu instid0(VALU_DEP_2) | instskip(NEXT) | instid1(VALU_DEP_2)
	v_fma_f32 v59, v63, v58, -v64
	v_fmac_f32_e32 v60, v57, v58
	scratch_store_b64 off, v[59:60], off offset:88
.LBB26_59:
	s_wait_alu 0xfffe
	s_or_b32 exec_lo, exec_lo, s0
	s_wait_loadcnt 0x0
	s_wait_storecnt 0x0
	s_barrier_signal -1
	s_barrier_wait -1
	global_inv scope:SCOPE_SE
	scratch_load_b64 v[57:58], off, off offset:96
	s_mov_b32 s0, exec_lo
	s_wait_loadcnt 0x0
	ds_store_b64 v55, v[57:58]
	s_wait_dscnt 0x0
	s_barrier_signal -1
	s_barrier_wait -1
	global_inv scope:SCOPE_SE
	v_cmpx_gt_u32_e32 12, v0
	s_cbranch_execz .LBB26_63
; %bb.60:
	v_dual_mov_b32 v57, 0 :: v_dual_add_nc_u32 v58, -1, v0
	v_dual_mov_b32 v60, v61 :: v_dual_add_nc_u32 v59, 0xe0, v61
	v_mov_b32_e32 v63, 0
	s_mov_b32 s1, 0
.LBB26_61:                              ; =>This Inner Loop Header: Depth=1
	scratch_load_b64 v[64:65], v60, off
	ds_load_b64 v[66:67], v59
	v_add_nc_u32_e32 v58, 1, v58
	v_add_nc_u32_e32 v59, 8, v59
	s_delay_alu instid0(VALU_DEP_2)
	v_cmp_lt_u32_e32 vcc_lo, 10, v58
	s_wait_alu 0xfffe
	s_or_b32 s1, vcc_lo, s1
	s_wait_loadcnt_dscnt 0x0
	v_mul_f32_e32 v68, v67, v65
	v_mul_f32_e32 v65, v66, v65
	s_delay_alu instid0(VALU_DEP_2) | instskip(NEXT) | instid1(VALU_DEP_2)
	v_fma_f32 v66, v66, v64, -v68
	v_fmac_f32_e32 v65, v67, v64
	s_delay_alu instid0(VALU_DEP_2) | instskip(NEXT) | instid1(VALU_DEP_2)
	v_dual_add_f32 v63, v63, v66 :: v_dual_add_nc_u32 v60, 8, v60
	v_add_f32_e32 v57, v57, v65
	s_wait_alu 0xfffe
	s_and_not1_b32 exec_lo, exec_lo, s1
	s_cbranch_execnz .LBB26_61
; %bb.62:
	s_or_b32 exec_lo, exec_lo, s1
	v_mov_b32_e32 v58, 0
	ds_load_b64 v[58:59], v58 offset:96
	s_wait_dscnt 0x0
	v_mul_f32_e32 v64, v57, v59
	v_mul_f32_e32 v60, v63, v59
	s_delay_alu instid0(VALU_DEP_2) | instskip(NEXT) | instid1(VALU_DEP_2)
	v_fma_f32 v59, v63, v58, -v64
	v_fmac_f32_e32 v60, v57, v58
	scratch_store_b64 off, v[59:60], off offset:96
.LBB26_63:
	s_wait_alu 0xfffe
	s_or_b32 exec_lo, exec_lo, s0
	s_wait_loadcnt 0x0
	s_wait_storecnt 0x0
	s_barrier_signal -1
	s_barrier_wait -1
	global_inv scope:SCOPE_SE
	scratch_load_b64 v[57:58], off, off offset:104
	s_mov_b32 s0, exec_lo
	s_wait_loadcnt 0x0
	ds_store_b64 v55, v[57:58]
	s_wait_dscnt 0x0
	s_barrier_signal -1
	s_barrier_wait -1
	global_inv scope:SCOPE_SE
	v_cmpx_gt_u32_e32 13, v0
	s_cbranch_execz .LBB26_67
; %bb.64:
	v_dual_mov_b32 v57, 0 :: v_dual_add_nc_u32 v58, -1, v0
	v_dual_mov_b32 v60, v61 :: v_dual_add_nc_u32 v59, 0xe0, v61
	v_mov_b32_e32 v63, 0
	s_mov_b32 s1, 0
.LBB26_65:                              ; =>This Inner Loop Header: Depth=1
	scratch_load_b64 v[64:65], v60, off
	ds_load_b64 v[66:67], v59
	v_add_nc_u32_e32 v58, 1, v58
	v_add_nc_u32_e32 v59, 8, v59
	s_delay_alu instid0(VALU_DEP_2)
	v_cmp_lt_u32_e32 vcc_lo, 11, v58
	s_wait_alu 0xfffe
	s_or_b32 s1, vcc_lo, s1
	s_wait_loadcnt_dscnt 0x0
	v_mul_f32_e32 v68, v67, v65
	v_mul_f32_e32 v65, v66, v65
	s_delay_alu instid0(VALU_DEP_2) | instskip(NEXT) | instid1(VALU_DEP_2)
	v_fma_f32 v66, v66, v64, -v68
	v_fmac_f32_e32 v65, v67, v64
	s_delay_alu instid0(VALU_DEP_2) | instskip(NEXT) | instid1(VALU_DEP_2)
	v_dual_add_f32 v63, v63, v66 :: v_dual_add_nc_u32 v60, 8, v60
	v_add_f32_e32 v57, v57, v65
	s_wait_alu 0xfffe
	s_and_not1_b32 exec_lo, exec_lo, s1
	s_cbranch_execnz .LBB26_65
; %bb.66:
	s_or_b32 exec_lo, exec_lo, s1
	v_mov_b32_e32 v58, 0
	ds_load_b64 v[58:59], v58 offset:104
	s_wait_dscnt 0x0
	v_mul_f32_e32 v64, v57, v59
	v_mul_f32_e32 v60, v63, v59
	s_delay_alu instid0(VALU_DEP_2) | instskip(NEXT) | instid1(VALU_DEP_2)
	v_fma_f32 v59, v63, v58, -v64
	v_fmac_f32_e32 v60, v57, v58
	scratch_store_b64 off, v[59:60], off offset:104
.LBB26_67:
	s_wait_alu 0xfffe
	s_or_b32 exec_lo, exec_lo, s0
	s_wait_loadcnt 0x0
	s_wait_storecnt 0x0
	s_barrier_signal -1
	s_barrier_wait -1
	global_inv scope:SCOPE_SE
	scratch_load_b64 v[57:58], off, off offset:112
	s_mov_b32 s0, exec_lo
	s_wait_loadcnt 0x0
	ds_store_b64 v55, v[57:58]
	s_wait_dscnt 0x0
	s_barrier_signal -1
	s_barrier_wait -1
	global_inv scope:SCOPE_SE
	v_cmpx_gt_u32_e32 14, v0
	s_cbranch_execz .LBB26_71
; %bb.68:
	v_dual_mov_b32 v57, 0 :: v_dual_add_nc_u32 v58, -1, v0
	v_dual_mov_b32 v60, v61 :: v_dual_add_nc_u32 v59, 0xe0, v61
	v_mov_b32_e32 v63, 0
	s_mov_b32 s1, 0
.LBB26_69:                              ; =>This Inner Loop Header: Depth=1
	scratch_load_b64 v[64:65], v60, off
	ds_load_b64 v[66:67], v59
	v_add_nc_u32_e32 v58, 1, v58
	v_add_nc_u32_e32 v59, 8, v59
	s_delay_alu instid0(VALU_DEP_2)
	v_cmp_lt_u32_e32 vcc_lo, 12, v58
	s_wait_alu 0xfffe
	s_or_b32 s1, vcc_lo, s1
	s_wait_loadcnt_dscnt 0x0
	v_mul_f32_e32 v68, v67, v65
	v_mul_f32_e32 v65, v66, v65
	s_delay_alu instid0(VALU_DEP_2) | instskip(NEXT) | instid1(VALU_DEP_2)
	v_fma_f32 v66, v66, v64, -v68
	v_fmac_f32_e32 v65, v67, v64
	s_delay_alu instid0(VALU_DEP_2) | instskip(NEXT) | instid1(VALU_DEP_2)
	v_dual_add_f32 v63, v63, v66 :: v_dual_add_nc_u32 v60, 8, v60
	v_add_f32_e32 v57, v57, v65
	s_wait_alu 0xfffe
	s_and_not1_b32 exec_lo, exec_lo, s1
	s_cbranch_execnz .LBB26_69
; %bb.70:
	s_or_b32 exec_lo, exec_lo, s1
	v_mov_b32_e32 v58, 0
	ds_load_b64 v[58:59], v58 offset:112
	s_wait_dscnt 0x0
	v_mul_f32_e32 v64, v57, v59
	v_mul_f32_e32 v60, v63, v59
	s_delay_alu instid0(VALU_DEP_2) | instskip(NEXT) | instid1(VALU_DEP_2)
	v_fma_f32 v59, v63, v58, -v64
	v_fmac_f32_e32 v60, v57, v58
	scratch_store_b64 off, v[59:60], off offset:112
.LBB26_71:
	s_wait_alu 0xfffe
	s_or_b32 exec_lo, exec_lo, s0
	s_wait_loadcnt 0x0
	s_wait_storecnt 0x0
	s_barrier_signal -1
	s_barrier_wait -1
	global_inv scope:SCOPE_SE
	scratch_load_b64 v[57:58], off, off offset:120
	s_mov_b32 s0, exec_lo
	s_wait_loadcnt 0x0
	ds_store_b64 v55, v[57:58]
	s_wait_dscnt 0x0
	s_barrier_signal -1
	s_barrier_wait -1
	global_inv scope:SCOPE_SE
	v_cmpx_gt_u32_e32 15, v0
	s_cbranch_execz .LBB26_75
; %bb.72:
	v_dual_mov_b32 v57, 0 :: v_dual_add_nc_u32 v58, -1, v0
	v_dual_mov_b32 v60, v61 :: v_dual_add_nc_u32 v59, 0xe0, v61
	v_mov_b32_e32 v63, 0
	s_mov_b32 s1, 0
.LBB26_73:                              ; =>This Inner Loop Header: Depth=1
	scratch_load_b64 v[64:65], v60, off
	ds_load_b64 v[66:67], v59
	v_add_nc_u32_e32 v58, 1, v58
	v_add_nc_u32_e32 v59, 8, v59
	s_delay_alu instid0(VALU_DEP_2)
	v_cmp_lt_u32_e32 vcc_lo, 13, v58
	s_wait_alu 0xfffe
	s_or_b32 s1, vcc_lo, s1
	s_wait_loadcnt_dscnt 0x0
	v_mul_f32_e32 v68, v67, v65
	v_mul_f32_e32 v65, v66, v65
	s_delay_alu instid0(VALU_DEP_2) | instskip(NEXT) | instid1(VALU_DEP_2)
	v_fma_f32 v66, v66, v64, -v68
	v_fmac_f32_e32 v65, v67, v64
	s_delay_alu instid0(VALU_DEP_2) | instskip(NEXT) | instid1(VALU_DEP_2)
	v_dual_add_f32 v63, v63, v66 :: v_dual_add_nc_u32 v60, 8, v60
	v_add_f32_e32 v57, v57, v65
	s_wait_alu 0xfffe
	s_and_not1_b32 exec_lo, exec_lo, s1
	s_cbranch_execnz .LBB26_73
; %bb.74:
	s_or_b32 exec_lo, exec_lo, s1
	v_mov_b32_e32 v58, 0
	ds_load_b64 v[58:59], v58 offset:120
	s_wait_dscnt 0x0
	v_mul_f32_e32 v64, v57, v59
	v_mul_f32_e32 v60, v63, v59
	s_delay_alu instid0(VALU_DEP_2) | instskip(NEXT) | instid1(VALU_DEP_2)
	v_fma_f32 v59, v63, v58, -v64
	v_fmac_f32_e32 v60, v57, v58
	scratch_store_b64 off, v[59:60], off offset:120
.LBB26_75:
	s_wait_alu 0xfffe
	s_or_b32 exec_lo, exec_lo, s0
	s_wait_loadcnt 0x0
	s_wait_storecnt 0x0
	s_barrier_signal -1
	s_barrier_wait -1
	global_inv scope:SCOPE_SE
	scratch_load_b64 v[57:58], off, off offset:128
	s_mov_b32 s0, exec_lo
	s_wait_loadcnt 0x0
	ds_store_b64 v55, v[57:58]
	s_wait_dscnt 0x0
	s_barrier_signal -1
	s_barrier_wait -1
	global_inv scope:SCOPE_SE
	v_cmpx_gt_u32_e32 16, v0
	s_cbranch_execz .LBB26_79
; %bb.76:
	v_dual_mov_b32 v57, 0 :: v_dual_add_nc_u32 v58, -1, v0
	v_dual_mov_b32 v60, v61 :: v_dual_add_nc_u32 v59, 0xe0, v61
	v_mov_b32_e32 v63, 0
	s_mov_b32 s1, 0
.LBB26_77:                              ; =>This Inner Loop Header: Depth=1
	scratch_load_b64 v[64:65], v60, off
	ds_load_b64 v[66:67], v59
	v_add_nc_u32_e32 v58, 1, v58
	v_add_nc_u32_e32 v59, 8, v59
	s_delay_alu instid0(VALU_DEP_2)
	v_cmp_lt_u32_e32 vcc_lo, 14, v58
	s_wait_alu 0xfffe
	s_or_b32 s1, vcc_lo, s1
	s_wait_loadcnt_dscnt 0x0
	v_mul_f32_e32 v68, v67, v65
	v_mul_f32_e32 v65, v66, v65
	s_delay_alu instid0(VALU_DEP_2) | instskip(NEXT) | instid1(VALU_DEP_2)
	v_fma_f32 v66, v66, v64, -v68
	v_fmac_f32_e32 v65, v67, v64
	s_delay_alu instid0(VALU_DEP_2) | instskip(NEXT) | instid1(VALU_DEP_2)
	v_dual_add_f32 v63, v63, v66 :: v_dual_add_nc_u32 v60, 8, v60
	v_add_f32_e32 v57, v57, v65
	s_wait_alu 0xfffe
	s_and_not1_b32 exec_lo, exec_lo, s1
	s_cbranch_execnz .LBB26_77
; %bb.78:
	s_or_b32 exec_lo, exec_lo, s1
	v_mov_b32_e32 v58, 0
	ds_load_b64 v[58:59], v58 offset:128
	s_wait_dscnt 0x0
	v_mul_f32_e32 v64, v57, v59
	v_mul_f32_e32 v60, v63, v59
	s_delay_alu instid0(VALU_DEP_2) | instskip(NEXT) | instid1(VALU_DEP_2)
	v_fma_f32 v59, v63, v58, -v64
	v_fmac_f32_e32 v60, v57, v58
	scratch_store_b64 off, v[59:60], off offset:128
.LBB26_79:
	s_wait_alu 0xfffe
	s_or_b32 exec_lo, exec_lo, s0
	s_wait_loadcnt 0x0
	s_wait_storecnt 0x0
	s_barrier_signal -1
	s_barrier_wait -1
	global_inv scope:SCOPE_SE
	scratch_load_b64 v[57:58], off, off offset:136
	s_mov_b32 s0, exec_lo
	s_wait_loadcnt 0x0
	ds_store_b64 v55, v[57:58]
	s_wait_dscnt 0x0
	s_barrier_signal -1
	s_barrier_wait -1
	global_inv scope:SCOPE_SE
	v_cmpx_gt_u32_e32 17, v0
	s_cbranch_execz .LBB26_83
; %bb.80:
	v_dual_mov_b32 v57, 0 :: v_dual_add_nc_u32 v58, -1, v0
	v_dual_mov_b32 v60, v61 :: v_dual_add_nc_u32 v59, 0xe0, v61
	v_mov_b32_e32 v63, 0
	s_mov_b32 s1, 0
.LBB26_81:                              ; =>This Inner Loop Header: Depth=1
	scratch_load_b64 v[64:65], v60, off
	ds_load_b64 v[66:67], v59
	v_add_nc_u32_e32 v58, 1, v58
	v_add_nc_u32_e32 v59, 8, v59
	s_delay_alu instid0(VALU_DEP_2)
	v_cmp_lt_u32_e32 vcc_lo, 15, v58
	s_wait_alu 0xfffe
	s_or_b32 s1, vcc_lo, s1
	s_wait_loadcnt_dscnt 0x0
	v_mul_f32_e32 v68, v67, v65
	v_mul_f32_e32 v65, v66, v65
	s_delay_alu instid0(VALU_DEP_2) | instskip(NEXT) | instid1(VALU_DEP_2)
	v_fma_f32 v66, v66, v64, -v68
	v_fmac_f32_e32 v65, v67, v64
	s_delay_alu instid0(VALU_DEP_2) | instskip(NEXT) | instid1(VALU_DEP_2)
	v_dual_add_f32 v63, v63, v66 :: v_dual_add_nc_u32 v60, 8, v60
	v_add_f32_e32 v57, v57, v65
	s_wait_alu 0xfffe
	s_and_not1_b32 exec_lo, exec_lo, s1
	s_cbranch_execnz .LBB26_81
; %bb.82:
	s_or_b32 exec_lo, exec_lo, s1
	v_mov_b32_e32 v58, 0
	ds_load_b64 v[58:59], v58 offset:136
	s_wait_dscnt 0x0
	v_mul_f32_e32 v64, v57, v59
	v_mul_f32_e32 v60, v63, v59
	s_delay_alu instid0(VALU_DEP_2) | instskip(NEXT) | instid1(VALU_DEP_2)
	v_fma_f32 v59, v63, v58, -v64
	v_fmac_f32_e32 v60, v57, v58
	scratch_store_b64 off, v[59:60], off offset:136
.LBB26_83:
	s_wait_alu 0xfffe
	s_or_b32 exec_lo, exec_lo, s0
	s_wait_loadcnt 0x0
	s_wait_storecnt 0x0
	s_barrier_signal -1
	s_barrier_wait -1
	global_inv scope:SCOPE_SE
	scratch_load_b64 v[57:58], off, off offset:144
	s_mov_b32 s0, exec_lo
	s_wait_loadcnt 0x0
	ds_store_b64 v55, v[57:58]
	s_wait_dscnt 0x0
	s_barrier_signal -1
	s_barrier_wait -1
	global_inv scope:SCOPE_SE
	v_cmpx_gt_u32_e32 18, v0
	s_cbranch_execz .LBB26_87
; %bb.84:
	v_dual_mov_b32 v57, 0 :: v_dual_add_nc_u32 v58, -1, v0
	v_dual_mov_b32 v60, v61 :: v_dual_add_nc_u32 v59, 0xe0, v61
	v_mov_b32_e32 v63, 0
	s_mov_b32 s1, 0
.LBB26_85:                              ; =>This Inner Loop Header: Depth=1
	scratch_load_b64 v[64:65], v60, off
	ds_load_b64 v[66:67], v59
	v_add_nc_u32_e32 v58, 1, v58
	v_add_nc_u32_e32 v59, 8, v59
	s_delay_alu instid0(VALU_DEP_2)
	v_cmp_lt_u32_e32 vcc_lo, 16, v58
	s_wait_alu 0xfffe
	s_or_b32 s1, vcc_lo, s1
	s_wait_loadcnt_dscnt 0x0
	v_mul_f32_e32 v68, v67, v65
	v_mul_f32_e32 v65, v66, v65
	s_delay_alu instid0(VALU_DEP_2) | instskip(NEXT) | instid1(VALU_DEP_2)
	v_fma_f32 v66, v66, v64, -v68
	v_fmac_f32_e32 v65, v67, v64
	s_delay_alu instid0(VALU_DEP_2) | instskip(NEXT) | instid1(VALU_DEP_2)
	v_dual_add_f32 v63, v63, v66 :: v_dual_add_nc_u32 v60, 8, v60
	v_add_f32_e32 v57, v57, v65
	s_wait_alu 0xfffe
	s_and_not1_b32 exec_lo, exec_lo, s1
	s_cbranch_execnz .LBB26_85
; %bb.86:
	s_or_b32 exec_lo, exec_lo, s1
	v_mov_b32_e32 v58, 0
	ds_load_b64 v[58:59], v58 offset:144
	s_wait_dscnt 0x0
	v_mul_f32_e32 v64, v57, v59
	v_mul_f32_e32 v60, v63, v59
	s_delay_alu instid0(VALU_DEP_2) | instskip(NEXT) | instid1(VALU_DEP_2)
	v_fma_f32 v59, v63, v58, -v64
	v_fmac_f32_e32 v60, v57, v58
	scratch_store_b64 off, v[59:60], off offset:144
.LBB26_87:
	s_wait_alu 0xfffe
	s_or_b32 exec_lo, exec_lo, s0
	s_wait_loadcnt 0x0
	s_wait_storecnt 0x0
	s_barrier_signal -1
	s_barrier_wait -1
	global_inv scope:SCOPE_SE
	scratch_load_b64 v[57:58], off, off offset:152
	s_mov_b32 s0, exec_lo
	s_wait_loadcnt 0x0
	ds_store_b64 v55, v[57:58]
	s_wait_dscnt 0x0
	s_barrier_signal -1
	s_barrier_wait -1
	global_inv scope:SCOPE_SE
	v_cmpx_gt_u32_e32 19, v0
	s_cbranch_execz .LBB26_91
; %bb.88:
	v_dual_mov_b32 v57, 0 :: v_dual_add_nc_u32 v58, -1, v0
	v_dual_mov_b32 v60, v61 :: v_dual_add_nc_u32 v59, 0xe0, v61
	v_mov_b32_e32 v63, 0
	s_mov_b32 s1, 0
.LBB26_89:                              ; =>This Inner Loop Header: Depth=1
	scratch_load_b64 v[64:65], v60, off
	ds_load_b64 v[66:67], v59
	v_add_nc_u32_e32 v58, 1, v58
	v_add_nc_u32_e32 v59, 8, v59
	s_delay_alu instid0(VALU_DEP_2)
	v_cmp_lt_u32_e32 vcc_lo, 17, v58
	s_wait_alu 0xfffe
	s_or_b32 s1, vcc_lo, s1
	s_wait_loadcnt_dscnt 0x0
	v_mul_f32_e32 v68, v67, v65
	v_mul_f32_e32 v65, v66, v65
	s_delay_alu instid0(VALU_DEP_2) | instskip(NEXT) | instid1(VALU_DEP_2)
	v_fma_f32 v66, v66, v64, -v68
	v_fmac_f32_e32 v65, v67, v64
	s_delay_alu instid0(VALU_DEP_2) | instskip(NEXT) | instid1(VALU_DEP_2)
	v_dual_add_f32 v63, v63, v66 :: v_dual_add_nc_u32 v60, 8, v60
	v_add_f32_e32 v57, v57, v65
	s_wait_alu 0xfffe
	s_and_not1_b32 exec_lo, exec_lo, s1
	s_cbranch_execnz .LBB26_89
; %bb.90:
	s_or_b32 exec_lo, exec_lo, s1
	v_mov_b32_e32 v58, 0
	ds_load_b64 v[58:59], v58 offset:152
	s_wait_dscnt 0x0
	v_mul_f32_e32 v64, v57, v59
	v_mul_f32_e32 v60, v63, v59
	s_delay_alu instid0(VALU_DEP_2) | instskip(NEXT) | instid1(VALU_DEP_2)
	v_fma_f32 v59, v63, v58, -v64
	v_fmac_f32_e32 v60, v57, v58
	scratch_store_b64 off, v[59:60], off offset:152
.LBB26_91:
	s_wait_alu 0xfffe
	s_or_b32 exec_lo, exec_lo, s0
	s_wait_loadcnt 0x0
	s_wait_storecnt 0x0
	s_barrier_signal -1
	s_barrier_wait -1
	global_inv scope:SCOPE_SE
	scratch_load_b64 v[57:58], off, off offset:160
	s_mov_b32 s0, exec_lo
	s_wait_loadcnt 0x0
	ds_store_b64 v55, v[57:58]
	s_wait_dscnt 0x0
	s_barrier_signal -1
	s_barrier_wait -1
	global_inv scope:SCOPE_SE
	v_cmpx_gt_u32_e32 20, v0
	s_cbranch_execz .LBB26_95
; %bb.92:
	v_dual_mov_b32 v57, 0 :: v_dual_add_nc_u32 v58, -1, v0
	v_dual_mov_b32 v60, v61 :: v_dual_add_nc_u32 v59, 0xe0, v61
	v_mov_b32_e32 v63, 0
	s_mov_b32 s1, 0
.LBB26_93:                              ; =>This Inner Loop Header: Depth=1
	scratch_load_b64 v[64:65], v60, off
	ds_load_b64 v[66:67], v59
	v_add_nc_u32_e32 v58, 1, v58
	v_add_nc_u32_e32 v59, 8, v59
	s_delay_alu instid0(VALU_DEP_2)
	v_cmp_lt_u32_e32 vcc_lo, 18, v58
	s_wait_alu 0xfffe
	s_or_b32 s1, vcc_lo, s1
	s_wait_loadcnt_dscnt 0x0
	v_mul_f32_e32 v68, v67, v65
	v_mul_f32_e32 v65, v66, v65
	s_delay_alu instid0(VALU_DEP_2) | instskip(NEXT) | instid1(VALU_DEP_2)
	v_fma_f32 v66, v66, v64, -v68
	v_fmac_f32_e32 v65, v67, v64
	s_delay_alu instid0(VALU_DEP_2) | instskip(NEXT) | instid1(VALU_DEP_2)
	v_dual_add_f32 v63, v63, v66 :: v_dual_add_nc_u32 v60, 8, v60
	v_add_f32_e32 v57, v57, v65
	s_wait_alu 0xfffe
	s_and_not1_b32 exec_lo, exec_lo, s1
	s_cbranch_execnz .LBB26_93
; %bb.94:
	s_or_b32 exec_lo, exec_lo, s1
	v_mov_b32_e32 v58, 0
	ds_load_b64 v[58:59], v58 offset:160
	s_wait_dscnt 0x0
	v_mul_f32_e32 v64, v57, v59
	v_mul_f32_e32 v60, v63, v59
	s_delay_alu instid0(VALU_DEP_2) | instskip(NEXT) | instid1(VALU_DEP_2)
	v_fma_f32 v59, v63, v58, -v64
	v_fmac_f32_e32 v60, v57, v58
	scratch_store_b64 off, v[59:60], off offset:160
.LBB26_95:
	s_wait_alu 0xfffe
	s_or_b32 exec_lo, exec_lo, s0
	s_wait_loadcnt 0x0
	s_wait_storecnt 0x0
	s_barrier_signal -1
	s_barrier_wait -1
	global_inv scope:SCOPE_SE
	scratch_load_b64 v[57:58], off, off offset:168
	s_mov_b32 s0, exec_lo
	s_wait_loadcnt 0x0
	ds_store_b64 v55, v[57:58]
	s_wait_dscnt 0x0
	s_barrier_signal -1
	s_barrier_wait -1
	global_inv scope:SCOPE_SE
	v_cmpx_gt_u32_e32 21, v0
	s_cbranch_execz .LBB26_99
; %bb.96:
	v_dual_mov_b32 v57, 0 :: v_dual_add_nc_u32 v58, -1, v0
	v_dual_mov_b32 v60, v61 :: v_dual_add_nc_u32 v59, 0xe0, v61
	v_mov_b32_e32 v63, 0
	s_mov_b32 s1, 0
.LBB26_97:                              ; =>This Inner Loop Header: Depth=1
	scratch_load_b64 v[64:65], v60, off
	ds_load_b64 v[66:67], v59
	v_add_nc_u32_e32 v58, 1, v58
	v_add_nc_u32_e32 v59, 8, v59
	s_delay_alu instid0(VALU_DEP_2)
	v_cmp_lt_u32_e32 vcc_lo, 19, v58
	s_wait_alu 0xfffe
	s_or_b32 s1, vcc_lo, s1
	s_wait_loadcnt_dscnt 0x0
	v_mul_f32_e32 v68, v67, v65
	v_mul_f32_e32 v65, v66, v65
	s_delay_alu instid0(VALU_DEP_2) | instskip(NEXT) | instid1(VALU_DEP_2)
	v_fma_f32 v66, v66, v64, -v68
	v_fmac_f32_e32 v65, v67, v64
	s_delay_alu instid0(VALU_DEP_2) | instskip(NEXT) | instid1(VALU_DEP_2)
	v_dual_add_f32 v63, v63, v66 :: v_dual_add_nc_u32 v60, 8, v60
	v_add_f32_e32 v57, v57, v65
	s_wait_alu 0xfffe
	s_and_not1_b32 exec_lo, exec_lo, s1
	s_cbranch_execnz .LBB26_97
; %bb.98:
	s_or_b32 exec_lo, exec_lo, s1
	v_mov_b32_e32 v58, 0
	ds_load_b64 v[58:59], v58 offset:168
	s_wait_dscnt 0x0
	v_mul_f32_e32 v64, v57, v59
	v_mul_f32_e32 v60, v63, v59
	s_delay_alu instid0(VALU_DEP_2) | instskip(NEXT) | instid1(VALU_DEP_2)
	v_fma_f32 v59, v63, v58, -v64
	v_fmac_f32_e32 v60, v57, v58
	scratch_store_b64 off, v[59:60], off offset:168
.LBB26_99:
	s_wait_alu 0xfffe
	s_or_b32 exec_lo, exec_lo, s0
	s_wait_loadcnt 0x0
	s_wait_storecnt 0x0
	s_barrier_signal -1
	s_barrier_wait -1
	global_inv scope:SCOPE_SE
	scratch_load_b64 v[57:58], off, off offset:176
	s_mov_b32 s0, exec_lo
	s_wait_loadcnt 0x0
	ds_store_b64 v55, v[57:58]
	s_wait_dscnt 0x0
	s_barrier_signal -1
	s_barrier_wait -1
	global_inv scope:SCOPE_SE
	v_cmpx_gt_u32_e32 22, v0
	s_cbranch_execz .LBB26_103
; %bb.100:
	v_dual_mov_b32 v57, 0 :: v_dual_add_nc_u32 v58, -1, v0
	v_dual_mov_b32 v60, v61 :: v_dual_add_nc_u32 v59, 0xe0, v61
	v_mov_b32_e32 v63, 0
	s_mov_b32 s1, 0
.LBB26_101:                             ; =>This Inner Loop Header: Depth=1
	scratch_load_b64 v[64:65], v60, off
	ds_load_b64 v[66:67], v59
	v_add_nc_u32_e32 v58, 1, v58
	v_add_nc_u32_e32 v59, 8, v59
	s_delay_alu instid0(VALU_DEP_2)
	v_cmp_lt_u32_e32 vcc_lo, 20, v58
	s_wait_alu 0xfffe
	s_or_b32 s1, vcc_lo, s1
	s_wait_loadcnt_dscnt 0x0
	v_mul_f32_e32 v68, v67, v65
	v_mul_f32_e32 v65, v66, v65
	s_delay_alu instid0(VALU_DEP_2) | instskip(NEXT) | instid1(VALU_DEP_2)
	v_fma_f32 v66, v66, v64, -v68
	v_fmac_f32_e32 v65, v67, v64
	s_delay_alu instid0(VALU_DEP_2) | instskip(NEXT) | instid1(VALU_DEP_2)
	v_dual_add_f32 v63, v63, v66 :: v_dual_add_nc_u32 v60, 8, v60
	v_add_f32_e32 v57, v57, v65
	s_wait_alu 0xfffe
	s_and_not1_b32 exec_lo, exec_lo, s1
	s_cbranch_execnz .LBB26_101
; %bb.102:
	s_or_b32 exec_lo, exec_lo, s1
	v_mov_b32_e32 v58, 0
	ds_load_b64 v[58:59], v58 offset:176
	s_wait_dscnt 0x0
	v_mul_f32_e32 v64, v57, v59
	v_mul_f32_e32 v60, v63, v59
	s_delay_alu instid0(VALU_DEP_2) | instskip(NEXT) | instid1(VALU_DEP_2)
	v_fma_f32 v59, v63, v58, -v64
	v_fmac_f32_e32 v60, v57, v58
	scratch_store_b64 off, v[59:60], off offset:176
.LBB26_103:
	s_wait_alu 0xfffe
	s_or_b32 exec_lo, exec_lo, s0
	s_wait_loadcnt 0x0
	s_wait_storecnt 0x0
	s_barrier_signal -1
	s_barrier_wait -1
	global_inv scope:SCOPE_SE
	scratch_load_b64 v[57:58], off, off offset:184
	s_mov_b32 s0, exec_lo
	s_wait_loadcnt 0x0
	ds_store_b64 v55, v[57:58]
	s_wait_dscnt 0x0
	s_barrier_signal -1
	s_barrier_wait -1
	global_inv scope:SCOPE_SE
	v_cmpx_gt_u32_e32 23, v0
	s_cbranch_execz .LBB26_107
; %bb.104:
	v_dual_mov_b32 v57, 0 :: v_dual_add_nc_u32 v58, -1, v0
	v_dual_mov_b32 v60, v61 :: v_dual_add_nc_u32 v59, 0xe0, v61
	v_mov_b32_e32 v63, 0
	s_mov_b32 s1, 0
.LBB26_105:                             ; =>This Inner Loop Header: Depth=1
	scratch_load_b64 v[64:65], v60, off
	ds_load_b64 v[66:67], v59
	v_add_nc_u32_e32 v58, 1, v58
	v_add_nc_u32_e32 v59, 8, v59
	s_delay_alu instid0(VALU_DEP_2)
	v_cmp_lt_u32_e32 vcc_lo, 21, v58
	s_wait_alu 0xfffe
	s_or_b32 s1, vcc_lo, s1
	s_wait_loadcnt_dscnt 0x0
	v_mul_f32_e32 v68, v67, v65
	v_mul_f32_e32 v65, v66, v65
	s_delay_alu instid0(VALU_DEP_2) | instskip(NEXT) | instid1(VALU_DEP_2)
	v_fma_f32 v66, v66, v64, -v68
	v_fmac_f32_e32 v65, v67, v64
	s_delay_alu instid0(VALU_DEP_2) | instskip(NEXT) | instid1(VALU_DEP_2)
	v_dual_add_f32 v63, v63, v66 :: v_dual_add_nc_u32 v60, 8, v60
	v_add_f32_e32 v57, v57, v65
	s_wait_alu 0xfffe
	s_and_not1_b32 exec_lo, exec_lo, s1
	s_cbranch_execnz .LBB26_105
; %bb.106:
	s_or_b32 exec_lo, exec_lo, s1
	v_mov_b32_e32 v58, 0
	ds_load_b64 v[58:59], v58 offset:184
	s_wait_dscnt 0x0
	v_mul_f32_e32 v64, v57, v59
	v_mul_f32_e32 v60, v63, v59
	s_delay_alu instid0(VALU_DEP_2) | instskip(NEXT) | instid1(VALU_DEP_2)
	v_fma_f32 v59, v63, v58, -v64
	v_fmac_f32_e32 v60, v57, v58
	scratch_store_b64 off, v[59:60], off offset:184
.LBB26_107:
	s_wait_alu 0xfffe
	s_or_b32 exec_lo, exec_lo, s0
	s_wait_loadcnt 0x0
	s_wait_storecnt 0x0
	s_barrier_signal -1
	s_barrier_wait -1
	global_inv scope:SCOPE_SE
	scratch_load_b64 v[57:58], off, off offset:192
	s_mov_b32 s0, exec_lo
	s_wait_loadcnt 0x0
	ds_store_b64 v55, v[57:58]
	s_wait_dscnt 0x0
	s_barrier_signal -1
	s_barrier_wait -1
	global_inv scope:SCOPE_SE
	v_cmpx_gt_u32_e32 24, v0
	s_cbranch_execz .LBB26_111
; %bb.108:
	v_dual_mov_b32 v57, 0 :: v_dual_add_nc_u32 v58, -1, v0
	v_dual_mov_b32 v60, v61 :: v_dual_add_nc_u32 v59, 0xe0, v61
	v_mov_b32_e32 v63, 0
	s_mov_b32 s1, 0
.LBB26_109:                             ; =>This Inner Loop Header: Depth=1
	scratch_load_b64 v[64:65], v60, off
	ds_load_b64 v[66:67], v59
	v_add_nc_u32_e32 v58, 1, v58
	v_add_nc_u32_e32 v59, 8, v59
	s_delay_alu instid0(VALU_DEP_2)
	v_cmp_lt_u32_e32 vcc_lo, 22, v58
	s_wait_alu 0xfffe
	s_or_b32 s1, vcc_lo, s1
	s_wait_loadcnt_dscnt 0x0
	v_mul_f32_e32 v68, v67, v65
	v_mul_f32_e32 v65, v66, v65
	s_delay_alu instid0(VALU_DEP_2) | instskip(NEXT) | instid1(VALU_DEP_2)
	v_fma_f32 v66, v66, v64, -v68
	v_fmac_f32_e32 v65, v67, v64
	s_delay_alu instid0(VALU_DEP_2) | instskip(NEXT) | instid1(VALU_DEP_2)
	v_dual_add_f32 v63, v63, v66 :: v_dual_add_nc_u32 v60, 8, v60
	v_add_f32_e32 v57, v57, v65
	s_wait_alu 0xfffe
	s_and_not1_b32 exec_lo, exec_lo, s1
	s_cbranch_execnz .LBB26_109
; %bb.110:
	s_or_b32 exec_lo, exec_lo, s1
	v_mov_b32_e32 v58, 0
	ds_load_b64 v[58:59], v58 offset:192
	s_wait_dscnt 0x0
	v_mul_f32_e32 v64, v57, v59
	v_mul_f32_e32 v60, v63, v59
	s_delay_alu instid0(VALU_DEP_2) | instskip(NEXT) | instid1(VALU_DEP_2)
	v_fma_f32 v59, v63, v58, -v64
	v_fmac_f32_e32 v60, v57, v58
	scratch_store_b64 off, v[59:60], off offset:192
.LBB26_111:
	s_wait_alu 0xfffe
	s_or_b32 exec_lo, exec_lo, s0
	s_wait_loadcnt 0x0
	s_wait_storecnt 0x0
	s_barrier_signal -1
	s_barrier_wait -1
	global_inv scope:SCOPE_SE
	scratch_load_b64 v[57:58], off, off offset:200
	s_mov_b32 s0, exec_lo
	s_wait_loadcnt 0x0
	ds_store_b64 v55, v[57:58]
	s_wait_dscnt 0x0
	s_barrier_signal -1
	s_barrier_wait -1
	global_inv scope:SCOPE_SE
	v_cmpx_gt_u32_e32 25, v0
	s_cbranch_execz .LBB26_115
; %bb.112:
	v_dual_mov_b32 v57, 0 :: v_dual_add_nc_u32 v58, -1, v0
	v_dual_mov_b32 v60, v61 :: v_dual_add_nc_u32 v59, 0xe0, v61
	v_mov_b32_e32 v61, 0
	s_mov_b32 s1, 0
.LBB26_113:                             ; =>This Inner Loop Header: Depth=1
	scratch_load_b64 v[63:64], v60, off
	ds_load_b64 v[65:66], v59
	v_add_nc_u32_e32 v60, 8, v60
	v_add_nc_u32_e32 v58, 1, v58
	;; [unrolled: 1-line block ×3, first 2 shown]
	s_delay_alu instid0(VALU_DEP_2)
	v_cmp_lt_u32_e32 vcc_lo, 23, v58
	s_wait_alu 0xfffe
	s_or_b32 s1, vcc_lo, s1
	s_wait_loadcnt_dscnt 0x0
	v_mul_f32_e32 v67, v66, v64
	v_mul_f32_e32 v64, v65, v64
	s_delay_alu instid0(VALU_DEP_2) | instskip(NEXT) | instid1(VALU_DEP_1)
	v_fma_f32 v65, v65, v63, -v67
	v_dual_fmac_f32 v64, v66, v63 :: v_dual_add_f32 v61, v61, v65
	s_delay_alu instid0(VALU_DEP_1)
	v_add_f32_e32 v57, v57, v64
	s_wait_alu 0xfffe
	s_and_not1_b32 exec_lo, exec_lo, s1
	s_cbranch_execnz .LBB26_113
; %bb.114:
	s_or_b32 exec_lo, exec_lo, s1
	v_mov_b32_e32 v58, 0
	ds_load_b64 v[58:59], v58 offset:200
	s_wait_dscnt 0x0
	v_mul_f32_e32 v63, v57, v59
	v_mul_f32_e32 v60, v61, v59
	s_delay_alu instid0(VALU_DEP_2) | instskip(NEXT) | instid1(VALU_DEP_2)
	v_fma_f32 v59, v61, v58, -v63
	v_fmac_f32_e32 v60, v57, v58
	scratch_store_b64 off, v[59:60], off offset:200
.LBB26_115:
	s_wait_alu 0xfffe
	s_or_b32 exec_lo, exec_lo, s0
	s_wait_loadcnt 0x0
	s_wait_storecnt 0x0
	s_barrier_signal -1
	s_barrier_wait -1
	global_inv scope:SCOPE_SE
	scratch_load_b64 v[57:58], off, off offset:208
	s_mov_b32 s0, exec_lo
	s_wait_loadcnt 0x0
	ds_store_b64 v55, v[57:58]
	s_wait_dscnt 0x0
	s_barrier_signal -1
	s_barrier_wait -1
	global_inv scope:SCOPE_SE
	v_cmpx_ne_u32_e32 26, v0
	s_cbranch_execz .LBB26_119
; %bb.116:
	v_dual_mov_b32 v57, 0 :: v_dual_mov_b32 v58, 0
	s_mov_b32 s1, 0
.LBB26_117:                             ; =>This Inner Loop Header: Depth=1
	scratch_load_b64 v[59:60], v62, off
	ds_load_b64 v[63:64], v55
	v_add_nc_u32_e32 v56, 1, v56
	v_add_nc_u32_e32 v55, 8, v55
	;; [unrolled: 1-line block ×3, first 2 shown]
	s_delay_alu instid0(VALU_DEP_3)
	v_cmp_lt_u32_e32 vcc_lo, 24, v56
	s_wait_alu 0xfffe
	s_or_b32 s1, vcc_lo, s1
	s_wait_loadcnt_dscnt 0x0
	v_mul_f32_e32 v61, v64, v60
	v_mul_f32_e32 v60, v63, v60
	s_delay_alu instid0(VALU_DEP_2) | instskip(NEXT) | instid1(VALU_DEP_2)
	v_fma_f32 v61, v63, v59, -v61
	v_fmac_f32_e32 v60, v64, v59
	s_delay_alu instid0(VALU_DEP_1)
	v_dual_add_f32 v58, v58, v61 :: v_dual_add_f32 v57, v57, v60
	s_wait_alu 0xfffe
	s_and_not1_b32 exec_lo, exec_lo, s1
	s_cbranch_execnz .LBB26_117
; %bb.118:
	s_or_b32 exec_lo, exec_lo, s1
	v_mov_b32_e32 v55, 0
	ds_load_b64 v[55:56], v55 offset:208
	s_wait_dscnt 0x0
	v_mul_f32_e32 v60, v57, v56
	v_mul_f32_e32 v59, v58, v56
	s_delay_alu instid0(VALU_DEP_2) | instskip(NEXT) | instid1(VALU_DEP_2)
	v_fma_f32 v58, v58, v55, -v60
	v_fmac_f32_e32 v59, v57, v55
	scratch_store_b64 off, v[58:59], off offset:208
.LBB26_119:
	s_wait_alu 0xfffe
	s_or_b32 exec_lo, exec_lo, s0
	s_mov_b32 s1, -1
	s_wait_loadcnt 0x0
	s_wait_storecnt 0x0
	s_barrier_signal -1
	s_barrier_wait -1
	global_inv scope:SCOPE_SE
.LBB26_120:
	s_wait_alu 0xfffe
	s_and_b32 vcc_lo, exec_lo, s1
	s_wait_alu 0xfffe
	s_cbranch_vccz .LBB26_122
; %bb.121:
	v_mov_b32_e32 v55, 0
	s_lshl_b64 s[0:1], s[16:17], 2
	s_wait_alu 0xfffe
	s_add_nc_u64 s[0:1], s[6:7], s[0:1]
	global_load_b32 v55, v55, s[0:1]
	s_wait_loadcnt 0x0
	v_cmp_ne_u32_e32 vcc_lo, 0, v55
	s_cbranch_vccz .LBB26_123
.LBB26_122:
	s_nop 0
	s_sendmsg sendmsg(MSG_DEALLOC_VGPRS)
	s_endpgm
.LBB26_123:
	v_lshl_add_u32 v57, v0, 3, 0xe0
	s_mov_b32 s0, exec_lo
	v_cmpx_eq_u32_e32 26, v0
	s_cbranch_execz .LBB26_125
; %bb.124:
	scratch_load_b64 v[55:56], off, off offset:200
	v_mov_b32_e32 v58, 0
	s_delay_alu instid0(VALU_DEP_1)
	v_mov_b32_e32 v59, v58
	scratch_store_b64 off, v[58:59], off offset:200
	s_wait_loadcnt 0x0
	ds_store_b64 v57, v[55:56]
.LBB26_125:
	s_wait_alu 0xfffe
	s_or_b32 exec_lo, exec_lo, s0
	s_wait_storecnt_dscnt 0x0
	s_barrier_signal -1
	s_barrier_wait -1
	global_inv scope:SCOPE_SE
	s_clause 0x1
	scratch_load_b64 v[58:59], off, off offset:208
	scratch_load_b64 v[60:61], off, off offset:200
	v_mov_b32_e32 v55, 0
	s_mov_b32 s0, exec_lo
	ds_load_b64 v[62:63], v55 offset:432
	s_wait_loadcnt_dscnt 0x100
	v_mul_f32_e32 v56, v63, v59
	s_delay_alu instid0(VALU_DEP_1) | instskip(NEXT) | instid1(VALU_DEP_1)
	v_fma_f32 v56, v62, v58, -v56
	v_dual_mul_f32 v59, v62, v59 :: v_dual_add_f32 v56, 0, v56
	s_wait_loadcnt 0x0
	s_delay_alu instid0(VALU_DEP_1) | instskip(NEXT) | instid1(VALU_DEP_1)
	v_dual_fmac_f32 v59, v63, v58 :: v_dual_sub_f32 v58, v60, v56
	v_add_f32_e32 v59, 0, v59
	s_delay_alu instid0(VALU_DEP_1)
	v_sub_f32_e32 v59, v61, v59
	scratch_store_b64 off, v[58:59], off offset:200
	v_cmpx_lt_u32_e32 24, v0
	s_cbranch_execz .LBB26_127
; %bb.126:
	scratch_load_b64 v[58:59], off, off offset:192
	v_mov_b32_e32 v56, v55
	scratch_store_b64 off, v[55:56], off offset:192
	s_wait_loadcnt 0x0
	ds_store_b64 v57, v[58:59]
.LBB26_127:
	s_wait_alu 0xfffe
	s_or_b32 exec_lo, exec_lo, s0
	s_wait_storecnt_dscnt 0x0
	s_barrier_signal -1
	s_barrier_wait -1
	global_inv scope:SCOPE_SE
	s_clause 0x1
	scratch_load_b128 v[58:61], off, off offset:200
	scratch_load_b64 v[66:67], off, off offset:192
	ds_load_2addr_b64 v[62:65], v55 offset0:53 offset1:54
	s_mov_b32 s0, exec_lo
	s_wait_loadcnt_dscnt 0x100
	v_mul_f32_e32 v56, v62, v59
	s_delay_alu instid0(VALU_DEP_1) | instskip(SKIP_2) | instid1(VALU_DEP_1)
	v_fmac_f32_e32 v56, v63, v58
	v_mul_f32_e32 v55, v63, v59
	v_mul_f32_e32 v59, v64, v61
	v_fmac_f32_e32 v59, v65, v60
	s_delay_alu instid0(VALU_DEP_4) | instskip(NEXT) | instid1(VALU_DEP_4)
	v_dual_add_f32 v56, 0, v56 :: v_dual_mul_f32 v61, v65, v61
	v_fma_f32 v55, v62, v58, -v55
	s_delay_alu instid0(VALU_DEP_2) | instskip(NEXT) | instid1(VALU_DEP_3)
	v_add_f32_e32 v56, v56, v59
	v_fma_f32 v58, v64, v60, -v61
	s_wait_loadcnt 0x0
	s_delay_alu instid0(VALU_DEP_2) | instskip(NEXT) | instid1(VALU_DEP_1)
	v_dual_add_f32 v55, 0, v55 :: v_dual_sub_f32 v56, v67, v56
	v_add_f32_e32 v55, v55, v58
	s_delay_alu instid0(VALU_DEP_1)
	v_sub_f32_e32 v55, v66, v55
	scratch_store_b64 off, v[55:56], off offset:192
	v_cmpx_lt_u32_e32 23, v0
	s_cbranch_execz .LBB26_129
; %bb.128:
	scratch_load_b64 v[55:56], off, off offset:184
	v_mov_b32_e32 v58, 0
	s_delay_alu instid0(VALU_DEP_1)
	v_mov_b32_e32 v59, v58
	scratch_store_b64 off, v[58:59], off offset:184
	s_wait_loadcnt 0x0
	ds_store_b64 v57, v[55:56]
.LBB26_129:
	s_wait_alu 0xfffe
	s_or_b32 exec_lo, exec_lo, s0
	s_wait_storecnt_dscnt 0x0
	s_barrier_signal -1
	s_barrier_wait -1
	global_inv scope:SCOPE_SE
	s_clause 0x2
	scratch_load_b128 v[58:61], off, off offset:192
	scratch_load_b64 v[66:67], off, off offset:208
	scratch_load_b64 v[68:69], off, off offset:184
	v_mov_b32_e32 v55, 0
	ds_load_b128 v[62:65], v55 offset:416
	ds_load_b64 v[70:71], v55 offset:432
	s_mov_b32 s0, exec_lo
	s_wait_loadcnt_dscnt 0x201
	v_mul_f32_e32 v56, v63, v59
	v_dual_mul_f32 v59, v62, v59 :: v_dual_mul_f32 v72, v64, v61
	v_mul_f32_e32 v61, v65, v61
	s_wait_loadcnt_dscnt 0x100
	v_mul_f32_e32 v73, v70, v67
	v_fma_f32 v56, v62, v58, -v56
	v_fmac_f32_e32 v59, v63, v58
	v_mul_f32_e32 v58, v71, v67
	v_fmac_f32_e32 v72, v65, v60
	v_fma_f32 v60, v64, v60, -v61
	s_delay_alu instid0(VALU_DEP_4) | instskip(NEXT) | instid1(VALU_DEP_4)
	v_dual_add_f32 v56, 0, v56 :: v_dual_add_f32 v59, 0, v59
	v_fma_f32 v58, v70, v66, -v58
	s_delay_alu instid0(VALU_DEP_2) | instskip(NEXT) | instid1(VALU_DEP_1)
	v_add_f32_e32 v56, v56, v60
	v_dual_add_f32 v59, v59, v72 :: v_dual_add_f32 v56, v56, v58
	s_wait_loadcnt 0x0
	s_delay_alu instid0(VALU_DEP_1) | instskip(NEXT) | instid1(VALU_DEP_1)
	v_dual_fmac_f32 v73, v71, v66 :: v_dual_sub_f32 v58, v68, v56
	v_add_f32_e32 v59, v59, v73
	s_delay_alu instid0(VALU_DEP_1)
	v_sub_f32_e32 v59, v69, v59
	scratch_store_b64 off, v[58:59], off offset:184
	v_cmpx_lt_u32_e32 22, v0
	s_cbranch_execz .LBB26_131
; %bb.130:
	scratch_load_b64 v[58:59], off, off offset:176
	v_mov_b32_e32 v56, v55
	scratch_store_b64 off, v[55:56], off offset:176
	s_wait_loadcnt 0x0
	ds_store_b64 v57, v[58:59]
.LBB26_131:
	s_wait_alu 0xfffe
	s_or_b32 exec_lo, exec_lo, s0
	s_wait_storecnt_dscnt 0x0
	s_barrier_signal -1
	s_barrier_wait -1
	global_inv scope:SCOPE_SE
	s_clause 0x2
	scratch_load_b128 v[58:61], off, off offset:184
	scratch_load_b128 v[62:65], off, off offset:200
	scratch_load_b64 v[74:75], off, off offset:176
	ds_load_2addr_b64 v[66:69], v55 offset0:51 offset1:52
	ds_load_2addr_b64 v[70:73], v55 offset0:53 offset1:54
	s_mov_b32 s0, exec_lo
	s_wait_loadcnt_dscnt 0x201
	v_mul_f32_e32 v56, v67, v59
	s_wait_loadcnt_dscnt 0x100
	v_dual_mul_f32 v76, v70, v63 :: v_dual_mul_f32 v77, v72, v65
	s_delay_alu instid0(VALU_DEP_2) | instskip(SKIP_2) | instid1(VALU_DEP_4)
	v_fma_f32 v56, v66, v58, -v56
	v_mul_f32_e32 v55, v66, v59
	v_mul_f32_e32 v59, v68, v61
	v_dual_mul_f32 v61, v69, v61 :: v_dual_fmac_f32 v76, v71, v62
	s_delay_alu instid0(VALU_DEP_3) | instskip(NEXT) | instid1(VALU_DEP_3)
	v_dual_add_f32 v56, 0, v56 :: v_dual_fmac_f32 v55, v67, v58
	v_dual_mul_f32 v58, v71, v63 :: v_dual_fmac_f32 v59, v69, v60
	s_delay_alu instid0(VALU_DEP_3) | instskip(SKIP_1) | instid1(VALU_DEP_3)
	v_fma_f32 v60, v68, v60, -v61
	v_fmac_f32_e32 v77, v73, v64
	v_fma_f32 v58, v70, v62, -v58
	s_delay_alu instid0(VALU_DEP_3) | instskip(NEXT) | instid1(VALU_DEP_1)
	v_dual_add_f32 v56, v56, v60 :: v_dual_add_f32 v55, 0, v55
	v_dual_add_f32 v56, v56, v58 :: v_dual_mul_f32 v61, v73, v65
	s_delay_alu instid0(VALU_DEP_2) | instskip(NEXT) | instid1(VALU_DEP_2)
	v_add_f32_e32 v55, v55, v59
	v_fma_f32 v59, v72, v64, -v61
	s_delay_alu instid0(VALU_DEP_1) | instskip(SKIP_1) | instid1(VALU_DEP_1)
	v_dual_add_f32 v55, v55, v76 :: v_dual_add_f32 v56, v56, v59
	s_wait_loadcnt 0x0
	v_dual_add_f32 v58, v55, v77 :: v_dual_sub_f32 v55, v74, v56
	s_delay_alu instid0(VALU_DEP_1)
	v_sub_f32_e32 v56, v75, v58
	scratch_store_b64 off, v[55:56], off offset:176
	v_cmpx_lt_u32_e32 21, v0
	s_cbranch_execz .LBB26_133
; %bb.132:
	scratch_load_b64 v[55:56], off, off offset:168
	v_mov_b32_e32 v58, 0
	s_delay_alu instid0(VALU_DEP_1)
	v_mov_b32_e32 v59, v58
	scratch_store_b64 off, v[58:59], off offset:168
	s_wait_loadcnt 0x0
	ds_store_b64 v57, v[55:56]
.LBB26_133:
	s_wait_alu 0xfffe
	s_or_b32 exec_lo, exec_lo, s0
	s_wait_storecnt_dscnt 0x0
	s_barrier_signal -1
	s_barrier_wait -1
	global_inv scope:SCOPE_SE
	s_clause 0x3
	scratch_load_b128 v[58:61], off, off offset:176
	scratch_load_b128 v[62:65], off, off offset:192
	scratch_load_b64 v[74:75], off, off offset:208
	scratch_load_b64 v[76:77], off, off offset:168
	v_mov_b32_e32 v55, 0
	ds_load_b128 v[66:69], v55 offset:400
	ds_load_b128 v[70:73], v55 offset:416
	ds_load_b64 v[78:79], v55 offset:432
	s_mov_b32 s0, exec_lo
	s_wait_loadcnt_dscnt 0x302
	v_mul_f32_e32 v56, v66, v59
	v_dual_mul_f32 v80, v68, v61 :: v_dual_mul_f32 v59, v67, v59
	s_wait_loadcnt_dscnt 0x100
	v_mul_f32_e32 v83, v78, v75
	v_dual_mul_f32 v81, v70, v63 :: v_dual_mul_f32 v82, v72, v65
	v_dual_fmac_f32 v56, v67, v58 :: v_dual_mul_f32 v61, v69, v61
	v_fma_f32 v59, v66, v58, -v59
	v_fmac_f32_e32 v80, v69, v60
	v_mul_f32_e32 v58, v71, v63
	s_delay_alu instid0(VALU_DEP_4) | instskip(SKIP_3) | instid1(VALU_DEP_4)
	v_add_f32_e32 v56, 0, v56
	v_fma_f32 v60, v68, v60, -v61
	v_add_f32_e32 v59, 0, v59
	v_mul_f32_e32 v61, v73, v65
	v_dual_fmac_f32 v81, v71, v62 :: v_dual_add_f32 v56, v56, v80
	v_dual_fmac_f32 v82, v73, v64 :: v_dual_fmac_f32 v83, v79, v74
	s_delay_alu instid0(VALU_DEP_4) | instskip(SKIP_1) | instid1(VALU_DEP_4)
	v_add_f32_e32 v59, v59, v60
	v_fma_f32 v58, v70, v62, -v58
	v_add_f32_e32 v56, v56, v81
	v_fma_f32 v61, v72, v64, -v61
	s_delay_alu instid0(VALU_DEP_3) | instskip(NEXT) | instid1(VALU_DEP_3)
	v_add_f32_e32 v58, v59, v58
	v_add_f32_e32 v56, v56, v82
	s_delay_alu instid0(VALU_DEP_2) | instskip(NEXT) | instid1(VALU_DEP_2)
	v_add_f32_e32 v58, v58, v61
	v_add_f32_e32 v56, v56, v83
	v_mul_f32_e32 v60, v79, v75
	s_delay_alu instid0(VALU_DEP_1) | instskip(SKIP_1) | instid1(VALU_DEP_1)
	v_fma_f32 v59, v78, v74, -v60
	s_wait_loadcnt 0x0
	v_dual_add_f32 v58, v58, v59 :: v_dual_sub_f32 v59, v77, v56
	s_delay_alu instid0(VALU_DEP_1)
	v_sub_f32_e32 v58, v76, v58
	scratch_store_b64 off, v[58:59], off offset:168
	v_cmpx_lt_u32_e32 20, v0
	s_cbranch_execz .LBB26_135
; %bb.134:
	scratch_load_b64 v[58:59], off, off offset:160
	v_mov_b32_e32 v56, v55
	scratch_store_b64 off, v[55:56], off offset:160
	s_wait_loadcnt 0x0
	ds_store_b64 v57, v[58:59]
.LBB26_135:
	s_wait_alu 0xfffe
	s_or_b32 exec_lo, exec_lo, s0
	s_wait_storecnt_dscnt 0x0
	s_barrier_signal -1
	s_barrier_wait -1
	global_inv scope:SCOPE_SE
	s_clause 0x3
	scratch_load_b128 v[58:61], off, off offset:168
	scratch_load_b128 v[62:65], off, off offset:184
	;; [unrolled: 1-line block ×3, first 2 shown]
	scratch_load_b64 v[82:83], off, off offset:160
	ds_load_2addr_b64 v[70:73], v55 offset0:49 offset1:50
	ds_load_2addr_b64 v[74:77], v55 offset0:51 offset1:52
	ds_load_2addr_b64 v[78:81], v55 offset0:53 offset1:54
	s_mov_b32 s0, exec_lo
	s_wait_loadcnt_dscnt 0x302
	v_dual_mul_f32 v55, v70, v59 :: v_dual_mul_f32 v56, v72, v61
	v_mul_f32_e32 v59, v71, v59
	s_wait_loadcnt_dscnt 0x201
	v_dual_mul_f32 v61, v73, v61 :: v_dual_mul_f32 v84, v74, v63
	s_delay_alu instid0(VALU_DEP_3) | instskip(NEXT) | instid1(VALU_DEP_3)
	v_dual_mul_f32 v85, v76, v65 :: v_dual_fmac_f32 v56, v73, v60
	v_fma_f32 v59, v70, v58, -v59
	v_fmac_f32_e32 v55, v71, v58
	v_mul_f32_e32 v58, v75, v63
	v_fma_f32 v60, v72, v60, -v61
	v_mul_f32_e32 v61, v77, v65
	v_dual_add_f32 v59, 0, v59 :: v_dual_fmac_f32 v84, v75, v62
	s_delay_alu instid0(VALU_DEP_4) | instskip(SKIP_2) | instid1(VALU_DEP_3)
	v_fma_f32 v58, v74, v62, -v58
	s_wait_loadcnt_dscnt 0x100
	v_dual_mul_f32 v86, v78, v67 :: v_dual_mul_f32 v87, v80, v69
	v_add_f32_e32 v59, v59, v60
	v_fmac_f32_e32 v85, v77, v64
	v_fma_f32 v60, v76, v64, -v61
	s_delay_alu instid0(VALU_DEP_4) | instskip(NEXT) | instid1(VALU_DEP_4)
	v_dual_fmac_f32 v86, v79, v66 :: v_dual_fmac_f32 v87, v81, v68
	v_add_f32_e32 v58, v59, v58
	s_delay_alu instid0(VALU_DEP_1) | instskip(SKIP_1) | instid1(VALU_DEP_1)
	v_dual_add_f32 v58, v58, v60 :: v_dual_add_f32 v55, 0, v55
	v_mul_f32_e32 v59, v81, v69
	v_fma_f32 v59, v80, v68, -v59
	s_delay_alu instid0(VALU_DEP_3) | instskip(SKIP_1) | instid1(VALU_DEP_1)
	v_add_f32_e32 v55, v55, v56
	v_mul_f32_e32 v56, v79, v67
	v_fma_f32 v56, v78, v66, -v56
	s_delay_alu instid0(VALU_DEP_1) | instskip(NEXT) | instid1(VALU_DEP_1)
	v_add_f32_e32 v56, v58, v56
	v_dual_add_f32 v56, v56, v59 :: v_dual_add_f32 v55, v55, v84
	s_delay_alu instid0(VALU_DEP_1) | instskip(NEXT) | instid1(VALU_DEP_1)
	v_add_f32_e32 v55, v55, v85
	v_add_f32_e32 v55, v55, v86
	s_wait_loadcnt 0x0
	s_delay_alu instid0(VALU_DEP_1) | instskip(NEXT) | instid1(VALU_DEP_1)
	v_dual_add_f32 v58, v55, v87 :: v_dual_sub_f32 v55, v82, v56
	v_sub_f32_e32 v56, v83, v58
	scratch_store_b64 off, v[55:56], off offset:160
	v_cmpx_lt_u32_e32 19, v0
	s_cbranch_execz .LBB26_137
; %bb.136:
	scratch_load_b64 v[55:56], off, off offset:152
	v_mov_b32_e32 v58, 0
	s_delay_alu instid0(VALU_DEP_1)
	v_mov_b32_e32 v59, v58
	scratch_store_b64 off, v[58:59], off offset:152
	s_wait_loadcnt 0x0
	ds_store_b64 v57, v[55:56]
.LBB26_137:
	s_wait_alu 0xfffe
	s_or_b32 exec_lo, exec_lo, s0
	s_wait_storecnt_dscnt 0x0
	s_barrier_signal -1
	s_barrier_wait -1
	global_inv scope:SCOPE_SE
	s_clause 0x4
	scratch_load_b128 v[58:61], off, off offset:160
	scratch_load_b128 v[62:65], off, off offset:176
	;; [unrolled: 1-line block ×3, first 2 shown]
	scratch_load_b64 v[82:83], off, off offset:208
	scratch_load_b64 v[84:85], off, off offset:152
	v_mov_b32_e32 v55, 0
	ds_load_b128 v[70:73], v55 offset:384
	ds_load_b128 v[74:77], v55 offset:400
	;; [unrolled: 1-line block ×3, first 2 shown]
	ds_load_b64 v[86:87], v55 offset:432
	s_mov_b32 s0, exec_lo
	s_wait_loadcnt_dscnt 0x403
	v_mul_f32_e32 v56, v70, v59
	s_wait_loadcnt_dscnt 0x302
	v_dual_mul_f32 v88, v72, v61 :: v_dual_mul_f32 v89, v74, v63
	v_dual_mul_f32 v90, v76, v65 :: v_dual_mul_f32 v59, v71, v59
	s_wait_loadcnt_dscnt 0x100
	v_dual_mul_f32 v93, v86, v83 :: v_dual_fmac_f32 v56, v71, v58
	v_mul_f32_e32 v61, v73, v61
	v_dual_mul_f32 v91, v78, v67 :: v_dual_mul_f32 v92, v80, v69
	v_fma_f32 v59, v70, v58, -v59
	v_fmac_f32_e32 v88, v73, v60
	v_add_f32_e32 v56, 0, v56
	v_mul_f32_e32 v58, v75, v63
	v_fma_f32 v60, v72, v60, -v61
	v_add_f32_e32 v59, 0, v59
	v_mul_f32_e32 v61, v77, v65
	v_dual_fmac_f32 v89, v75, v62 :: v_dual_add_f32 v56, v56, v88
	v_dual_fmac_f32 v90, v77, v64 :: v_dual_fmac_f32 v91, v79, v66
	s_delay_alu instid0(VALU_DEP_4) | instskip(SKIP_1) | instid1(VALU_DEP_4)
	v_add_f32_e32 v59, v59, v60
	v_dual_fmac_f32 v92, v81, v68 :: v_dual_fmac_f32 v93, v87, v82
	v_add_f32_e32 v56, v56, v89
	v_fma_f32 v58, v74, v62, -v58
	v_mul_f32_e32 v60, v79, v67
	v_fma_f32 v61, v76, v64, -v61
	s_delay_alu instid0(VALU_DEP_4) | instskip(NEXT) | instid1(VALU_DEP_1)
	v_add_f32_e32 v56, v56, v90
	v_add_f32_e32 v56, v56, v91
	s_delay_alu instid0(VALU_DEP_1) | instskip(NEXT) | instid1(VALU_DEP_1)
	v_add_f32_e32 v56, v56, v92
	v_add_f32_e32 v56, v56, v93
	v_dual_add_f32 v58, v59, v58 :: v_dual_mul_f32 v59, v81, v69
	v_fma_f32 v60, v78, v66, -v60
	s_delay_alu instid0(VALU_DEP_2) | instskip(NEXT) | instid1(VALU_DEP_3)
	v_dual_add_f32 v58, v58, v61 :: v_dual_mul_f32 v61, v87, v83
	v_fma_f32 v59, v80, v68, -v59
	s_delay_alu instid0(VALU_DEP_2) | instskip(NEXT) | instid1(VALU_DEP_3)
	v_add_f32_e32 v58, v58, v60
	v_fma_f32 v60, v86, v82, -v61
	s_wait_loadcnt 0x0
	s_delay_alu instid0(VALU_DEP_2) | instskip(NEXT) | instid1(VALU_DEP_1)
	v_dual_add_f32 v58, v58, v59 :: v_dual_sub_f32 v59, v85, v56
	v_add_f32_e32 v58, v58, v60
	s_delay_alu instid0(VALU_DEP_1)
	v_sub_f32_e32 v58, v84, v58
	scratch_store_b64 off, v[58:59], off offset:152
	v_cmpx_lt_u32_e32 18, v0
	s_cbranch_execz .LBB26_139
; %bb.138:
	scratch_load_b64 v[58:59], off, off offset:144
	v_mov_b32_e32 v56, v55
	scratch_store_b64 off, v[55:56], off offset:144
	s_wait_loadcnt 0x0
	ds_store_b64 v57, v[58:59]
.LBB26_139:
	s_wait_alu 0xfffe
	s_or_b32 exec_lo, exec_lo, s0
	s_wait_storecnt_dscnt 0x0
	s_barrier_signal -1
	s_barrier_wait -1
	global_inv scope:SCOPE_SE
	s_clause 0x4
	scratch_load_b128 v[58:61], off, off offset:152
	scratch_load_b128 v[62:65], off, off offset:168
	scratch_load_b128 v[66:69], off, off offset:184
	scratch_load_b128 v[70:73], off, off offset:200
	scratch_load_b64 v[90:91], off, off offset:144
	ds_load_2addr_b64 v[74:77], v55 offset0:47 offset1:48
	ds_load_2addr_b64 v[78:81], v55 offset0:49 offset1:50
	;; [unrolled: 1-line block ×4, first 2 shown]
	s_mov_b32 s0, exec_lo
	s_wait_loadcnt_dscnt 0x403
	v_dual_mul_f32 v55, v74, v59 :: v_dual_mul_f32 v56, v76, v61
	v_mul_f32_e32 v59, v75, v59
	s_wait_loadcnt_dscnt 0x302
	v_dual_mul_f32 v61, v77, v61 :: v_dual_mul_f32 v92, v78, v63
	s_delay_alu instid0(VALU_DEP_3) | instskip(NEXT) | instid1(VALU_DEP_3)
	v_dual_mul_f32 v93, v80, v65 :: v_dual_fmac_f32 v56, v77, v60
	v_fma_f32 v59, v74, v58, -v59
	v_fmac_f32_e32 v55, v75, v58
	v_mul_f32_e32 v58, v79, v63
	v_fma_f32 v60, v76, v60, -v61
	v_mul_f32_e32 v61, v81, v65
	v_dual_add_f32 v59, 0, v59 :: v_dual_fmac_f32 v92, v79, v62
	s_delay_alu instid0(VALU_DEP_4) | instskip(SKIP_2) | instid1(VALU_DEP_3)
	v_fma_f32 v58, v78, v62, -v58
	s_wait_loadcnt_dscnt 0x201
	v_dual_mul_f32 v94, v82, v67 :: v_dual_mul_f32 v95, v84, v69
	v_add_f32_e32 v59, v59, v60
	v_fmac_f32_e32 v93, v81, v64
	v_fma_f32 v60, v80, v64, -v61
	s_wait_loadcnt_dscnt 0x100
	v_dual_mul_f32 v96, v86, v71 :: v_dual_mul_f32 v97, v88, v73
	v_dual_add_f32 v58, v59, v58 :: v_dual_mul_f32 v59, v85, v69
	v_dual_fmac_f32 v94, v83, v66 :: v_dual_fmac_f32 v95, v85, v68
	s_delay_alu instid0(VALU_DEP_3) | instskip(NEXT) | instid1(VALU_DEP_3)
	v_fmac_f32_e32 v96, v87, v70
	v_dual_add_f32 v58, v58, v60 :: v_dual_add_f32 v55, 0, v55
	v_mul_f32_e32 v60, v87, v71
	v_fma_f32 v59, v84, v68, -v59
	v_fmac_f32_e32 v97, v89, v72
	s_delay_alu instid0(VALU_DEP_4) | instskip(SKIP_2) | instid1(VALU_DEP_2)
	v_add_f32_e32 v55, v55, v56
	v_mul_f32_e32 v56, v83, v67
	v_fma_f32 v60, v86, v70, -v60
	v_fma_f32 v56, v82, v66, -v56
	s_delay_alu instid0(VALU_DEP_1) | instskip(SKIP_1) | instid1(VALU_DEP_2)
	v_add_f32_e32 v56, v58, v56
	v_mul_f32_e32 v58, v89, v73
	v_add_f32_e32 v56, v56, v59
	s_delay_alu instid0(VALU_DEP_2) | instskip(NEXT) | instid1(VALU_DEP_2)
	v_fma_f32 v58, v88, v72, -v58
	v_add_f32_e32 v56, v56, v60
	s_delay_alu instid0(VALU_DEP_1) | instskip(NEXT) | instid1(VALU_DEP_1)
	v_dual_add_f32 v55, v55, v92 :: v_dual_add_f32 v56, v56, v58
	v_add_f32_e32 v55, v55, v93
	s_delay_alu instid0(VALU_DEP_1) | instskip(NEXT) | instid1(VALU_DEP_1)
	v_add_f32_e32 v55, v55, v94
	v_add_f32_e32 v55, v55, v95
	s_delay_alu instid0(VALU_DEP_1) | instskip(SKIP_1) | instid1(VALU_DEP_1)
	v_add_f32_e32 v55, v55, v96
	s_wait_loadcnt 0x0
	v_dual_add_f32 v58, v55, v97 :: v_dual_sub_f32 v55, v90, v56
	s_delay_alu instid0(VALU_DEP_1)
	v_sub_f32_e32 v56, v91, v58
	scratch_store_b64 off, v[55:56], off offset:144
	v_cmpx_lt_u32_e32 17, v0
	s_cbranch_execz .LBB26_141
; %bb.140:
	scratch_load_b64 v[55:56], off, off offset:136
	v_mov_b32_e32 v58, 0
	s_delay_alu instid0(VALU_DEP_1)
	v_mov_b32_e32 v59, v58
	scratch_store_b64 off, v[58:59], off offset:136
	s_wait_loadcnt 0x0
	ds_store_b64 v57, v[55:56]
.LBB26_141:
	s_wait_alu 0xfffe
	s_or_b32 exec_lo, exec_lo, s0
	s_wait_storecnt_dscnt 0x0
	s_barrier_signal -1
	s_barrier_wait -1
	global_inv scope:SCOPE_SE
	s_clause 0x5
	scratch_load_b128 v[58:61], off, off offset:144
	scratch_load_b128 v[62:65], off, off offset:160
	;; [unrolled: 1-line block ×4, first 2 shown]
	scratch_load_b64 v[90:91], off, off offset:208
	scratch_load_b64 v[92:93], off, off offset:136
	v_mov_b32_e32 v55, 0
	ds_load_b128 v[74:77], v55 offset:368
	ds_load_b128 v[78:81], v55 offset:384
	;; [unrolled: 1-line block ×4, first 2 shown]
	ds_load_b64 v[94:95], v55 offset:432
	s_mov_b32 s0, exec_lo
	s_wait_loadcnt_dscnt 0x504
	v_mul_f32_e32 v56, v74, v59
	s_wait_loadcnt_dscnt 0x403
	v_dual_mul_f32 v96, v76, v61 :: v_dual_mul_f32 v97, v78, v63
	s_wait_loadcnt_dscnt 0x302
	v_dual_mul_f32 v100, v84, v69 :: v_dual_mul_f32 v59, v75, v59
	s_wait_loadcnt_dscnt 0x100
	v_dual_mul_f32 v103, v94, v91 :: v_dual_fmac_f32 v56, v75, v58
	v_mul_f32_e32 v61, v77, v61
	v_dual_mul_f32 v98, v80, v65 :: v_dual_mul_f32 v99, v82, v67
	v_fma_f32 v59, v74, v58, -v59
	v_fmac_f32_e32 v96, v77, v60
	v_add_f32_e32 v56, 0, v56
	v_mul_f32_e32 v58, v79, v63
	v_fma_f32 v60, v76, v60, -v61
	v_add_f32_e32 v59, 0, v59
	v_mul_f32_e32 v61, v81, v65
	v_dual_fmac_f32 v97, v79, v62 :: v_dual_add_f32 v56, v56, v96
	v_dual_fmac_f32 v98, v81, v64 :: v_dual_fmac_f32 v99, v83, v66
	s_delay_alu instid0(VALU_DEP_4) | instskip(SKIP_1) | instid1(VALU_DEP_4)
	v_add_f32_e32 v59, v59, v60
	v_dual_mul_f32 v101, v86, v71 :: v_dual_mul_f32 v102, v88, v73
	v_add_f32_e32 v56, v56, v97
	v_dual_fmac_f32 v100, v85, v68 :: v_dual_fmac_f32 v103, v95, v90
	s_delay_alu instid0(VALU_DEP_3) | instskip(NEXT) | instid1(VALU_DEP_3)
	v_dual_fmac_f32 v101, v87, v70 :: v_dual_fmac_f32 v102, v89, v72
	v_add_f32_e32 v56, v56, v98
	v_fma_f32 v58, v78, v62, -v58
	v_mul_f32_e32 v60, v83, v67
	v_fma_f32 v61, v80, v64, -v61
	s_delay_alu instid0(VALU_DEP_4) | instskip(NEXT) | instid1(VALU_DEP_1)
	v_add_f32_e32 v56, v56, v99
	v_add_f32_e32 v56, v56, v100
	s_delay_alu instid0(VALU_DEP_1) | instskip(NEXT) | instid1(VALU_DEP_1)
	v_add_f32_e32 v56, v56, v101
	v_add_f32_e32 v56, v56, v102
	s_delay_alu instid0(VALU_DEP_1) | instskip(SKIP_2) | instid1(VALU_DEP_2)
	v_add_f32_e32 v56, v56, v103
	v_dual_add_f32 v58, v59, v58 :: v_dual_mul_f32 v59, v85, v69
	v_fma_f32 v60, v82, v66, -v60
	v_dual_add_f32 v58, v58, v61 :: v_dual_mul_f32 v61, v87, v71
	s_delay_alu instid0(VALU_DEP_3) | instskip(NEXT) | instid1(VALU_DEP_2)
	v_fma_f32 v59, v84, v68, -v59
	v_add_f32_e32 v58, v58, v60
	v_mul_f32_e32 v60, v89, v73
	s_delay_alu instid0(VALU_DEP_4) | instskip(NEXT) | instid1(VALU_DEP_3)
	v_fma_f32 v61, v86, v70, -v61
	v_add_f32_e32 v58, v58, v59
	v_mul_f32_e32 v59, v95, v91
	s_delay_alu instid0(VALU_DEP_4) | instskip(NEXT) | instid1(VALU_DEP_3)
	v_fma_f32 v60, v88, v72, -v60
	v_add_f32_e32 v58, v58, v61
	s_delay_alu instid0(VALU_DEP_3) | instskip(NEXT) | instid1(VALU_DEP_2)
	v_fma_f32 v59, v94, v90, -v59
	v_add_f32_e32 v58, v58, v60
	s_wait_loadcnt 0x0
	s_delay_alu instid0(VALU_DEP_1) | instskip(NEXT) | instid1(VALU_DEP_1)
	v_dual_add_f32 v58, v58, v59 :: v_dual_sub_f32 v59, v93, v56
	v_sub_f32_e32 v58, v92, v58
	scratch_store_b64 off, v[58:59], off offset:136
	v_cmpx_lt_u32_e32 16, v0
	s_cbranch_execz .LBB26_143
; %bb.142:
	scratch_load_b64 v[58:59], off, off offset:128
	v_mov_b32_e32 v56, v55
	scratch_store_b64 off, v[55:56], off offset:128
	s_wait_loadcnt 0x0
	ds_store_b64 v57, v[58:59]
.LBB26_143:
	s_wait_alu 0xfffe
	s_or_b32 exec_lo, exec_lo, s0
	s_wait_storecnt_dscnt 0x0
	s_barrier_signal -1
	s_barrier_wait -1
	global_inv scope:SCOPE_SE
	s_clause 0x5
	scratch_load_b128 v[58:61], off, off offset:136
	scratch_load_b128 v[62:65], off, off offset:152
	;; [unrolled: 1-line block ×5, first 2 shown]
	scratch_load_b64 v[98:99], off, off offset:128
	ds_load_2addr_b64 v[78:81], v55 offset0:45 offset1:46
	ds_load_2addr_b64 v[82:85], v55 offset0:47 offset1:48
	;; [unrolled: 1-line block ×5, first 2 shown]
	s_mov_b32 s0, exec_lo
	s_wait_loadcnt_dscnt 0x504
	v_dual_mul_f32 v55, v78, v59 :: v_dual_mul_f32 v56, v80, v61
	v_mul_f32_e32 v59, v79, v59
	s_wait_loadcnt_dscnt 0x403
	v_dual_mul_f32 v61, v81, v61 :: v_dual_mul_f32 v100, v82, v63
	s_delay_alu instid0(VALU_DEP_3) | instskip(NEXT) | instid1(VALU_DEP_3)
	v_dual_mul_f32 v101, v84, v65 :: v_dual_fmac_f32 v56, v81, v60
	v_fma_f32 v59, v78, v58, -v59
	v_fmac_f32_e32 v55, v79, v58
	v_mul_f32_e32 v58, v83, v63
	v_fma_f32 v60, v80, v60, -v61
	v_mul_f32_e32 v61, v85, v65
	v_dual_add_f32 v59, 0, v59 :: v_dual_fmac_f32 v100, v83, v62
	s_delay_alu instid0(VALU_DEP_4) | instskip(SKIP_2) | instid1(VALU_DEP_3)
	v_fma_f32 v58, v82, v62, -v58
	s_wait_loadcnt_dscnt 0x302
	v_dual_mul_f32 v102, v86, v67 :: v_dual_mul_f32 v103, v88, v69
	v_add_f32_e32 v59, v59, v60
	v_fmac_f32_e32 v101, v85, v64
	v_fma_f32 v60, v84, v64, -v61
	s_wait_loadcnt_dscnt 0x201
	v_dual_mul_f32 v104, v90, v71 :: v_dual_mul_f32 v105, v92, v73
	v_dual_add_f32 v58, v59, v58 :: v_dual_mul_f32 v59, v89, v69
	v_fmac_f32_e32 v102, v87, v66
	s_wait_loadcnt_dscnt 0x100
	v_dual_mul_f32 v106, v94, v75 :: v_dual_mul_f32 v107, v96, v77
	s_delay_alu instid0(VALU_DEP_3) | instskip(SKIP_3) | instid1(VALU_DEP_4)
	v_dual_add_f32 v58, v58, v60 :: v_dual_add_f32 v55, 0, v55
	v_mul_f32_e32 v60, v91, v71
	v_fma_f32 v59, v88, v68, -v59
	v_dual_fmac_f32 v103, v89, v68 :: v_dual_fmac_f32 v104, v91, v70
	v_add_f32_e32 v55, v55, v56
	v_mul_f32_e32 v56, v87, v67
	v_fma_f32 v60, v90, v70, -v60
	v_dual_fmac_f32 v105, v93, v72 :: v_dual_fmac_f32 v106, v95, v74
	s_delay_alu instid0(VALU_DEP_3) | instskip(NEXT) | instid1(VALU_DEP_1)
	v_fma_f32 v56, v86, v66, -v56
	v_add_f32_e32 v56, v58, v56
	v_mul_f32_e32 v58, v93, v73
	s_delay_alu instid0(VALU_DEP_2) | instskip(SKIP_1) | instid1(VALU_DEP_3)
	v_dual_add_f32 v56, v56, v59 :: v_dual_add_f32 v55, v55, v100
	v_mul_f32_e32 v59, v95, v75
	v_fma_f32 v58, v92, v72, -v58
	s_delay_alu instid0(VALU_DEP_3) | instskip(SKIP_3) | instid1(VALU_DEP_4)
	v_add_f32_e32 v56, v56, v60
	v_mul_f32_e32 v60, v97, v77
	v_add_f32_e32 v55, v55, v101
	v_fma_f32 v59, v94, v74, -v59
	v_dual_add_f32 v56, v56, v58 :: v_dual_fmac_f32 v107, v97, v76
	s_delay_alu instid0(VALU_DEP_3) | instskip(SKIP_1) | instid1(VALU_DEP_3)
	v_add_f32_e32 v55, v55, v102
	v_fma_f32 v58, v96, v76, -v60
	v_add_f32_e32 v56, v56, v59
	s_delay_alu instid0(VALU_DEP_1) | instskip(NEXT) | instid1(VALU_DEP_1)
	v_dual_add_f32 v55, v55, v103 :: v_dual_add_f32 v56, v56, v58
	v_add_f32_e32 v55, v55, v104
	s_delay_alu instid0(VALU_DEP_1) | instskip(NEXT) | instid1(VALU_DEP_1)
	v_add_f32_e32 v55, v55, v105
	v_add_f32_e32 v55, v55, v106
	s_wait_loadcnt 0x0
	s_delay_alu instid0(VALU_DEP_1) | instskip(NEXT) | instid1(VALU_DEP_1)
	v_dual_add_f32 v58, v55, v107 :: v_dual_sub_f32 v55, v98, v56
	v_sub_f32_e32 v56, v99, v58
	scratch_store_b64 off, v[55:56], off offset:128
	v_cmpx_lt_u32_e32 15, v0
	s_cbranch_execz .LBB26_145
; %bb.144:
	scratch_load_b64 v[55:56], off, off offset:120
	v_mov_b32_e32 v58, 0
	s_delay_alu instid0(VALU_DEP_1)
	v_mov_b32_e32 v59, v58
	scratch_store_b64 off, v[58:59], off offset:120
	s_wait_loadcnt 0x0
	ds_store_b64 v57, v[55:56]
.LBB26_145:
	s_wait_alu 0xfffe
	s_or_b32 exec_lo, exec_lo, s0
	s_wait_storecnt_dscnt 0x0
	s_barrier_signal -1
	s_barrier_wait -1
	global_inv scope:SCOPE_SE
	s_clause 0x6
	scratch_load_b128 v[58:61], off, off offset:128
	scratch_load_b128 v[62:65], off, off offset:144
	;; [unrolled: 1-line block ×5, first 2 shown]
	scratch_load_b64 v[98:99], off, off offset:208
	scratch_load_b64 v[100:101], off, off offset:120
	v_mov_b32_e32 v55, 0
	ds_load_b128 v[78:81], v55 offset:352
	ds_load_b128 v[82:85], v55 offset:368
	;; [unrolled: 1-line block ×5, first 2 shown]
	ds_load_b64 v[102:103], v55 offset:432
	s_mov_b32 s0, exec_lo
	s_wait_loadcnt_dscnt 0x605
	v_mul_f32_e32 v56, v78, v59
	v_dual_mul_f32 v59, v79, v59 :: v_dual_mul_f32 v104, v80, v61
	s_wait_loadcnt_dscnt 0x302
	v_dual_mul_f32 v105, v82, v63 :: v_dual_mul_f32 v110, v92, v73
	s_wait_loadcnt_dscnt 0x100
	v_dual_mul_f32 v113, v102, v99 :: v_dual_fmac_f32 v56, v79, v58
	v_mul_f32_e32 v61, v81, v61
	v_fma_f32 v59, v78, v58, -v59
	v_mul_f32_e32 v58, v83, v63
	v_fmac_f32_e32 v104, v81, v60
	v_add_f32_e32 v56, 0, v56
	v_fma_f32 v60, v80, v60, -v61
	v_add_f32_e32 v59, 0, v59
	v_mul_f32_e32 v61, v85, v65
	s_delay_alu instid0(VALU_DEP_4) | instskip(SKIP_1) | instid1(VALU_DEP_4)
	v_dual_fmac_f32 v105, v83, v62 :: v_dual_add_f32 v56, v56, v104
	v_fma_f32 v58, v82, v62, -v58
	v_dual_add_f32 v59, v59, v60 :: v_dual_mul_f32 v106, v84, v65
	v_mul_f32_e32 v107, v86, v67
	v_mul_f32_e32 v60, v87, v67
	v_fma_f32 v61, v84, v64, -v61
	v_add_f32_e32 v56, v56, v105
	v_add_f32_e32 v58, v59, v58
	v_dual_fmac_f32 v106, v85, v64 :: v_dual_fmac_f32 v107, v87, v66
	v_mul_f32_e32 v59, v89, v69
	v_fma_f32 v60, v86, v66, -v60
	s_delay_alu instid0(VALU_DEP_4) | instskip(SKIP_4) | instid1(VALU_DEP_3)
	v_dual_add_f32 v58, v58, v61 :: v_dual_mul_f32 v61, v91, v71
	v_dual_mul_f32 v108, v88, v69 :: v_dual_mul_f32 v109, v90, v71
	v_dual_mul_f32 v111, v94, v75 :: v_dual_mul_f32 v112, v96, v77
	v_add_f32_e32 v56, v56, v106
	v_fma_f32 v59, v88, v68, -v59
	v_dual_add_f32 v58, v58, v60 :: v_dual_fmac_f32 v111, v95, v74
	v_dual_fmac_f32 v108, v89, v68 :: v_dual_fmac_f32 v109, v91, v70
	v_mul_f32_e32 v60, v93, v73
	s_delay_alu instid0(VALU_DEP_3)
	v_add_f32_e32 v58, v58, v59
	v_mul_f32_e32 v59, v95, v75
	v_dual_add_f32 v56, v56, v107 :: v_dual_fmac_f32 v113, v103, v98
	v_fma_f32 v61, v90, v70, -v61
	v_fmac_f32_e32 v110, v93, v72
	v_fma_f32 v60, v92, v72, -v60
	s_delay_alu instid0(VALU_DEP_4)
	v_add_f32_e32 v56, v56, v108
	v_fma_f32 v59, v94, v74, -v59
	v_add_f32_e32 v58, v58, v61
	v_mul_f32_e32 v61, v97, v77
	v_fmac_f32_e32 v112, v97, v76
	v_add_f32_e32 v56, v56, v109
	s_delay_alu instid0(VALU_DEP_4) | instskip(SKIP_2) | instid1(VALU_DEP_4)
	v_add_f32_e32 v58, v58, v60
	v_mul_f32_e32 v60, v103, v99
	v_fma_f32 v61, v96, v76, -v61
	v_add_f32_e32 v56, v56, v110
	s_delay_alu instid0(VALU_DEP_4) | instskip(NEXT) | instid1(VALU_DEP_4)
	v_add_f32_e32 v58, v58, v59
	v_fma_f32 v59, v102, v98, -v60
	s_delay_alu instid0(VALU_DEP_3) | instskip(NEXT) | instid1(VALU_DEP_3)
	v_add_f32_e32 v56, v56, v111
	v_add_f32_e32 v58, v58, v61
	s_delay_alu instid0(VALU_DEP_2) | instskip(NEXT) | instid1(VALU_DEP_2)
	v_add_f32_e32 v56, v56, v112
	v_add_f32_e32 v58, v58, v59
	s_delay_alu instid0(VALU_DEP_2) | instskip(SKIP_1) | instid1(VALU_DEP_1)
	v_add_f32_e32 v56, v56, v113
	s_wait_loadcnt 0x0
	v_dual_sub_f32 v58, v100, v58 :: v_dual_sub_f32 v59, v101, v56
	scratch_store_b64 off, v[58:59], off offset:120
	v_cmpx_lt_u32_e32 14, v0
	s_cbranch_execz .LBB26_147
; %bb.146:
	scratch_load_b64 v[58:59], off, off offset:112
	v_mov_b32_e32 v56, v55
	scratch_store_b64 off, v[55:56], off offset:112
	s_wait_loadcnt 0x0
	ds_store_b64 v57, v[58:59]
.LBB26_147:
	s_wait_alu 0xfffe
	s_or_b32 exec_lo, exec_lo, s0
	s_wait_storecnt_dscnt 0x0
	s_barrier_signal -1
	s_barrier_wait -1
	global_inv scope:SCOPE_SE
	s_clause 0x6
	scratch_load_b128 v[58:61], off, off offset:120
	scratch_load_b128 v[62:65], off, off offset:136
	;; [unrolled: 1-line block ×6, first 2 shown]
	scratch_load_b64 v[106:107], off, off offset:112
	ds_load_2addr_b64 v[82:85], v55 offset0:43 offset1:44
	ds_load_2addr_b64 v[86:89], v55 offset0:45 offset1:46
	;; [unrolled: 1-line block ×6, first 2 shown]
	s_mov_b32 s0, exec_lo
	s_wait_loadcnt_dscnt 0x605
	v_dual_mul_f32 v55, v82, v59 :: v_dual_mul_f32 v56, v84, v61
	v_mul_f32_e32 v59, v83, v59
	s_wait_loadcnt_dscnt 0x504
	v_dual_mul_f32 v61, v85, v61 :: v_dual_mul_f32 v108, v86, v63
	s_delay_alu instid0(VALU_DEP_3) | instskip(NEXT) | instid1(VALU_DEP_3)
	v_dual_mul_f32 v109, v88, v65 :: v_dual_fmac_f32 v56, v85, v60
	v_fma_f32 v59, v82, v58, -v59
	v_fmac_f32_e32 v55, v83, v58
	v_mul_f32_e32 v58, v87, v63
	v_fma_f32 v60, v84, v60, -v61
	v_mul_f32_e32 v61, v89, v65
	v_dual_add_f32 v59, 0, v59 :: v_dual_fmac_f32 v108, v87, v62
	s_delay_alu instid0(VALU_DEP_4) | instskip(SKIP_2) | instid1(VALU_DEP_3)
	v_fma_f32 v58, v86, v62, -v58
	s_wait_loadcnt_dscnt 0x403
	v_dual_mul_f32 v110, v90, v67 :: v_dual_mul_f32 v111, v92, v69
	v_add_f32_e32 v59, v59, v60
	v_fmac_f32_e32 v109, v89, v64
	v_fma_f32 v60, v88, v64, -v61
	s_wait_loadcnt_dscnt 0x302
	v_dual_mul_f32 v112, v94, v71 :: v_dual_mul_f32 v113, v96, v73
	v_dual_add_f32 v58, v59, v58 :: v_dual_mul_f32 v59, v93, v69
	v_fmac_f32_e32 v110, v91, v66
	s_wait_loadcnt_dscnt 0x201
	v_dual_mul_f32 v114, v98, v75 :: v_dual_mul_f32 v115, v100, v77
	s_delay_alu instid0(VALU_DEP_3) | instskip(SKIP_3) | instid1(VALU_DEP_4)
	v_dual_add_f32 v58, v58, v60 :: v_dual_add_f32 v55, 0, v55
	v_mul_f32_e32 v60, v95, v71
	v_fma_f32 v59, v92, v68, -v59
	v_dual_fmac_f32 v111, v93, v68 :: v_dual_fmac_f32 v112, v95, v70
	v_add_f32_e32 v55, v55, v56
	v_mul_f32_e32 v56, v91, v67
	v_fma_f32 v60, v94, v70, -v60
	v_dual_fmac_f32 v113, v97, v72 :: v_dual_fmac_f32 v114, v99, v74
	s_wait_loadcnt_dscnt 0x100
	v_dual_mul_f32 v116, v102, v79 :: v_dual_mul_f32 v117, v104, v81
	v_fma_f32 v56, v90, v66, -v56
	s_delay_alu instid0(VALU_DEP_2) | instskip(NEXT) | instid1(VALU_DEP_3)
	v_dual_fmac_f32 v115, v101, v76 :: v_dual_fmac_f32 v116, v103, v78
	v_fmac_f32_e32 v117, v105, v80
	s_delay_alu instid0(VALU_DEP_3) | instskip(SKIP_1) | instid1(VALU_DEP_2)
	v_add_f32_e32 v56, v58, v56
	v_mul_f32_e32 v58, v97, v73
	v_dual_add_f32 v56, v56, v59 :: v_dual_add_f32 v55, v55, v108
	v_mul_f32_e32 v59, v99, v75
	s_delay_alu instid0(VALU_DEP_3) | instskip(NEXT) | instid1(VALU_DEP_3)
	v_fma_f32 v58, v96, v72, -v58
	v_add_f32_e32 v56, v56, v60
	v_mul_f32_e32 v60, v101, v77
	v_add_f32_e32 v55, v55, v109
	v_fma_f32 v59, v98, v74, -v59
	s_delay_alu instid0(VALU_DEP_4) | instskip(SKIP_1) | instid1(VALU_DEP_4)
	v_add_f32_e32 v56, v56, v58
	v_mul_f32_e32 v58, v103, v79
	v_add_f32_e32 v55, v55, v110
	v_fma_f32 v60, v100, v76, -v60
	s_delay_alu instid0(VALU_DEP_4) | instskip(NEXT) | instid1(VALU_DEP_3)
	v_dual_add_f32 v56, v56, v59 :: v_dual_mul_f32 v59, v105, v81
	v_add_f32_e32 v55, v55, v111
	v_fma_f32 v58, v102, v78, -v58
	s_delay_alu instid0(VALU_DEP_3) | instskip(NEXT) | instid1(VALU_DEP_4)
	v_add_f32_e32 v56, v56, v60
	v_fma_f32 v59, v104, v80, -v59
	s_delay_alu instid0(VALU_DEP_2) | instskip(NEXT) | instid1(VALU_DEP_1)
	v_dual_add_f32 v55, v55, v112 :: v_dual_add_f32 v56, v56, v58
	v_dual_add_f32 v55, v55, v113 :: v_dual_add_f32 v56, v56, v59
	s_delay_alu instid0(VALU_DEP_1) | instskip(NEXT) | instid1(VALU_DEP_1)
	v_add_f32_e32 v55, v55, v114
	v_add_f32_e32 v55, v55, v115
	s_delay_alu instid0(VALU_DEP_1) | instskip(SKIP_1) | instid1(VALU_DEP_1)
	v_add_f32_e32 v55, v55, v116
	s_wait_loadcnt 0x0
	v_dual_add_f32 v58, v55, v117 :: v_dual_sub_f32 v55, v106, v56
	s_delay_alu instid0(VALU_DEP_1)
	v_sub_f32_e32 v56, v107, v58
	scratch_store_b64 off, v[55:56], off offset:112
	v_cmpx_lt_u32_e32 13, v0
	s_cbranch_execz .LBB26_149
; %bb.148:
	scratch_load_b64 v[55:56], off, off offset:104
	v_mov_b32_e32 v58, 0
	s_delay_alu instid0(VALU_DEP_1)
	v_mov_b32_e32 v59, v58
	scratch_store_b64 off, v[58:59], off offset:104
	s_wait_loadcnt 0x0
	ds_store_b64 v57, v[55:56]
.LBB26_149:
	s_wait_alu 0xfffe
	s_or_b32 exec_lo, exec_lo, s0
	s_wait_storecnt_dscnt 0x0
	s_barrier_signal -1
	s_barrier_wait -1
	global_inv scope:SCOPE_SE
	s_clause 0x7
	scratch_load_b128 v[58:61], off, off offset:112
	scratch_load_b128 v[62:65], off, off offset:128
	;; [unrolled: 1-line block ×6, first 2 shown]
	scratch_load_b64 v[106:107], off, off offset:208
	scratch_load_b64 v[108:109], off, off offset:104
	v_mov_b32_e32 v55, 0
	ds_load_b128 v[82:85], v55 offset:336
	ds_load_b128 v[86:89], v55 offset:352
	;; [unrolled: 1-line block ×6, first 2 shown]
	ds_load_b64 v[110:111], v55 offset:432
	s_mov_b32 s0, exec_lo
	s_wait_loadcnt_dscnt 0x706
	v_mul_f32_e32 v56, v82, v59
	v_dual_mul_f32 v59, v83, v59 :: v_dual_mul_f32 v112, v84, v61
	s_wait_loadcnt_dscnt 0x302
	v_dual_mul_f32 v113, v86, v63 :: v_dual_mul_f32 v120, v100, v77
	v_mul_f32_e32 v61, v85, v61
	s_wait_loadcnt_dscnt 0x100
	v_dual_mul_f32 v123, v110, v107 :: v_dual_fmac_f32 v56, v83, v58
	v_fma_f32 v59, v82, v58, -v59
	v_mul_f32_e32 v58, v87, v63
	v_fmac_f32_e32 v112, v85, v60
	v_fma_f32 v60, v84, v60, -v61
	v_dual_add_f32 v56, 0, v56 :: v_dual_mul_f32 v61, v89, v65
	v_add_f32_e32 v59, 0, v59
	v_fmac_f32_e32 v113, v87, v62
	v_fma_f32 v58, v86, v62, -v58
	s_delay_alu instid0(VALU_DEP_4)
	v_add_f32_e32 v56, v56, v112
	v_fma_f32 v61, v88, v64, -v61
	v_add_f32_e32 v59, v59, v60
	v_mul_f32_e32 v60, v91, v67
	v_dual_mul_f32 v114, v88, v65 :: v_dual_mul_f32 v115, v90, v67
	v_add_f32_e32 v56, v56, v113
	s_delay_alu instid0(VALU_DEP_4) | instskip(NEXT) | instid1(VALU_DEP_4)
	v_dual_add_f32 v58, v59, v58 :: v_dual_mul_f32 v59, v93, v69
	v_fma_f32 v60, v90, v66, -v60
	v_dual_mul_f32 v118, v96, v73 :: v_dual_mul_f32 v119, v98, v75
	s_delay_alu instid0(VALU_DEP_3) | instskip(NEXT) | instid1(VALU_DEP_4)
	v_dual_add_f32 v58, v58, v61 :: v_dual_mul_f32 v61, v95, v71
	v_fma_f32 v59, v92, v68, -v59
	v_dual_mul_f32 v121, v102, v79 :: v_dual_mul_f32 v122, v104, v81
	s_delay_alu instid0(VALU_DEP_3) | instskip(SKIP_1) | instid1(VALU_DEP_3)
	v_dual_add_f32 v58, v58, v60 :: v_dual_fmac_f32 v119, v99, v74
	v_dual_fmac_f32 v114, v89, v64 :: v_dual_fmac_f32 v115, v91, v66
	v_dual_mul_f32 v60, v97, v73 :: v_dual_fmac_f32 v121, v103, v78
	v_fma_f32 v61, v94, v70, -v61
	s_delay_alu instid0(VALU_DEP_4) | instskip(SKIP_3) | instid1(VALU_DEP_4)
	v_dual_add_f32 v58, v58, v59 :: v_dual_fmac_f32 v123, v111, v106
	v_dual_mul_f32 v116, v92, v69 :: v_dual_mul_f32 v117, v94, v71
	v_dual_add_f32 v56, v56, v114 :: v_dual_mul_f32 v59, v99, v75
	v_fma_f32 v60, v96, v72, -v60
	v_add_f32_e32 v58, v58, v61
	s_delay_alu instid0(VALU_DEP_4) | instskip(NEXT) | instid1(VALU_DEP_4)
	v_dual_fmac_f32 v116, v93, v68 :: v_dual_fmac_f32 v117, v95, v70
	v_dual_add_f32 v56, v56, v115 :: v_dual_mul_f32 v61, v101, v77
	v_fma_f32 v59, v98, v74, -v59
	s_delay_alu instid0(VALU_DEP_4)
	v_add_f32_e32 v58, v58, v60
	v_fmac_f32_e32 v118, v97, v72
	v_mul_f32_e32 v60, v103, v79
	v_fma_f32 v61, v100, v76, -v61
	v_fmac_f32_e32 v120, v101, v76
	v_dual_add_f32 v58, v58, v59 :: v_dual_mul_f32 v59, v105, v81
	v_add_f32_e32 v56, v56, v116
	v_fma_f32 v60, v102, v78, -v60
	v_fmac_f32_e32 v122, v105, v80
	s_delay_alu instid0(VALU_DEP_4) | instskip(NEXT) | instid1(VALU_DEP_4)
	v_dual_add_f32 v58, v58, v61 :: v_dual_mul_f32 v61, v111, v107
	v_add_f32_e32 v56, v56, v117
	v_fma_f32 v59, v104, v80, -v59
	s_delay_alu instid0(VALU_DEP_3) | instskip(NEXT) | instid1(VALU_DEP_4)
	v_add_f32_e32 v58, v58, v60
	v_fma_f32 v60, v110, v106, -v61
	s_delay_alu instid0(VALU_DEP_4) | instskip(NEXT) | instid1(VALU_DEP_3)
	v_add_f32_e32 v56, v56, v118
	v_add_f32_e32 v58, v58, v59
	s_delay_alu instid0(VALU_DEP_2) | instskip(NEXT) | instid1(VALU_DEP_2)
	v_add_f32_e32 v56, v56, v119
	v_add_f32_e32 v58, v58, v60
	s_delay_alu instid0(VALU_DEP_2) | instskip(SKIP_1) | instid1(VALU_DEP_2)
	v_add_f32_e32 v56, v56, v120
	s_wait_loadcnt 0x0
	v_sub_f32_e32 v58, v108, v58
	s_delay_alu instid0(VALU_DEP_2) | instskip(NEXT) | instid1(VALU_DEP_1)
	v_add_f32_e32 v56, v56, v121
	v_add_f32_e32 v56, v56, v122
	s_delay_alu instid0(VALU_DEP_1) | instskip(NEXT) | instid1(VALU_DEP_1)
	v_add_f32_e32 v56, v56, v123
	v_sub_f32_e32 v59, v109, v56
	scratch_store_b64 off, v[58:59], off offset:104
	v_cmpx_lt_u32_e32 12, v0
	s_cbranch_execz .LBB26_151
; %bb.150:
	scratch_load_b64 v[58:59], off, off offset:96
	v_mov_b32_e32 v56, v55
	scratch_store_b64 off, v[55:56], off offset:96
	s_wait_loadcnt 0x0
	ds_store_b64 v57, v[58:59]
.LBB26_151:
	s_wait_alu 0xfffe
	s_or_b32 exec_lo, exec_lo, s0
	s_wait_storecnt_dscnt 0x0
	s_barrier_signal -1
	s_barrier_wait -1
	global_inv scope:SCOPE_SE
	s_clause 0x7
	scratch_load_b128 v[58:61], off, off offset:104
	scratch_load_b128 v[62:65], off, off offset:120
	;; [unrolled: 1-line block ×7, first 2 shown]
	scratch_load_b64 v[114:115], off, off offset:96
	ds_load_2addr_b64 v[86:89], v55 offset0:41 offset1:42
	ds_load_2addr_b64 v[90:93], v55 offset0:43 offset1:44
	;; [unrolled: 1-line block ×7, first 2 shown]
	s_mov_b32 s0, exec_lo
	s_wait_loadcnt_dscnt 0x706
	v_dual_mul_f32 v55, v86, v59 :: v_dual_mul_f32 v56, v88, v61
	v_mul_f32_e32 v59, v87, v59
	s_wait_loadcnt_dscnt 0x605
	v_dual_mul_f32 v61, v89, v61 :: v_dual_mul_f32 v116, v90, v63
	s_delay_alu instid0(VALU_DEP_3) | instskip(NEXT) | instid1(VALU_DEP_3)
	v_dual_mul_f32 v117, v92, v65 :: v_dual_fmac_f32 v56, v89, v60
	v_fma_f32 v59, v86, v58, -v59
	v_fmac_f32_e32 v55, v87, v58
	v_mul_f32_e32 v58, v91, v63
	v_fma_f32 v60, v88, v60, -v61
	v_mul_f32_e32 v61, v93, v65
	v_dual_add_f32 v59, 0, v59 :: v_dual_fmac_f32 v116, v91, v62
	s_delay_alu instid0(VALU_DEP_4) | instskip(SKIP_2) | instid1(VALU_DEP_3)
	v_fma_f32 v58, v90, v62, -v58
	s_wait_loadcnt_dscnt 0x504
	v_dual_mul_f32 v118, v94, v67 :: v_dual_mul_f32 v119, v96, v69
	v_add_f32_e32 v59, v59, v60
	v_fmac_f32_e32 v117, v93, v64
	v_fma_f32 v60, v92, v64, -v61
	s_wait_loadcnt_dscnt 0x403
	v_dual_mul_f32 v120, v98, v71 :: v_dual_mul_f32 v121, v100, v73
	v_dual_add_f32 v58, v59, v58 :: v_dual_mul_f32 v59, v97, v69
	v_fmac_f32_e32 v118, v95, v66
	s_wait_loadcnt_dscnt 0x302
	v_dual_mul_f32 v122, v102, v75 :: v_dual_mul_f32 v123, v104, v77
	s_delay_alu instid0(VALU_DEP_3) | instskip(SKIP_3) | instid1(VALU_DEP_4)
	v_dual_add_f32 v58, v58, v60 :: v_dual_add_f32 v55, 0, v55
	v_mul_f32_e32 v60, v99, v71
	v_fma_f32 v59, v96, v68, -v59
	v_dual_fmac_f32 v119, v97, v68 :: v_dual_fmac_f32 v120, v99, v70
	v_add_f32_e32 v55, v55, v56
	v_mul_f32_e32 v56, v95, v67
	v_fma_f32 v60, v98, v70, -v60
	v_dual_fmac_f32 v121, v101, v72 :: v_dual_fmac_f32 v122, v103, v74
	s_wait_loadcnt_dscnt 0x201
	v_dual_mul_f32 v124, v106, v79 :: v_dual_mul_f32 v125, v108, v81
	v_fma_f32 v56, v94, v66, -v56
	s_wait_loadcnt_dscnt 0x100
	v_dual_mul_f32 v126, v110, v83 :: v_dual_mul_f32 v127, v112, v85
	s_delay_alu instid0(VALU_DEP_3) | instskip(NEXT) | instid1(VALU_DEP_3)
	v_dual_fmac_f32 v123, v105, v76 :: v_dual_fmac_f32 v124, v107, v78
	v_add_f32_e32 v56, v58, v56
	v_mul_f32_e32 v58, v101, v73
	s_delay_alu instid0(VALU_DEP_4) | instskip(NEXT) | instid1(VALU_DEP_3)
	v_dual_fmac_f32 v126, v111, v82 :: v_dual_fmac_f32 v127, v113, v84
	v_dual_fmac_f32 v125, v109, v80 :: v_dual_add_f32 v56, v56, v59
	v_add_f32_e32 v55, v55, v116
	v_mul_f32_e32 v59, v103, v75
	v_fma_f32 v58, v100, v72, -v58
	s_delay_alu instid0(VALU_DEP_4) | instskip(SKIP_3) | instid1(VALU_DEP_4)
	v_add_f32_e32 v56, v56, v60
	v_mul_f32_e32 v60, v105, v77
	v_add_f32_e32 v55, v55, v117
	v_fma_f32 v59, v102, v74, -v59
	v_add_f32_e32 v56, v56, v58
	v_mul_f32_e32 v58, v107, v79
	s_delay_alu instid0(VALU_DEP_4) | instskip(SKIP_1) | instid1(VALU_DEP_4)
	v_add_f32_e32 v55, v55, v118
	v_fma_f32 v60, v104, v76, -v60
	v_dual_add_f32 v56, v56, v59 :: v_dual_mul_f32 v59, v109, v81
	s_delay_alu instid0(VALU_DEP_3) | instskip(SKIP_1) | instid1(VALU_DEP_3)
	v_add_f32_e32 v55, v55, v119
	v_fma_f32 v58, v106, v78, -v58
	v_add_f32_e32 v56, v56, v60
	s_delay_alu instid0(VALU_DEP_4) | instskip(NEXT) | instid1(VALU_DEP_4)
	v_fma_f32 v59, v108, v80, -v59
	v_add_f32_e32 v55, v55, v120
	v_mul_f32_e32 v60, v111, v83
	s_delay_alu instid0(VALU_DEP_4) | instskip(SKIP_1) | instid1(VALU_DEP_4)
	v_add_f32_e32 v56, v56, v58
	v_mul_f32_e32 v58, v113, v85
	v_add_f32_e32 v55, v55, v121
	s_delay_alu instid0(VALU_DEP_4) | instskip(NEXT) | instid1(VALU_DEP_4)
	v_fma_f32 v60, v110, v82, -v60
	v_add_f32_e32 v56, v56, v59
	s_delay_alu instid0(VALU_DEP_4) | instskip(NEXT) | instid1(VALU_DEP_2)
	v_fma_f32 v58, v112, v84, -v58
	v_dual_add_f32 v55, v55, v122 :: v_dual_add_f32 v56, v56, v60
	s_delay_alu instid0(VALU_DEP_1) | instskip(NEXT) | instid1(VALU_DEP_1)
	v_dual_add_f32 v55, v55, v123 :: v_dual_add_f32 v56, v56, v58
	v_add_f32_e32 v55, v55, v124
	s_delay_alu instid0(VALU_DEP_1) | instskip(NEXT) | instid1(VALU_DEP_1)
	v_add_f32_e32 v55, v55, v125
	v_add_f32_e32 v55, v55, v126
	s_wait_loadcnt 0x0
	s_delay_alu instid0(VALU_DEP_1) | instskip(NEXT) | instid1(VALU_DEP_1)
	v_dual_add_f32 v58, v55, v127 :: v_dual_sub_f32 v55, v114, v56
	v_sub_f32_e32 v56, v115, v58
	scratch_store_b64 off, v[55:56], off offset:96
	v_cmpx_lt_u32_e32 11, v0
	s_cbranch_execz .LBB26_153
; %bb.152:
	scratch_load_b64 v[55:56], off, off offset:88
	v_mov_b32_e32 v58, 0
	s_delay_alu instid0(VALU_DEP_1)
	v_mov_b32_e32 v59, v58
	scratch_store_b64 off, v[58:59], off offset:88
	s_wait_loadcnt 0x0
	ds_store_b64 v57, v[55:56]
.LBB26_153:
	s_wait_alu 0xfffe
	s_or_b32 exec_lo, exec_lo, s0
	s_wait_storecnt_dscnt 0x0
	s_barrier_signal -1
	s_barrier_wait -1
	global_inv scope:SCOPE_SE
	s_clause 0x8
	scratch_load_b128 v[58:61], off, off offset:96
	scratch_load_b128 v[62:65], off, off offset:112
	;; [unrolled: 1-line block ×7, first 2 shown]
	scratch_load_b64 v[114:115], off, off offset:208
	scratch_load_b64 v[116:117], off, off offset:88
	v_mov_b32_e32 v55, 0
	ds_load_b128 v[86:89], v55 offset:320
	ds_load_b128 v[90:93], v55 offset:336
	;; [unrolled: 1-line block ×7, first 2 shown]
	ds_load_b64 v[118:119], v55 offset:432
	s_mov_b32 s0, exec_lo
	s_wait_loadcnt_dscnt 0x807
	v_mul_f32_e32 v56, v86, v59
	v_dual_mul_f32 v59, v87, v59 :: v_dual_mul_f32 v120, v88, v61
	s_wait_loadcnt_dscnt 0x706
	v_mul_f32_e32 v121, v90, v63
	v_mul_f32_e32 v61, v89, v61
	s_wait_loadcnt_dscnt 0x302
	v_mul_f32_e32 v130, v108, v81
	v_fma_f32 v59, v86, v58, -v59
	s_wait_loadcnt_dscnt 0x100
	v_dual_mul_f32 v133, v118, v115 :: v_dual_fmac_f32 v56, v87, v58
	v_mul_f32_e32 v58, v91, v63
	s_delay_alu instid0(VALU_DEP_3) | instskip(SKIP_1) | instid1(VALU_DEP_4)
	v_dual_fmac_f32 v120, v89, v60 :: v_dual_add_f32 v59, 0, v59
	v_fma_f32 v60, v88, v60, -v61
	v_dual_add_f32 v56, 0, v56 :: v_dual_mul_f32 v61, v93, v65
	v_fmac_f32_e32 v121, v91, v62
	v_fma_f32 v58, v90, v62, -v58
	v_dual_mul_f32 v122, v92, v65 :: v_dual_mul_f32 v123, v94, v67
	s_delay_alu instid0(VALU_DEP_4)
	v_add_f32_e32 v56, v56, v120
	v_add_f32_e32 v59, v59, v60
	v_mul_f32_e32 v60, v95, v67
	v_fma_f32 v61, v92, v64, -v61
	v_dual_mul_f32 v126, v100, v73 :: v_dual_mul_f32 v127, v102, v75
	v_add_f32_e32 v56, v56, v121
	v_dual_add_f32 v58, v59, v58 :: v_dual_mul_f32 v59, v97, v69
	v_fma_f32 v60, v94, v66, -v60
	v_dual_mul_f32 v128, v104, v77 :: v_dual_mul_f32 v129, v106, v79
	s_delay_alu instid0(VALU_DEP_3) | instskip(NEXT) | instid1(VALU_DEP_4)
	v_dual_add_f32 v58, v58, v61 :: v_dual_mul_f32 v61, v99, v71
	v_fma_f32 v59, v96, v68, -v59
	v_dual_mul_f32 v131, v110, v83 :: v_dual_mul_f32 v132, v112, v85
	s_delay_alu instid0(VALU_DEP_3) | instskip(SKIP_3) | instid1(VALU_DEP_4)
	v_dual_add_f32 v58, v58, v60 :: v_dual_fmac_f32 v127, v103, v74
	v_dual_fmac_f32 v122, v93, v64 :: v_dual_fmac_f32 v123, v95, v66
	v_dual_mul_f32 v60, v101, v73 :: v_dual_fmac_f32 v129, v107, v78
	v_fma_f32 v61, v98, v70, -v61
	v_dual_add_f32 v58, v58, v59 :: v_dual_fmac_f32 v131, v111, v82
	s_delay_alu instid0(VALU_DEP_4) | instskip(NEXT) | instid1(VALU_DEP_4)
	v_dual_add_f32 v56, v56, v122 :: v_dual_mul_f32 v59, v103, v75
	v_fma_f32 v60, v100, v72, -v60
	s_delay_alu instid0(VALU_DEP_3) | instskip(SKIP_3) | instid1(VALU_DEP_4)
	v_dual_add_f32 v58, v58, v61 :: v_dual_fmac_f32 v133, v119, v114
	v_dual_mul_f32 v124, v96, v69 :: v_dual_mul_f32 v125, v98, v71
	v_mul_f32_e32 v61, v105, v77
	v_fma_f32 v59, v102, v74, -v59
	v_add_f32_e32 v58, v58, v60
	s_delay_alu instid0(VALU_DEP_4) | instskip(SKIP_4) | instid1(VALU_DEP_4)
	v_dual_fmac_f32 v124, v97, v68 :: v_dual_fmac_f32 v125, v99, v70
	v_add_f32_e32 v56, v56, v123
	v_mul_f32_e32 v60, v107, v79
	v_fma_f32 v61, v104, v76, -v61
	v_dual_add_f32 v58, v58, v59 :: v_dual_mul_f32 v59, v109, v81
	v_add_f32_e32 v56, v56, v124
	s_delay_alu instid0(VALU_DEP_4) | instskip(SKIP_1) | instid1(VALU_DEP_4)
	v_fma_f32 v60, v106, v78, -v60
	v_fmac_f32_e32 v126, v101, v72
	v_dual_add_f32 v58, v58, v61 :: v_dual_mul_f32 v61, v111, v83
	s_delay_alu instid0(VALU_DEP_4) | instskip(SKIP_2) | instid1(VALU_DEP_4)
	v_add_f32_e32 v56, v56, v125
	v_fma_f32 v59, v108, v80, -v59
	v_fmac_f32_e32 v128, v105, v76
	v_add_f32_e32 v58, v58, v60
	v_fmac_f32_e32 v130, v109, v80
	v_mul_f32_e32 v60, v113, v85
	v_fma_f32 v61, v110, v82, -v61
	v_fmac_f32_e32 v132, v113, v84
	v_add_f32_e32 v58, v58, v59
	v_dual_mul_f32 v59, v119, v115 :: v_dual_add_f32 v56, v56, v126
	v_fma_f32 v60, v112, v84, -v60
	s_delay_alu instid0(VALU_DEP_3) | instskip(NEXT) | instid1(VALU_DEP_3)
	v_add_f32_e32 v58, v58, v61
	v_fma_f32 v59, v118, v114, -v59
	s_delay_alu instid0(VALU_DEP_4) | instskip(NEXT) | instid1(VALU_DEP_3)
	v_add_f32_e32 v56, v56, v127
	v_add_f32_e32 v58, v58, v60
	s_delay_alu instid0(VALU_DEP_2) | instskip(NEXT) | instid1(VALU_DEP_2)
	v_add_f32_e32 v56, v56, v128
	v_add_f32_e32 v58, v58, v59
	s_delay_alu instid0(VALU_DEP_2) | instskip(SKIP_1) | instid1(VALU_DEP_2)
	v_add_f32_e32 v56, v56, v129
	s_wait_loadcnt 0x0
	v_sub_f32_e32 v58, v116, v58
	s_delay_alu instid0(VALU_DEP_2) | instskip(NEXT) | instid1(VALU_DEP_1)
	v_add_f32_e32 v56, v56, v130
	v_add_f32_e32 v56, v56, v131
	s_delay_alu instid0(VALU_DEP_1) | instskip(NEXT) | instid1(VALU_DEP_1)
	v_add_f32_e32 v56, v56, v132
	v_add_f32_e32 v56, v56, v133
	s_delay_alu instid0(VALU_DEP_1)
	v_sub_f32_e32 v59, v117, v56
	scratch_store_b64 off, v[58:59], off offset:88
	v_cmpx_lt_u32_e32 10, v0
	s_cbranch_execz .LBB26_155
; %bb.154:
	scratch_load_b64 v[58:59], off, off offset:80
	v_mov_b32_e32 v56, v55
	scratch_store_b64 off, v[55:56], off offset:80
	s_wait_loadcnt 0x0
	ds_store_b64 v57, v[58:59]
.LBB26_155:
	s_wait_alu 0xfffe
	s_or_b32 exec_lo, exec_lo, s0
	s_wait_storecnt_dscnt 0x0
	s_barrier_signal -1
	s_barrier_wait -1
	global_inv scope:SCOPE_SE
	s_clause 0x8
	scratch_load_b128 v[58:61], off, off offset:88
	scratch_load_b128 v[62:65], off, off offset:104
	;; [unrolled: 1-line block ×8, first 2 shown]
	scratch_load_b64 v[122:123], off, off offset:80
	ds_load_2addr_b64 v[90:93], v55 offset0:39 offset1:40
	ds_load_2addr_b64 v[94:97], v55 offset0:41 offset1:42
	;; [unrolled: 1-line block ×8, first 2 shown]
	s_mov_b32 s0, exec_lo
	s_wait_loadcnt_dscnt 0x807
	v_dual_mul_f32 v55, v90, v59 :: v_dual_mul_f32 v56, v92, v61
	v_mul_f32_e32 v59, v91, v59
	s_wait_loadcnt_dscnt 0x706
	v_dual_mul_f32 v61, v93, v61 :: v_dual_mul_f32 v124, v94, v63
	s_delay_alu instid0(VALU_DEP_3) | instskip(NEXT) | instid1(VALU_DEP_3)
	v_dual_mul_f32 v125, v96, v65 :: v_dual_fmac_f32 v56, v93, v60
	v_fma_f32 v59, v90, v58, -v59
	v_fmac_f32_e32 v55, v91, v58
	v_mul_f32_e32 v58, v95, v63
	v_fma_f32 v60, v92, v60, -v61
	v_mul_f32_e32 v61, v97, v65
	v_dual_add_f32 v59, 0, v59 :: v_dual_fmac_f32 v124, v95, v62
	s_delay_alu instid0(VALU_DEP_4) | instskip(SKIP_2) | instid1(VALU_DEP_3)
	v_fma_f32 v58, v94, v62, -v58
	s_wait_loadcnt_dscnt 0x605
	v_dual_mul_f32 v126, v98, v67 :: v_dual_mul_f32 v127, v100, v69
	v_add_f32_e32 v59, v59, v60
	v_fmac_f32_e32 v125, v97, v64
	v_fma_f32 v60, v96, v64, -v61
	s_wait_loadcnt_dscnt 0x504
	v_dual_mul_f32 v128, v102, v71 :: v_dual_mul_f32 v129, v104, v73
	v_dual_add_f32 v58, v59, v58 :: v_dual_mul_f32 v59, v101, v69
	v_fmac_f32_e32 v126, v99, v66
	s_wait_loadcnt_dscnt 0x403
	v_dual_mul_f32 v130, v106, v75 :: v_dual_mul_f32 v131, v108, v77
	s_delay_alu instid0(VALU_DEP_3) | instskip(SKIP_3) | instid1(VALU_DEP_4)
	v_dual_add_f32 v58, v58, v60 :: v_dual_add_f32 v55, 0, v55
	v_mul_f32_e32 v60, v103, v71
	v_fma_f32 v59, v100, v68, -v59
	v_dual_fmac_f32 v127, v101, v68 :: v_dual_fmac_f32 v128, v103, v70
	v_add_f32_e32 v55, v55, v56
	v_mul_f32_e32 v56, v99, v67
	v_fma_f32 v60, v102, v70, -v60
	v_dual_fmac_f32 v129, v105, v72 :: v_dual_fmac_f32 v130, v107, v74
	s_wait_loadcnt_dscnt 0x302
	v_dual_mul_f32 v132, v110, v79 :: v_dual_mul_f32 v133, v112, v81
	v_fma_f32 v56, v98, v66, -v56
	s_wait_loadcnt_dscnt 0x201
	v_dual_mul_f32 v134, v114, v83 :: v_dual_mul_f32 v135, v116, v85
	s_wait_loadcnt_dscnt 0x100
	v_dual_mul_f32 v136, v118, v87 :: v_dual_mul_f32 v137, v120, v89
	v_add_f32_e32 v56, v58, v56
	v_mul_f32_e32 v58, v105, v73
	v_dual_fmac_f32 v134, v115, v82 :: v_dual_fmac_f32 v135, v117, v84
	s_delay_alu instid0(VALU_DEP_4) | instskip(NEXT) | instid1(VALU_DEP_4)
	v_dual_fmac_f32 v136, v119, v86 :: v_dual_fmac_f32 v137, v121, v88
	v_dual_add_f32 v56, v56, v59 :: v_dual_add_f32 v55, v55, v124
	v_mul_f32_e32 v59, v107, v75
	v_fma_f32 v58, v104, v72, -v58
	v_fmac_f32_e32 v131, v109, v76
	s_delay_alu instid0(VALU_DEP_4)
	v_add_f32_e32 v56, v56, v60
	v_mul_f32_e32 v60, v109, v77
	v_add_f32_e32 v55, v55, v125
	v_fma_f32 v59, v106, v74, -v59
	v_fmac_f32_e32 v132, v111, v78
	v_add_f32_e32 v56, v56, v58
	v_mul_f32_e32 v58, v111, v79
	v_add_f32_e32 v55, v55, v126
	v_fma_f32 v60, v108, v76, -v60
	s_delay_alu instid0(VALU_DEP_4) | instskip(SKIP_1) | instid1(VALU_DEP_4)
	v_dual_fmac_f32 v133, v113, v80 :: v_dual_add_f32 v56, v56, v59
	v_mul_f32_e32 v59, v113, v81
	v_add_f32_e32 v55, v55, v127
	v_fma_f32 v58, v110, v78, -v58
	s_delay_alu instid0(VALU_DEP_4) | instskip(NEXT) | instid1(VALU_DEP_4)
	v_add_f32_e32 v56, v56, v60
	v_fma_f32 v59, v112, v80, -v59
	s_delay_alu instid0(VALU_DEP_4) | instskip(SKIP_1) | instid1(VALU_DEP_4)
	v_add_f32_e32 v55, v55, v128
	v_mul_f32_e32 v60, v115, v83
	v_add_f32_e32 v56, v56, v58
	v_mul_f32_e32 v58, v117, v85
	s_delay_alu instid0(VALU_DEP_4) | instskip(NEXT) | instid1(VALU_DEP_4)
	v_add_f32_e32 v55, v55, v129
	v_fma_f32 v60, v114, v82, -v60
	s_delay_alu instid0(VALU_DEP_4) | instskip(SKIP_1) | instid1(VALU_DEP_4)
	v_add_f32_e32 v56, v56, v59
	v_mul_f32_e32 v59, v119, v87
	v_add_f32_e32 v55, v55, v130
	v_fma_f32 v58, v116, v84, -v58
	s_delay_alu instid0(VALU_DEP_4) | instskip(NEXT) | instid1(VALU_DEP_3)
	v_add_f32_e32 v56, v56, v60
	v_dual_mul_f32 v60, v121, v89 :: v_dual_add_f32 v55, v55, v131
	v_fma_f32 v59, v118, v86, -v59
	s_delay_alu instid0(VALU_DEP_3) | instskip(NEXT) | instid1(VALU_DEP_3)
	v_add_f32_e32 v56, v56, v58
	v_fma_f32 v58, v120, v88, -v60
	s_delay_alu instid0(VALU_DEP_2) | instskip(NEXT) | instid1(VALU_DEP_1)
	v_dual_add_f32 v55, v55, v132 :: v_dual_add_f32 v56, v56, v59
	v_dual_add_f32 v55, v55, v133 :: v_dual_add_f32 v56, v56, v58
	s_delay_alu instid0(VALU_DEP_1) | instskip(NEXT) | instid1(VALU_DEP_1)
	v_add_f32_e32 v55, v55, v134
	v_add_f32_e32 v55, v55, v135
	s_delay_alu instid0(VALU_DEP_1) | instskip(SKIP_1) | instid1(VALU_DEP_1)
	v_add_f32_e32 v55, v55, v136
	s_wait_loadcnt 0x0
	v_dual_add_f32 v58, v55, v137 :: v_dual_sub_f32 v55, v122, v56
	s_delay_alu instid0(VALU_DEP_1)
	v_sub_f32_e32 v56, v123, v58
	scratch_store_b64 off, v[55:56], off offset:80
	v_cmpx_lt_u32_e32 9, v0
	s_cbranch_execz .LBB26_157
; %bb.156:
	scratch_load_b64 v[55:56], off, off offset:72
	v_mov_b32_e32 v58, 0
	s_delay_alu instid0(VALU_DEP_1)
	v_mov_b32_e32 v59, v58
	scratch_store_b64 off, v[58:59], off offset:72
	s_wait_loadcnt 0x0
	ds_store_b64 v57, v[55:56]
.LBB26_157:
	s_wait_alu 0xfffe
	s_or_b32 exec_lo, exec_lo, s0
	s_wait_storecnt_dscnt 0x0
	s_barrier_signal -1
	s_barrier_wait -1
	global_inv scope:SCOPE_SE
	s_clause 0x9
	scratch_load_b128 v[58:61], off, off offset:80
	scratch_load_b128 v[62:65], off, off offset:96
	;; [unrolled: 1-line block ×8, first 2 shown]
	scratch_load_b64 v[122:123], off, off offset:208
	scratch_load_b64 v[124:125], off, off offset:72
	v_mov_b32_e32 v55, 0
	ds_load_b128 v[90:93], v55 offset:304
	ds_load_b128 v[94:97], v55 offset:320
	;; [unrolled: 1-line block ×8, first 2 shown]
	ds_load_b64 v[126:127], v55 offset:432
	s_mov_b32 s0, exec_lo
	s_wait_loadcnt_dscnt 0x908
	v_mul_f32_e32 v56, v90, v59
	s_wait_loadcnt_dscnt 0x807
	v_dual_mul_f32 v128, v92, v61 :: v_dual_mul_f32 v129, v94, v63
	v_mul_f32_e32 v59, v91, v59
	s_delay_alu instid0(VALU_DEP_3)
	v_dual_mul_f32 v61, v93, v61 :: v_dual_fmac_f32 v56, v91, v58
	s_wait_loadcnt_dscnt 0x302
	v_mul_f32_e32 v140, v116, v85
	v_dual_mul_f32 v130, v96, v65 :: v_dual_mul_f32 v131, v98, v67
	s_wait_loadcnt_dscnt 0x100
	v_mul_f32_e32 v143, v126, v123
	v_fma_f32 v59, v90, v58, -v59
	v_mul_f32_e32 v58, v95, v63
	v_fmac_f32_e32 v128, v93, v60
	v_fma_f32 v60, v92, v60, -v61
	v_dual_add_f32 v56, 0, v56 :: v_dual_mul_f32 v61, v97, v65
	v_add_f32_e32 v59, 0, v59
	v_fmac_f32_e32 v129, v95, v62
	v_fma_f32 v58, v94, v62, -v58
	s_delay_alu instid0(VALU_DEP_4)
	v_add_f32_e32 v56, v56, v128
	v_fma_f32 v61, v96, v64, -v61
	v_add_f32_e32 v59, v59, v60
	v_mul_f32_e32 v60, v99, v67
	v_dual_mul_f32 v134, v104, v73 :: v_dual_mul_f32 v135, v106, v75
	v_add_f32_e32 v56, v56, v129
	s_delay_alu instid0(VALU_DEP_4) | instskip(NEXT) | instid1(VALU_DEP_4)
	v_dual_add_f32 v58, v59, v58 :: v_dual_mul_f32 v59, v101, v69
	v_fma_f32 v60, v98, v66, -v60
	v_dual_mul_f32 v136, v108, v77 :: v_dual_mul_f32 v137, v110, v79
	s_delay_alu instid0(VALU_DEP_3) | instskip(NEXT) | instid1(VALU_DEP_4)
	v_dual_add_f32 v58, v58, v61 :: v_dual_mul_f32 v61, v103, v71
	v_fma_f32 v59, v100, v68, -v59
	v_dual_mul_f32 v138, v112, v81 :: v_dual_mul_f32 v139, v114, v83
	s_delay_alu instid0(VALU_DEP_3) | instskip(SKIP_3) | instid1(VALU_DEP_4)
	v_dual_add_f32 v58, v58, v60 :: v_dual_fmac_f32 v135, v107, v74
	v_dual_fmac_f32 v130, v97, v64 :: v_dual_fmac_f32 v131, v99, v66
	v_dual_mul_f32 v60, v105, v73 :: v_dual_fmac_f32 v137, v111, v78
	v_fma_f32 v61, v102, v70, -v61
	v_dual_add_f32 v58, v58, v59 :: v_dual_fmac_f32 v139, v115, v82
	v_dual_mul_f32 v141, v118, v87 :: v_dual_mul_f32 v142, v120, v89
	v_dual_add_f32 v56, v56, v130 :: v_dual_mul_f32 v59, v107, v75
	v_fma_f32 v60, v104, v72, -v60
	s_delay_alu instid0(VALU_DEP_3) | instskip(SKIP_3) | instid1(VALU_DEP_4)
	v_dual_add_f32 v58, v58, v61 :: v_dual_fmac_f32 v141, v119, v86
	v_dual_mul_f32 v132, v100, v69 :: v_dual_mul_f32 v133, v102, v71
	v_mul_f32_e32 v61, v109, v77
	v_fma_f32 v59, v106, v74, -v59
	v_add_f32_e32 v58, v58, v60
	s_delay_alu instid0(VALU_DEP_4) | instskip(SKIP_4) | instid1(VALU_DEP_4)
	v_dual_fmac_f32 v132, v101, v68 :: v_dual_fmac_f32 v133, v103, v70
	v_add_f32_e32 v56, v56, v131
	v_mul_f32_e32 v60, v111, v79
	v_fma_f32 v61, v108, v76, -v61
	v_dual_add_f32 v58, v58, v59 :: v_dual_mul_f32 v59, v113, v81
	v_add_f32_e32 v56, v56, v132
	s_delay_alu instid0(VALU_DEP_4) | instskip(SKIP_1) | instid1(VALU_DEP_4)
	v_fma_f32 v60, v110, v78, -v60
	v_fmac_f32_e32 v134, v105, v72
	v_dual_add_f32 v58, v58, v61 :: v_dual_mul_f32 v61, v115, v83
	s_delay_alu instid0(VALU_DEP_4) | instskip(SKIP_1) | instid1(VALU_DEP_3)
	v_dual_add_f32 v56, v56, v133 :: v_dual_fmac_f32 v143, v127, v122
	v_fma_f32 v59, v112, v80, -v59
	v_add_f32_e32 v58, v58, v60
	v_fmac_f32_e32 v136, v109, v76
	v_fmac_f32_e32 v138, v113, v80
	v_mul_f32_e32 v60, v117, v85
	v_fma_f32 v61, v114, v82, -v61
	v_add_f32_e32 v58, v58, v59
	v_dual_mul_f32 v59, v119, v87 :: v_dual_add_f32 v56, v56, v134
	v_fmac_f32_e32 v140, v117, v84
	v_fma_f32 v60, v116, v84, -v60
	s_delay_alu instid0(VALU_DEP_4) | instskip(NEXT) | instid1(VALU_DEP_4)
	v_add_f32_e32 v58, v58, v61
	v_dual_mul_f32 v61, v121, v89 :: v_dual_add_f32 v56, v56, v135
	v_fma_f32 v59, v118, v86, -v59
	v_fmac_f32_e32 v142, v121, v88
	s_delay_alu instid0(VALU_DEP_4) | instskip(SKIP_3) | instid1(VALU_DEP_4)
	v_add_f32_e32 v58, v58, v60
	v_mul_f32_e32 v60, v127, v123
	v_add_f32_e32 v56, v56, v136
	v_fma_f32 v61, v120, v88, -v61
	v_add_f32_e32 v58, v58, v59
	s_delay_alu instid0(VALU_DEP_4) | instskip(NEXT) | instid1(VALU_DEP_4)
	v_fma_f32 v59, v126, v122, -v60
	v_add_f32_e32 v56, v56, v137
	s_delay_alu instid0(VALU_DEP_3) | instskip(NEXT) | instid1(VALU_DEP_2)
	v_add_f32_e32 v58, v58, v61
	v_add_f32_e32 v56, v56, v138
	s_delay_alu instid0(VALU_DEP_2) | instskip(NEXT) | instid1(VALU_DEP_2)
	v_add_f32_e32 v58, v58, v59
	v_add_f32_e32 v56, v56, v139
	s_wait_loadcnt 0x0
	s_delay_alu instid0(VALU_DEP_2) | instskip(NEXT) | instid1(VALU_DEP_2)
	v_sub_f32_e32 v58, v124, v58
	v_add_f32_e32 v56, v56, v140
	s_delay_alu instid0(VALU_DEP_1) | instskip(NEXT) | instid1(VALU_DEP_1)
	v_add_f32_e32 v56, v56, v141
	v_add_f32_e32 v56, v56, v142
	s_delay_alu instid0(VALU_DEP_1) | instskip(NEXT) | instid1(VALU_DEP_1)
	v_add_f32_e32 v56, v56, v143
	v_sub_f32_e32 v59, v125, v56
	scratch_store_b64 off, v[58:59], off offset:72
	v_cmpx_lt_u32_e32 8, v0
	s_cbranch_execz .LBB26_159
; %bb.158:
	scratch_load_b64 v[58:59], off, off offset:64
	v_mov_b32_e32 v56, v55
	scratch_store_b64 off, v[55:56], off offset:64
	s_wait_loadcnt 0x0
	ds_store_b64 v57, v[58:59]
.LBB26_159:
	s_wait_alu 0xfffe
	s_or_b32 exec_lo, exec_lo, s0
	s_wait_storecnt_dscnt 0x0
	s_barrier_signal -1
	s_barrier_wait -1
	global_inv scope:SCOPE_SE
	s_clause 0x9
	scratch_load_b128 v[58:61], off, off offset:72
	scratch_load_b128 v[62:65], off, off offset:88
	;; [unrolled: 1-line block ×9, first 2 shown]
	scratch_load_b64 v[130:131], off, off offset:64
	ds_load_2addr_b64 v[94:97], v55 offset0:37 offset1:38
	ds_load_2addr_b64 v[98:101], v55 offset0:39 offset1:40
	;; [unrolled: 1-line block ×9, first 2 shown]
	s_mov_b32 s0, exec_lo
	s_wait_loadcnt_dscnt 0x908
	v_dual_mul_f32 v55, v94, v59 :: v_dual_mul_f32 v56, v96, v61
	v_mul_f32_e32 v59, v95, v59
	s_wait_loadcnt_dscnt 0x807
	v_dual_mul_f32 v61, v97, v61 :: v_dual_mul_f32 v132, v98, v63
	s_delay_alu instid0(VALU_DEP_3) | instskip(NEXT) | instid1(VALU_DEP_3)
	v_dual_mul_f32 v133, v100, v65 :: v_dual_fmac_f32 v56, v97, v60
	v_fma_f32 v59, v94, v58, -v59
	v_fmac_f32_e32 v55, v95, v58
	v_mul_f32_e32 v58, v99, v63
	v_fma_f32 v60, v96, v60, -v61
	v_mul_f32_e32 v61, v101, v65
	v_dual_add_f32 v59, 0, v59 :: v_dual_fmac_f32 v132, v99, v62
	s_delay_alu instid0(VALU_DEP_4) | instskip(SKIP_2) | instid1(VALU_DEP_3)
	v_fma_f32 v58, v98, v62, -v58
	s_wait_loadcnt_dscnt 0x706
	v_dual_mul_f32 v134, v102, v67 :: v_dual_mul_f32 v135, v104, v69
	v_add_f32_e32 v59, v59, v60
	v_fmac_f32_e32 v133, v101, v64
	v_fma_f32 v60, v100, v64, -v61
	s_wait_loadcnt_dscnt 0x605
	v_dual_mul_f32 v136, v106, v71 :: v_dual_mul_f32 v137, v108, v73
	v_dual_add_f32 v58, v59, v58 :: v_dual_mul_f32 v59, v105, v69
	v_fmac_f32_e32 v134, v103, v66
	s_wait_loadcnt_dscnt 0x504
	v_dual_mul_f32 v138, v110, v75 :: v_dual_mul_f32 v139, v112, v77
	s_delay_alu instid0(VALU_DEP_3) | instskip(SKIP_3) | instid1(VALU_DEP_4)
	v_dual_add_f32 v58, v58, v60 :: v_dual_add_f32 v55, 0, v55
	v_mul_f32_e32 v60, v107, v71
	v_fma_f32 v59, v104, v68, -v59
	v_dual_fmac_f32 v135, v105, v68 :: v_dual_fmac_f32 v136, v107, v70
	v_add_f32_e32 v55, v55, v56
	v_mul_f32_e32 v56, v103, v67
	v_fma_f32 v60, v106, v70, -v60
	v_dual_fmac_f32 v137, v109, v72 :: v_dual_fmac_f32 v138, v111, v74
	s_wait_loadcnt_dscnt 0x403
	v_dual_mul_f32 v140, v114, v79 :: v_dual_mul_f32 v141, v116, v81
	v_fma_f32 v56, v102, v66, -v56
	s_wait_loadcnt_dscnt 0x302
	v_dual_mul_f32 v142, v118, v83 :: v_dual_mul_f32 v143, v120, v85
	s_wait_loadcnt_dscnt 0x201
	v_dual_mul_f32 v144, v122, v87 :: v_dual_mul_f32 v145, v124, v89
	v_add_f32_e32 v56, v58, v56
	v_mul_f32_e32 v58, v109, v73
	v_dual_fmac_f32 v142, v119, v82 :: v_dual_fmac_f32 v143, v121, v84
	s_delay_alu instid0(VALU_DEP_4) | instskip(NEXT) | instid1(VALU_DEP_4)
	v_dual_fmac_f32 v144, v123, v86 :: v_dual_fmac_f32 v145, v125, v88
	v_dual_add_f32 v56, v56, v59 :: v_dual_add_f32 v55, v55, v132
	v_mul_f32_e32 v59, v111, v75
	v_fma_f32 v58, v108, v72, -v58
	v_fmac_f32_e32 v139, v113, v76
	s_delay_alu instid0(VALU_DEP_4)
	v_add_f32_e32 v56, v56, v60
	v_mul_f32_e32 v60, v113, v77
	v_add_f32_e32 v55, v55, v133
	v_fma_f32 v59, v110, v74, -v59
	v_fmac_f32_e32 v140, v115, v78
	v_add_f32_e32 v56, v56, v58
	v_mul_f32_e32 v58, v115, v79
	v_add_f32_e32 v55, v55, v134
	v_fma_f32 v60, v112, v76, -v60
	s_delay_alu instid0(VALU_DEP_4) | instskip(SKIP_1) | instid1(VALU_DEP_4)
	v_dual_fmac_f32 v141, v117, v80 :: v_dual_add_f32 v56, v56, v59
	v_mul_f32_e32 v59, v117, v81
	v_add_f32_e32 v55, v55, v135
	v_fma_f32 v58, v114, v78, -v58
	s_wait_loadcnt_dscnt 0x100
	v_dual_mul_f32 v146, v126, v91 :: v_dual_mul_f32 v147, v128, v93
	v_add_f32_e32 v56, v56, v60
	v_add_f32_e32 v55, v55, v136
	v_fma_f32 v59, v116, v80, -v59
	v_mul_f32_e32 v60, v119, v83
	v_dual_fmac_f32 v146, v127, v90 :: v_dual_fmac_f32 v147, v129, v92
	s_delay_alu instid0(VALU_DEP_4) | instskip(SKIP_1) | instid1(VALU_DEP_4)
	v_dual_add_f32 v56, v56, v58 :: v_dual_add_f32 v55, v55, v137
	v_mul_f32_e32 v58, v121, v85
	v_fma_f32 v60, v118, v82, -v60
	s_delay_alu instid0(VALU_DEP_3) | instskip(SKIP_1) | instid1(VALU_DEP_4)
	v_dual_add_f32 v56, v56, v59 :: v_dual_add_f32 v55, v55, v138
	v_mul_f32_e32 v59, v123, v87
	v_fma_f32 v58, v120, v84, -v58
	s_delay_alu instid0(VALU_DEP_3) | instskip(SKIP_1) | instid1(VALU_DEP_4)
	;; [unrolled: 4-line block ×4, first 2 shown]
	v_dual_add_f32 v56, v56, v59 :: v_dual_add_f32 v55, v55, v141
	v_mul_f32_e32 v59, v129, v93
	v_fma_f32 v58, v126, v90, -v58
	s_delay_alu instid0(VALU_DEP_3) | instskip(NEXT) | instid1(VALU_DEP_3)
	v_dual_add_f32 v56, v56, v60 :: v_dual_add_f32 v55, v55, v142
	v_fma_f32 v59, v128, v92, -v59
	s_delay_alu instid0(VALU_DEP_2) | instskip(NEXT) | instid1(VALU_DEP_1)
	v_dual_add_f32 v56, v56, v58 :: v_dual_add_f32 v55, v55, v143
	v_dual_add_f32 v56, v56, v59 :: v_dual_add_f32 v55, v55, v144
	s_delay_alu instid0(VALU_DEP_1) | instskip(NEXT) | instid1(VALU_DEP_1)
	v_add_f32_e32 v55, v55, v145
	v_add_f32_e32 v55, v55, v146
	s_wait_loadcnt 0x0
	s_delay_alu instid0(VALU_DEP_1) | instskip(NEXT) | instid1(VALU_DEP_1)
	v_dual_add_f32 v58, v55, v147 :: v_dual_sub_f32 v55, v130, v56
	v_sub_f32_e32 v56, v131, v58
	scratch_store_b64 off, v[55:56], off offset:64
	v_cmpx_lt_u32_e32 7, v0
	s_cbranch_execz .LBB26_161
; %bb.160:
	scratch_load_b64 v[55:56], off, off offset:56
	v_mov_b32_e32 v58, 0
	s_delay_alu instid0(VALU_DEP_1)
	v_mov_b32_e32 v59, v58
	scratch_store_b64 off, v[58:59], off offset:56
	s_wait_loadcnt 0x0
	ds_store_b64 v57, v[55:56]
.LBB26_161:
	s_wait_alu 0xfffe
	s_or_b32 exec_lo, exec_lo, s0
	s_wait_storecnt_dscnt 0x0
	s_barrier_signal -1
	s_barrier_wait -1
	global_inv scope:SCOPE_SE
	s_clause 0xa
	scratch_load_b128 v[58:61], off, off offset:64
	scratch_load_b128 v[62:65], off, off offset:80
	scratch_load_b128 v[66:69], off, off offset:96
	scratch_load_b128 v[70:73], off, off offset:112
	scratch_load_b128 v[74:77], off, off offset:128
	scratch_load_b128 v[78:81], off, off offset:144
	scratch_load_b128 v[82:85], off, off offset:160
	scratch_load_b128 v[86:89], off, off offset:176
	scratch_load_b128 v[90:93], off, off offset:192
	scratch_load_b64 v[130:131], off, off offset:208
	scratch_load_b64 v[132:133], off, off offset:56
	v_mov_b32_e32 v55, 0
	ds_load_b128 v[94:97], v55 offset:288
	ds_load_b128 v[98:101], v55 offset:304
	;; [unrolled: 1-line block ×9, first 2 shown]
	ds_load_b64 v[134:135], v55 offset:432
	s_mov_b32 s0, exec_lo
	s_wait_loadcnt_dscnt 0xa09
	v_mul_f32_e32 v56, v94, v59
	s_wait_loadcnt_dscnt 0x908
	v_dual_mul_f32 v136, v96, v61 :: v_dual_mul_f32 v137, v98, v63
	v_mul_f32_e32 v59, v95, v59
	s_delay_alu instid0(VALU_DEP_3)
	v_dual_mul_f32 v61, v97, v61 :: v_dual_fmac_f32 v56, v95, v58
	s_wait_loadcnt_dscnt 0x807
	v_dual_mul_f32 v138, v100, v65 :: v_dual_mul_f32 v139, v102, v67
	s_wait_loadcnt_dscnt 0x100
	v_dual_mul_f32 v150, v124, v89 :: v_dual_mul_f32 v153, v134, v131
	v_fma_f32 v59, v94, v58, -v59
	v_mul_f32_e32 v58, v99, v63
	v_fmac_f32_e32 v136, v97, v60
	v_fma_f32 v60, v96, v60, -v61
	v_dual_add_f32 v56, 0, v56 :: v_dual_mul_f32 v61, v101, v65
	v_add_f32_e32 v59, 0, v59
	v_fmac_f32_e32 v137, v99, v62
	v_fma_f32 v58, v98, v62, -v58
	s_delay_alu instid0(VALU_DEP_4)
	v_add_f32_e32 v56, v56, v136
	v_fma_f32 v61, v100, v64, -v61
	v_add_f32_e32 v59, v59, v60
	v_mul_f32_e32 v60, v103, v67
	v_dual_mul_f32 v142, v108, v73 :: v_dual_mul_f32 v143, v110, v75
	v_add_f32_e32 v56, v56, v137
	s_delay_alu instid0(VALU_DEP_4) | instskip(NEXT) | instid1(VALU_DEP_4)
	v_dual_add_f32 v58, v59, v58 :: v_dual_mul_f32 v59, v105, v69
	v_fma_f32 v60, v102, v66, -v60
	v_dual_mul_f32 v144, v112, v77 :: v_dual_mul_f32 v145, v114, v79
	s_delay_alu instid0(VALU_DEP_3) | instskip(NEXT) | instid1(VALU_DEP_4)
	v_dual_add_f32 v58, v58, v61 :: v_dual_mul_f32 v61, v107, v71
	v_fma_f32 v59, v104, v68, -v59
	v_dual_mul_f32 v146, v116, v81 :: v_dual_mul_f32 v147, v118, v83
	s_delay_alu instid0(VALU_DEP_3) | instskip(SKIP_3) | instid1(VALU_DEP_4)
	v_dual_add_f32 v58, v58, v60 :: v_dual_fmac_f32 v143, v111, v74
	v_dual_fmac_f32 v138, v101, v64 :: v_dual_fmac_f32 v139, v103, v66
	v_dual_mul_f32 v60, v109, v73 :: v_dual_fmac_f32 v145, v115, v78
	v_fma_f32 v61, v106, v70, -v61
	v_dual_add_f32 v58, v58, v59 :: v_dual_fmac_f32 v147, v119, v82
	v_dual_mul_f32 v148, v120, v85 :: v_dual_mul_f32 v149, v122, v87
	v_dual_add_f32 v56, v56, v138 :: v_dual_mul_f32 v59, v111, v75
	v_fma_f32 v60, v108, v72, -v60
	s_delay_alu instid0(VALU_DEP_3) | instskip(SKIP_1) | instid1(VALU_DEP_4)
	v_dual_add_f32 v58, v58, v61 :: v_dual_fmac_f32 v149, v123, v86
	v_mul_f32_e32 v61, v113, v77
	v_fma_f32 v59, v110, v74, -v59
	v_dual_mul_f32 v140, v104, v69 :: v_dual_mul_f32 v141, v106, v71
	s_delay_alu instid0(VALU_DEP_4) | instskip(SKIP_2) | instid1(VALU_DEP_4)
	v_add_f32_e32 v58, v58, v60
	v_mul_f32_e32 v60, v115, v79
	v_fma_f32 v61, v112, v76, -v61
	v_dual_fmac_f32 v140, v105, v68 :: v_dual_fmac_f32 v141, v107, v70
	s_delay_alu instid0(VALU_DEP_4) | instskip(SKIP_2) | instid1(VALU_DEP_3)
	v_dual_add_f32 v58, v58, v59 :: v_dual_fmac_f32 v153, v135, v130
	v_dual_add_f32 v56, v56, v139 :: v_dual_mul_f32 v59, v117, v81
	v_fma_f32 v60, v114, v78, -v60
	v_dual_add_f32 v58, v58, v61 :: v_dual_mul_f32 v61, v119, v83
	s_delay_alu instid0(VALU_DEP_3) | instskip(NEXT) | instid1(VALU_DEP_4)
	v_add_f32_e32 v56, v56, v140
	v_fma_f32 v59, v116, v80, -v59
	v_dual_mul_f32 v151, v126, v91 :: v_dual_mul_f32 v152, v128, v93
	s_delay_alu instid0(VALU_DEP_4)
	v_add_f32_e32 v58, v58, v60
	v_mul_f32_e32 v60, v121, v85
	v_fma_f32 v61, v118, v82, -v61
	v_fmac_f32_e32 v142, v109, v72
	v_dual_add_f32 v56, v56, v141 :: v_dual_fmac_f32 v151, v127, v90
	v_add_f32_e32 v58, v58, v59
	v_mul_f32_e32 v59, v123, v87
	v_fma_f32 v60, v120, v84, -v60
	s_delay_alu instid0(VALU_DEP_4)
	v_add_f32_e32 v56, v56, v142
	v_fmac_f32_e32 v144, v113, v76
	v_add_f32_e32 v58, v58, v61
	v_mul_f32_e32 v61, v125, v89
	v_fma_f32 v59, v122, v86, -v59
	v_fmac_f32_e32 v146, v117, v80
	v_fmac_f32_e32 v148, v121, v84
	v_add_f32_e32 v58, v58, v60
	v_fma_f32 v61, v124, v88, -v61
	v_mul_f32_e32 v60, v127, v91
	v_fmac_f32_e32 v150, v125, v88
	v_fmac_f32_e32 v152, v129, v92
	v_dual_add_f32 v58, v58, v59 :: v_dual_mul_f32 v59, v129, v93
	v_add_f32_e32 v56, v56, v143
	v_fma_f32 v60, v126, v90, -v60
	s_delay_alu instid0(VALU_DEP_3) | instskip(NEXT) | instid1(VALU_DEP_3)
	v_dual_add_f32 v58, v58, v61 :: v_dual_mul_f32 v61, v135, v131
	v_add_f32_e32 v56, v56, v144
	v_fma_f32 v59, v128, v92, -v59
	s_delay_alu instid0(VALU_DEP_3) | instskip(NEXT) | instid1(VALU_DEP_4)
	v_add_f32_e32 v58, v58, v60
	v_fma_f32 v60, v134, v130, -v61
	s_delay_alu instid0(VALU_DEP_4) | instskip(NEXT) | instid1(VALU_DEP_3)
	v_add_f32_e32 v56, v56, v145
	v_add_f32_e32 v58, v58, v59
	s_delay_alu instid0(VALU_DEP_2) | instskip(NEXT) | instid1(VALU_DEP_2)
	v_add_f32_e32 v56, v56, v146
	v_add_f32_e32 v58, v58, v60
	s_delay_alu instid0(VALU_DEP_2) | instskip(SKIP_1) | instid1(VALU_DEP_2)
	v_add_f32_e32 v56, v56, v147
	s_wait_loadcnt 0x0
	v_sub_f32_e32 v58, v132, v58
	s_delay_alu instid0(VALU_DEP_2) | instskip(NEXT) | instid1(VALU_DEP_1)
	v_add_f32_e32 v56, v56, v148
	v_add_f32_e32 v56, v56, v149
	s_delay_alu instid0(VALU_DEP_1) | instskip(NEXT) | instid1(VALU_DEP_1)
	v_add_f32_e32 v56, v56, v150
	v_add_f32_e32 v56, v56, v151
	s_delay_alu instid0(VALU_DEP_1) | instskip(NEXT) | instid1(VALU_DEP_1)
	v_add_f32_e32 v56, v56, v152
	v_add_f32_e32 v56, v56, v153
	s_delay_alu instid0(VALU_DEP_1)
	v_sub_f32_e32 v59, v133, v56
	scratch_store_b64 off, v[58:59], off offset:56
	v_cmpx_lt_u32_e32 6, v0
	s_cbranch_execz .LBB26_163
; %bb.162:
	scratch_load_b64 v[58:59], off, off offset:48
	v_mov_b32_e32 v56, v55
	scratch_store_b64 off, v[55:56], off offset:48
	s_wait_loadcnt 0x0
	ds_store_b64 v57, v[58:59]
.LBB26_163:
	s_wait_alu 0xfffe
	s_or_b32 exec_lo, exec_lo, s0
	s_wait_storecnt_dscnt 0x0
	s_barrier_signal -1
	s_barrier_wait -1
	global_inv scope:SCOPE_SE
	s_clause 0xa
	scratch_load_b128 v[58:61], off, off offset:56
	scratch_load_b128 v[62:65], off, off offset:72
	;; [unrolled: 1-line block ×10, first 2 shown]
	scratch_load_b64 v[138:139], off, off offset:48
	ds_load_2addr_b64 v[98:101], v55 offset0:35 offset1:36
	ds_load_2addr_b64 v[102:105], v55 offset0:37 offset1:38
	;; [unrolled: 1-line block ×10, first 2 shown]
	s_mov_b32 s0, exec_lo
	s_wait_loadcnt_dscnt 0xa09
	v_dual_mul_f32 v55, v98, v59 :: v_dual_mul_f32 v56, v100, v61
	v_mul_f32_e32 v59, v99, v59
	s_wait_loadcnt_dscnt 0x908
	v_dual_mul_f32 v61, v101, v61 :: v_dual_mul_f32 v140, v102, v63
	s_delay_alu instid0(VALU_DEP_3) | instskip(NEXT) | instid1(VALU_DEP_3)
	v_dual_mul_f32 v141, v104, v65 :: v_dual_fmac_f32 v56, v101, v60
	v_fma_f32 v59, v98, v58, -v59
	v_fmac_f32_e32 v55, v99, v58
	v_mul_f32_e32 v58, v103, v63
	v_fma_f32 v60, v100, v60, -v61
	v_mul_f32_e32 v61, v105, v65
	v_dual_add_f32 v59, 0, v59 :: v_dual_fmac_f32 v140, v103, v62
	s_delay_alu instid0(VALU_DEP_4) | instskip(SKIP_2) | instid1(VALU_DEP_3)
	v_fma_f32 v58, v102, v62, -v58
	s_wait_loadcnt_dscnt 0x807
	v_dual_mul_f32 v142, v106, v67 :: v_dual_mul_f32 v143, v108, v69
	v_add_f32_e32 v59, v59, v60
	v_fmac_f32_e32 v141, v105, v64
	v_fma_f32 v60, v104, v64, -v61
	s_wait_loadcnt_dscnt 0x706
	v_dual_mul_f32 v144, v110, v71 :: v_dual_mul_f32 v145, v112, v73
	v_dual_add_f32 v58, v59, v58 :: v_dual_mul_f32 v59, v109, v69
	v_fmac_f32_e32 v142, v107, v66
	s_wait_loadcnt_dscnt 0x605
	v_dual_mul_f32 v146, v114, v75 :: v_dual_mul_f32 v147, v116, v77
	s_delay_alu instid0(VALU_DEP_3) | instskip(SKIP_3) | instid1(VALU_DEP_4)
	v_dual_add_f32 v58, v58, v60 :: v_dual_add_f32 v55, 0, v55
	v_mul_f32_e32 v60, v111, v71
	v_fma_f32 v59, v108, v68, -v59
	v_dual_fmac_f32 v143, v109, v68 :: v_dual_fmac_f32 v144, v111, v70
	v_add_f32_e32 v55, v55, v56
	v_mul_f32_e32 v56, v107, v67
	v_fma_f32 v60, v110, v70, -v60
	v_dual_fmac_f32 v145, v113, v72 :: v_dual_fmac_f32 v146, v115, v74
	s_wait_loadcnt_dscnt 0x504
	v_dual_mul_f32 v148, v118, v79 :: v_dual_mul_f32 v149, v120, v81
	v_fma_f32 v56, v106, v66, -v56
	s_wait_loadcnt_dscnt 0x403
	v_dual_mul_f32 v150, v122, v83 :: v_dual_mul_f32 v151, v124, v85
	s_wait_loadcnt_dscnt 0x302
	v_dual_mul_f32 v152, v126, v87 :: v_dual_mul_f32 v153, v128, v89
	v_add_f32_e32 v56, v58, v56
	v_mul_f32_e32 v58, v113, v73
	v_dual_fmac_f32 v150, v123, v82 :: v_dual_fmac_f32 v151, v125, v84
	s_delay_alu instid0(VALU_DEP_4) | instskip(NEXT) | instid1(VALU_DEP_4)
	v_dual_fmac_f32 v152, v127, v86 :: v_dual_fmac_f32 v153, v129, v88
	v_dual_add_f32 v56, v56, v59 :: v_dual_add_f32 v55, v55, v140
	v_mul_f32_e32 v59, v115, v75
	v_fma_f32 v58, v112, v72, -v58
	v_fmac_f32_e32 v147, v117, v76
	s_delay_alu instid0(VALU_DEP_4)
	v_add_f32_e32 v56, v56, v60
	v_mul_f32_e32 v60, v117, v77
	v_add_f32_e32 v55, v55, v141
	v_fma_f32 v59, v114, v74, -v59
	v_fmac_f32_e32 v148, v119, v78
	v_add_f32_e32 v56, v56, v58
	v_mul_f32_e32 v58, v119, v79
	v_add_f32_e32 v55, v55, v142
	v_fma_f32 v60, v116, v76, -v60
	s_delay_alu instid0(VALU_DEP_4) | instskip(SKIP_1) | instid1(VALU_DEP_4)
	v_dual_fmac_f32 v149, v121, v80 :: v_dual_add_f32 v56, v56, v59
	v_mul_f32_e32 v59, v121, v81
	v_add_f32_e32 v55, v55, v143
	v_fma_f32 v58, v118, v78, -v58
	s_wait_loadcnt_dscnt 0x201
	v_dual_mul_f32 v154, v130, v91 :: v_dual_mul_f32 v155, v132, v93
	v_add_f32_e32 v56, v56, v60
	v_add_f32_e32 v55, v55, v144
	v_fma_f32 v59, v120, v80, -v59
	v_mul_f32_e32 v60, v123, v83
	s_wait_loadcnt_dscnt 0x100
	v_dual_mul_f32 v156, v134, v95 :: v_dual_mul_f32 v157, v136, v97
	v_dual_add_f32 v56, v56, v58 :: v_dual_add_f32 v55, v55, v145
	v_mul_f32_e32 v58, v125, v85
	v_fma_f32 v60, v122, v82, -v60
	v_dual_fmac_f32 v154, v131, v90 :: v_dual_fmac_f32 v155, v133, v92
	s_delay_alu instid0(VALU_DEP_4) | instskip(SKIP_3) | instid1(VALU_DEP_4)
	v_dual_add_f32 v56, v56, v59 :: v_dual_add_f32 v55, v55, v146
	v_mul_f32_e32 v59, v127, v87
	v_fma_f32 v58, v124, v84, -v58
	v_fmac_f32_e32 v157, v137, v96
	v_dual_add_f32 v56, v56, v60 :: v_dual_add_f32 v55, v55, v147
	v_mul_f32_e32 v60, v129, v89
	v_fma_f32 v59, v126, v86, -v59
	s_delay_alu instid0(VALU_DEP_3) | instskip(SKIP_1) | instid1(VALU_DEP_4)
	v_dual_add_f32 v56, v56, v58 :: v_dual_add_f32 v55, v55, v148
	v_mul_f32_e32 v58, v131, v91
	v_fma_f32 v60, v128, v88, -v60
	s_delay_alu instid0(VALU_DEP_3) | instskip(SKIP_1) | instid1(VALU_DEP_4)
	v_dual_add_f32 v56, v56, v59 :: v_dual_add_f32 v55, v55, v149
	v_mul_f32_e32 v59, v133, v93
	v_fma_f32 v58, v130, v90, -v58
	s_delay_alu instid0(VALU_DEP_3) | instskip(SKIP_1) | instid1(VALU_DEP_4)
	v_dual_add_f32 v56, v56, v60 :: v_dual_add_f32 v55, v55, v150
	v_mul_f32_e32 v60, v135, v95
	v_fma_f32 v59, v132, v92, -v59
	s_delay_alu instid0(VALU_DEP_3) | instskip(SKIP_1) | instid1(VALU_DEP_4)
	v_dual_add_f32 v56, v56, v58 :: v_dual_add_f32 v55, v55, v151
	v_mul_f32_e32 v58, v137, v97
	v_fma_f32 v60, v134, v94, -v60
	s_delay_alu instid0(VALU_DEP_3) | instskip(NEXT) | instid1(VALU_DEP_3)
	v_dual_add_f32 v56, v56, v59 :: v_dual_add_f32 v55, v55, v152
	v_fma_f32 v58, v136, v96, -v58
	s_delay_alu instid0(VALU_DEP_2) | instskip(NEXT) | instid1(VALU_DEP_1)
	v_dual_add_f32 v56, v56, v60 :: v_dual_add_f32 v55, v55, v153
	v_add_f32_e32 v56, v56, v58
	s_delay_alu instid0(VALU_DEP_2) | instskip(SKIP_1) | instid1(VALU_DEP_2)
	v_add_f32_e32 v55, v55, v154
	v_fmac_f32_e32 v156, v135, v94
	v_add_f32_e32 v55, v55, v155
	s_delay_alu instid0(VALU_DEP_1) | instskip(SKIP_1) | instid1(VALU_DEP_1)
	v_add_f32_e32 v55, v55, v156
	s_wait_loadcnt 0x0
	v_dual_add_f32 v58, v55, v157 :: v_dual_sub_f32 v55, v138, v56
	s_delay_alu instid0(VALU_DEP_1)
	v_sub_f32_e32 v56, v139, v58
	scratch_store_b64 off, v[55:56], off offset:48
	v_cmpx_lt_u32_e32 5, v0
	s_cbranch_execz .LBB26_165
; %bb.164:
	scratch_load_b64 v[55:56], off, off offset:40
	v_mov_b32_e32 v58, 0
	s_delay_alu instid0(VALU_DEP_1)
	v_mov_b32_e32 v59, v58
	scratch_store_b64 off, v[58:59], off offset:40
	s_wait_loadcnt 0x0
	ds_store_b64 v57, v[55:56]
.LBB26_165:
	s_wait_alu 0xfffe
	s_or_b32 exec_lo, exec_lo, s0
	s_wait_storecnt_dscnt 0x0
	s_barrier_signal -1
	s_barrier_wait -1
	global_inv scope:SCOPE_SE
	s_clause 0xb
	scratch_load_b128 v[58:61], off, off offset:48
	scratch_load_b128 v[62:65], off, off offset:64
	;; [unrolled: 1-line block ×10, first 2 shown]
	scratch_load_b64 v[138:139], off, off offset:208
	scratch_load_b64 v[140:141], off, off offset:40
	v_mov_b32_e32 v55, 0
	ds_load_b128 v[98:101], v55 offset:272
	ds_load_b128 v[102:105], v55 offset:288
	;; [unrolled: 1-line block ×10, first 2 shown]
	ds_load_b64 v[142:143], v55 offset:432
	s_mov_b32 s0, exec_lo
	s_wait_loadcnt_dscnt 0xb0a
	v_mul_f32_e32 v56, v98, v59
	s_wait_loadcnt_dscnt 0xa09
	v_dual_mul_f32 v144, v100, v61 :: v_dual_mul_f32 v145, v102, v63
	v_mul_f32_e32 v61, v101, v61
	v_dual_mul_f32 v59, v99, v59 :: v_dual_mul_f32 v146, v104, v65
	s_wait_loadcnt_dscnt 0x908
	v_dual_mul_f32 v147, v106, v67 :: v_dual_fmac_f32 v56, v99, v58
	s_wait_loadcnt_dscnt 0x302
	v_mul_f32_e32 v160, v132, v93
	v_fma_f32 v59, v98, v58, -v59
	s_wait_loadcnt_dscnt 0x100
	v_mul_f32_e32 v163, v142, v139
	v_mul_f32_e32 v58, v103, v63
	v_fmac_f32_e32 v144, v101, v60
	v_fma_f32 v60, v100, v60, -v61
	v_dual_add_f32 v59, 0, v59 :: v_dual_add_f32 v56, 0, v56
	v_mul_f32_e32 v61, v105, v65
	v_fmac_f32_e32 v145, v103, v62
	v_fma_f32 v58, v102, v62, -v58
	v_dual_mul_f32 v150, v112, v73 :: v_dual_mul_f32 v151, v114, v75
	v_add_f32_e32 v56, v56, v144
	v_add_f32_e32 v59, v59, v60
	v_mul_f32_e32 v60, v107, v67
	v_fma_f32 v61, v104, v64, -v61
	v_dual_mul_f32 v152, v116, v77 :: v_dual_mul_f32 v153, v118, v79
	v_add_f32_e32 v56, v56, v145
	v_dual_add_f32 v58, v59, v58 :: v_dual_mul_f32 v59, v109, v69
	v_fma_f32 v60, v106, v66, -v60
	v_dual_mul_f32 v154, v120, v81 :: v_dual_mul_f32 v155, v122, v83
	s_delay_alu instid0(VALU_DEP_3) | instskip(NEXT) | instid1(VALU_DEP_4)
	v_dual_add_f32 v58, v58, v61 :: v_dual_mul_f32 v61, v111, v71
	v_fma_f32 v59, v108, v68, -v59
	v_dual_fmac_f32 v146, v105, v64 :: v_dual_fmac_f32 v147, v107, v66
	s_delay_alu instid0(VALU_DEP_3) | instskip(SKIP_2) | instid1(VALU_DEP_3)
	v_dual_add_f32 v58, v58, v60 :: v_dual_fmac_f32 v151, v115, v74
	v_dual_mul_f32 v60, v113, v73 :: v_dual_fmac_f32 v153, v119, v78
	v_fma_f32 v61, v110, v70, -v61
	v_dual_add_f32 v58, v58, v59 :: v_dual_fmac_f32 v155, v123, v82
	v_dual_mul_f32 v156, v124, v85 :: v_dual_mul_f32 v157, v126, v87
	v_dual_add_f32 v56, v56, v146 :: v_dual_mul_f32 v59, v115, v75
	v_fma_f32 v60, v112, v72, -v60
	s_delay_alu instid0(VALU_DEP_3) | instskip(SKIP_1) | instid1(VALU_DEP_4)
	v_dual_add_f32 v58, v58, v61 :: v_dual_fmac_f32 v157, v127, v86
	v_mul_f32_e32 v61, v117, v77
	v_fma_f32 v59, v114, v74, -v59
	v_dual_mul_f32 v148, v108, v69 :: v_dual_mul_f32 v149, v110, v71
	s_delay_alu instid0(VALU_DEP_4) | instskip(SKIP_3) | instid1(VALU_DEP_3)
	v_add_f32_e32 v58, v58, v60
	v_dual_mul_f32 v161, v134, v95 :: v_dual_mul_f32 v162, v136, v97
	v_mul_f32_e32 v60, v119, v79
	v_fma_f32 v61, v116, v76, -v61
	v_dual_add_f32 v58, v58, v59 :: v_dual_fmac_f32 v161, v135, v94
	v_dual_fmac_f32 v148, v109, v68 :: v_dual_fmac_f32 v149, v111, v70
	v_dual_add_f32 v56, v56, v147 :: v_dual_mul_f32 v59, v121, v81
	v_fma_f32 v60, v118, v78, -v60
	s_delay_alu instid0(VALU_DEP_4) | instskip(NEXT) | instid1(VALU_DEP_3)
	v_dual_add_f32 v58, v58, v61 :: v_dual_mul_f32 v61, v123, v83
	v_add_f32_e32 v56, v56, v148
	s_delay_alu instid0(VALU_DEP_4) | instskip(SKIP_1) | instid1(VALU_DEP_4)
	v_fma_f32 v59, v120, v80, -v59
	v_dual_mul_f32 v158, v128, v89 :: v_dual_mul_f32 v159, v130, v91
	v_add_f32_e32 v58, v58, v60
	v_mul_f32_e32 v60, v125, v85
	v_fma_f32 v61, v122, v82, -v61
	v_fmac_f32_e32 v150, v113, v72
	v_dual_add_f32 v56, v56, v149 :: v_dual_fmac_f32 v159, v131, v90
	v_add_f32_e32 v58, v58, v59
	v_mul_f32_e32 v59, v127, v87
	v_fma_f32 v60, v124, v84, -v60
	s_delay_alu instid0(VALU_DEP_4)
	v_add_f32_e32 v56, v56, v150
	v_fmac_f32_e32 v152, v117, v76
	v_add_f32_e32 v58, v58, v61
	v_mul_f32_e32 v61, v129, v89
	v_fma_f32 v59, v126, v86, -v59
	v_dual_fmac_f32 v163, v143, v138 :: v_dual_fmac_f32 v154, v121, v80
	s_delay_alu instid0(VALU_DEP_4) | instskip(NEXT) | instid1(VALU_DEP_4)
	v_add_f32_e32 v58, v58, v60
	v_fma_f32 v61, v128, v88, -v61
	v_fmac_f32_e32 v156, v125, v84
	v_mul_f32_e32 v60, v131, v91
	v_fmac_f32_e32 v158, v129, v88
	v_dual_add_f32 v58, v58, v59 :: v_dual_mul_f32 v59, v133, v93
	v_add_f32_e32 v56, v56, v151
	s_delay_alu instid0(VALU_DEP_4) | instskip(SKIP_1) | instid1(VALU_DEP_4)
	v_fma_f32 v60, v130, v90, -v60
	v_fmac_f32_e32 v160, v133, v92
	v_dual_add_f32 v58, v58, v61 :: v_dual_mul_f32 v61, v135, v95
	s_delay_alu instid0(VALU_DEP_4) | instskip(SKIP_2) | instid1(VALU_DEP_4)
	v_add_f32_e32 v56, v56, v152
	v_fma_f32 v59, v132, v92, -v59
	v_fmac_f32_e32 v162, v137, v96
	v_add_f32_e32 v58, v58, v60
	v_mul_f32_e32 v60, v137, v97
	v_add_f32_e32 v56, v56, v153
	v_fma_f32 v61, v134, v94, -v61
	s_delay_alu instid0(VALU_DEP_4) | instskip(NEXT) | instid1(VALU_DEP_3)
	v_add_f32_e32 v58, v58, v59
	v_dual_mul_f32 v59, v143, v139 :: v_dual_add_f32 v56, v56, v154
	v_fma_f32 v60, v136, v96, -v60
	s_delay_alu instid0(VALU_DEP_3) | instskip(NEXT) | instid1(VALU_DEP_3)
	v_add_f32_e32 v58, v58, v61
	v_fma_f32 v59, v142, v138, -v59
	s_delay_alu instid0(VALU_DEP_4) | instskip(NEXT) | instid1(VALU_DEP_3)
	v_add_f32_e32 v56, v56, v155
	v_add_f32_e32 v58, v58, v60
	s_delay_alu instid0(VALU_DEP_2) | instskip(NEXT) | instid1(VALU_DEP_2)
	v_add_f32_e32 v56, v56, v156
	v_add_f32_e32 v58, v58, v59
	s_delay_alu instid0(VALU_DEP_2) | instskip(SKIP_1) | instid1(VALU_DEP_2)
	v_add_f32_e32 v56, v56, v157
	s_wait_loadcnt 0x0
	v_sub_f32_e32 v58, v140, v58
	s_delay_alu instid0(VALU_DEP_2) | instskip(NEXT) | instid1(VALU_DEP_1)
	v_add_f32_e32 v56, v56, v158
	v_add_f32_e32 v56, v56, v159
	s_delay_alu instid0(VALU_DEP_1) | instskip(NEXT) | instid1(VALU_DEP_1)
	v_add_f32_e32 v56, v56, v160
	v_add_f32_e32 v56, v56, v161
	s_delay_alu instid0(VALU_DEP_1) | instskip(NEXT) | instid1(VALU_DEP_1)
	v_add_f32_e32 v56, v56, v162
	v_add_f32_e32 v56, v56, v163
	s_delay_alu instid0(VALU_DEP_1)
	v_sub_f32_e32 v59, v141, v56
	scratch_store_b64 off, v[58:59], off offset:40
	v_cmpx_lt_u32_e32 4, v0
	s_cbranch_execz .LBB26_167
; %bb.166:
	scratch_load_b64 v[58:59], off, off offset:32
	v_mov_b32_e32 v56, v55
	scratch_store_b64 off, v[55:56], off offset:32
	s_wait_loadcnt 0x0
	ds_store_b64 v57, v[58:59]
.LBB26_167:
	s_wait_alu 0xfffe
	s_or_b32 exec_lo, exec_lo, s0
	s_wait_storecnt_dscnt 0x0
	s_barrier_signal -1
	s_barrier_wait -1
	global_inv scope:SCOPE_SE
	s_clause 0xb
	scratch_load_b128 v[58:61], off, off offset:40
	scratch_load_b128 v[62:65], off, off offset:56
	;; [unrolled: 1-line block ×11, first 2 shown]
	scratch_load_b64 v[146:147], off, off offset:32
	ds_load_2addr_b64 v[102:105], v55 offset0:33 offset1:34
	ds_load_2addr_b64 v[106:109], v55 offset0:35 offset1:36
	ds_load_2addr_b64 v[110:113], v55 offset0:37 offset1:38
	ds_load_2addr_b64 v[114:117], v55 offset0:39 offset1:40
	ds_load_2addr_b64 v[118:121], v55 offset0:41 offset1:42
	ds_load_2addr_b64 v[122:125], v55 offset0:43 offset1:44
	ds_load_2addr_b64 v[126:129], v55 offset0:45 offset1:46
	ds_load_2addr_b64 v[130:133], v55 offset0:47 offset1:48
	ds_load_2addr_b64 v[134:137], v55 offset0:49 offset1:50
	ds_load_2addr_b64 v[138:141], v55 offset0:51 offset1:52
	ds_load_2addr_b64 v[142:145], v55 offset0:53 offset1:54
	s_mov_b32 s0, exec_lo
	s_wait_loadcnt_dscnt 0xb0a
	v_dual_mul_f32 v55, v102, v59 :: v_dual_mul_f32 v56, v104, v61
	v_mul_f32_e32 v59, v103, v59
	s_wait_loadcnt_dscnt 0xa09
	v_dual_mul_f32 v61, v105, v61 :: v_dual_mul_f32 v148, v106, v63
	s_delay_alu instid0(VALU_DEP_3) | instskip(NEXT) | instid1(VALU_DEP_3)
	v_dual_mul_f32 v149, v108, v65 :: v_dual_fmac_f32 v56, v105, v60
	v_fma_f32 v59, v102, v58, -v59
	v_fmac_f32_e32 v55, v103, v58
	v_mul_f32_e32 v58, v107, v63
	v_fma_f32 v60, v104, v60, -v61
	v_mul_f32_e32 v61, v109, v65
	v_dual_add_f32 v59, 0, v59 :: v_dual_fmac_f32 v148, v107, v62
	s_delay_alu instid0(VALU_DEP_4) | instskip(SKIP_2) | instid1(VALU_DEP_3)
	v_fma_f32 v58, v106, v62, -v58
	s_wait_loadcnt_dscnt 0x908
	v_dual_mul_f32 v150, v110, v67 :: v_dual_mul_f32 v151, v112, v69
	v_add_f32_e32 v59, v59, v60
	v_fmac_f32_e32 v149, v109, v64
	v_fma_f32 v60, v108, v64, -v61
	s_wait_loadcnt_dscnt 0x807
	v_dual_mul_f32 v152, v114, v71 :: v_dual_mul_f32 v153, v116, v73
	v_dual_add_f32 v58, v59, v58 :: v_dual_mul_f32 v59, v113, v69
	v_fmac_f32_e32 v150, v111, v66
	s_wait_loadcnt_dscnt 0x706
	v_dual_mul_f32 v154, v118, v75 :: v_dual_mul_f32 v155, v120, v77
	s_delay_alu instid0(VALU_DEP_3) | instskip(SKIP_3) | instid1(VALU_DEP_4)
	v_dual_add_f32 v58, v58, v60 :: v_dual_add_f32 v55, 0, v55
	v_mul_f32_e32 v60, v115, v71
	v_fma_f32 v59, v112, v68, -v59
	v_dual_fmac_f32 v151, v113, v68 :: v_dual_fmac_f32 v152, v115, v70
	v_add_f32_e32 v55, v55, v56
	v_mul_f32_e32 v56, v111, v67
	v_fma_f32 v60, v114, v70, -v60
	v_dual_fmac_f32 v153, v117, v72 :: v_dual_fmac_f32 v154, v119, v74
	s_wait_loadcnt_dscnt 0x605
	v_dual_mul_f32 v156, v122, v79 :: v_dual_mul_f32 v157, v124, v81
	v_fma_f32 v56, v110, v66, -v56
	s_wait_loadcnt_dscnt 0x504
	v_dual_mul_f32 v158, v126, v83 :: v_dual_mul_f32 v159, v128, v85
	s_wait_loadcnt_dscnt 0x403
	v_dual_mul_f32 v160, v130, v87 :: v_dual_mul_f32 v161, v132, v89
	v_add_f32_e32 v56, v58, v56
	v_mul_f32_e32 v58, v117, v73
	v_dual_fmac_f32 v158, v127, v82 :: v_dual_fmac_f32 v159, v129, v84
	s_delay_alu instid0(VALU_DEP_4) | instskip(NEXT) | instid1(VALU_DEP_4)
	v_dual_fmac_f32 v160, v131, v86 :: v_dual_fmac_f32 v161, v133, v88
	v_dual_add_f32 v56, v56, v59 :: v_dual_add_f32 v55, v55, v148
	v_mul_f32_e32 v59, v119, v75
	v_fma_f32 v58, v116, v72, -v58
	v_fmac_f32_e32 v155, v121, v76
	s_delay_alu instid0(VALU_DEP_4)
	v_add_f32_e32 v56, v56, v60
	v_mul_f32_e32 v60, v121, v77
	v_add_f32_e32 v55, v55, v149
	v_fma_f32 v59, v118, v74, -v59
	v_fmac_f32_e32 v156, v123, v78
	v_add_f32_e32 v56, v56, v58
	v_mul_f32_e32 v58, v123, v79
	v_add_f32_e32 v55, v55, v150
	v_fma_f32 v60, v120, v76, -v60
	s_delay_alu instid0(VALU_DEP_4) | instskip(SKIP_1) | instid1(VALU_DEP_4)
	v_dual_fmac_f32 v157, v125, v80 :: v_dual_add_f32 v56, v56, v59
	v_mul_f32_e32 v59, v125, v81
	v_add_f32_e32 v55, v55, v151
	v_fma_f32 v58, v122, v78, -v58
	s_wait_loadcnt_dscnt 0x302
	v_dual_mul_f32 v162, v134, v91 :: v_dual_mul_f32 v163, v136, v93
	v_add_f32_e32 v56, v56, v60
	v_add_f32_e32 v55, v55, v152
	v_fma_f32 v59, v124, v80, -v59
	v_mul_f32_e32 v60, v127, v83
	s_wait_loadcnt_dscnt 0x201
	v_dual_mul_f32 v164, v138, v95 :: v_dual_mul_f32 v165, v140, v97
	v_dual_add_f32 v56, v56, v58 :: v_dual_add_f32 v55, v55, v153
	v_mul_f32_e32 v58, v129, v85
	v_fma_f32 v60, v126, v82, -v60
	v_dual_fmac_f32 v162, v135, v90 :: v_dual_fmac_f32 v163, v137, v92
	s_delay_alu instid0(VALU_DEP_4)
	v_dual_add_f32 v56, v56, v59 :: v_dual_add_f32 v55, v55, v154
	v_mul_f32_e32 v59, v131, v87
	v_fma_f32 v58, v128, v84, -v58
	s_wait_loadcnt_dscnt 0x100
	v_dual_mul_f32 v166, v142, v99 :: v_dual_mul_f32 v167, v144, v101
	v_dual_add_f32 v55, v55, v155 :: v_dual_add_f32 v56, v56, v60
	v_mul_f32_e32 v60, v133, v89
	v_fma_f32 v59, v130, v86, -v59
	s_delay_alu instid0(VALU_DEP_4) | instskip(NEXT) | instid1(VALU_DEP_4)
	v_dual_fmac_f32 v164, v139, v94 :: v_dual_fmac_f32 v167, v145, v100
	v_dual_add_f32 v55, v55, v156 :: v_dual_add_f32 v56, v56, v58
	v_mul_f32_e32 v58, v135, v91
	v_fma_f32 v60, v132, v88, -v60
	v_fmac_f32_e32 v165, v141, v96
	s_delay_alu instid0(VALU_DEP_4) | instskip(SKIP_2) | instid1(VALU_DEP_3)
	v_dual_add_f32 v55, v55, v157 :: v_dual_add_f32 v56, v56, v59
	v_mul_f32_e32 v59, v137, v93
	v_fma_f32 v58, v134, v90, -v58
	v_dual_add_f32 v55, v55, v158 :: v_dual_add_f32 v56, v56, v60
	v_mul_f32_e32 v60, v139, v95
	s_delay_alu instid0(VALU_DEP_4) | instskip(NEXT) | instid1(VALU_DEP_3)
	v_fma_f32 v59, v136, v92, -v59
	v_dual_add_f32 v55, v55, v159 :: v_dual_add_f32 v56, v56, v58
	v_mul_f32_e32 v58, v141, v97
	s_delay_alu instid0(VALU_DEP_4) | instskip(NEXT) | instid1(VALU_DEP_3)
	v_fma_f32 v60, v138, v94, -v60
	v_dual_add_f32 v55, v55, v160 :: v_dual_add_f32 v56, v56, v59
	v_mul_f32_e32 v59, v143, v99
	s_delay_alu instid0(VALU_DEP_4) | instskip(NEXT) | instid1(VALU_DEP_3)
	v_fma_f32 v58, v140, v96, -v58
	v_dual_add_f32 v55, v55, v161 :: v_dual_add_f32 v56, v56, v60
	v_mul_f32_e32 v60, v145, v101
	s_delay_alu instid0(VALU_DEP_4) | instskip(NEXT) | instid1(VALU_DEP_3)
	v_fma_f32 v59, v142, v98, -v59
	v_add_f32_e32 v55, v55, v162
	s_delay_alu instid0(VALU_DEP_4) | instskip(NEXT) | instid1(VALU_DEP_4)
	v_add_f32_e32 v56, v56, v58
	v_fma_f32 v58, v144, v100, -v60
	s_delay_alu instid0(VALU_DEP_3) | instskip(NEXT) | instid1(VALU_DEP_1)
	v_add_f32_e32 v55, v55, v163
	v_dual_add_f32 v56, v56, v59 :: v_dual_add_f32 v55, v55, v164
	s_delay_alu instid0(VALU_DEP_1) | instskip(SKIP_1) | instid1(VALU_DEP_3)
	v_add_f32_e32 v56, v56, v58
	v_fmac_f32_e32 v166, v143, v98
	v_add_f32_e32 v55, v55, v165
	s_delay_alu instid0(VALU_DEP_1) | instskip(SKIP_1) | instid1(VALU_DEP_1)
	v_add_f32_e32 v55, v55, v166
	s_wait_loadcnt 0x0
	v_dual_add_f32 v58, v55, v167 :: v_dual_sub_f32 v55, v146, v56
	s_delay_alu instid0(VALU_DEP_1)
	v_sub_f32_e32 v56, v147, v58
	scratch_store_b64 off, v[55:56], off offset:32
	v_cmpx_lt_u32_e32 3, v0
	s_cbranch_execz .LBB26_169
; %bb.168:
	scratch_load_b64 v[55:56], off, off offset:24
	v_mov_b32_e32 v58, 0
	s_delay_alu instid0(VALU_DEP_1)
	v_mov_b32_e32 v59, v58
	scratch_store_b64 off, v[58:59], off offset:24
	s_wait_loadcnt 0x0
	ds_store_b64 v57, v[55:56]
.LBB26_169:
	s_wait_alu 0xfffe
	s_or_b32 exec_lo, exec_lo, s0
	s_wait_storecnt_dscnt 0x0
	s_barrier_signal -1
	s_barrier_wait -1
	global_inv scope:SCOPE_SE
	s_clause 0xc
	scratch_load_b128 v[58:61], off, off offset:32
	scratch_load_b128 v[62:65], off, off offset:48
	;; [unrolled: 1-line block ×11, first 2 shown]
	scratch_load_b64 v[146:147], off, off offset:208
	scratch_load_b64 v[148:149], off, off offset:24
	v_mov_b32_e32 v55, 0
	ds_load_b128 v[102:105], v55 offset:256
	ds_load_b128 v[106:109], v55 offset:272
	;; [unrolled: 1-line block ×11, first 2 shown]
	ds_load_b64 v[150:151], v55 offset:432
	s_mov_b32 s0, exec_lo
	s_wait_loadcnt_dscnt 0xc0b
	v_mul_f32_e32 v56, v102, v59
	s_wait_loadcnt_dscnt 0xb0a
	v_dual_mul_f32 v152, v104, v61 :: v_dual_mul_f32 v153, v106, v63
	v_mul_f32_e32 v61, v105, v61
	s_wait_loadcnt_dscnt 0xa09
	v_dual_mul_f32 v154, v108, v65 :: v_dual_mul_f32 v155, v110, v67
	v_mul_f32_e32 v59, v103, v59
	v_fmac_f32_e32 v56, v103, v58
	s_wait_loadcnt_dscnt 0x807
	v_dual_mul_f32 v158, v116, v73 :: v_dual_mul_f32 v159, v118, v75
	s_wait_loadcnt_dscnt 0x100
	v_dual_mul_f32 v170, v140, v97 :: v_dual_mul_f32 v173, v150, v147
	v_fma_f32 v59, v102, v58, -v59
	v_mul_f32_e32 v58, v107, v63
	v_fmac_f32_e32 v152, v105, v60
	v_fma_f32 v60, v104, v60, -v61
	v_dual_add_f32 v56, 0, v56 :: v_dual_mul_f32 v61, v109, v65
	v_add_f32_e32 v59, 0, v59
	v_fmac_f32_e32 v153, v107, v62
	v_fma_f32 v58, v106, v62, -v58
	s_delay_alu instid0(VALU_DEP_4)
	v_add_f32_e32 v56, v56, v152
	v_fma_f32 v61, v108, v64, -v61
	v_add_f32_e32 v59, v59, v60
	v_mul_f32_e32 v60, v111, v67
	v_dual_mul_f32 v160, v120, v77 :: v_dual_mul_f32 v161, v122, v79
	v_add_f32_e32 v56, v56, v153
	s_delay_alu instid0(VALU_DEP_4) | instskip(NEXT) | instid1(VALU_DEP_4)
	v_dual_add_f32 v58, v59, v58 :: v_dual_mul_f32 v59, v113, v69
	v_fma_f32 v60, v110, v66, -v60
	v_dual_mul_f32 v162, v124, v81 :: v_dual_mul_f32 v163, v126, v83
	s_delay_alu instid0(VALU_DEP_3) | instskip(NEXT) | instid1(VALU_DEP_4)
	v_dual_add_f32 v58, v58, v61 :: v_dual_mul_f32 v61, v115, v71
	v_fma_f32 v59, v112, v68, -v59
	v_dual_fmac_f32 v154, v109, v64 :: v_dual_fmac_f32 v155, v111, v66
	s_delay_alu instid0(VALU_DEP_3) | instskip(SKIP_2) | instid1(VALU_DEP_3)
	v_dual_add_f32 v58, v58, v60 :: v_dual_fmac_f32 v159, v119, v74
	v_dual_mul_f32 v60, v117, v73 :: v_dual_fmac_f32 v161, v123, v78
	v_fma_f32 v61, v114, v70, -v61
	v_dual_add_f32 v58, v58, v59 :: v_dual_fmac_f32 v163, v127, v82
	v_dual_mul_f32 v164, v128, v85 :: v_dual_mul_f32 v165, v130, v87
	v_dual_add_f32 v56, v56, v154 :: v_dual_mul_f32 v59, v119, v75
	v_fma_f32 v60, v116, v72, -v60
	s_delay_alu instid0(VALU_DEP_3) | instskip(SKIP_1) | instid1(VALU_DEP_4)
	v_dual_add_f32 v58, v58, v61 :: v_dual_fmac_f32 v165, v131, v86
	v_mul_f32_e32 v61, v121, v77
	v_fma_f32 v59, v118, v74, -v59
	v_dual_mul_f32 v156, v112, v69 :: v_dual_mul_f32 v157, v114, v71
	s_delay_alu instid0(VALU_DEP_4) | instskip(SKIP_3) | instid1(VALU_DEP_4)
	v_add_f32_e32 v58, v58, v60
	v_dual_mul_f32 v168, v136, v93 :: v_dual_mul_f32 v169, v138, v95
	v_mul_f32_e32 v60, v123, v79
	v_fma_f32 v61, v120, v76, -v61
	v_add_f32_e32 v58, v58, v59
	v_dual_fmac_f32 v156, v113, v68 :: v_dual_fmac_f32 v157, v115, v70
	v_dual_add_f32 v56, v56, v155 :: v_dual_mul_f32 v59, v125, v81
	v_fma_f32 v60, v122, v78, -v60
	s_delay_alu instid0(VALU_DEP_4) | instskip(NEXT) | instid1(VALU_DEP_3)
	v_dual_fmac_f32 v169, v139, v94 :: v_dual_add_f32 v58, v58, v61
	v_dual_add_f32 v56, v56, v156 :: v_dual_mul_f32 v61, v127, v83
	s_delay_alu instid0(VALU_DEP_4) | instskip(SKIP_1) | instid1(VALU_DEP_4)
	v_fma_f32 v59, v124, v80, -v59
	v_dual_mul_f32 v166, v132, v89 :: v_dual_mul_f32 v167, v134, v91
	v_add_f32_e32 v58, v58, v60
	v_mul_f32_e32 v60, v129, v85
	v_fma_f32 v61, v126, v82, -v61
	v_fmac_f32_e32 v158, v117, v72
	v_dual_add_f32 v56, v56, v157 :: v_dual_fmac_f32 v167, v135, v90
	v_add_f32_e32 v58, v58, v59
	v_mul_f32_e32 v59, v131, v87
	v_fma_f32 v60, v128, v84, -v60
	s_delay_alu instid0(VALU_DEP_4)
	v_dual_add_f32 v56, v56, v158 :: v_dual_mul_f32 v171, v142, v99
	v_mul_f32_e32 v172, v144, v101
	v_add_f32_e32 v58, v58, v61
	v_mul_f32_e32 v61, v133, v89
	v_fma_f32 v59, v130, v86, -v59
	v_dual_fmac_f32 v160, v121, v76 :: v_dual_fmac_f32 v171, v143, v98
	s_delay_alu instid0(VALU_DEP_4) | instskip(NEXT) | instid1(VALU_DEP_4)
	v_add_f32_e32 v58, v58, v60
	v_fma_f32 v61, v132, v88, -v61
	v_dual_fmac_f32 v162, v125, v80 :: v_dual_fmac_f32 v173, v151, v146
	v_fmac_f32_e32 v164, v129, v84
	s_delay_alu instid0(VALU_DEP_4) | instskip(SKIP_3) | instid1(VALU_DEP_4)
	v_dual_add_f32 v58, v58, v59 :: v_dual_mul_f32 v59, v137, v93
	v_add_f32_e32 v56, v56, v159
	v_mul_f32_e32 v60, v135, v91
	v_fmac_f32_e32 v166, v133, v88
	v_dual_add_f32 v58, v58, v61 :: v_dual_mul_f32 v61, v139, v95
	s_delay_alu instid0(VALU_DEP_4) | instskip(NEXT) | instid1(VALU_DEP_4)
	v_add_f32_e32 v56, v56, v160
	v_fma_f32 v60, v134, v90, -v60
	v_fmac_f32_e32 v168, v137, v92
	v_fma_f32 v59, v136, v92, -v59
	v_fma_f32 v61, v138, v94, -v61
	v_add_f32_e32 v56, v56, v161
	v_add_f32_e32 v58, v58, v60
	v_mul_f32_e32 v60, v141, v97
	v_fmac_f32_e32 v170, v141, v96
	v_fmac_f32_e32 v172, v145, v100
	v_add_f32_e32 v56, v56, v162
	v_add_f32_e32 v58, v58, v59
	v_mul_f32_e32 v59, v143, v99
	v_fma_f32 v60, v140, v96, -v60
	s_delay_alu instid0(VALU_DEP_4) | instskip(NEXT) | instid1(VALU_DEP_4)
	v_add_f32_e32 v56, v56, v163
	v_add_f32_e32 v58, v58, v61
	v_mul_f32_e32 v61, v145, v101
	v_fma_f32 v59, v142, v98, -v59
	s_delay_alu instid0(VALU_DEP_4) | instskip(NEXT) | instid1(VALU_DEP_4)
	;; [unrolled: 5-line block ×3, first 2 shown]
	v_add_f32_e32 v56, v56, v165
	v_add_f32_e32 v58, v58, v59
	s_delay_alu instid0(VALU_DEP_4) | instskip(NEXT) | instid1(VALU_DEP_3)
	v_fma_f32 v59, v150, v146, -v60
	v_add_f32_e32 v56, v56, v166
	s_delay_alu instid0(VALU_DEP_3) | instskip(NEXT) | instid1(VALU_DEP_2)
	v_add_f32_e32 v58, v58, v61
	v_add_f32_e32 v56, v56, v167
	s_delay_alu instid0(VALU_DEP_2) | instskip(NEXT) | instid1(VALU_DEP_2)
	v_add_f32_e32 v58, v58, v59
	v_add_f32_e32 v56, v56, v168
	s_wait_loadcnt 0x0
	s_delay_alu instid0(VALU_DEP_2) | instskip(NEXT) | instid1(VALU_DEP_2)
	v_sub_f32_e32 v58, v148, v58
	v_add_f32_e32 v56, v56, v169
	s_delay_alu instid0(VALU_DEP_1) | instskip(NEXT) | instid1(VALU_DEP_1)
	v_add_f32_e32 v56, v56, v170
	v_add_f32_e32 v56, v56, v171
	s_delay_alu instid0(VALU_DEP_1) | instskip(NEXT) | instid1(VALU_DEP_1)
	v_add_f32_e32 v56, v56, v172
	v_add_f32_e32 v56, v56, v173
	s_delay_alu instid0(VALU_DEP_1)
	v_sub_f32_e32 v59, v149, v56
	scratch_store_b64 off, v[58:59], off offset:24
	v_cmpx_lt_u32_e32 2, v0
	s_cbranch_execz .LBB26_171
; %bb.170:
	scratch_load_b64 v[58:59], off, off offset:16
	v_mov_b32_e32 v56, v55
	scratch_store_b64 off, v[55:56], off offset:16
	s_wait_loadcnt 0x0
	ds_store_b64 v57, v[58:59]
.LBB26_171:
	s_wait_alu 0xfffe
	s_or_b32 exec_lo, exec_lo, s0
	s_wait_storecnt_dscnt 0x0
	s_barrier_signal -1
	s_barrier_wait -1
	global_inv scope:SCOPE_SE
	s_clause 0xc
	scratch_load_b128 v[58:61], off, off offset:24
	scratch_load_b128 v[62:65], off, off offset:40
	;; [unrolled: 1-line block ×12, first 2 shown]
	scratch_load_b64 v[154:155], off, off offset:16
	ds_load_2addr_b64 v[106:109], v55 offset0:31 offset1:32
	ds_load_2addr_b64 v[110:113], v55 offset0:33 offset1:34
	;; [unrolled: 1-line block ×12, first 2 shown]
	s_mov_b32 s0, exec_lo
	s_wait_loadcnt_dscnt 0xc0b
	v_dual_mul_f32 v55, v106, v59 :: v_dual_mul_f32 v56, v108, v61
	v_mul_f32_e32 v59, v107, v59
	s_wait_loadcnt_dscnt 0xb0a
	v_dual_mul_f32 v61, v109, v61 :: v_dual_mul_f32 v156, v110, v63
	s_delay_alu instid0(VALU_DEP_3) | instskip(NEXT) | instid1(VALU_DEP_3)
	v_dual_mul_f32 v157, v112, v65 :: v_dual_fmac_f32 v56, v109, v60
	v_fma_f32 v59, v106, v58, -v59
	v_fmac_f32_e32 v55, v107, v58
	v_mul_f32_e32 v58, v111, v63
	v_fma_f32 v60, v108, v60, -v61
	v_mul_f32_e32 v61, v113, v65
	v_dual_add_f32 v59, 0, v59 :: v_dual_fmac_f32 v156, v111, v62
	s_delay_alu instid0(VALU_DEP_4) | instskip(SKIP_2) | instid1(VALU_DEP_3)
	v_fma_f32 v58, v110, v62, -v58
	s_wait_loadcnt_dscnt 0xa09
	v_dual_mul_f32 v158, v114, v67 :: v_dual_mul_f32 v159, v116, v69
	v_add_f32_e32 v59, v59, v60
	v_fmac_f32_e32 v157, v113, v64
	v_fma_f32 v60, v112, v64, -v61
	s_wait_loadcnt_dscnt 0x908
	v_dual_mul_f32 v160, v118, v71 :: v_dual_mul_f32 v161, v120, v73
	v_dual_add_f32 v58, v59, v58 :: v_dual_mul_f32 v59, v117, v69
	v_fmac_f32_e32 v158, v115, v66
	s_wait_loadcnt_dscnt 0x807
	v_dual_mul_f32 v162, v122, v75 :: v_dual_mul_f32 v163, v124, v77
	s_delay_alu instid0(VALU_DEP_3) | instskip(SKIP_3) | instid1(VALU_DEP_4)
	v_dual_add_f32 v58, v58, v60 :: v_dual_add_f32 v55, 0, v55
	v_mul_f32_e32 v60, v119, v71
	v_fma_f32 v59, v116, v68, -v59
	v_dual_fmac_f32 v159, v117, v68 :: v_dual_fmac_f32 v160, v119, v70
	v_add_f32_e32 v55, v55, v56
	v_mul_f32_e32 v56, v115, v67
	v_fma_f32 v60, v118, v70, -v60
	v_dual_fmac_f32 v161, v121, v72 :: v_dual_fmac_f32 v162, v123, v74
	s_wait_loadcnt_dscnt 0x706
	v_dual_mul_f32 v164, v126, v79 :: v_dual_mul_f32 v165, v128, v81
	v_fma_f32 v56, v114, v66, -v56
	s_wait_loadcnt_dscnt 0x605
	v_dual_mul_f32 v166, v130, v83 :: v_dual_mul_f32 v167, v132, v85
	s_wait_loadcnt_dscnt 0x504
	v_dual_mul_f32 v168, v134, v87 :: v_dual_mul_f32 v169, v136, v89
	v_add_f32_e32 v56, v58, v56
	v_mul_f32_e32 v58, v121, v73
	v_dual_fmac_f32 v166, v131, v82 :: v_dual_fmac_f32 v167, v133, v84
	s_delay_alu instid0(VALU_DEP_4) | instskip(NEXT) | instid1(VALU_DEP_4)
	v_dual_fmac_f32 v168, v135, v86 :: v_dual_fmac_f32 v169, v137, v88
	v_dual_add_f32 v56, v56, v59 :: v_dual_add_f32 v55, v55, v156
	v_mul_f32_e32 v59, v123, v75
	v_fma_f32 v58, v120, v72, -v58
	v_fmac_f32_e32 v163, v125, v76
	s_delay_alu instid0(VALU_DEP_4)
	v_add_f32_e32 v56, v56, v60
	v_mul_f32_e32 v60, v125, v77
	v_add_f32_e32 v55, v55, v157
	v_fma_f32 v59, v122, v74, -v59
	v_fmac_f32_e32 v164, v127, v78
	v_add_f32_e32 v56, v56, v58
	v_mul_f32_e32 v58, v127, v79
	v_add_f32_e32 v55, v55, v158
	v_fma_f32 v60, v124, v76, -v60
	s_delay_alu instid0(VALU_DEP_4) | instskip(SKIP_1) | instid1(VALU_DEP_4)
	v_dual_fmac_f32 v165, v129, v80 :: v_dual_add_f32 v56, v56, v59
	v_mul_f32_e32 v59, v129, v81
	v_add_f32_e32 v55, v55, v159
	v_fma_f32 v58, v126, v78, -v58
	s_wait_loadcnt_dscnt 0x403
	v_dual_mul_f32 v170, v138, v91 :: v_dual_mul_f32 v171, v140, v93
	v_add_f32_e32 v56, v56, v60
	v_add_f32_e32 v55, v55, v160
	v_fma_f32 v59, v128, v80, -v59
	v_mul_f32_e32 v60, v131, v83
	s_wait_loadcnt_dscnt 0x302
	v_dual_mul_f32 v172, v142, v95 :: v_dual_mul_f32 v173, v144, v97
	v_dual_add_f32 v56, v56, v58 :: v_dual_add_f32 v55, v55, v161
	v_mul_f32_e32 v58, v133, v85
	v_fma_f32 v60, v130, v82, -v60
	v_dual_fmac_f32 v170, v139, v90 :: v_dual_fmac_f32 v171, v141, v92
	s_delay_alu instid0(VALU_DEP_4)
	v_dual_add_f32 v56, v56, v59 :: v_dual_add_f32 v55, v55, v162
	v_mul_f32_e32 v59, v135, v87
	v_fma_f32 v58, v132, v84, -v58
	s_wait_loadcnt_dscnt 0x201
	v_dual_mul_f32 v174, v146, v99 :: v_dual_mul_f32 v175, v148, v101
	v_dual_add_f32 v55, v55, v163 :: v_dual_add_f32 v56, v56, v60
	v_mul_f32_e32 v60, v137, v89
	v_fma_f32 v59, v134, v86, -v59
	s_delay_alu instid0(VALU_DEP_4) | instskip(NEXT) | instid1(VALU_DEP_4)
	v_dual_fmac_f32 v172, v143, v94 :: v_dual_fmac_f32 v175, v149, v100
	v_dual_add_f32 v55, v55, v164 :: v_dual_add_f32 v56, v56, v58
	v_mul_f32_e32 v58, v139, v91
	v_fma_f32 v60, v136, v88, -v60
	v_fmac_f32_e32 v173, v145, v96
	s_delay_alu instid0(VALU_DEP_4)
	v_dual_add_f32 v55, v55, v165 :: v_dual_add_f32 v56, v56, v59
	v_mul_f32_e32 v59, v141, v93
	v_fma_f32 v58, v138, v90, -v58
	s_wait_loadcnt_dscnt 0x100
	v_dual_mul_f32 v176, v150, v103 :: v_dual_mul_f32 v177, v152, v105
	v_dual_add_f32 v55, v55, v166 :: v_dual_add_f32 v56, v56, v60
	v_mul_f32_e32 v60, v143, v95
	v_fma_f32 v59, v140, v92, -v59
	v_fmac_f32_e32 v174, v147, v98
	s_delay_alu instid0(VALU_DEP_4) | instskip(SKIP_3) | instid1(VALU_DEP_4)
	v_dual_add_f32 v55, v55, v167 :: v_dual_add_f32 v56, v56, v58
	v_mul_f32_e32 v58, v145, v97
	v_fma_f32 v60, v142, v94, -v60
	v_fmac_f32_e32 v177, v153, v104
	v_dual_add_f32 v55, v55, v168 :: v_dual_add_f32 v56, v56, v59
	v_mul_f32_e32 v59, v147, v99
	v_fma_f32 v58, v144, v96, -v58
	s_delay_alu instid0(VALU_DEP_3) | instskip(SKIP_1) | instid1(VALU_DEP_4)
	v_dual_add_f32 v55, v55, v169 :: v_dual_add_f32 v56, v56, v60
	v_mul_f32_e32 v60, v149, v101
	v_fma_f32 v59, v146, v98, -v59
	s_delay_alu instid0(VALU_DEP_3) | instskip(NEXT) | instid1(VALU_DEP_4)
	v_add_f32_e32 v55, v55, v170
	v_add_f32_e32 v56, v56, v58
	v_mul_f32_e32 v58, v151, v103
	v_fma_f32 v60, v148, v100, -v60
	s_delay_alu instid0(VALU_DEP_4) | instskip(NEXT) | instid1(VALU_DEP_4)
	v_add_f32_e32 v55, v55, v171
	v_dual_add_f32 v56, v56, v59 :: v_dual_mul_f32 v59, v153, v105
	s_delay_alu instid0(VALU_DEP_4) | instskip(NEXT) | instid1(VALU_DEP_3)
	v_fma_f32 v58, v150, v102, -v58
	v_add_f32_e32 v55, v55, v172
	s_delay_alu instid0(VALU_DEP_3) | instskip(NEXT) | instid1(VALU_DEP_4)
	v_add_f32_e32 v56, v56, v60
	v_fma_f32 v59, v152, v104, -v59
	s_delay_alu instid0(VALU_DEP_2) | instskip(NEXT) | instid1(VALU_DEP_1)
	v_dual_add_f32 v55, v55, v173 :: v_dual_add_f32 v56, v56, v58
	v_dual_add_f32 v55, v55, v174 :: v_dual_add_f32 v56, v56, v59
	v_fmac_f32_e32 v176, v151, v102
	s_delay_alu instid0(VALU_DEP_2) | instskip(NEXT) | instid1(VALU_DEP_1)
	v_add_f32_e32 v55, v55, v175
	v_add_f32_e32 v55, v55, v176
	s_wait_loadcnt 0x0
	s_delay_alu instid0(VALU_DEP_1) | instskip(NEXT) | instid1(VALU_DEP_1)
	v_dual_add_f32 v58, v55, v177 :: v_dual_sub_f32 v55, v154, v56
	v_sub_f32_e32 v56, v155, v58
	scratch_store_b64 off, v[55:56], off offset:16
	v_cmpx_lt_u32_e32 1, v0
	s_cbranch_execz .LBB26_173
; %bb.172:
	scratch_load_b64 v[55:56], off, off offset:8
	v_mov_b32_e32 v58, 0
	s_delay_alu instid0(VALU_DEP_1)
	v_mov_b32_e32 v59, v58
	scratch_store_b64 off, v[58:59], off offset:8
	s_wait_loadcnt 0x0
	ds_store_b64 v57, v[55:56]
.LBB26_173:
	s_wait_alu 0xfffe
	s_or_b32 exec_lo, exec_lo, s0
	s_wait_storecnt_dscnt 0x0
	s_barrier_signal -1
	s_barrier_wait -1
	global_inv scope:SCOPE_SE
	s_clause 0xd
	scratch_load_b128 v[58:61], off, off offset:16
	scratch_load_b128 v[62:65], off, off offset:32
	;; [unrolled: 1-line block ×12, first 2 shown]
	scratch_load_b64 v[154:155], off, off offset:208
	scratch_load_b64 v[156:157], off, off offset:8
	v_mov_b32_e32 v55, 0
	ds_load_b128 v[106:109], v55 offset:240
	ds_load_b128 v[110:113], v55 offset:256
	;; [unrolled: 1-line block ×12, first 2 shown]
	ds_load_b64 v[158:159], v55 offset:432
	s_mov_b32 s0, exec_lo
	s_wait_loadcnt_dscnt 0xd0c
	v_mul_f32_e32 v56, v106, v59
	s_wait_loadcnt_dscnt 0xc0b
	v_dual_mul_f32 v160, v108, v61 :: v_dual_mul_f32 v161, v110, v63
	v_mul_f32_e32 v61, v109, v61
	s_wait_loadcnt_dscnt 0xb0a
	v_dual_mul_f32 v162, v112, v65 :: v_dual_mul_f32 v163, v114, v67
	s_wait_loadcnt_dscnt 0xa09
	v_dual_mul_f32 v59, v107, v59 :: v_dual_mul_f32 v166, v120, v73
	s_wait_loadcnt_dscnt 0x908
	v_dual_mul_f32 v167, v122, v75 :: v_dual_fmac_f32 v56, v107, v58
	s_wait_loadcnt_dscnt 0x302
	v_mul_f32_e32 v180, v148, v101
	v_fma_f32 v59, v106, v58, -v59
	s_wait_loadcnt_dscnt 0x100
	v_mul_f32_e32 v183, v158, v155
	v_mul_f32_e32 v58, v111, v63
	v_fmac_f32_e32 v160, v109, v60
	v_fma_f32 v60, v108, v60, -v61
	v_dual_add_f32 v59, 0, v59 :: v_dual_add_f32 v56, 0, v56
	v_mul_f32_e32 v61, v113, v65
	v_fmac_f32_e32 v161, v111, v62
	v_fma_f32 v58, v110, v62, -v58
	v_dual_mul_f32 v168, v124, v77 :: v_dual_mul_f32 v169, v126, v79
	v_add_f32_e32 v56, v56, v160
	v_add_f32_e32 v59, v59, v60
	v_mul_f32_e32 v60, v115, v67
	v_fma_f32 v61, v112, v64, -v61
	v_dual_mul_f32 v170, v128, v81 :: v_dual_mul_f32 v171, v130, v83
	v_add_f32_e32 v56, v56, v161
	v_dual_add_f32 v58, v59, v58 :: v_dual_mul_f32 v59, v117, v69
	v_fma_f32 v60, v114, v66, -v60
	v_dual_fmac_f32 v162, v113, v64 :: v_dual_fmac_f32 v163, v115, v66
	s_delay_alu instid0(VALU_DEP_3) | instskip(NEXT) | instid1(VALU_DEP_4)
	v_dual_add_f32 v58, v58, v61 :: v_dual_mul_f32 v61, v119, v71
	v_fma_f32 v59, v116, v68, -v59
	v_dual_fmac_f32 v167, v123, v74 :: v_dual_mul_f32 v172, v132, v85
	v_mul_f32_e32 v173, v134, v87
	s_delay_alu instid0(VALU_DEP_4) | instskip(SKIP_3) | instid1(VALU_DEP_4)
	v_add_f32_e32 v58, v58, v60
	v_dual_mul_f32 v60, v121, v73 :: v_dual_fmac_f32 v169, v127, v78
	v_fma_f32 v61, v118, v70, -v61
	v_add_f32_e32 v56, v56, v162
	v_dual_add_f32 v58, v58, v59 :: v_dual_fmac_f32 v171, v131, v82
	v_mul_f32_e32 v59, v123, v75
	v_fma_f32 v60, v120, v72, -v60
	s_delay_alu instid0(VALU_DEP_3) | instskip(SKIP_1) | instid1(VALU_DEP_4)
	v_dual_fmac_f32 v173, v135, v86 :: v_dual_add_f32 v58, v58, v61
	v_mul_f32_e32 v61, v125, v77
	v_fma_f32 v59, v122, v74, -v59
	v_dual_mul_f32 v164, v116, v69 :: v_dual_mul_f32 v165, v118, v71
	s_delay_alu instid0(VALU_DEP_4) | instskip(SKIP_3) | instid1(VALU_DEP_4)
	v_add_f32_e32 v58, v58, v60
	v_dual_mul_f32 v176, v140, v93 :: v_dual_mul_f32 v177, v142, v95
	v_mul_f32_e32 v60, v127, v79
	v_fma_f32 v61, v124, v76, -v61
	v_add_f32_e32 v58, v58, v59
	v_dual_fmac_f32 v164, v117, v68 :: v_dual_fmac_f32 v165, v119, v70
	v_dual_add_f32 v56, v56, v163 :: v_dual_mul_f32 v59, v129, v81
	v_fma_f32 v60, v126, v78, -v60
	s_delay_alu instid0(VALU_DEP_4) | instskip(NEXT) | instid1(VALU_DEP_3)
	v_dual_fmac_f32 v177, v143, v94 :: v_dual_add_f32 v58, v58, v61
	v_dual_add_f32 v56, v56, v164 :: v_dual_mul_f32 v61, v131, v83
	s_delay_alu instid0(VALU_DEP_4) | instskip(SKIP_1) | instid1(VALU_DEP_4)
	v_fma_f32 v59, v128, v80, -v59
	v_fmac_f32_e32 v166, v121, v72
	v_add_f32_e32 v58, v58, v60
	v_mul_f32_e32 v60, v133, v85
	v_fma_f32 v61, v130, v82, -v61
	v_dual_mul_f32 v174, v136, v89 :: v_dual_mul_f32 v175, v138, v91
	s_delay_alu instid0(VALU_DEP_4) | instskip(SKIP_2) | instid1(VALU_DEP_4)
	v_add_f32_e32 v58, v58, v59
	v_mul_f32_e32 v59, v135, v87
	v_fma_f32 v60, v132, v84, -v60
	v_dual_add_f32 v56, v56, v165 :: v_dual_fmac_f32 v175, v139, v90
	s_delay_alu instid0(VALU_DEP_4) | instskip(SKIP_2) | instid1(VALU_DEP_4)
	v_add_f32_e32 v58, v58, v61
	v_mul_f32_e32 v61, v137, v89
	v_fma_f32 v59, v134, v86, -v59
	v_add_f32_e32 v56, v56, v166
	v_fmac_f32_e32 v168, v125, v76
	v_add_f32_e32 v58, v58, v60
	v_mul_f32_e32 v60, v139, v91
	v_fma_f32 v61, v136, v88, -v61
	v_dual_mul_f32 v178, v144, v97 :: v_dual_mul_f32 v179, v146, v99
	s_delay_alu instid0(VALU_DEP_4) | instskip(NEXT) | instid1(VALU_DEP_4)
	v_dual_add_f32 v58, v58, v59 :: v_dual_mul_f32 v59, v141, v93
	v_fma_f32 v60, v138, v90, -v60
	s_delay_alu instid0(VALU_DEP_3) | instskip(NEXT) | instid1(VALU_DEP_3)
	v_dual_add_f32 v56, v56, v167 :: v_dual_fmac_f32 v179, v147, v98
	v_dual_add_f32 v58, v58, v61 :: v_dual_mul_f32 v61, v143, v95
	s_delay_alu instid0(VALU_DEP_4) | instskip(NEXT) | instid1(VALU_DEP_3)
	v_fma_f32 v59, v140, v92, -v59
	v_dual_add_f32 v56, v56, v168 :: v_dual_mul_f32 v181, v150, v103
	v_mul_f32_e32 v182, v152, v105
	s_delay_alu instid0(VALU_DEP_4) | instskip(SKIP_3) | instid1(VALU_DEP_4)
	v_add_f32_e32 v58, v58, v60
	v_mul_f32_e32 v60, v145, v97
	v_fma_f32 v61, v142, v94, -v61
	v_dual_fmac_f32 v170, v129, v80 :: v_dual_fmac_f32 v181, v151, v102
	v_add_f32_e32 v58, v58, v59
	v_mul_f32_e32 v59, v147, v99
	v_fma_f32 v60, v144, v96, -v60
	v_fmac_f32_e32 v172, v133, v84
	v_fmac_f32_e32 v174, v137, v88
	v_add_f32_e32 v58, v58, v61
	v_fma_f32 v59, v146, v98, -v59
	v_dual_fmac_f32 v183, v159, v154 :: v_dual_fmac_f32 v176, v141, v92
	v_fmac_f32_e32 v178, v145, v96
	s_delay_alu instid0(VALU_DEP_4) | instskip(SKIP_3) | instid1(VALU_DEP_4)
	v_dual_add_f32 v58, v58, v60 :: v_dual_mul_f32 v61, v149, v101
	v_mul_f32_e32 v60, v151, v103
	v_fmac_f32_e32 v180, v149, v100
	v_fmac_f32_e32 v182, v153, v104
	v_dual_add_f32 v58, v58, v59 :: v_dual_mul_f32 v59, v153, v105
	v_add_f32_e32 v56, v56, v169
	v_fma_f32 v61, v148, v100, -v61
	v_fma_f32 v60, v150, v102, -v60
	s_delay_alu instid0(VALU_DEP_4) | instskip(NEXT) | instid1(VALU_DEP_4)
	v_fma_f32 v59, v152, v104, -v59
	v_add_f32_e32 v56, v56, v170
	s_delay_alu instid0(VALU_DEP_4) | instskip(NEXT) | instid1(VALU_DEP_2)
	v_dual_add_f32 v58, v58, v61 :: v_dual_mul_f32 v61, v159, v155
	v_add_f32_e32 v56, v56, v171
	s_delay_alu instid0(VALU_DEP_2) | instskip(NEXT) | instid1(VALU_DEP_3)
	v_add_f32_e32 v58, v58, v60
	v_fma_f32 v60, v158, v154, -v61
	s_delay_alu instid0(VALU_DEP_3) | instskip(NEXT) | instid1(VALU_DEP_3)
	v_add_f32_e32 v56, v56, v172
	v_add_f32_e32 v58, v58, v59
	s_delay_alu instid0(VALU_DEP_2) | instskip(NEXT) | instid1(VALU_DEP_2)
	v_add_f32_e32 v56, v56, v173
	v_add_f32_e32 v58, v58, v60
	s_delay_alu instid0(VALU_DEP_2) | instskip(SKIP_1) | instid1(VALU_DEP_2)
	v_add_f32_e32 v56, v56, v174
	s_wait_loadcnt 0x0
	v_sub_f32_e32 v58, v156, v58
	s_delay_alu instid0(VALU_DEP_2) | instskip(NEXT) | instid1(VALU_DEP_1)
	v_add_f32_e32 v56, v56, v175
	v_add_f32_e32 v56, v56, v176
	s_delay_alu instid0(VALU_DEP_1) | instskip(NEXT) | instid1(VALU_DEP_1)
	v_add_f32_e32 v56, v56, v177
	v_add_f32_e32 v56, v56, v178
	s_delay_alu instid0(VALU_DEP_1) | instskip(NEXT) | instid1(VALU_DEP_1)
	;; [unrolled: 3-line block ×4, first 2 shown]
	v_add_f32_e32 v56, v56, v183
	v_sub_f32_e32 v59, v157, v56
	scratch_store_b64 off, v[58:59], off offset:8
	v_cmpx_ne_u32_e32 0, v0
	s_cbranch_execz .LBB26_175
; %bb.174:
	scratch_load_b64 v[58:59], off, off
	v_mov_b32_e32 v56, v55
	scratch_store_b64 off, v[55:56], off
	s_wait_loadcnt 0x0
	ds_store_b64 v57, v[58:59]
.LBB26_175:
	s_wait_alu 0xfffe
	s_or_b32 exec_lo, exec_lo, s0
	s_wait_storecnt_dscnt 0x0
	s_barrier_signal -1
	s_barrier_wait -1
	global_inv scope:SCOPE_SE
	s_clause 0xd
	scratch_load_b128 v[56:59], off, off offset:8
	scratch_load_b128 v[60:63], off, off offset:24
	scratch_load_b128 v[64:67], off, off offset:40
	scratch_load_b128 v[68:71], off, off offset:56
	scratch_load_b128 v[72:75], off, off offset:72
	scratch_load_b128 v[76:79], off, off offset:88
	scratch_load_b128 v[80:83], off, off offset:104
	scratch_load_b128 v[84:87], off, off offset:120
	scratch_load_b128 v[88:91], off, off offset:136
	scratch_load_b128 v[92:95], off, off offset:152
	scratch_load_b128 v[96:99], off, off offset:168
	scratch_load_b128 v[100:103], off, off offset:184
	scratch_load_b128 v[104:107], off, off offset:200
	scratch_load_b64 v[160:161], off, off
	ds_load_2addr_b64 v[108:111], v55 offset0:29 offset1:30
	ds_load_2addr_b64 v[112:115], v55 offset0:31 offset1:32
	;; [unrolled: 1-line block ×13, first 2 shown]
	s_and_b32 vcc_lo, exec_lo, s18
	s_wait_loadcnt_dscnt 0xd0c
	v_dual_mul_f32 v0, v108, v57 :: v_dual_mul_f32 v55, v110, v59
	s_wait_loadcnt_dscnt 0xc0b
	v_dual_mul_f32 v59, v111, v59 :: v_dual_mul_f32 v162, v112, v61
	s_delay_alu instid0(VALU_DEP_2) | instskip(SKIP_2) | instid1(VALU_DEP_4)
	v_dual_mul_f32 v163, v114, v63 :: v_dual_fmac_f32 v0, v109, v56
	v_mul_f32_e32 v57, v109, v57
	v_fmac_f32_e32 v55, v111, v58
	v_fma_f32 v58, v110, v58, -v59
	s_wait_loadcnt_dscnt 0xb0a
	v_dual_mul_f32 v164, v116, v65 :: v_dual_mul_f32 v165, v118, v67
	v_add_f32_e32 v0, 0, v0
	v_fma_f32 v57, v108, v56, -v57
	v_mul_f32_e32 v56, v113, v61
	v_dual_fmac_f32 v162, v113, v60 :: v_dual_fmac_f32 v163, v115, v62
	s_delay_alu instid0(VALU_DEP_3) | instskip(NEXT) | instid1(VALU_DEP_3)
	v_dual_fmac_f32 v164, v117, v64 :: v_dual_add_f32 v57, 0, v57
	v_fma_f32 v56, v112, v60, -v56
	v_dual_add_f32 v0, v0, v55 :: v_dual_mul_f32 v55, v117, v65
	s_wait_loadcnt_dscnt 0xa09
	v_dual_mul_f32 v166, v120, v69 :: v_dual_mul_f32 v167, v122, v71
	v_add_f32_e32 v57, v57, v58
	s_delay_alu instid0(VALU_DEP_3) | instskip(SKIP_1) | instid1(VALU_DEP_3)
	v_dual_mul_f32 v59, v115, v63 :: v_dual_add_f32 v0, v0, v162
	v_fma_f32 v55, v116, v64, -v55
	v_dual_fmac_f32 v165, v119, v66 :: v_dual_add_f32 v56, v57, v56
	s_delay_alu instid0(VALU_DEP_3) | instskip(SKIP_3) | instid1(VALU_DEP_4)
	v_fma_f32 v58, v114, v62, -v59
	v_mul_f32_e32 v57, v119, v67
	v_add_f32_e32 v0, v0, v163
	v_dual_fmac_f32 v166, v121, v68 :: v_dual_fmac_f32 v167, v123, v70
	v_add_f32_e32 v56, v56, v58
	v_mul_f32_e32 v58, v121, v69
	v_fma_f32 v57, v118, v66, -v57
	s_wait_loadcnt_dscnt 0x908
	v_dual_mul_f32 v168, v124, v73 :: v_dual_mul_f32 v169, v126, v75
	v_add_f32_e32 v55, v56, v55
	v_add_f32_e32 v0, v0, v164
	v_mul_f32_e32 v56, v123, v71
	v_fma_f32 v58, v120, v68, -v58
	v_dual_fmac_f32 v168, v125, v72 :: v_dual_fmac_f32 v169, v127, v74
	v_add_f32_e32 v55, v55, v57
	v_add_f32_e32 v0, v0, v165
	v_mul_f32_e32 v57, v125, v73
	v_fma_f32 v56, v122, v70, -v56
	s_wait_loadcnt_dscnt 0x807
	v_dual_mul_f32 v170, v128, v77 :: v_dual_mul_f32 v171, v130, v79
	v_add_f32_e32 v55, v55, v58
	v_add_f32_e32 v0, v0, v166
	v_mul_f32_e32 v58, v127, v75
	v_fma_f32 v57, v124, v72, -v57
	s_wait_loadcnt_dscnt 0x706
	v_dual_mul_f32 v172, v132, v81 :: v_dual_mul_f32 v173, v134, v83
	v_dual_add_f32 v55, v55, v56 :: v_dual_add_f32 v0, v0, v167
	v_mul_f32_e32 v56, v129, v77
	v_fma_f32 v58, v126, v74, -v58
	v_dual_fmac_f32 v170, v129, v76 :: v_dual_fmac_f32 v171, v131, v78
	s_delay_alu instid0(VALU_DEP_4) | instskip(SKIP_3) | instid1(VALU_DEP_4)
	v_dual_add_f32 v55, v55, v57 :: v_dual_add_f32 v0, v0, v168
	v_mul_f32_e32 v57, v131, v79
	v_fma_f32 v56, v128, v76, -v56
	v_fmac_f32_e32 v173, v135, v82
	v_dual_add_f32 v55, v55, v58 :: v_dual_add_f32 v0, v0, v169
	v_mul_f32_e32 v58, v133, v81
	v_fma_f32 v57, v130, v78, -v57
	s_wait_loadcnt_dscnt 0x605
	v_dual_mul_f32 v174, v136, v85 :: v_dual_mul_f32 v175, v138, v87
	v_dual_add_f32 v55, v55, v56 :: v_dual_add_f32 v0, v0, v170
	v_mul_f32_e32 v56, v135, v83
	v_fma_f32 v58, v132, v80, -v58
	s_delay_alu instid0(VALU_DEP_4) | instskip(NEXT) | instid1(VALU_DEP_4)
	v_fmac_f32_e32 v175, v139, v86
	v_dual_add_f32 v55, v55, v57 :: v_dual_fmac_f32 v172, v133, v80
	v_mul_f32_e32 v57, v137, v85
	v_fma_f32 v56, v134, v82, -v56
	s_wait_loadcnt_dscnt 0x504
	v_dual_mul_f32 v176, v140, v89 :: v_dual_mul_f32 v177, v142, v91
	v_dual_add_f32 v55, v55, v58 :: v_dual_add_f32 v0, v0, v171
	v_mul_f32_e32 v58, v139, v87
	v_fma_f32 v57, v136, v84, -v57
	s_wait_loadcnt_dscnt 0x403
	v_dual_mul_f32 v178, v144, v93 :: v_dual_mul_f32 v179, v146, v95
	v_add_f32_e32 v55, v55, v56
	v_add_f32_e32 v0, v0, v172
	v_fmac_f32_e32 v174, v137, v84
	v_fma_f32 v58, v138, v86, -v58
	v_dual_fmac_f32 v176, v141, v88 :: v_dual_fmac_f32 v177, v143, v90
	v_add_f32_e32 v55, v55, v57
	v_mul_f32_e32 v56, v141, v89
	v_dual_add_f32 v0, v0, v173 :: v_dual_mul_f32 v57, v143, v91
	v_fmac_f32_e32 v179, v147, v94
	s_delay_alu instid0(VALU_DEP_4) | instskip(NEXT) | instid1(VALU_DEP_4)
	v_add_f32_e32 v55, v55, v58
	v_fma_f32 v56, v140, v88, -v56
	s_delay_alu instid0(VALU_DEP_4)
	v_add_f32_e32 v0, v0, v174
	v_mul_f32_e32 v58, v145, v93
	v_fma_f32 v57, v142, v90, -v57
	s_wait_loadcnt_dscnt 0x302
	v_dual_mul_f32 v180, v148, v97 :: v_dual_mul_f32 v181, v150, v99
	v_dual_add_f32 v55, v55, v56 :: v_dual_add_f32 v0, v0, v175
	v_mul_f32_e32 v56, v147, v95
	v_fma_f32 v58, v144, v92, -v58
	s_delay_alu instid0(VALU_DEP_4) | instskip(NEXT) | instid1(VALU_DEP_4)
	v_dual_fmac_f32 v178, v145, v92 :: v_dual_fmac_f32 v181, v151, v98
	v_dual_add_f32 v55, v55, v57 :: v_dual_add_f32 v0, v0, v176
	v_mul_f32_e32 v57, v149, v97
	v_fma_f32 v56, v146, v94, -v56
	s_wait_loadcnt_dscnt 0x201
	v_dual_mul_f32 v182, v152, v101 :: v_dual_mul_f32 v183, v154, v103
	v_dual_add_f32 v55, v55, v58 :: v_dual_add_f32 v0, v0, v177
	v_mul_f32_e32 v58, v151, v99
	v_fma_f32 v57, v148, v96, -v57
	v_fmac_f32_e32 v180, v149, v96
	s_delay_alu instid0(VALU_DEP_4) | instskip(SKIP_2) | instid1(VALU_DEP_3)
	v_dual_add_f32 v55, v55, v56 :: v_dual_add_f32 v0, v0, v178
	v_dual_mul_f32 v56, v153, v101 :: v_dual_fmac_f32 v183, v155, v102
	v_fma_f32 v58, v150, v98, -v58
	v_dual_add_f32 v55, v55, v57 :: v_dual_add_f32 v0, v0, v179
	v_mul_f32_e32 v57, v155, v103
	s_delay_alu instid0(VALU_DEP_4) | instskip(SKIP_4) | instid1(VALU_DEP_3)
	v_fma_f32 v56, v152, v100, -v56
	s_wait_loadcnt_dscnt 0x100
	v_dual_mul_f32 v184, v156, v105 :: v_dual_mul_f32 v185, v158, v107
	v_dual_add_f32 v55, v55, v58 :: v_dual_mul_f32 v58, v157, v105
	v_fma_f32 v57, v154, v102, -v57
	v_dual_fmac_f32 v182, v153, v100 :: v_dual_fmac_f32 v185, v159, v106
	s_delay_alu instid0(VALU_DEP_3) | instskip(SKIP_3) | instid1(VALU_DEP_4)
	v_add_f32_e32 v55, v55, v56
	v_add_f32_e32 v0, v0, v180
	v_mul_f32_e32 v56, v159, v107
	v_fma_f32 v58, v156, v104, -v58
	v_add_f32_e32 v55, v55, v57
	s_delay_alu instid0(VALU_DEP_4) | instskip(NEXT) | instid1(VALU_DEP_4)
	v_add_f32_e32 v0, v0, v181
	v_fma_f32 v56, v158, v106, -v56
	s_delay_alu instid0(VALU_DEP_3) | instskip(NEXT) | instid1(VALU_DEP_1)
	v_add_f32_e32 v55, v55, v58
	v_dual_add_f32 v0, v0, v182 :: v_dual_add_f32 v55, v55, v56
	v_fmac_f32_e32 v184, v157, v104
	s_delay_alu instid0(VALU_DEP_2) | instskip(SKIP_1) | instid1(VALU_DEP_3)
	v_add_f32_e32 v0, v0, v183
	s_wait_loadcnt 0x0
	v_sub_f32_e32 v55, v160, v55
	s_delay_alu instid0(VALU_DEP_2) | instskip(NEXT) | instid1(VALU_DEP_1)
	v_add_f32_e32 v0, v0, v184
	v_add_f32_e32 v0, v0, v185
	s_delay_alu instid0(VALU_DEP_1)
	v_sub_f32_e32 v56, v161, v0
	scratch_store_b64 off, v[55:56], off
	s_wait_alu 0xfffe
	s_cbranch_vccz .LBB26_228
; %bb.176:
	v_mov_b32_e32 v0, 0
	global_load_b32 v55, v0, s[2:3] offset:100
	s_wait_loadcnt 0x0
	v_cmp_ne_u32_e32 vcc_lo, 26, v55
	s_cbranch_vccz .LBB26_178
; %bb.177:
	v_lshlrev_b32_e32 v55, 3, v55
	s_delay_alu instid0(VALU_DEP_1)
	v_mov_b32_e32 v59, v55
	scratch_load_b64 v[55:56], v59, off offset:-8
	scratch_load_b64 v[57:58], off, off offset:200
	s_wait_loadcnt 0x1
	scratch_store_b64 off, v[55:56], off offset:200
	s_wait_loadcnt 0x0
	scratch_store_b64 v59, v[57:58], off offset:-8
.LBB26_178:
	global_load_b32 v0, v0, s[2:3] offset:96
	s_wait_loadcnt 0x0
	v_cmp_eq_u32_e32 vcc_lo, 25, v0
	s_cbranch_vccnz .LBB26_180
; %bb.179:
	v_lshlrev_b32_e32 v0, 3, v0
	scratch_load_b64 v[55:56], v0, off offset:-8
	scratch_load_b64 v[57:58], off, off offset:192
	s_wait_loadcnt 0x1
	scratch_store_b64 off, v[55:56], off offset:192
	s_wait_loadcnt 0x0
	scratch_store_b64 v0, v[57:58], off offset:-8
.LBB26_180:
	v_mov_b32_e32 v0, 0
	global_load_b32 v55, v0, s[2:3] offset:92
	s_wait_loadcnt 0x0
	v_cmp_eq_u32_e32 vcc_lo, 24, v55
	s_cbranch_vccnz .LBB26_182
; %bb.181:
	v_lshlrev_b32_e32 v55, 3, v55
	s_delay_alu instid0(VALU_DEP_1)
	v_mov_b32_e32 v59, v55
	scratch_load_b64 v[55:56], v59, off offset:-8
	scratch_load_b64 v[57:58], off, off offset:184
	s_wait_loadcnt 0x1
	scratch_store_b64 off, v[55:56], off offset:184
	s_wait_loadcnt 0x0
	scratch_store_b64 v59, v[57:58], off offset:-8
.LBB26_182:
	global_load_b32 v0, v0, s[2:3] offset:88
	s_wait_loadcnt 0x0
	v_cmp_eq_u32_e32 vcc_lo, 23, v0
	s_cbranch_vccnz .LBB26_184
; %bb.183:
	v_lshlrev_b32_e32 v0, 3, v0
	scratch_load_b64 v[55:56], v0, off offset:-8
	scratch_load_b64 v[57:58], off, off offset:176
	s_wait_loadcnt 0x1
	scratch_store_b64 off, v[55:56], off offset:176
	s_wait_loadcnt 0x0
	scratch_store_b64 v0, v[57:58], off offset:-8
.LBB26_184:
	v_mov_b32_e32 v0, 0
	global_load_b32 v55, v0, s[2:3] offset:84
	s_wait_loadcnt 0x0
	v_cmp_eq_u32_e32 vcc_lo, 22, v55
	s_cbranch_vccnz .LBB26_186
; %bb.185:
	v_lshlrev_b32_e32 v55, 3, v55
	s_delay_alu instid0(VALU_DEP_1)
	v_mov_b32_e32 v59, v55
	scratch_load_b64 v[55:56], v59, off offset:-8
	scratch_load_b64 v[57:58], off, off offset:168
	s_wait_loadcnt 0x1
	scratch_store_b64 off, v[55:56], off offset:168
	s_wait_loadcnt 0x0
	scratch_store_b64 v59, v[57:58], off offset:-8
.LBB26_186:
	;; [unrolled: 29-line block ×12, first 2 shown]
	global_load_b32 v0, v0, s[2:3]
	s_wait_loadcnt 0x0
	v_cmp_eq_u32_e32 vcc_lo, 1, v0
	s_cbranch_vccnz .LBB26_228
; %bb.227:
	v_lshlrev_b32_e32 v0, 3, v0
	scratch_load_b64 v[55:56], v0, off offset:-8
	scratch_load_b64 v[57:58], off, off
	s_wait_loadcnt 0x1
	scratch_store_b64 off, v[55:56], off
	s_wait_loadcnt 0x0
	scratch_store_b64 v0, v[57:58], off offset:-8
.LBB26_228:
	s_clause 0xd
	scratch_load_b128 v[55:58], off, off
	scratch_load_b128 v[59:62], off, off offset:16
	scratch_load_b128 v[63:66], off, off offset:32
	scratch_load_b128 v[67:70], off, off offset:48
	scratch_load_b128 v[71:74], off, off offset:64
	scratch_load_b128 v[75:78], off, off offset:80
	scratch_load_b128 v[79:82], off, off offset:96
	scratch_load_b128 v[83:86], off, off offset:112
	scratch_load_b128 v[87:90], off, off offset:128
	scratch_load_b128 v[91:94], off, off offset:144
	scratch_load_b128 v[95:98], off, off offset:160
	scratch_load_b128 v[99:102], off, off offset:176
	scratch_load_b128 v[103:106], off, off offset:192
	scratch_load_b64 v[107:108], off, off offset:208
	s_wait_loadcnt 0xd
	s_clause 0x1
	global_store_b64 v[1:2], v[55:56], off
	global_store_b64 v[3:4], v[57:58], off
	s_wait_loadcnt 0xc
	s_clause 0x1
	global_store_b64 v[5:6], v[59:60], off
	global_store_b64 v[7:8], v[61:62], off
	;; [unrolled: 4-line block ×13, first 2 shown]
	s_wait_loadcnt 0x0
	global_store_b64 v[53:54], v[107:108], off
	s_nop 0
	s_sendmsg sendmsg(MSG_DEALLOC_VGPRS)
	s_endpgm
	.section	.rodata,"a",@progbits
	.p2align	6, 0x0
	.amdhsa_kernel _ZN9rocsolver6v33100L18getri_kernel_smallILi27E19rocblas_complex_numIfEPS3_EEvT1_iilPiilS6_bb
		.amdhsa_group_segment_fixed_size 440
		.amdhsa_private_segment_fixed_size 224
		.amdhsa_kernarg_size 60
		.amdhsa_user_sgpr_count 2
		.amdhsa_user_sgpr_dispatch_ptr 0
		.amdhsa_user_sgpr_queue_ptr 0
		.amdhsa_user_sgpr_kernarg_segment_ptr 1
		.amdhsa_user_sgpr_dispatch_id 0
		.amdhsa_user_sgpr_private_segment_size 0
		.amdhsa_wavefront_size32 1
		.amdhsa_uses_dynamic_stack 0
		.amdhsa_enable_private_segment 1
		.amdhsa_system_sgpr_workgroup_id_x 1
		.amdhsa_system_sgpr_workgroup_id_y 0
		.amdhsa_system_sgpr_workgroup_id_z 0
		.amdhsa_system_sgpr_workgroup_info 0
		.amdhsa_system_vgpr_workitem_id 0
		.amdhsa_next_free_vgpr 186
		.amdhsa_next_free_sgpr 19
		.amdhsa_reserve_vcc 1
		.amdhsa_float_round_mode_32 0
		.amdhsa_float_round_mode_16_64 0
		.amdhsa_float_denorm_mode_32 3
		.amdhsa_float_denorm_mode_16_64 3
		.amdhsa_fp16_overflow 0
		.amdhsa_workgroup_processor_mode 1
		.amdhsa_memory_ordered 1
		.amdhsa_forward_progress 1
		.amdhsa_inst_pref_size 247
		.amdhsa_round_robin_scheduling 0
		.amdhsa_exception_fp_ieee_invalid_op 0
		.amdhsa_exception_fp_denorm_src 0
		.amdhsa_exception_fp_ieee_div_zero 0
		.amdhsa_exception_fp_ieee_overflow 0
		.amdhsa_exception_fp_ieee_underflow 0
		.amdhsa_exception_fp_ieee_inexact 0
		.amdhsa_exception_int_div_zero 0
	.end_amdhsa_kernel
	.section	.text._ZN9rocsolver6v33100L18getri_kernel_smallILi27E19rocblas_complex_numIfEPS3_EEvT1_iilPiilS6_bb,"axG",@progbits,_ZN9rocsolver6v33100L18getri_kernel_smallILi27E19rocblas_complex_numIfEPS3_EEvT1_iilPiilS6_bb,comdat
.Lfunc_end26:
	.size	_ZN9rocsolver6v33100L18getri_kernel_smallILi27E19rocblas_complex_numIfEPS3_EEvT1_iilPiilS6_bb, .Lfunc_end26-_ZN9rocsolver6v33100L18getri_kernel_smallILi27E19rocblas_complex_numIfEPS3_EEvT1_iilPiilS6_bb
                                        ; -- End function
	.set _ZN9rocsolver6v33100L18getri_kernel_smallILi27E19rocblas_complex_numIfEPS3_EEvT1_iilPiilS6_bb.num_vgpr, 186
	.set _ZN9rocsolver6v33100L18getri_kernel_smallILi27E19rocblas_complex_numIfEPS3_EEvT1_iilPiilS6_bb.num_agpr, 0
	.set _ZN9rocsolver6v33100L18getri_kernel_smallILi27E19rocblas_complex_numIfEPS3_EEvT1_iilPiilS6_bb.numbered_sgpr, 19
	.set _ZN9rocsolver6v33100L18getri_kernel_smallILi27E19rocblas_complex_numIfEPS3_EEvT1_iilPiilS6_bb.num_named_barrier, 0
	.set _ZN9rocsolver6v33100L18getri_kernel_smallILi27E19rocblas_complex_numIfEPS3_EEvT1_iilPiilS6_bb.private_seg_size, 224
	.set _ZN9rocsolver6v33100L18getri_kernel_smallILi27E19rocblas_complex_numIfEPS3_EEvT1_iilPiilS6_bb.uses_vcc, 1
	.set _ZN9rocsolver6v33100L18getri_kernel_smallILi27E19rocblas_complex_numIfEPS3_EEvT1_iilPiilS6_bb.uses_flat_scratch, 1
	.set _ZN9rocsolver6v33100L18getri_kernel_smallILi27E19rocblas_complex_numIfEPS3_EEvT1_iilPiilS6_bb.has_dyn_sized_stack, 0
	.set _ZN9rocsolver6v33100L18getri_kernel_smallILi27E19rocblas_complex_numIfEPS3_EEvT1_iilPiilS6_bb.has_recursion, 0
	.set _ZN9rocsolver6v33100L18getri_kernel_smallILi27E19rocblas_complex_numIfEPS3_EEvT1_iilPiilS6_bb.has_indirect_call, 0
	.section	.AMDGPU.csdata,"",@progbits
; Kernel info:
; codeLenInByte = 31492
; TotalNumSgprs: 21
; NumVgprs: 186
; ScratchSize: 224
; MemoryBound: 0
; FloatMode: 240
; IeeeMode: 1
; LDSByteSize: 440 bytes/workgroup (compile time only)
; SGPRBlocks: 0
; VGPRBlocks: 23
; NumSGPRsForWavesPerEU: 21
; NumVGPRsForWavesPerEU: 186
; Occupancy: 8
; WaveLimiterHint : 1
; COMPUTE_PGM_RSRC2:SCRATCH_EN: 1
; COMPUTE_PGM_RSRC2:USER_SGPR: 2
; COMPUTE_PGM_RSRC2:TRAP_HANDLER: 0
; COMPUTE_PGM_RSRC2:TGID_X_EN: 1
; COMPUTE_PGM_RSRC2:TGID_Y_EN: 0
; COMPUTE_PGM_RSRC2:TGID_Z_EN: 0
; COMPUTE_PGM_RSRC2:TIDIG_COMP_CNT: 0
	.section	.text._ZN9rocsolver6v33100L18getri_kernel_smallILi28E19rocblas_complex_numIfEPS3_EEvT1_iilPiilS6_bb,"axG",@progbits,_ZN9rocsolver6v33100L18getri_kernel_smallILi28E19rocblas_complex_numIfEPS3_EEvT1_iilPiilS6_bb,comdat
	.globl	_ZN9rocsolver6v33100L18getri_kernel_smallILi28E19rocblas_complex_numIfEPS3_EEvT1_iilPiilS6_bb ; -- Begin function _ZN9rocsolver6v33100L18getri_kernel_smallILi28E19rocblas_complex_numIfEPS3_EEvT1_iilPiilS6_bb
	.p2align	8
	.type	_ZN9rocsolver6v33100L18getri_kernel_smallILi28E19rocblas_complex_numIfEPS3_EEvT1_iilPiilS6_bb,@function
_ZN9rocsolver6v33100L18getri_kernel_smallILi28E19rocblas_complex_numIfEPS3_EEvT1_iilPiilS6_bb: ; @_ZN9rocsolver6v33100L18getri_kernel_smallILi28E19rocblas_complex_numIfEPS3_EEvT1_iilPiilS6_bb
; %bb.0:
	s_mov_b32 s2, exec_lo
	v_cmpx_gt_u32_e32 28, v0
	s_cbranch_execz .LBB27_126
; %bb.1:
	s_clause 0x2
	s_load_b32 s2, s[0:1], 0x38
	s_load_b128 s[12:15], s[0:1], 0x10
	s_load_b128 s[4:7], s[0:1], 0x28
	s_mov_b32 s16, ttmp9
	s_wait_kmcnt 0x0
	s_bitcmp1_b32 s2, 8
	s_cselect_b32 s18, -1, 0
	s_bfe_u32 s2, s2, 0x10008
	s_ashr_i32 s17, ttmp9, 31
	s_cmp_eq_u32 s2, 0
                                        ; implicit-def: $sgpr2_sgpr3
	s_cbranch_scc1 .LBB27_3
; %bb.2:
	s_load_b32 s2, s[0:1], 0x20
	s_mul_u64 s[4:5], s[4:5], s[16:17]
	s_delay_alu instid0(SALU_CYCLE_1) | instskip(NEXT) | instid1(SALU_CYCLE_1)
	s_lshl_b64 s[4:5], s[4:5], 2
	s_add_nc_u64 s[4:5], s[14:15], s[4:5]
	s_wait_kmcnt 0x0
	s_ashr_i32 s3, s2, 31
	s_delay_alu instid0(SALU_CYCLE_1) | instskip(NEXT) | instid1(SALU_CYCLE_1)
	s_lshl_b64 s[2:3], s[2:3], 2
	s_add_nc_u64 s[2:3], s[4:5], s[2:3]
.LBB27_3:
	s_clause 0x1
	s_load_b128 s[8:11], s[0:1], 0x0
	s_load_b32 s4, s[0:1], 0x38
	s_mul_u64 s[0:1], s[12:13], s[16:17]
	v_lshlrev_b32_e32 v63, 3, v0
	s_lshl_b64 s[0:1], s[0:1], 3
	s_wait_kmcnt 0x0
	v_add3_u32 v3, s11, s11, v0
	s_ashr_i32 s13, s10, 31
	s_mov_b32 s12, s10
	s_add_nc_u64 s[0:1], s[8:9], s[0:1]
	s_lshl_b64 s[12:13], s[12:13], 3
	v_add_nc_u32_e32 v5, s11, v3
	v_ashrrev_i32_e32 v4, 31, v3
	s_add_nc_u64 s[0:1], s[0:1], s[12:13]
	s_ashr_i32 s9, s11, 31
	v_add_co_u32 v1, s5, s0, v63
	v_add_nc_u32_e32 v9, s11, v5
	v_ashrrev_i32_e32 v6, 31, v5
	s_mov_b32 s8, s11
	v_lshlrev_b64_e32 v[7:8], 3, v[3:4]
	v_add_co_ci_u32_e64 v2, null, s1, 0, s5
	v_add_nc_u32_e32 v13, s11, v9
	s_lshl_b64 s[8:9], s[8:9], 3
	v_lshlrev_b64_e32 v[11:12], 3, v[5:6]
	v_add_co_u32 v3, vcc_lo, v1, s8
	s_delay_alu instid0(VALU_DEP_3)
	v_ashrrev_i32_e32 v14, 31, v13
	v_add_nc_u32_e32 v15, s11, v13
	v_add_co_ci_u32_e64 v4, null, s9, v2, vcc_lo
	v_add_co_u32 v5, vcc_lo, s0, v7
	s_wait_alu 0xfffd
	v_add_co_ci_u32_e64 v6, null, s1, v8, vcc_lo
	v_add_co_u32 v7, vcc_lo, s0, v11
	s_wait_alu 0xfffd
	v_add_co_ci_u32_e64 v8, null, s1, v12, vcc_lo
	v_lshlrev_b64_e32 v[11:12], 3, v[13:14]
	v_add_nc_u32_e32 v13, s11, v15
	v_ashrrev_i32_e32 v10, 31, v9
	v_ashrrev_i32_e32 v16, 31, v15
	global_load_b64 v[57:58], v63, s[0:1]
	s_bitcmp0_b32 s4, 0
	v_add_nc_u32_e32 v17, s11, v13
	v_lshlrev_b64_e32 v[9:10], 3, v[9:10]
	v_ashrrev_i32_e32 v14, 31, v13
	v_lshlrev_b64_e32 v[15:16], 3, v[15:16]
	s_delay_alu instid0(VALU_DEP_4)
	v_ashrrev_i32_e32 v18, 31, v17
	v_add_nc_u32_e32 v23, s11, v17
	v_add_co_u32 v9, vcc_lo, s0, v9
	v_lshlrev_b64_e32 v[19:20], 3, v[13:14]
	s_wait_alu 0xfffd
	v_add_co_ci_u32_e64 v10, null, s1, v10, vcc_lo
	v_add_co_u32 v11, vcc_lo, s0, v11
	v_lshlrev_b64_e32 v[21:22], 3, v[17:18]
	s_wait_alu 0xfffd
	v_add_co_ci_u32_e64 v12, null, s1, v12, vcc_lo
	v_add_co_u32 v13, vcc_lo, s0, v15
	s_wait_alu 0xfffd
	v_add_co_ci_u32_e64 v14, null, s1, v16, vcc_lo
	v_add_co_u32 v15, vcc_lo, s0, v19
	v_ashrrev_i32_e32 v24, 31, v23
	v_add_nc_u32_e32 v19, s11, v23
	s_wait_alu 0xfffd
	v_add_co_ci_u32_e64 v16, null, s1, v20, vcc_lo
	v_add_co_u32 v17, vcc_lo, s0, v21
	s_wait_alu 0xfffd
	v_add_co_ci_u32_e64 v18, null, s1, v22, vcc_lo
	v_lshlrev_b64_e32 v[21:22], 3, v[23:24]
	v_add_nc_u32_e32 v23, s11, v19
	v_ashrrev_i32_e32 v20, 31, v19
	s_clause 0x7
	global_load_b64 v[59:60], v[3:4], off
	global_load_b64 v[64:65], v[5:6], off
	;; [unrolled: 1-line block ×8, first 2 shown]
	v_add_nc_u32_e32 v27, s11, v23
	v_lshlrev_b64_e32 v[25:26], 3, v[19:20]
	v_add_co_u32 v19, vcc_lo, s0, v21
	v_ashrrev_i32_e32 v24, 31, v23
	s_delay_alu instid0(VALU_DEP_4)
	v_add_nc_u32_e32 v29, s11, v27
	v_ashrrev_i32_e32 v28, 31, v27
	s_wait_alu 0xfffd
	v_add_co_ci_u32_e64 v20, null, s1, v22, vcc_lo
	v_add_co_u32 v21, vcc_lo, s0, v25
	v_add_nc_u32_e32 v31, s11, v29
	v_ashrrev_i32_e32 v30, 31, v29
	s_wait_alu 0xfffd
	v_add_co_ci_u32_e64 v22, null, s1, v26, vcc_lo
	v_lshlrev_b64_e32 v[25:26], 3, v[27:28]
	v_ashrrev_i32_e32 v32, 31, v31
	v_add_nc_u32_e32 v33, s11, v31
	v_lshlrev_b64_e32 v[27:28], 3, v[29:30]
	v_lshlrev_b64_e32 v[23:24], 3, v[23:24]
	s_delay_alu instid0(VALU_DEP_4) | instskip(NEXT) | instid1(VALU_DEP_4)
	v_lshlrev_b64_e32 v[29:30], 3, v[31:32]
	v_add_nc_u32_e32 v31, s11, v33
	v_ashrrev_i32_e32 v34, 31, v33
	s_delay_alu instid0(VALU_DEP_4) | instskip(NEXT) | instid1(VALU_DEP_3)
	v_add_co_u32 v23, vcc_lo, s0, v23
	v_add_nc_u32_e32 v35, s11, v31
	v_ashrrev_i32_e32 v32, 31, v31
	s_wait_alu 0xfffd
	v_add_co_ci_u32_e64 v24, null, s1, v24, vcc_lo
	v_add_co_u32 v25, vcc_lo, s0, v25
	v_lshlrev_b64_e32 v[33:34], 3, v[33:34]
	v_add_nc_u32_e32 v39, s11, v35
	s_wait_alu 0xfffd
	v_add_co_ci_u32_e64 v26, null, s1, v26, vcc_lo
	v_add_co_u32 v27, vcc_lo, s0, v27
	v_lshlrev_b64_e32 v[37:38], 3, v[31:32]
	s_wait_alu 0xfffd
	v_add_co_ci_u32_e64 v28, null, s1, v28, vcc_lo
	v_add_co_u32 v29, vcc_lo, s0, v29
	v_ashrrev_i32_e32 v40, 31, v39
	v_add_nc_u32_e32 v41, s11, v39
	s_wait_alu 0xfffd
	v_add_co_ci_u32_e64 v30, null, s1, v30, vcc_lo
	v_add_co_u32 v31, vcc_lo, s0, v33
	s_wait_alu 0xfffd
	v_add_co_ci_u32_e64 v32, null, s1, v34, vcc_lo
	v_add_co_u32 v33, vcc_lo, s0, v37
	s_wait_alu 0xfffd
	v_add_co_ci_u32_e64 v34, null, s1, v38, vcc_lo
	v_lshlrev_b64_e32 v[37:38], 3, v[39:40]
	v_add_nc_u32_e32 v39, s11, v41
	v_ashrrev_i32_e32 v36, 31, v35
	v_ashrrev_i32_e32 v42, 31, v41
	s_clause 0x7
	global_load_b64 v[78:79], v[19:20], off
	global_load_b64 v[80:81], v[21:22], off
	;; [unrolled: 1-line block ×8, first 2 shown]
	v_add_nc_u32_e32 v43, s11, v39
	v_lshlrev_b64_e32 v[35:36], 3, v[35:36]
	v_ashrrev_i32_e32 v40, 31, v39
	v_lshlrev_b64_e32 v[41:42], 3, v[41:42]
	s_delay_alu instid0(VALU_DEP_4) | instskip(SKIP_3) | instid1(VALU_DEP_4)
	v_add_nc_u32_e32 v47, s11, v43
	v_ashrrev_i32_e32 v44, 31, v43
	v_add_co_u32 v35, vcc_lo, s0, v35
	v_lshlrev_b64_e32 v[45:46], 3, v[39:40]
	v_add_nc_u32_e32 v49, s11, v47
	s_wait_alu 0xfffd
	v_add_co_ci_u32_e64 v36, null, s1, v36, vcc_lo
	v_add_co_u32 v37, vcc_lo, s0, v37
	v_ashrrev_i32_e32 v48, 31, v47
	v_ashrrev_i32_e32 v50, 31, v49
	v_add_nc_u32_e32 v51, s11, v49
	s_wait_alu 0xfffd
	v_add_co_ci_u32_e64 v38, null, s1, v38, vcc_lo
	v_add_co_u32 v39, vcc_lo, s0, v41
	s_wait_alu 0xfffd
	v_add_co_ci_u32_e64 v40, null, s1, v42, vcc_lo
	v_add_co_u32 v41, vcc_lo, s0, v45
	s_wait_alu 0xfffd
	v_add_co_ci_u32_e64 v42, null, s1, v46, vcc_lo
	v_lshlrev_b64_e32 v[45:46], 3, v[47:48]
	v_lshlrev_b64_e32 v[47:48], 3, v[49:50]
	v_add_nc_u32_e32 v49, s11, v51
	v_lshlrev_b64_e32 v[43:44], 3, v[43:44]
	v_ashrrev_i32_e32 v52, 31, v51
	s_clause 0x3
	global_load_b64 v[94:95], v[35:36], off
	global_load_b64 v[96:97], v[37:38], off
	;; [unrolled: 1-line block ×4, first 2 shown]
	v_add_nc_u32_e32 v53, s11, v49
	v_ashrrev_i32_e32 v50, 31, v49
	v_add_co_u32 v43, vcc_lo, s0, v43
	v_lshlrev_b64_e32 v[51:52], 3, v[51:52]
	s_delay_alu instid0(VALU_DEP_4)
	v_add_nc_u32_e32 v61, s11, v53
	s_wait_alu 0xfffd
	v_add_co_ci_u32_e64 v44, null, s1, v44, vcc_lo
	v_add_co_u32 v45, vcc_lo, s0, v45
	v_lshlrev_b64_e32 v[55:56], 3, v[49:50]
	v_ashrrev_i32_e32 v54, 31, v53
	s_wait_alu 0xfffd
	v_add_co_ci_u32_e64 v46, null, s1, v46, vcc_lo
	v_add_co_u32 v47, vcc_lo, s0, v47
	v_ashrrev_i32_e32 v62, 31, v61
	s_wait_alu 0xfffd
	v_add_co_ci_u32_e64 v48, null, s1, v48, vcc_lo
	v_add_co_u32 v49, vcc_lo, s0, v51
	s_wait_alu 0xfffd
	v_add_co_ci_u32_e64 v50, null, s1, v52, vcc_lo
	v_lshlrev_b64_e32 v[53:54], 3, v[53:54]
	v_add_co_u32 v51, vcc_lo, s0, v55
	s_wait_alu 0xfffd
	v_add_co_ci_u32_e64 v52, null, s1, v56, vcc_lo
	v_lshlrev_b64_e32 v[55:56], 3, v[61:62]
	s_delay_alu instid0(VALU_DEP_4) | instskip(SKIP_2) | instid1(VALU_DEP_3)
	v_add_co_u32 v53, vcc_lo, s0, v53
	s_wait_alu 0xfffd
	v_add_co_ci_u32_e64 v54, null, s1, v54, vcc_lo
	v_add_co_u32 v55, vcc_lo, s0, v55
	s_wait_alu 0xfffd
	v_add_co_ci_u32_e64 v56, null, s1, v56, vcc_lo
	s_clause 0x6
	global_load_b64 v[102:103], v[43:44], off
	global_load_b64 v[104:105], v[45:46], off
	global_load_b64 v[106:107], v[47:48], off
	global_load_b64 v[108:109], v[49:50], off
	global_load_b64 v[110:111], v[51:52], off
	global_load_b64 v[112:113], v[53:54], off
	global_load_b64 v[114:115], v[55:56], off
	s_mov_b32 s1, -1
	s_wait_loadcnt 0x1a
	scratch_store_b128 off, v[57:60], off
	s_wait_loadcnt 0x18
	scratch_store_b128 off, v[64:67], off offset:16
	s_wait_loadcnt 0x16
	scratch_store_b128 off, v[68:71], off offset:32
	;; [unrolled: 2-line block ×13, first 2 shown]
	s_cbranch_scc1 .LBB27_124
; %bb.4:
	v_cmp_eq_u32_e64 s0, 0, v0
	s_and_saveexec_b32 s1, s0
; %bb.5:
	v_mov_b32_e32 v57, 0
	ds_store_b32 v57, v57 offset:448
; %bb.6:
	s_wait_alu 0xfffe
	s_or_b32 exec_lo, exec_lo, s1
	s_wait_storecnt_dscnt 0x0
	s_barrier_signal -1
	s_barrier_wait -1
	global_inv scope:SCOPE_SE
	scratch_load_b64 v[57:58], v63, off
	s_wait_loadcnt 0x0
	v_cmp_eq_f32_e32 vcc_lo, 0, v57
	v_cmp_eq_f32_e64 s1, 0, v58
	s_and_b32 s1, vcc_lo, s1
	s_wait_alu 0xfffe
	s_and_saveexec_b32 s4, s1
	s_cbranch_execz .LBB27_10
; %bb.7:
	v_mov_b32_e32 v57, 0
	s_mov_b32 s5, 0
	ds_load_b32 v58, v57 offset:448
	s_wait_dscnt 0x0
	v_readfirstlane_b32 s1, v58
	v_add_nc_u32_e32 v58, 1, v0
	s_cmp_eq_u32 s1, 0
	s_delay_alu instid0(VALU_DEP_1)
	v_cmp_gt_i32_e32 vcc_lo, s1, v58
	s_cselect_b32 s8, -1, 0
	s_wait_alu 0xfffe
	s_or_b32 s8, s8, vcc_lo
	s_wait_alu 0xfffe
	s_and_b32 exec_lo, exec_lo, s8
	s_cbranch_execz .LBB27_10
; %bb.8:
	v_mov_b32_e32 v59, s1
.LBB27_9:                               ; =>This Inner Loop Header: Depth=1
	ds_cmpstore_rtn_b32 v59, v57, v58, v59 offset:448
	s_wait_dscnt 0x0
	v_cmp_ne_u32_e32 vcc_lo, 0, v59
	v_cmp_le_i32_e64 s1, v59, v58
	s_and_b32 s1, vcc_lo, s1
	s_wait_alu 0xfffe
	s_and_b32 s1, exec_lo, s1
	s_wait_alu 0xfffe
	s_or_b32 s5, s1, s5
	s_wait_alu 0xfffe
	s_and_not1_b32 exec_lo, exec_lo, s5
	s_cbranch_execnz .LBB27_9
.LBB27_10:
	s_wait_alu 0xfffe
	s_or_b32 exec_lo, exec_lo, s4
	v_mov_b32_e32 v57, 0
	s_barrier_signal -1
	s_barrier_wait -1
	global_inv scope:SCOPE_SE
	ds_load_b32 v58, v57 offset:448
	s_and_saveexec_b32 s1, s0
	s_cbranch_execz .LBB27_12
; %bb.11:
	s_lshl_b64 s[4:5], s[16:17], 2
	s_wait_alu 0xfffe
	s_add_nc_u64 s[4:5], s[6:7], s[4:5]
	s_wait_dscnt 0x0
	global_store_b32 v57, v58, s[4:5]
.LBB27_12:
	s_wait_alu 0xfffe
	s_or_b32 exec_lo, exec_lo, s1
	s_wait_dscnt 0x0
	v_cmp_ne_u32_e32 vcc_lo, 0, v58
	s_mov_b32 s1, 0
	s_cbranch_vccnz .LBB27_124
; %bb.13:
	v_mov_b32_e32 v64, v63
                                        ; implicit-def: $vgpr59
                                        ; implicit-def: $vgpr61
	scratch_load_b64 v[57:58], v64, off
	s_wait_loadcnt 0x0
	v_cmp_ngt_f32_e64 s1, |v57|, |v58|
	s_wait_alu 0xfffe
	s_and_saveexec_b32 s4, s1
	s_wait_alu 0xfffe
	s_xor_b32 s1, exec_lo, s4
	s_cbranch_execz .LBB27_15
; %bb.14:
	v_div_scale_f32 v59, null, v58, v58, v57
	v_div_scale_f32 v62, vcc_lo, v57, v58, v57
	s_delay_alu instid0(VALU_DEP_2) | instskip(NEXT) | instid1(TRANS32_DEP_1)
	v_rcp_f32_e32 v60, v59
	v_fma_f32 v61, -v59, v60, 1.0
	s_delay_alu instid0(VALU_DEP_1) | instskip(NEXT) | instid1(VALU_DEP_1)
	v_fmac_f32_e32 v60, v61, v60
	v_mul_f32_e32 v61, v62, v60
	s_delay_alu instid0(VALU_DEP_1) | instskip(NEXT) | instid1(VALU_DEP_1)
	v_fma_f32 v65, -v59, v61, v62
	v_fmac_f32_e32 v61, v65, v60
	s_delay_alu instid0(VALU_DEP_1) | instskip(SKIP_1) | instid1(VALU_DEP_1)
	v_fma_f32 v59, -v59, v61, v62
	s_wait_alu 0xfffd
	v_div_fmas_f32 v59, v59, v60, v61
	s_delay_alu instid0(VALU_DEP_1) | instskip(NEXT) | instid1(VALU_DEP_1)
	v_div_fixup_f32 v59, v59, v58, v57
	v_fmac_f32_e32 v58, v57, v59
	s_delay_alu instid0(VALU_DEP_1) | instskip(NEXT) | instid1(VALU_DEP_1)
	v_div_scale_f32 v57, null, v58, v58, 1.0
	v_rcp_f32_e32 v60, v57
	s_delay_alu instid0(TRANS32_DEP_1) | instskip(NEXT) | instid1(VALU_DEP_1)
	v_fma_f32 v61, -v57, v60, 1.0
	v_fmac_f32_e32 v60, v61, v60
	v_div_scale_f32 v61, vcc_lo, 1.0, v58, 1.0
	s_delay_alu instid0(VALU_DEP_1) | instskip(NEXT) | instid1(VALU_DEP_1)
	v_mul_f32_e32 v62, v61, v60
	v_fma_f32 v65, -v57, v62, v61
	s_delay_alu instid0(VALU_DEP_1) | instskip(NEXT) | instid1(VALU_DEP_1)
	v_fmac_f32_e32 v62, v65, v60
	v_fma_f32 v57, -v57, v62, v61
	s_wait_alu 0xfffd
	s_delay_alu instid0(VALU_DEP_1) | instskip(NEXT) | instid1(VALU_DEP_1)
	v_div_fmas_f32 v57, v57, v60, v62
	v_div_fixup_f32 v57, v57, v58, 1.0
	s_delay_alu instid0(VALU_DEP_1) | instskip(SKIP_1) | instid1(VALU_DEP_2)
	v_mul_f32_e32 v59, v59, v57
	v_xor_b32_e32 v60, 0x80000000, v57
                                        ; implicit-def: $vgpr57_vgpr58
	v_xor_b32_e32 v61, 0x80000000, v59
.LBB27_15:
	s_wait_alu 0xfffe
	s_and_not1_saveexec_b32 s1, s1
	s_cbranch_execz .LBB27_17
; %bb.16:
	v_div_scale_f32 v59, null, v57, v57, v58
	v_div_scale_f32 v62, vcc_lo, v58, v57, v58
	s_delay_alu instid0(VALU_DEP_2) | instskip(NEXT) | instid1(TRANS32_DEP_1)
	v_rcp_f32_e32 v60, v59
	v_fma_f32 v61, -v59, v60, 1.0
	s_delay_alu instid0(VALU_DEP_1) | instskip(NEXT) | instid1(VALU_DEP_1)
	v_fmac_f32_e32 v60, v61, v60
	v_mul_f32_e32 v61, v62, v60
	s_delay_alu instid0(VALU_DEP_1) | instskip(NEXT) | instid1(VALU_DEP_1)
	v_fma_f32 v65, -v59, v61, v62
	v_fmac_f32_e32 v61, v65, v60
	s_delay_alu instid0(VALU_DEP_1) | instskip(SKIP_1) | instid1(VALU_DEP_1)
	v_fma_f32 v59, -v59, v61, v62
	s_wait_alu 0xfffd
	v_div_fmas_f32 v59, v59, v60, v61
	s_delay_alu instid0(VALU_DEP_1) | instskip(NEXT) | instid1(VALU_DEP_1)
	v_div_fixup_f32 v60, v59, v57, v58
	v_fmac_f32_e32 v57, v58, v60
	s_delay_alu instid0(VALU_DEP_1) | instskip(SKIP_1) | instid1(VALU_DEP_2)
	v_div_scale_f32 v58, null, v57, v57, 1.0
	v_div_scale_f32 v62, vcc_lo, 1.0, v57, 1.0
	v_rcp_f32_e32 v59, v58
	s_delay_alu instid0(TRANS32_DEP_1) | instskip(NEXT) | instid1(VALU_DEP_1)
	v_fma_f32 v61, -v58, v59, 1.0
	v_fmac_f32_e32 v59, v61, v59
	s_delay_alu instid0(VALU_DEP_1) | instskip(NEXT) | instid1(VALU_DEP_1)
	v_mul_f32_e32 v61, v62, v59
	v_fma_f32 v65, -v58, v61, v62
	s_delay_alu instid0(VALU_DEP_1) | instskip(NEXT) | instid1(VALU_DEP_1)
	v_fmac_f32_e32 v61, v65, v59
	v_fma_f32 v58, -v58, v61, v62
	s_wait_alu 0xfffd
	s_delay_alu instid0(VALU_DEP_1) | instskip(NEXT) | instid1(VALU_DEP_1)
	v_div_fmas_f32 v58, v58, v59, v61
	v_div_fixup_f32 v59, v58, v57, 1.0
	s_delay_alu instid0(VALU_DEP_1)
	v_xor_b32_e32 v61, 0x80000000, v59
	v_mul_f32_e64 v60, v60, -v59
.LBB27_17:
	s_wait_alu 0xfffe
	s_or_b32 exec_lo, exec_lo, s1
	scratch_store_b64 v64, v[59:60], off
	scratch_load_b64 v[58:59], off, off offset:8
	v_xor_b32_e32 v62, 0x80000000, v60
	v_add_nc_u32_e32 v57, 0xe0, v63
	s_wait_loadcnt 0x0
	ds_store_2addr_b64 v63, v[61:62], v[58:59] offset1:28
	s_wait_storecnt_dscnt 0x0
	s_barrier_signal -1
	s_barrier_wait -1
	global_inv scope:SCOPE_SE
	s_and_saveexec_b32 s1, s0
	s_cbranch_execz .LBB27_19
; %bb.18:
	scratch_load_b64 v[58:59], v64, off
	ds_load_b64 v[60:61], v57
	v_mov_b32_e32 v62, 0
	ds_load_b64 v[65:66], v62 offset:8
	s_wait_loadcnt_dscnt 0x1
	v_mul_f32_e32 v62, v60, v59
	v_mul_f32_e32 v59, v61, v59
	s_delay_alu instid0(VALU_DEP_2) | instskip(NEXT) | instid1(VALU_DEP_2)
	v_fmac_f32_e32 v62, v61, v58
	v_fma_f32 v58, v60, v58, -v59
	s_delay_alu instid0(VALU_DEP_2) | instskip(NEXT) | instid1(VALU_DEP_2)
	v_add_f32_e32 v60, 0, v62
	v_add_f32_e32 v58, 0, v58
	s_wait_dscnt 0x0
	s_delay_alu instid0(VALU_DEP_2) | instskip(NEXT) | instid1(VALU_DEP_2)
	v_mul_f32_e32 v61, v60, v66
	v_mul_f32_e32 v59, v58, v66
	s_delay_alu instid0(VALU_DEP_2) | instskip(NEXT) | instid1(VALU_DEP_2)
	v_fma_f32 v58, v58, v65, -v61
	v_fmac_f32_e32 v59, v60, v65
	scratch_store_b64 off, v[58:59], off offset:8
.LBB27_19:
	s_wait_alu 0xfffe
	s_or_b32 exec_lo, exec_lo, s1
	s_wait_loadcnt 0x0
	s_wait_storecnt 0x0
	s_barrier_signal -1
	s_barrier_wait -1
	global_inv scope:SCOPE_SE
	scratch_load_b64 v[58:59], off, off offset:16
	s_mov_b32 s1, exec_lo
	s_wait_loadcnt 0x0
	ds_store_b64 v57, v[58:59]
	s_wait_dscnt 0x0
	s_barrier_signal -1
	s_barrier_wait -1
	global_inv scope:SCOPE_SE
	v_cmpx_gt_u32_e32 2, v0
	s_cbranch_execz .LBB27_23
; %bb.20:
	scratch_load_b64 v[58:59], v64, off
	ds_load_b64 v[60:61], v57
	s_wait_loadcnt_dscnt 0x0
	v_mul_f32_e32 v62, v61, v59
	v_mul_f32_e32 v65, v60, v59
	s_delay_alu instid0(VALU_DEP_2) | instskip(NEXT) | instid1(VALU_DEP_2)
	v_fma_f32 v59, v60, v58, -v62
	v_fmac_f32_e32 v65, v61, v58
	s_delay_alu instid0(VALU_DEP_1)
	v_dual_add_f32 v59, 0, v59 :: v_dual_add_f32 v58, 0, v65
	s_and_saveexec_b32 s4, s0
	s_cbranch_execz .LBB27_22
; %bb.21:
	scratch_load_b64 v[60:61], off, off offset:8
	v_mov_b32_e32 v62, 0
	ds_load_b64 v[65:66], v62 offset:232
	s_wait_loadcnt_dscnt 0x0
	v_mul_f32_e32 v62, v65, v61
	v_mul_f32_e32 v61, v66, v61
	s_delay_alu instid0(VALU_DEP_2) | instskip(NEXT) | instid1(VALU_DEP_2)
	v_fmac_f32_e32 v62, v66, v60
	v_fma_f32 v60, v65, v60, -v61
	s_delay_alu instid0(VALU_DEP_1)
	v_dual_add_f32 v58, v58, v62 :: v_dual_add_f32 v59, v59, v60
.LBB27_22:
	s_wait_alu 0xfffe
	s_or_b32 exec_lo, exec_lo, s4
	v_mov_b32_e32 v60, 0
	ds_load_b64 v[60:61], v60 offset:16
	s_wait_dscnt 0x0
	v_mul_f32_e32 v65, v58, v61
	v_mul_f32_e32 v62, v59, v61
	s_delay_alu instid0(VALU_DEP_2) | instskip(NEXT) | instid1(VALU_DEP_2)
	v_fma_f32 v61, v59, v60, -v65
	v_fmac_f32_e32 v62, v58, v60
	scratch_store_b64 off, v[61:62], off offset:16
.LBB27_23:
	s_wait_alu 0xfffe
	s_or_b32 exec_lo, exec_lo, s1
	s_wait_loadcnt 0x0
	s_wait_storecnt 0x0
	s_barrier_signal -1
	s_barrier_wait -1
	global_inv scope:SCOPE_SE
	scratch_load_b64 v[59:60], off, off offset:24
	v_add_nc_u32_e32 v58, -1, v0
	s_mov_b32 s0, exec_lo
	s_wait_loadcnt 0x0
	ds_store_b64 v57, v[59:60]
	s_wait_dscnt 0x0
	s_barrier_signal -1
	s_barrier_wait -1
	global_inv scope:SCOPE_SE
	v_cmpx_gt_u32_e32 3, v0
	s_cbranch_execz .LBB27_27
; %bb.24:
	v_dual_mov_b32 v59, 0 :: v_dual_add_nc_u32 v60, -1, v0
	v_dual_mov_b32 v62, v63 :: v_dual_add_nc_u32 v61, 0xe0, v63
	v_mov_b32_e32 v65, 0
	s_mov_b32 s1, 0
.LBB27_25:                              ; =>This Inner Loop Header: Depth=1
	scratch_load_b64 v[66:67], v62, off
	ds_load_b64 v[68:69], v61
	v_add_nc_u32_e32 v60, 1, v60
	v_add_nc_u32_e32 v61, 8, v61
	s_delay_alu instid0(VALU_DEP_2)
	v_cmp_lt_u32_e32 vcc_lo, 1, v60
	s_wait_alu 0xfffe
	s_or_b32 s1, vcc_lo, s1
	s_wait_loadcnt_dscnt 0x0
	v_mul_f32_e32 v70, v69, v67
	v_mul_f32_e32 v67, v68, v67
	s_delay_alu instid0(VALU_DEP_2) | instskip(NEXT) | instid1(VALU_DEP_2)
	v_fma_f32 v68, v68, v66, -v70
	v_fmac_f32_e32 v67, v69, v66
	s_delay_alu instid0(VALU_DEP_2) | instskip(NEXT) | instid1(VALU_DEP_2)
	v_dual_add_f32 v65, v65, v68 :: v_dual_add_nc_u32 v62, 8, v62
	v_add_f32_e32 v59, v59, v67
	s_wait_alu 0xfffe
	s_and_not1_b32 exec_lo, exec_lo, s1
	s_cbranch_execnz .LBB27_25
; %bb.26:
	s_or_b32 exec_lo, exec_lo, s1
	v_mov_b32_e32 v60, 0
	ds_load_b64 v[60:61], v60 offset:24
	s_wait_dscnt 0x0
	v_mul_f32_e32 v66, v59, v61
	v_mul_f32_e32 v62, v65, v61
	s_delay_alu instid0(VALU_DEP_2) | instskip(NEXT) | instid1(VALU_DEP_2)
	v_fma_f32 v61, v65, v60, -v66
	v_fmac_f32_e32 v62, v59, v60
	scratch_store_b64 off, v[61:62], off offset:24
.LBB27_27:
	s_wait_alu 0xfffe
	s_or_b32 exec_lo, exec_lo, s0
	s_wait_loadcnt 0x0
	s_wait_storecnt 0x0
	s_barrier_signal -1
	s_barrier_wait -1
	global_inv scope:SCOPE_SE
	scratch_load_b64 v[59:60], off, off offset:32
	s_mov_b32 s0, exec_lo
	s_wait_loadcnt 0x0
	ds_store_b64 v57, v[59:60]
	s_wait_dscnt 0x0
	s_barrier_signal -1
	s_barrier_wait -1
	global_inv scope:SCOPE_SE
	v_cmpx_gt_u32_e32 4, v0
	s_cbranch_execz .LBB27_31
; %bb.28:
	v_dual_mov_b32 v59, 0 :: v_dual_add_nc_u32 v60, -1, v0
	v_dual_mov_b32 v62, v63 :: v_dual_add_nc_u32 v61, 0xe0, v63
	v_mov_b32_e32 v65, 0
	s_mov_b32 s1, 0
.LBB27_29:                              ; =>This Inner Loop Header: Depth=1
	scratch_load_b64 v[66:67], v62, off
	ds_load_b64 v[68:69], v61
	v_add_nc_u32_e32 v60, 1, v60
	v_add_nc_u32_e32 v61, 8, v61
	s_delay_alu instid0(VALU_DEP_2)
	v_cmp_lt_u32_e32 vcc_lo, 2, v60
	s_wait_alu 0xfffe
	s_or_b32 s1, vcc_lo, s1
	s_wait_loadcnt_dscnt 0x0
	v_mul_f32_e32 v70, v69, v67
	v_mul_f32_e32 v67, v68, v67
	s_delay_alu instid0(VALU_DEP_2) | instskip(NEXT) | instid1(VALU_DEP_2)
	v_fma_f32 v68, v68, v66, -v70
	v_fmac_f32_e32 v67, v69, v66
	s_delay_alu instid0(VALU_DEP_2) | instskip(NEXT) | instid1(VALU_DEP_2)
	v_dual_add_f32 v65, v65, v68 :: v_dual_add_nc_u32 v62, 8, v62
	v_add_f32_e32 v59, v59, v67
	s_wait_alu 0xfffe
	s_and_not1_b32 exec_lo, exec_lo, s1
	s_cbranch_execnz .LBB27_29
; %bb.30:
	s_or_b32 exec_lo, exec_lo, s1
	v_mov_b32_e32 v60, 0
	ds_load_b64 v[60:61], v60 offset:32
	s_wait_dscnt 0x0
	v_mul_f32_e32 v66, v59, v61
	v_mul_f32_e32 v62, v65, v61
	s_delay_alu instid0(VALU_DEP_2) | instskip(NEXT) | instid1(VALU_DEP_2)
	v_fma_f32 v61, v65, v60, -v66
	v_fmac_f32_e32 v62, v59, v60
	scratch_store_b64 off, v[61:62], off offset:32
.LBB27_31:
	s_wait_alu 0xfffe
	s_or_b32 exec_lo, exec_lo, s0
	s_wait_loadcnt 0x0
	s_wait_storecnt 0x0
	s_barrier_signal -1
	s_barrier_wait -1
	global_inv scope:SCOPE_SE
	scratch_load_b64 v[59:60], off, off offset:40
	;; [unrolled: 55-line block ×19, first 2 shown]
	s_mov_b32 s0, exec_lo
	s_wait_loadcnt 0x0
	ds_store_b64 v57, v[59:60]
	s_wait_dscnt 0x0
	s_barrier_signal -1
	s_barrier_wait -1
	global_inv scope:SCOPE_SE
	v_cmpx_gt_u32_e32 22, v0
	s_cbranch_execz .LBB27_103
; %bb.100:
	v_dual_mov_b32 v59, 0 :: v_dual_add_nc_u32 v60, -1, v0
	v_dual_mov_b32 v62, v63 :: v_dual_add_nc_u32 v61, 0xe0, v63
	v_mov_b32_e32 v65, 0
	s_mov_b32 s1, 0
.LBB27_101:                             ; =>This Inner Loop Header: Depth=1
	scratch_load_b64 v[66:67], v62, off
	ds_load_b64 v[68:69], v61
	v_add_nc_u32_e32 v60, 1, v60
	v_add_nc_u32_e32 v61, 8, v61
	s_delay_alu instid0(VALU_DEP_2)
	v_cmp_lt_u32_e32 vcc_lo, 20, v60
	s_wait_alu 0xfffe
	s_or_b32 s1, vcc_lo, s1
	s_wait_loadcnt_dscnt 0x0
	v_mul_f32_e32 v70, v69, v67
	v_mul_f32_e32 v67, v68, v67
	s_delay_alu instid0(VALU_DEP_2) | instskip(NEXT) | instid1(VALU_DEP_2)
	v_fma_f32 v68, v68, v66, -v70
	v_fmac_f32_e32 v67, v69, v66
	s_delay_alu instid0(VALU_DEP_2) | instskip(NEXT) | instid1(VALU_DEP_2)
	v_dual_add_f32 v65, v65, v68 :: v_dual_add_nc_u32 v62, 8, v62
	v_add_f32_e32 v59, v59, v67
	s_wait_alu 0xfffe
	s_and_not1_b32 exec_lo, exec_lo, s1
	s_cbranch_execnz .LBB27_101
; %bb.102:
	s_or_b32 exec_lo, exec_lo, s1
	v_mov_b32_e32 v60, 0
	ds_load_b64 v[60:61], v60 offset:176
	s_wait_dscnt 0x0
	v_mul_f32_e32 v66, v59, v61
	v_mul_f32_e32 v62, v65, v61
	s_delay_alu instid0(VALU_DEP_2) | instskip(NEXT) | instid1(VALU_DEP_2)
	v_fma_f32 v61, v65, v60, -v66
	v_fmac_f32_e32 v62, v59, v60
	scratch_store_b64 off, v[61:62], off offset:176
.LBB27_103:
	s_wait_alu 0xfffe
	s_or_b32 exec_lo, exec_lo, s0
	s_wait_loadcnt 0x0
	s_wait_storecnt 0x0
	s_barrier_signal -1
	s_barrier_wait -1
	global_inv scope:SCOPE_SE
	scratch_load_b64 v[59:60], off, off offset:184
	s_mov_b32 s0, exec_lo
	s_wait_loadcnt 0x0
	ds_store_b64 v57, v[59:60]
	s_wait_dscnt 0x0
	s_barrier_signal -1
	s_barrier_wait -1
	global_inv scope:SCOPE_SE
	v_cmpx_gt_u32_e32 23, v0
	s_cbranch_execz .LBB27_107
; %bb.104:
	v_dual_mov_b32 v59, 0 :: v_dual_add_nc_u32 v60, -1, v0
	v_dual_mov_b32 v62, v63 :: v_dual_add_nc_u32 v61, 0xe0, v63
	v_mov_b32_e32 v65, 0
	s_mov_b32 s1, 0
.LBB27_105:                             ; =>This Inner Loop Header: Depth=1
	scratch_load_b64 v[66:67], v62, off
	ds_load_b64 v[68:69], v61
	v_add_nc_u32_e32 v60, 1, v60
	v_add_nc_u32_e32 v61, 8, v61
	s_delay_alu instid0(VALU_DEP_2)
	v_cmp_lt_u32_e32 vcc_lo, 21, v60
	s_wait_alu 0xfffe
	s_or_b32 s1, vcc_lo, s1
	s_wait_loadcnt_dscnt 0x0
	v_mul_f32_e32 v70, v69, v67
	v_mul_f32_e32 v67, v68, v67
	s_delay_alu instid0(VALU_DEP_2) | instskip(NEXT) | instid1(VALU_DEP_2)
	v_fma_f32 v68, v68, v66, -v70
	v_fmac_f32_e32 v67, v69, v66
	s_delay_alu instid0(VALU_DEP_2) | instskip(NEXT) | instid1(VALU_DEP_2)
	v_dual_add_f32 v65, v65, v68 :: v_dual_add_nc_u32 v62, 8, v62
	v_add_f32_e32 v59, v59, v67
	s_wait_alu 0xfffe
	s_and_not1_b32 exec_lo, exec_lo, s1
	s_cbranch_execnz .LBB27_105
; %bb.106:
	s_or_b32 exec_lo, exec_lo, s1
	v_mov_b32_e32 v60, 0
	ds_load_b64 v[60:61], v60 offset:184
	s_wait_dscnt 0x0
	v_mul_f32_e32 v66, v59, v61
	v_mul_f32_e32 v62, v65, v61
	s_delay_alu instid0(VALU_DEP_2) | instskip(NEXT) | instid1(VALU_DEP_2)
	v_fma_f32 v61, v65, v60, -v66
	v_fmac_f32_e32 v62, v59, v60
	scratch_store_b64 off, v[61:62], off offset:184
.LBB27_107:
	s_wait_alu 0xfffe
	s_or_b32 exec_lo, exec_lo, s0
	s_wait_loadcnt 0x0
	s_wait_storecnt 0x0
	s_barrier_signal -1
	s_barrier_wait -1
	global_inv scope:SCOPE_SE
	scratch_load_b64 v[59:60], off, off offset:192
	;; [unrolled: 55-line block ×4, first 2 shown]
	s_mov_b32 s0, exec_lo
	s_wait_loadcnt 0x0
	ds_store_b64 v57, v[59:60]
	s_wait_dscnt 0x0
	s_barrier_signal -1
	s_barrier_wait -1
	global_inv scope:SCOPE_SE
	v_cmpx_gt_u32_e32 26, v0
	s_cbranch_execz .LBB27_119
; %bb.116:
	v_dual_mov_b32 v59, 0 :: v_dual_add_nc_u32 v60, -1, v0
	v_dual_mov_b32 v62, v63 :: v_dual_add_nc_u32 v61, 0xe0, v63
	v_mov_b32_e32 v63, 0
	s_mov_b32 s1, 0
.LBB27_117:                             ; =>This Inner Loop Header: Depth=1
	scratch_load_b64 v[65:66], v62, off
	ds_load_b64 v[67:68], v61
	v_add_nc_u32_e32 v62, 8, v62
	v_add_nc_u32_e32 v60, 1, v60
	;; [unrolled: 1-line block ×3, first 2 shown]
	s_delay_alu instid0(VALU_DEP_2)
	v_cmp_lt_u32_e32 vcc_lo, 24, v60
	s_wait_alu 0xfffe
	s_or_b32 s1, vcc_lo, s1
	s_wait_loadcnt_dscnt 0x0
	v_mul_f32_e32 v69, v68, v66
	v_mul_f32_e32 v66, v67, v66
	s_delay_alu instid0(VALU_DEP_2) | instskip(NEXT) | instid1(VALU_DEP_1)
	v_fma_f32 v67, v67, v65, -v69
	v_dual_fmac_f32 v66, v68, v65 :: v_dual_add_f32 v63, v63, v67
	s_delay_alu instid0(VALU_DEP_1)
	v_add_f32_e32 v59, v59, v66
	s_wait_alu 0xfffe
	s_and_not1_b32 exec_lo, exec_lo, s1
	s_cbranch_execnz .LBB27_117
; %bb.118:
	s_or_b32 exec_lo, exec_lo, s1
	v_mov_b32_e32 v60, 0
	ds_load_b64 v[60:61], v60 offset:208
	s_wait_dscnt 0x0
	v_mul_f32_e32 v65, v59, v61
	v_mul_f32_e32 v62, v63, v61
	s_delay_alu instid0(VALU_DEP_2) | instskip(NEXT) | instid1(VALU_DEP_2)
	v_fma_f32 v61, v63, v60, -v65
	v_fmac_f32_e32 v62, v59, v60
	scratch_store_b64 off, v[61:62], off offset:208
.LBB27_119:
	s_wait_alu 0xfffe
	s_or_b32 exec_lo, exec_lo, s0
	s_wait_loadcnt 0x0
	s_wait_storecnt 0x0
	s_barrier_signal -1
	s_barrier_wait -1
	global_inv scope:SCOPE_SE
	scratch_load_b64 v[59:60], off, off offset:216
	s_mov_b32 s0, exec_lo
	s_wait_loadcnt 0x0
	ds_store_b64 v57, v[59:60]
	s_wait_dscnt 0x0
	s_barrier_signal -1
	s_barrier_wait -1
	global_inv scope:SCOPE_SE
	v_cmpx_ne_u32_e32 27, v0
	s_cbranch_execz .LBB27_123
; %bb.120:
	v_dual_mov_b32 v59, 0 :: v_dual_mov_b32 v60, 0
	s_mov_b32 s1, 0
.LBB27_121:                             ; =>This Inner Loop Header: Depth=1
	scratch_load_b64 v[61:62], v64, off
	ds_load_b64 v[65:66], v57
	v_add_nc_u32_e32 v58, 1, v58
	v_add_nc_u32_e32 v57, 8, v57
	;; [unrolled: 1-line block ×3, first 2 shown]
	s_delay_alu instid0(VALU_DEP_3)
	v_cmp_lt_u32_e32 vcc_lo, 25, v58
	s_wait_alu 0xfffe
	s_or_b32 s1, vcc_lo, s1
	s_wait_loadcnt_dscnt 0x0
	v_mul_f32_e32 v63, v66, v62
	v_mul_f32_e32 v62, v65, v62
	s_delay_alu instid0(VALU_DEP_2) | instskip(NEXT) | instid1(VALU_DEP_2)
	v_fma_f32 v63, v65, v61, -v63
	v_fmac_f32_e32 v62, v66, v61
	s_delay_alu instid0(VALU_DEP_1)
	v_dual_add_f32 v60, v60, v63 :: v_dual_add_f32 v59, v59, v62
	s_wait_alu 0xfffe
	s_and_not1_b32 exec_lo, exec_lo, s1
	s_cbranch_execnz .LBB27_121
; %bb.122:
	s_or_b32 exec_lo, exec_lo, s1
	v_mov_b32_e32 v57, 0
	ds_load_b64 v[57:58], v57 offset:216
	s_wait_dscnt 0x0
	v_mul_f32_e32 v62, v59, v58
	v_mul_f32_e32 v61, v60, v58
	s_delay_alu instid0(VALU_DEP_2) | instskip(NEXT) | instid1(VALU_DEP_2)
	v_fma_f32 v60, v60, v57, -v62
	v_fmac_f32_e32 v61, v59, v57
	scratch_store_b64 off, v[60:61], off offset:216
.LBB27_123:
	s_wait_alu 0xfffe
	s_or_b32 exec_lo, exec_lo, s0
	s_mov_b32 s1, -1
	s_wait_loadcnt 0x0
	s_wait_storecnt 0x0
	s_barrier_signal -1
	s_barrier_wait -1
	global_inv scope:SCOPE_SE
.LBB27_124:
	s_wait_alu 0xfffe
	s_and_b32 vcc_lo, exec_lo, s1
	s_wait_alu 0xfffe
	s_cbranch_vccz .LBB27_126
; %bb.125:
	v_mov_b32_e32 v57, 0
	s_lshl_b64 s[0:1], s[16:17], 2
	s_wait_alu 0xfffe
	s_add_nc_u64 s[0:1], s[6:7], s[0:1]
	global_load_b32 v57, v57, s[0:1]
	s_wait_loadcnt 0x0
	v_cmp_ne_u32_e32 vcc_lo, 0, v57
	s_cbranch_vccz .LBB27_127
.LBB27_126:
	s_nop 0
	s_sendmsg sendmsg(MSG_DEALLOC_VGPRS)
	s_endpgm
.LBB27_127:
	v_lshl_add_u32 v59, v0, 3, 0xe0
	s_mov_b32 s0, exec_lo
	v_cmpx_eq_u32_e32 27, v0
	s_cbranch_execz .LBB27_129
; %bb.128:
	scratch_load_b64 v[57:58], off, off offset:208
	v_mov_b32_e32 v60, 0
	s_delay_alu instid0(VALU_DEP_1)
	v_mov_b32_e32 v61, v60
	scratch_store_b64 off, v[60:61], off offset:208
	s_wait_loadcnt 0x0
	ds_store_b64 v59, v[57:58]
.LBB27_129:
	s_wait_alu 0xfffe
	s_or_b32 exec_lo, exec_lo, s0
	s_wait_storecnt_dscnt 0x0
	s_barrier_signal -1
	s_barrier_wait -1
	global_inv scope:SCOPE_SE
	s_clause 0x1
	scratch_load_b64 v[60:61], off, off offset:216
	scratch_load_b64 v[62:63], off, off offset:208
	v_mov_b32_e32 v57, 0
	s_mov_b32 s0, exec_lo
	ds_load_b64 v[64:65], v57 offset:440
	s_wait_loadcnt_dscnt 0x100
	v_mul_f32_e32 v58, v65, v61
	s_delay_alu instid0(VALU_DEP_1) | instskip(NEXT) | instid1(VALU_DEP_1)
	v_fma_f32 v58, v64, v60, -v58
	v_dual_mul_f32 v61, v64, v61 :: v_dual_add_f32 v58, 0, v58
	s_wait_loadcnt 0x0
	s_delay_alu instid0(VALU_DEP_1) | instskip(NEXT) | instid1(VALU_DEP_1)
	v_dual_fmac_f32 v61, v65, v60 :: v_dual_sub_f32 v60, v62, v58
	v_add_f32_e32 v61, 0, v61
	s_delay_alu instid0(VALU_DEP_1)
	v_sub_f32_e32 v61, v63, v61
	scratch_store_b64 off, v[60:61], off offset:208
	v_cmpx_lt_u32_e32 25, v0
	s_cbranch_execz .LBB27_131
; %bb.130:
	scratch_load_b64 v[60:61], off, off offset:200
	v_mov_b32_e32 v58, v57
	scratch_store_b64 off, v[57:58], off offset:200
	s_wait_loadcnt 0x0
	ds_store_b64 v59, v[60:61]
.LBB27_131:
	s_wait_alu 0xfffe
	s_or_b32 exec_lo, exec_lo, s0
	s_wait_storecnt_dscnt 0x0
	s_barrier_signal -1
	s_barrier_wait -1
	global_inv scope:SCOPE_SE
	s_clause 0x1
	scratch_load_b128 v[60:63], off, off offset:208
	scratch_load_b64 v[68:69], off, off offset:200
	ds_load_b128 v[64:67], v57 offset:432
	s_mov_b32 s0, exec_lo
	s_wait_loadcnt_dscnt 0x100
	v_mul_f32_e32 v58, v64, v61
	s_delay_alu instid0(VALU_DEP_1) | instskip(SKIP_2) | instid1(VALU_DEP_1)
	v_fmac_f32_e32 v58, v65, v60
	v_mul_f32_e32 v57, v65, v61
	v_mul_f32_e32 v61, v66, v63
	v_fmac_f32_e32 v61, v67, v62
	s_delay_alu instid0(VALU_DEP_4) | instskip(NEXT) | instid1(VALU_DEP_4)
	v_dual_add_f32 v58, 0, v58 :: v_dual_mul_f32 v63, v67, v63
	v_fma_f32 v57, v64, v60, -v57
	s_delay_alu instid0(VALU_DEP_2) | instskip(NEXT) | instid1(VALU_DEP_3)
	v_add_f32_e32 v58, v58, v61
	v_fma_f32 v60, v66, v62, -v63
	s_wait_loadcnt 0x0
	s_delay_alu instid0(VALU_DEP_2) | instskip(NEXT) | instid1(VALU_DEP_1)
	v_dual_add_f32 v57, 0, v57 :: v_dual_sub_f32 v58, v69, v58
	v_add_f32_e32 v57, v57, v60
	s_delay_alu instid0(VALU_DEP_1)
	v_sub_f32_e32 v57, v68, v57
	scratch_store_b64 off, v[57:58], off offset:200
	v_cmpx_lt_u32_e32 24, v0
	s_cbranch_execz .LBB27_133
; %bb.132:
	scratch_load_b64 v[57:58], off, off offset:192
	v_mov_b32_e32 v60, 0
	s_delay_alu instid0(VALU_DEP_1)
	v_mov_b32_e32 v61, v60
	scratch_store_b64 off, v[60:61], off offset:192
	s_wait_loadcnt 0x0
	ds_store_b64 v59, v[57:58]
.LBB27_133:
	s_wait_alu 0xfffe
	s_or_b32 exec_lo, exec_lo, s0
	s_wait_storecnt_dscnt 0x0
	s_barrier_signal -1
	s_barrier_wait -1
	global_inv scope:SCOPE_SE
	s_clause 0x2
	scratch_load_b128 v[60:63], off, off offset:200
	scratch_load_b64 v[68:69], off, off offset:216
	scratch_load_b64 v[70:71], off, off offset:192
	v_mov_b32_e32 v57, 0
	ds_load_2addr_b64 v[64:67], v57 offset0:53 offset1:54
	ds_load_b64 v[72:73], v57 offset:440
	s_mov_b32 s0, exec_lo
	s_wait_loadcnt_dscnt 0x201
	v_mul_f32_e32 v58, v65, v61
	v_dual_mul_f32 v61, v64, v61 :: v_dual_mul_f32 v74, v66, v63
	v_mul_f32_e32 v63, v67, v63
	s_wait_loadcnt_dscnt 0x100
	v_mul_f32_e32 v75, v72, v69
	v_fma_f32 v58, v64, v60, -v58
	v_fmac_f32_e32 v61, v65, v60
	v_mul_f32_e32 v60, v73, v69
	v_fmac_f32_e32 v74, v67, v62
	v_fma_f32 v62, v66, v62, -v63
	s_delay_alu instid0(VALU_DEP_4) | instskip(NEXT) | instid1(VALU_DEP_4)
	v_dual_add_f32 v58, 0, v58 :: v_dual_add_f32 v61, 0, v61
	v_fma_f32 v60, v72, v68, -v60
	s_delay_alu instid0(VALU_DEP_2) | instskip(NEXT) | instid1(VALU_DEP_1)
	v_add_f32_e32 v58, v58, v62
	v_dual_add_f32 v61, v61, v74 :: v_dual_add_f32 v58, v58, v60
	s_wait_loadcnt 0x0
	s_delay_alu instid0(VALU_DEP_1) | instskip(NEXT) | instid1(VALU_DEP_1)
	v_dual_fmac_f32 v75, v73, v68 :: v_dual_sub_f32 v60, v70, v58
	v_add_f32_e32 v61, v61, v75
	s_delay_alu instid0(VALU_DEP_1)
	v_sub_f32_e32 v61, v71, v61
	scratch_store_b64 off, v[60:61], off offset:192
	v_cmpx_lt_u32_e32 23, v0
	s_cbranch_execz .LBB27_135
; %bb.134:
	scratch_load_b64 v[60:61], off, off offset:184
	v_mov_b32_e32 v58, v57
	scratch_store_b64 off, v[57:58], off offset:184
	s_wait_loadcnt 0x0
	ds_store_b64 v59, v[60:61]
.LBB27_135:
	s_wait_alu 0xfffe
	s_or_b32 exec_lo, exec_lo, s0
	s_wait_storecnt_dscnt 0x0
	s_barrier_signal -1
	s_barrier_wait -1
	global_inv scope:SCOPE_SE
	s_clause 0x2
	scratch_load_b128 v[60:63], off, off offset:192
	scratch_load_b128 v[64:67], off, off offset:208
	scratch_load_b64 v[76:77], off, off offset:184
	ds_load_b128 v[68:71], v57 offset:416
	ds_load_b128 v[72:75], v57 offset:432
	s_mov_b32 s0, exec_lo
	s_wait_loadcnt_dscnt 0x201
	v_mul_f32_e32 v58, v69, v61
	s_wait_loadcnt_dscnt 0x100
	v_dual_mul_f32 v78, v72, v65 :: v_dual_mul_f32 v79, v74, v67
	s_delay_alu instid0(VALU_DEP_2) | instskip(SKIP_2) | instid1(VALU_DEP_4)
	v_fma_f32 v58, v68, v60, -v58
	v_mul_f32_e32 v57, v68, v61
	v_mul_f32_e32 v61, v70, v63
	v_dual_mul_f32 v63, v71, v63 :: v_dual_fmac_f32 v78, v73, v64
	s_delay_alu instid0(VALU_DEP_3) | instskip(NEXT) | instid1(VALU_DEP_3)
	v_dual_add_f32 v58, 0, v58 :: v_dual_fmac_f32 v57, v69, v60
	v_dual_mul_f32 v60, v73, v65 :: v_dual_fmac_f32 v61, v71, v62
	s_delay_alu instid0(VALU_DEP_3) | instskip(SKIP_1) | instid1(VALU_DEP_3)
	v_fma_f32 v62, v70, v62, -v63
	v_fmac_f32_e32 v79, v75, v66
	v_fma_f32 v60, v72, v64, -v60
	s_delay_alu instid0(VALU_DEP_3) | instskip(NEXT) | instid1(VALU_DEP_1)
	v_dual_add_f32 v58, v58, v62 :: v_dual_add_f32 v57, 0, v57
	v_dual_add_f32 v58, v58, v60 :: v_dual_mul_f32 v63, v75, v67
	s_delay_alu instid0(VALU_DEP_2) | instskip(NEXT) | instid1(VALU_DEP_2)
	v_add_f32_e32 v57, v57, v61
	v_fma_f32 v61, v74, v66, -v63
	s_delay_alu instid0(VALU_DEP_1) | instskip(SKIP_1) | instid1(VALU_DEP_1)
	v_dual_add_f32 v57, v57, v78 :: v_dual_add_f32 v58, v58, v61
	s_wait_loadcnt 0x0
	v_dual_add_f32 v60, v57, v79 :: v_dual_sub_f32 v57, v76, v58
	s_delay_alu instid0(VALU_DEP_1)
	v_sub_f32_e32 v58, v77, v60
	scratch_store_b64 off, v[57:58], off offset:184
	v_cmpx_lt_u32_e32 22, v0
	s_cbranch_execz .LBB27_137
; %bb.136:
	scratch_load_b64 v[57:58], off, off offset:176
	v_mov_b32_e32 v60, 0
	s_delay_alu instid0(VALU_DEP_1)
	v_mov_b32_e32 v61, v60
	scratch_store_b64 off, v[60:61], off offset:176
	s_wait_loadcnt 0x0
	ds_store_b64 v59, v[57:58]
.LBB27_137:
	s_wait_alu 0xfffe
	s_or_b32 exec_lo, exec_lo, s0
	s_wait_storecnt_dscnt 0x0
	s_barrier_signal -1
	s_barrier_wait -1
	global_inv scope:SCOPE_SE
	s_clause 0x3
	scratch_load_b128 v[60:63], off, off offset:184
	scratch_load_b128 v[64:67], off, off offset:200
	scratch_load_b64 v[76:77], off, off offset:216
	scratch_load_b64 v[78:79], off, off offset:176
	v_mov_b32_e32 v57, 0
	ds_load_2addr_b64 v[68:71], v57 offset0:51 offset1:52
	ds_load_2addr_b64 v[72:75], v57 offset0:53 offset1:54
	ds_load_b64 v[80:81], v57 offset:440
	s_mov_b32 s0, exec_lo
	s_wait_loadcnt_dscnt 0x302
	v_mul_f32_e32 v58, v68, v61
	v_dual_mul_f32 v82, v70, v63 :: v_dual_mul_f32 v61, v69, v61
	s_wait_loadcnt_dscnt 0x100
	v_mul_f32_e32 v85, v80, v77
	v_dual_mul_f32 v83, v72, v65 :: v_dual_mul_f32 v84, v74, v67
	v_dual_fmac_f32 v58, v69, v60 :: v_dual_mul_f32 v63, v71, v63
	v_fma_f32 v61, v68, v60, -v61
	v_fmac_f32_e32 v82, v71, v62
	v_mul_f32_e32 v60, v73, v65
	s_delay_alu instid0(VALU_DEP_4) | instskip(SKIP_3) | instid1(VALU_DEP_4)
	v_add_f32_e32 v58, 0, v58
	v_fma_f32 v62, v70, v62, -v63
	v_add_f32_e32 v61, 0, v61
	v_mul_f32_e32 v63, v75, v67
	v_dual_fmac_f32 v83, v73, v64 :: v_dual_add_f32 v58, v58, v82
	v_dual_fmac_f32 v84, v75, v66 :: v_dual_fmac_f32 v85, v81, v76
	s_delay_alu instid0(VALU_DEP_4) | instskip(SKIP_1) | instid1(VALU_DEP_4)
	v_add_f32_e32 v61, v61, v62
	v_fma_f32 v60, v72, v64, -v60
	v_add_f32_e32 v58, v58, v83
	v_fma_f32 v63, v74, v66, -v63
	s_delay_alu instid0(VALU_DEP_3) | instskip(NEXT) | instid1(VALU_DEP_3)
	v_add_f32_e32 v60, v61, v60
	v_add_f32_e32 v58, v58, v84
	s_delay_alu instid0(VALU_DEP_2) | instskip(NEXT) | instid1(VALU_DEP_2)
	v_add_f32_e32 v60, v60, v63
	v_add_f32_e32 v58, v58, v85
	v_mul_f32_e32 v62, v81, v77
	s_delay_alu instid0(VALU_DEP_1) | instskip(SKIP_1) | instid1(VALU_DEP_1)
	v_fma_f32 v61, v80, v76, -v62
	s_wait_loadcnt 0x0
	v_dual_add_f32 v60, v60, v61 :: v_dual_sub_f32 v61, v79, v58
	s_delay_alu instid0(VALU_DEP_1)
	v_sub_f32_e32 v60, v78, v60
	scratch_store_b64 off, v[60:61], off offset:176
	v_cmpx_lt_u32_e32 21, v0
	s_cbranch_execz .LBB27_139
; %bb.138:
	scratch_load_b64 v[60:61], off, off offset:168
	v_mov_b32_e32 v58, v57
	scratch_store_b64 off, v[57:58], off offset:168
	s_wait_loadcnt 0x0
	ds_store_b64 v59, v[60:61]
.LBB27_139:
	s_wait_alu 0xfffe
	s_or_b32 exec_lo, exec_lo, s0
	s_wait_storecnt_dscnt 0x0
	s_barrier_signal -1
	s_barrier_wait -1
	global_inv scope:SCOPE_SE
	s_clause 0x3
	scratch_load_b128 v[60:63], off, off offset:176
	scratch_load_b128 v[64:67], off, off offset:192
	;; [unrolled: 1-line block ×3, first 2 shown]
	scratch_load_b64 v[84:85], off, off offset:168
	ds_load_b128 v[72:75], v57 offset:400
	ds_load_b128 v[76:79], v57 offset:416
	;; [unrolled: 1-line block ×3, first 2 shown]
	s_mov_b32 s0, exec_lo
	s_wait_loadcnt_dscnt 0x302
	v_dual_mul_f32 v57, v72, v61 :: v_dual_mul_f32 v58, v74, v63
	v_mul_f32_e32 v61, v73, v61
	s_wait_loadcnt_dscnt 0x201
	v_dual_mul_f32 v63, v75, v63 :: v_dual_mul_f32 v86, v76, v65
	s_delay_alu instid0(VALU_DEP_3) | instskip(NEXT) | instid1(VALU_DEP_3)
	v_dual_mul_f32 v87, v78, v67 :: v_dual_fmac_f32 v58, v75, v62
	v_fma_f32 v61, v72, v60, -v61
	v_fmac_f32_e32 v57, v73, v60
	v_mul_f32_e32 v60, v77, v65
	v_fma_f32 v62, v74, v62, -v63
	v_mul_f32_e32 v63, v79, v67
	v_dual_add_f32 v61, 0, v61 :: v_dual_fmac_f32 v86, v77, v64
	s_delay_alu instid0(VALU_DEP_4) | instskip(SKIP_2) | instid1(VALU_DEP_3)
	v_fma_f32 v60, v76, v64, -v60
	s_wait_loadcnt_dscnt 0x100
	v_dual_mul_f32 v88, v80, v69 :: v_dual_mul_f32 v89, v82, v71
	v_add_f32_e32 v61, v61, v62
	v_fmac_f32_e32 v87, v79, v66
	v_fma_f32 v62, v78, v66, -v63
	s_delay_alu instid0(VALU_DEP_4) | instskip(NEXT) | instid1(VALU_DEP_4)
	v_dual_fmac_f32 v88, v81, v68 :: v_dual_fmac_f32 v89, v83, v70
	v_add_f32_e32 v60, v61, v60
	s_delay_alu instid0(VALU_DEP_1) | instskip(SKIP_1) | instid1(VALU_DEP_1)
	v_dual_add_f32 v60, v60, v62 :: v_dual_add_f32 v57, 0, v57
	v_mul_f32_e32 v61, v83, v71
	v_fma_f32 v61, v82, v70, -v61
	s_delay_alu instid0(VALU_DEP_3) | instskip(SKIP_1) | instid1(VALU_DEP_1)
	v_add_f32_e32 v57, v57, v58
	v_mul_f32_e32 v58, v81, v69
	v_fma_f32 v58, v80, v68, -v58
	s_delay_alu instid0(VALU_DEP_1) | instskip(NEXT) | instid1(VALU_DEP_1)
	v_add_f32_e32 v58, v60, v58
	v_dual_add_f32 v58, v58, v61 :: v_dual_add_f32 v57, v57, v86
	s_delay_alu instid0(VALU_DEP_1) | instskip(NEXT) | instid1(VALU_DEP_1)
	v_add_f32_e32 v57, v57, v87
	v_add_f32_e32 v57, v57, v88
	s_wait_loadcnt 0x0
	s_delay_alu instid0(VALU_DEP_1) | instskip(NEXT) | instid1(VALU_DEP_1)
	v_dual_add_f32 v60, v57, v89 :: v_dual_sub_f32 v57, v84, v58
	v_sub_f32_e32 v58, v85, v60
	scratch_store_b64 off, v[57:58], off offset:168
	v_cmpx_lt_u32_e32 20, v0
	s_cbranch_execz .LBB27_141
; %bb.140:
	scratch_load_b64 v[57:58], off, off offset:160
	v_mov_b32_e32 v60, 0
	s_delay_alu instid0(VALU_DEP_1)
	v_mov_b32_e32 v61, v60
	scratch_store_b64 off, v[60:61], off offset:160
	s_wait_loadcnt 0x0
	ds_store_b64 v59, v[57:58]
.LBB27_141:
	s_wait_alu 0xfffe
	s_or_b32 exec_lo, exec_lo, s0
	s_wait_storecnt_dscnt 0x0
	s_barrier_signal -1
	s_barrier_wait -1
	global_inv scope:SCOPE_SE
	s_clause 0x4
	scratch_load_b128 v[60:63], off, off offset:168
	scratch_load_b128 v[64:67], off, off offset:184
	scratch_load_b128 v[68:71], off, off offset:200
	scratch_load_b64 v[84:85], off, off offset:216
	scratch_load_b64 v[86:87], off, off offset:160
	v_mov_b32_e32 v57, 0
	ds_load_2addr_b64 v[72:75], v57 offset0:49 offset1:50
	ds_load_2addr_b64 v[76:79], v57 offset0:51 offset1:52
	;; [unrolled: 1-line block ×3, first 2 shown]
	ds_load_b64 v[88:89], v57 offset:440
	s_mov_b32 s0, exec_lo
	s_wait_loadcnt_dscnt 0x403
	v_mul_f32_e32 v58, v72, v61
	s_wait_loadcnt_dscnt 0x302
	v_dual_mul_f32 v90, v74, v63 :: v_dual_mul_f32 v91, v76, v65
	v_dual_mul_f32 v92, v78, v67 :: v_dual_mul_f32 v61, v73, v61
	s_wait_loadcnt_dscnt 0x100
	v_dual_mul_f32 v95, v88, v85 :: v_dual_fmac_f32 v58, v73, v60
	v_mul_f32_e32 v63, v75, v63
	v_dual_mul_f32 v93, v80, v69 :: v_dual_mul_f32 v94, v82, v71
	v_fma_f32 v61, v72, v60, -v61
	v_fmac_f32_e32 v90, v75, v62
	v_add_f32_e32 v58, 0, v58
	v_mul_f32_e32 v60, v77, v65
	v_fma_f32 v62, v74, v62, -v63
	v_add_f32_e32 v61, 0, v61
	v_mul_f32_e32 v63, v79, v67
	v_dual_fmac_f32 v91, v77, v64 :: v_dual_add_f32 v58, v58, v90
	v_dual_fmac_f32 v92, v79, v66 :: v_dual_fmac_f32 v93, v81, v68
	s_delay_alu instid0(VALU_DEP_4) | instskip(SKIP_1) | instid1(VALU_DEP_4)
	v_add_f32_e32 v61, v61, v62
	v_dual_fmac_f32 v94, v83, v70 :: v_dual_fmac_f32 v95, v89, v84
	v_add_f32_e32 v58, v58, v91
	v_fma_f32 v60, v76, v64, -v60
	v_mul_f32_e32 v62, v81, v69
	v_fma_f32 v63, v78, v66, -v63
	s_delay_alu instid0(VALU_DEP_4) | instskip(NEXT) | instid1(VALU_DEP_1)
	v_add_f32_e32 v58, v58, v92
	v_add_f32_e32 v58, v58, v93
	s_delay_alu instid0(VALU_DEP_1) | instskip(NEXT) | instid1(VALU_DEP_1)
	v_add_f32_e32 v58, v58, v94
	v_add_f32_e32 v58, v58, v95
	v_dual_add_f32 v60, v61, v60 :: v_dual_mul_f32 v61, v83, v71
	v_fma_f32 v62, v80, v68, -v62
	s_delay_alu instid0(VALU_DEP_2) | instskip(NEXT) | instid1(VALU_DEP_3)
	v_dual_add_f32 v60, v60, v63 :: v_dual_mul_f32 v63, v89, v85
	v_fma_f32 v61, v82, v70, -v61
	s_delay_alu instid0(VALU_DEP_2) | instskip(NEXT) | instid1(VALU_DEP_3)
	v_add_f32_e32 v60, v60, v62
	v_fma_f32 v62, v88, v84, -v63
	s_wait_loadcnt 0x0
	s_delay_alu instid0(VALU_DEP_2) | instskip(NEXT) | instid1(VALU_DEP_1)
	v_dual_add_f32 v60, v60, v61 :: v_dual_sub_f32 v61, v87, v58
	v_add_f32_e32 v60, v60, v62
	s_delay_alu instid0(VALU_DEP_1)
	v_sub_f32_e32 v60, v86, v60
	scratch_store_b64 off, v[60:61], off offset:160
	v_cmpx_lt_u32_e32 19, v0
	s_cbranch_execz .LBB27_143
; %bb.142:
	scratch_load_b64 v[60:61], off, off offset:152
	v_mov_b32_e32 v58, v57
	scratch_store_b64 off, v[57:58], off offset:152
	s_wait_loadcnt 0x0
	ds_store_b64 v59, v[60:61]
.LBB27_143:
	s_wait_alu 0xfffe
	s_or_b32 exec_lo, exec_lo, s0
	s_wait_storecnt_dscnt 0x0
	s_barrier_signal -1
	s_barrier_wait -1
	global_inv scope:SCOPE_SE
	s_clause 0x4
	scratch_load_b128 v[60:63], off, off offset:160
	scratch_load_b128 v[64:67], off, off offset:176
	;; [unrolled: 1-line block ×4, first 2 shown]
	scratch_load_b64 v[92:93], off, off offset:152
	ds_load_b128 v[76:79], v57 offset:384
	ds_load_b128 v[80:83], v57 offset:400
	;; [unrolled: 1-line block ×4, first 2 shown]
	s_mov_b32 s0, exec_lo
	s_wait_loadcnt_dscnt 0x403
	v_dual_mul_f32 v57, v76, v61 :: v_dual_mul_f32 v58, v78, v63
	v_mul_f32_e32 v61, v77, v61
	s_wait_loadcnt_dscnt 0x302
	v_dual_mul_f32 v63, v79, v63 :: v_dual_mul_f32 v94, v80, v65
	s_delay_alu instid0(VALU_DEP_3) | instskip(NEXT) | instid1(VALU_DEP_3)
	v_dual_mul_f32 v95, v82, v67 :: v_dual_fmac_f32 v58, v79, v62
	v_fma_f32 v61, v76, v60, -v61
	v_fmac_f32_e32 v57, v77, v60
	v_mul_f32_e32 v60, v81, v65
	v_fma_f32 v62, v78, v62, -v63
	v_mul_f32_e32 v63, v83, v67
	v_dual_add_f32 v61, 0, v61 :: v_dual_fmac_f32 v94, v81, v64
	s_delay_alu instid0(VALU_DEP_4) | instskip(SKIP_2) | instid1(VALU_DEP_3)
	v_fma_f32 v60, v80, v64, -v60
	s_wait_loadcnt_dscnt 0x201
	v_dual_mul_f32 v96, v84, v69 :: v_dual_mul_f32 v97, v86, v71
	v_add_f32_e32 v61, v61, v62
	v_fmac_f32_e32 v95, v83, v66
	v_fma_f32 v62, v82, v66, -v63
	s_wait_loadcnt_dscnt 0x100
	v_dual_mul_f32 v98, v88, v73 :: v_dual_mul_f32 v99, v90, v75
	v_dual_add_f32 v60, v61, v60 :: v_dual_mul_f32 v61, v87, v71
	v_dual_fmac_f32 v96, v85, v68 :: v_dual_fmac_f32 v97, v87, v70
	s_delay_alu instid0(VALU_DEP_3) | instskip(NEXT) | instid1(VALU_DEP_3)
	v_fmac_f32_e32 v98, v89, v72
	v_dual_add_f32 v60, v60, v62 :: v_dual_add_f32 v57, 0, v57
	v_mul_f32_e32 v62, v89, v73
	v_fma_f32 v61, v86, v70, -v61
	v_fmac_f32_e32 v99, v91, v74
	s_delay_alu instid0(VALU_DEP_4) | instskip(SKIP_2) | instid1(VALU_DEP_2)
	v_add_f32_e32 v57, v57, v58
	v_mul_f32_e32 v58, v85, v69
	v_fma_f32 v62, v88, v72, -v62
	v_fma_f32 v58, v84, v68, -v58
	s_delay_alu instid0(VALU_DEP_1) | instskip(SKIP_1) | instid1(VALU_DEP_2)
	v_add_f32_e32 v58, v60, v58
	v_mul_f32_e32 v60, v91, v75
	v_add_f32_e32 v58, v58, v61
	s_delay_alu instid0(VALU_DEP_2) | instskip(NEXT) | instid1(VALU_DEP_2)
	v_fma_f32 v60, v90, v74, -v60
	v_add_f32_e32 v58, v58, v62
	s_delay_alu instid0(VALU_DEP_1) | instskip(NEXT) | instid1(VALU_DEP_1)
	v_dual_add_f32 v57, v57, v94 :: v_dual_add_f32 v58, v58, v60
	v_add_f32_e32 v57, v57, v95
	s_delay_alu instid0(VALU_DEP_1) | instskip(NEXT) | instid1(VALU_DEP_1)
	v_add_f32_e32 v57, v57, v96
	v_add_f32_e32 v57, v57, v97
	s_delay_alu instid0(VALU_DEP_1) | instskip(SKIP_1) | instid1(VALU_DEP_1)
	v_add_f32_e32 v57, v57, v98
	s_wait_loadcnt 0x0
	v_dual_add_f32 v60, v57, v99 :: v_dual_sub_f32 v57, v92, v58
	s_delay_alu instid0(VALU_DEP_1)
	v_sub_f32_e32 v58, v93, v60
	scratch_store_b64 off, v[57:58], off offset:152
	v_cmpx_lt_u32_e32 18, v0
	s_cbranch_execz .LBB27_145
; %bb.144:
	scratch_load_b64 v[57:58], off, off offset:144
	v_mov_b32_e32 v60, 0
	s_delay_alu instid0(VALU_DEP_1)
	v_mov_b32_e32 v61, v60
	scratch_store_b64 off, v[60:61], off offset:144
	s_wait_loadcnt 0x0
	ds_store_b64 v59, v[57:58]
.LBB27_145:
	s_wait_alu 0xfffe
	s_or_b32 exec_lo, exec_lo, s0
	s_wait_storecnt_dscnt 0x0
	s_barrier_signal -1
	s_barrier_wait -1
	global_inv scope:SCOPE_SE
	s_clause 0x5
	scratch_load_b128 v[60:63], off, off offset:152
	scratch_load_b128 v[64:67], off, off offset:168
	;; [unrolled: 1-line block ×4, first 2 shown]
	scratch_load_b64 v[92:93], off, off offset:216
	scratch_load_b64 v[94:95], off, off offset:144
	v_mov_b32_e32 v57, 0
	ds_load_2addr_b64 v[76:79], v57 offset0:47 offset1:48
	ds_load_2addr_b64 v[80:83], v57 offset0:49 offset1:50
	;; [unrolled: 1-line block ×4, first 2 shown]
	ds_load_b64 v[96:97], v57 offset:440
	s_mov_b32 s0, exec_lo
	s_wait_loadcnt_dscnt 0x504
	v_mul_f32_e32 v58, v76, v61
	s_wait_loadcnt_dscnt 0x403
	v_dual_mul_f32 v98, v78, v63 :: v_dual_mul_f32 v99, v80, v65
	s_wait_loadcnt_dscnt 0x302
	v_dual_mul_f32 v102, v86, v71 :: v_dual_mul_f32 v61, v77, v61
	s_wait_loadcnt_dscnt 0x100
	v_dual_mul_f32 v105, v96, v93 :: v_dual_fmac_f32 v58, v77, v60
	v_mul_f32_e32 v63, v79, v63
	v_dual_mul_f32 v100, v82, v67 :: v_dual_mul_f32 v101, v84, v69
	v_fma_f32 v61, v76, v60, -v61
	v_fmac_f32_e32 v98, v79, v62
	v_add_f32_e32 v58, 0, v58
	v_mul_f32_e32 v60, v81, v65
	v_fma_f32 v62, v78, v62, -v63
	v_add_f32_e32 v61, 0, v61
	v_mul_f32_e32 v63, v83, v67
	v_dual_fmac_f32 v99, v81, v64 :: v_dual_add_f32 v58, v58, v98
	v_dual_fmac_f32 v100, v83, v66 :: v_dual_fmac_f32 v101, v85, v68
	s_delay_alu instid0(VALU_DEP_4) | instskip(SKIP_1) | instid1(VALU_DEP_4)
	v_add_f32_e32 v61, v61, v62
	v_dual_mul_f32 v103, v88, v73 :: v_dual_mul_f32 v104, v90, v75
	v_add_f32_e32 v58, v58, v99
	v_dual_fmac_f32 v102, v87, v70 :: v_dual_fmac_f32 v105, v97, v92
	s_delay_alu instid0(VALU_DEP_3) | instskip(NEXT) | instid1(VALU_DEP_3)
	v_dual_fmac_f32 v103, v89, v72 :: v_dual_fmac_f32 v104, v91, v74
	v_add_f32_e32 v58, v58, v100
	v_fma_f32 v60, v80, v64, -v60
	v_mul_f32_e32 v62, v85, v69
	v_fma_f32 v63, v82, v66, -v63
	s_delay_alu instid0(VALU_DEP_4) | instskip(NEXT) | instid1(VALU_DEP_1)
	v_add_f32_e32 v58, v58, v101
	v_add_f32_e32 v58, v58, v102
	s_delay_alu instid0(VALU_DEP_1) | instskip(NEXT) | instid1(VALU_DEP_1)
	v_add_f32_e32 v58, v58, v103
	v_add_f32_e32 v58, v58, v104
	s_delay_alu instid0(VALU_DEP_1) | instskip(SKIP_2) | instid1(VALU_DEP_2)
	v_add_f32_e32 v58, v58, v105
	v_dual_add_f32 v60, v61, v60 :: v_dual_mul_f32 v61, v87, v71
	v_fma_f32 v62, v84, v68, -v62
	v_dual_add_f32 v60, v60, v63 :: v_dual_mul_f32 v63, v89, v73
	s_delay_alu instid0(VALU_DEP_3) | instskip(NEXT) | instid1(VALU_DEP_2)
	v_fma_f32 v61, v86, v70, -v61
	v_add_f32_e32 v60, v60, v62
	v_mul_f32_e32 v62, v91, v75
	s_delay_alu instid0(VALU_DEP_4) | instskip(NEXT) | instid1(VALU_DEP_3)
	v_fma_f32 v63, v88, v72, -v63
	v_add_f32_e32 v60, v60, v61
	v_mul_f32_e32 v61, v97, v93
	s_delay_alu instid0(VALU_DEP_4) | instskip(NEXT) | instid1(VALU_DEP_3)
	v_fma_f32 v62, v90, v74, -v62
	v_add_f32_e32 v60, v60, v63
	s_delay_alu instid0(VALU_DEP_3) | instskip(NEXT) | instid1(VALU_DEP_2)
	v_fma_f32 v61, v96, v92, -v61
	v_add_f32_e32 v60, v60, v62
	s_wait_loadcnt 0x0
	s_delay_alu instid0(VALU_DEP_1) | instskip(NEXT) | instid1(VALU_DEP_1)
	v_dual_add_f32 v60, v60, v61 :: v_dual_sub_f32 v61, v95, v58
	v_sub_f32_e32 v60, v94, v60
	scratch_store_b64 off, v[60:61], off offset:144
	v_cmpx_lt_u32_e32 17, v0
	s_cbranch_execz .LBB27_147
; %bb.146:
	scratch_load_b64 v[60:61], off, off offset:136
	v_mov_b32_e32 v58, v57
	scratch_store_b64 off, v[57:58], off offset:136
	s_wait_loadcnt 0x0
	ds_store_b64 v59, v[60:61]
.LBB27_147:
	s_wait_alu 0xfffe
	s_or_b32 exec_lo, exec_lo, s0
	s_wait_storecnt_dscnt 0x0
	s_barrier_signal -1
	s_barrier_wait -1
	global_inv scope:SCOPE_SE
	s_clause 0x5
	scratch_load_b128 v[60:63], off, off offset:144
	scratch_load_b128 v[64:67], off, off offset:160
	;; [unrolled: 1-line block ×5, first 2 shown]
	scratch_load_b64 v[100:101], off, off offset:136
	ds_load_b128 v[80:83], v57 offset:368
	ds_load_b128 v[84:87], v57 offset:384
	;; [unrolled: 1-line block ×5, first 2 shown]
	s_mov_b32 s0, exec_lo
	s_wait_loadcnt_dscnt 0x504
	v_dual_mul_f32 v57, v80, v61 :: v_dual_mul_f32 v58, v82, v63
	v_mul_f32_e32 v61, v81, v61
	s_wait_loadcnt_dscnt 0x403
	v_dual_mul_f32 v63, v83, v63 :: v_dual_mul_f32 v102, v84, v65
	s_delay_alu instid0(VALU_DEP_3) | instskip(NEXT) | instid1(VALU_DEP_3)
	v_dual_mul_f32 v103, v86, v67 :: v_dual_fmac_f32 v58, v83, v62
	v_fma_f32 v61, v80, v60, -v61
	v_fmac_f32_e32 v57, v81, v60
	v_mul_f32_e32 v60, v85, v65
	v_fma_f32 v62, v82, v62, -v63
	v_mul_f32_e32 v63, v87, v67
	v_dual_add_f32 v61, 0, v61 :: v_dual_fmac_f32 v102, v85, v64
	s_delay_alu instid0(VALU_DEP_4) | instskip(SKIP_2) | instid1(VALU_DEP_3)
	v_fma_f32 v60, v84, v64, -v60
	s_wait_loadcnt_dscnt 0x302
	v_dual_mul_f32 v104, v88, v69 :: v_dual_mul_f32 v105, v90, v71
	v_add_f32_e32 v61, v61, v62
	v_fmac_f32_e32 v103, v87, v66
	v_fma_f32 v62, v86, v66, -v63
	s_wait_loadcnt_dscnt 0x201
	v_dual_mul_f32 v106, v92, v73 :: v_dual_mul_f32 v107, v94, v75
	v_dual_add_f32 v60, v61, v60 :: v_dual_mul_f32 v61, v91, v71
	v_fmac_f32_e32 v104, v89, v68
	s_wait_loadcnt_dscnt 0x100
	v_dual_mul_f32 v108, v96, v77 :: v_dual_mul_f32 v109, v98, v79
	s_delay_alu instid0(VALU_DEP_3) | instskip(SKIP_3) | instid1(VALU_DEP_4)
	v_dual_add_f32 v60, v60, v62 :: v_dual_add_f32 v57, 0, v57
	v_mul_f32_e32 v62, v93, v73
	v_fma_f32 v61, v90, v70, -v61
	v_dual_fmac_f32 v105, v91, v70 :: v_dual_fmac_f32 v106, v93, v72
	v_add_f32_e32 v57, v57, v58
	v_mul_f32_e32 v58, v89, v69
	v_fma_f32 v62, v92, v72, -v62
	v_dual_fmac_f32 v107, v95, v74 :: v_dual_fmac_f32 v108, v97, v76
	s_delay_alu instid0(VALU_DEP_3) | instskip(NEXT) | instid1(VALU_DEP_1)
	v_fma_f32 v58, v88, v68, -v58
	v_add_f32_e32 v58, v60, v58
	v_mul_f32_e32 v60, v95, v75
	s_delay_alu instid0(VALU_DEP_2) | instskip(SKIP_1) | instid1(VALU_DEP_3)
	v_dual_add_f32 v58, v58, v61 :: v_dual_add_f32 v57, v57, v102
	v_mul_f32_e32 v61, v97, v77
	v_fma_f32 v60, v94, v74, -v60
	s_delay_alu instid0(VALU_DEP_3) | instskip(SKIP_3) | instid1(VALU_DEP_4)
	v_add_f32_e32 v58, v58, v62
	v_mul_f32_e32 v62, v99, v79
	v_add_f32_e32 v57, v57, v103
	v_fma_f32 v61, v96, v76, -v61
	v_dual_add_f32 v58, v58, v60 :: v_dual_fmac_f32 v109, v99, v78
	s_delay_alu instid0(VALU_DEP_3) | instskip(SKIP_1) | instid1(VALU_DEP_3)
	v_add_f32_e32 v57, v57, v104
	v_fma_f32 v60, v98, v78, -v62
	v_add_f32_e32 v58, v58, v61
	s_delay_alu instid0(VALU_DEP_1) | instskip(NEXT) | instid1(VALU_DEP_1)
	v_dual_add_f32 v57, v57, v105 :: v_dual_add_f32 v58, v58, v60
	v_add_f32_e32 v57, v57, v106
	s_delay_alu instid0(VALU_DEP_1) | instskip(NEXT) | instid1(VALU_DEP_1)
	v_add_f32_e32 v57, v57, v107
	v_add_f32_e32 v57, v57, v108
	s_wait_loadcnt 0x0
	s_delay_alu instid0(VALU_DEP_1) | instskip(NEXT) | instid1(VALU_DEP_1)
	v_dual_add_f32 v60, v57, v109 :: v_dual_sub_f32 v57, v100, v58
	v_sub_f32_e32 v58, v101, v60
	scratch_store_b64 off, v[57:58], off offset:136
	v_cmpx_lt_u32_e32 16, v0
	s_cbranch_execz .LBB27_149
; %bb.148:
	scratch_load_b64 v[57:58], off, off offset:128
	v_mov_b32_e32 v60, 0
	s_delay_alu instid0(VALU_DEP_1)
	v_mov_b32_e32 v61, v60
	scratch_store_b64 off, v[60:61], off offset:128
	s_wait_loadcnt 0x0
	ds_store_b64 v59, v[57:58]
.LBB27_149:
	s_wait_alu 0xfffe
	s_or_b32 exec_lo, exec_lo, s0
	s_wait_storecnt_dscnt 0x0
	s_barrier_signal -1
	s_barrier_wait -1
	global_inv scope:SCOPE_SE
	s_clause 0x6
	scratch_load_b128 v[60:63], off, off offset:136
	scratch_load_b128 v[64:67], off, off offset:152
	;; [unrolled: 1-line block ×5, first 2 shown]
	scratch_load_b64 v[100:101], off, off offset:216
	scratch_load_b64 v[102:103], off, off offset:128
	v_mov_b32_e32 v57, 0
	ds_load_2addr_b64 v[80:83], v57 offset0:45 offset1:46
	ds_load_2addr_b64 v[84:87], v57 offset0:47 offset1:48
	;; [unrolled: 1-line block ×5, first 2 shown]
	ds_load_b64 v[104:105], v57 offset:440
	s_mov_b32 s0, exec_lo
	s_wait_loadcnt_dscnt 0x605
	v_mul_f32_e32 v58, v80, v61
	v_dual_mul_f32 v61, v81, v61 :: v_dual_mul_f32 v106, v82, v63
	s_wait_loadcnt_dscnt 0x302
	v_dual_mul_f32 v107, v84, v65 :: v_dual_mul_f32 v112, v94, v75
	s_wait_loadcnt_dscnt 0x100
	v_dual_mul_f32 v115, v104, v101 :: v_dual_fmac_f32 v58, v81, v60
	v_mul_f32_e32 v63, v83, v63
	v_fma_f32 v61, v80, v60, -v61
	v_mul_f32_e32 v60, v85, v65
	v_fmac_f32_e32 v106, v83, v62
	v_add_f32_e32 v58, 0, v58
	v_fma_f32 v62, v82, v62, -v63
	v_add_f32_e32 v61, 0, v61
	v_mul_f32_e32 v63, v87, v67
	s_delay_alu instid0(VALU_DEP_4) | instskip(SKIP_1) | instid1(VALU_DEP_4)
	v_dual_fmac_f32 v107, v85, v64 :: v_dual_add_f32 v58, v58, v106
	v_fma_f32 v60, v84, v64, -v60
	v_dual_add_f32 v61, v61, v62 :: v_dual_mul_f32 v108, v86, v67
	v_mul_f32_e32 v109, v88, v69
	v_mul_f32_e32 v62, v89, v69
	v_fma_f32 v63, v86, v66, -v63
	v_add_f32_e32 v58, v58, v107
	v_add_f32_e32 v60, v61, v60
	v_dual_fmac_f32 v108, v87, v66 :: v_dual_fmac_f32 v109, v89, v68
	v_mul_f32_e32 v61, v91, v71
	v_fma_f32 v62, v88, v68, -v62
	s_delay_alu instid0(VALU_DEP_4) | instskip(SKIP_4) | instid1(VALU_DEP_3)
	v_dual_add_f32 v60, v60, v63 :: v_dual_mul_f32 v63, v93, v73
	v_dual_mul_f32 v110, v90, v71 :: v_dual_mul_f32 v111, v92, v73
	v_dual_mul_f32 v113, v96, v77 :: v_dual_mul_f32 v114, v98, v79
	v_add_f32_e32 v58, v58, v108
	v_fma_f32 v61, v90, v70, -v61
	v_dual_add_f32 v60, v60, v62 :: v_dual_fmac_f32 v113, v97, v76
	v_dual_fmac_f32 v110, v91, v70 :: v_dual_fmac_f32 v111, v93, v72
	v_mul_f32_e32 v62, v95, v75
	s_delay_alu instid0(VALU_DEP_3)
	v_add_f32_e32 v60, v60, v61
	v_mul_f32_e32 v61, v97, v77
	v_dual_add_f32 v58, v58, v109 :: v_dual_fmac_f32 v115, v105, v100
	v_fma_f32 v63, v92, v72, -v63
	v_fmac_f32_e32 v112, v95, v74
	v_fma_f32 v62, v94, v74, -v62
	s_delay_alu instid0(VALU_DEP_4)
	v_add_f32_e32 v58, v58, v110
	v_fma_f32 v61, v96, v76, -v61
	v_add_f32_e32 v60, v60, v63
	v_mul_f32_e32 v63, v99, v79
	v_fmac_f32_e32 v114, v99, v78
	v_add_f32_e32 v58, v58, v111
	s_delay_alu instid0(VALU_DEP_4) | instskip(SKIP_2) | instid1(VALU_DEP_4)
	v_add_f32_e32 v60, v60, v62
	v_mul_f32_e32 v62, v105, v101
	v_fma_f32 v63, v98, v78, -v63
	v_add_f32_e32 v58, v58, v112
	s_delay_alu instid0(VALU_DEP_4) | instskip(NEXT) | instid1(VALU_DEP_4)
	v_add_f32_e32 v60, v60, v61
	v_fma_f32 v61, v104, v100, -v62
	s_delay_alu instid0(VALU_DEP_3) | instskip(NEXT) | instid1(VALU_DEP_3)
	v_add_f32_e32 v58, v58, v113
	v_add_f32_e32 v60, v60, v63
	s_delay_alu instid0(VALU_DEP_2) | instskip(NEXT) | instid1(VALU_DEP_2)
	v_add_f32_e32 v58, v58, v114
	v_add_f32_e32 v60, v60, v61
	s_delay_alu instid0(VALU_DEP_2) | instskip(SKIP_1) | instid1(VALU_DEP_1)
	v_add_f32_e32 v58, v58, v115
	s_wait_loadcnt 0x0
	v_dual_sub_f32 v60, v102, v60 :: v_dual_sub_f32 v61, v103, v58
	scratch_store_b64 off, v[60:61], off offset:128
	v_cmpx_lt_u32_e32 15, v0
	s_cbranch_execz .LBB27_151
; %bb.150:
	scratch_load_b64 v[60:61], off, off offset:120
	v_mov_b32_e32 v58, v57
	scratch_store_b64 off, v[57:58], off offset:120
	s_wait_loadcnt 0x0
	ds_store_b64 v59, v[60:61]
.LBB27_151:
	s_wait_alu 0xfffe
	s_or_b32 exec_lo, exec_lo, s0
	s_wait_storecnt_dscnt 0x0
	s_barrier_signal -1
	s_barrier_wait -1
	global_inv scope:SCOPE_SE
	s_clause 0x6
	scratch_load_b128 v[60:63], off, off offset:128
	scratch_load_b128 v[64:67], off, off offset:144
	;; [unrolled: 1-line block ×6, first 2 shown]
	scratch_load_b64 v[108:109], off, off offset:120
	ds_load_b128 v[84:87], v57 offset:352
	ds_load_b128 v[88:91], v57 offset:368
	;; [unrolled: 1-line block ×6, first 2 shown]
	s_mov_b32 s0, exec_lo
	s_wait_loadcnt_dscnt 0x605
	v_dual_mul_f32 v57, v84, v61 :: v_dual_mul_f32 v58, v86, v63
	v_mul_f32_e32 v61, v85, v61
	s_wait_loadcnt_dscnt 0x504
	v_dual_mul_f32 v63, v87, v63 :: v_dual_mul_f32 v110, v88, v65
	s_delay_alu instid0(VALU_DEP_3) | instskip(NEXT) | instid1(VALU_DEP_3)
	v_dual_mul_f32 v111, v90, v67 :: v_dual_fmac_f32 v58, v87, v62
	v_fma_f32 v61, v84, v60, -v61
	v_fmac_f32_e32 v57, v85, v60
	v_mul_f32_e32 v60, v89, v65
	v_fma_f32 v62, v86, v62, -v63
	v_mul_f32_e32 v63, v91, v67
	v_dual_add_f32 v61, 0, v61 :: v_dual_fmac_f32 v110, v89, v64
	s_delay_alu instid0(VALU_DEP_4) | instskip(SKIP_2) | instid1(VALU_DEP_3)
	v_fma_f32 v60, v88, v64, -v60
	s_wait_loadcnt_dscnt 0x403
	v_dual_mul_f32 v112, v92, v69 :: v_dual_mul_f32 v113, v94, v71
	v_add_f32_e32 v61, v61, v62
	v_fmac_f32_e32 v111, v91, v66
	v_fma_f32 v62, v90, v66, -v63
	s_wait_loadcnt_dscnt 0x302
	v_dual_mul_f32 v114, v96, v73 :: v_dual_mul_f32 v115, v98, v75
	v_dual_add_f32 v60, v61, v60 :: v_dual_mul_f32 v61, v95, v71
	v_fmac_f32_e32 v112, v93, v68
	s_wait_loadcnt_dscnt 0x201
	v_dual_mul_f32 v116, v100, v77 :: v_dual_mul_f32 v117, v102, v79
	s_delay_alu instid0(VALU_DEP_3) | instskip(SKIP_3) | instid1(VALU_DEP_4)
	v_dual_add_f32 v60, v60, v62 :: v_dual_add_f32 v57, 0, v57
	v_mul_f32_e32 v62, v97, v73
	v_fma_f32 v61, v94, v70, -v61
	v_dual_fmac_f32 v113, v95, v70 :: v_dual_fmac_f32 v114, v97, v72
	v_add_f32_e32 v57, v57, v58
	v_mul_f32_e32 v58, v93, v69
	v_fma_f32 v62, v96, v72, -v62
	v_dual_fmac_f32 v115, v99, v74 :: v_dual_fmac_f32 v116, v101, v76
	s_wait_loadcnt_dscnt 0x100
	v_dual_mul_f32 v118, v104, v81 :: v_dual_mul_f32 v119, v106, v83
	v_fma_f32 v58, v92, v68, -v58
	s_delay_alu instid0(VALU_DEP_2) | instskip(NEXT) | instid1(VALU_DEP_3)
	v_dual_fmac_f32 v117, v103, v78 :: v_dual_fmac_f32 v118, v105, v80
	v_fmac_f32_e32 v119, v107, v82
	s_delay_alu instid0(VALU_DEP_3) | instskip(SKIP_1) | instid1(VALU_DEP_2)
	v_add_f32_e32 v58, v60, v58
	v_mul_f32_e32 v60, v99, v75
	v_dual_add_f32 v58, v58, v61 :: v_dual_add_f32 v57, v57, v110
	v_mul_f32_e32 v61, v101, v77
	s_delay_alu instid0(VALU_DEP_3) | instskip(NEXT) | instid1(VALU_DEP_3)
	v_fma_f32 v60, v98, v74, -v60
	v_add_f32_e32 v58, v58, v62
	v_mul_f32_e32 v62, v103, v79
	v_add_f32_e32 v57, v57, v111
	v_fma_f32 v61, v100, v76, -v61
	s_delay_alu instid0(VALU_DEP_4) | instskip(SKIP_1) | instid1(VALU_DEP_4)
	v_add_f32_e32 v58, v58, v60
	v_mul_f32_e32 v60, v105, v81
	v_add_f32_e32 v57, v57, v112
	v_fma_f32 v62, v102, v78, -v62
	s_delay_alu instid0(VALU_DEP_4) | instskip(NEXT) | instid1(VALU_DEP_3)
	v_dual_add_f32 v58, v58, v61 :: v_dual_mul_f32 v61, v107, v83
	v_add_f32_e32 v57, v57, v113
	v_fma_f32 v60, v104, v80, -v60
	s_delay_alu instid0(VALU_DEP_3) | instskip(NEXT) | instid1(VALU_DEP_4)
	v_add_f32_e32 v58, v58, v62
	v_fma_f32 v61, v106, v82, -v61
	s_delay_alu instid0(VALU_DEP_2) | instskip(NEXT) | instid1(VALU_DEP_1)
	v_dual_add_f32 v57, v57, v114 :: v_dual_add_f32 v58, v58, v60
	v_dual_add_f32 v57, v57, v115 :: v_dual_add_f32 v58, v58, v61
	s_delay_alu instid0(VALU_DEP_1) | instskip(NEXT) | instid1(VALU_DEP_1)
	v_add_f32_e32 v57, v57, v116
	v_add_f32_e32 v57, v57, v117
	s_delay_alu instid0(VALU_DEP_1) | instskip(SKIP_1) | instid1(VALU_DEP_1)
	v_add_f32_e32 v57, v57, v118
	s_wait_loadcnt 0x0
	v_dual_add_f32 v60, v57, v119 :: v_dual_sub_f32 v57, v108, v58
	s_delay_alu instid0(VALU_DEP_1)
	v_sub_f32_e32 v58, v109, v60
	scratch_store_b64 off, v[57:58], off offset:120
	v_cmpx_lt_u32_e32 14, v0
	s_cbranch_execz .LBB27_153
; %bb.152:
	scratch_load_b64 v[57:58], off, off offset:112
	v_mov_b32_e32 v60, 0
	s_delay_alu instid0(VALU_DEP_1)
	v_mov_b32_e32 v61, v60
	scratch_store_b64 off, v[60:61], off offset:112
	s_wait_loadcnt 0x0
	ds_store_b64 v59, v[57:58]
.LBB27_153:
	s_wait_alu 0xfffe
	s_or_b32 exec_lo, exec_lo, s0
	s_wait_storecnt_dscnt 0x0
	s_barrier_signal -1
	s_barrier_wait -1
	global_inv scope:SCOPE_SE
	s_clause 0x7
	scratch_load_b128 v[60:63], off, off offset:120
	scratch_load_b128 v[64:67], off, off offset:136
	;; [unrolled: 1-line block ×6, first 2 shown]
	scratch_load_b64 v[108:109], off, off offset:216
	scratch_load_b64 v[110:111], off, off offset:112
	v_mov_b32_e32 v57, 0
	ds_load_2addr_b64 v[84:87], v57 offset0:43 offset1:44
	ds_load_2addr_b64 v[88:91], v57 offset0:45 offset1:46
	;; [unrolled: 1-line block ×6, first 2 shown]
	ds_load_b64 v[112:113], v57 offset:440
	s_mov_b32 s0, exec_lo
	s_wait_loadcnt_dscnt 0x706
	v_mul_f32_e32 v58, v84, v61
	v_dual_mul_f32 v61, v85, v61 :: v_dual_mul_f32 v114, v86, v63
	s_wait_loadcnt_dscnt 0x302
	v_dual_mul_f32 v115, v88, v65 :: v_dual_mul_f32 v122, v102, v79
	v_mul_f32_e32 v63, v87, v63
	s_wait_loadcnt_dscnt 0x100
	v_dual_mul_f32 v125, v112, v109 :: v_dual_fmac_f32 v58, v85, v60
	v_fma_f32 v61, v84, v60, -v61
	v_mul_f32_e32 v60, v89, v65
	v_fmac_f32_e32 v114, v87, v62
	v_fma_f32 v62, v86, v62, -v63
	v_dual_add_f32 v58, 0, v58 :: v_dual_mul_f32 v63, v91, v67
	v_add_f32_e32 v61, 0, v61
	v_fmac_f32_e32 v115, v89, v64
	v_fma_f32 v60, v88, v64, -v60
	s_delay_alu instid0(VALU_DEP_4)
	v_add_f32_e32 v58, v58, v114
	v_fma_f32 v63, v90, v66, -v63
	v_add_f32_e32 v61, v61, v62
	v_mul_f32_e32 v62, v93, v69
	v_dual_mul_f32 v116, v90, v67 :: v_dual_mul_f32 v117, v92, v69
	v_add_f32_e32 v58, v58, v115
	s_delay_alu instid0(VALU_DEP_4) | instskip(NEXT) | instid1(VALU_DEP_4)
	v_dual_add_f32 v60, v61, v60 :: v_dual_mul_f32 v61, v95, v71
	v_fma_f32 v62, v92, v68, -v62
	v_dual_mul_f32 v120, v98, v75 :: v_dual_mul_f32 v121, v100, v77
	s_delay_alu instid0(VALU_DEP_3) | instskip(NEXT) | instid1(VALU_DEP_4)
	v_dual_add_f32 v60, v60, v63 :: v_dual_mul_f32 v63, v97, v73
	v_fma_f32 v61, v94, v70, -v61
	v_dual_mul_f32 v123, v104, v81 :: v_dual_mul_f32 v124, v106, v83
	s_delay_alu instid0(VALU_DEP_3) | instskip(SKIP_1) | instid1(VALU_DEP_3)
	v_dual_add_f32 v60, v60, v62 :: v_dual_fmac_f32 v121, v101, v76
	v_dual_fmac_f32 v116, v91, v66 :: v_dual_fmac_f32 v117, v93, v68
	v_dual_mul_f32 v62, v99, v75 :: v_dual_fmac_f32 v123, v105, v80
	v_fma_f32 v63, v96, v72, -v63
	s_delay_alu instid0(VALU_DEP_4) | instskip(SKIP_3) | instid1(VALU_DEP_4)
	v_dual_add_f32 v60, v60, v61 :: v_dual_fmac_f32 v125, v113, v108
	v_dual_mul_f32 v118, v94, v71 :: v_dual_mul_f32 v119, v96, v73
	v_dual_add_f32 v58, v58, v116 :: v_dual_mul_f32 v61, v101, v77
	v_fma_f32 v62, v98, v74, -v62
	v_add_f32_e32 v60, v60, v63
	s_delay_alu instid0(VALU_DEP_4) | instskip(NEXT) | instid1(VALU_DEP_4)
	v_dual_fmac_f32 v118, v95, v70 :: v_dual_fmac_f32 v119, v97, v72
	v_dual_add_f32 v58, v58, v117 :: v_dual_mul_f32 v63, v103, v79
	v_fma_f32 v61, v100, v76, -v61
	s_delay_alu instid0(VALU_DEP_4)
	v_add_f32_e32 v60, v60, v62
	v_fmac_f32_e32 v120, v99, v74
	v_mul_f32_e32 v62, v105, v81
	v_fma_f32 v63, v102, v78, -v63
	v_fmac_f32_e32 v122, v103, v78
	v_dual_add_f32 v60, v60, v61 :: v_dual_mul_f32 v61, v107, v83
	v_add_f32_e32 v58, v58, v118
	v_fma_f32 v62, v104, v80, -v62
	v_fmac_f32_e32 v124, v107, v82
	s_delay_alu instid0(VALU_DEP_4) | instskip(NEXT) | instid1(VALU_DEP_4)
	v_dual_add_f32 v60, v60, v63 :: v_dual_mul_f32 v63, v113, v109
	v_add_f32_e32 v58, v58, v119
	v_fma_f32 v61, v106, v82, -v61
	s_delay_alu instid0(VALU_DEP_3) | instskip(NEXT) | instid1(VALU_DEP_4)
	v_add_f32_e32 v60, v60, v62
	v_fma_f32 v62, v112, v108, -v63
	s_delay_alu instid0(VALU_DEP_4) | instskip(NEXT) | instid1(VALU_DEP_3)
	v_add_f32_e32 v58, v58, v120
	v_add_f32_e32 v60, v60, v61
	s_delay_alu instid0(VALU_DEP_2) | instskip(NEXT) | instid1(VALU_DEP_2)
	v_add_f32_e32 v58, v58, v121
	v_add_f32_e32 v60, v60, v62
	s_delay_alu instid0(VALU_DEP_2) | instskip(SKIP_1) | instid1(VALU_DEP_2)
	v_add_f32_e32 v58, v58, v122
	s_wait_loadcnt 0x0
	v_sub_f32_e32 v60, v110, v60
	s_delay_alu instid0(VALU_DEP_2) | instskip(NEXT) | instid1(VALU_DEP_1)
	v_add_f32_e32 v58, v58, v123
	v_add_f32_e32 v58, v58, v124
	s_delay_alu instid0(VALU_DEP_1) | instskip(NEXT) | instid1(VALU_DEP_1)
	v_add_f32_e32 v58, v58, v125
	v_sub_f32_e32 v61, v111, v58
	scratch_store_b64 off, v[60:61], off offset:112
	v_cmpx_lt_u32_e32 13, v0
	s_cbranch_execz .LBB27_155
; %bb.154:
	scratch_load_b64 v[60:61], off, off offset:104
	v_mov_b32_e32 v58, v57
	scratch_store_b64 off, v[57:58], off offset:104
	s_wait_loadcnt 0x0
	ds_store_b64 v59, v[60:61]
.LBB27_155:
	s_wait_alu 0xfffe
	s_or_b32 exec_lo, exec_lo, s0
	s_wait_storecnt_dscnt 0x0
	s_barrier_signal -1
	s_barrier_wait -1
	global_inv scope:SCOPE_SE
	s_clause 0x7
	scratch_load_b128 v[60:63], off, off offset:112
	scratch_load_b128 v[64:67], off, off offset:128
	;; [unrolled: 1-line block ×7, first 2 shown]
	scratch_load_b64 v[116:117], off, off offset:104
	ds_load_b128 v[88:91], v57 offset:336
	ds_load_b128 v[92:95], v57 offset:352
	;; [unrolled: 1-line block ×7, first 2 shown]
	s_mov_b32 s0, exec_lo
	s_wait_loadcnt_dscnt 0x706
	v_dual_mul_f32 v57, v88, v61 :: v_dual_mul_f32 v58, v90, v63
	v_mul_f32_e32 v61, v89, v61
	s_wait_loadcnt_dscnt 0x605
	v_dual_mul_f32 v63, v91, v63 :: v_dual_mul_f32 v118, v92, v65
	s_delay_alu instid0(VALU_DEP_3) | instskip(NEXT) | instid1(VALU_DEP_3)
	v_dual_mul_f32 v119, v94, v67 :: v_dual_fmac_f32 v58, v91, v62
	v_fma_f32 v61, v88, v60, -v61
	v_fmac_f32_e32 v57, v89, v60
	v_mul_f32_e32 v60, v93, v65
	v_fma_f32 v62, v90, v62, -v63
	v_mul_f32_e32 v63, v95, v67
	v_dual_add_f32 v61, 0, v61 :: v_dual_fmac_f32 v118, v93, v64
	s_delay_alu instid0(VALU_DEP_4) | instskip(SKIP_2) | instid1(VALU_DEP_3)
	v_fma_f32 v60, v92, v64, -v60
	s_wait_loadcnt_dscnt 0x504
	v_dual_mul_f32 v120, v96, v69 :: v_dual_mul_f32 v121, v98, v71
	v_add_f32_e32 v61, v61, v62
	v_fmac_f32_e32 v119, v95, v66
	v_fma_f32 v62, v94, v66, -v63
	s_wait_loadcnt_dscnt 0x403
	v_dual_mul_f32 v122, v100, v73 :: v_dual_mul_f32 v123, v102, v75
	v_dual_add_f32 v60, v61, v60 :: v_dual_mul_f32 v61, v99, v71
	v_fmac_f32_e32 v120, v97, v68
	s_wait_loadcnt_dscnt 0x302
	v_dual_mul_f32 v124, v104, v77 :: v_dual_mul_f32 v125, v106, v79
	s_delay_alu instid0(VALU_DEP_3) | instskip(SKIP_3) | instid1(VALU_DEP_4)
	v_dual_add_f32 v60, v60, v62 :: v_dual_add_f32 v57, 0, v57
	v_mul_f32_e32 v62, v101, v73
	v_fma_f32 v61, v98, v70, -v61
	v_dual_fmac_f32 v121, v99, v70 :: v_dual_fmac_f32 v122, v101, v72
	v_add_f32_e32 v57, v57, v58
	v_mul_f32_e32 v58, v97, v69
	v_fma_f32 v62, v100, v72, -v62
	v_dual_fmac_f32 v123, v103, v74 :: v_dual_fmac_f32 v124, v105, v76
	s_wait_loadcnt_dscnt 0x201
	v_dual_mul_f32 v126, v108, v81 :: v_dual_mul_f32 v127, v110, v83
	v_fma_f32 v58, v96, v68, -v58
	s_wait_loadcnt_dscnt 0x100
	v_dual_mul_f32 v128, v112, v85 :: v_dual_mul_f32 v129, v114, v87
	s_delay_alu instid0(VALU_DEP_3) | instskip(NEXT) | instid1(VALU_DEP_3)
	v_dual_fmac_f32 v125, v107, v78 :: v_dual_fmac_f32 v126, v109, v80
	v_add_f32_e32 v58, v60, v58
	v_mul_f32_e32 v60, v103, v75
	s_delay_alu instid0(VALU_DEP_4) | instskip(NEXT) | instid1(VALU_DEP_3)
	v_dual_fmac_f32 v128, v113, v84 :: v_dual_fmac_f32 v129, v115, v86
	v_dual_fmac_f32 v127, v111, v82 :: v_dual_add_f32 v58, v58, v61
	v_add_f32_e32 v57, v57, v118
	v_mul_f32_e32 v61, v105, v77
	v_fma_f32 v60, v102, v74, -v60
	s_delay_alu instid0(VALU_DEP_4) | instskip(SKIP_3) | instid1(VALU_DEP_4)
	v_add_f32_e32 v58, v58, v62
	v_mul_f32_e32 v62, v107, v79
	v_add_f32_e32 v57, v57, v119
	v_fma_f32 v61, v104, v76, -v61
	v_add_f32_e32 v58, v58, v60
	v_mul_f32_e32 v60, v109, v81
	s_delay_alu instid0(VALU_DEP_4) | instskip(SKIP_1) | instid1(VALU_DEP_4)
	v_add_f32_e32 v57, v57, v120
	v_fma_f32 v62, v106, v78, -v62
	v_dual_add_f32 v58, v58, v61 :: v_dual_mul_f32 v61, v111, v83
	s_delay_alu instid0(VALU_DEP_3) | instskip(SKIP_1) | instid1(VALU_DEP_3)
	v_add_f32_e32 v57, v57, v121
	v_fma_f32 v60, v108, v80, -v60
	v_add_f32_e32 v58, v58, v62
	s_delay_alu instid0(VALU_DEP_4) | instskip(NEXT) | instid1(VALU_DEP_4)
	v_fma_f32 v61, v110, v82, -v61
	v_add_f32_e32 v57, v57, v122
	v_mul_f32_e32 v62, v113, v85
	s_delay_alu instid0(VALU_DEP_4) | instskip(SKIP_1) | instid1(VALU_DEP_4)
	v_add_f32_e32 v58, v58, v60
	v_mul_f32_e32 v60, v115, v87
	v_add_f32_e32 v57, v57, v123
	s_delay_alu instid0(VALU_DEP_4) | instskip(NEXT) | instid1(VALU_DEP_4)
	v_fma_f32 v62, v112, v84, -v62
	v_add_f32_e32 v58, v58, v61
	s_delay_alu instid0(VALU_DEP_4) | instskip(NEXT) | instid1(VALU_DEP_2)
	v_fma_f32 v60, v114, v86, -v60
	v_dual_add_f32 v57, v57, v124 :: v_dual_add_f32 v58, v58, v62
	s_delay_alu instid0(VALU_DEP_1) | instskip(NEXT) | instid1(VALU_DEP_1)
	v_dual_add_f32 v57, v57, v125 :: v_dual_add_f32 v58, v58, v60
	v_add_f32_e32 v57, v57, v126
	s_delay_alu instid0(VALU_DEP_1) | instskip(NEXT) | instid1(VALU_DEP_1)
	v_add_f32_e32 v57, v57, v127
	v_add_f32_e32 v57, v57, v128
	s_wait_loadcnt 0x0
	s_delay_alu instid0(VALU_DEP_1) | instskip(NEXT) | instid1(VALU_DEP_1)
	v_dual_add_f32 v60, v57, v129 :: v_dual_sub_f32 v57, v116, v58
	v_sub_f32_e32 v58, v117, v60
	scratch_store_b64 off, v[57:58], off offset:104
	v_cmpx_lt_u32_e32 12, v0
	s_cbranch_execz .LBB27_157
; %bb.156:
	scratch_load_b64 v[57:58], off, off offset:96
	v_mov_b32_e32 v60, 0
	s_delay_alu instid0(VALU_DEP_1)
	v_mov_b32_e32 v61, v60
	scratch_store_b64 off, v[60:61], off offset:96
	s_wait_loadcnt 0x0
	ds_store_b64 v59, v[57:58]
.LBB27_157:
	s_wait_alu 0xfffe
	s_or_b32 exec_lo, exec_lo, s0
	s_wait_storecnt_dscnt 0x0
	s_barrier_signal -1
	s_barrier_wait -1
	global_inv scope:SCOPE_SE
	s_clause 0x8
	scratch_load_b128 v[60:63], off, off offset:104
	scratch_load_b128 v[64:67], off, off offset:120
	;; [unrolled: 1-line block ×7, first 2 shown]
	scratch_load_b64 v[116:117], off, off offset:216
	scratch_load_b64 v[118:119], off, off offset:96
	v_mov_b32_e32 v57, 0
	ds_load_2addr_b64 v[88:91], v57 offset0:41 offset1:42
	ds_load_2addr_b64 v[92:95], v57 offset0:43 offset1:44
	;; [unrolled: 1-line block ×7, first 2 shown]
	ds_load_b64 v[120:121], v57 offset:440
	s_mov_b32 s0, exec_lo
	s_wait_loadcnt_dscnt 0x807
	v_mul_f32_e32 v58, v88, v61
	v_dual_mul_f32 v61, v89, v61 :: v_dual_mul_f32 v122, v90, v63
	s_wait_loadcnt_dscnt 0x706
	v_mul_f32_e32 v123, v92, v65
	v_mul_f32_e32 v63, v91, v63
	s_wait_loadcnt_dscnt 0x302
	v_mul_f32_e32 v132, v110, v83
	v_fma_f32 v61, v88, v60, -v61
	s_wait_loadcnt_dscnt 0x100
	v_dual_mul_f32 v135, v120, v117 :: v_dual_fmac_f32 v58, v89, v60
	v_mul_f32_e32 v60, v93, v65
	s_delay_alu instid0(VALU_DEP_3) | instskip(SKIP_1) | instid1(VALU_DEP_4)
	v_dual_fmac_f32 v122, v91, v62 :: v_dual_add_f32 v61, 0, v61
	v_fma_f32 v62, v90, v62, -v63
	v_dual_add_f32 v58, 0, v58 :: v_dual_mul_f32 v63, v95, v67
	v_fmac_f32_e32 v123, v93, v64
	v_fma_f32 v60, v92, v64, -v60
	v_dual_mul_f32 v124, v94, v67 :: v_dual_mul_f32 v125, v96, v69
	s_delay_alu instid0(VALU_DEP_4)
	v_add_f32_e32 v58, v58, v122
	v_add_f32_e32 v61, v61, v62
	v_mul_f32_e32 v62, v97, v69
	v_fma_f32 v63, v94, v66, -v63
	v_dual_mul_f32 v128, v102, v75 :: v_dual_mul_f32 v129, v104, v77
	v_add_f32_e32 v58, v58, v123
	v_dual_add_f32 v60, v61, v60 :: v_dual_mul_f32 v61, v99, v71
	v_fma_f32 v62, v96, v68, -v62
	v_dual_mul_f32 v130, v106, v79 :: v_dual_mul_f32 v131, v108, v81
	s_delay_alu instid0(VALU_DEP_3) | instskip(NEXT) | instid1(VALU_DEP_4)
	v_dual_add_f32 v60, v60, v63 :: v_dual_mul_f32 v63, v101, v73
	v_fma_f32 v61, v98, v70, -v61
	v_dual_mul_f32 v133, v112, v85 :: v_dual_mul_f32 v134, v114, v87
	s_delay_alu instid0(VALU_DEP_3) | instskip(SKIP_3) | instid1(VALU_DEP_4)
	v_dual_add_f32 v60, v60, v62 :: v_dual_fmac_f32 v129, v105, v76
	v_dual_fmac_f32 v124, v95, v66 :: v_dual_fmac_f32 v125, v97, v68
	v_dual_mul_f32 v62, v103, v75 :: v_dual_fmac_f32 v131, v109, v80
	v_fma_f32 v63, v100, v72, -v63
	v_dual_add_f32 v60, v60, v61 :: v_dual_fmac_f32 v133, v113, v84
	s_delay_alu instid0(VALU_DEP_4) | instskip(NEXT) | instid1(VALU_DEP_4)
	v_dual_add_f32 v58, v58, v124 :: v_dual_mul_f32 v61, v105, v77
	v_fma_f32 v62, v102, v74, -v62
	s_delay_alu instid0(VALU_DEP_3) | instskip(SKIP_3) | instid1(VALU_DEP_4)
	v_dual_add_f32 v60, v60, v63 :: v_dual_fmac_f32 v135, v121, v116
	v_dual_mul_f32 v126, v98, v71 :: v_dual_mul_f32 v127, v100, v73
	v_mul_f32_e32 v63, v107, v79
	v_fma_f32 v61, v104, v76, -v61
	v_add_f32_e32 v60, v60, v62
	s_delay_alu instid0(VALU_DEP_4) | instskip(SKIP_4) | instid1(VALU_DEP_4)
	v_dual_fmac_f32 v126, v99, v70 :: v_dual_fmac_f32 v127, v101, v72
	v_add_f32_e32 v58, v58, v125
	v_mul_f32_e32 v62, v109, v81
	v_fma_f32 v63, v106, v78, -v63
	v_dual_add_f32 v60, v60, v61 :: v_dual_mul_f32 v61, v111, v83
	v_add_f32_e32 v58, v58, v126
	s_delay_alu instid0(VALU_DEP_4) | instskip(SKIP_1) | instid1(VALU_DEP_4)
	v_fma_f32 v62, v108, v80, -v62
	v_fmac_f32_e32 v128, v103, v74
	v_dual_add_f32 v60, v60, v63 :: v_dual_mul_f32 v63, v113, v85
	s_delay_alu instid0(VALU_DEP_4) | instskip(SKIP_2) | instid1(VALU_DEP_4)
	v_add_f32_e32 v58, v58, v127
	v_fma_f32 v61, v110, v82, -v61
	v_fmac_f32_e32 v130, v107, v78
	v_add_f32_e32 v60, v60, v62
	v_fmac_f32_e32 v132, v111, v82
	v_mul_f32_e32 v62, v115, v87
	v_fma_f32 v63, v112, v84, -v63
	v_fmac_f32_e32 v134, v115, v86
	v_add_f32_e32 v60, v60, v61
	v_dual_mul_f32 v61, v121, v117 :: v_dual_add_f32 v58, v58, v128
	v_fma_f32 v62, v114, v86, -v62
	s_delay_alu instid0(VALU_DEP_3) | instskip(NEXT) | instid1(VALU_DEP_3)
	v_add_f32_e32 v60, v60, v63
	v_fma_f32 v61, v120, v116, -v61
	s_delay_alu instid0(VALU_DEP_4) | instskip(NEXT) | instid1(VALU_DEP_3)
	v_add_f32_e32 v58, v58, v129
	v_add_f32_e32 v60, v60, v62
	s_delay_alu instid0(VALU_DEP_2) | instskip(NEXT) | instid1(VALU_DEP_2)
	v_add_f32_e32 v58, v58, v130
	v_add_f32_e32 v60, v60, v61
	s_delay_alu instid0(VALU_DEP_2) | instskip(SKIP_1) | instid1(VALU_DEP_2)
	v_add_f32_e32 v58, v58, v131
	s_wait_loadcnt 0x0
	v_sub_f32_e32 v60, v118, v60
	s_delay_alu instid0(VALU_DEP_2) | instskip(NEXT) | instid1(VALU_DEP_1)
	v_add_f32_e32 v58, v58, v132
	v_add_f32_e32 v58, v58, v133
	s_delay_alu instid0(VALU_DEP_1) | instskip(NEXT) | instid1(VALU_DEP_1)
	v_add_f32_e32 v58, v58, v134
	v_add_f32_e32 v58, v58, v135
	s_delay_alu instid0(VALU_DEP_1)
	v_sub_f32_e32 v61, v119, v58
	scratch_store_b64 off, v[60:61], off offset:96
	v_cmpx_lt_u32_e32 11, v0
	s_cbranch_execz .LBB27_159
; %bb.158:
	scratch_load_b64 v[60:61], off, off offset:88
	v_mov_b32_e32 v58, v57
	scratch_store_b64 off, v[57:58], off offset:88
	s_wait_loadcnt 0x0
	ds_store_b64 v59, v[60:61]
.LBB27_159:
	s_wait_alu 0xfffe
	s_or_b32 exec_lo, exec_lo, s0
	s_wait_storecnt_dscnt 0x0
	s_barrier_signal -1
	s_barrier_wait -1
	global_inv scope:SCOPE_SE
	s_clause 0x8
	scratch_load_b128 v[60:63], off, off offset:96
	scratch_load_b128 v[64:67], off, off offset:112
	;; [unrolled: 1-line block ×8, first 2 shown]
	scratch_load_b64 v[124:125], off, off offset:88
	ds_load_b128 v[92:95], v57 offset:320
	ds_load_b128 v[96:99], v57 offset:336
	;; [unrolled: 1-line block ×8, first 2 shown]
	s_mov_b32 s0, exec_lo
	s_wait_loadcnt_dscnt 0x807
	v_dual_mul_f32 v57, v92, v61 :: v_dual_mul_f32 v58, v94, v63
	v_mul_f32_e32 v61, v93, v61
	s_wait_loadcnt_dscnt 0x706
	v_dual_mul_f32 v63, v95, v63 :: v_dual_mul_f32 v126, v96, v65
	s_delay_alu instid0(VALU_DEP_3) | instskip(NEXT) | instid1(VALU_DEP_3)
	v_dual_mul_f32 v127, v98, v67 :: v_dual_fmac_f32 v58, v95, v62
	v_fma_f32 v61, v92, v60, -v61
	v_fmac_f32_e32 v57, v93, v60
	v_mul_f32_e32 v60, v97, v65
	v_fma_f32 v62, v94, v62, -v63
	v_mul_f32_e32 v63, v99, v67
	v_dual_add_f32 v61, 0, v61 :: v_dual_fmac_f32 v126, v97, v64
	s_delay_alu instid0(VALU_DEP_4) | instskip(SKIP_2) | instid1(VALU_DEP_3)
	v_fma_f32 v60, v96, v64, -v60
	s_wait_loadcnt_dscnt 0x605
	v_dual_mul_f32 v128, v100, v69 :: v_dual_mul_f32 v129, v102, v71
	v_add_f32_e32 v61, v61, v62
	v_fmac_f32_e32 v127, v99, v66
	v_fma_f32 v62, v98, v66, -v63
	s_wait_loadcnt_dscnt 0x504
	v_dual_mul_f32 v130, v104, v73 :: v_dual_mul_f32 v131, v106, v75
	v_dual_add_f32 v60, v61, v60 :: v_dual_mul_f32 v61, v103, v71
	v_fmac_f32_e32 v128, v101, v68
	s_wait_loadcnt_dscnt 0x403
	v_dual_mul_f32 v132, v108, v77 :: v_dual_mul_f32 v133, v110, v79
	s_delay_alu instid0(VALU_DEP_3) | instskip(SKIP_3) | instid1(VALU_DEP_4)
	v_dual_add_f32 v60, v60, v62 :: v_dual_add_f32 v57, 0, v57
	v_mul_f32_e32 v62, v105, v73
	v_fma_f32 v61, v102, v70, -v61
	v_dual_fmac_f32 v129, v103, v70 :: v_dual_fmac_f32 v130, v105, v72
	v_add_f32_e32 v57, v57, v58
	v_mul_f32_e32 v58, v101, v69
	v_fma_f32 v62, v104, v72, -v62
	v_dual_fmac_f32 v131, v107, v74 :: v_dual_fmac_f32 v132, v109, v76
	s_wait_loadcnt_dscnt 0x302
	v_dual_mul_f32 v134, v112, v81 :: v_dual_mul_f32 v135, v114, v83
	v_fma_f32 v58, v100, v68, -v58
	s_wait_loadcnt_dscnt 0x201
	v_dual_mul_f32 v136, v116, v85 :: v_dual_mul_f32 v137, v118, v87
	s_wait_loadcnt_dscnt 0x100
	v_dual_mul_f32 v138, v120, v89 :: v_dual_mul_f32 v139, v122, v91
	v_add_f32_e32 v58, v60, v58
	v_mul_f32_e32 v60, v107, v75
	v_dual_fmac_f32 v136, v117, v84 :: v_dual_fmac_f32 v137, v119, v86
	s_delay_alu instid0(VALU_DEP_4) | instskip(NEXT) | instid1(VALU_DEP_4)
	v_dual_fmac_f32 v138, v121, v88 :: v_dual_fmac_f32 v139, v123, v90
	v_dual_add_f32 v58, v58, v61 :: v_dual_add_f32 v57, v57, v126
	v_mul_f32_e32 v61, v109, v77
	v_fma_f32 v60, v106, v74, -v60
	v_fmac_f32_e32 v133, v111, v78
	s_delay_alu instid0(VALU_DEP_4)
	v_add_f32_e32 v58, v58, v62
	v_mul_f32_e32 v62, v111, v79
	v_add_f32_e32 v57, v57, v127
	v_fma_f32 v61, v108, v76, -v61
	v_fmac_f32_e32 v134, v113, v80
	v_add_f32_e32 v58, v58, v60
	v_mul_f32_e32 v60, v113, v81
	v_add_f32_e32 v57, v57, v128
	v_fma_f32 v62, v110, v78, -v62
	s_delay_alu instid0(VALU_DEP_4) | instskip(SKIP_1) | instid1(VALU_DEP_4)
	v_dual_fmac_f32 v135, v115, v82 :: v_dual_add_f32 v58, v58, v61
	v_mul_f32_e32 v61, v115, v83
	v_add_f32_e32 v57, v57, v129
	v_fma_f32 v60, v112, v80, -v60
	s_delay_alu instid0(VALU_DEP_4) | instskip(NEXT) | instid1(VALU_DEP_4)
	v_add_f32_e32 v58, v58, v62
	v_fma_f32 v61, v114, v82, -v61
	s_delay_alu instid0(VALU_DEP_4) | instskip(SKIP_1) | instid1(VALU_DEP_4)
	v_add_f32_e32 v57, v57, v130
	v_mul_f32_e32 v62, v117, v85
	v_add_f32_e32 v58, v58, v60
	v_mul_f32_e32 v60, v119, v87
	s_delay_alu instid0(VALU_DEP_4) | instskip(NEXT) | instid1(VALU_DEP_4)
	v_add_f32_e32 v57, v57, v131
	v_fma_f32 v62, v116, v84, -v62
	s_delay_alu instid0(VALU_DEP_4) | instskip(SKIP_1) | instid1(VALU_DEP_4)
	v_add_f32_e32 v58, v58, v61
	v_mul_f32_e32 v61, v121, v89
	v_add_f32_e32 v57, v57, v132
	v_fma_f32 v60, v118, v86, -v60
	s_delay_alu instid0(VALU_DEP_4) | instskip(NEXT) | instid1(VALU_DEP_3)
	v_add_f32_e32 v58, v58, v62
	v_dual_mul_f32 v62, v123, v91 :: v_dual_add_f32 v57, v57, v133
	v_fma_f32 v61, v120, v88, -v61
	s_delay_alu instid0(VALU_DEP_3) | instskip(NEXT) | instid1(VALU_DEP_3)
	v_add_f32_e32 v58, v58, v60
	v_fma_f32 v60, v122, v90, -v62
	s_delay_alu instid0(VALU_DEP_2) | instskip(NEXT) | instid1(VALU_DEP_1)
	v_dual_add_f32 v57, v57, v134 :: v_dual_add_f32 v58, v58, v61
	v_dual_add_f32 v57, v57, v135 :: v_dual_add_f32 v58, v58, v60
	s_delay_alu instid0(VALU_DEP_1) | instskip(NEXT) | instid1(VALU_DEP_1)
	v_add_f32_e32 v57, v57, v136
	v_add_f32_e32 v57, v57, v137
	s_delay_alu instid0(VALU_DEP_1) | instskip(SKIP_1) | instid1(VALU_DEP_1)
	v_add_f32_e32 v57, v57, v138
	s_wait_loadcnt 0x0
	v_dual_add_f32 v60, v57, v139 :: v_dual_sub_f32 v57, v124, v58
	s_delay_alu instid0(VALU_DEP_1)
	v_sub_f32_e32 v58, v125, v60
	scratch_store_b64 off, v[57:58], off offset:88
	v_cmpx_lt_u32_e32 10, v0
	s_cbranch_execz .LBB27_161
; %bb.160:
	scratch_load_b64 v[57:58], off, off offset:80
	v_mov_b32_e32 v60, 0
	s_delay_alu instid0(VALU_DEP_1)
	v_mov_b32_e32 v61, v60
	scratch_store_b64 off, v[60:61], off offset:80
	s_wait_loadcnt 0x0
	ds_store_b64 v59, v[57:58]
.LBB27_161:
	s_wait_alu 0xfffe
	s_or_b32 exec_lo, exec_lo, s0
	s_wait_storecnt_dscnt 0x0
	s_barrier_signal -1
	s_barrier_wait -1
	global_inv scope:SCOPE_SE
	s_clause 0x9
	scratch_load_b128 v[60:63], off, off offset:88
	scratch_load_b128 v[64:67], off, off offset:104
	;; [unrolled: 1-line block ×8, first 2 shown]
	scratch_load_b64 v[124:125], off, off offset:216
	scratch_load_b64 v[126:127], off, off offset:80
	v_mov_b32_e32 v57, 0
	ds_load_2addr_b64 v[92:95], v57 offset0:39 offset1:40
	ds_load_2addr_b64 v[96:99], v57 offset0:41 offset1:42
	;; [unrolled: 1-line block ×8, first 2 shown]
	ds_load_b64 v[128:129], v57 offset:440
	s_mov_b32 s0, exec_lo
	s_wait_loadcnt_dscnt 0x908
	v_mul_f32_e32 v58, v92, v61
	s_wait_loadcnt_dscnt 0x807
	v_dual_mul_f32 v130, v94, v63 :: v_dual_mul_f32 v131, v96, v65
	v_mul_f32_e32 v61, v93, v61
	s_delay_alu instid0(VALU_DEP_3)
	v_dual_mul_f32 v63, v95, v63 :: v_dual_fmac_f32 v58, v93, v60
	s_wait_loadcnt_dscnt 0x302
	v_mul_f32_e32 v142, v118, v87
	v_dual_mul_f32 v132, v98, v67 :: v_dual_mul_f32 v133, v100, v69
	s_wait_loadcnt_dscnt 0x100
	v_mul_f32_e32 v145, v128, v125
	v_fma_f32 v61, v92, v60, -v61
	v_mul_f32_e32 v60, v97, v65
	v_fmac_f32_e32 v130, v95, v62
	v_fma_f32 v62, v94, v62, -v63
	v_dual_add_f32 v58, 0, v58 :: v_dual_mul_f32 v63, v99, v67
	v_add_f32_e32 v61, 0, v61
	v_fmac_f32_e32 v131, v97, v64
	v_fma_f32 v60, v96, v64, -v60
	s_delay_alu instid0(VALU_DEP_4)
	v_add_f32_e32 v58, v58, v130
	v_fma_f32 v63, v98, v66, -v63
	v_add_f32_e32 v61, v61, v62
	v_mul_f32_e32 v62, v101, v69
	v_dual_mul_f32 v136, v106, v75 :: v_dual_mul_f32 v137, v108, v77
	v_add_f32_e32 v58, v58, v131
	s_delay_alu instid0(VALU_DEP_4) | instskip(NEXT) | instid1(VALU_DEP_4)
	v_dual_add_f32 v60, v61, v60 :: v_dual_mul_f32 v61, v103, v71
	v_fma_f32 v62, v100, v68, -v62
	v_dual_mul_f32 v138, v110, v79 :: v_dual_mul_f32 v139, v112, v81
	s_delay_alu instid0(VALU_DEP_3) | instskip(NEXT) | instid1(VALU_DEP_4)
	v_dual_add_f32 v60, v60, v63 :: v_dual_mul_f32 v63, v105, v73
	v_fma_f32 v61, v102, v70, -v61
	v_dual_mul_f32 v140, v114, v83 :: v_dual_mul_f32 v141, v116, v85
	s_delay_alu instid0(VALU_DEP_3) | instskip(SKIP_3) | instid1(VALU_DEP_4)
	v_dual_add_f32 v60, v60, v62 :: v_dual_fmac_f32 v137, v109, v76
	v_dual_fmac_f32 v132, v99, v66 :: v_dual_fmac_f32 v133, v101, v68
	v_dual_mul_f32 v62, v107, v75 :: v_dual_fmac_f32 v139, v113, v80
	v_fma_f32 v63, v104, v72, -v63
	v_dual_add_f32 v60, v60, v61 :: v_dual_fmac_f32 v141, v117, v84
	v_dual_mul_f32 v143, v120, v89 :: v_dual_mul_f32 v144, v122, v91
	v_dual_add_f32 v58, v58, v132 :: v_dual_mul_f32 v61, v109, v77
	v_fma_f32 v62, v106, v74, -v62
	s_delay_alu instid0(VALU_DEP_3) | instskip(SKIP_3) | instid1(VALU_DEP_4)
	v_dual_add_f32 v60, v60, v63 :: v_dual_fmac_f32 v143, v121, v88
	v_dual_mul_f32 v134, v102, v71 :: v_dual_mul_f32 v135, v104, v73
	v_mul_f32_e32 v63, v111, v79
	v_fma_f32 v61, v108, v76, -v61
	v_add_f32_e32 v60, v60, v62
	s_delay_alu instid0(VALU_DEP_4) | instskip(SKIP_4) | instid1(VALU_DEP_4)
	v_dual_fmac_f32 v134, v103, v70 :: v_dual_fmac_f32 v135, v105, v72
	v_add_f32_e32 v58, v58, v133
	v_mul_f32_e32 v62, v113, v81
	v_fma_f32 v63, v110, v78, -v63
	v_dual_add_f32 v60, v60, v61 :: v_dual_mul_f32 v61, v115, v83
	v_add_f32_e32 v58, v58, v134
	s_delay_alu instid0(VALU_DEP_4) | instskip(SKIP_1) | instid1(VALU_DEP_4)
	v_fma_f32 v62, v112, v80, -v62
	v_fmac_f32_e32 v136, v107, v74
	v_dual_add_f32 v60, v60, v63 :: v_dual_mul_f32 v63, v117, v85
	s_delay_alu instid0(VALU_DEP_4) | instskip(SKIP_1) | instid1(VALU_DEP_3)
	v_dual_add_f32 v58, v58, v135 :: v_dual_fmac_f32 v145, v129, v124
	v_fma_f32 v61, v114, v82, -v61
	v_add_f32_e32 v60, v60, v62
	v_fmac_f32_e32 v138, v111, v78
	v_fmac_f32_e32 v140, v115, v82
	v_mul_f32_e32 v62, v119, v87
	v_fma_f32 v63, v116, v84, -v63
	v_add_f32_e32 v60, v60, v61
	v_dual_mul_f32 v61, v121, v89 :: v_dual_add_f32 v58, v58, v136
	v_fmac_f32_e32 v142, v119, v86
	v_fma_f32 v62, v118, v86, -v62
	s_delay_alu instid0(VALU_DEP_4) | instskip(NEXT) | instid1(VALU_DEP_4)
	v_add_f32_e32 v60, v60, v63
	v_dual_mul_f32 v63, v123, v91 :: v_dual_add_f32 v58, v58, v137
	v_fma_f32 v61, v120, v88, -v61
	v_fmac_f32_e32 v144, v123, v90
	s_delay_alu instid0(VALU_DEP_4) | instskip(SKIP_3) | instid1(VALU_DEP_4)
	v_add_f32_e32 v60, v60, v62
	v_mul_f32_e32 v62, v129, v125
	v_add_f32_e32 v58, v58, v138
	v_fma_f32 v63, v122, v90, -v63
	v_add_f32_e32 v60, v60, v61
	s_delay_alu instid0(VALU_DEP_4) | instskip(NEXT) | instid1(VALU_DEP_4)
	v_fma_f32 v61, v128, v124, -v62
	v_add_f32_e32 v58, v58, v139
	s_delay_alu instid0(VALU_DEP_3) | instskip(NEXT) | instid1(VALU_DEP_2)
	v_add_f32_e32 v60, v60, v63
	v_add_f32_e32 v58, v58, v140
	s_delay_alu instid0(VALU_DEP_2) | instskip(NEXT) | instid1(VALU_DEP_2)
	v_add_f32_e32 v60, v60, v61
	v_add_f32_e32 v58, v58, v141
	s_wait_loadcnt 0x0
	s_delay_alu instid0(VALU_DEP_2) | instskip(NEXT) | instid1(VALU_DEP_2)
	v_sub_f32_e32 v60, v126, v60
	v_add_f32_e32 v58, v58, v142
	s_delay_alu instid0(VALU_DEP_1) | instskip(NEXT) | instid1(VALU_DEP_1)
	v_add_f32_e32 v58, v58, v143
	v_add_f32_e32 v58, v58, v144
	s_delay_alu instid0(VALU_DEP_1) | instskip(NEXT) | instid1(VALU_DEP_1)
	v_add_f32_e32 v58, v58, v145
	v_sub_f32_e32 v61, v127, v58
	scratch_store_b64 off, v[60:61], off offset:80
	v_cmpx_lt_u32_e32 9, v0
	s_cbranch_execz .LBB27_163
; %bb.162:
	scratch_load_b64 v[60:61], off, off offset:72
	v_mov_b32_e32 v58, v57
	scratch_store_b64 off, v[57:58], off offset:72
	s_wait_loadcnt 0x0
	ds_store_b64 v59, v[60:61]
.LBB27_163:
	s_wait_alu 0xfffe
	s_or_b32 exec_lo, exec_lo, s0
	s_wait_storecnt_dscnt 0x0
	s_barrier_signal -1
	s_barrier_wait -1
	global_inv scope:SCOPE_SE
	s_clause 0x9
	scratch_load_b128 v[60:63], off, off offset:80
	scratch_load_b128 v[64:67], off, off offset:96
	;; [unrolled: 1-line block ×9, first 2 shown]
	scratch_load_b64 v[132:133], off, off offset:72
	ds_load_b128 v[96:99], v57 offset:304
	ds_load_b128 v[100:103], v57 offset:320
	ds_load_b128 v[104:107], v57 offset:336
	ds_load_b128 v[108:111], v57 offset:352
	ds_load_b128 v[112:115], v57 offset:368
	ds_load_b128 v[116:119], v57 offset:384
	ds_load_b128 v[120:123], v57 offset:400
	ds_load_b128 v[124:127], v57 offset:416
	ds_load_b128 v[128:131], v57 offset:432
	s_mov_b32 s0, exec_lo
	s_wait_loadcnt_dscnt 0x908
	v_dual_mul_f32 v57, v96, v61 :: v_dual_mul_f32 v58, v98, v63
	v_mul_f32_e32 v61, v97, v61
	s_wait_loadcnt_dscnt 0x807
	v_dual_mul_f32 v63, v99, v63 :: v_dual_mul_f32 v134, v100, v65
	s_delay_alu instid0(VALU_DEP_3) | instskip(NEXT) | instid1(VALU_DEP_3)
	v_dual_mul_f32 v135, v102, v67 :: v_dual_fmac_f32 v58, v99, v62
	v_fma_f32 v61, v96, v60, -v61
	v_fmac_f32_e32 v57, v97, v60
	v_mul_f32_e32 v60, v101, v65
	v_fma_f32 v62, v98, v62, -v63
	v_mul_f32_e32 v63, v103, v67
	v_dual_add_f32 v61, 0, v61 :: v_dual_fmac_f32 v134, v101, v64
	s_delay_alu instid0(VALU_DEP_4) | instskip(SKIP_2) | instid1(VALU_DEP_3)
	v_fma_f32 v60, v100, v64, -v60
	s_wait_loadcnt_dscnt 0x706
	v_dual_mul_f32 v136, v104, v69 :: v_dual_mul_f32 v137, v106, v71
	v_add_f32_e32 v61, v61, v62
	v_fmac_f32_e32 v135, v103, v66
	v_fma_f32 v62, v102, v66, -v63
	s_wait_loadcnt_dscnt 0x605
	v_dual_mul_f32 v138, v108, v73 :: v_dual_mul_f32 v139, v110, v75
	v_dual_add_f32 v60, v61, v60 :: v_dual_mul_f32 v61, v107, v71
	v_fmac_f32_e32 v136, v105, v68
	s_wait_loadcnt_dscnt 0x504
	v_dual_mul_f32 v140, v112, v77 :: v_dual_mul_f32 v141, v114, v79
	s_delay_alu instid0(VALU_DEP_3) | instskip(SKIP_3) | instid1(VALU_DEP_4)
	v_dual_add_f32 v60, v60, v62 :: v_dual_add_f32 v57, 0, v57
	v_mul_f32_e32 v62, v109, v73
	v_fma_f32 v61, v106, v70, -v61
	v_dual_fmac_f32 v137, v107, v70 :: v_dual_fmac_f32 v138, v109, v72
	v_add_f32_e32 v57, v57, v58
	v_mul_f32_e32 v58, v105, v69
	v_fma_f32 v62, v108, v72, -v62
	v_dual_fmac_f32 v139, v111, v74 :: v_dual_fmac_f32 v140, v113, v76
	s_wait_loadcnt_dscnt 0x403
	v_dual_mul_f32 v142, v116, v81 :: v_dual_mul_f32 v143, v118, v83
	v_fma_f32 v58, v104, v68, -v58
	s_wait_loadcnt_dscnt 0x302
	v_dual_mul_f32 v144, v120, v85 :: v_dual_mul_f32 v145, v122, v87
	s_wait_loadcnt_dscnt 0x201
	v_dual_mul_f32 v146, v124, v89 :: v_dual_mul_f32 v147, v126, v91
	v_add_f32_e32 v58, v60, v58
	v_mul_f32_e32 v60, v111, v75
	v_dual_fmac_f32 v144, v121, v84 :: v_dual_fmac_f32 v145, v123, v86
	s_delay_alu instid0(VALU_DEP_4) | instskip(NEXT) | instid1(VALU_DEP_4)
	v_dual_fmac_f32 v146, v125, v88 :: v_dual_fmac_f32 v147, v127, v90
	v_dual_add_f32 v58, v58, v61 :: v_dual_add_f32 v57, v57, v134
	v_mul_f32_e32 v61, v113, v77
	v_fma_f32 v60, v110, v74, -v60
	v_fmac_f32_e32 v141, v115, v78
	s_delay_alu instid0(VALU_DEP_4)
	v_add_f32_e32 v58, v58, v62
	v_mul_f32_e32 v62, v115, v79
	v_add_f32_e32 v57, v57, v135
	v_fma_f32 v61, v112, v76, -v61
	v_fmac_f32_e32 v142, v117, v80
	v_add_f32_e32 v58, v58, v60
	v_mul_f32_e32 v60, v117, v81
	v_add_f32_e32 v57, v57, v136
	v_fma_f32 v62, v114, v78, -v62
	s_delay_alu instid0(VALU_DEP_4) | instskip(SKIP_1) | instid1(VALU_DEP_4)
	v_dual_fmac_f32 v143, v119, v82 :: v_dual_add_f32 v58, v58, v61
	v_mul_f32_e32 v61, v119, v83
	v_add_f32_e32 v57, v57, v137
	v_fma_f32 v60, v116, v80, -v60
	s_wait_loadcnt_dscnt 0x100
	v_dual_mul_f32 v148, v128, v93 :: v_dual_mul_f32 v149, v130, v95
	v_add_f32_e32 v58, v58, v62
	v_add_f32_e32 v57, v57, v138
	v_fma_f32 v61, v118, v82, -v61
	v_mul_f32_e32 v62, v121, v85
	v_dual_fmac_f32 v148, v129, v92 :: v_dual_fmac_f32 v149, v131, v94
	s_delay_alu instid0(VALU_DEP_4) | instskip(SKIP_1) | instid1(VALU_DEP_4)
	v_dual_add_f32 v58, v58, v60 :: v_dual_add_f32 v57, v57, v139
	v_mul_f32_e32 v60, v123, v87
	v_fma_f32 v62, v120, v84, -v62
	s_delay_alu instid0(VALU_DEP_3) | instskip(SKIP_1) | instid1(VALU_DEP_4)
	v_dual_add_f32 v58, v58, v61 :: v_dual_add_f32 v57, v57, v140
	v_mul_f32_e32 v61, v125, v89
	v_fma_f32 v60, v122, v86, -v60
	s_delay_alu instid0(VALU_DEP_3) | instskip(SKIP_1) | instid1(VALU_DEP_4)
	;; [unrolled: 4-line block ×4, first 2 shown]
	v_dual_add_f32 v58, v58, v61 :: v_dual_add_f32 v57, v57, v143
	v_mul_f32_e32 v61, v131, v95
	v_fma_f32 v60, v128, v92, -v60
	s_delay_alu instid0(VALU_DEP_3) | instskip(NEXT) | instid1(VALU_DEP_3)
	v_dual_add_f32 v58, v58, v62 :: v_dual_add_f32 v57, v57, v144
	v_fma_f32 v61, v130, v94, -v61
	s_delay_alu instid0(VALU_DEP_2) | instskip(NEXT) | instid1(VALU_DEP_1)
	v_dual_add_f32 v58, v58, v60 :: v_dual_add_f32 v57, v57, v145
	v_dual_add_f32 v58, v58, v61 :: v_dual_add_f32 v57, v57, v146
	s_delay_alu instid0(VALU_DEP_1) | instskip(NEXT) | instid1(VALU_DEP_1)
	v_add_f32_e32 v57, v57, v147
	v_add_f32_e32 v57, v57, v148
	s_wait_loadcnt 0x0
	s_delay_alu instid0(VALU_DEP_1) | instskip(NEXT) | instid1(VALU_DEP_1)
	v_dual_add_f32 v60, v57, v149 :: v_dual_sub_f32 v57, v132, v58
	v_sub_f32_e32 v58, v133, v60
	scratch_store_b64 off, v[57:58], off offset:72
	v_cmpx_lt_u32_e32 8, v0
	s_cbranch_execz .LBB27_165
; %bb.164:
	scratch_load_b64 v[57:58], off, off offset:64
	v_mov_b32_e32 v60, 0
	s_delay_alu instid0(VALU_DEP_1)
	v_mov_b32_e32 v61, v60
	scratch_store_b64 off, v[60:61], off offset:64
	s_wait_loadcnt 0x0
	ds_store_b64 v59, v[57:58]
.LBB27_165:
	s_wait_alu 0xfffe
	s_or_b32 exec_lo, exec_lo, s0
	s_wait_storecnt_dscnt 0x0
	s_barrier_signal -1
	s_barrier_wait -1
	global_inv scope:SCOPE_SE
	s_clause 0xa
	scratch_load_b128 v[60:63], off, off offset:72
	scratch_load_b128 v[64:67], off, off offset:88
	;; [unrolled: 1-line block ×9, first 2 shown]
	scratch_load_b64 v[132:133], off, off offset:216
	scratch_load_b64 v[134:135], off, off offset:64
	v_mov_b32_e32 v57, 0
	ds_load_2addr_b64 v[96:99], v57 offset0:37 offset1:38
	ds_load_2addr_b64 v[100:103], v57 offset0:39 offset1:40
	;; [unrolled: 1-line block ×9, first 2 shown]
	ds_load_b64 v[136:137], v57 offset:440
	s_mov_b32 s0, exec_lo
	s_wait_loadcnt_dscnt 0xa09
	v_mul_f32_e32 v58, v96, v61
	s_wait_loadcnt_dscnt 0x908
	v_dual_mul_f32 v138, v98, v63 :: v_dual_mul_f32 v139, v100, v65
	v_mul_f32_e32 v61, v97, v61
	s_delay_alu instid0(VALU_DEP_3)
	v_dual_mul_f32 v63, v99, v63 :: v_dual_fmac_f32 v58, v97, v60
	s_wait_loadcnt_dscnt 0x807
	v_dual_mul_f32 v140, v102, v67 :: v_dual_mul_f32 v141, v104, v69
	s_wait_loadcnt_dscnt 0x100
	v_dual_mul_f32 v152, v126, v91 :: v_dual_mul_f32 v155, v136, v133
	v_fma_f32 v61, v96, v60, -v61
	v_mul_f32_e32 v60, v101, v65
	v_fmac_f32_e32 v138, v99, v62
	v_fma_f32 v62, v98, v62, -v63
	v_dual_add_f32 v58, 0, v58 :: v_dual_mul_f32 v63, v103, v67
	v_add_f32_e32 v61, 0, v61
	v_fmac_f32_e32 v139, v101, v64
	v_fma_f32 v60, v100, v64, -v60
	s_delay_alu instid0(VALU_DEP_4)
	v_add_f32_e32 v58, v58, v138
	v_fma_f32 v63, v102, v66, -v63
	v_add_f32_e32 v61, v61, v62
	v_mul_f32_e32 v62, v105, v69
	v_dual_mul_f32 v144, v110, v75 :: v_dual_mul_f32 v145, v112, v77
	v_add_f32_e32 v58, v58, v139
	s_delay_alu instid0(VALU_DEP_4) | instskip(NEXT) | instid1(VALU_DEP_4)
	v_dual_add_f32 v60, v61, v60 :: v_dual_mul_f32 v61, v107, v71
	v_fma_f32 v62, v104, v68, -v62
	v_dual_mul_f32 v146, v114, v79 :: v_dual_mul_f32 v147, v116, v81
	s_delay_alu instid0(VALU_DEP_3) | instskip(NEXT) | instid1(VALU_DEP_4)
	v_dual_add_f32 v60, v60, v63 :: v_dual_mul_f32 v63, v109, v73
	v_fma_f32 v61, v106, v70, -v61
	v_dual_mul_f32 v148, v118, v83 :: v_dual_mul_f32 v149, v120, v85
	s_delay_alu instid0(VALU_DEP_3) | instskip(SKIP_3) | instid1(VALU_DEP_4)
	v_dual_add_f32 v60, v60, v62 :: v_dual_fmac_f32 v145, v113, v76
	v_dual_fmac_f32 v140, v103, v66 :: v_dual_fmac_f32 v141, v105, v68
	v_dual_mul_f32 v62, v111, v75 :: v_dual_fmac_f32 v147, v117, v80
	v_fma_f32 v63, v108, v72, -v63
	v_dual_add_f32 v60, v60, v61 :: v_dual_fmac_f32 v149, v121, v84
	v_dual_mul_f32 v150, v122, v87 :: v_dual_mul_f32 v151, v124, v89
	v_dual_add_f32 v58, v58, v140 :: v_dual_mul_f32 v61, v113, v77
	v_fma_f32 v62, v110, v74, -v62
	s_delay_alu instid0(VALU_DEP_3) | instskip(SKIP_1) | instid1(VALU_DEP_4)
	v_dual_add_f32 v60, v60, v63 :: v_dual_fmac_f32 v151, v125, v88
	v_mul_f32_e32 v63, v115, v79
	v_fma_f32 v61, v112, v76, -v61
	v_dual_mul_f32 v142, v106, v71 :: v_dual_mul_f32 v143, v108, v73
	s_delay_alu instid0(VALU_DEP_4) | instskip(SKIP_2) | instid1(VALU_DEP_4)
	v_add_f32_e32 v60, v60, v62
	v_mul_f32_e32 v62, v117, v81
	v_fma_f32 v63, v114, v78, -v63
	v_dual_fmac_f32 v142, v107, v70 :: v_dual_fmac_f32 v143, v109, v72
	s_delay_alu instid0(VALU_DEP_4) | instskip(SKIP_2) | instid1(VALU_DEP_3)
	v_dual_add_f32 v60, v60, v61 :: v_dual_fmac_f32 v155, v137, v132
	v_dual_add_f32 v58, v58, v141 :: v_dual_mul_f32 v61, v119, v83
	v_fma_f32 v62, v116, v80, -v62
	v_dual_add_f32 v60, v60, v63 :: v_dual_mul_f32 v63, v121, v85
	s_delay_alu instid0(VALU_DEP_3) | instskip(NEXT) | instid1(VALU_DEP_4)
	v_add_f32_e32 v58, v58, v142
	v_fma_f32 v61, v118, v82, -v61
	v_dual_mul_f32 v153, v128, v93 :: v_dual_mul_f32 v154, v130, v95
	s_delay_alu instid0(VALU_DEP_4)
	v_add_f32_e32 v60, v60, v62
	v_mul_f32_e32 v62, v123, v87
	v_fma_f32 v63, v120, v84, -v63
	v_fmac_f32_e32 v144, v111, v74
	v_dual_add_f32 v58, v58, v143 :: v_dual_fmac_f32 v153, v129, v92
	v_add_f32_e32 v60, v60, v61
	v_mul_f32_e32 v61, v125, v89
	v_fma_f32 v62, v122, v86, -v62
	s_delay_alu instid0(VALU_DEP_4)
	v_add_f32_e32 v58, v58, v144
	v_fmac_f32_e32 v146, v115, v78
	v_add_f32_e32 v60, v60, v63
	v_mul_f32_e32 v63, v127, v91
	v_fma_f32 v61, v124, v88, -v61
	v_fmac_f32_e32 v148, v119, v82
	v_fmac_f32_e32 v150, v123, v86
	v_add_f32_e32 v60, v60, v62
	v_fma_f32 v63, v126, v90, -v63
	v_mul_f32_e32 v62, v129, v93
	v_fmac_f32_e32 v152, v127, v90
	v_fmac_f32_e32 v154, v131, v94
	v_dual_add_f32 v60, v60, v61 :: v_dual_mul_f32 v61, v131, v95
	v_add_f32_e32 v58, v58, v145
	v_fma_f32 v62, v128, v92, -v62
	s_delay_alu instid0(VALU_DEP_3) | instskip(NEXT) | instid1(VALU_DEP_3)
	v_dual_add_f32 v60, v60, v63 :: v_dual_mul_f32 v63, v137, v133
	v_add_f32_e32 v58, v58, v146
	v_fma_f32 v61, v130, v94, -v61
	s_delay_alu instid0(VALU_DEP_3) | instskip(NEXT) | instid1(VALU_DEP_4)
	v_add_f32_e32 v60, v60, v62
	v_fma_f32 v62, v136, v132, -v63
	s_delay_alu instid0(VALU_DEP_4) | instskip(NEXT) | instid1(VALU_DEP_3)
	v_add_f32_e32 v58, v58, v147
	v_add_f32_e32 v60, v60, v61
	s_delay_alu instid0(VALU_DEP_2) | instskip(NEXT) | instid1(VALU_DEP_2)
	v_add_f32_e32 v58, v58, v148
	v_add_f32_e32 v60, v60, v62
	s_delay_alu instid0(VALU_DEP_2) | instskip(SKIP_1) | instid1(VALU_DEP_2)
	v_add_f32_e32 v58, v58, v149
	s_wait_loadcnt 0x0
	v_sub_f32_e32 v60, v134, v60
	s_delay_alu instid0(VALU_DEP_2) | instskip(NEXT) | instid1(VALU_DEP_1)
	v_add_f32_e32 v58, v58, v150
	v_add_f32_e32 v58, v58, v151
	s_delay_alu instid0(VALU_DEP_1) | instskip(NEXT) | instid1(VALU_DEP_1)
	v_add_f32_e32 v58, v58, v152
	v_add_f32_e32 v58, v58, v153
	s_delay_alu instid0(VALU_DEP_1) | instskip(NEXT) | instid1(VALU_DEP_1)
	v_add_f32_e32 v58, v58, v154
	v_add_f32_e32 v58, v58, v155
	s_delay_alu instid0(VALU_DEP_1)
	v_sub_f32_e32 v61, v135, v58
	scratch_store_b64 off, v[60:61], off offset:64
	v_cmpx_lt_u32_e32 7, v0
	s_cbranch_execz .LBB27_167
; %bb.166:
	scratch_load_b64 v[60:61], off, off offset:56
	v_mov_b32_e32 v58, v57
	scratch_store_b64 off, v[57:58], off offset:56
	s_wait_loadcnt 0x0
	ds_store_b64 v59, v[60:61]
.LBB27_167:
	s_wait_alu 0xfffe
	s_or_b32 exec_lo, exec_lo, s0
	s_wait_storecnt_dscnt 0x0
	s_barrier_signal -1
	s_barrier_wait -1
	global_inv scope:SCOPE_SE
	s_clause 0xa
	scratch_load_b128 v[60:63], off, off offset:64
	scratch_load_b128 v[64:67], off, off offset:80
	;; [unrolled: 1-line block ×10, first 2 shown]
	scratch_load_b64 v[140:141], off, off offset:56
	ds_load_b128 v[100:103], v57 offset:288
	ds_load_b128 v[104:107], v57 offset:304
	;; [unrolled: 1-line block ×10, first 2 shown]
	s_mov_b32 s0, exec_lo
	s_wait_loadcnt_dscnt 0xa09
	v_dual_mul_f32 v57, v100, v61 :: v_dual_mul_f32 v58, v102, v63
	v_mul_f32_e32 v61, v101, v61
	s_wait_loadcnt_dscnt 0x908
	v_dual_mul_f32 v63, v103, v63 :: v_dual_mul_f32 v142, v104, v65
	s_delay_alu instid0(VALU_DEP_3) | instskip(NEXT) | instid1(VALU_DEP_3)
	v_dual_mul_f32 v143, v106, v67 :: v_dual_fmac_f32 v58, v103, v62
	v_fma_f32 v61, v100, v60, -v61
	v_fmac_f32_e32 v57, v101, v60
	v_mul_f32_e32 v60, v105, v65
	v_fma_f32 v62, v102, v62, -v63
	v_mul_f32_e32 v63, v107, v67
	v_dual_add_f32 v61, 0, v61 :: v_dual_fmac_f32 v142, v105, v64
	s_delay_alu instid0(VALU_DEP_4) | instskip(SKIP_2) | instid1(VALU_DEP_3)
	v_fma_f32 v60, v104, v64, -v60
	s_wait_loadcnt_dscnt 0x807
	v_dual_mul_f32 v144, v108, v69 :: v_dual_mul_f32 v145, v110, v71
	v_add_f32_e32 v61, v61, v62
	v_fmac_f32_e32 v143, v107, v66
	v_fma_f32 v62, v106, v66, -v63
	s_wait_loadcnt_dscnt 0x706
	v_dual_mul_f32 v146, v112, v73 :: v_dual_mul_f32 v147, v114, v75
	v_dual_add_f32 v60, v61, v60 :: v_dual_mul_f32 v61, v111, v71
	v_fmac_f32_e32 v144, v109, v68
	s_wait_loadcnt_dscnt 0x605
	v_dual_mul_f32 v148, v116, v77 :: v_dual_mul_f32 v149, v118, v79
	s_delay_alu instid0(VALU_DEP_3) | instskip(SKIP_3) | instid1(VALU_DEP_4)
	v_dual_add_f32 v60, v60, v62 :: v_dual_add_f32 v57, 0, v57
	v_mul_f32_e32 v62, v113, v73
	v_fma_f32 v61, v110, v70, -v61
	v_dual_fmac_f32 v145, v111, v70 :: v_dual_fmac_f32 v146, v113, v72
	v_add_f32_e32 v57, v57, v58
	v_mul_f32_e32 v58, v109, v69
	v_fma_f32 v62, v112, v72, -v62
	v_dual_fmac_f32 v147, v115, v74 :: v_dual_fmac_f32 v148, v117, v76
	s_wait_loadcnt_dscnt 0x504
	v_dual_mul_f32 v150, v120, v81 :: v_dual_mul_f32 v151, v122, v83
	v_fma_f32 v58, v108, v68, -v58
	s_wait_loadcnt_dscnt 0x403
	v_dual_mul_f32 v152, v124, v85 :: v_dual_mul_f32 v153, v126, v87
	s_wait_loadcnt_dscnt 0x302
	v_dual_mul_f32 v154, v128, v89 :: v_dual_mul_f32 v155, v130, v91
	v_add_f32_e32 v58, v60, v58
	v_mul_f32_e32 v60, v115, v75
	v_dual_fmac_f32 v152, v125, v84 :: v_dual_fmac_f32 v153, v127, v86
	s_delay_alu instid0(VALU_DEP_4) | instskip(NEXT) | instid1(VALU_DEP_4)
	v_dual_fmac_f32 v154, v129, v88 :: v_dual_fmac_f32 v155, v131, v90
	v_dual_add_f32 v58, v58, v61 :: v_dual_add_f32 v57, v57, v142
	v_mul_f32_e32 v61, v117, v77
	v_fma_f32 v60, v114, v74, -v60
	v_fmac_f32_e32 v149, v119, v78
	s_delay_alu instid0(VALU_DEP_4)
	v_add_f32_e32 v58, v58, v62
	v_mul_f32_e32 v62, v119, v79
	v_add_f32_e32 v57, v57, v143
	v_fma_f32 v61, v116, v76, -v61
	v_fmac_f32_e32 v150, v121, v80
	v_add_f32_e32 v58, v58, v60
	v_mul_f32_e32 v60, v121, v81
	v_add_f32_e32 v57, v57, v144
	v_fma_f32 v62, v118, v78, -v62
	s_delay_alu instid0(VALU_DEP_4) | instskip(SKIP_1) | instid1(VALU_DEP_4)
	v_dual_fmac_f32 v151, v123, v82 :: v_dual_add_f32 v58, v58, v61
	v_mul_f32_e32 v61, v123, v83
	v_add_f32_e32 v57, v57, v145
	v_fma_f32 v60, v120, v80, -v60
	s_wait_loadcnt_dscnt 0x201
	v_dual_mul_f32 v156, v132, v93 :: v_dual_mul_f32 v157, v134, v95
	v_add_f32_e32 v58, v58, v62
	v_add_f32_e32 v57, v57, v146
	v_fma_f32 v61, v122, v82, -v61
	v_mul_f32_e32 v62, v125, v85
	s_wait_loadcnt_dscnt 0x100
	v_dual_mul_f32 v158, v136, v97 :: v_dual_mul_f32 v159, v138, v99
	v_dual_add_f32 v58, v58, v60 :: v_dual_add_f32 v57, v57, v147
	v_mul_f32_e32 v60, v127, v87
	v_fma_f32 v62, v124, v84, -v62
	v_dual_fmac_f32 v156, v133, v92 :: v_dual_fmac_f32 v157, v135, v94
	s_delay_alu instid0(VALU_DEP_4) | instskip(SKIP_3) | instid1(VALU_DEP_4)
	v_dual_add_f32 v58, v58, v61 :: v_dual_add_f32 v57, v57, v148
	v_mul_f32_e32 v61, v129, v89
	v_fma_f32 v60, v126, v86, -v60
	v_fmac_f32_e32 v159, v139, v98
	v_dual_add_f32 v58, v58, v62 :: v_dual_add_f32 v57, v57, v149
	v_mul_f32_e32 v62, v131, v91
	v_fma_f32 v61, v128, v88, -v61
	s_delay_alu instid0(VALU_DEP_3) | instskip(SKIP_1) | instid1(VALU_DEP_4)
	v_dual_add_f32 v58, v58, v60 :: v_dual_add_f32 v57, v57, v150
	v_mul_f32_e32 v60, v133, v93
	v_fma_f32 v62, v130, v90, -v62
	s_delay_alu instid0(VALU_DEP_3) | instskip(SKIP_1) | instid1(VALU_DEP_4)
	;; [unrolled: 4-line block ×4, first 2 shown]
	v_dual_add_f32 v58, v58, v60 :: v_dual_add_f32 v57, v57, v153
	v_mul_f32_e32 v60, v139, v99
	v_fma_f32 v62, v136, v96, -v62
	s_delay_alu instid0(VALU_DEP_3) | instskip(NEXT) | instid1(VALU_DEP_3)
	v_dual_add_f32 v58, v58, v61 :: v_dual_add_f32 v57, v57, v154
	v_fma_f32 v60, v138, v98, -v60
	s_delay_alu instid0(VALU_DEP_2) | instskip(NEXT) | instid1(VALU_DEP_1)
	v_dual_add_f32 v58, v58, v62 :: v_dual_add_f32 v57, v57, v155
	v_add_f32_e32 v58, v58, v60
	s_delay_alu instid0(VALU_DEP_2) | instskip(SKIP_1) | instid1(VALU_DEP_2)
	v_add_f32_e32 v57, v57, v156
	v_fmac_f32_e32 v158, v137, v96
	v_add_f32_e32 v57, v57, v157
	s_delay_alu instid0(VALU_DEP_1) | instskip(SKIP_1) | instid1(VALU_DEP_1)
	v_add_f32_e32 v57, v57, v158
	s_wait_loadcnt 0x0
	v_dual_add_f32 v60, v57, v159 :: v_dual_sub_f32 v57, v140, v58
	s_delay_alu instid0(VALU_DEP_1)
	v_sub_f32_e32 v58, v141, v60
	scratch_store_b64 off, v[57:58], off offset:56
	v_cmpx_lt_u32_e32 6, v0
	s_cbranch_execz .LBB27_169
; %bb.168:
	scratch_load_b64 v[57:58], off, off offset:48
	v_mov_b32_e32 v60, 0
	s_delay_alu instid0(VALU_DEP_1)
	v_mov_b32_e32 v61, v60
	scratch_store_b64 off, v[60:61], off offset:48
	s_wait_loadcnt 0x0
	ds_store_b64 v59, v[57:58]
.LBB27_169:
	s_wait_alu 0xfffe
	s_or_b32 exec_lo, exec_lo, s0
	s_wait_storecnt_dscnt 0x0
	s_barrier_signal -1
	s_barrier_wait -1
	global_inv scope:SCOPE_SE
	s_clause 0xb
	scratch_load_b128 v[60:63], off, off offset:56
	scratch_load_b128 v[64:67], off, off offset:72
	;; [unrolled: 1-line block ×10, first 2 shown]
	scratch_load_b64 v[140:141], off, off offset:216
	scratch_load_b64 v[142:143], off, off offset:48
	v_mov_b32_e32 v57, 0
	ds_load_2addr_b64 v[100:103], v57 offset0:35 offset1:36
	ds_load_2addr_b64 v[104:107], v57 offset0:37 offset1:38
	;; [unrolled: 1-line block ×10, first 2 shown]
	ds_load_b64 v[144:145], v57 offset:440
	s_mov_b32 s0, exec_lo
	s_wait_loadcnt_dscnt 0xb0a
	v_mul_f32_e32 v58, v100, v61
	s_wait_loadcnt_dscnt 0xa09
	v_dual_mul_f32 v146, v102, v63 :: v_dual_mul_f32 v147, v104, v65
	v_mul_f32_e32 v63, v103, v63
	v_dual_mul_f32 v61, v101, v61 :: v_dual_mul_f32 v148, v106, v67
	s_wait_loadcnt_dscnt 0x908
	v_dual_mul_f32 v149, v108, v69 :: v_dual_fmac_f32 v58, v101, v60
	s_wait_loadcnt_dscnt 0x302
	v_mul_f32_e32 v162, v134, v95
	v_fma_f32 v61, v100, v60, -v61
	s_wait_loadcnt_dscnt 0x100
	v_mul_f32_e32 v165, v144, v141
	v_mul_f32_e32 v60, v105, v65
	v_fmac_f32_e32 v146, v103, v62
	v_fma_f32 v62, v102, v62, -v63
	v_dual_add_f32 v61, 0, v61 :: v_dual_add_f32 v58, 0, v58
	v_mul_f32_e32 v63, v107, v67
	v_fmac_f32_e32 v147, v105, v64
	v_fma_f32 v60, v104, v64, -v60
	v_dual_mul_f32 v152, v114, v75 :: v_dual_mul_f32 v153, v116, v77
	v_add_f32_e32 v58, v58, v146
	v_add_f32_e32 v61, v61, v62
	v_mul_f32_e32 v62, v109, v69
	v_fma_f32 v63, v106, v66, -v63
	v_dual_mul_f32 v154, v118, v79 :: v_dual_mul_f32 v155, v120, v81
	v_add_f32_e32 v58, v58, v147
	v_dual_add_f32 v60, v61, v60 :: v_dual_mul_f32 v61, v111, v71
	v_fma_f32 v62, v108, v68, -v62
	v_dual_mul_f32 v156, v122, v83 :: v_dual_mul_f32 v157, v124, v85
	s_delay_alu instid0(VALU_DEP_3) | instskip(NEXT) | instid1(VALU_DEP_4)
	v_dual_add_f32 v60, v60, v63 :: v_dual_mul_f32 v63, v113, v73
	v_fma_f32 v61, v110, v70, -v61
	v_dual_fmac_f32 v148, v107, v66 :: v_dual_fmac_f32 v149, v109, v68
	s_delay_alu instid0(VALU_DEP_3) | instskip(SKIP_2) | instid1(VALU_DEP_3)
	v_dual_add_f32 v60, v60, v62 :: v_dual_fmac_f32 v153, v117, v76
	v_dual_mul_f32 v62, v115, v75 :: v_dual_fmac_f32 v155, v121, v80
	v_fma_f32 v63, v112, v72, -v63
	v_dual_add_f32 v60, v60, v61 :: v_dual_fmac_f32 v157, v125, v84
	v_dual_mul_f32 v158, v126, v87 :: v_dual_mul_f32 v159, v128, v89
	v_dual_add_f32 v58, v58, v148 :: v_dual_mul_f32 v61, v117, v77
	v_fma_f32 v62, v114, v74, -v62
	s_delay_alu instid0(VALU_DEP_3) | instskip(SKIP_1) | instid1(VALU_DEP_4)
	v_dual_add_f32 v60, v60, v63 :: v_dual_fmac_f32 v159, v129, v88
	v_mul_f32_e32 v63, v119, v79
	v_fma_f32 v61, v116, v76, -v61
	v_dual_mul_f32 v150, v110, v71 :: v_dual_mul_f32 v151, v112, v73
	s_delay_alu instid0(VALU_DEP_4) | instskip(SKIP_3) | instid1(VALU_DEP_3)
	v_add_f32_e32 v60, v60, v62
	v_dual_mul_f32 v163, v136, v97 :: v_dual_mul_f32 v164, v138, v99
	v_mul_f32_e32 v62, v121, v81
	v_fma_f32 v63, v118, v78, -v63
	v_dual_add_f32 v60, v60, v61 :: v_dual_fmac_f32 v163, v137, v96
	v_dual_fmac_f32 v150, v111, v70 :: v_dual_fmac_f32 v151, v113, v72
	v_dual_add_f32 v58, v58, v149 :: v_dual_mul_f32 v61, v123, v83
	v_fma_f32 v62, v120, v80, -v62
	s_delay_alu instid0(VALU_DEP_4) | instskip(NEXT) | instid1(VALU_DEP_3)
	v_dual_add_f32 v60, v60, v63 :: v_dual_mul_f32 v63, v125, v85
	v_add_f32_e32 v58, v58, v150
	s_delay_alu instid0(VALU_DEP_4) | instskip(SKIP_1) | instid1(VALU_DEP_4)
	v_fma_f32 v61, v122, v82, -v61
	v_dual_mul_f32 v160, v130, v91 :: v_dual_mul_f32 v161, v132, v93
	v_add_f32_e32 v60, v60, v62
	v_mul_f32_e32 v62, v127, v87
	v_fma_f32 v63, v124, v84, -v63
	v_fmac_f32_e32 v152, v115, v74
	v_dual_add_f32 v58, v58, v151 :: v_dual_fmac_f32 v161, v133, v92
	v_add_f32_e32 v60, v60, v61
	v_mul_f32_e32 v61, v129, v89
	v_fma_f32 v62, v126, v86, -v62
	s_delay_alu instid0(VALU_DEP_4)
	v_add_f32_e32 v58, v58, v152
	v_fmac_f32_e32 v154, v119, v78
	v_add_f32_e32 v60, v60, v63
	v_mul_f32_e32 v63, v131, v91
	v_fma_f32 v61, v128, v88, -v61
	v_dual_fmac_f32 v165, v145, v140 :: v_dual_fmac_f32 v156, v123, v82
	s_delay_alu instid0(VALU_DEP_4) | instskip(NEXT) | instid1(VALU_DEP_4)
	v_add_f32_e32 v60, v60, v62
	v_fma_f32 v63, v130, v90, -v63
	v_fmac_f32_e32 v158, v127, v86
	v_mul_f32_e32 v62, v133, v93
	v_fmac_f32_e32 v160, v131, v90
	v_dual_add_f32 v60, v60, v61 :: v_dual_mul_f32 v61, v135, v95
	v_add_f32_e32 v58, v58, v153
	s_delay_alu instid0(VALU_DEP_4) | instskip(SKIP_1) | instid1(VALU_DEP_4)
	v_fma_f32 v62, v132, v92, -v62
	v_fmac_f32_e32 v162, v135, v94
	v_dual_add_f32 v60, v60, v63 :: v_dual_mul_f32 v63, v137, v97
	s_delay_alu instid0(VALU_DEP_4) | instskip(SKIP_2) | instid1(VALU_DEP_4)
	v_add_f32_e32 v58, v58, v154
	v_fma_f32 v61, v134, v94, -v61
	v_fmac_f32_e32 v164, v139, v98
	v_add_f32_e32 v60, v60, v62
	v_mul_f32_e32 v62, v139, v99
	v_add_f32_e32 v58, v58, v155
	v_fma_f32 v63, v136, v96, -v63
	s_delay_alu instid0(VALU_DEP_4) | instskip(NEXT) | instid1(VALU_DEP_3)
	v_add_f32_e32 v60, v60, v61
	v_dual_mul_f32 v61, v145, v141 :: v_dual_add_f32 v58, v58, v156
	v_fma_f32 v62, v138, v98, -v62
	s_delay_alu instid0(VALU_DEP_3) | instskip(NEXT) | instid1(VALU_DEP_3)
	v_add_f32_e32 v60, v60, v63
	v_fma_f32 v61, v144, v140, -v61
	s_delay_alu instid0(VALU_DEP_4) | instskip(NEXT) | instid1(VALU_DEP_3)
	v_add_f32_e32 v58, v58, v157
	v_add_f32_e32 v60, v60, v62
	s_delay_alu instid0(VALU_DEP_2) | instskip(NEXT) | instid1(VALU_DEP_2)
	v_add_f32_e32 v58, v58, v158
	v_add_f32_e32 v60, v60, v61
	s_delay_alu instid0(VALU_DEP_2) | instskip(SKIP_1) | instid1(VALU_DEP_2)
	v_add_f32_e32 v58, v58, v159
	s_wait_loadcnt 0x0
	v_sub_f32_e32 v60, v142, v60
	s_delay_alu instid0(VALU_DEP_2) | instskip(NEXT) | instid1(VALU_DEP_1)
	v_add_f32_e32 v58, v58, v160
	v_add_f32_e32 v58, v58, v161
	s_delay_alu instid0(VALU_DEP_1) | instskip(NEXT) | instid1(VALU_DEP_1)
	v_add_f32_e32 v58, v58, v162
	v_add_f32_e32 v58, v58, v163
	s_delay_alu instid0(VALU_DEP_1) | instskip(NEXT) | instid1(VALU_DEP_1)
	v_add_f32_e32 v58, v58, v164
	v_add_f32_e32 v58, v58, v165
	s_delay_alu instid0(VALU_DEP_1)
	v_sub_f32_e32 v61, v143, v58
	scratch_store_b64 off, v[60:61], off offset:48
	v_cmpx_lt_u32_e32 5, v0
	s_cbranch_execz .LBB27_171
; %bb.170:
	scratch_load_b64 v[60:61], off, off offset:40
	v_mov_b32_e32 v58, v57
	scratch_store_b64 off, v[57:58], off offset:40
	s_wait_loadcnt 0x0
	ds_store_b64 v59, v[60:61]
.LBB27_171:
	s_wait_alu 0xfffe
	s_or_b32 exec_lo, exec_lo, s0
	s_wait_storecnt_dscnt 0x0
	s_barrier_signal -1
	s_barrier_wait -1
	global_inv scope:SCOPE_SE
	s_clause 0xb
	scratch_load_b128 v[60:63], off, off offset:48
	scratch_load_b128 v[64:67], off, off offset:64
	;; [unrolled: 1-line block ×11, first 2 shown]
	scratch_load_b64 v[148:149], off, off offset:40
	ds_load_b128 v[104:107], v57 offset:272
	ds_load_b128 v[108:111], v57 offset:288
	;; [unrolled: 1-line block ×11, first 2 shown]
	s_mov_b32 s0, exec_lo
	s_wait_loadcnt_dscnt 0xb0a
	v_dual_mul_f32 v57, v104, v61 :: v_dual_mul_f32 v58, v106, v63
	v_mul_f32_e32 v61, v105, v61
	s_wait_loadcnt_dscnt 0xa09
	v_dual_mul_f32 v63, v107, v63 :: v_dual_mul_f32 v150, v108, v65
	s_delay_alu instid0(VALU_DEP_3) | instskip(NEXT) | instid1(VALU_DEP_3)
	v_dual_mul_f32 v151, v110, v67 :: v_dual_fmac_f32 v58, v107, v62
	v_fma_f32 v61, v104, v60, -v61
	v_fmac_f32_e32 v57, v105, v60
	v_mul_f32_e32 v60, v109, v65
	v_fma_f32 v62, v106, v62, -v63
	v_mul_f32_e32 v63, v111, v67
	v_dual_add_f32 v61, 0, v61 :: v_dual_fmac_f32 v150, v109, v64
	s_delay_alu instid0(VALU_DEP_4) | instskip(SKIP_2) | instid1(VALU_DEP_3)
	v_fma_f32 v60, v108, v64, -v60
	s_wait_loadcnt_dscnt 0x908
	v_dual_mul_f32 v152, v112, v69 :: v_dual_mul_f32 v153, v114, v71
	v_add_f32_e32 v61, v61, v62
	v_fmac_f32_e32 v151, v111, v66
	v_fma_f32 v62, v110, v66, -v63
	s_wait_loadcnt_dscnt 0x807
	v_dual_mul_f32 v154, v116, v73 :: v_dual_mul_f32 v155, v118, v75
	v_dual_add_f32 v60, v61, v60 :: v_dual_mul_f32 v61, v115, v71
	v_fmac_f32_e32 v152, v113, v68
	s_wait_loadcnt_dscnt 0x706
	v_dual_mul_f32 v156, v120, v77 :: v_dual_mul_f32 v157, v122, v79
	s_delay_alu instid0(VALU_DEP_3) | instskip(SKIP_3) | instid1(VALU_DEP_4)
	v_dual_add_f32 v60, v60, v62 :: v_dual_add_f32 v57, 0, v57
	v_mul_f32_e32 v62, v117, v73
	v_fma_f32 v61, v114, v70, -v61
	v_dual_fmac_f32 v153, v115, v70 :: v_dual_fmac_f32 v154, v117, v72
	v_add_f32_e32 v57, v57, v58
	v_mul_f32_e32 v58, v113, v69
	v_fma_f32 v62, v116, v72, -v62
	v_dual_fmac_f32 v155, v119, v74 :: v_dual_fmac_f32 v156, v121, v76
	s_wait_loadcnt_dscnt 0x605
	v_dual_mul_f32 v158, v124, v81 :: v_dual_mul_f32 v159, v126, v83
	v_fma_f32 v58, v112, v68, -v58
	s_wait_loadcnt_dscnt 0x504
	v_dual_mul_f32 v160, v128, v85 :: v_dual_mul_f32 v161, v130, v87
	s_wait_loadcnt_dscnt 0x403
	v_dual_mul_f32 v162, v132, v89 :: v_dual_mul_f32 v163, v134, v91
	v_add_f32_e32 v58, v60, v58
	v_mul_f32_e32 v60, v119, v75
	v_dual_fmac_f32 v160, v129, v84 :: v_dual_fmac_f32 v161, v131, v86
	s_delay_alu instid0(VALU_DEP_4) | instskip(NEXT) | instid1(VALU_DEP_4)
	v_dual_fmac_f32 v162, v133, v88 :: v_dual_fmac_f32 v163, v135, v90
	v_dual_add_f32 v58, v58, v61 :: v_dual_add_f32 v57, v57, v150
	v_mul_f32_e32 v61, v121, v77
	v_fma_f32 v60, v118, v74, -v60
	v_fmac_f32_e32 v157, v123, v78
	s_delay_alu instid0(VALU_DEP_4)
	v_add_f32_e32 v58, v58, v62
	v_mul_f32_e32 v62, v123, v79
	v_add_f32_e32 v57, v57, v151
	v_fma_f32 v61, v120, v76, -v61
	v_fmac_f32_e32 v158, v125, v80
	v_add_f32_e32 v58, v58, v60
	v_mul_f32_e32 v60, v125, v81
	v_add_f32_e32 v57, v57, v152
	v_fma_f32 v62, v122, v78, -v62
	s_delay_alu instid0(VALU_DEP_4) | instskip(SKIP_1) | instid1(VALU_DEP_4)
	v_dual_fmac_f32 v159, v127, v82 :: v_dual_add_f32 v58, v58, v61
	v_mul_f32_e32 v61, v127, v83
	v_add_f32_e32 v57, v57, v153
	v_fma_f32 v60, v124, v80, -v60
	s_wait_loadcnt_dscnt 0x302
	v_dual_mul_f32 v164, v136, v93 :: v_dual_mul_f32 v165, v138, v95
	v_add_f32_e32 v58, v58, v62
	v_add_f32_e32 v57, v57, v154
	v_fma_f32 v61, v126, v82, -v61
	v_mul_f32_e32 v62, v129, v85
	s_wait_loadcnt_dscnt 0x201
	v_dual_mul_f32 v166, v140, v97 :: v_dual_mul_f32 v167, v142, v99
	v_dual_add_f32 v58, v58, v60 :: v_dual_add_f32 v57, v57, v155
	v_mul_f32_e32 v60, v131, v87
	v_fma_f32 v62, v128, v84, -v62
	v_dual_fmac_f32 v164, v137, v92 :: v_dual_fmac_f32 v165, v139, v94
	s_delay_alu instid0(VALU_DEP_4)
	v_dual_add_f32 v58, v58, v61 :: v_dual_add_f32 v57, v57, v156
	v_mul_f32_e32 v61, v133, v89
	v_fma_f32 v60, v130, v86, -v60
	s_wait_loadcnt_dscnt 0x100
	v_dual_mul_f32 v168, v144, v101 :: v_dual_mul_f32 v169, v146, v103
	v_dual_add_f32 v57, v57, v157 :: v_dual_add_f32 v58, v58, v62
	v_mul_f32_e32 v62, v135, v91
	v_fma_f32 v61, v132, v88, -v61
	s_delay_alu instid0(VALU_DEP_4) | instskip(NEXT) | instid1(VALU_DEP_4)
	v_dual_fmac_f32 v166, v141, v96 :: v_dual_fmac_f32 v169, v147, v102
	v_dual_add_f32 v57, v57, v158 :: v_dual_add_f32 v58, v58, v60
	v_mul_f32_e32 v60, v137, v93
	v_fma_f32 v62, v134, v90, -v62
	v_fmac_f32_e32 v167, v143, v98
	s_delay_alu instid0(VALU_DEP_4) | instskip(SKIP_2) | instid1(VALU_DEP_3)
	v_dual_add_f32 v57, v57, v159 :: v_dual_add_f32 v58, v58, v61
	v_mul_f32_e32 v61, v139, v95
	v_fma_f32 v60, v136, v92, -v60
	v_dual_add_f32 v57, v57, v160 :: v_dual_add_f32 v58, v58, v62
	v_mul_f32_e32 v62, v141, v97
	s_delay_alu instid0(VALU_DEP_4) | instskip(NEXT) | instid1(VALU_DEP_3)
	v_fma_f32 v61, v138, v94, -v61
	v_dual_add_f32 v57, v57, v161 :: v_dual_add_f32 v58, v58, v60
	v_mul_f32_e32 v60, v143, v99
	s_delay_alu instid0(VALU_DEP_4) | instskip(NEXT) | instid1(VALU_DEP_3)
	;; [unrolled: 4-line block ×4, first 2 shown]
	v_fma_f32 v61, v144, v100, -v61
	v_add_f32_e32 v57, v57, v164
	s_delay_alu instid0(VALU_DEP_4) | instskip(NEXT) | instid1(VALU_DEP_4)
	v_add_f32_e32 v58, v58, v60
	v_fma_f32 v60, v146, v102, -v62
	s_delay_alu instid0(VALU_DEP_3) | instskip(NEXT) | instid1(VALU_DEP_1)
	v_add_f32_e32 v57, v57, v165
	v_dual_add_f32 v58, v58, v61 :: v_dual_add_f32 v57, v57, v166
	s_delay_alu instid0(VALU_DEP_1) | instskip(SKIP_1) | instid1(VALU_DEP_3)
	v_add_f32_e32 v58, v58, v60
	v_fmac_f32_e32 v168, v145, v100
	v_add_f32_e32 v57, v57, v167
	s_delay_alu instid0(VALU_DEP_1) | instskip(SKIP_1) | instid1(VALU_DEP_1)
	v_add_f32_e32 v57, v57, v168
	s_wait_loadcnt 0x0
	v_dual_add_f32 v60, v57, v169 :: v_dual_sub_f32 v57, v148, v58
	s_delay_alu instid0(VALU_DEP_1)
	v_sub_f32_e32 v58, v149, v60
	scratch_store_b64 off, v[57:58], off offset:40
	v_cmpx_lt_u32_e32 4, v0
	s_cbranch_execz .LBB27_173
; %bb.172:
	scratch_load_b64 v[57:58], off, off offset:32
	v_mov_b32_e32 v60, 0
	s_delay_alu instid0(VALU_DEP_1)
	v_mov_b32_e32 v61, v60
	scratch_store_b64 off, v[60:61], off offset:32
	s_wait_loadcnt 0x0
	ds_store_b64 v59, v[57:58]
.LBB27_173:
	s_wait_alu 0xfffe
	s_or_b32 exec_lo, exec_lo, s0
	s_wait_storecnt_dscnt 0x0
	s_barrier_signal -1
	s_barrier_wait -1
	global_inv scope:SCOPE_SE
	s_clause 0xc
	scratch_load_b128 v[60:63], off, off offset:40
	scratch_load_b128 v[64:67], off, off offset:56
	;; [unrolled: 1-line block ×11, first 2 shown]
	scratch_load_b64 v[148:149], off, off offset:216
	scratch_load_b64 v[150:151], off, off offset:32
	v_mov_b32_e32 v57, 0
	ds_load_2addr_b64 v[104:107], v57 offset0:33 offset1:34
	ds_load_2addr_b64 v[108:111], v57 offset0:35 offset1:36
	ds_load_2addr_b64 v[112:115], v57 offset0:37 offset1:38
	ds_load_2addr_b64 v[116:119], v57 offset0:39 offset1:40
	ds_load_2addr_b64 v[120:123], v57 offset0:41 offset1:42
	ds_load_2addr_b64 v[124:127], v57 offset0:43 offset1:44
	ds_load_2addr_b64 v[128:131], v57 offset0:45 offset1:46
	ds_load_2addr_b64 v[132:135], v57 offset0:47 offset1:48
	ds_load_2addr_b64 v[136:139], v57 offset0:49 offset1:50
	ds_load_2addr_b64 v[140:143], v57 offset0:51 offset1:52
	ds_load_2addr_b64 v[144:147], v57 offset0:53 offset1:54
	ds_load_b64 v[152:153], v57 offset:440
	s_mov_b32 s0, exec_lo
	s_wait_loadcnt_dscnt 0xc0b
	v_mul_f32_e32 v58, v104, v61
	s_wait_loadcnt_dscnt 0xb0a
	v_dual_mul_f32 v154, v106, v63 :: v_dual_mul_f32 v155, v108, v65
	v_mul_f32_e32 v63, v107, v63
	s_wait_loadcnt_dscnt 0xa09
	v_dual_mul_f32 v156, v110, v67 :: v_dual_mul_f32 v157, v112, v69
	v_mul_f32_e32 v61, v105, v61
	v_fmac_f32_e32 v58, v105, v60
	s_wait_loadcnt_dscnt 0x807
	v_dual_mul_f32 v160, v118, v75 :: v_dual_mul_f32 v161, v120, v77
	s_wait_loadcnt_dscnt 0x100
	v_dual_mul_f32 v172, v142, v99 :: v_dual_mul_f32 v175, v152, v149
	v_fma_f32 v61, v104, v60, -v61
	v_mul_f32_e32 v60, v109, v65
	v_fmac_f32_e32 v154, v107, v62
	v_fma_f32 v62, v106, v62, -v63
	v_dual_add_f32 v58, 0, v58 :: v_dual_mul_f32 v63, v111, v67
	v_add_f32_e32 v61, 0, v61
	v_fmac_f32_e32 v155, v109, v64
	v_fma_f32 v60, v108, v64, -v60
	s_delay_alu instid0(VALU_DEP_4)
	v_add_f32_e32 v58, v58, v154
	v_fma_f32 v63, v110, v66, -v63
	v_add_f32_e32 v61, v61, v62
	v_mul_f32_e32 v62, v113, v69
	v_dual_mul_f32 v162, v122, v79 :: v_dual_mul_f32 v163, v124, v81
	v_add_f32_e32 v58, v58, v155
	s_delay_alu instid0(VALU_DEP_4) | instskip(NEXT) | instid1(VALU_DEP_4)
	v_dual_add_f32 v60, v61, v60 :: v_dual_mul_f32 v61, v115, v71
	v_fma_f32 v62, v112, v68, -v62
	v_dual_mul_f32 v164, v126, v83 :: v_dual_mul_f32 v165, v128, v85
	s_delay_alu instid0(VALU_DEP_3) | instskip(NEXT) | instid1(VALU_DEP_4)
	v_dual_add_f32 v60, v60, v63 :: v_dual_mul_f32 v63, v117, v73
	v_fma_f32 v61, v114, v70, -v61
	v_dual_fmac_f32 v156, v111, v66 :: v_dual_fmac_f32 v157, v113, v68
	s_delay_alu instid0(VALU_DEP_3) | instskip(SKIP_2) | instid1(VALU_DEP_3)
	v_dual_add_f32 v60, v60, v62 :: v_dual_fmac_f32 v161, v121, v76
	v_dual_mul_f32 v62, v119, v75 :: v_dual_fmac_f32 v163, v125, v80
	v_fma_f32 v63, v116, v72, -v63
	v_dual_add_f32 v60, v60, v61 :: v_dual_fmac_f32 v165, v129, v84
	v_dual_mul_f32 v166, v130, v87 :: v_dual_mul_f32 v167, v132, v89
	v_dual_add_f32 v58, v58, v156 :: v_dual_mul_f32 v61, v121, v77
	v_fma_f32 v62, v118, v74, -v62
	s_delay_alu instid0(VALU_DEP_3) | instskip(SKIP_1) | instid1(VALU_DEP_4)
	v_dual_add_f32 v60, v60, v63 :: v_dual_fmac_f32 v167, v133, v88
	v_mul_f32_e32 v63, v123, v79
	v_fma_f32 v61, v120, v76, -v61
	v_dual_mul_f32 v158, v114, v71 :: v_dual_mul_f32 v159, v116, v73
	s_delay_alu instid0(VALU_DEP_4) | instskip(SKIP_3) | instid1(VALU_DEP_4)
	v_add_f32_e32 v60, v60, v62
	v_dual_mul_f32 v170, v138, v95 :: v_dual_mul_f32 v171, v140, v97
	v_mul_f32_e32 v62, v125, v81
	v_fma_f32 v63, v122, v78, -v63
	v_add_f32_e32 v60, v60, v61
	v_dual_fmac_f32 v158, v115, v70 :: v_dual_fmac_f32 v159, v117, v72
	v_dual_add_f32 v58, v58, v157 :: v_dual_mul_f32 v61, v127, v83
	v_fma_f32 v62, v124, v80, -v62
	s_delay_alu instid0(VALU_DEP_4) | instskip(NEXT) | instid1(VALU_DEP_3)
	v_dual_fmac_f32 v171, v141, v96 :: v_dual_add_f32 v60, v60, v63
	v_dual_add_f32 v58, v58, v158 :: v_dual_mul_f32 v63, v129, v85
	s_delay_alu instid0(VALU_DEP_4) | instskip(SKIP_1) | instid1(VALU_DEP_4)
	v_fma_f32 v61, v126, v82, -v61
	v_dual_mul_f32 v168, v134, v91 :: v_dual_mul_f32 v169, v136, v93
	v_add_f32_e32 v60, v60, v62
	v_mul_f32_e32 v62, v131, v87
	v_fma_f32 v63, v128, v84, -v63
	v_fmac_f32_e32 v160, v119, v74
	v_dual_add_f32 v58, v58, v159 :: v_dual_fmac_f32 v169, v137, v92
	v_add_f32_e32 v60, v60, v61
	v_mul_f32_e32 v61, v133, v89
	v_fma_f32 v62, v130, v86, -v62
	s_delay_alu instid0(VALU_DEP_4)
	v_dual_add_f32 v58, v58, v160 :: v_dual_mul_f32 v173, v144, v101
	v_mul_f32_e32 v174, v146, v103
	v_add_f32_e32 v60, v60, v63
	v_mul_f32_e32 v63, v135, v91
	v_fma_f32 v61, v132, v88, -v61
	v_dual_fmac_f32 v162, v123, v78 :: v_dual_fmac_f32 v173, v145, v100
	s_delay_alu instid0(VALU_DEP_4) | instskip(NEXT) | instid1(VALU_DEP_4)
	v_add_f32_e32 v60, v60, v62
	v_fma_f32 v63, v134, v90, -v63
	v_dual_fmac_f32 v164, v127, v82 :: v_dual_fmac_f32 v175, v153, v148
	v_fmac_f32_e32 v166, v131, v86
	s_delay_alu instid0(VALU_DEP_4) | instskip(SKIP_3) | instid1(VALU_DEP_4)
	v_dual_add_f32 v60, v60, v61 :: v_dual_mul_f32 v61, v139, v95
	v_add_f32_e32 v58, v58, v161
	v_mul_f32_e32 v62, v137, v93
	v_fmac_f32_e32 v168, v135, v90
	v_dual_add_f32 v60, v60, v63 :: v_dual_mul_f32 v63, v141, v97
	s_delay_alu instid0(VALU_DEP_4) | instskip(NEXT) | instid1(VALU_DEP_4)
	v_add_f32_e32 v58, v58, v162
	v_fma_f32 v62, v136, v92, -v62
	v_fmac_f32_e32 v170, v139, v94
	v_fma_f32 v61, v138, v94, -v61
	v_fma_f32 v63, v140, v96, -v63
	v_add_f32_e32 v58, v58, v163
	v_add_f32_e32 v60, v60, v62
	v_mul_f32_e32 v62, v143, v99
	v_fmac_f32_e32 v172, v143, v98
	v_fmac_f32_e32 v174, v147, v102
	v_add_f32_e32 v58, v58, v164
	v_add_f32_e32 v60, v60, v61
	v_mul_f32_e32 v61, v145, v101
	v_fma_f32 v62, v142, v98, -v62
	s_delay_alu instid0(VALU_DEP_4) | instskip(NEXT) | instid1(VALU_DEP_4)
	v_add_f32_e32 v58, v58, v165
	v_add_f32_e32 v60, v60, v63
	v_mul_f32_e32 v63, v147, v103
	v_fma_f32 v61, v144, v100, -v61
	s_delay_alu instid0(VALU_DEP_4) | instskip(NEXT) | instid1(VALU_DEP_4)
	;; [unrolled: 5-line block ×3, first 2 shown]
	v_add_f32_e32 v58, v58, v167
	v_add_f32_e32 v60, v60, v61
	s_delay_alu instid0(VALU_DEP_4) | instskip(NEXT) | instid1(VALU_DEP_3)
	v_fma_f32 v61, v152, v148, -v62
	v_add_f32_e32 v58, v58, v168
	s_delay_alu instid0(VALU_DEP_3) | instskip(NEXT) | instid1(VALU_DEP_2)
	v_add_f32_e32 v60, v60, v63
	v_add_f32_e32 v58, v58, v169
	s_delay_alu instid0(VALU_DEP_2) | instskip(NEXT) | instid1(VALU_DEP_2)
	v_add_f32_e32 v60, v60, v61
	v_add_f32_e32 v58, v58, v170
	s_wait_loadcnt 0x0
	s_delay_alu instid0(VALU_DEP_2) | instskip(NEXT) | instid1(VALU_DEP_2)
	v_sub_f32_e32 v60, v150, v60
	v_add_f32_e32 v58, v58, v171
	s_delay_alu instid0(VALU_DEP_1) | instskip(NEXT) | instid1(VALU_DEP_1)
	v_add_f32_e32 v58, v58, v172
	v_add_f32_e32 v58, v58, v173
	s_delay_alu instid0(VALU_DEP_1) | instskip(NEXT) | instid1(VALU_DEP_1)
	v_add_f32_e32 v58, v58, v174
	v_add_f32_e32 v58, v58, v175
	s_delay_alu instid0(VALU_DEP_1)
	v_sub_f32_e32 v61, v151, v58
	scratch_store_b64 off, v[60:61], off offset:32
	v_cmpx_lt_u32_e32 3, v0
	s_cbranch_execz .LBB27_175
; %bb.174:
	scratch_load_b64 v[60:61], off, off offset:24
	v_mov_b32_e32 v58, v57
	scratch_store_b64 off, v[57:58], off offset:24
	s_wait_loadcnt 0x0
	ds_store_b64 v59, v[60:61]
.LBB27_175:
	s_wait_alu 0xfffe
	s_or_b32 exec_lo, exec_lo, s0
	s_wait_storecnt_dscnt 0x0
	s_barrier_signal -1
	s_barrier_wait -1
	global_inv scope:SCOPE_SE
	s_clause 0xc
	scratch_load_b128 v[60:63], off, off offset:32
	scratch_load_b128 v[64:67], off, off offset:48
	;; [unrolled: 1-line block ×12, first 2 shown]
	scratch_load_b64 v[156:157], off, off offset:24
	ds_load_b128 v[108:111], v57 offset:256
	ds_load_b128 v[112:115], v57 offset:272
	;; [unrolled: 1-line block ×12, first 2 shown]
	s_mov_b32 s0, exec_lo
	s_wait_loadcnt_dscnt 0xc0b
	v_dual_mul_f32 v57, v108, v61 :: v_dual_mul_f32 v58, v110, v63
	v_mul_f32_e32 v61, v109, v61
	s_wait_loadcnt_dscnt 0xb0a
	v_dual_mul_f32 v63, v111, v63 :: v_dual_mul_f32 v158, v112, v65
	s_delay_alu instid0(VALU_DEP_3) | instskip(NEXT) | instid1(VALU_DEP_3)
	v_dual_mul_f32 v159, v114, v67 :: v_dual_fmac_f32 v58, v111, v62
	v_fma_f32 v61, v108, v60, -v61
	v_fmac_f32_e32 v57, v109, v60
	v_mul_f32_e32 v60, v113, v65
	v_fma_f32 v62, v110, v62, -v63
	v_mul_f32_e32 v63, v115, v67
	v_dual_add_f32 v61, 0, v61 :: v_dual_fmac_f32 v158, v113, v64
	s_delay_alu instid0(VALU_DEP_4) | instskip(SKIP_2) | instid1(VALU_DEP_3)
	v_fma_f32 v60, v112, v64, -v60
	s_wait_loadcnt_dscnt 0xa09
	v_dual_mul_f32 v160, v116, v69 :: v_dual_mul_f32 v161, v118, v71
	v_add_f32_e32 v61, v61, v62
	v_fmac_f32_e32 v159, v115, v66
	v_fma_f32 v62, v114, v66, -v63
	s_wait_loadcnt_dscnt 0x908
	v_dual_mul_f32 v162, v120, v73 :: v_dual_mul_f32 v163, v122, v75
	v_dual_add_f32 v60, v61, v60 :: v_dual_mul_f32 v61, v119, v71
	v_fmac_f32_e32 v160, v117, v68
	s_wait_loadcnt_dscnt 0x807
	v_dual_mul_f32 v164, v124, v77 :: v_dual_mul_f32 v165, v126, v79
	s_delay_alu instid0(VALU_DEP_3) | instskip(SKIP_3) | instid1(VALU_DEP_4)
	v_dual_add_f32 v60, v60, v62 :: v_dual_add_f32 v57, 0, v57
	v_mul_f32_e32 v62, v121, v73
	v_fma_f32 v61, v118, v70, -v61
	v_dual_fmac_f32 v161, v119, v70 :: v_dual_fmac_f32 v162, v121, v72
	v_add_f32_e32 v57, v57, v58
	v_mul_f32_e32 v58, v117, v69
	v_fma_f32 v62, v120, v72, -v62
	v_dual_fmac_f32 v163, v123, v74 :: v_dual_fmac_f32 v164, v125, v76
	s_wait_loadcnt_dscnt 0x706
	v_dual_mul_f32 v166, v128, v81 :: v_dual_mul_f32 v167, v130, v83
	v_fma_f32 v58, v116, v68, -v58
	s_wait_loadcnt_dscnt 0x605
	v_dual_mul_f32 v168, v132, v85 :: v_dual_mul_f32 v169, v134, v87
	s_wait_loadcnt_dscnt 0x504
	v_dual_mul_f32 v170, v136, v89 :: v_dual_mul_f32 v171, v138, v91
	v_add_f32_e32 v58, v60, v58
	v_mul_f32_e32 v60, v123, v75
	v_dual_fmac_f32 v168, v133, v84 :: v_dual_fmac_f32 v169, v135, v86
	s_delay_alu instid0(VALU_DEP_4) | instskip(NEXT) | instid1(VALU_DEP_4)
	v_dual_fmac_f32 v170, v137, v88 :: v_dual_fmac_f32 v171, v139, v90
	v_dual_add_f32 v58, v58, v61 :: v_dual_add_f32 v57, v57, v158
	v_mul_f32_e32 v61, v125, v77
	v_fma_f32 v60, v122, v74, -v60
	v_fmac_f32_e32 v165, v127, v78
	s_delay_alu instid0(VALU_DEP_4)
	v_add_f32_e32 v58, v58, v62
	v_mul_f32_e32 v62, v127, v79
	v_add_f32_e32 v57, v57, v159
	v_fma_f32 v61, v124, v76, -v61
	v_fmac_f32_e32 v166, v129, v80
	v_add_f32_e32 v58, v58, v60
	v_mul_f32_e32 v60, v129, v81
	v_add_f32_e32 v57, v57, v160
	v_fma_f32 v62, v126, v78, -v62
	s_delay_alu instid0(VALU_DEP_4) | instskip(SKIP_1) | instid1(VALU_DEP_4)
	v_dual_fmac_f32 v167, v131, v82 :: v_dual_add_f32 v58, v58, v61
	v_mul_f32_e32 v61, v131, v83
	v_add_f32_e32 v57, v57, v161
	v_fma_f32 v60, v128, v80, -v60
	s_wait_loadcnt_dscnt 0x403
	v_dual_mul_f32 v172, v140, v93 :: v_dual_mul_f32 v173, v142, v95
	v_add_f32_e32 v58, v58, v62
	v_add_f32_e32 v57, v57, v162
	v_fma_f32 v61, v130, v82, -v61
	v_mul_f32_e32 v62, v133, v85
	s_wait_loadcnt_dscnt 0x302
	v_dual_mul_f32 v174, v144, v97 :: v_dual_mul_f32 v175, v146, v99
	v_dual_add_f32 v58, v58, v60 :: v_dual_add_f32 v57, v57, v163
	v_mul_f32_e32 v60, v135, v87
	v_fma_f32 v62, v132, v84, -v62
	v_dual_fmac_f32 v172, v141, v92 :: v_dual_fmac_f32 v173, v143, v94
	s_delay_alu instid0(VALU_DEP_4)
	v_dual_add_f32 v58, v58, v61 :: v_dual_add_f32 v57, v57, v164
	v_mul_f32_e32 v61, v137, v89
	v_fma_f32 v60, v134, v86, -v60
	s_wait_loadcnt_dscnt 0x201
	v_dual_mul_f32 v176, v148, v101 :: v_dual_mul_f32 v177, v150, v103
	v_dual_add_f32 v57, v57, v165 :: v_dual_add_f32 v58, v58, v62
	v_mul_f32_e32 v62, v139, v91
	v_fma_f32 v61, v136, v88, -v61
	s_delay_alu instid0(VALU_DEP_4) | instskip(NEXT) | instid1(VALU_DEP_4)
	v_dual_fmac_f32 v174, v145, v96 :: v_dual_fmac_f32 v177, v151, v102
	v_dual_add_f32 v57, v57, v166 :: v_dual_add_f32 v58, v58, v60
	v_mul_f32_e32 v60, v141, v93
	v_fma_f32 v62, v138, v90, -v62
	v_fmac_f32_e32 v175, v147, v98
	s_delay_alu instid0(VALU_DEP_4)
	v_dual_add_f32 v57, v57, v167 :: v_dual_add_f32 v58, v58, v61
	v_mul_f32_e32 v61, v143, v95
	v_fma_f32 v60, v140, v92, -v60
	s_wait_loadcnt_dscnt 0x100
	v_dual_mul_f32 v178, v152, v105 :: v_dual_mul_f32 v179, v154, v107
	v_dual_add_f32 v57, v57, v168 :: v_dual_add_f32 v58, v58, v62
	v_mul_f32_e32 v62, v145, v97
	v_fma_f32 v61, v142, v94, -v61
	v_fmac_f32_e32 v176, v149, v100
	s_delay_alu instid0(VALU_DEP_4) | instskip(SKIP_3) | instid1(VALU_DEP_4)
	v_dual_add_f32 v57, v57, v169 :: v_dual_add_f32 v58, v58, v60
	v_mul_f32_e32 v60, v147, v99
	v_fma_f32 v62, v144, v96, -v62
	v_fmac_f32_e32 v179, v155, v106
	v_dual_add_f32 v57, v57, v170 :: v_dual_add_f32 v58, v58, v61
	v_mul_f32_e32 v61, v149, v101
	v_fma_f32 v60, v146, v98, -v60
	s_delay_alu instid0(VALU_DEP_3) | instskip(SKIP_1) | instid1(VALU_DEP_4)
	v_dual_add_f32 v57, v57, v171 :: v_dual_add_f32 v58, v58, v62
	v_mul_f32_e32 v62, v151, v103
	v_fma_f32 v61, v148, v100, -v61
	s_delay_alu instid0(VALU_DEP_3) | instskip(NEXT) | instid1(VALU_DEP_4)
	v_add_f32_e32 v57, v57, v172
	v_add_f32_e32 v58, v58, v60
	v_mul_f32_e32 v60, v153, v105
	v_fma_f32 v62, v150, v102, -v62
	s_delay_alu instid0(VALU_DEP_4) | instskip(NEXT) | instid1(VALU_DEP_4)
	v_add_f32_e32 v57, v57, v173
	v_dual_add_f32 v58, v58, v61 :: v_dual_mul_f32 v61, v155, v107
	s_delay_alu instid0(VALU_DEP_4) | instskip(NEXT) | instid1(VALU_DEP_3)
	v_fma_f32 v60, v152, v104, -v60
	v_add_f32_e32 v57, v57, v174
	s_delay_alu instid0(VALU_DEP_3) | instskip(NEXT) | instid1(VALU_DEP_4)
	v_add_f32_e32 v58, v58, v62
	v_fma_f32 v61, v154, v106, -v61
	s_delay_alu instid0(VALU_DEP_2) | instskip(NEXT) | instid1(VALU_DEP_1)
	v_dual_add_f32 v57, v57, v175 :: v_dual_add_f32 v58, v58, v60
	v_dual_add_f32 v57, v57, v176 :: v_dual_add_f32 v58, v58, v61
	v_fmac_f32_e32 v178, v153, v104
	s_delay_alu instid0(VALU_DEP_2) | instskip(NEXT) | instid1(VALU_DEP_1)
	v_add_f32_e32 v57, v57, v177
	v_add_f32_e32 v57, v57, v178
	s_wait_loadcnt 0x0
	s_delay_alu instid0(VALU_DEP_1) | instskip(NEXT) | instid1(VALU_DEP_1)
	v_dual_add_f32 v60, v57, v179 :: v_dual_sub_f32 v57, v156, v58
	v_sub_f32_e32 v58, v157, v60
	scratch_store_b64 off, v[57:58], off offset:24
	v_cmpx_lt_u32_e32 2, v0
	s_cbranch_execz .LBB27_177
; %bb.176:
	scratch_load_b64 v[57:58], off, off offset:16
	v_mov_b32_e32 v60, 0
	s_delay_alu instid0(VALU_DEP_1)
	v_mov_b32_e32 v61, v60
	scratch_store_b64 off, v[60:61], off offset:16
	s_wait_loadcnt 0x0
	ds_store_b64 v59, v[57:58]
.LBB27_177:
	s_wait_alu 0xfffe
	s_or_b32 exec_lo, exec_lo, s0
	s_wait_storecnt_dscnt 0x0
	s_barrier_signal -1
	s_barrier_wait -1
	global_inv scope:SCOPE_SE
	s_clause 0xd
	scratch_load_b128 v[60:63], off, off offset:24
	scratch_load_b128 v[64:67], off, off offset:40
	;; [unrolled: 1-line block ×12, first 2 shown]
	scratch_load_b64 v[156:157], off, off offset:216
	scratch_load_b64 v[158:159], off, off offset:16
	v_mov_b32_e32 v57, 0
	ds_load_2addr_b64 v[108:111], v57 offset0:31 offset1:32
	ds_load_2addr_b64 v[112:115], v57 offset0:33 offset1:34
	;; [unrolled: 1-line block ×12, first 2 shown]
	ds_load_b64 v[160:161], v57 offset:440
	s_mov_b32 s0, exec_lo
	s_wait_loadcnt_dscnt 0xd0c
	v_mul_f32_e32 v58, v108, v61
	s_wait_loadcnt_dscnt 0xc0b
	v_dual_mul_f32 v162, v110, v63 :: v_dual_mul_f32 v163, v112, v65
	v_mul_f32_e32 v63, v111, v63
	s_wait_loadcnt_dscnt 0xb0a
	v_dual_mul_f32 v164, v114, v67 :: v_dual_mul_f32 v165, v116, v69
	s_wait_loadcnt_dscnt 0xa09
	v_dual_mul_f32 v61, v109, v61 :: v_dual_mul_f32 v168, v122, v75
	s_wait_loadcnt_dscnt 0x908
	v_dual_mul_f32 v169, v124, v77 :: v_dual_fmac_f32 v58, v109, v60
	s_wait_loadcnt_dscnt 0x302
	v_mul_f32_e32 v182, v150, v103
	v_fma_f32 v61, v108, v60, -v61
	s_wait_loadcnt_dscnt 0x100
	v_mul_f32_e32 v185, v160, v157
	v_mul_f32_e32 v60, v113, v65
	v_fmac_f32_e32 v162, v111, v62
	v_fma_f32 v62, v110, v62, -v63
	v_dual_add_f32 v61, 0, v61 :: v_dual_add_f32 v58, 0, v58
	v_mul_f32_e32 v63, v115, v67
	v_fmac_f32_e32 v163, v113, v64
	v_fma_f32 v60, v112, v64, -v60
	v_dual_mul_f32 v170, v126, v79 :: v_dual_mul_f32 v171, v128, v81
	v_add_f32_e32 v58, v58, v162
	v_add_f32_e32 v61, v61, v62
	v_mul_f32_e32 v62, v117, v69
	v_fma_f32 v63, v114, v66, -v63
	v_dual_mul_f32 v172, v130, v83 :: v_dual_mul_f32 v173, v132, v85
	v_add_f32_e32 v58, v58, v163
	v_dual_add_f32 v60, v61, v60 :: v_dual_mul_f32 v61, v119, v71
	v_fma_f32 v62, v116, v68, -v62
	v_dual_fmac_f32 v164, v115, v66 :: v_dual_fmac_f32 v165, v117, v68
	s_delay_alu instid0(VALU_DEP_3) | instskip(NEXT) | instid1(VALU_DEP_4)
	v_dual_add_f32 v60, v60, v63 :: v_dual_mul_f32 v63, v121, v73
	v_fma_f32 v61, v118, v70, -v61
	v_dual_fmac_f32 v169, v125, v76 :: v_dual_mul_f32 v174, v134, v87
	v_mul_f32_e32 v175, v136, v89
	s_delay_alu instid0(VALU_DEP_4) | instskip(SKIP_3) | instid1(VALU_DEP_4)
	v_add_f32_e32 v60, v60, v62
	v_dual_mul_f32 v62, v123, v75 :: v_dual_fmac_f32 v171, v129, v80
	v_fma_f32 v63, v120, v72, -v63
	v_add_f32_e32 v58, v58, v164
	v_dual_add_f32 v60, v60, v61 :: v_dual_fmac_f32 v173, v133, v84
	v_mul_f32_e32 v61, v125, v77
	v_fma_f32 v62, v122, v74, -v62
	s_delay_alu instid0(VALU_DEP_3) | instskip(SKIP_1) | instid1(VALU_DEP_4)
	v_dual_fmac_f32 v175, v137, v88 :: v_dual_add_f32 v60, v60, v63
	v_mul_f32_e32 v63, v127, v79
	v_fma_f32 v61, v124, v76, -v61
	v_dual_mul_f32 v166, v118, v71 :: v_dual_mul_f32 v167, v120, v73
	s_delay_alu instid0(VALU_DEP_4) | instskip(SKIP_3) | instid1(VALU_DEP_4)
	v_add_f32_e32 v60, v60, v62
	v_dual_mul_f32 v178, v142, v95 :: v_dual_mul_f32 v179, v144, v97
	v_mul_f32_e32 v62, v129, v81
	v_fma_f32 v63, v126, v78, -v63
	v_add_f32_e32 v60, v60, v61
	v_dual_fmac_f32 v166, v119, v70 :: v_dual_fmac_f32 v167, v121, v72
	v_dual_add_f32 v58, v58, v165 :: v_dual_mul_f32 v61, v131, v83
	v_fma_f32 v62, v128, v80, -v62
	s_delay_alu instid0(VALU_DEP_4) | instskip(NEXT) | instid1(VALU_DEP_3)
	v_dual_fmac_f32 v179, v145, v96 :: v_dual_add_f32 v60, v60, v63
	v_dual_add_f32 v58, v58, v166 :: v_dual_mul_f32 v63, v133, v85
	s_delay_alu instid0(VALU_DEP_4) | instskip(SKIP_1) | instid1(VALU_DEP_4)
	v_fma_f32 v61, v130, v82, -v61
	v_fmac_f32_e32 v168, v123, v74
	v_add_f32_e32 v60, v60, v62
	v_mul_f32_e32 v62, v135, v87
	v_fma_f32 v63, v132, v84, -v63
	v_dual_mul_f32 v176, v138, v91 :: v_dual_mul_f32 v177, v140, v93
	s_delay_alu instid0(VALU_DEP_4) | instskip(SKIP_2) | instid1(VALU_DEP_4)
	v_add_f32_e32 v60, v60, v61
	v_mul_f32_e32 v61, v137, v89
	v_fma_f32 v62, v134, v86, -v62
	v_dual_add_f32 v58, v58, v167 :: v_dual_fmac_f32 v177, v141, v92
	s_delay_alu instid0(VALU_DEP_4) | instskip(SKIP_2) | instid1(VALU_DEP_4)
	v_add_f32_e32 v60, v60, v63
	v_mul_f32_e32 v63, v139, v91
	v_fma_f32 v61, v136, v88, -v61
	v_add_f32_e32 v58, v58, v168
	v_fmac_f32_e32 v170, v127, v78
	v_add_f32_e32 v60, v60, v62
	v_mul_f32_e32 v62, v141, v93
	v_fma_f32 v63, v138, v90, -v63
	v_dual_mul_f32 v180, v146, v99 :: v_dual_mul_f32 v181, v148, v101
	s_delay_alu instid0(VALU_DEP_4) | instskip(NEXT) | instid1(VALU_DEP_4)
	v_dual_add_f32 v60, v60, v61 :: v_dual_mul_f32 v61, v143, v95
	v_fma_f32 v62, v140, v92, -v62
	s_delay_alu instid0(VALU_DEP_3) | instskip(NEXT) | instid1(VALU_DEP_3)
	v_dual_add_f32 v58, v58, v169 :: v_dual_fmac_f32 v181, v149, v100
	v_dual_add_f32 v60, v60, v63 :: v_dual_mul_f32 v63, v145, v97
	s_delay_alu instid0(VALU_DEP_4) | instskip(NEXT) | instid1(VALU_DEP_3)
	v_fma_f32 v61, v142, v94, -v61
	v_dual_add_f32 v58, v58, v170 :: v_dual_mul_f32 v183, v152, v105
	v_mul_f32_e32 v184, v154, v107
	s_delay_alu instid0(VALU_DEP_4) | instskip(SKIP_3) | instid1(VALU_DEP_4)
	v_add_f32_e32 v60, v60, v62
	v_mul_f32_e32 v62, v147, v99
	v_fma_f32 v63, v144, v96, -v63
	v_dual_fmac_f32 v172, v131, v82 :: v_dual_fmac_f32 v183, v153, v104
	v_add_f32_e32 v60, v60, v61
	v_mul_f32_e32 v61, v149, v101
	v_fma_f32 v62, v146, v98, -v62
	v_fmac_f32_e32 v174, v135, v86
	v_fmac_f32_e32 v176, v139, v90
	v_add_f32_e32 v60, v60, v63
	v_fma_f32 v61, v148, v100, -v61
	v_dual_fmac_f32 v185, v161, v156 :: v_dual_fmac_f32 v178, v143, v94
	v_fmac_f32_e32 v180, v147, v98
	s_delay_alu instid0(VALU_DEP_4) | instskip(SKIP_3) | instid1(VALU_DEP_4)
	v_dual_add_f32 v60, v60, v62 :: v_dual_mul_f32 v63, v151, v103
	v_mul_f32_e32 v62, v153, v105
	v_fmac_f32_e32 v182, v151, v102
	v_fmac_f32_e32 v184, v155, v106
	v_dual_add_f32 v60, v60, v61 :: v_dual_mul_f32 v61, v155, v107
	v_add_f32_e32 v58, v58, v171
	v_fma_f32 v63, v150, v102, -v63
	v_fma_f32 v62, v152, v104, -v62
	s_delay_alu instid0(VALU_DEP_4) | instskip(NEXT) | instid1(VALU_DEP_4)
	v_fma_f32 v61, v154, v106, -v61
	v_add_f32_e32 v58, v58, v172
	s_delay_alu instid0(VALU_DEP_4) | instskip(NEXT) | instid1(VALU_DEP_2)
	v_dual_add_f32 v60, v60, v63 :: v_dual_mul_f32 v63, v161, v157
	v_add_f32_e32 v58, v58, v173
	s_delay_alu instid0(VALU_DEP_2) | instskip(NEXT) | instid1(VALU_DEP_3)
	v_add_f32_e32 v60, v60, v62
	v_fma_f32 v62, v160, v156, -v63
	s_delay_alu instid0(VALU_DEP_3) | instskip(NEXT) | instid1(VALU_DEP_3)
	v_add_f32_e32 v58, v58, v174
	v_add_f32_e32 v60, v60, v61
	s_delay_alu instid0(VALU_DEP_2) | instskip(NEXT) | instid1(VALU_DEP_2)
	v_add_f32_e32 v58, v58, v175
	v_add_f32_e32 v60, v60, v62
	s_delay_alu instid0(VALU_DEP_2) | instskip(SKIP_1) | instid1(VALU_DEP_2)
	v_add_f32_e32 v58, v58, v176
	s_wait_loadcnt 0x0
	v_sub_f32_e32 v60, v158, v60
	s_delay_alu instid0(VALU_DEP_2) | instskip(NEXT) | instid1(VALU_DEP_1)
	v_add_f32_e32 v58, v58, v177
	v_add_f32_e32 v58, v58, v178
	s_delay_alu instid0(VALU_DEP_1) | instskip(NEXT) | instid1(VALU_DEP_1)
	v_add_f32_e32 v58, v58, v179
	v_add_f32_e32 v58, v58, v180
	s_delay_alu instid0(VALU_DEP_1) | instskip(NEXT) | instid1(VALU_DEP_1)
	;; [unrolled: 3-line block ×4, first 2 shown]
	v_add_f32_e32 v58, v58, v185
	v_sub_f32_e32 v61, v159, v58
	scratch_store_b64 off, v[60:61], off offset:16
	v_cmpx_lt_u32_e32 1, v0
	s_cbranch_execz .LBB27_179
; %bb.178:
	scratch_load_b64 v[60:61], off, off offset:8
	v_mov_b32_e32 v58, v57
	scratch_store_b64 off, v[57:58], off offset:8
	s_wait_loadcnt 0x0
	ds_store_b64 v59, v[60:61]
.LBB27_179:
	s_wait_alu 0xfffe
	s_or_b32 exec_lo, exec_lo, s0
	s_wait_storecnt_dscnt 0x0
	s_barrier_signal -1
	s_barrier_wait -1
	global_inv scope:SCOPE_SE
	s_clause 0xd
	scratch_load_b128 v[60:63], off, off offset:16
	scratch_load_b128 v[64:67], off, off offset:32
	scratch_load_b128 v[68:71], off, off offset:48
	scratch_load_b128 v[72:75], off, off offset:64
	scratch_load_b128 v[76:79], off, off offset:80
	scratch_load_b128 v[80:83], off, off offset:96
	scratch_load_b128 v[84:87], off, off offset:112
	scratch_load_b128 v[88:91], off, off offset:128
	scratch_load_b128 v[92:95], off, off offset:144
	scratch_load_b128 v[96:99], off, off offset:160
	scratch_load_b128 v[100:103], off, off offset:176
	scratch_load_b128 v[104:107], off, off offset:192
	scratch_load_b128 v[108:111], off, off offset:208
	scratch_load_b64 v[164:165], off, off offset:8
	ds_load_b128 v[112:115], v57 offset:240
	ds_load_b128 v[116:119], v57 offset:256
	;; [unrolled: 1-line block ×13, first 2 shown]
	s_mov_b32 s0, exec_lo
	s_wait_loadcnt_dscnt 0xd0c
	v_dual_mul_f32 v57, v112, v61 :: v_dual_mul_f32 v58, v114, v63
	v_mul_f32_e32 v61, v113, v61
	s_wait_loadcnt_dscnt 0xc0b
	v_dual_mul_f32 v63, v115, v63 :: v_dual_mul_f32 v166, v116, v65
	s_delay_alu instid0(VALU_DEP_3) | instskip(NEXT) | instid1(VALU_DEP_3)
	v_dual_mul_f32 v167, v118, v67 :: v_dual_fmac_f32 v58, v115, v62
	v_fma_f32 v61, v112, v60, -v61
	v_fmac_f32_e32 v57, v113, v60
	v_mul_f32_e32 v60, v117, v65
	v_fma_f32 v62, v114, v62, -v63
	v_mul_f32_e32 v63, v119, v67
	v_dual_add_f32 v61, 0, v61 :: v_dual_fmac_f32 v166, v117, v64
	s_delay_alu instid0(VALU_DEP_4) | instskip(SKIP_2) | instid1(VALU_DEP_3)
	v_fma_f32 v60, v116, v64, -v60
	s_wait_loadcnt_dscnt 0xb0a
	v_dual_mul_f32 v168, v120, v69 :: v_dual_mul_f32 v169, v122, v71
	v_add_f32_e32 v61, v61, v62
	v_fmac_f32_e32 v167, v119, v66
	v_fma_f32 v62, v118, v66, -v63
	s_wait_loadcnt_dscnt 0xa09
	v_dual_mul_f32 v170, v124, v73 :: v_dual_mul_f32 v171, v126, v75
	v_dual_add_f32 v60, v61, v60 :: v_dual_mul_f32 v61, v123, v71
	v_fmac_f32_e32 v168, v121, v68
	s_wait_loadcnt_dscnt 0x908
	v_dual_mul_f32 v172, v128, v77 :: v_dual_mul_f32 v173, v130, v79
	s_delay_alu instid0(VALU_DEP_3) | instskip(SKIP_3) | instid1(VALU_DEP_4)
	v_dual_add_f32 v60, v60, v62 :: v_dual_add_f32 v57, 0, v57
	v_mul_f32_e32 v62, v125, v73
	v_fma_f32 v61, v122, v70, -v61
	v_dual_fmac_f32 v169, v123, v70 :: v_dual_fmac_f32 v170, v125, v72
	v_add_f32_e32 v57, v57, v58
	v_mul_f32_e32 v58, v121, v69
	v_fma_f32 v62, v124, v72, -v62
	v_dual_fmac_f32 v171, v127, v74 :: v_dual_fmac_f32 v172, v129, v76
	s_wait_loadcnt_dscnt 0x807
	v_dual_mul_f32 v174, v132, v81 :: v_dual_mul_f32 v175, v134, v83
	v_fma_f32 v58, v120, v68, -v58
	s_wait_loadcnt_dscnt 0x706
	v_dual_mul_f32 v176, v136, v85 :: v_dual_mul_f32 v177, v138, v87
	s_wait_loadcnt_dscnt 0x605
	v_dual_mul_f32 v178, v140, v89 :: v_dual_mul_f32 v179, v142, v91
	v_add_f32_e32 v58, v60, v58
	v_mul_f32_e32 v60, v127, v75
	v_dual_fmac_f32 v176, v137, v84 :: v_dual_fmac_f32 v177, v139, v86
	s_delay_alu instid0(VALU_DEP_4) | instskip(NEXT) | instid1(VALU_DEP_4)
	v_dual_fmac_f32 v178, v141, v88 :: v_dual_fmac_f32 v179, v143, v90
	v_dual_add_f32 v58, v58, v61 :: v_dual_add_f32 v57, v57, v166
	v_mul_f32_e32 v61, v129, v77
	v_fma_f32 v60, v126, v74, -v60
	v_fmac_f32_e32 v173, v131, v78
	s_delay_alu instid0(VALU_DEP_4)
	v_add_f32_e32 v58, v58, v62
	v_mul_f32_e32 v62, v131, v79
	v_add_f32_e32 v57, v57, v167
	v_fma_f32 v61, v128, v76, -v61
	v_fmac_f32_e32 v174, v133, v80
	v_add_f32_e32 v58, v58, v60
	v_mul_f32_e32 v60, v133, v81
	v_add_f32_e32 v57, v57, v168
	v_fma_f32 v62, v130, v78, -v62
	s_delay_alu instid0(VALU_DEP_4) | instskip(SKIP_1) | instid1(VALU_DEP_4)
	v_dual_fmac_f32 v175, v135, v82 :: v_dual_add_f32 v58, v58, v61
	v_mul_f32_e32 v61, v135, v83
	v_add_f32_e32 v57, v57, v169
	v_fma_f32 v60, v132, v80, -v60
	s_wait_loadcnt_dscnt 0x504
	v_dual_mul_f32 v180, v144, v93 :: v_dual_mul_f32 v181, v146, v95
	v_add_f32_e32 v58, v58, v62
	v_add_f32_e32 v57, v57, v170
	v_fma_f32 v61, v134, v82, -v61
	v_mul_f32_e32 v62, v137, v85
	v_dual_fmac_f32 v180, v145, v92 :: v_dual_fmac_f32 v181, v147, v94
	s_delay_alu instid0(VALU_DEP_4) | instskip(SKIP_1) | instid1(VALU_DEP_4)
	v_dual_add_f32 v58, v58, v60 :: v_dual_add_f32 v57, v57, v171
	v_mul_f32_e32 v60, v139, v87
	v_fma_f32 v62, v136, v84, -v62
	s_wait_loadcnt_dscnt 0x403
	v_dual_mul_f32 v182, v148, v97 :: v_dual_mul_f32 v183, v150, v99
	v_dual_add_f32 v58, v58, v61 :: v_dual_add_f32 v57, v57, v172
	v_mul_f32_e32 v61, v141, v89
	v_fma_f32 v60, v138, v86, -v60
	s_wait_loadcnt_dscnt 0x302
	v_dual_mul_f32 v184, v152, v101 :: v_dual_mul_f32 v185, v154, v103
	v_dual_add_f32 v57, v57, v173 :: v_dual_add_f32 v58, v58, v62
	v_mul_f32_e32 v62, v143, v91
	v_fma_f32 v61, v140, v88, -v61
	s_delay_alu instid0(VALU_DEP_4) | instskip(NEXT) | instid1(VALU_DEP_4)
	v_dual_fmac_f32 v182, v149, v96 :: v_dual_fmac_f32 v185, v155, v102
	v_dual_add_f32 v57, v57, v174 :: v_dual_add_f32 v58, v58, v60
	v_mul_f32_e32 v60, v145, v93
	v_fma_f32 v62, v142, v90, -v62
	v_fmac_f32_e32 v183, v151, v98
	s_delay_alu instid0(VALU_DEP_4) | instskip(SKIP_3) | instid1(VALU_DEP_4)
	v_dual_add_f32 v57, v57, v175 :: v_dual_add_f32 v58, v58, v61
	v_mul_f32_e32 v61, v147, v95
	v_fma_f32 v60, v144, v92, -v60
	v_fmac_f32_e32 v184, v153, v100
	v_dual_add_f32 v57, v57, v176 :: v_dual_add_f32 v58, v58, v62
	s_delay_alu instid0(VALU_DEP_4)
	v_fma_f32 v61, v146, v94, -v61
	v_mul_f32_e32 v62, v149, v97
	s_wait_loadcnt_dscnt 0x201
	v_dual_mul_f32 v186, v156, v105 :: v_dual_mul_f32 v187, v158, v107
	v_dual_add_f32 v57, v57, v177 :: v_dual_add_f32 v58, v58, v60
	v_mul_f32_e32 v60, v151, v99
	v_fma_f32 v62, v148, v96, -v62
	s_wait_loadcnt_dscnt 0x100
	v_dual_mul_f32 v188, v160, v109 :: v_dual_mul_f32 v189, v162, v111
	v_dual_add_f32 v57, v57, v178 :: v_dual_add_f32 v58, v58, v61
	v_mul_f32_e32 v61, v153, v101
	v_fma_f32 v60, v150, v98, -v60
	s_delay_alu instid0(VALU_DEP_4) | instskip(NEXT) | instid1(VALU_DEP_4)
	v_dual_fmac_f32 v186, v157, v104 :: v_dual_fmac_f32 v189, v163, v110
	v_dual_add_f32 v57, v57, v179 :: v_dual_add_f32 v58, v58, v62
	v_mul_f32_e32 v62, v155, v103
	v_fma_f32 v61, v152, v100, -v61
	v_fmac_f32_e32 v187, v159, v106
	s_delay_alu instid0(VALU_DEP_4)
	v_add_f32_e32 v57, v57, v180
	v_add_f32_e32 v58, v58, v60
	v_mul_f32_e32 v60, v157, v105
	v_fma_f32 v62, v154, v102, -v62
	v_fmac_f32_e32 v188, v161, v108
	v_add_f32_e32 v57, v57, v181
	v_dual_add_f32 v58, v58, v61 :: v_dual_mul_f32 v61, v159, v107
	v_fma_f32 v60, v156, v104, -v60
	s_delay_alu instid0(VALU_DEP_3) | instskip(NEXT) | instid1(VALU_DEP_3)
	v_add_f32_e32 v57, v57, v182
	v_add_f32_e32 v58, v58, v62
	v_mul_f32_e32 v62, v161, v109
	v_fma_f32 v61, v158, v106, -v61
	s_delay_alu instid0(VALU_DEP_3) | instskip(SKIP_1) | instid1(VALU_DEP_4)
	v_dual_add_f32 v57, v57, v183 :: v_dual_add_f32 v58, v58, v60
	v_mul_f32_e32 v60, v163, v111
	v_fma_f32 v62, v160, v108, -v62
	s_delay_alu instid0(VALU_DEP_3) | instskip(NEXT) | instid1(VALU_DEP_3)
	v_add_f32_e32 v57, v57, v184
	v_fma_f32 v60, v162, v110, -v60
	s_delay_alu instid0(VALU_DEP_2) | instskip(NEXT) | instid1(VALU_DEP_1)
	v_add_f32_e32 v57, v57, v185
	v_dual_add_f32 v57, v57, v186 :: v_dual_add_f32 v58, v58, v61
	s_delay_alu instid0(VALU_DEP_1) | instskip(NEXT) | instid1(VALU_DEP_1)
	v_dual_add_f32 v57, v57, v187 :: v_dual_add_f32 v58, v58, v62
	v_add_f32_e32 v57, v57, v188
	s_delay_alu instid0(VALU_DEP_2) | instskip(SKIP_1) | instid1(VALU_DEP_1)
	v_add_f32_e32 v58, v58, v60
	s_wait_loadcnt 0x0
	v_dual_add_f32 v60, v57, v189 :: v_dual_sub_f32 v57, v164, v58
	s_delay_alu instid0(VALU_DEP_1)
	v_sub_f32_e32 v58, v165, v60
	scratch_store_b64 off, v[57:58], off offset:8
	v_cmpx_ne_u32_e32 0, v0
	s_cbranch_execz .LBB27_181
; %bb.180:
	scratch_load_b64 v[57:58], off, off
	v_mov_b32_e32 v60, 0
	s_delay_alu instid0(VALU_DEP_1)
	v_mov_b32_e32 v61, v60
	scratch_store_b64 off, v[60:61], off
	s_wait_loadcnt 0x0
	ds_store_b64 v59, v[57:58]
.LBB27_181:
	s_wait_alu 0xfffe
	s_or_b32 exec_lo, exec_lo, s0
	s_wait_storecnt_dscnt 0x0
	s_barrier_signal -1
	s_barrier_wait -1
	global_inv scope:SCOPE_SE
	s_clause 0xe
	scratch_load_b128 v[57:60], off, off offset:8
	scratch_load_b128 v[61:64], off, off offset:24
	;; [unrolled: 1-line block ×13, first 2 shown]
	scratch_load_b64 v[161:162], off, off offset:216
	scratch_load_b64 v[163:164], off, off
	v_mov_b32_e32 v0, 0
	ds_load_2addr_b64 v[109:112], v0 offset0:29 offset1:30
	ds_load_2addr_b64 v[113:116], v0 offset0:31 offset1:32
	;; [unrolled: 1-line block ×13, first 2 shown]
	ds_load_b64 v[165:166], v0 offset:440
	s_and_b32 vcc_lo, exec_lo, s18
	s_wait_loadcnt_dscnt 0xe0d
	v_dual_mul_f32 v167, v109, v58 :: v_dual_mul_f32 v168, v111, v60
	s_wait_loadcnt_dscnt 0xd0c
	v_dual_mul_f32 v169, v113, v62 :: v_dual_mul_f32 v60, v112, v60
	;; [unrolled: 2-line block ×3, first 2 shown]
	v_dual_fmac_f32 v167, v110, v57 :: v_dual_fmac_f32 v168, v112, v59
	s_delay_alu instid0(VALU_DEP_3) | instskip(SKIP_1) | instid1(VALU_DEP_4)
	v_fmac_f32_e32 v169, v114, v61
	v_fma_f32 v59, v111, v59, -v60
	v_dual_fmac_f32 v170, v116, v63 :: v_dual_fmac_f32 v171, v118, v65
	s_delay_alu instid0(VALU_DEP_4)
	v_add_f32_e32 v60, 0, v167
	v_mul_f32_e32 v58, v110, v58
	s_wait_loadcnt_dscnt 0xb0a
	v_dual_mul_f32 v172, v119, v68 :: v_dual_mul_f32 v173, v121, v70
	s_wait_loadcnt_dscnt 0xa09
	v_dual_mul_f32 v174, v123, v72 :: v_dual_mul_f32 v175, v125, v74
	v_fma_f32 v58, v109, v57, -v58
	v_dual_mul_f32 v57, v114, v62 :: v_dual_mul_f32 v62, v116, v64
	v_dual_fmac_f32 v172, v120, v67 :: v_dual_fmac_f32 v173, v122, v69
	s_delay_alu instid0(VALU_DEP_3) | instskip(NEXT) | instid1(VALU_DEP_3)
	v_add_f32_e32 v58, 0, v58
	v_fma_f32 v57, v113, v61, -v57
	s_delay_alu instid0(VALU_DEP_4) | instskip(SKIP_1) | instid1(VALU_DEP_4)
	v_fma_f32 v61, v115, v63, -v62
	v_dual_fmac_f32 v174, v124, v71 :: v_dual_fmac_f32 v175, v126, v73
	v_add_f32_e32 v58, v58, v59
	s_wait_loadcnt_dscnt 0x908
	v_dual_mul_f32 v176, v127, v76 :: v_dual_mul_f32 v177, v129, v78
	s_wait_loadcnt_dscnt 0x807
	v_dual_mul_f32 v178, v131, v80 :: v_dual_mul_f32 v179, v133, v82
	v_add_f32_e32 v57, v58, v57
	v_add_f32_e32 v59, v60, v168
	v_dual_fmac_f32 v176, v128, v75 :: v_dual_fmac_f32 v177, v130, v77
	s_wait_loadcnt_dscnt 0x706
	v_dual_mul_f32 v180, v135, v84 :: v_dual_mul_f32 v181, v137, v86
	s_delay_alu instid0(VALU_DEP_3)
	v_dual_add_f32 v58, v59, v169 :: v_dual_mul_f32 v59, v120, v68
	v_add_f32_e32 v57, v57, v61
	v_dual_mul_f32 v61, v122, v70 :: v_dual_mul_f32 v182, v139, v88
	s_wait_loadcnt_dscnt 0x605
	v_mul_f32_e32 v183, v141, v90
	v_fma_f32 v59, v119, v67, -v59
	v_mul_f32_e32 v60, v118, v66
	v_fma_f32 v61, v121, v69, -v61
	v_dual_fmac_f32 v181, v138, v85 :: v_dual_fmac_f32 v182, v140, v87
	s_wait_loadcnt_dscnt 0x504
	v_dual_mul_f32 v184, v143, v92 :: v_dual_mul_f32 v185, v145, v94
	v_fma_f32 v60, v117, v65, -v60
	v_add_f32_e32 v58, v58, v170
	s_delay_alu instid0(VALU_DEP_3) | instskip(SKIP_4) | instid1(VALU_DEP_3)
	v_dual_fmac_f32 v183, v142, v89 :: v_dual_fmac_f32 v184, v144, v91
	s_wait_loadcnt_dscnt 0x403
	v_dual_mul_f32 v186, v147, v96 :: v_dual_mul_f32 v187, v149, v98
	v_add_f32_e32 v57, v57, v60
	v_dual_mul_f32 v60, v124, v72 :: v_dual_fmac_f32 v185, v146, v93
	v_fmac_f32_e32 v186, v148, v95
	s_wait_loadcnt_dscnt 0x302
	v_dual_mul_f32 v188, v151, v100 :: v_dual_mul_f32 v189, v153, v102
	v_add_f32_e32 v57, v57, v59
	v_add_f32_e32 v58, v58, v171
	v_mul_f32_e32 v59, v126, v74
	v_fma_f32 v60, v123, v71, -v60
	s_wait_loadcnt_dscnt 0x201
	v_dual_mul_f32 v190, v155, v104 :: v_dual_mul_f32 v191, v157, v106
	v_add_f32_e32 v57, v57, v61
	v_fma_f32 v59, v125, v73, -v59
	v_mul_f32_e32 v61, v128, v76
	s_delay_alu instid0(VALU_DEP_4) | instskip(NEXT) | instid1(VALU_DEP_4)
	v_dual_fmac_f32 v187, v150, v97 :: v_dual_fmac_f32 v190, v156, v103
	v_add_f32_e32 v57, v57, v60
	v_add_f32_e32 v58, v58, v172
	v_mul_f32_e32 v60, v130, v78
	v_fma_f32 v61, v127, v75, -v61
	v_fmac_f32_e32 v178, v132, v79
	s_delay_alu instid0(VALU_DEP_4) | instskip(SKIP_3) | instid1(VALU_DEP_4)
	v_dual_add_f32 v57, v57, v59 :: v_dual_add_f32 v58, v58, v173
	v_mul_f32_e32 v59, v132, v80
	v_fma_f32 v60, v129, v77, -v60
	v_fmac_f32_e32 v179, v134, v81
	v_dual_add_f32 v57, v57, v61 :: v_dual_add_f32 v58, v58, v174
	s_delay_alu instid0(VALU_DEP_4) | instskip(SKIP_1) | instid1(VALU_DEP_3)
	v_fma_f32 v59, v131, v79, -v59
	v_dual_mul_f32 v61, v134, v82 :: v_dual_fmac_f32 v180, v136, v83
	v_dual_add_f32 v57, v57, v60 :: v_dual_add_f32 v58, v58, v175
	v_mul_f32_e32 v60, v136, v84
	s_delay_alu instid0(VALU_DEP_3) | instskip(SKIP_1) | instid1(VALU_DEP_4)
	v_fma_f32 v61, v133, v81, -v61
	v_fmac_f32_e32 v189, v154, v101
	v_dual_add_f32 v57, v57, v59 :: v_dual_add_f32 v58, v58, v176
	v_mul_f32_e32 v59, v138, v86
	v_fma_f32 v60, v135, v83, -v60
	s_wait_loadcnt_dscnt 0x100
	v_dual_mul_f32 v192, v159, v108 :: v_dual_mul_f32 v193, v165, v162
	v_add_f32_e32 v58, v58, v177
	v_add_f32_e32 v57, v57, v61
	v_mul_f32_e32 v61, v140, v88
	v_fma_f32 v59, v137, v85, -v59
	v_fmac_f32_e32 v191, v158, v105
	s_delay_alu instid0(VALU_DEP_4) | instskip(SKIP_3) | instid1(VALU_DEP_4)
	v_dual_add_f32 v58, v58, v178 :: v_dual_add_f32 v57, v57, v60
	v_mul_f32_e32 v60, v142, v90
	v_fma_f32 v61, v139, v87, -v61
	v_fmac_f32_e32 v193, v166, v161
	v_add_f32_e32 v58, v58, v179
	v_add_f32_e32 v57, v57, v59
	v_mul_f32_e32 v59, v144, v92
	v_fma_f32 v60, v141, v89, -v60
	v_fmac_f32_e32 v188, v152, v99
	v_add_f32_e32 v58, v58, v180
	v_fmac_f32_e32 v192, v160, v107
	v_fma_f32 v59, v143, v91, -v59
	s_delay_alu instid0(VALU_DEP_3) | instskip(SKIP_2) | instid1(VALU_DEP_2)
	v_add_f32_e32 v58, v58, v181
	v_add_f32_e32 v57, v57, v61
	v_mul_f32_e32 v61, v146, v94
	v_dual_add_f32 v58, v58, v182 :: v_dual_add_f32 v57, v57, v60
	v_mul_f32_e32 v60, v148, v96
	s_delay_alu instid0(VALU_DEP_3) | instskip(NEXT) | instid1(VALU_DEP_3)
	v_fma_f32 v61, v145, v93, -v61
	v_add_f32_e32 v58, v58, v183
	s_delay_alu instid0(VALU_DEP_4) | instskip(SKIP_2) | instid1(VALU_DEP_4)
	v_add_f32_e32 v57, v57, v59
	v_mul_f32_e32 v59, v150, v98
	v_fma_f32 v60, v147, v95, -v60
	v_add_f32_e32 v58, v58, v184
	s_delay_alu instid0(VALU_DEP_3) | instskip(NEXT) | instid1(VALU_DEP_2)
	v_fma_f32 v59, v149, v97, -v59
	v_add_f32_e32 v58, v58, v185
	v_add_f32_e32 v57, v57, v61
	s_delay_alu instid0(VALU_DEP_2) | instskip(NEXT) | instid1(VALU_DEP_2)
	v_dual_mul_f32 v61, v152, v100 :: v_dual_add_f32 v58, v58, v186
	v_dual_add_f32 v57, v57, v60 :: v_dual_mul_f32 v60, v154, v102
	s_delay_alu instid0(VALU_DEP_2) | instskip(NEXT) | instid1(VALU_DEP_3)
	v_fma_f32 v61, v151, v99, -v61
	v_add_f32_e32 v58, v58, v187
	s_delay_alu instid0(VALU_DEP_3) | instskip(SKIP_2) | instid1(VALU_DEP_3)
	v_add_f32_e32 v57, v57, v59
	v_mul_f32_e32 v59, v156, v104
	v_fma_f32 v60, v153, v101, -v60
	v_dual_add_f32 v58, v58, v188 :: v_dual_add_f32 v57, v57, v61
	v_mul_f32_e32 v61, v158, v106
	s_delay_alu instid0(VALU_DEP_4) | instskip(NEXT) | instid1(VALU_DEP_3)
	v_fma_f32 v59, v155, v103, -v59
	v_add_f32_e32 v57, v57, v60
	v_mul_f32_e32 v60, v160, v108
	v_add_f32_e32 v58, v58, v189
	v_fma_f32 v61, v157, v105, -v61
	s_delay_alu instid0(VALU_DEP_3) | instskip(NEXT) | instid1(VALU_DEP_3)
	v_fma_f32 v60, v159, v107, -v60
	v_add_f32_e32 v58, v58, v190
	s_delay_alu instid0(VALU_DEP_1) | instskip(SKIP_2) | instid1(VALU_DEP_2)
	v_add_f32_e32 v58, v58, v191
	v_add_f32_e32 v57, v57, v59
	v_mul_f32_e32 v59, v166, v162
	v_dual_add_f32 v58, v58, v192 :: v_dual_add_f32 v57, v57, v61
	s_delay_alu instid0(VALU_DEP_2) | instskip(NEXT) | instid1(VALU_DEP_2)
	v_fma_f32 v59, v165, v161, -v59
	v_dual_add_f32 v58, v58, v193 :: v_dual_add_f32 v57, v57, v60
	s_wait_loadcnt 0x0
	s_delay_alu instid0(VALU_DEP_1) | instskip(NEXT) | instid1(VALU_DEP_1)
	v_dual_sub_f32 v58, v164, v58 :: v_dual_add_f32 v57, v57, v59
	v_sub_f32_e32 v57, v163, v57
	scratch_store_b64 off, v[57:58], off
	s_wait_alu 0xfffe
	s_cbranch_vccz .LBB27_236
; %bb.182:
	global_load_b32 v0, v0, s[2:3] offset:104
	s_wait_loadcnt 0x0
	v_cmp_ne_u32_e32 vcc_lo, 27, v0
	s_cbranch_vccz .LBB27_184
; %bb.183:
	v_lshlrev_b32_e32 v0, 3, v0
	scratch_load_b64 v[57:58], v0, off offset:-8
	scratch_load_b64 v[59:60], off, off offset:208
	s_wait_loadcnt 0x1
	scratch_store_b64 off, v[57:58], off offset:208
	s_wait_loadcnt 0x0
	scratch_store_b64 v0, v[59:60], off offset:-8
.LBB27_184:
	v_mov_b32_e32 v0, 0
	global_load_b32 v57, v0, s[2:3] offset:100
	s_wait_loadcnt 0x0
	v_cmp_eq_u32_e32 vcc_lo, 26, v57
	s_cbranch_vccnz .LBB27_186
; %bb.185:
	v_lshlrev_b32_e32 v57, 3, v57
	s_delay_alu instid0(VALU_DEP_1)
	v_mov_b32_e32 v61, v57
	scratch_load_b64 v[57:58], v61, off offset:-8
	scratch_load_b64 v[59:60], off, off offset:200
	s_wait_loadcnt 0x1
	scratch_store_b64 off, v[57:58], off offset:200
	s_wait_loadcnt 0x0
	scratch_store_b64 v61, v[59:60], off offset:-8
.LBB27_186:
	global_load_b32 v0, v0, s[2:3] offset:96
	s_wait_loadcnt 0x0
	v_cmp_eq_u32_e32 vcc_lo, 25, v0
	s_cbranch_vccnz .LBB27_188
; %bb.187:
	v_lshlrev_b32_e32 v0, 3, v0
	scratch_load_b64 v[57:58], v0, off offset:-8
	scratch_load_b64 v[59:60], off, off offset:192
	s_wait_loadcnt 0x1
	scratch_store_b64 off, v[57:58], off offset:192
	s_wait_loadcnt 0x0
	scratch_store_b64 v0, v[59:60], off offset:-8
.LBB27_188:
	v_mov_b32_e32 v0, 0
	global_load_b32 v57, v0, s[2:3] offset:92
	s_wait_loadcnt 0x0
	v_cmp_eq_u32_e32 vcc_lo, 24, v57
	s_cbranch_vccnz .LBB27_190
; %bb.189:
	v_lshlrev_b32_e32 v57, 3, v57
	s_delay_alu instid0(VALU_DEP_1)
	v_mov_b32_e32 v61, v57
	scratch_load_b64 v[57:58], v61, off offset:-8
	scratch_load_b64 v[59:60], off, off offset:184
	s_wait_loadcnt 0x1
	scratch_store_b64 off, v[57:58], off offset:184
	s_wait_loadcnt 0x0
	scratch_store_b64 v61, v[59:60], off offset:-8
.LBB27_190:
	global_load_b32 v0, v0, s[2:3] offset:88
	s_wait_loadcnt 0x0
	v_cmp_eq_u32_e32 vcc_lo, 23, v0
	s_cbranch_vccnz .LBB27_192
; %bb.191:
	v_lshlrev_b32_e32 v0, 3, v0
	scratch_load_b64 v[57:58], v0, off offset:-8
	scratch_load_b64 v[59:60], off, off offset:176
	s_wait_loadcnt 0x1
	scratch_store_b64 off, v[57:58], off offset:176
	s_wait_loadcnt 0x0
	scratch_store_b64 v0, v[59:60], off offset:-8
.LBB27_192:
	;; [unrolled: 29-line block ×12, first 2 shown]
	v_mov_b32_e32 v0, 0
	global_load_b32 v57, v0, s[2:3] offset:4
	s_wait_loadcnt 0x0
	v_cmp_eq_u32_e32 vcc_lo, 2, v57
	s_cbranch_vccnz .LBB27_234
; %bb.233:
	v_lshlrev_b32_e32 v57, 3, v57
	s_delay_alu instid0(VALU_DEP_1)
	v_mov_b32_e32 v61, v57
	scratch_load_b64 v[57:58], v61, off offset:-8
	scratch_load_b64 v[59:60], off, off offset:8
	s_wait_loadcnt 0x1
	scratch_store_b64 off, v[57:58], off offset:8
	s_wait_loadcnt 0x0
	scratch_store_b64 v61, v[59:60], off offset:-8
.LBB27_234:
	global_load_b32 v0, v0, s[2:3]
	s_wait_loadcnt 0x0
	v_cmp_eq_u32_e32 vcc_lo, 1, v0
	s_cbranch_vccnz .LBB27_236
; %bb.235:
	v_lshlrev_b32_e32 v0, 3, v0
	scratch_load_b64 v[57:58], v0, off offset:-8
	scratch_load_b64 v[59:60], off, off
	s_wait_loadcnt 0x1
	scratch_store_b64 off, v[57:58], off
	s_wait_loadcnt 0x0
	scratch_store_b64 v0, v[59:60], off offset:-8
.LBB27_236:
	s_clause 0xd
	scratch_load_b128 v[57:60], off, off
	scratch_load_b128 v[61:64], off, off offset:16
	scratch_load_b128 v[65:68], off, off offset:32
	;; [unrolled: 1-line block ×13, first 2 shown]
	s_wait_loadcnt 0xd
	s_clause 0x1
	global_store_b64 v[1:2], v[57:58], off
	global_store_b64 v[3:4], v[59:60], off
	s_wait_loadcnt 0xc
	s_clause 0x1
	global_store_b64 v[5:6], v[61:62], off
	global_store_b64 v[7:8], v[63:64], off
	;; [unrolled: 4-line block ×14, first 2 shown]
	s_nop 0
	s_sendmsg sendmsg(MSG_DEALLOC_VGPRS)
	s_endpgm
	.section	.rodata,"a",@progbits
	.p2align	6, 0x0
	.amdhsa_kernel _ZN9rocsolver6v33100L18getri_kernel_smallILi28E19rocblas_complex_numIfEPS3_EEvT1_iilPiilS6_bb
		.amdhsa_group_segment_fixed_size 452
		.amdhsa_private_segment_fixed_size 240
		.amdhsa_kernarg_size 60
		.amdhsa_user_sgpr_count 2
		.amdhsa_user_sgpr_dispatch_ptr 0
		.amdhsa_user_sgpr_queue_ptr 0
		.amdhsa_user_sgpr_kernarg_segment_ptr 1
		.amdhsa_user_sgpr_dispatch_id 0
		.amdhsa_user_sgpr_private_segment_size 0
		.amdhsa_wavefront_size32 1
		.amdhsa_uses_dynamic_stack 0
		.amdhsa_enable_private_segment 1
		.amdhsa_system_sgpr_workgroup_id_x 1
		.amdhsa_system_sgpr_workgroup_id_y 0
		.amdhsa_system_sgpr_workgroup_id_z 0
		.amdhsa_system_sgpr_workgroup_info 0
		.amdhsa_system_vgpr_workitem_id 0
		.amdhsa_next_free_vgpr 194
		.amdhsa_next_free_sgpr 19
		.amdhsa_reserve_vcc 1
		.amdhsa_float_round_mode_32 0
		.amdhsa_float_round_mode_16_64 0
		.amdhsa_float_denorm_mode_32 3
		.amdhsa_float_denorm_mode_16_64 3
		.amdhsa_fp16_overflow 0
		.amdhsa_workgroup_processor_mode 1
		.amdhsa_memory_ordered 1
		.amdhsa_forward_progress 1
		.amdhsa_inst_pref_size 255
		.amdhsa_round_robin_scheduling 0
		.amdhsa_exception_fp_ieee_invalid_op 0
		.amdhsa_exception_fp_denorm_src 0
		.amdhsa_exception_fp_ieee_div_zero 0
		.amdhsa_exception_fp_ieee_overflow 0
		.amdhsa_exception_fp_ieee_underflow 0
		.amdhsa_exception_fp_ieee_inexact 0
		.amdhsa_exception_int_div_zero 0
	.end_amdhsa_kernel
	.section	.text._ZN9rocsolver6v33100L18getri_kernel_smallILi28E19rocblas_complex_numIfEPS3_EEvT1_iilPiilS6_bb,"axG",@progbits,_ZN9rocsolver6v33100L18getri_kernel_smallILi28E19rocblas_complex_numIfEPS3_EEvT1_iilPiilS6_bb,comdat
.Lfunc_end27:
	.size	_ZN9rocsolver6v33100L18getri_kernel_smallILi28E19rocblas_complex_numIfEPS3_EEvT1_iilPiilS6_bb, .Lfunc_end27-_ZN9rocsolver6v33100L18getri_kernel_smallILi28E19rocblas_complex_numIfEPS3_EEvT1_iilPiilS6_bb
                                        ; -- End function
	.set _ZN9rocsolver6v33100L18getri_kernel_smallILi28E19rocblas_complex_numIfEPS3_EEvT1_iilPiilS6_bb.num_vgpr, 194
	.set _ZN9rocsolver6v33100L18getri_kernel_smallILi28E19rocblas_complex_numIfEPS3_EEvT1_iilPiilS6_bb.num_agpr, 0
	.set _ZN9rocsolver6v33100L18getri_kernel_smallILi28E19rocblas_complex_numIfEPS3_EEvT1_iilPiilS6_bb.numbered_sgpr, 19
	.set _ZN9rocsolver6v33100L18getri_kernel_smallILi28E19rocblas_complex_numIfEPS3_EEvT1_iilPiilS6_bb.num_named_barrier, 0
	.set _ZN9rocsolver6v33100L18getri_kernel_smallILi28E19rocblas_complex_numIfEPS3_EEvT1_iilPiilS6_bb.private_seg_size, 240
	.set _ZN9rocsolver6v33100L18getri_kernel_smallILi28E19rocblas_complex_numIfEPS3_EEvT1_iilPiilS6_bb.uses_vcc, 1
	.set _ZN9rocsolver6v33100L18getri_kernel_smallILi28E19rocblas_complex_numIfEPS3_EEvT1_iilPiilS6_bb.uses_flat_scratch, 1
	.set _ZN9rocsolver6v33100L18getri_kernel_smallILi28E19rocblas_complex_numIfEPS3_EEvT1_iilPiilS6_bb.has_dyn_sized_stack, 0
	.set _ZN9rocsolver6v33100L18getri_kernel_smallILi28E19rocblas_complex_numIfEPS3_EEvT1_iilPiilS6_bb.has_recursion, 0
	.set _ZN9rocsolver6v33100L18getri_kernel_smallILi28E19rocblas_complex_numIfEPS3_EEvT1_iilPiilS6_bb.has_indirect_call, 0
	.section	.AMDGPU.csdata,"",@progbits
; Kernel info:
; codeLenInByte = 33252
; TotalNumSgprs: 21
; NumVgprs: 194
; ScratchSize: 240
; MemoryBound: 0
; FloatMode: 240
; IeeeMode: 1
; LDSByteSize: 452 bytes/workgroup (compile time only)
; SGPRBlocks: 0
; VGPRBlocks: 24
; NumSGPRsForWavesPerEU: 21
; NumVGPRsForWavesPerEU: 194
; Occupancy: 7
; WaveLimiterHint : 1
; COMPUTE_PGM_RSRC2:SCRATCH_EN: 1
; COMPUTE_PGM_RSRC2:USER_SGPR: 2
; COMPUTE_PGM_RSRC2:TRAP_HANDLER: 0
; COMPUTE_PGM_RSRC2:TGID_X_EN: 1
; COMPUTE_PGM_RSRC2:TGID_Y_EN: 0
; COMPUTE_PGM_RSRC2:TGID_Z_EN: 0
; COMPUTE_PGM_RSRC2:TIDIG_COMP_CNT: 0
	.section	.text._ZN9rocsolver6v33100L18getri_kernel_smallILi29E19rocblas_complex_numIfEPS3_EEvT1_iilPiilS6_bb,"axG",@progbits,_ZN9rocsolver6v33100L18getri_kernel_smallILi29E19rocblas_complex_numIfEPS3_EEvT1_iilPiilS6_bb,comdat
	.globl	_ZN9rocsolver6v33100L18getri_kernel_smallILi29E19rocblas_complex_numIfEPS3_EEvT1_iilPiilS6_bb ; -- Begin function _ZN9rocsolver6v33100L18getri_kernel_smallILi29E19rocblas_complex_numIfEPS3_EEvT1_iilPiilS6_bb
	.p2align	8
	.type	_ZN9rocsolver6v33100L18getri_kernel_smallILi29E19rocblas_complex_numIfEPS3_EEvT1_iilPiilS6_bb,@function
_ZN9rocsolver6v33100L18getri_kernel_smallILi29E19rocblas_complex_numIfEPS3_EEvT1_iilPiilS6_bb: ; @_ZN9rocsolver6v33100L18getri_kernel_smallILi29E19rocblas_complex_numIfEPS3_EEvT1_iilPiilS6_bb
; %bb.0:
	s_mov_b32 s2, exec_lo
	v_cmpx_gt_u32_e32 29, v0
	s_cbranch_execz .LBB28_130
; %bb.1:
	s_clause 0x2
	s_load_b32 s2, s[0:1], 0x38
	s_load_b128 s[12:15], s[0:1], 0x10
	s_load_b128 s[4:7], s[0:1], 0x28
	s_mov_b32 s16, ttmp9
	s_wait_kmcnt 0x0
	s_bitcmp1_b32 s2, 8
	s_cselect_b32 s18, -1, 0
	s_bfe_u32 s2, s2, 0x10008
	s_ashr_i32 s17, ttmp9, 31
	s_cmp_eq_u32 s2, 0
                                        ; implicit-def: $sgpr2_sgpr3
	s_cbranch_scc1 .LBB28_3
; %bb.2:
	s_load_b32 s2, s[0:1], 0x20
	s_mul_u64 s[4:5], s[4:5], s[16:17]
	s_delay_alu instid0(SALU_CYCLE_1) | instskip(NEXT) | instid1(SALU_CYCLE_1)
	s_lshl_b64 s[4:5], s[4:5], 2
	s_add_nc_u64 s[4:5], s[14:15], s[4:5]
	s_wait_kmcnt 0x0
	s_ashr_i32 s3, s2, 31
	s_delay_alu instid0(SALU_CYCLE_1) | instskip(NEXT) | instid1(SALU_CYCLE_1)
	s_lshl_b64 s[2:3], s[2:3], 2
	s_add_nc_u64 s[2:3], s[4:5], s[2:3]
.LBB28_3:
	s_clause 0x1
	s_load_b128 s[8:11], s[0:1], 0x0
	s_load_b32 s4, s[0:1], 0x38
	s_mul_u64 s[0:1], s[12:13], s[16:17]
	v_lshlrev_b32_e32 v65, 3, v0
	s_lshl_b64 s[0:1], s[0:1], 3
	s_wait_kmcnt 0x0
	v_add3_u32 v3, s11, s11, v0
	s_ashr_i32 s13, s10, 31
	s_mov_b32 s12, s10
	s_add_nc_u64 s[0:1], s[8:9], s[0:1]
	s_lshl_b64 s[12:13], s[12:13], 3
	v_add_nc_u32_e32 v5, s11, v3
	v_ashrrev_i32_e32 v4, 31, v3
	s_add_nc_u64 s[0:1], s[0:1], s[12:13]
	s_ashr_i32 s9, s11, 31
	v_add_co_u32 v1, s5, s0, v65
	v_add_nc_u32_e32 v9, s11, v5
	v_ashrrev_i32_e32 v6, 31, v5
	s_mov_b32 s8, s11
	v_lshlrev_b64_e32 v[7:8], 3, v[3:4]
	v_add_co_ci_u32_e64 v2, null, s1, 0, s5
	v_add_nc_u32_e32 v13, s11, v9
	s_lshl_b64 s[8:9], s[8:9], 3
	v_lshlrev_b64_e32 v[11:12], 3, v[5:6]
	v_add_co_u32 v3, vcc_lo, v1, s8
	s_delay_alu instid0(VALU_DEP_3)
	v_ashrrev_i32_e32 v14, 31, v13
	v_add_nc_u32_e32 v15, s11, v13
	v_add_co_ci_u32_e64 v4, null, s9, v2, vcc_lo
	v_add_co_u32 v5, vcc_lo, s0, v7
	s_wait_alu 0xfffd
	v_add_co_ci_u32_e64 v6, null, s1, v8, vcc_lo
	v_add_co_u32 v7, vcc_lo, s0, v11
	s_wait_alu 0xfffd
	v_add_co_ci_u32_e64 v8, null, s1, v12, vcc_lo
	v_lshlrev_b64_e32 v[11:12], 3, v[13:14]
	v_add_nc_u32_e32 v13, s11, v15
	v_ashrrev_i32_e32 v10, 31, v9
	v_ashrrev_i32_e32 v16, 31, v15
	global_load_b64 v[59:60], v65, s[0:1]
	s_bitcmp0_b32 s4, 0
	v_add_nc_u32_e32 v17, s11, v13
	v_lshlrev_b64_e32 v[9:10], 3, v[9:10]
	v_ashrrev_i32_e32 v14, 31, v13
	v_lshlrev_b64_e32 v[15:16], 3, v[15:16]
	s_delay_alu instid0(VALU_DEP_4)
	v_add_nc_u32_e32 v21, s11, v17
	v_ashrrev_i32_e32 v18, 31, v17
	v_add_co_u32 v9, vcc_lo, s0, v9
	v_lshlrev_b64_e32 v[19:20], 3, v[13:14]
	s_wait_alu 0xfffd
	v_add_co_ci_u32_e64 v10, null, s1, v10, vcc_lo
	v_add_co_u32 v11, vcc_lo, s0, v11
	v_ashrrev_i32_e32 v22, 31, v21
	s_wait_alu 0xfffd
	v_add_co_ci_u32_e64 v12, null, s1, v12, vcc_lo
	v_add_co_u32 v13, vcc_lo, s0, v15
	s_wait_alu 0xfffd
	v_add_co_ci_u32_e64 v14, null, s1, v16, vcc_lo
	v_add_co_u32 v15, vcc_lo, s0, v19
	s_wait_alu 0xfffd
	v_add_co_ci_u32_e64 v16, null, s1, v20, vcc_lo
	v_lshlrev_b64_e32 v[19:20], 3, v[21:22]
	v_add_nc_u32_e32 v21, s11, v21
	v_lshlrev_b64_e32 v[17:18], 3, v[17:18]
	s_clause 0x3
	global_load_b64 v[61:62], v[3:4], off
	global_load_b64 v[66:67], v[5:6], off
	;; [unrolled: 1-line block ×4, first 2 shown]
	v_add_nc_u32_e32 v23, s11, v21
	v_ashrrev_i32_e32 v22, 31, v21
	v_add_co_u32 v17, vcc_lo, s0, v17
	s_wait_alu 0xfffd
	v_add_co_ci_u32_e64 v18, null, s1, v18, vcc_lo
	v_add_nc_u32_e32 v25, s11, v23
	v_ashrrev_i32_e32 v24, 31, v23
	v_lshlrev_b64_e32 v[21:22], 3, v[21:22]
	v_add_co_u32 v19, vcc_lo, s0, v19
	s_delay_alu instid0(VALU_DEP_4)
	v_add_nc_u32_e32 v27, s11, v25
	v_ashrrev_i32_e32 v26, 31, v25
	v_lshlrev_b64_e32 v[23:24], 3, v[23:24]
	s_wait_alu 0xfffd
	v_add_co_ci_u32_e64 v20, null, s1, v20, vcc_lo
	v_add_nc_u32_e32 v30, s11, v27
	v_ashrrev_i32_e32 v28, 31, v27
	v_lshlrev_b64_e32 v[25:26], 3, v[25:26]
	v_add_co_u32 v21, vcc_lo, s0, v21
	s_delay_alu instid0(VALU_DEP_4) | instskip(NEXT) | instid1(VALU_DEP_4)
	v_add_nc_u32_e32 v32, s11, v30
	v_lshlrev_b64_e32 v[28:29], 3, v[27:28]
	s_wait_alu 0xfffd
	v_add_co_ci_u32_e64 v22, null, s1, v22, vcc_lo
	v_add_co_u32 v23, vcc_lo, s0, v23
	v_ashrrev_i32_e32 v31, 31, v30
	v_ashrrev_i32_e32 v33, 31, v32
	v_add_nc_u32_e32 v34, s11, v32
	s_wait_alu 0xfffd
	v_add_co_ci_u32_e64 v24, null, s1, v24, vcc_lo
	v_add_co_u32 v25, vcc_lo, s0, v25
	s_wait_alu 0xfffd
	v_add_co_ci_u32_e64 v26, null, s1, v26, vcc_lo
	v_add_co_u32 v27, vcc_lo, s0, v28
	s_wait_alu 0xfffd
	v_add_co_ci_u32_e64 v28, null, s1, v29, vcc_lo
	v_lshlrev_b64_e32 v[29:30], 3, v[30:31]
	v_lshlrev_b64_e32 v[31:32], 3, v[32:33]
	v_add_nc_u32_e32 v33, s11, v34
	v_ashrrev_i32_e32 v35, 31, v34
	s_clause 0x7
	global_load_b64 v[72:73], v[11:12], off
	global_load_b64 v[74:75], v[13:14], off
	;; [unrolled: 1-line block ×8, first 2 shown]
	v_add_co_u32 v29, vcc_lo, s0, v29
	v_add_nc_u32_e32 v37, s11, v33
	v_lshlrev_b64_e32 v[35:36], 3, v[34:35]
	v_ashrrev_i32_e32 v34, 31, v33
	s_wait_alu 0xfffd
	v_add_co_ci_u32_e64 v30, null, s1, v30, vcc_lo
	v_add_nc_u32_e32 v41, s11, v37
	v_add_co_u32 v31, vcc_lo, s0, v31
	v_lshlrev_b64_e32 v[39:40], 3, v[33:34]
	s_wait_alu 0xfffd
	v_add_co_ci_u32_e64 v32, null, s1, v32, vcc_lo
	v_ashrrev_i32_e32 v42, 31, v41
	v_add_nc_u32_e32 v43, s11, v41
	v_add_co_u32 v33, vcc_lo, s0, v35
	s_wait_alu 0xfffd
	v_add_co_ci_u32_e64 v34, null, s1, v36, vcc_lo
	v_add_co_u32 v35, vcc_lo, s0, v39
	s_wait_alu 0xfffd
	v_add_co_ci_u32_e64 v36, null, s1, v40, vcc_lo
	v_lshlrev_b64_e32 v[39:40], 3, v[41:42]
	v_add_nc_u32_e32 v41, s11, v43
	v_ashrrev_i32_e32 v38, 31, v37
	v_ashrrev_i32_e32 v44, 31, v43
	s_delay_alu instid0(VALU_DEP_3) | instskip(NEXT) | instid1(VALU_DEP_3)
	v_add_nc_u32_e32 v45, s11, v41
	v_lshlrev_b64_e32 v[37:38], 3, v[37:38]
	v_ashrrev_i32_e32 v42, 31, v41
	s_delay_alu instid0(VALU_DEP_4) | instskip(NEXT) | instid1(VALU_DEP_4)
	v_lshlrev_b64_e32 v[43:44], 3, v[43:44]
	v_add_nc_u32_e32 v49, s11, v45
	v_ashrrev_i32_e32 v46, 31, v45
	v_add_co_u32 v37, vcc_lo, s0, v37
	v_lshlrev_b64_e32 v[47:48], 3, v[41:42]
	s_wait_alu 0xfffd
	v_add_co_ci_u32_e64 v38, null, s1, v38, vcc_lo
	v_add_co_u32 v39, vcc_lo, s0, v39
	v_ashrrev_i32_e32 v50, 31, v49
	v_add_nc_u32_e32 v51, s11, v49
	s_wait_alu 0xfffd
	v_add_co_ci_u32_e64 v40, null, s1, v40, vcc_lo
	v_add_co_u32 v41, vcc_lo, s0, v43
	s_wait_alu 0xfffd
	v_add_co_ci_u32_e64 v42, null, s1, v44, vcc_lo
	v_add_co_u32 v43, vcc_lo, s0, v47
	s_wait_alu 0xfffd
	v_add_co_ci_u32_e64 v44, null, s1, v48, vcc_lo
	v_lshlrev_b64_e32 v[47:48], 3, v[49:50]
	v_add_nc_u32_e32 v49, s11, v51
	v_ashrrev_i32_e32 v52, 31, v51
	v_lshlrev_b64_e32 v[45:46], 3, v[45:46]
	s_delay_alu instid0(VALU_DEP_3) | instskip(SKIP_1) | instid1(VALU_DEP_4)
	v_add_nc_u32_e32 v53, s11, v49
	v_ashrrev_i32_e32 v50, 31, v49
	v_lshlrev_b64_e32 v[51:52], 3, v[51:52]
	s_delay_alu instid0(VALU_DEP_4) | instskip(NEXT) | instid1(VALU_DEP_4)
	v_add_co_u32 v45, vcc_lo, s0, v45
	v_add_nc_u32_e32 v57, s11, v53
	s_delay_alu instid0(VALU_DEP_4)
	v_lshlrev_b64_e32 v[55:56], 3, v[49:50]
	v_ashrrev_i32_e32 v54, 31, v53
	s_wait_alu 0xfffd
	v_add_co_ci_u32_e64 v46, null, s1, v46, vcc_lo
	v_add_nc_u32_e32 v63, s11, v57
	v_add_co_u32 v47, vcc_lo, s0, v47
	v_ashrrev_i32_e32 v58, 31, v57
	s_wait_alu 0xfffd
	v_add_co_ci_u32_e64 v48, null, s1, v48, vcc_lo
	v_add_co_u32 v49, vcc_lo, s0, v51
	v_ashrrev_i32_e32 v64, 31, v63
	s_wait_alu 0xfffd
	v_add_co_ci_u32_e64 v50, null, s1, v52, vcc_lo
	v_lshlrev_b64_e32 v[53:54], 3, v[53:54]
	v_add_co_u32 v51, vcc_lo, s0, v55
	s_wait_alu 0xfffd
	v_add_co_ci_u32_e64 v52, null, s1, v56, vcc_lo
	v_lshlrev_b64_e32 v[55:56], 3, v[57:58]
	v_lshlrev_b64_e32 v[57:58], 3, v[63:64]
	v_add_co_u32 v53, vcc_lo, s0, v53
	s_wait_alu 0xfffd
	v_add_co_ci_u32_e64 v54, null, s1, v54, vcc_lo
	s_delay_alu instid0(VALU_DEP_4)
	v_add_co_u32 v55, vcc_lo, s0, v55
	s_wait_alu 0xfffd
	v_add_co_ci_u32_e64 v56, null, s1, v56, vcc_lo
	v_add_co_u32 v57, vcc_lo, s0, v57
	s_wait_alu 0xfffd
	v_add_co_ci_u32_e64 v58, null, s1, v58, vcc_lo
	s_clause 0xf
	global_load_b64 v[88:89], v[27:28], off
	global_load_b64 v[90:91], v[29:30], off
	;; [unrolled: 1-line block ×16, first 2 shown]
	s_mov_b32 s1, -1
	s_wait_loadcnt 0x1b
	scratch_store_b128 off, v[59:62], off
	s_wait_loadcnt 0x19
	scratch_store_b128 off, v[66:69], off offset:16
	s_wait_loadcnt 0x17
	scratch_store_b128 off, v[70:73], off offset:32
	;; [unrolled: 2-line block ×13, first 2 shown]
	s_wait_loadcnt 0x0
	scratch_store_b64 off, v[63:64], off offset:224
	s_cbranch_scc1 .LBB28_128
; %bb.4:
	v_cmp_eq_u32_e64 s0, 0, v0
	s_and_saveexec_b32 s1, s0
; %bb.5:
	v_mov_b32_e32 v59, 0
	ds_store_b32 v59, v59 offset:232
; %bb.6:
	s_wait_alu 0xfffe
	s_or_b32 exec_lo, exec_lo, s1
	s_wait_storecnt_dscnt 0x0
	s_barrier_signal -1
	s_barrier_wait -1
	global_inv scope:SCOPE_SE
	scratch_load_b64 v[59:60], v65, off
	s_wait_loadcnt 0x0
	v_cmp_eq_f32_e32 vcc_lo, 0, v59
	v_cmp_eq_f32_e64 s1, 0, v60
	s_and_b32 s1, vcc_lo, s1
	s_wait_alu 0xfffe
	s_and_saveexec_b32 s4, s1
	s_cbranch_execz .LBB28_10
; %bb.7:
	v_mov_b32_e32 v59, 0
	s_mov_b32 s5, 0
	ds_load_b32 v60, v59 offset:232
	s_wait_dscnt 0x0
	v_readfirstlane_b32 s1, v60
	v_add_nc_u32_e32 v60, 1, v0
	s_cmp_eq_u32 s1, 0
	s_delay_alu instid0(VALU_DEP_1)
	v_cmp_gt_i32_e32 vcc_lo, s1, v60
	s_cselect_b32 s8, -1, 0
	s_wait_alu 0xfffe
	s_or_b32 s8, s8, vcc_lo
	s_wait_alu 0xfffe
	s_and_b32 exec_lo, exec_lo, s8
	s_cbranch_execz .LBB28_10
; %bb.8:
	v_mov_b32_e32 v61, s1
.LBB28_9:                               ; =>This Inner Loop Header: Depth=1
	ds_cmpstore_rtn_b32 v61, v59, v60, v61 offset:232
	s_wait_dscnt 0x0
	v_cmp_ne_u32_e32 vcc_lo, 0, v61
	v_cmp_le_i32_e64 s1, v61, v60
	s_and_b32 s1, vcc_lo, s1
	s_wait_alu 0xfffe
	s_and_b32 s1, exec_lo, s1
	s_wait_alu 0xfffe
	s_or_b32 s5, s1, s5
	s_wait_alu 0xfffe
	s_and_not1_b32 exec_lo, exec_lo, s5
	s_cbranch_execnz .LBB28_9
.LBB28_10:
	s_wait_alu 0xfffe
	s_or_b32 exec_lo, exec_lo, s4
	v_mov_b32_e32 v59, 0
	s_barrier_signal -1
	s_barrier_wait -1
	global_inv scope:SCOPE_SE
	ds_load_b32 v60, v59 offset:232
	s_and_saveexec_b32 s1, s0
	s_cbranch_execz .LBB28_12
; %bb.11:
	s_lshl_b64 s[4:5], s[16:17], 2
	s_wait_alu 0xfffe
	s_add_nc_u64 s[4:5], s[6:7], s[4:5]
	s_wait_dscnt 0x0
	global_store_b32 v59, v60, s[4:5]
.LBB28_12:
	s_wait_alu 0xfffe
	s_or_b32 exec_lo, exec_lo, s1
	s_wait_dscnt 0x0
	v_cmp_ne_u32_e32 vcc_lo, 0, v60
	s_mov_b32 s1, 0
	s_cbranch_vccnz .LBB28_128
; %bb.13:
	v_mov_b32_e32 v66, v65
                                        ; implicit-def: $vgpr61
                                        ; implicit-def: $vgpr63
	scratch_load_b64 v[59:60], v66, off
	s_wait_loadcnt 0x0
	v_cmp_ngt_f32_e64 s1, |v59|, |v60|
	s_wait_alu 0xfffe
	s_and_saveexec_b32 s4, s1
	s_wait_alu 0xfffe
	s_xor_b32 s1, exec_lo, s4
	s_cbranch_execz .LBB28_15
; %bb.14:
	v_div_scale_f32 v61, null, v60, v60, v59
	v_div_scale_f32 v64, vcc_lo, v59, v60, v59
	s_delay_alu instid0(VALU_DEP_2) | instskip(NEXT) | instid1(TRANS32_DEP_1)
	v_rcp_f32_e32 v62, v61
	v_fma_f32 v63, -v61, v62, 1.0
	s_delay_alu instid0(VALU_DEP_1) | instskip(NEXT) | instid1(VALU_DEP_1)
	v_fmac_f32_e32 v62, v63, v62
	v_mul_f32_e32 v63, v64, v62
	s_delay_alu instid0(VALU_DEP_1) | instskip(NEXT) | instid1(VALU_DEP_1)
	v_fma_f32 v67, -v61, v63, v64
	v_fmac_f32_e32 v63, v67, v62
	s_delay_alu instid0(VALU_DEP_1) | instskip(SKIP_1) | instid1(VALU_DEP_1)
	v_fma_f32 v61, -v61, v63, v64
	s_wait_alu 0xfffd
	v_div_fmas_f32 v61, v61, v62, v63
	s_delay_alu instid0(VALU_DEP_1) | instskip(NEXT) | instid1(VALU_DEP_1)
	v_div_fixup_f32 v61, v61, v60, v59
	v_fmac_f32_e32 v60, v59, v61
	s_delay_alu instid0(VALU_DEP_1) | instskip(NEXT) | instid1(VALU_DEP_1)
	v_div_scale_f32 v59, null, v60, v60, 1.0
	v_rcp_f32_e32 v62, v59
	s_delay_alu instid0(TRANS32_DEP_1) | instskip(NEXT) | instid1(VALU_DEP_1)
	v_fma_f32 v63, -v59, v62, 1.0
	v_fmac_f32_e32 v62, v63, v62
	v_div_scale_f32 v63, vcc_lo, 1.0, v60, 1.0
	s_delay_alu instid0(VALU_DEP_1) | instskip(NEXT) | instid1(VALU_DEP_1)
	v_mul_f32_e32 v64, v63, v62
	v_fma_f32 v67, -v59, v64, v63
	s_delay_alu instid0(VALU_DEP_1) | instskip(NEXT) | instid1(VALU_DEP_1)
	v_fmac_f32_e32 v64, v67, v62
	v_fma_f32 v59, -v59, v64, v63
	s_wait_alu 0xfffd
	s_delay_alu instid0(VALU_DEP_1) | instskip(NEXT) | instid1(VALU_DEP_1)
	v_div_fmas_f32 v59, v59, v62, v64
	v_div_fixup_f32 v59, v59, v60, 1.0
	s_delay_alu instid0(VALU_DEP_1) | instskip(SKIP_1) | instid1(VALU_DEP_2)
	v_mul_f32_e32 v61, v61, v59
	v_xor_b32_e32 v62, 0x80000000, v59
                                        ; implicit-def: $vgpr59_vgpr60
	v_xor_b32_e32 v63, 0x80000000, v61
.LBB28_15:
	s_wait_alu 0xfffe
	s_and_not1_saveexec_b32 s1, s1
	s_cbranch_execz .LBB28_17
; %bb.16:
	v_div_scale_f32 v61, null, v59, v59, v60
	v_div_scale_f32 v64, vcc_lo, v60, v59, v60
	s_delay_alu instid0(VALU_DEP_2) | instskip(NEXT) | instid1(TRANS32_DEP_1)
	v_rcp_f32_e32 v62, v61
	v_fma_f32 v63, -v61, v62, 1.0
	s_delay_alu instid0(VALU_DEP_1) | instskip(NEXT) | instid1(VALU_DEP_1)
	v_fmac_f32_e32 v62, v63, v62
	v_mul_f32_e32 v63, v64, v62
	s_delay_alu instid0(VALU_DEP_1) | instskip(NEXT) | instid1(VALU_DEP_1)
	v_fma_f32 v67, -v61, v63, v64
	v_fmac_f32_e32 v63, v67, v62
	s_delay_alu instid0(VALU_DEP_1) | instskip(SKIP_1) | instid1(VALU_DEP_1)
	v_fma_f32 v61, -v61, v63, v64
	s_wait_alu 0xfffd
	v_div_fmas_f32 v61, v61, v62, v63
	s_delay_alu instid0(VALU_DEP_1) | instskip(NEXT) | instid1(VALU_DEP_1)
	v_div_fixup_f32 v62, v61, v59, v60
	v_fmac_f32_e32 v59, v60, v62
	s_delay_alu instid0(VALU_DEP_1) | instskip(SKIP_1) | instid1(VALU_DEP_2)
	v_div_scale_f32 v60, null, v59, v59, 1.0
	v_div_scale_f32 v64, vcc_lo, 1.0, v59, 1.0
	v_rcp_f32_e32 v61, v60
	s_delay_alu instid0(TRANS32_DEP_1) | instskip(NEXT) | instid1(VALU_DEP_1)
	v_fma_f32 v63, -v60, v61, 1.0
	v_fmac_f32_e32 v61, v63, v61
	s_delay_alu instid0(VALU_DEP_1) | instskip(NEXT) | instid1(VALU_DEP_1)
	v_mul_f32_e32 v63, v64, v61
	v_fma_f32 v67, -v60, v63, v64
	s_delay_alu instid0(VALU_DEP_1) | instskip(NEXT) | instid1(VALU_DEP_1)
	v_fmac_f32_e32 v63, v67, v61
	v_fma_f32 v60, -v60, v63, v64
	s_wait_alu 0xfffd
	s_delay_alu instid0(VALU_DEP_1) | instskip(NEXT) | instid1(VALU_DEP_1)
	v_div_fmas_f32 v60, v60, v61, v63
	v_div_fixup_f32 v61, v60, v59, 1.0
	s_delay_alu instid0(VALU_DEP_1)
	v_xor_b32_e32 v63, 0x80000000, v61
	v_mul_f32_e64 v62, v62, -v61
.LBB28_17:
	s_wait_alu 0xfffe
	s_or_b32 exec_lo, exec_lo, s1
	scratch_store_b64 v66, v[61:62], off
	scratch_load_b64 v[60:61], off, off offset:8
	v_xor_b32_e32 v64, 0x80000000, v62
	v_add_nc_u32_e32 v59, 0xf0, v65
	s_wait_loadcnt 0x0
	ds_store_2addr_b64 v65, v[63:64], v[60:61] offset1:30
	s_wait_storecnt_dscnt 0x0
	s_barrier_signal -1
	s_barrier_wait -1
	global_inv scope:SCOPE_SE
	s_and_saveexec_b32 s1, s0
	s_cbranch_execz .LBB28_19
; %bb.18:
	scratch_load_b64 v[60:61], v66, off
	ds_load_b64 v[62:63], v59
	v_mov_b32_e32 v64, 0
	ds_load_b64 v[67:68], v64 offset:8
	s_wait_loadcnt_dscnt 0x1
	v_mul_f32_e32 v64, v62, v61
	v_mul_f32_e32 v61, v63, v61
	s_delay_alu instid0(VALU_DEP_2) | instskip(NEXT) | instid1(VALU_DEP_2)
	v_fmac_f32_e32 v64, v63, v60
	v_fma_f32 v60, v62, v60, -v61
	s_delay_alu instid0(VALU_DEP_2) | instskip(NEXT) | instid1(VALU_DEP_2)
	v_add_f32_e32 v62, 0, v64
	v_add_f32_e32 v60, 0, v60
	s_wait_dscnt 0x0
	s_delay_alu instid0(VALU_DEP_2) | instskip(NEXT) | instid1(VALU_DEP_2)
	v_mul_f32_e32 v63, v62, v68
	v_mul_f32_e32 v61, v60, v68
	s_delay_alu instid0(VALU_DEP_2) | instskip(NEXT) | instid1(VALU_DEP_2)
	v_fma_f32 v60, v60, v67, -v63
	v_fmac_f32_e32 v61, v62, v67
	scratch_store_b64 off, v[60:61], off offset:8
.LBB28_19:
	s_wait_alu 0xfffe
	s_or_b32 exec_lo, exec_lo, s1
	s_wait_loadcnt 0x0
	s_wait_storecnt 0x0
	s_barrier_signal -1
	s_barrier_wait -1
	global_inv scope:SCOPE_SE
	scratch_load_b64 v[60:61], off, off offset:16
	s_mov_b32 s1, exec_lo
	s_wait_loadcnt 0x0
	ds_store_b64 v59, v[60:61]
	s_wait_dscnt 0x0
	s_barrier_signal -1
	s_barrier_wait -1
	global_inv scope:SCOPE_SE
	v_cmpx_gt_u32_e32 2, v0
	s_cbranch_execz .LBB28_23
; %bb.20:
	scratch_load_b64 v[60:61], v66, off
	ds_load_b64 v[62:63], v59
	s_wait_loadcnt_dscnt 0x0
	v_mul_f32_e32 v64, v63, v61
	v_mul_f32_e32 v67, v62, v61
	s_delay_alu instid0(VALU_DEP_2) | instskip(NEXT) | instid1(VALU_DEP_2)
	v_fma_f32 v61, v62, v60, -v64
	v_fmac_f32_e32 v67, v63, v60
	s_delay_alu instid0(VALU_DEP_1)
	v_dual_add_f32 v61, 0, v61 :: v_dual_add_f32 v60, 0, v67
	s_and_saveexec_b32 s4, s0
	s_cbranch_execz .LBB28_22
; %bb.21:
	scratch_load_b64 v[62:63], off, off offset:8
	v_mov_b32_e32 v64, 0
	ds_load_b64 v[67:68], v64 offset:248
	s_wait_loadcnt_dscnt 0x0
	v_mul_f32_e32 v64, v67, v63
	v_mul_f32_e32 v63, v68, v63
	s_delay_alu instid0(VALU_DEP_2) | instskip(NEXT) | instid1(VALU_DEP_2)
	v_fmac_f32_e32 v64, v68, v62
	v_fma_f32 v62, v67, v62, -v63
	s_delay_alu instid0(VALU_DEP_1)
	v_dual_add_f32 v60, v60, v64 :: v_dual_add_f32 v61, v61, v62
.LBB28_22:
	s_wait_alu 0xfffe
	s_or_b32 exec_lo, exec_lo, s4
	v_mov_b32_e32 v62, 0
	ds_load_b64 v[62:63], v62 offset:16
	s_wait_dscnt 0x0
	v_mul_f32_e32 v67, v60, v63
	v_mul_f32_e32 v64, v61, v63
	s_delay_alu instid0(VALU_DEP_2) | instskip(NEXT) | instid1(VALU_DEP_2)
	v_fma_f32 v63, v61, v62, -v67
	v_fmac_f32_e32 v64, v60, v62
	scratch_store_b64 off, v[63:64], off offset:16
.LBB28_23:
	s_wait_alu 0xfffe
	s_or_b32 exec_lo, exec_lo, s1
	s_wait_loadcnt 0x0
	s_wait_storecnt 0x0
	s_barrier_signal -1
	s_barrier_wait -1
	global_inv scope:SCOPE_SE
	scratch_load_b64 v[61:62], off, off offset:24
	v_add_nc_u32_e32 v60, -1, v0
	s_mov_b32 s0, exec_lo
	s_wait_loadcnt 0x0
	ds_store_b64 v59, v[61:62]
	s_wait_dscnt 0x0
	s_barrier_signal -1
	s_barrier_wait -1
	global_inv scope:SCOPE_SE
	v_cmpx_gt_u32_e32 3, v0
	s_cbranch_execz .LBB28_27
; %bb.24:
	v_dual_mov_b32 v61, 0 :: v_dual_add_nc_u32 v62, -1, v0
	v_dual_mov_b32 v64, v65 :: v_dual_add_nc_u32 v63, 0xf0, v65
	v_mov_b32_e32 v67, 0
	s_mov_b32 s1, 0
.LBB28_25:                              ; =>This Inner Loop Header: Depth=1
	scratch_load_b64 v[68:69], v64, off
	ds_load_b64 v[70:71], v63
	v_add_nc_u32_e32 v62, 1, v62
	v_add_nc_u32_e32 v63, 8, v63
	s_delay_alu instid0(VALU_DEP_2)
	v_cmp_lt_u32_e32 vcc_lo, 1, v62
	s_wait_alu 0xfffe
	s_or_b32 s1, vcc_lo, s1
	s_wait_loadcnt_dscnt 0x0
	v_mul_f32_e32 v72, v71, v69
	v_mul_f32_e32 v69, v70, v69
	s_delay_alu instid0(VALU_DEP_2) | instskip(NEXT) | instid1(VALU_DEP_2)
	v_fma_f32 v70, v70, v68, -v72
	v_fmac_f32_e32 v69, v71, v68
	s_delay_alu instid0(VALU_DEP_2) | instskip(NEXT) | instid1(VALU_DEP_2)
	v_dual_add_f32 v67, v67, v70 :: v_dual_add_nc_u32 v64, 8, v64
	v_add_f32_e32 v61, v61, v69
	s_wait_alu 0xfffe
	s_and_not1_b32 exec_lo, exec_lo, s1
	s_cbranch_execnz .LBB28_25
; %bb.26:
	s_or_b32 exec_lo, exec_lo, s1
	v_mov_b32_e32 v62, 0
	ds_load_b64 v[62:63], v62 offset:24
	s_wait_dscnt 0x0
	v_mul_f32_e32 v68, v61, v63
	v_mul_f32_e32 v64, v67, v63
	s_delay_alu instid0(VALU_DEP_2) | instskip(NEXT) | instid1(VALU_DEP_2)
	v_fma_f32 v63, v67, v62, -v68
	v_fmac_f32_e32 v64, v61, v62
	scratch_store_b64 off, v[63:64], off offset:24
.LBB28_27:
	s_wait_alu 0xfffe
	s_or_b32 exec_lo, exec_lo, s0
	s_wait_loadcnt 0x0
	s_wait_storecnt 0x0
	s_barrier_signal -1
	s_barrier_wait -1
	global_inv scope:SCOPE_SE
	scratch_load_b64 v[61:62], off, off offset:32
	s_mov_b32 s0, exec_lo
	s_wait_loadcnt 0x0
	ds_store_b64 v59, v[61:62]
	s_wait_dscnt 0x0
	s_barrier_signal -1
	s_barrier_wait -1
	global_inv scope:SCOPE_SE
	v_cmpx_gt_u32_e32 4, v0
	s_cbranch_execz .LBB28_31
; %bb.28:
	v_dual_mov_b32 v61, 0 :: v_dual_add_nc_u32 v62, -1, v0
	v_dual_mov_b32 v64, v65 :: v_dual_add_nc_u32 v63, 0xf0, v65
	v_mov_b32_e32 v67, 0
	s_mov_b32 s1, 0
.LBB28_29:                              ; =>This Inner Loop Header: Depth=1
	scratch_load_b64 v[68:69], v64, off
	ds_load_b64 v[70:71], v63
	v_add_nc_u32_e32 v62, 1, v62
	v_add_nc_u32_e32 v63, 8, v63
	s_delay_alu instid0(VALU_DEP_2)
	v_cmp_lt_u32_e32 vcc_lo, 2, v62
	s_wait_alu 0xfffe
	s_or_b32 s1, vcc_lo, s1
	s_wait_loadcnt_dscnt 0x0
	v_mul_f32_e32 v72, v71, v69
	v_mul_f32_e32 v69, v70, v69
	s_delay_alu instid0(VALU_DEP_2) | instskip(NEXT) | instid1(VALU_DEP_2)
	v_fma_f32 v70, v70, v68, -v72
	v_fmac_f32_e32 v69, v71, v68
	s_delay_alu instid0(VALU_DEP_2) | instskip(NEXT) | instid1(VALU_DEP_2)
	v_dual_add_f32 v67, v67, v70 :: v_dual_add_nc_u32 v64, 8, v64
	v_add_f32_e32 v61, v61, v69
	s_wait_alu 0xfffe
	s_and_not1_b32 exec_lo, exec_lo, s1
	s_cbranch_execnz .LBB28_29
; %bb.30:
	s_or_b32 exec_lo, exec_lo, s1
	v_mov_b32_e32 v62, 0
	ds_load_b64 v[62:63], v62 offset:32
	s_wait_dscnt 0x0
	v_mul_f32_e32 v68, v61, v63
	v_mul_f32_e32 v64, v67, v63
	s_delay_alu instid0(VALU_DEP_2) | instskip(NEXT) | instid1(VALU_DEP_2)
	v_fma_f32 v63, v67, v62, -v68
	v_fmac_f32_e32 v64, v61, v62
	scratch_store_b64 off, v[63:64], off offset:32
.LBB28_31:
	s_wait_alu 0xfffe
	s_or_b32 exec_lo, exec_lo, s0
	s_wait_loadcnt 0x0
	s_wait_storecnt 0x0
	s_barrier_signal -1
	s_barrier_wait -1
	global_inv scope:SCOPE_SE
	scratch_load_b64 v[61:62], off, off offset:40
	;; [unrolled: 55-line block ×19, first 2 shown]
	s_mov_b32 s0, exec_lo
	s_wait_loadcnt 0x0
	ds_store_b64 v59, v[61:62]
	s_wait_dscnt 0x0
	s_barrier_signal -1
	s_barrier_wait -1
	global_inv scope:SCOPE_SE
	v_cmpx_gt_u32_e32 22, v0
	s_cbranch_execz .LBB28_103
; %bb.100:
	v_dual_mov_b32 v61, 0 :: v_dual_add_nc_u32 v62, -1, v0
	v_dual_mov_b32 v64, v65 :: v_dual_add_nc_u32 v63, 0xf0, v65
	v_mov_b32_e32 v67, 0
	s_mov_b32 s1, 0
.LBB28_101:                             ; =>This Inner Loop Header: Depth=1
	scratch_load_b64 v[68:69], v64, off
	ds_load_b64 v[70:71], v63
	v_add_nc_u32_e32 v62, 1, v62
	v_add_nc_u32_e32 v63, 8, v63
	s_delay_alu instid0(VALU_DEP_2)
	v_cmp_lt_u32_e32 vcc_lo, 20, v62
	s_wait_alu 0xfffe
	s_or_b32 s1, vcc_lo, s1
	s_wait_loadcnt_dscnt 0x0
	v_mul_f32_e32 v72, v71, v69
	v_mul_f32_e32 v69, v70, v69
	s_delay_alu instid0(VALU_DEP_2) | instskip(NEXT) | instid1(VALU_DEP_2)
	v_fma_f32 v70, v70, v68, -v72
	v_fmac_f32_e32 v69, v71, v68
	s_delay_alu instid0(VALU_DEP_2) | instskip(NEXT) | instid1(VALU_DEP_2)
	v_dual_add_f32 v67, v67, v70 :: v_dual_add_nc_u32 v64, 8, v64
	v_add_f32_e32 v61, v61, v69
	s_wait_alu 0xfffe
	s_and_not1_b32 exec_lo, exec_lo, s1
	s_cbranch_execnz .LBB28_101
; %bb.102:
	s_or_b32 exec_lo, exec_lo, s1
	v_mov_b32_e32 v62, 0
	ds_load_b64 v[62:63], v62 offset:176
	s_wait_dscnt 0x0
	v_mul_f32_e32 v68, v61, v63
	v_mul_f32_e32 v64, v67, v63
	s_delay_alu instid0(VALU_DEP_2) | instskip(NEXT) | instid1(VALU_DEP_2)
	v_fma_f32 v63, v67, v62, -v68
	v_fmac_f32_e32 v64, v61, v62
	scratch_store_b64 off, v[63:64], off offset:176
.LBB28_103:
	s_wait_alu 0xfffe
	s_or_b32 exec_lo, exec_lo, s0
	s_wait_loadcnt 0x0
	s_wait_storecnt 0x0
	s_barrier_signal -1
	s_barrier_wait -1
	global_inv scope:SCOPE_SE
	scratch_load_b64 v[61:62], off, off offset:184
	s_mov_b32 s0, exec_lo
	s_wait_loadcnt 0x0
	ds_store_b64 v59, v[61:62]
	s_wait_dscnt 0x0
	s_barrier_signal -1
	s_barrier_wait -1
	global_inv scope:SCOPE_SE
	v_cmpx_gt_u32_e32 23, v0
	s_cbranch_execz .LBB28_107
; %bb.104:
	v_dual_mov_b32 v61, 0 :: v_dual_add_nc_u32 v62, -1, v0
	v_dual_mov_b32 v64, v65 :: v_dual_add_nc_u32 v63, 0xf0, v65
	v_mov_b32_e32 v67, 0
	s_mov_b32 s1, 0
.LBB28_105:                             ; =>This Inner Loop Header: Depth=1
	scratch_load_b64 v[68:69], v64, off
	ds_load_b64 v[70:71], v63
	v_add_nc_u32_e32 v62, 1, v62
	v_add_nc_u32_e32 v63, 8, v63
	s_delay_alu instid0(VALU_DEP_2)
	v_cmp_lt_u32_e32 vcc_lo, 21, v62
	s_wait_alu 0xfffe
	s_or_b32 s1, vcc_lo, s1
	s_wait_loadcnt_dscnt 0x0
	v_mul_f32_e32 v72, v71, v69
	v_mul_f32_e32 v69, v70, v69
	s_delay_alu instid0(VALU_DEP_2) | instskip(NEXT) | instid1(VALU_DEP_2)
	v_fma_f32 v70, v70, v68, -v72
	v_fmac_f32_e32 v69, v71, v68
	s_delay_alu instid0(VALU_DEP_2) | instskip(NEXT) | instid1(VALU_DEP_2)
	v_dual_add_f32 v67, v67, v70 :: v_dual_add_nc_u32 v64, 8, v64
	v_add_f32_e32 v61, v61, v69
	s_wait_alu 0xfffe
	s_and_not1_b32 exec_lo, exec_lo, s1
	s_cbranch_execnz .LBB28_105
; %bb.106:
	s_or_b32 exec_lo, exec_lo, s1
	v_mov_b32_e32 v62, 0
	ds_load_b64 v[62:63], v62 offset:184
	s_wait_dscnt 0x0
	v_mul_f32_e32 v68, v61, v63
	v_mul_f32_e32 v64, v67, v63
	s_delay_alu instid0(VALU_DEP_2) | instskip(NEXT) | instid1(VALU_DEP_2)
	v_fma_f32 v63, v67, v62, -v68
	v_fmac_f32_e32 v64, v61, v62
	scratch_store_b64 off, v[63:64], off offset:184
.LBB28_107:
	s_wait_alu 0xfffe
	s_or_b32 exec_lo, exec_lo, s0
	s_wait_loadcnt 0x0
	s_wait_storecnt 0x0
	s_barrier_signal -1
	s_barrier_wait -1
	global_inv scope:SCOPE_SE
	scratch_load_b64 v[61:62], off, off offset:192
	;; [unrolled: 55-line block ×5, first 2 shown]
	s_mov_b32 s0, exec_lo
	s_wait_loadcnt 0x0
	ds_store_b64 v59, v[61:62]
	s_wait_dscnt 0x0
	s_barrier_signal -1
	s_barrier_wait -1
	global_inv scope:SCOPE_SE
	v_cmpx_gt_u32_e32 27, v0
	s_cbranch_execz .LBB28_123
; %bb.120:
	v_dual_mov_b32 v61, 0 :: v_dual_add_nc_u32 v62, -1, v0
	v_dual_mov_b32 v64, v65 :: v_dual_add_nc_u32 v63, 0xf0, v65
	v_mov_b32_e32 v65, 0
	s_mov_b32 s1, 0
.LBB28_121:                             ; =>This Inner Loop Header: Depth=1
	scratch_load_b64 v[67:68], v64, off
	ds_load_b64 v[69:70], v63
	v_add_nc_u32_e32 v64, 8, v64
	v_add_nc_u32_e32 v62, 1, v62
	v_add_nc_u32_e32 v63, 8, v63
	s_delay_alu instid0(VALU_DEP_2)
	v_cmp_lt_u32_e32 vcc_lo, 25, v62
	s_wait_alu 0xfffe
	s_or_b32 s1, vcc_lo, s1
	s_wait_loadcnt_dscnt 0x0
	v_mul_f32_e32 v71, v70, v68
	v_mul_f32_e32 v68, v69, v68
	s_delay_alu instid0(VALU_DEP_2) | instskip(NEXT) | instid1(VALU_DEP_1)
	v_fma_f32 v69, v69, v67, -v71
	v_dual_fmac_f32 v68, v70, v67 :: v_dual_add_f32 v65, v65, v69
	s_delay_alu instid0(VALU_DEP_1)
	v_add_f32_e32 v61, v61, v68
	s_wait_alu 0xfffe
	s_and_not1_b32 exec_lo, exec_lo, s1
	s_cbranch_execnz .LBB28_121
; %bb.122:
	s_or_b32 exec_lo, exec_lo, s1
	v_mov_b32_e32 v62, 0
	ds_load_b64 v[62:63], v62 offset:216
	s_wait_dscnt 0x0
	v_mul_f32_e32 v67, v61, v63
	v_mul_f32_e32 v64, v65, v63
	s_delay_alu instid0(VALU_DEP_2) | instskip(NEXT) | instid1(VALU_DEP_2)
	v_fma_f32 v63, v65, v62, -v67
	v_fmac_f32_e32 v64, v61, v62
	scratch_store_b64 off, v[63:64], off offset:216
.LBB28_123:
	s_wait_alu 0xfffe
	s_or_b32 exec_lo, exec_lo, s0
	s_wait_loadcnt 0x0
	s_wait_storecnt 0x0
	s_barrier_signal -1
	s_barrier_wait -1
	global_inv scope:SCOPE_SE
	scratch_load_b64 v[61:62], off, off offset:224
	s_mov_b32 s0, exec_lo
	s_wait_loadcnt 0x0
	ds_store_b64 v59, v[61:62]
	s_wait_dscnt 0x0
	s_barrier_signal -1
	s_barrier_wait -1
	global_inv scope:SCOPE_SE
	v_cmpx_ne_u32_e32 28, v0
	s_cbranch_execz .LBB28_127
; %bb.124:
	v_dual_mov_b32 v61, 0 :: v_dual_mov_b32 v62, 0
	s_mov_b32 s1, 0
.LBB28_125:                             ; =>This Inner Loop Header: Depth=1
	scratch_load_b64 v[63:64], v66, off
	ds_load_b64 v[67:68], v59
	v_add_nc_u32_e32 v60, 1, v60
	v_add_nc_u32_e32 v59, 8, v59
	;; [unrolled: 1-line block ×3, first 2 shown]
	s_delay_alu instid0(VALU_DEP_3)
	v_cmp_lt_u32_e32 vcc_lo, 26, v60
	s_wait_alu 0xfffe
	s_or_b32 s1, vcc_lo, s1
	s_wait_loadcnt_dscnt 0x0
	v_mul_f32_e32 v65, v68, v64
	v_mul_f32_e32 v64, v67, v64
	s_delay_alu instid0(VALU_DEP_2) | instskip(NEXT) | instid1(VALU_DEP_2)
	v_fma_f32 v65, v67, v63, -v65
	v_fmac_f32_e32 v64, v68, v63
	s_delay_alu instid0(VALU_DEP_1)
	v_dual_add_f32 v62, v62, v65 :: v_dual_add_f32 v61, v61, v64
	s_wait_alu 0xfffe
	s_and_not1_b32 exec_lo, exec_lo, s1
	s_cbranch_execnz .LBB28_125
; %bb.126:
	s_or_b32 exec_lo, exec_lo, s1
	v_mov_b32_e32 v59, 0
	ds_load_b64 v[59:60], v59 offset:224
	s_wait_dscnt 0x0
	v_mul_f32_e32 v64, v61, v60
	v_mul_f32_e32 v63, v62, v60
	s_delay_alu instid0(VALU_DEP_2) | instskip(NEXT) | instid1(VALU_DEP_2)
	v_fma_f32 v62, v62, v59, -v64
	v_fmac_f32_e32 v63, v61, v59
	scratch_store_b64 off, v[62:63], off offset:224
.LBB28_127:
	s_wait_alu 0xfffe
	s_or_b32 exec_lo, exec_lo, s0
	s_mov_b32 s1, -1
	s_wait_loadcnt 0x0
	s_wait_storecnt 0x0
	s_barrier_signal -1
	s_barrier_wait -1
	global_inv scope:SCOPE_SE
.LBB28_128:
	s_wait_alu 0xfffe
	s_and_b32 vcc_lo, exec_lo, s1
	s_wait_alu 0xfffe
	s_cbranch_vccz .LBB28_130
; %bb.129:
	v_mov_b32_e32 v59, 0
	s_lshl_b64 s[0:1], s[16:17], 2
	s_wait_alu 0xfffe
	s_add_nc_u64 s[0:1], s[6:7], s[0:1]
	global_load_b32 v59, v59, s[0:1]
	s_wait_loadcnt 0x0
	v_cmp_ne_u32_e32 vcc_lo, 0, v59
	s_cbranch_vccz .LBB28_131
.LBB28_130:
	s_nop 0
	s_sendmsg sendmsg(MSG_DEALLOC_VGPRS)
	s_endpgm
.LBB28_131:
	v_lshl_add_u32 v61, v0, 3, 0xf0
	s_mov_b32 s0, exec_lo
	v_cmpx_eq_u32_e32 28, v0
	s_cbranch_execz .LBB28_133
; %bb.132:
	scratch_load_b64 v[59:60], off, off offset:216
	v_mov_b32_e32 v62, 0
	s_delay_alu instid0(VALU_DEP_1)
	v_mov_b32_e32 v63, v62
	scratch_store_b64 off, v[62:63], off offset:216
	s_wait_loadcnt 0x0
	ds_store_b64 v61, v[59:60]
.LBB28_133:
	s_wait_alu 0xfffe
	s_or_b32 exec_lo, exec_lo, s0
	s_wait_storecnt_dscnt 0x0
	s_barrier_signal -1
	s_barrier_wait -1
	global_inv scope:SCOPE_SE
	s_clause 0x1
	scratch_load_b64 v[62:63], off, off offset:224
	scratch_load_b64 v[64:65], off, off offset:216
	v_mov_b32_e32 v59, 0
	s_mov_b32 s0, exec_lo
	ds_load_b64 v[66:67], v59 offset:464
	s_wait_loadcnt_dscnt 0x100
	v_mul_f32_e32 v60, v67, v63
	s_delay_alu instid0(VALU_DEP_1) | instskip(NEXT) | instid1(VALU_DEP_1)
	v_fma_f32 v60, v66, v62, -v60
	v_dual_mul_f32 v63, v66, v63 :: v_dual_add_f32 v60, 0, v60
	s_wait_loadcnt 0x0
	s_delay_alu instid0(VALU_DEP_1) | instskip(NEXT) | instid1(VALU_DEP_1)
	v_dual_fmac_f32 v63, v67, v62 :: v_dual_sub_f32 v62, v64, v60
	v_add_f32_e32 v63, 0, v63
	s_delay_alu instid0(VALU_DEP_1)
	v_sub_f32_e32 v63, v65, v63
	scratch_store_b64 off, v[62:63], off offset:216
	v_cmpx_lt_u32_e32 26, v0
	s_cbranch_execz .LBB28_135
; %bb.134:
	scratch_load_b64 v[62:63], off, off offset:208
	v_mov_b32_e32 v60, v59
	scratch_store_b64 off, v[59:60], off offset:208
	s_wait_loadcnt 0x0
	ds_store_b64 v61, v[62:63]
.LBB28_135:
	s_wait_alu 0xfffe
	s_or_b32 exec_lo, exec_lo, s0
	s_wait_storecnt_dscnt 0x0
	s_barrier_signal -1
	s_barrier_wait -1
	global_inv scope:SCOPE_SE
	s_clause 0x1
	scratch_load_b128 v[62:65], off, off offset:216
	scratch_load_b64 v[70:71], off, off offset:208
	ds_load_2addr_b64 v[66:69], v59 offset0:57 offset1:58
	s_mov_b32 s0, exec_lo
	s_wait_loadcnt_dscnt 0x100
	v_mul_f32_e32 v60, v66, v63
	s_delay_alu instid0(VALU_DEP_1) | instskip(SKIP_2) | instid1(VALU_DEP_1)
	v_fmac_f32_e32 v60, v67, v62
	v_mul_f32_e32 v59, v67, v63
	v_mul_f32_e32 v63, v68, v65
	v_fmac_f32_e32 v63, v69, v64
	s_delay_alu instid0(VALU_DEP_4) | instskip(NEXT) | instid1(VALU_DEP_4)
	v_dual_add_f32 v60, 0, v60 :: v_dual_mul_f32 v65, v69, v65
	v_fma_f32 v59, v66, v62, -v59
	s_delay_alu instid0(VALU_DEP_2) | instskip(NEXT) | instid1(VALU_DEP_3)
	v_add_f32_e32 v60, v60, v63
	v_fma_f32 v62, v68, v64, -v65
	s_wait_loadcnt 0x0
	s_delay_alu instid0(VALU_DEP_2) | instskip(NEXT) | instid1(VALU_DEP_1)
	v_dual_add_f32 v59, 0, v59 :: v_dual_sub_f32 v60, v71, v60
	v_add_f32_e32 v59, v59, v62
	s_delay_alu instid0(VALU_DEP_1)
	v_sub_f32_e32 v59, v70, v59
	scratch_store_b64 off, v[59:60], off offset:208
	v_cmpx_lt_u32_e32 25, v0
	s_cbranch_execz .LBB28_137
; %bb.136:
	scratch_load_b64 v[59:60], off, off offset:200
	v_mov_b32_e32 v62, 0
	s_delay_alu instid0(VALU_DEP_1)
	v_mov_b32_e32 v63, v62
	scratch_store_b64 off, v[62:63], off offset:200
	s_wait_loadcnt 0x0
	ds_store_b64 v61, v[59:60]
.LBB28_137:
	s_wait_alu 0xfffe
	s_or_b32 exec_lo, exec_lo, s0
	s_wait_storecnt_dscnt 0x0
	s_barrier_signal -1
	s_barrier_wait -1
	global_inv scope:SCOPE_SE
	s_clause 0x2
	scratch_load_b128 v[62:65], off, off offset:208
	scratch_load_b64 v[70:71], off, off offset:224
	scratch_load_b64 v[72:73], off, off offset:200
	v_mov_b32_e32 v59, 0
	ds_load_b128 v[66:69], v59 offset:448
	ds_load_b64 v[74:75], v59 offset:464
	s_mov_b32 s0, exec_lo
	s_wait_loadcnt_dscnt 0x201
	v_mul_f32_e32 v60, v67, v63
	v_dual_mul_f32 v63, v66, v63 :: v_dual_mul_f32 v76, v68, v65
	v_mul_f32_e32 v65, v69, v65
	s_wait_loadcnt_dscnt 0x100
	v_mul_f32_e32 v77, v74, v71
	v_fma_f32 v60, v66, v62, -v60
	v_fmac_f32_e32 v63, v67, v62
	v_mul_f32_e32 v62, v75, v71
	v_fmac_f32_e32 v76, v69, v64
	v_fma_f32 v64, v68, v64, -v65
	s_delay_alu instid0(VALU_DEP_4) | instskip(NEXT) | instid1(VALU_DEP_4)
	v_dual_add_f32 v60, 0, v60 :: v_dual_add_f32 v63, 0, v63
	v_fma_f32 v62, v74, v70, -v62
	s_delay_alu instid0(VALU_DEP_2) | instskip(NEXT) | instid1(VALU_DEP_1)
	v_add_f32_e32 v60, v60, v64
	v_dual_add_f32 v63, v63, v76 :: v_dual_add_f32 v60, v60, v62
	s_wait_loadcnt 0x0
	s_delay_alu instid0(VALU_DEP_1) | instskip(NEXT) | instid1(VALU_DEP_1)
	v_dual_fmac_f32 v77, v75, v70 :: v_dual_sub_f32 v62, v72, v60
	v_add_f32_e32 v63, v63, v77
	s_delay_alu instid0(VALU_DEP_1)
	v_sub_f32_e32 v63, v73, v63
	scratch_store_b64 off, v[62:63], off offset:200
	v_cmpx_lt_u32_e32 24, v0
	s_cbranch_execz .LBB28_139
; %bb.138:
	scratch_load_b64 v[62:63], off, off offset:192
	v_mov_b32_e32 v60, v59
	scratch_store_b64 off, v[59:60], off offset:192
	s_wait_loadcnt 0x0
	ds_store_b64 v61, v[62:63]
.LBB28_139:
	s_wait_alu 0xfffe
	s_or_b32 exec_lo, exec_lo, s0
	s_wait_storecnt_dscnt 0x0
	s_barrier_signal -1
	s_barrier_wait -1
	global_inv scope:SCOPE_SE
	s_clause 0x2
	scratch_load_b128 v[62:65], off, off offset:200
	scratch_load_b128 v[66:69], off, off offset:216
	scratch_load_b64 v[78:79], off, off offset:192
	ds_load_2addr_b64 v[70:73], v59 offset0:55 offset1:56
	ds_load_2addr_b64 v[74:77], v59 offset0:57 offset1:58
	s_mov_b32 s0, exec_lo
	s_wait_loadcnt_dscnt 0x201
	v_mul_f32_e32 v60, v71, v63
	s_wait_loadcnt_dscnt 0x100
	v_dual_mul_f32 v80, v74, v67 :: v_dual_mul_f32 v81, v76, v69
	s_delay_alu instid0(VALU_DEP_2) | instskip(SKIP_2) | instid1(VALU_DEP_4)
	v_fma_f32 v60, v70, v62, -v60
	v_mul_f32_e32 v59, v70, v63
	v_mul_f32_e32 v63, v72, v65
	v_dual_mul_f32 v65, v73, v65 :: v_dual_fmac_f32 v80, v75, v66
	s_delay_alu instid0(VALU_DEP_3) | instskip(NEXT) | instid1(VALU_DEP_3)
	v_dual_add_f32 v60, 0, v60 :: v_dual_fmac_f32 v59, v71, v62
	v_dual_mul_f32 v62, v75, v67 :: v_dual_fmac_f32 v63, v73, v64
	s_delay_alu instid0(VALU_DEP_3) | instskip(SKIP_1) | instid1(VALU_DEP_3)
	v_fma_f32 v64, v72, v64, -v65
	v_fmac_f32_e32 v81, v77, v68
	v_fma_f32 v62, v74, v66, -v62
	s_delay_alu instid0(VALU_DEP_3) | instskip(NEXT) | instid1(VALU_DEP_1)
	v_dual_add_f32 v60, v60, v64 :: v_dual_add_f32 v59, 0, v59
	v_dual_add_f32 v60, v60, v62 :: v_dual_mul_f32 v65, v77, v69
	s_delay_alu instid0(VALU_DEP_2) | instskip(NEXT) | instid1(VALU_DEP_2)
	v_add_f32_e32 v59, v59, v63
	v_fma_f32 v63, v76, v68, -v65
	s_delay_alu instid0(VALU_DEP_1) | instskip(SKIP_1) | instid1(VALU_DEP_1)
	v_dual_add_f32 v59, v59, v80 :: v_dual_add_f32 v60, v60, v63
	s_wait_loadcnt 0x0
	v_dual_add_f32 v62, v59, v81 :: v_dual_sub_f32 v59, v78, v60
	s_delay_alu instid0(VALU_DEP_1)
	v_sub_f32_e32 v60, v79, v62
	scratch_store_b64 off, v[59:60], off offset:192
	v_cmpx_lt_u32_e32 23, v0
	s_cbranch_execz .LBB28_141
; %bb.140:
	scratch_load_b64 v[59:60], off, off offset:184
	v_mov_b32_e32 v62, 0
	s_delay_alu instid0(VALU_DEP_1)
	v_mov_b32_e32 v63, v62
	scratch_store_b64 off, v[62:63], off offset:184
	s_wait_loadcnt 0x0
	ds_store_b64 v61, v[59:60]
.LBB28_141:
	s_wait_alu 0xfffe
	s_or_b32 exec_lo, exec_lo, s0
	s_wait_storecnt_dscnt 0x0
	s_barrier_signal -1
	s_barrier_wait -1
	global_inv scope:SCOPE_SE
	s_clause 0x3
	scratch_load_b128 v[62:65], off, off offset:192
	scratch_load_b128 v[66:69], off, off offset:208
	scratch_load_b64 v[78:79], off, off offset:224
	scratch_load_b64 v[80:81], off, off offset:184
	v_mov_b32_e32 v59, 0
	ds_load_b128 v[70:73], v59 offset:432
	ds_load_b128 v[74:77], v59 offset:448
	ds_load_b64 v[82:83], v59 offset:464
	s_mov_b32 s0, exec_lo
	s_wait_loadcnt_dscnt 0x302
	v_mul_f32_e32 v60, v70, v63
	v_dual_mul_f32 v84, v72, v65 :: v_dual_mul_f32 v63, v71, v63
	s_wait_loadcnt_dscnt 0x100
	v_mul_f32_e32 v87, v82, v79
	v_dual_mul_f32 v85, v74, v67 :: v_dual_mul_f32 v86, v76, v69
	v_dual_fmac_f32 v60, v71, v62 :: v_dual_mul_f32 v65, v73, v65
	v_fma_f32 v63, v70, v62, -v63
	v_fmac_f32_e32 v84, v73, v64
	v_mul_f32_e32 v62, v75, v67
	s_delay_alu instid0(VALU_DEP_4) | instskip(SKIP_3) | instid1(VALU_DEP_4)
	v_add_f32_e32 v60, 0, v60
	v_fma_f32 v64, v72, v64, -v65
	v_add_f32_e32 v63, 0, v63
	v_mul_f32_e32 v65, v77, v69
	v_dual_fmac_f32 v85, v75, v66 :: v_dual_add_f32 v60, v60, v84
	v_dual_fmac_f32 v86, v77, v68 :: v_dual_fmac_f32 v87, v83, v78
	s_delay_alu instid0(VALU_DEP_4) | instskip(SKIP_1) | instid1(VALU_DEP_4)
	v_add_f32_e32 v63, v63, v64
	v_fma_f32 v62, v74, v66, -v62
	v_add_f32_e32 v60, v60, v85
	v_fma_f32 v65, v76, v68, -v65
	s_delay_alu instid0(VALU_DEP_3) | instskip(NEXT) | instid1(VALU_DEP_3)
	v_add_f32_e32 v62, v63, v62
	v_add_f32_e32 v60, v60, v86
	s_delay_alu instid0(VALU_DEP_2) | instskip(NEXT) | instid1(VALU_DEP_2)
	v_add_f32_e32 v62, v62, v65
	v_add_f32_e32 v60, v60, v87
	v_mul_f32_e32 v64, v83, v79
	s_delay_alu instid0(VALU_DEP_1) | instskip(SKIP_1) | instid1(VALU_DEP_1)
	v_fma_f32 v63, v82, v78, -v64
	s_wait_loadcnt 0x0
	v_dual_add_f32 v62, v62, v63 :: v_dual_sub_f32 v63, v81, v60
	s_delay_alu instid0(VALU_DEP_1)
	v_sub_f32_e32 v62, v80, v62
	scratch_store_b64 off, v[62:63], off offset:184
	v_cmpx_lt_u32_e32 22, v0
	s_cbranch_execz .LBB28_143
; %bb.142:
	scratch_load_b64 v[62:63], off, off offset:176
	v_mov_b32_e32 v60, v59
	scratch_store_b64 off, v[59:60], off offset:176
	s_wait_loadcnt 0x0
	ds_store_b64 v61, v[62:63]
.LBB28_143:
	s_wait_alu 0xfffe
	s_or_b32 exec_lo, exec_lo, s0
	s_wait_storecnt_dscnt 0x0
	s_barrier_signal -1
	s_barrier_wait -1
	global_inv scope:SCOPE_SE
	s_clause 0x3
	scratch_load_b128 v[62:65], off, off offset:184
	scratch_load_b128 v[66:69], off, off offset:200
	scratch_load_b128 v[70:73], off, off offset:216
	scratch_load_b64 v[86:87], off, off offset:176
	ds_load_2addr_b64 v[74:77], v59 offset0:53 offset1:54
	ds_load_2addr_b64 v[78:81], v59 offset0:55 offset1:56
	;; [unrolled: 1-line block ×3, first 2 shown]
	s_mov_b32 s0, exec_lo
	s_wait_loadcnt_dscnt 0x302
	v_dual_mul_f32 v59, v74, v63 :: v_dual_mul_f32 v60, v76, v65
	v_mul_f32_e32 v63, v75, v63
	s_wait_loadcnt_dscnt 0x201
	v_dual_mul_f32 v65, v77, v65 :: v_dual_mul_f32 v88, v78, v67
	s_delay_alu instid0(VALU_DEP_3) | instskip(NEXT) | instid1(VALU_DEP_3)
	v_dual_mul_f32 v89, v80, v69 :: v_dual_fmac_f32 v60, v77, v64
	v_fma_f32 v63, v74, v62, -v63
	v_fmac_f32_e32 v59, v75, v62
	v_mul_f32_e32 v62, v79, v67
	v_fma_f32 v64, v76, v64, -v65
	v_mul_f32_e32 v65, v81, v69
	v_dual_add_f32 v63, 0, v63 :: v_dual_fmac_f32 v88, v79, v66
	s_delay_alu instid0(VALU_DEP_4) | instskip(SKIP_2) | instid1(VALU_DEP_3)
	v_fma_f32 v62, v78, v66, -v62
	s_wait_loadcnt_dscnt 0x100
	v_dual_mul_f32 v90, v82, v71 :: v_dual_mul_f32 v91, v84, v73
	v_add_f32_e32 v63, v63, v64
	v_fmac_f32_e32 v89, v81, v68
	v_fma_f32 v64, v80, v68, -v65
	s_delay_alu instid0(VALU_DEP_4) | instskip(NEXT) | instid1(VALU_DEP_4)
	v_dual_fmac_f32 v90, v83, v70 :: v_dual_fmac_f32 v91, v85, v72
	v_add_f32_e32 v62, v63, v62
	s_delay_alu instid0(VALU_DEP_1) | instskip(SKIP_1) | instid1(VALU_DEP_1)
	v_dual_add_f32 v62, v62, v64 :: v_dual_add_f32 v59, 0, v59
	v_mul_f32_e32 v63, v85, v73
	v_fma_f32 v63, v84, v72, -v63
	s_delay_alu instid0(VALU_DEP_3) | instskip(SKIP_1) | instid1(VALU_DEP_1)
	v_add_f32_e32 v59, v59, v60
	v_mul_f32_e32 v60, v83, v71
	v_fma_f32 v60, v82, v70, -v60
	s_delay_alu instid0(VALU_DEP_1) | instskip(NEXT) | instid1(VALU_DEP_1)
	v_add_f32_e32 v60, v62, v60
	v_dual_add_f32 v60, v60, v63 :: v_dual_add_f32 v59, v59, v88
	s_delay_alu instid0(VALU_DEP_1) | instskip(NEXT) | instid1(VALU_DEP_1)
	v_add_f32_e32 v59, v59, v89
	v_add_f32_e32 v59, v59, v90
	s_wait_loadcnt 0x0
	s_delay_alu instid0(VALU_DEP_1) | instskip(NEXT) | instid1(VALU_DEP_1)
	v_dual_add_f32 v62, v59, v91 :: v_dual_sub_f32 v59, v86, v60
	v_sub_f32_e32 v60, v87, v62
	scratch_store_b64 off, v[59:60], off offset:176
	v_cmpx_lt_u32_e32 21, v0
	s_cbranch_execz .LBB28_145
; %bb.144:
	scratch_load_b64 v[59:60], off, off offset:168
	v_mov_b32_e32 v62, 0
	s_delay_alu instid0(VALU_DEP_1)
	v_mov_b32_e32 v63, v62
	scratch_store_b64 off, v[62:63], off offset:168
	s_wait_loadcnt 0x0
	ds_store_b64 v61, v[59:60]
.LBB28_145:
	s_wait_alu 0xfffe
	s_or_b32 exec_lo, exec_lo, s0
	s_wait_storecnt_dscnt 0x0
	s_barrier_signal -1
	s_barrier_wait -1
	global_inv scope:SCOPE_SE
	s_clause 0x4
	scratch_load_b128 v[62:65], off, off offset:176
	scratch_load_b128 v[66:69], off, off offset:192
	;; [unrolled: 1-line block ×3, first 2 shown]
	scratch_load_b64 v[86:87], off, off offset:224
	scratch_load_b64 v[88:89], off, off offset:168
	v_mov_b32_e32 v59, 0
	ds_load_b128 v[74:77], v59 offset:416
	ds_load_b128 v[78:81], v59 offset:432
	;; [unrolled: 1-line block ×3, first 2 shown]
	ds_load_b64 v[90:91], v59 offset:464
	s_mov_b32 s0, exec_lo
	s_wait_loadcnt_dscnt 0x403
	v_mul_f32_e32 v60, v74, v63
	s_wait_loadcnt_dscnt 0x302
	v_dual_mul_f32 v92, v76, v65 :: v_dual_mul_f32 v93, v78, v67
	v_dual_mul_f32 v94, v80, v69 :: v_dual_mul_f32 v63, v75, v63
	s_wait_loadcnt_dscnt 0x100
	v_dual_mul_f32 v97, v90, v87 :: v_dual_fmac_f32 v60, v75, v62
	v_mul_f32_e32 v65, v77, v65
	v_dual_mul_f32 v95, v82, v71 :: v_dual_mul_f32 v96, v84, v73
	v_fma_f32 v63, v74, v62, -v63
	v_fmac_f32_e32 v92, v77, v64
	v_add_f32_e32 v60, 0, v60
	v_mul_f32_e32 v62, v79, v67
	v_fma_f32 v64, v76, v64, -v65
	v_add_f32_e32 v63, 0, v63
	v_mul_f32_e32 v65, v81, v69
	v_dual_fmac_f32 v93, v79, v66 :: v_dual_add_f32 v60, v60, v92
	v_dual_fmac_f32 v94, v81, v68 :: v_dual_fmac_f32 v95, v83, v70
	s_delay_alu instid0(VALU_DEP_4) | instskip(SKIP_1) | instid1(VALU_DEP_4)
	v_add_f32_e32 v63, v63, v64
	v_dual_fmac_f32 v96, v85, v72 :: v_dual_fmac_f32 v97, v91, v86
	v_add_f32_e32 v60, v60, v93
	v_fma_f32 v62, v78, v66, -v62
	v_mul_f32_e32 v64, v83, v71
	v_fma_f32 v65, v80, v68, -v65
	s_delay_alu instid0(VALU_DEP_4) | instskip(NEXT) | instid1(VALU_DEP_1)
	v_add_f32_e32 v60, v60, v94
	v_add_f32_e32 v60, v60, v95
	s_delay_alu instid0(VALU_DEP_1) | instskip(NEXT) | instid1(VALU_DEP_1)
	v_add_f32_e32 v60, v60, v96
	v_add_f32_e32 v60, v60, v97
	v_dual_add_f32 v62, v63, v62 :: v_dual_mul_f32 v63, v85, v73
	v_fma_f32 v64, v82, v70, -v64
	s_delay_alu instid0(VALU_DEP_2) | instskip(NEXT) | instid1(VALU_DEP_3)
	v_dual_add_f32 v62, v62, v65 :: v_dual_mul_f32 v65, v91, v87
	v_fma_f32 v63, v84, v72, -v63
	s_delay_alu instid0(VALU_DEP_2) | instskip(NEXT) | instid1(VALU_DEP_3)
	v_add_f32_e32 v62, v62, v64
	v_fma_f32 v64, v90, v86, -v65
	s_wait_loadcnt 0x0
	s_delay_alu instid0(VALU_DEP_2) | instskip(NEXT) | instid1(VALU_DEP_1)
	v_dual_add_f32 v62, v62, v63 :: v_dual_sub_f32 v63, v89, v60
	v_add_f32_e32 v62, v62, v64
	s_delay_alu instid0(VALU_DEP_1)
	v_sub_f32_e32 v62, v88, v62
	scratch_store_b64 off, v[62:63], off offset:168
	v_cmpx_lt_u32_e32 20, v0
	s_cbranch_execz .LBB28_147
; %bb.146:
	scratch_load_b64 v[62:63], off, off offset:160
	v_mov_b32_e32 v60, v59
	scratch_store_b64 off, v[59:60], off offset:160
	s_wait_loadcnt 0x0
	ds_store_b64 v61, v[62:63]
.LBB28_147:
	s_wait_alu 0xfffe
	s_or_b32 exec_lo, exec_lo, s0
	s_wait_storecnt_dscnt 0x0
	s_barrier_signal -1
	s_barrier_wait -1
	global_inv scope:SCOPE_SE
	s_clause 0x4
	scratch_load_b128 v[62:65], off, off offset:168
	scratch_load_b128 v[66:69], off, off offset:184
	;; [unrolled: 1-line block ×4, first 2 shown]
	scratch_load_b64 v[94:95], off, off offset:160
	ds_load_2addr_b64 v[78:81], v59 offset0:51 offset1:52
	ds_load_2addr_b64 v[82:85], v59 offset0:53 offset1:54
	ds_load_2addr_b64 v[86:89], v59 offset0:55 offset1:56
	ds_load_2addr_b64 v[90:93], v59 offset0:57 offset1:58
	s_mov_b32 s0, exec_lo
	s_wait_loadcnt_dscnt 0x403
	v_dual_mul_f32 v59, v78, v63 :: v_dual_mul_f32 v60, v80, v65
	v_mul_f32_e32 v63, v79, v63
	s_wait_loadcnt_dscnt 0x302
	v_dual_mul_f32 v65, v81, v65 :: v_dual_mul_f32 v96, v82, v67
	s_delay_alu instid0(VALU_DEP_3) | instskip(NEXT) | instid1(VALU_DEP_3)
	v_dual_mul_f32 v97, v84, v69 :: v_dual_fmac_f32 v60, v81, v64
	v_fma_f32 v63, v78, v62, -v63
	v_fmac_f32_e32 v59, v79, v62
	v_mul_f32_e32 v62, v83, v67
	v_fma_f32 v64, v80, v64, -v65
	v_mul_f32_e32 v65, v85, v69
	v_dual_add_f32 v63, 0, v63 :: v_dual_fmac_f32 v96, v83, v66
	s_delay_alu instid0(VALU_DEP_4) | instskip(SKIP_2) | instid1(VALU_DEP_3)
	v_fma_f32 v62, v82, v66, -v62
	s_wait_loadcnt_dscnt 0x201
	v_dual_mul_f32 v98, v86, v71 :: v_dual_mul_f32 v99, v88, v73
	v_add_f32_e32 v63, v63, v64
	v_fmac_f32_e32 v97, v85, v68
	v_fma_f32 v64, v84, v68, -v65
	s_wait_loadcnt_dscnt 0x100
	v_dual_mul_f32 v100, v90, v75 :: v_dual_mul_f32 v101, v92, v77
	v_dual_add_f32 v62, v63, v62 :: v_dual_mul_f32 v63, v89, v73
	v_dual_fmac_f32 v98, v87, v70 :: v_dual_fmac_f32 v99, v89, v72
	s_delay_alu instid0(VALU_DEP_3) | instskip(NEXT) | instid1(VALU_DEP_3)
	v_fmac_f32_e32 v100, v91, v74
	v_dual_add_f32 v62, v62, v64 :: v_dual_add_f32 v59, 0, v59
	v_mul_f32_e32 v64, v91, v75
	v_fma_f32 v63, v88, v72, -v63
	v_fmac_f32_e32 v101, v93, v76
	s_delay_alu instid0(VALU_DEP_4) | instskip(SKIP_2) | instid1(VALU_DEP_2)
	v_add_f32_e32 v59, v59, v60
	v_mul_f32_e32 v60, v87, v71
	v_fma_f32 v64, v90, v74, -v64
	v_fma_f32 v60, v86, v70, -v60
	s_delay_alu instid0(VALU_DEP_1) | instskip(SKIP_1) | instid1(VALU_DEP_2)
	v_add_f32_e32 v60, v62, v60
	v_mul_f32_e32 v62, v93, v77
	v_add_f32_e32 v60, v60, v63
	s_delay_alu instid0(VALU_DEP_2) | instskip(NEXT) | instid1(VALU_DEP_2)
	v_fma_f32 v62, v92, v76, -v62
	v_add_f32_e32 v60, v60, v64
	s_delay_alu instid0(VALU_DEP_1) | instskip(NEXT) | instid1(VALU_DEP_1)
	v_dual_add_f32 v59, v59, v96 :: v_dual_add_f32 v60, v60, v62
	v_add_f32_e32 v59, v59, v97
	s_delay_alu instid0(VALU_DEP_1) | instskip(NEXT) | instid1(VALU_DEP_1)
	v_add_f32_e32 v59, v59, v98
	v_add_f32_e32 v59, v59, v99
	s_delay_alu instid0(VALU_DEP_1) | instskip(SKIP_1) | instid1(VALU_DEP_1)
	v_add_f32_e32 v59, v59, v100
	s_wait_loadcnt 0x0
	v_dual_add_f32 v62, v59, v101 :: v_dual_sub_f32 v59, v94, v60
	s_delay_alu instid0(VALU_DEP_1)
	v_sub_f32_e32 v60, v95, v62
	scratch_store_b64 off, v[59:60], off offset:160
	v_cmpx_lt_u32_e32 19, v0
	s_cbranch_execz .LBB28_149
; %bb.148:
	scratch_load_b64 v[59:60], off, off offset:152
	v_mov_b32_e32 v62, 0
	s_delay_alu instid0(VALU_DEP_1)
	v_mov_b32_e32 v63, v62
	scratch_store_b64 off, v[62:63], off offset:152
	s_wait_loadcnt 0x0
	ds_store_b64 v61, v[59:60]
.LBB28_149:
	s_wait_alu 0xfffe
	s_or_b32 exec_lo, exec_lo, s0
	s_wait_storecnt_dscnt 0x0
	s_barrier_signal -1
	s_barrier_wait -1
	global_inv scope:SCOPE_SE
	s_clause 0x5
	scratch_load_b128 v[62:65], off, off offset:160
	scratch_load_b128 v[66:69], off, off offset:176
	;; [unrolled: 1-line block ×4, first 2 shown]
	scratch_load_b64 v[94:95], off, off offset:224
	scratch_load_b64 v[96:97], off, off offset:152
	v_mov_b32_e32 v59, 0
	ds_load_b128 v[78:81], v59 offset:400
	ds_load_b128 v[82:85], v59 offset:416
	;; [unrolled: 1-line block ×4, first 2 shown]
	ds_load_b64 v[98:99], v59 offset:464
	s_mov_b32 s0, exec_lo
	s_wait_loadcnt_dscnt 0x504
	v_mul_f32_e32 v60, v78, v63
	s_wait_loadcnt_dscnt 0x403
	v_dual_mul_f32 v100, v80, v65 :: v_dual_mul_f32 v101, v82, v67
	s_wait_loadcnt_dscnt 0x302
	v_dual_mul_f32 v104, v88, v73 :: v_dual_mul_f32 v63, v79, v63
	s_wait_loadcnt_dscnt 0x100
	v_dual_mul_f32 v107, v98, v95 :: v_dual_fmac_f32 v60, v79, v62
	v_mul_f32_e32 v65, v81, v65
	v_dual_mul_f32 v102, v84, v69 :: v_dual_mul_f32 v103, v86, v71
	v_fma_f32 v63, v78, v62, -v63
	v_fmac_f32_e32 v100, v81, v64
	v_add_f32_e32 v60, 0, v60
	v_mul_f32_e32 v62, v83, v67
	v_fma_f32 v64, v80, v64, -v65
	v_add_f32_e32 v63, 0, v63
	v_mul_f32_e32 v65, v85, v69
	v_dual_fmac_f32 v101, v83, v66 :: v_dual_add_f32 v60, v60, v100
	v_dual_fmac_f32 v102, v85, v68 :: v_dual_fmac_f32 v103, v87, v70
	s_delay_alu instid0(VALU_DEP_4) | instskip(SKIP_1) | instid1(VALU_DEP_4)
	v_add_f32_e32 v63, v63, v64
	v_dual_mul_f32 v105, v90, v75 :: v_dual_mul_f32 v106, v92, v77
	v_add_f32_e32 v60, v60, v101
	v_dual_fmac_f32 v104, v89, v72 :: v_dual_fmac_f32 v107, v99, v94
	s_delay_alu instid0(VALU_DEP_3) | instskip(NEXT) | instid1(VALU_DEP_3)
	v_dual_fmac_f32 v105, v91, v74 :: v_dual_fmac_f32 v106, v93, v76
	v_add_f32_e32 v60, v60, v102
	v_fma_f32 v62, v82, v66, -v62
	v_mul_f32_e32 v64, v87, v71
	v_fma_f32 v65, v84, v68, -v65
	s_delay_alu instid0(VALU_DEP_4) | instskip(NEXT) | instid1(VALU_DEP_1)
	v_add_f32_e32 v60, v60, v103
	v_add_f32_e32 v60, v60, v104
	s_delay_alu instid0(VALU_DEP_1) | instskip(NEXT) | instid1(VALU_DEP_1)
	v_add_f32_e32 v60, v60, v105
	v_add_f32_e32 v60, v60, v106
	s_delay_alu instid0(VALU_DEP_1) | instskip(SKIP_2) | instid1(VALU_DEP_2)
	v_add_f32_e32 v60, v60, v107
	v_dual_add_f32 v62, v63, v62 :: v_dual_mul_f32 v63, v89, v73
	v_fma_f32 v64, v86, v70, -v64
	v_dual_add_f32 v62, v62, v65 :: v_dual_mul_f32 v65, v91, v75
	s_delay_alu instid0(VALU_DEP_3) | instskip(NEXT) | instid1(VALU_DEP_2)
	v_fma_f32 v63, v88, v72, -v63
	v_add_f32_e32 v62, v62, v64
	v_mul_f32_e32 v64, v93, v77
	s_delay_alu instid0(VALU_DEP_4) | instskip(NEXT) | instid1(VALU_DEP_3)
	v_fma_f32 v65, v90, v74, -v65
	v_add_f32_e32 v62, v62, v63
	v_mul_f32_e32 v63, v99, v95
	s_delay_alu instid0(VALU_DEP_4) | instskip(NEXT) | instid1(VALU_DEP_3)
	v_fma_f32 v64, v92, v76, -v64
	v_add_f32_e32 v62, v62, v65
	s_delay_alu instid0(VALU_DEP_3) | instskip(NEXT) | instid1(VALU_DEP_2)
	v_fma_f32 v63, v98, v94, -v63
	v_add_f32_e32 v62, v62, v64
	s_wait_loadcnt 0x0
	s_delay_alu instid0(VALU_DEP_1) | instskip(NEXT) | instid1(VALU_DEP_1)
	v_dual_add_f32 v62, v62, v63 :: v_dual_sub_f32 v63, v97, v60
	v_sub_f32_e32 v62, v96, v62
	scratch_store_b64 off, v[62:63], off offset:152
	v_cmpx_lt_u32_e32 18, v0
	s_cbranch_execz .LBB28_151
; %bb.150:
	scratch_load_b64 v[62:63], off, off offset:144
	v_mov_b32_e32 v60, v59
	scratch_store_b64 off, v[59:60], off offset:144
	s_wait_loadcnt 0x0
	ds_store_b64 v61, v[62:63]
.LBB28_151:
	s_wait_alu 0xfffe
	s_or_b32 exec_lo, exec_lo, s0
	s_wait_storecnt_dscnt 0x0
	s_barrier_signal -1
	s_barrier_wait -1
	global_inv scope:SCOPE_SE
	s_clause 0x5
	scratch_load_b128 v[62:65], off, off offset:152
	scratch_load_b128 v[66:69], off, off offset:168
	;; [unrolled: 1-line block ×5, first 2 shown]
	scratch_load_b64 v[102:103], off, off offset:144
	ds_load_2addr_b64 v[82:85], v59 offset0:49 offset1:50
	ds_load_2addr_b64 v[86:89], v59 offset0:51 offset1:52
	;; [unrolled: 1-line block ×5, first 2 shown]
	s_mov_b32 s0, exec_lo
	s_wait_loadcnt_dscnt 0x504
	v_dual_mul_f32 v59, v82, v63 :: v_dual_mul_f32 v60, v84, v65
	v_mul_f32_e32 v63, v83, v63
	s_wait_loadcnt_dscnt 0x403
	v_dual_mul_f32 v65, v85, v65 :: v_dual_mul_f32 v104, v86, v67
	s_delay_alu instid0(VALU_DEP_3) | instskip(NEXT) | instid1(VALU_DEP_3)
	v_dual_mul_f32 v105, v88, v69 :: v_dual_fmac_f32 v60, v85, v64
	v_fma_f32 v63, v82, v62, -v63
	v_fmac_f32_e32 v59, v83, v62
	v_mul_f32_e32 v62, v87, v67
	v_fma_f32 v64, v84, v64, -v65
	v_mul_f32_e32 v65, v89, v69
	v_dual_add_f32 v63, 0, v63 :: v_dual_fmac_f32 v104, v87, v66
	s_delay_alu instid0(VALU_DEP_4) | instskip(SKIP_2) | instid1(VALU_DEP_3)
	v_fma_f32 v62, v86, v66, -v62
	s_wait_loadcnt_dscnt 0x302
	v_dual_mul_f32 v106, v90, v71 :: v_dual_mul_f32 v107, v92, v73
	v_add_f32_e32 v63, v63, v64
	v_fmac_f32_e32 v105, v89, v68
	v_fma_f32 v64, v88, v68, -v65
	s_wait_loadcnt_dscnt 0x201
	v_dual_mul_f32 v108, v94, v75 :: v_dual_mul_f32 v109, v96, v77
	v_dual_add_f32 v62, v63, v62 :: v_dual_mul_f32 v63, v93, v73
	v_fmac_f32_e32 v106, v91, v70
	s_wait_loadcnt_dscnt 0x100
	v_dual_mul_f32 v110, v98, v79 :: v_dual_mul_f32 v111, v100, v81
	s_delay_alu instid0(VALU_DEP_3) | instskip(SKIP_3) | instid1(VALU_DEP_4)
	v_dual_add_f32 v62, v62, v64 :: v_dual_add_f32 v59, 0, v59
	v_mul_f32_e32 v64, v95, v75
	v_fma_f32 v63, v92, v72, -v63
	v_dual_fmac_f32 v107, v93, v72 :: v_dual_fmac_f32 v108, v95, v74
	v_add_f32_e32 v59, v59, v60
	v_mul_f32_e32 v60, v91, v71
	v_fma_f32 v64, v94, v74, -v64
	v_dual_fmac_f32 v109, v97, v76 :: v_dual_fmac_f32 v110, v99, v78
	s_delay_alu instid0(VALU_DEP_3) | instskip(NEXT) | instid1(VALU_DEP_1)
	v_fma_f32 v60, v90, v70, -v60
	v_add_f32_e32 v60, v62, v60
	v_mul_f32_e32 v62, v97, v77
	s_delay_alu instid0(VALU_DEP_2) | instskip(SKIP_1) | instid1(VALU_DEP_3)
	v_dual_add_f32 v60, v60, v63 :: v_dual_add_f32 v59, v59, v104
	v_mul_f32_e32 v63, v99, v79
	v_fma_f32 v62, v96, v76, -v62
	s_delay_alu instid0(VALU_DEP_3) | instskip(SKIP_3) | instid1(VALU_DEP_4)
	v_add_f32_e32 v60, v60, v64
	v_mul_f32_e32 v64, v101, v81
	v_add_f32_e32 v59, v59, v105
	v_fma_f32 v63, v98, v78, -v63
	v_dual_add_f32 v60, v60, v62 :: v_dual_fmac_f32 v111, v101, v80
	s_delay_alu instid0(VALU_DEP_3) | instskip(SKIP_1) | instid1(VALU_DEP_3)
	v_add_f32_e32 v59, v59, v106
	v_fma_f32 v62, v100, v80, -v64
	v_add_f32_e32 v60, v60, v63
	s_delay_alu instid0(VALU_DEP_1) | instskip(NEXT) | instid1(VALU_DEP_1)
	v_dual_add_f32 v59, v59, v107 :: v_dual_add_f32 v60, v60, v62
	v_add_f32_e32 v59, v59, v108
	s_delay_alu instid0(VALU_DEP_1) | instskip(NEXT) | instid1(VALU_DEP_1)
	v_add_f32_e32 v59, v59, v109
	v_add_f32_e32 v59, v59, v110
	s_wait_loadcnt 0x0
	s_delay_alu instid0(VALU_DEP_1) | instskip(NEXT) | instid1(VALU_DEP_1)
	v_dual_add_f32 v62, v59, v111 :: v_dual_sub_f32 v59, v102, v60
	v_sub_f32_e32 v60, v103, v62
	scratch_store_b64 off, v[59:60], off offset:144
	v_cmpx_lt_u32_e32 17, v0
	s_cbranch_execz .LBB28_153
; %bb.152:
	scratch_load_b64 v[59:60], off, off offset:136
	v_mov_b32_e32 v62, 0
	s_delay_alu instid0(VALU_DEP_1)
	v_mov_b32_e32 v63, v62
	scratch_store_b64 off, v[62:63], off offset:136
	s_wait_loadcnt 0x0
	ds_store_b64 v61, v[59:60]
.LBB28_153:
	s_wait_alu 0xfffe
	s_or_b32 exec_lo, exec_lo, s0
	s_wait_storecnt_dscnt 0x0
	s_barrier_signal -1
	s_barrier_wait -1
	global_inv scope:SCOPE_SE
	s_clause 0x6
	scratch_load_b128 v[62:65], off, off offset:144
	scratch_load_b128 v[66:69], off, off offset:160
	;; [unrolled: 1-line block ×5, first 2 shown]
	scratch_load_b64 v[102:103], off, off offset:224
	scratch_load_b64 v[104:105], off, off offset:136
	v_mov_b32_e32 v59, 0
	ds_load_b128 v[82:85], v59 offset:384
	ds_load_b128 v[86:89], v59 offset:400
	;; [unrolled: 1-line block ×5, first 2 shown]
	ds_load_b64 v[106:107], v59 offset:464
	s_mov_b32 s0, exec_lo
	s_wait_loadcnt_dscnt 0x605
	v_mul_f32_e32 v60, v82, v63
	v_dual_mul_f32 v63, v83, v63 :: v_dual_mul_f32 v108, v84, v65
	s_wait_loadcnt_dscnt 0x302
	v_dual_mul_f32 v109, v86, v67 :: v_dual_mul_f32 v114, v96, v77
	s_wait_loadcnt_dscnt 0x100
	v_dual_mul_f32 v117, v106, v103 :: v_dual_fmac_f32 v60, v83, v62
	v_mul_f32_e32 v65, v85, v65
	v_fma_f32 v63, v82, v62, -v63
	v_mul_f32_e32 v62, v87, v67
	v_fmac_f32_e32 v108, v85, v64
	v_add_f32_e32 v60, 0, v60
	v_fma_f32 v64, v84, v64, -v65
	v_add_f32_e32 v63, 0, v63
	v_mul_f32_e32 v65, v89, v69
	s_delay_alu instid0(VALU_DEP_4) | instskip(SKIP_1) | instid1(VALU_DEP_4)
	v_dual_fmac_f32 v109, v87, v66 :: v_dual_add_f32 v60, v60, v108
	v_fma_f32 v62, v86, v66, -v62
	v_dual_add_f32 v63, v63, v64 :: v_dual_mul_f32 v110, v88, v69
	v_mul_f32_e32 v111, v90, v71
	v_mul_f32_e32 v64, v91, v71
	v_fma_f32 v65, v88, v68, -v65
	v_add_f32_e32 v60, v60, v109
	v_add_f32_e32 v62, v63, v62
	v_dual_fmac_f32 v110, v89, v68 :: v_dual_fmac_f32 v111, v91, v70
	v_mul_f32_e32 v63, v93, v73
	v_fma_f32 v64, v90, v70, -v64
	s_delay_alu instid0(VALU_DEP_4) | instskip(SKIP_4) | instid1(VALU_DEP_3)
	v_dual_add_f32 v62, v62, v65 :: v_dual_mul_f32 v65, v95, v75
	v_dual_mul_f32 v112, v92, v73 :: v_dual_mul_f32 v113, v94, v75
	v_dual_mul_f32 v115, v98, v79 :: v_dual_mul_f32 v116, v100, v81
	v_add_f32_e32 v60, v60, v110
	v_fma_f32 v63, v92, v72, -v63
	v_dual_add_f32 v62, v62, v64 :: v_dual_fmac_f32 v115, v99, v78
	v_dual_fmac_f32 v112, v93, v72 :: v_dual_fmac_f32 v113, v95, v74
	v_mul_f32_e32 v64, v97, v77
	s_delay_alu instid0(VALU_DEP_3)
	v_add_f32_e32 v62, v62, v63
	v_mul_f32_e32 v63, v99, v79
	v_dual_add_f32 v60, v60, v111 :: v_dual_fmac_f32 v117, v107, v102
	v_fma_f32 v65, v94, v74, -v65
	v_fmac_f32_e32 v114, v97, v76
	v_fma_f32 v64, v96, v76, -v64
	s_delay_alu instid0(VALU_DEP_4)
	v_add_f32_e32 v60, v60, v112
	v_fma_f32 v63, v98, v78, -v63
	v_add_f32_e32 v62, v62, v65
	v_mul_f32_e32 v65, v101, v81
	v_fmac_f32_e32 v116, v101, v80
	v_add_f32_e32 v60, v60, v113
	s_delay_alu instid0(VALU_DEP_4) | instskip(SKIP_2) | instid1(VALU_DEP_4)
	v_add_f32_e32 v62, v62, v64
	v_mul_f32_e32 v64, v107, v103
	v_fma_f32 v65, v100, v80, -v65
	v_add_f32_e32 v60, v60, v114
	s_delay_alu instid0(VALU_DEP_4) | instskip(NEXT) | instid1(VALU_DEP_4)
	v_add_f32_e32 v62, v62, v63
	v_fma_f32 v63, v106, v102, -v64
	s_delay_alu instid0(VALU_DEP_3) | instskip(NEXT) | instid1(VALU_DEP_3)
	v_add_f32_e32 v60, v60, v115
	v_add_f32_e32 v62, v62, v65
	s_delay_alu instid0(VALU_DEP_2) | instskip(NEXT) | instid1(VALU_DEP_2)
	v_add_f32_e32 v60, v60, v116
	v_add_f32_e32 v62, v62, v63
	s_delay_alu instid0(VALU_DEP_2) | instskip(SKIP_1) | instid1(VALU_DEP_1)
	v_add_f32_e32 v60, v60, v117
	s_wait_loadcnt 0x0
	v_dual_sub_f32 v62, v104, v62 :: v_dual_sub_f32 v63, v105, v60
	scratch_store_b64 off, v[62:63], off offset:136
	v_cmpx_lt_u32_e32 16, v0
	s_cbranch_execz .LBB28_155
; %bb.154:
	scratch_load_b64 v[62:63], off, off offset:128
	v_mov_b32_e32 v60, v59
	scratch_store_b64 off, v[59:60], off offset:128
	s_wait_loadcnt 0x0
	ds_store_b64 v61, v[62:63]
.LBB28_155:
	s_wait_alu 0xfffe
	s_or_b32 exec_lo, exec_lo, s0
	s_wait_storecnt_dscnt 0x0
	s_barrier_signal -1
	s_barrier_wait -1
	global_inv scope:SCOPE_SE
	s_clause 0x6
	scratch_load_b128 v[62:65], off, off offset:136
	scratch_load_b128 v[66:69], off, off offset:152
	;; [unrolled: 1-line block ×6, first 2 shown]
	scratch_load_b64 v[110:111], off, off offset:128
	ds_load_2addr_b64 v[86:89], v59 offset0:47 offset1:48
	ds_load_2addr_b64 v[90:93], v59 offset0:49 offset1:50
	;; [unrolled: 1-line block ×6, first 2 shown]
	s_mov_b32 s0, exec_lo
	s_wait_loadcnt_dscnt 0x605
	v_dual_mul_f32 v59, v86, v63 :: v_dual_mul_f32 v60, v88, v65
	v_mul_f32_e32 v63, v87, v63
	s_wait_loadcnt_dscnt 0x504
	v_dual_mul_f32 v65, v89, v65 :: v_dual_mul_f32 v112, v90, v67
	s_delay_alu instid0(VALU_DEP_3) | instskip(NEXT) | instid1(VALU_DEP_3)
	v_dual_mul_f32 v113, v92, v69 :: v_dual_fmac_f32 v60, v89, v64
	v_fma_f32 v63, v86, v62, -v63
	v_fmac_f32_e32 v59, v87, v62
	v_mul_f32_e32 v62, v91, v67
	v_fma_f32 v64, v88, v64, -v65
	v_mul_f32_e32 v65, v93, v69
	v_dual_add_f32 v63, 0, v63 :: v_dual_fmac_f32 v112, v91, v66
	s_delay_alu instid0(VALU_DEP_4) | instskip(SKIP_2) | instid1(VALU_DEP_3)
	v_fma_f32 v62, v90, v66, -v62
	s_wait_loadcnt_dscnt 0x403
	v_dual_mul_f32 v114, v94, v71 :: v_dual_mul_f32 v115, v96, v73
	v_add_f32_e32 v63, v63, v64
	v_fmac_f32_e32 v113, v93, v68
	v_fma_f32 v64, v92, v68, -v65
	s_wait_loadcnt_dscnt 0x302
	v_dual_mul_f32 v116, v98, v75 :: v_dual_mul_f32 v117, v100, v77
	v_dual_add_f32 v62, v63, v62 :: v_dual_mul_f32 v63, v97, v73
	v_fmac_f32_e32 v114, v95, v70
	s_wait_loadcnt_dscnt 0x201
	v_dual_mul_f32 v118, v102, v79 :: v_dual_mul_f32 v119, v104, v81
	s_delay_alu instid0(VALU_DEP_3) | instskip(SKIP_3) | instid1(VALU_DEP_4)
	v_dual_add_f32 v62, v62, v64 :: v_dual_add_f32 v59, 0, v59
	v_mul_f32_e32 v64, v99, v75
	v_fma_f32 v63, v96, v72, -v63
	v_dual_fmac_f32 v115, v97, v72 :: v_dual_fmac_f32 v116, v99, v74
	v_add_f32_e32 v59, v59, v60
	v_mul_f32_e32 v60, v95, v71
	v_fma_f32 v64, v98, v74, -v64
	v_dual_fmac_f32 v117, v101, v76 :: v_dual_fmac_f32 v118, v103, v78
	s_wait_loadcnt_dscnt 0x100
	v_dual_mul_f32 v120, v106, v83 :: v_dual_mul_f32 v121, v108, v85
	v_fma_f32 v60, v94, v70, -v60
	s_delay_alu instid0(VALU_DEP_2) | instskip(NEXT) | instid1(VALU_DEP_3)
	v_dual_fmac_f32 v119, v105, v80 :: v_dual_fmac_f32 v120, v107, v82
	v_fmac_f32_e32 v121, v109, v84
	s_delay_alu instid0(VALU_DEP_3) | instskip(SKIP_1) | instid1(VALU_DEP_2)
	v_add_f32_e32 v60, v62, v60
	v_mul_f32_e32 v62, v101, v77
	v_dual_add_f32 v60, v60, v63 :: v_dual_add_f32 v59, v59, v112
	v_mul_f32_e32 v63, v103, v79
	s_delay_alu instid0(VALU_DEP_3) | instskip(NEXT) | instid1(VALU_DEP_3)
	v_fma_f32 v62, v100, v76, -v62
	v_add_f32_e32 v60, v60, v64
	v_mul_f32_e32 v64, v105, v81
	v_add_f32_e32 v59, v59, v113
	v_fma_f32 v63, v102, v78, -v63
	s_delay_alu instid0(VALU_DEP_4) | instskip(SKIP_1) | instid1(VALU_DEP_4)
	v_add_f32_e32 v60, v60, v62
	v_mul_f32_e32 v62, v107, v83
	v_add_f32_e32 v59, v59, v114
	v_fma_f32 v64, v104, v80, -v64
	s_delay_alu instid0(VALU_DEP_4) | instskip(NEXT) | instid1(VALU_DEP_3)
	v_dual_add_f32 v60, v60, v63 :: v_dual_mul_f32 v63, v109, v85
	v_add_f32_e32 v59, v59, v115
	v_fma_f32 v62, v106, v82, -v62
	s_delay_alu instid0(VALU_DEP_3) | instskip(NEXT) | instid1(VALU_DEP_4)
	v_add_f32_e32 v60, v60, v64
	v_fma_f32 v63, v108, v84, -v63
	s_delay_alu instid0(VALU_DEP_2) | instskip(NEXT) | instid1(VALU_DEP_1)
	v_dual_add_f32 v59, v59, v116 :: v_dual_add_f32 v60, v60, v62
	v_dual_add_f32 v59, v59, v117 :: v_dual_add_f32 v60, v60, v63
	s_delay_alu instid0(VALU_DEP_1) | instskip(NEXT) | instid1(VALU_DEP_1)
	v_add_f32_e32 v59, v59, v118
	v_add_f32_e32 v59, v59, v119
	s_delay_alu instid0(VALU_DEP_1) | instskip(SKIP_1) | instid1(VALU_DEP_1)
	v_add_f32_e32 v59, v59, v120
	s_wait_loadcnt 0x0
	v_dual_add_f32 v62, v59, v121 :: v_dual_sub_f32 v59, v110, v60
	s_delay_alu instid0(VALU_DEP_1)
	v_sub_f32_e32 v60, v111, v62
	scratch_store_b64 off, v[59:60], off offset:128
	v_cmpx_lt_u32_e32 15, v0
	s_cbranch_execz .LBB28_157
; %bb.156:
	scratch_load_b64 v[59:60], off, off offset:120
	v_mov_b32_e32 v62, 0
	s_delay_alu instid0(VALU_DEP_1)
	v_mov_b32_e32 v63, v62
	scratch_store_b64 off, v[62:63], off offset:120
	s_wait_loadcnt 0x0
	ds_store_b64 v61, v[59:60]
.LBB28_157:
	s_wait_alu 0xfffe
	s_or_b32 exec_lo, exec_lo, s0
	s_wait_storecnt_dscnt 0x0
	s_barrier_signal -1
	s_barrier_wait -1
	global_inv scope:SCOPE_SE
	s_clause 0x7
	scratch_load_b128 v[62:65], off, off offset:128
	scratch_load_b128 v[66:69], off, off offset:144
	scratch_load_b128 v[70:73], off, off offset:160
	scratch_load_b128 v[74:77], off, off offset:176
	scratch_load_b128 v[78:81], off, off offset:192
	scratch_load_b128 v[82:85], off, off offset:208
	scratch_load_b64 v[110:111], off, off offset:224
	scratch_load_b64 v[112:113], off, off offset:120
	v_mov_b32_e32 v59, 0
	ds_load_b128 v[86:89], v59 offset:368
	ds_load_b128 v[90:93], v59 offset:384
	;; [unrolled: 1-line block ×6, first 2 shown]
	ds_load_b64 v[114:115], v59 offset:464
	s_mov_b32 s0, exec_lo
	s_wait_loadcnt_dscnt 0x706
	v_mul_f32_e32 v60, v86, v63
	v_dual_mul_f32 v63, v87, v63 :: v_dual_mul_f32 v116, v88, v65
	s_wait_loadcnt_dscnt 0x302
	v_dual_mul_f32 v117, v90, v67 :: v_dual_mul_f32 v124, v104, v81
	v_mul_f32_e32 v65, v89, v65
	s_wait_loadcnt_dscnt 0x100
	v_dual_mul_f32 v127, v114, v111 :: v_dual_fmac_f32 v60, v87, v62
	v_fma_f32 v63, v86, v62, -v63
	v_mul_f32_e32 v62, v91, v67
	v_fmac_f32_e32 v116, v89, v64
	v_fma_f32 v64, v88, v64, -v65
	v_dual_add_f32 v60, 0, v60 :: v_dual_mul_f32 v65, v93, v69
	v_add_f32_e32 v63, 0, v63
	v_fmac_f32_e32 v117, v91, v66
	v_fma_f32 v62, v90, v66, -v62
	s_delay_alu instid0(VALU_DEP_4)
	v_add_f32_e32 v60, v60, v116
	v_fma_f32 v65, v92, v68, -v65
	v_add_f32_e32 v63, v63, v64
	v_mul_f32_e32 v64, v95, v71
	v_dual_mul_f32 v118, v92, v69 :: v_dual_mul_f32 v119, v94, v71
	v_add_f32_e32 v60, v60, v117
	s_delay_alu instid0(VALU_DEP_4) | instskip(NEXT) | instid1(VALU_DEP_4)
	v_dual_add_f32 v62, v63, v62 :: v_dual_mul_f32 v63, v97, v73
	v_fma_f32 v64, v94, v70, -v64
	v_dual_mul_f32 v122, v100, v77 :: v_dual_mul_f32 v123, v102, v79
	s_delay_alu instid0(VALU_DEP_3) | instskip(NEXT) | instid1(VALU_DEP_4)
	v_dual_add_f32 v62, v62, v65 :: v_dual_mul_f32 v65, v99, v75
	v_fma_f32 v63, v96, v72, -v63
	v_dual_mul_f32 v125, v106, v83 :: v_dual_mul_f32 v126, v108, v85
	s_delay_alu instid0(VALU_DEP_3) | instskip(SKIP_1) | instid1(VALU_DEP_3)
	v_dual_add_f32 v62, v62, v64 :: v_dual_fmac_f32 v123, v103, v78
	v_dual_fmac_f32 v118, v93, v68 :: v_dual_fmac_f32 v119, v95, v70
	v_dual_mul_f32 v64, v101, v77 :: v_dual_fmac_f32 v125, v107, v82
	v_fma_f32 v65, v98, v74, -v65
	s_delay_alu instid0(VALU_DEP_4) | instskip(SKIP_3) | instid1(VALU_DEP_4)
	v_dual_add_f32 v62, v62, v63 :: v_dual_fmac_f32 v127, v115, v110
	v_dual_mul_f32 v120, v96, v73 :: v_dual_mul_f32 v121, v98, v75
	v_dual_add_f32 v60, v60, v118 :: v_dual_mul_f32 v63, v103, v79
	v_fma_f32 v64, v100, v76, -v64
	v_add_f32_e32 v62, v62, v65
	s_delay_alu instid0(VALU_DEP_4) | instskip(NEXT) | instid1(VALU_DEP_4)
	v_dual_fmac_f32 v120, v97, v72 :: v_dual_fmac_f32 v121, v99, v74
	v_dual_add_f32 v60, v60, v119 :: v_dual_mul_f32 v65, v105, v81
	v_fma_f32 v63, v102, v78, -v63
	s_delay_alu instid0(VALU_DEP_4)
	v_add_f32_e32 v62, v62, v64
	v_fmac_f32_e32 v122, v101, v76
	v_mul_f32_e32 v64, v107, v83
	v_fma_f32 v65, v104, v80, -v65
	v_fmac_f32_e32 v124, v105, v80
	v_dual_add_f32 v62, v62, v63 :: v_dual_mul_f32 v63, v109, v85
	v_add_f32_e32 v60, v60, v120
	v_fma_f32 v64, v106, v82, -v64
	v_fmac_f32_e32 v126, v109, v84
	s_delay_alu instid0(VALU_DEP_4) | instskip(NEXT) | instid1(VALU_DEP_4)
	v_dual_add_f32 v62, v62, v65 :: v_dual_mul_f32 v65, v115, v111
	v_add_f32_e32 v60, v60, v121
	v_fma_f32 v63, v108, v84, -v63
	s_delay_alu instid0(VALU_DEP_3) | instskip(NEXT) | instid1(VALU_DEP_4)
	v_add_f32_e32 v62, v62, v64
	v_fma_f32 v64, v114, v110, -v65
	s_delay_alu instid0(VALU_DEP_4) | instskip(NEXT) | instid1(VALU_DEP_3)
	v_add_f32_e32 v60, v60, v122
	v_add_f32_e32 v62, v62, v63
	s_delay_alu instid0(VALU_DEP_2) | instskip(NEXT) | instid1(VALU_DEP_2)
	v_add_f32_e32 v60, v60, v123
	v_add_f32_e32 v62, v62, v64
	s_delay_alu instid0(VALU_DEP_2) | instskip(SKIP_1) | instid1(VALU_DEP_2)
	v_add_f32_e32 v60, v60, v124
	s_wait_loadcnt 0x0
	v_sub_f32_e32 v62, v112, v62
	s_delay_alu instid0(VALU_DEP_2) | instskip(NEXT) | instid1(VALU_DEP_1)
	v_add_f32_e32 v60, v60, v125
	v_add_f32_e32 v60, v60, v126
	s_delay_alu instid0(VALU_DEP_1) | instskip(NEXT) | instid1(VALU_DEP_1)
	v_add_f32_e32 v60, v60, v127
	v_sub_f32_e32 v63, v113, v60
	scratch_store_b64 off, v[62:63], off offset:120
	v_cmpx_lt_u32_e32 14, v0
	s_cbranch_execz .LBB28_159
; %bb.158:
	scratch_load_b64 v[62:63], off, off offset:112
	v_mov_b32_e32 v60, v59
	scratch_store_b64 off, v[59:60], off offset:112
	s_wait_loadcnt 0x0
	ds_store_b64 v61, v[62:63]
.LBB28_159:
	s_wait_alu 0xfffe
	s_or_b32 exec_lo, exec_lo, s0
	s_wait_storecnt_dscnt 0x0
	s_barrier_signal -1
	s_barrier_wait -1
	global_inv scope:SCOPE_SE
	s_clause 0x7
	scratch_load_b128 v[62:65], off, off offset:120
	scratch_load_b128 v[66:69], off, off offset:136
	;; [unrolled: 1-line block ×7, first 2 shown]
	scratch_load_b64 v[118:119], off, off offset:112
	ds_load_2addr_b64 v[90:93], v59 offset0:45 offset1:46
	ds_load_2addr_b64 v[94:97], v59 offset0:47 offset1:48
	;; [unrolled: 1-line block ×7, first 2 shown]
	s_mov_b32 s0, exec_lo
	s_wait_loadcnt_dscnt 0x706
	v_dual_mul_f32 v59, v90, v63 :: v_dual_mul_f32 v60, v92, v65
	v_mul_f32_e32 v63, v91, v63
	s_wait_loadcnt_dscnt 0x605
	v_dual_mul_f32 v65, v93, v65 :: v_dual_mul_f32 v120, v94, v67
	s_delay_alu instid0(VALU_DEP_3) | instskip(NEXT) | instid1(VALU_DEP_3)
	v_dual_mul_f32 v121, v96, v69 :: v_dual_fmac_f32 v60, v93, v64
	v_fma_f32 v63, v90, v62, -v63
	v_fmac_f32_e32 v59, v91, v62
	v_mul_f32_e32 v62, v95, v67
	v_fma_f32 v64, v92, v64, -v65
	v_mul_f32_e32 v65, v97, v69
	v_dual_add_f32 v63, 0, v63 :: v_dual_fmac_f32 v120, v95, v66
	s_delay_alu instid0(VALU_DEP_4) | instskip(SKIP_2) | instid1(VALU_DEP_3)
	v_fma_f32 v62, v94, v66, -v62
	s_wait_loadcnt_dscnt 0x504
	v_dual_mul_f32 v122, v98, v71 :: v_dual_mul_f32 v123, v100, v73
	v_add_f32_e32 v63, v63, v64
	v_fmac_f32_e32 v121, v97, v68
	v_fma_f32 v64, v96, v68, -v65
	s_wait_loadcnt_dscnt 0x403
	v_dual_mul_f32 v124, v102, v75 :: v_dual_mul_f32 v125, v104, v77
	v_dual_add_f32 v62, v63, v62 :: v_dual_mul_f32 v63, v101, v73
	v_fmac_f32_e32 v122, v99, v70
	s_wait_loadcnt_dscnt 0x302
	v_dual_mul_f32 v126, v106, v79 :: v_dual_mul_f32 v127, v108, v81
	s_delay_alu instid0(VALU_DEP_3) | instskip(SKIP_3) | instid1(VALU_DEP_4)
	v_dual_add_f32 v62, v62, v64 :: v_dual_add_f32 v59, 0, v59
	v_mul_f32_e32 v64, v103, v75
	v_fma_f32 v63, v100, v72, -v63
	v_dual_fmac_f32 v123, v101, v72 :: v_dual_fmac_f32 v124, v103, v74
	v_add_f32_e32 v59, v59, v60
	v_mul_f32_e32 v60, v99, v71
	v_fma_f32 v64, v102, v74, -v64
	v_dual_fmac_f32 v125, v105, v76 :: v_dual_fmac_f32 v126, v107, v78
	s_wait_loadcnt_dscnt 0x201
	v_dual_mul_f32 v128, v110, v83 :: v_dual_mul_f32 v129, v112, v85
	v_fma_f32 v60, v98, v70, -v60
	s_wait_loadcnt_dscnt 0x100
	v_dual_mul_f32 v130, v114, v87 :: v_dual_mul_f32 v131, v116, v89
	s_delay_alu instid0(VALU_DEP_3) | instskip(NEXT) | instid1(VALU_DEP_3)
	v_dual_fmac_f32 v127, v109, v80 :: v_dual_fmac_f32 v128, v111, v82
	v_add_f32_e32 v60, v62, v60
	v_mul_f32_e32 v62, v105, v77
	s_delay_alu instid0(VALU_DEP_4) | instskip(NEXT) | instid1(VALU_DEP_3)
	v_dual_fmac_f32 v130, v115, v86 :: v_dual_fmac_f32 v131, v117, v88
	v_dual_fmac_f32 v129, v113, v84 :: v_dual_add_f32 v60, v60, v63
	v_add_f32_e32 v59, v59, v120
	v_mul_f32_e32 v63, v107, v79
	v_fma_f32 v62, v104, v76, -v62
	s_delay_alu instid0(VALU_DEP_4) | instskip(SKIP_3) | instid1(VALU_DEP_4)
	v_add_f32_e32 v60, v60, v64
	v_mul_f32_e32 v64, v109, v81
	v_add_f32_e32 v59, v59, v121
	v_fma_f32 v63, v106, v78, -v63
	v_add_f32_e32 v60, v60, v62
	v_mul_f32_e32 v62, v111, v83
	s_delay_alu instid0(VALU_DEP_4) | instskip(SKIP_1) | instid1(VALU_DEP_4)
	v_add_f32_e32 v59, v59, v122
	v_fma_f32 v64, v108, v80, -v64
	v_dual_add_f32 v60, v60, v63 :: v_dual_mul_f32 v63, v113, v85
	s_delay_alu instid0(VALU_DEP_3) | instskip(SKIP_1) | instid1(VALU_DEP_3)
	v_add_f32_e32 v59, v59, v123
	v_fma_f32 v62, v110, v82, -v62
	v_add_f32_e32 v60, v60, v64
	s_delay_alu instid0(VALU_DEP_4) | instskip(NEXT) | instid1(VALU_DEP_4)
	v_fma_f32 v63, v112, v84, -v63
	v_add_f32_e32 v59, v59, v124
	v_mul_f32_e32 v64, v115, v87
	s_delay_alu instid0(VALU_DEP_4) | instskip(SKIP_1) | instid1(VALU_DEP_4)
	v_add_f32_e32 v60, v60, v62
	v_mul_f32_e32 v62, v117, v89
	v_add_f32_e32 v59, v59, v125
	s_delay_alu instid0(VALU_DEP_4) | instskip(NEXT) | instid1(VALU_DEP_4)
	v_fma_f32 v64, v114, v86, -v64
	v_add_f32_e32 v60, v60, v63
	s_delay_alu instid0(VALU_DEP_4) | instskip(NEXT) | instid1(VALU_DEP_2)
	v_fma_f32 v62, v116, v88, -v62
	v_dual_add_f32 v59, v59, v126 :: v_dual_add_f32 v60, v60, v64
	s_delay_alu instid0(VALU_DEP_1) | instskip(NEXT) | instid1(VALU_DEP_1)
	v_dual_add_f32 v59, v59, v127 :: v_dual_add_f32 v60, v60, v62
	v_add_f32_e32 v59, v59, v128
	s_delay_alu instid0(VALU_DEP_1) | instskip(NEXT) | instid1(VALU_DEP_1)
	v_add_f32_e32 v59, v59, v129
	v_add_f32_e32 v59, v59, v130
	s_wait_loadcnt 0x0
	s_delay_alu instid0(VALU_DEP_1) | instskip(NEXT) | instid1(VALU_DEP_1)
	v_dual_add_f32 v62, v59, v131 :: v_dual_sub_f32 v59, v118, v60
	v_sub_f32_e32 v60, v119, v62
	scratch_store_b64 off, v[59:60], off offset:112
	v_cmpx_lt_u32_e32 13, v0
	s_cbranch_execz .LBB28_161
; %bb.160:
	scratch_load_b64 v[59:60], off, off offset:104
	v_mov_b32_e32 v62, 0
	s_delay_alu instid0(VALU_DEP_1)
	v_mov_b32_e32 v63, v62
	scratch_store_b64 off, v[62:63], off offset:104
	s_wait_loadcnt 0x0
	ds_store_b64 v61, v[59:60]
.LBB28_161:
	s_wait_alu 0xfffe
	s_or_b32 exec_lo, exec_lo, s0
	s_wait_storecnt_dscnt 0x0
	s_barrier_signal -1
	s_barrier_wait -1
	global_inv scope:SCOPE_SE
	s_clause 0x8
	scratch_load_b128 v[62:65], off, off offset:112
	scratch_load_b128 v[66:69], off, off offset:128
	;; [unrolled: 1-line block ×7, first 2 shown]
	scratch_load_b64 v[118:119], off, off offset:224
	scratch_load_b64 v[120:121], off, off offset:104
	v_mov_b32_e32 v59, 0
	ds_load_b128 v[90:93], v59 offset:352
	ds_load_b128 v[94:97], v59 offset:368
	;; [unrolled: 1-line block ×7, first 2 shown]
	ds_load_b64 v[122:123], v59 offset:464
	s_mov_b32 s0, exec_lo
	s_wait_loadcnt_dscnt 0x807
	v_mul_f32_e32 v60, v90, v63
	v_dual_mul_f32 v63, v91, v63 :: v_dual_mul_f32 v124, v92, v65
	s_wait_loadcnt_dscnt 0x706
	v_mul_f32_e32 v125, v94, v67
	v_mul_f32_e32 v65, v93, v65
	s_wait_loadcnt_dscnt 0x302
	v_mul_f32_e32 v134, v112, v85
	v_fma_f32 v63, v90, v62, -v63
	s_wait_loadcnt_dscnt 0x100
	v_dual_mul_f32 v137, v122, v119 :: v_dual_fmac_f32 v60, v91, v62
	v_mul_f32_e32 v62, v95, v67
	s_delay_alu instid0(VALU_DEP_3) | instskip(SKIP_1) | instid1(VALU_DEP_4)
	v_dual_fmac_f32 v124, v93, v64 :: v_dual_add_f32 v63, 0, v63
	v_fma_f32 v64, v92, v64, -v65
	v_dual_add_f32 v60, 0, v60 :: v_dual_mul_f32 v65, v97, v69
	v_fmac_f32_e32 v125, v95, v66
	v_fma_f32 v62, v94, v66, -v62
	v_dual_mul_f32 v126, v96, v69 :: v_dual_mul_f32 v127, v98, v71
	s_delay_alu instid0(VALU_DEP_4)
	v_add_f32_e32 v60, v60, v124
	v_add_f32_e32 v63, v63, v64
	v_mul_f32_e32 v64, v99, v71
	v_fma_f32 v65, v96, v68, -v65
	v_dual_mul_f32 v130, v104, v77 :: v_dual_mul_f32 v131, v106, v79
	v_add_f32_e32 v60, v60, v125
	v_dual_add_f32 v62, v63, v62 :: v_dual_mul_f32 v63, v101, v73
	v_fma_f32 v64, v98, v70, -v64
	v_dual_mul_f32 v132, v108, v81 :: v_dual_mul_f32 v133, v110, v83
	s_delay_alu instid0(VALU_DEP_3) | instskip(NEXT) | instid1(VALU_DEP_4)
	v_dual_add_f32 v62, v62, v65 :: v_dual_mul_f32 v65, v103, v75
	v_fma_f32 v63, v100, v72, -v63
	v_dual_mul_f32 v135, v114, v87 :: v_dual_mul_f32 v136, v116, v89
	s_delay_alu instid0(VALU_DEP_3) | instskip(SKIP_3) | instid1(VALU_DEP_4)
	v_dual_add_f32 v62, v62, v64 :: v_dual_fmac_f32 v131, v107, v78
	v_dual_fmac_f32 v126, v97, v68 :: v_dual_fmac_f32 v127, v99, v70
	v_dual_mul_f32 v64, v105, v77 :: v_dual_fmac_f32 v133, v111, v82
	v_fma_f32 v65, v102, v74, -v65
	v_dual_add_f32 v62, v62, v63 :: v_dual_fmac_f32 v135, v115, v86
	s_delay_alu instid0(VALU_DEP_4) | instskip(NEXT) | instid1(VALU_DEP_4)
	v_dual_add_f32 v60, v60, v126 :: v_dual_mul_f32 v63, v107, v79
	v_fma_f32 v64, v104, v76, -v64
	s_delay_alu instid0(VALU_DEP_3) | instskip(SKIP_3) | instid1(VALU_DEP_4)
	v_dual_add_f32 v62, v62, v65 :: v_dual_fmac_f32 v137, v123, v118
	v_dual_mul_f32 v128, v100, v73 :: v_dual_mul_f32 v129, v102, v75
	v_mul_f32_e32 v65, v109, v81
	v_fma_f32 v63, v106, v78, -v63
	v_add_f32_e32 v62, v62, v64
	s_delay_alu instid0(VALU_DEP_4) | instskip(SKIP_4) | instid1(VALU_DEP_4)
	v_dual_fmac_f32 v128, v101, v72 :: v_dual_fmac_f32 v129, v103, v74
	v_add_f32_e32 v60, v60, v127
	v_mul_f32_e32 v64, v111, v83
	v_fma_f32 v65, v108, v80, -v65
	v_dual_add_f32 v62, v62, v63 :: v_dual_mul_f32 v63, v113, v85
	v_add_f32_e32 v60, v60, v128
	s_delay_alu instid0(VALU_DEP_4) | instskip(SKIP_1) | instid1(VALU_DEP_4)
	v_fma_f32 v64, v110, v82, -v64
	v_fmac_f32_e32 v130, v105, v76
	v_dual_add_f32 v62, v62, v65 :: v_dual_mul_f32 v65, v115, v87
	s_delay_alu instid0(VALU_DEP_4) | instskip(SKIP_2) | instid1(VALU_DEP_4)
	v_add_f32_e32 v60, v60, v129
	v_fma_f32 v63, v112, v84, -v63
	v_fmac_f32_e32 v132, v109, v80
	v_add_f32_e32 v62, v62, v64
	v_fmac_f32_e32 v134, v113, v84
	v_mul_f32_e32 v64, v117, v89
	v_fma_f32 v65, v114, v86, -v65
	v_fmac_f32_e32 v136, v117, v88
	v_add_f32_e32 v62, v62, v63
	v_dual_mul_f32 v63, v123, v119 :: v_dual_add_f32 v60, v60, v130
	v_fma_f32 v64, v116, v88, -v64
	s_delay_alu instid0(VALU_DEP_3) | instskip(NEXT) | instid1(VALU_DEP_3)
	v_add_f32_e32 v62, v62, v65
	v_fma_f32 v63, v122, v118, -v63
	s_delay_alu instid0(VALU_DEP_4) | instskip(NEXT) | instid1(VALU_DEP_3)
	v_add_f32_e32 v60, v60, v131
	v_add_f32_e32 v62, v62, v64
	s_delay_alu instid0(VALU_DEP_2) | instskip(NEXT) | instid1(VALU_DEP_2)
	v_add_f32_e32 v60, v60, v132
	v_add_f32_e32 v62, v62, v63
	s_delay_alu instid0(VALU_DEP_2) | instskip(SKIP_1) | instid1(VALU_DEP_2)
	v_add_f32_e32 v60, v60, v133
	s_wait_loadcnt 0x0
	v_sub_f32_e32 v62, v120, v62
	s_delay_alu instid0(VALU_DEP_2) | instskip(NEXT) | instid1(VALU_DEP_1)
	v_add_f32_e32 v60, v60, v134
	v_add_f32_e32 v60, v60, v135
	s_delay_alu instid0(VALU_DEP_1) | instskip(NEXT) | instid1(VALU_DEP_1)
	v_add_f32_e32 v60, v60, v136
	v_add_f32_e32 v60, v60, v137
	s_delay_alu instid0(VALU_DEP_1)
	v_sub_f32_e32 v63, v121, v60
	scratch_store_b64 off, v[62:63], off offset:104
	v_cmpx_lt_u32_e32 12, v0
	s_cbranch_execz .LBB28_163
; %bb.162:
	scratch_load_b64 v[62:63], off, off offset:96
	v_mov_b32_e32 v60, v59
	scratch_store_b64 off, v[59:60], off offset:96
	s_wait_loadcnt 0x0
	ds_store_b64 v61, v[62:63]
.LBB28_163:
	s_wait_alu 0xfffe
	s_or_b32 exec_lo, exec_lo, s0
	s_wait_storecnt_dscnt 0x0
	s_barrier_signal -1
	s_barrier_wait -1
	global_inv scope:SCOPE_SE
	s_clause 0x8
	scratch_load_b128 v[62:65], off, off offset:104
	scratch_load_b128 v[66:69], off, off offset:120
	;; [unrolled: 1-line block ×8, first 2 shown]
	scratch_load_b64 v[126:127], off, off offset:96
	ds_load_2addr_b64 v[94:97], v59 offset0:43 offset1:44
	ds_load_2addr_b64 v[98:101], v59 offset0:45 offset1:46
	;; [unrolled: 1-line block ×8, first 2 shown]
	s_mov_b32 s0, exec_lo
	s_wait_loadcnt_dscnt 0x807
	v_dual_mul_f32 v59, v94, v63 :: v_dual_mul_f32 v60, v96, v65
	v_mul_f32_e32 v63, v95, v63
	s_wait_loadcnt_dscnt 0x706
	v_dual_mul_f32 v65, v97, v65 :: v_dual_mul_f32 v128, v98, v67
	s_delay_alu instid0(VALU_DEP_3) | instskip(NEXT) | instid1(VALU_DEP_3)
	v_dual_mul_f32 v129, v100, v69 :: v_dual_fmac_f32 v60, v97, v64
	v_fma_f32 v63, v94, v62, -v63
	v_fmac_f32_e32 v59, v95, v62
	v_mul_f32_e32 v62, v99, v67
	v_fma_f32 v64, v96, v64, -v65
	v_mul_f32_e32 v65, v101, v69
	v_dual_add_f32 v63, 0, v63 :: v_dual_fmac_f32 v128, v99, v66
	s_delay_alu instid0(VALU_DEP_4) | instskip(SKIP_2) | instid1(VALU_DEP_3)
	v_fma_f32 v62, v98, v66, -v62
	s_wait_loadcnt_dscnt 0x605
	v_dual_mul_f32 v130, v102, v71 :: v_dual_mul_f32 v131, v104, v73
	v_add_f32_e32 v63, v63, v64
	v_fmac_f32_e32 v129, v101, v68
	v_fma_f32 v64, v100, v68, -v65
	s_wait_loadcnt_dscnt 0x504
	v_dual_mul_f32 v132, v106, v75 :: v_dual_mul_f32 v133, v108, v77
	v_dual_add_f32 v62, v63, v62 :: v_dual_mul_f32 v63, v105, v73
	v_fmac_f32_e32 v130, v103, v70
	s_wait_loadcnt_dscnt 0x403
	v_dual_mul_f32 v134, v110, v79 :: v_dual_mul_f32 v135, v112, v81
	s_delay_alu instid0(VALU_DEP_3) | instskip(SKIP_3) | instid1(VALU_DEP_4)
	v_dual_add_f32 v62, v62, v64 :: v_dual_add_f32 v59, 0, v59
	v_mul_f32_e32 v64, v107, v75
	v_fma_f32 v63, v104, v72, -v63
	v_dual_fmac_f32 v131, v105, v72 :: v_dual_fmac_f32 v132, v107, v74
	v_add_f32_e32 v59, v59, v60
	v_mul_f32_e32 v60, v103, v71
	v_fma_f32 v64, v106, v74, -v64
	v_dual_fmac_f32 v133, v109, v76 :: v_dual_fmac_f32 v134, v111, v78
	s_wait_loadcnt_dscnt 0x302
	v_dual_mul_f32 v136, v114, v83 :: v_dual_mul_f32 v137, v116, v85
	v_fma_f32 v60, v102, v70, -v60
	s_wait_loadcnt_dscnt 0x201
	v_dual_mul_f32 v138, v118, v87 :: v_dual_mul_f32 v139, v120, v89
	s_wait_loadcnt_dscnt 0x100
	v_dual_mul_f32 v140, v122, v91 :: v_dual_mul_f32 v141, v124, v93
	v_add_f32_e32 v60, v62, v60
	v_mul_f32_e32 v62, v109, v77
	v_dual_fmac_f32 v138, v119, v86 :: v_dual_fmac_f32 v139, v121, v88
	s_delay_alu instid0(VALU_DEP_4) | instskip(NEXT) | instid1(VALU_DEP_4)
	v_dual_fmac_f32 v140, v123, v90 :: v_dual_fmac_f32 v141, v125, v92
	v_dual_add_f32 v60, v60, v63 :: v_dual_add_f32 v59, v59, v128
	v_mul_f32_e32 v63, v111, v79
	v_fma_f32 v62, v108, v76, -v62
	v_fmac_f32_e32 v135, v113, v80
	s_delay_alu instid0(VALU_DEP_4)
	v_add_f32_e32 v60, v60, v64
	v_mul_f32_e32 v64, v113, v81
	v_add_f32_e32 v59, v59, v129
	v_fma_f32 v63, v110, v78, -v63
	v_fmac_f32_e32 v136, v115, v82
	v_add_f32_e32 v60, v60, v62
	v_mul_f32_e32 v62, v115, v83
	v_add_f32_e32 v59, v59, v130
	v_fma_f32 v64, v112, v80, -v64
	s_delay_alu instid0(VALU_DEP_4) | instskip(SKIP_1) | instid1(VALU_DEP_4)
	v_dual_fmac_f32 v137, v117, v84 :: v_dual_add_f32 v60, v60, v63
	v_mul_f32_e32 v63, v117, v85
	v_add_f32_e32 v59, v59, v131
	v_fma_f32 v62, v114, v82, -v62
	s_delay_alu instid0(VALU_DEP_4) | instskip(NEXT) | instid1(VALU_DEP_4)
	v_add_f32_e32 v60, v60, v64
	v_fma_f32 v63, v116, v84, -v63
	s_delay_alu instid0(VALU_DEP_4) | instskip(SKIP_1) | instid1(VALU_DEP_4)
	v_add_f32_e32 v59, v59, v132
	v_mul_f32_e32 v64, v119, v87
	v_add_f32_e32 v60, v60, v62
	v_mul_f32_e32 v62, v121, v89
	s_delay_alu instid0(VALU_DEP_4) | instskip(NEXT) | instid1(VALU_DEP_4)
	v_add_f32_e32 v59, v59, v133
	v_fma_f32 v64, v118, v86, -v64
	s_delay_alu instid0(VALU_DEP_4) | instskip(SKIP_1) | instid1(VALU_DEP_4)
	v_add_f32_e32 v60, v60, v63
	v_mul_f32_e32 v63, v123, v91
	v_add_f32_e32 v59, v59, v134
	v_fma_f32 v62, v120, v88, -v62
	s_delay_alu instid0(VALU_DEP_4) | instskip(NEXT) | instid1(VALU_DEP_3)
	v_add_f32_e32 v60, v60, v64
	v_dual_mul_f32 v64, v125, v93 :: v_dual_add_f32 v59, v59, v135
	v_fma_f32 v63, v122, v90, -v63
	s_delay_alu instid0(VALU_DEP_3) | instskip(NEXT) | instid1(VALU_DEP_3)
	v_add_f32_e32 v60, v60, v62
	v_fma_f32 v62, v124, v92, -v64
	s_delay_alu instid0(VALU_DEP_2) | instskip(NEXT) | instid1(VALU_DEP_1)
	v_dual_add_f32 v59, v59, v136 :: v_dual_add_f32 v60, v60, v63
	v_dual_add_f32 v59, v59, v137 :: v_dual_add_f32 v60, v60, v62
	s_delay_alu instid0(VALU_DEP_1) | instskip(NEXT) | instid1(VALU_DEP_1)
	v_add_f32_e32 v59, v59, v138
	v_add_f32_e32 v59, v59, v139
	s_delay_alu instid0(VALU_DEP_1) | instskip(SKIP_1) | instid1(VALU_DEP_1)
	v_add_f32_e32 v59, v59, v140
	s_wait_loadcnt 0x0
	v_dual_add_f32 v62, v59, v141 :: v_dual_sub_f32 v59, v126, v60
	s_delay_alu instid0(VALU_DEP_1)
	v_sub_f32_e32 v60, v127, v62
	scratch_store_b64 off, v[59:60], off offset:96
	v_cmpx_lt_u32_e32 11, v0
	s_cbranch_execz .LBB28_165
; %bb.164:
	scratch_load_b64 v[59:60], off, off offset:88
	v_mov_b32_e32 v62, 0
	s_delay_alu instid0(VALU_DEP_1)
	v_mov_b32_e32 v63, v62
	scratch_store_b64 off, v[62:63], off offset:88
	s_wait_loadcnt 0x0
	ds_store_b64 v61, v[59:60]
.LBB28_165:
	s_wait_alu 0xfffe
	s_or_b32 exec_lo, exec_lo, s0
	s_wait_storecnt_dscnt 0x0
	s_barrier_signal -1
	s_barrier_wait -1
	global_inv scope:SCOPE_SE
	s_clause 0x9
	scratch_load_b128 v[62:65], off, off offset:96
	scratch_load_b128 v[66:69], off, off offset:112
	;; [unrolled: 1-line block ×8, first 2 shown]
	scratch_load_b64 v[126:127], off, off offset:224
	scratch_load_b64 v[128:129], off, off offset:88
	v_mov_b32_e32 v59, 0
	ds_load_b128 v[94:97], v59 offset:336
	ds_load_b128 v[98:101], v59 offset:352
	;; [unrolled: 1-line block ×8, first 2 shown]
	ds_load_b64 v[130:131], v59 offset:464
	s_mov_b32 s0, exec_lo
	s_wait_loadcnt_dscnt 0x908
	v_mul_f32_e32 v60, v94, v63
	s_wait_loadcnt_dscnt 0x807
	v_dual_mul_f32 v132, v96, v65 :: v_dual_mul_f32 v133, v98, v67
	v_mul_f32_e32 v63, v95, v63
	s_delay_alu instid0(VALU_DEP_3)
	v_dual_mul_f32 v65, v97, v65 :: v_dual_fmac_f32 v60, v95, v62
	s_wait_loadcnt_dscnt 0x302
	v_mul_f32_e32 v144, v120, v89
	v_dual_mul_f32 v134, v100, v69 :: v_dual_mul_f32 v135, v102, v71
	s_wait_loadcnt_dscnt 0x100
	v_mul_f32_e32 v147, v130, v127
	v_fma_f32 v63, v94, v62, -v63
	v_mul_f32_e32 v62, v99, v67
	v_fmac_f32_e32 v132, v97, v64
	v_fma_f32 v64, v96, v64, -v65
	v_dual_add_f32 v60, 0, v60 :: v_dual_mul_f32 v65, v101, v69
	v_add_f32_e32 v63, 0, v63
	v_fmac_f32_e32 v133, v99, v66
	v_fma_f32 v62, v98, v66, -v62
	s_delay_alu instid0(VALU_DEP_4)
	v_add_f32_e32 v60, v60, v132
	v_fma_f32 v65, v100, v68, -v65
	v_add_f32_e32 v63, v63, v64
	v_mul_f32_e32 v64, v103, v71
	v_dual_mul_f32 v138, v108, v77 :: v_dual_mul_f32 v139, v110, v79
	v_add_f32_e32 v60, v60, v133
	s_delay_alu instid0(VALU_DEP_4) | instskip(NEXT) | instid1(VALU_DEP_4)
	v_dual_add_f32 v62, v63, v62 :: v_dual_mul_f32 v63, v105, v73
	v_fma_f32 v64, v102, v70, -v64
	v_dual_mul_f32 v140, v112, v81 :: v_dual_mul_f32 v141, v114, v83
	s_delay_alu instid0(VALU_DEP_3) | instskip(NEXT) | instid1(VALU_DEP_4)
	v_dual_add_f32 v62, v62, v65 :: v_dual_mul_f32 v65, v107, v75
	v_fma_f32 v63, v104, v72, -v63
	v_dual_mul_f32 v142, v116, v85 :: v_dual_mul_f32 v143, v118, v87
	s_delay_alu instid0(VALU_DEP_3) | instskip(SKIP_3) | instid1(VALU_DEP_4)
	v_dual_add_f32 v62, v62, v64 :: v_dual_fmac_f32 v139, v111, v78
	v_dual_fmac_f32 v134, v101, v68 :: v_dual_fmac_f32 v135, v103, v70
	v_dual_mul_f32 v64, v109, v77 :: v_dual_fmac_f32 v141, v115, v82
	v_fma_f32 v65, v106, v74, -v65
	v_dual_add_f32 v62, v62, v63 :: v_dual_fmac_f32 v143, v119, v86
	v_dual_mul_f32 v145, v122, v91 :: v_dual_mul_f32 v146, v124, v93
	v_dual_add_f32 v60, v60, v134 :: v_dual_mul_f32 v63, v111, v79
	v_fma_f32 v64, v108, v76, -v64
	s_delay_alu instid0(VALU_DEP_3) | instskip(SKIP_3) | instid1(VALU_DEP_4)
	v_dual_add_f32 v62, v62, v65 :: v_dual_fmac_f32 v145, v123, v90
	v_dual_mul_f32 v136, v104, v73 :: v_dual_mul_f32 v137, v106, v75
	v_mul_f32_e32 v65, v113, v81
	v_fma_f32 v63, v110, v78, -v63
	v_add_f32_e32 v62, v62, v64
	s_delay_alu instid0(VALU_DEP_4) | instskip(SKIP_4) | instid1(VALU_DEP_4)
	v_dual_fmac_f32 v136, v105, v72 :: v_dual_fmac_f32 v137, v107, v74
	v_add_f32_e32 v60, v60, v135
	v_mul_f32_e32 v64, v115, v83
	v_fma_f32 v65, v112, v80, -v65
	v_dual_add_f32 v62, v62, v63 :: v_dual_mul_f32 v63, v117, v85
	v_add_f32_e32 v60, v60, v136
	s_delay_alu instid0(VALU_DEP_4) | instskip(SKIP_1) | instid1(VALU_DEP_4)
	v_fma_f32 v64, v114, v82, -v64
	v_fmac_f32_e32 v138, v109, v76
	v_dual_add_f32 v62, v62, v65 :: v_dual_mul_f32 v65, v119, v87
	s_delay_alu instid0(VALU_DEP_4) | instskip(SKIP_1) | instid1(VALU_DEP_3)
	v_dual_add_f32 v60, v60, v137 :: v_dual_fmac_f32 v147, v131, v126
	v_fma_f32 v63, v116, v84, -v63
	v_add_f32_e32 v62, v62, v64
	v_fmac_f32_e32 v140, v113, v80
	v_fmac_f32_e32 v142, v117, v84
	v_mul_f32_e32 v64, v121, v89
	v_fma_f32 v65, v118, v86, -v65
	v_add_f32_e32 v62, v62, v63
	v_dual_mul_f32 v63, v123, v91 :: v_dual_add_f32 v60, v60, v138
	v_fmac_f32_e32 v144, v121, v88
	v_fma_f32 v64, v120, v88, -v64
	s_delay_alu instid0(VALU_DEP_4) | instskip(NEXT) | instid1(VALU_DEP_4)
	v_add_f32_e32 v62, v62, v65
	v_dual_mul_f32 v65, v125, v93 :: v_dual_add_f32 v60, v60, v139
	v_fma_f32 v63, v122, v90, -v63
	v_fmac_f32_e32 v146, v125, v92
	s_delay_alu instid0(VALU_DEP_4) | instskip(SKIP_3) | instid1(VALU_DEP_4)
	v_add_f32_e32 v62, v62, v64
	v_mul_f32_e32 v64, v131, v127
	v_add_f32_e32 v60, v60, v140
	v_fma_f32 v65, v124, v92, -v65
	v_add_f32_e32 v62, v62, v63
	s_delay_alu instid0(VALU_DEP_4) | instskip(NEXT) | instid1(VALU_DEP_4)
	v_fma_f32 v63, v130, v126, -v64
	v_add_f32_e32 v60, v60, v141
	s_delay_alu instid0(VALU_DEP_3) | instskip(NEXT) | instid1(VALU_DEP_2)
	v_add_f32_e32 v62, v62, v65
	v_add_f32_e32 v60, v60, v142
	s_delay_alu instid0(VALU_DEP_2) | instskip(NEXT) | instid1(VALU_DEP_2)
	v_add_f32_e32 v62, v62, v63
	v_add_f32_e32 v60, v60, v143
	s_wait_loadcnt 0x0
	s_delay_alu instid0(VALU_DEP_2) | instskip(NEXT) | instid1(VALU_DEP_2)
	v_sub_f32_e32 v62, v128, v62
	v_add_f32_e32 v60, v60, v144
	s_delay_alu instid0(VALU_DEP_1) | instskip(NEXT) | instid1(VALU_DEP_1)
	v_add_f32_e32 v60, v60, v145
	v_add_f32_e32 v60, v60, v146
	s_delay_alu instid0(VALU_DEP_1) | instskip(NEXT) | instid1(VALU_DEP_1)
	v_add_f32_e32 v60, v60, v147
	v_sub_f32_e32 v63, v129, v60
	scratch_store_b64 off, v[62:63], off offset:88
	v_cmpx_lt_u32_e32 10, v0
	s_cbranch_execz .LBB28_167
; %bb.166:
	scratch_load_b64 v[62:63], off, off offset:80
	v_mov_b32_e32 v60, v59
	scratch_store_b64 off, v[59:60], off offset:80
	s_wait_loadcnt 0x0
	ds_store_b64 v61, v[62:63]
.LBB28_167:
	s_wait_alu 0xfffe
	s_or_b32 exec_lo, exec_lo, s0
	s_wait_storecnt_dscnt 0x0
	s_barrier_signal -1
	s_barrier_wait -1
	global_inv scope:SCOPE_SE
	s_clause 0x9
	scratch_load_b128 v[62:65], off, off offset:88
	scratch_load_b128 v[66:69], off, off offset:104
	;; [unrolled: 1-line block ×9, first 2 shown]
	scratch_load_b64 v[134:135], off, off offset:80
	ds_load_2addr_b64 v[98:101], v59 offset0:41 offset1:42
	ds_load_2addr_b64 v[102:105], v59 offset0:43 offset1:44
	;; [unrolled: 1-line block ×9, first 2 shown]
	s_mov_b32 s0, exec_lo
	s_wait_loadcnt_dscnt 0x908
	v_dual_mul_f32 v59, v98, v63 :: v_dual_mul_f32 v60, v100, v65
	v_mul_f32_e32 v63, v99, v63
	s_wait_loadcnt_dscnt 0x807
	v_dual_mul_f32 v65, v101, v65 :: v_dual_mul_f32 v136, v102, v67
	s_delay_alu instid0(VALU_DEP_3) | instskip(NEXT) | instid1(VALU_DEP_3)
	v_dual_mul_f32 v137, v104, v69 :: v_dual_fmac_f32 v60, v101, v64
	v_fma_f32 v63, v98, v62, -v63
	v_fmac_f32_e32 v59, v99, v62
	v_mul_f32_e32 v62, v103, v67
	v_fma_f32 v64, v100, v64, -v65
	v_mul_f32_e32 v65, v105, v69
	v_dual_add_f32 v63, 0, v63 :: v_dual_fmac_f32 v136, v103, v66
	s_delay_alu instid0(VALU_DEP_4) | instskip(SKIP_2) | instid1(VALU_DEP_3)
	v_fma_f32 v62, v102, v66, -v62
	s_wait_loadcnt_dscnt 0x706
	v_dual_mul_f32 v138, v106, v71 :: v_dual_mul_f32 v139, v108, v73
	v_add_f32_e32 v63, v63, v64
	v_fmac_f32_e32 v137, v105, v68
	v_fma_f32 v64, v104, v68, -v65
	s_wait_loadcnt_dscnt 0x605
	v_dual_mul_f32 v140, v110, v75 :: v_dual_mul_f32 v141, v112, v77
	v_dual_add_f32 v62, v63, v62 :: v_dual_mul_f32 v63, v109, v73
	v_fmac_f32_e32 v138, v107, v70
	s_wait_loadcnt_dscnt 0x504
	v_dual_mul_f32 v142, v114, v79 :: v_dual_mul_f32 v143, v116, v81
	s_delay_alu instid0(VALU_DEP_3) | instskip(SKIP_3) | instid1(VALU_DEP_4)
	v_dual_add_f32 v62, v62, v64 :: v_dual_add_f32 v59, 0, v59
	v_mul_f32_e32 v64, v111, v75
	v_fma_f32 v63, v108, v72, -v63
	v_dual_fmac_f32 v139, v109, v72 :: v_dual_fmac_f32 v140, v111, v74
	v_add_f32_e32 v59, v59, v60
	v_mul_f32_e32 v60, v107, v71
	v_fma_f32 v64, v110, v74, -v64
	v_dual_fmac_f32 v141, v113, v76 :: v_dual_fmac_f32 v142, v115, v78
	s_wait_loadcnt_dscnt 0x403
	v_dual_mul_f32 v144, v118, v83 :: v_dual_mul_f32 v145, v120, v85
	v_fma_f32 v60, v106, v70, -v60
	s_wait_loadcnt_dscnt 0x302
	v_dual_mul_f32 v146, v122, v87 :: v_dual_mul_f32 v147, v124, v89
	s_wait_loadcnt_dscnt 0x201
	v_dual_mul_f32 v148, v126, v91 :: v_dual_mul_f32 v149, v128, v93
	v_add_f32_e32 v60, v62, v60
	v_mul_f32_e32 v62, v113, v77
	v_dual_fmac_f32 v146, v123, v86 :: v_dual_fmac_f32 v147, v125, v88
	s_delay_alu instid0(VALU_DEP_4) | instskip(NEXT) | instid1(VALU_DEP_4)
	v_dual_fmac_f32 v148, v127, v90 :: v_dual_fmac_f32 v149, v129, v92
	v_dual_add_f32 v60, v60, v63 :: v_dual_add_f32 v59, v59, v136
	v_mul_f32_e32 v63, v115, v79
	v_fma_f32 v62, v112, v76, -v62
	v_fmac_f32_e32 v143, v117, v80
	s_delay_alu instid0(VALU_DEP_4)
	v_add_f32_e32 v60, v60, v64
	v_mul_f32_e32 v64, v117, v81
	v_add_f32_e32 v59, v59, v137
	v_fma_f32 v63, v114, v78, -v63
	v_fmac_f32_e32 v144, v119, v82
	v_add_f32_e32 v60, v60, v62
	v_mul_f32_e32 v62, v119, v83
	v_add_f32_e32 v59, v59, v138
	v_fma_f32 v64, v116, v80, -v64
	s_delay_alu instid0(VALU_DEP_4) | instskip(SKIP_1) | instid1(VALU_DEP_4)
	v_dual_fmac_f32 v145, v121, v84 :: v_dual_add_f32 v60, v60, v63
	v_mul_f32_e32 v63, v121, v85
	v_add_f32_e32 v59, v59, v139
	v_fma_f32 v62, v118, v82, -v62
	s_wait_loadcnt_dscnt 0x100
	v_dual_mul_f32 v150, v130, v95 :: v_dual_mul_f32 v151, v132, v97
	v_add_f32_e32 v60, v60, v64
	v_add_f32_e32 v59, v59, v140
	v_fma_f32 v63, v120, v84, -v63
	v_mul_f32_e32 v64, v123, v87
	v_dual_fmac_f32 v150, v131, v94 :: v_dual_fmac_f32 v151, v133, v96
	s_delay_alu instid0(VALU_DEP_4) | instskip(SKIP_1) | instid1(VALU_DEP_4)
	v_dual_add_f32 v60, v60, v62 :: v_dual_add_f32 v59, v59, v141
	v_mul_f32_e32 v62, v125, v89
	v_fma_f32 v64, v122, v86, -v64
	s_delay_alu instid0(VALU_DEP_3) | instskip(SKIP_1) | instid1(VALU_DEP_4)
	v_dual_add_f32 v60, v60, v63 :: v_dual_add_f32 v59, v59, v142
	v_mul_f32_e32 v63, v127, v91
	v_fma_f32 v62, v124, v88, -v62
	s_delay_alu instid0(VALU_DEP_3) | instskip(SKIP_1) | instid1(VALU_DEP_4)
	;; [unrolled: 4-line block ×4, first 2 shown]
	v_dual_add_f32 v60, v60, v63 :: v_dual_add_f32 v59, v59, v145
	v_mul_f32_e32 v63, v133, v97
	v_fma_f32 v62, v130, v94, -v62
	s_delay_alu instid0(VALU_DEP_3) | instskip(NEXT) | instid1(VALU_DEP_3)
	v_dual_add_f32 v60, v60, v64 :: v_dual_add_f32 v59, v59, v146
	v_fma_f32 v63, v132, v96, -v63
	s_delay_alu instid0(VALU_DEP_2) | instskip(NEXT) | instid1(VALU_DEP_1)
	v_dual_add_f32 v60, v60, v62 :: v_dual_add_f32 v59, v59, v147
	v_dual_add_f32 v60, v60, v63 :: v_dual_add_f32 v59, v59, v148
	s_delay_alu instid0(VALU_DEP_1) | instskip(NEXT) | instid1(VALU_DEP_1)
	v_add_f32_e32 v59, v59, v149
	v_add_f32_e32 v59, v59, v150
	s_wait_loadcnt 0x0
	s_delay_alu instid0(VALU_DEP_1) | instskip(NEXT) | instid1(VALU_DEP_1)
	v_dual_add_f32 v62, v59, v151 :: v_dual_sub_f32 v59, v134, v60
	v_sub_f32_e32 v60, v135, v62
	scratch_store_b64 off, v[59:60], off offset:80
	v_cmpx_lt_u32_e32 9, v0
	s_cbranch_execz .LBB28_169
; %bb.168:
	scratch_load_b64 v[59:60], off, off offset:72
	v_mov_b32_e32 v62, 0
	s_delay_alu instid0(VALU_DEP_1)
	v_mov_b32_e32 v63, v62
	scratch_store_b64 off, v[62:63], off offset:72
	s_wait_loadcnt 0x0
	ds_store_b64 v61, v[59:60]
.LBB28_169:
	s_wait_alu 0xfffe
	s_or_b32 exec_lo, exec_lo, s0
	s_wait_storecnt_dscnt 0x0
	s_barrier_signal -1
	s_barrier_wait -1
	global_inv scope:SCOPE_SE
	s_clause 0xa
	scratch_load_b128 v[62:65], off, off offset:80
	scratch_load_b128 v[66:69], off, off offset:96
	;; [unrolled: 1-line block ×9, first 2 shown]
	scratch_load_b64 v[134:135], off, off offset:224
	scratch_load_b64 v[136:137], off, off offset:72
	v_mov_b32_e32 v59, 0
	ds_load_b128 v[98:101], v59 offset:320
	ds_load_b128 v[102:105], v59 offset:336
	ds_load_b128 v[106:109], v59 offset:352
	ds_load_b128 v[110:113], v59 offset:368
	ds_load_b128 v[114:117], v59 offset:384
	ds_load_b128 v[118:121], v59 offset:400
	ds_load_b128 v[122:125], v59 offset:416
	ds_load_b128 v[126:129], v59 offset:432
	ds_load_b128 v[130:133], v59 offset:448
	ds_load_b64 v[138:139], v59 offset:464
	s_mov_b32 s0, exec_lo
	s_wait_loadcnt_dscnt 0xa09
	v_mul_f32_e32 v60, v98, v63
	s_wait_loadcnt_dscnt 0x908
	v_dual_mul_f32 v140, v100, v65 :: v_dual_mul_f32 v141, v102, v67
	v_mul_f32_e32 v63, v99, v63
	s_delay_alu instid0(VALU_DEP_3)
	v_dual_mul_f32 v65, v101, v65 :: v_dual_fmac_f32 v60, v99, v62
	s_wait_loadcnt_dscnt 0x807
	v_dual_mul_f32 v142, v104, v69 :: v_dual_mul_f32 v143, v106, v71
	s_wait_loadcnt_dscnt 0x100
	v_dual_mul_f32 v154, v128, v93 :: v_dual_mul_f32 v157, v138, v135
	v_fma_f32 v63, v98, v62, -v63
	v_mul_f32_e32 v62, v103, v67
	v_fmac_f32_e32 v140, v101, v64
	v_fma_f32 v64, v100, v64, -v65
	v_dual_add_f32 v60, 0, v60 :: v_dual_mul_f32 v65, v105, v69
	v_add_f32_e32 v63, 0, v63
	v_fmac_f32_e32 v141, v103, v66
	v_fma_f32 v62, v102, v66, -v62
	s_delay_alu instid0(VALU_DEP_4)
	v_add_f32_e32 v60, v60, v140
	v_fma_f32 v65, v104, v68, -v65
	v_add_f32_e32 v63, v63, v64
	v_mul_f32_e32 v64, v107, v71
	v_dual_mul_f32 v146, v112, v77 :: v_dual_mul_f32 v147, v114, v79
	v_add_f32_e32 v60, v60, v141
	s_delay_alu instid0(VALU_DEP_4) | instskip(NEXT) | instid1(VALU_DEP_4)
	v_dual_add_f32 v62, v63, v62 :: v_dual_mul_f32 v63, v109, v73
	v_fma_f32 v64, v106, v70, -v64
	v_dual_mul_f32 v148, v116, v81 :: v_dual_mul_f32 v149, v118, v83
	s_delay_alu instid0(VALU_DEP_3) | instskip(NEXT) | instid1(VALU_DEP_4)
	v_dual_add_f32 v62, v62, v65 :: v_dual_mul_f32 v65, v111, v75
	v_fma_f32 v63, v108, v72, -v63
	v_dual_mul_f32 v150, v120, v85 :: v_dual_mul_f32 v151, v122, v87
	s_delay_alu instid0(VALU_DEP_3) | instskip(SKIP_3) | instid1(VALU_DEP_4)
	v_dual_add_f32 v62, v62, v64 :: v_dual_fmac_f32 v147, v115, v78
	v_dual_fmac_f32 v142, v105, v68 :: v_dual_fmac_f32 v143, v107, v70
	v_dual_mul_f32 v64, v113, v77 :: v_dual_fmac_f32 v149, v119, v82
	v_fma_f32 v65, v110, v74, -v65
	v_dual_add_f32 v62, v62, v63 :: v_dual_fmac_f32 v151, v123, v86
	v_dual_mul_f32 v152, v124, v89 :: v_dual_mul_f32 v153, v126, v91
	v_dual_add_f32 v60, v60, v142 :: v_dual_mul_f32 v63, v115, v79
	v_fma_f32 v64, v112, v76, -v64
	s_delay_alu instid0(VALU_DEP_3) | instskip(SKIP_1) | instid1(VALU_DEP_4)
	v_dual_add_f32 v62, v62, v65 :: v_dual_fmac_f32 v153, v127, v90
	v_mul_f32_e32 v65, v117, v81
	v_fma_f32 v63, v114, v78, -v63
	v_dual_mul_f32 v144, v108, v73 :: v_dual_mul_f32 v145, v110, v75
	s_delay_alu instid0(VALU_DEP_4) | instskip(SKIP_2) | instid1(VALU_DEP_4)
	v_add_f32_e32 v62, v62, v64
	v_mul_f32_e32 v64, v119, v83
	v_fma_f32 v65, v116, v80, -v65
	v_dual_fmac_f32 v144, v109, v72 :: v_dual_fmac_f32 v145, v111, v74
	s_delay_alu instid0(VALU_DEP_4) | instskip(SKIP_2) | instid1(VALU_DEP_3)
	v_dual_add_f32 v62, v62, v63 :: v_dual_fmac_f32 v157, v139, v134
	v_dual_add_f32 v60, v60, v143 :: v_dual_mul_f32 v63, v121, v85
	v_fma_f32 v64, v118, v82, -v64
	v_dual_add_f32 v62, v62, v65 :: v_dual_mul_f32 v65, v123, v87
	s_delay_alu instid0(VALU_DEP_3) | instskip(NEXT) | instid1(VALU_DEP_4)
	v_add_f32_e32 v60, v60, v144
	v_fma_f32 v63, v120, v84, -v63
	v_dual_mul_f32 v155, v130, v95 :: v_dual_mul_f32 v156, v132, v97
	s_delay_alu instid0(VALU_DEP_4)
	v_add_f32_e32 v62, v62, v64
	v_mul_f32_e32 v64, v125, v89
	v_fma_f32 v65, v122, v86, -v65
	v_fmac_f32_e32 v146, v113, v76
	v_dual_add_f32 v60, v60, v145 :: v_dual_fmac_f32 v155, v131, v94
	v_add_f32_e32 v62, v62, v63
	v_mul_f32_e32 v63, v127, v91
	v_fma_f32 v64, v124, v88, -v64
	s_delay_alu instid0(VALU_DEP_4)
	v_add_f32_e32 v60, v60, v146
	v_fmac_f32_e32 v148, v117, v80
	v_add_f32_e32 v62, v62, v65
	v_mul_f32_e32 v65, v129, v93
	v_fma_f32 v63, v126, v90, -v63
	v_fmac_f32_e32 v150, v121, v84
	v_fmac_f32_e32 v152, v125, v88
	v_add_f32_e32 v62, v62, v64
	v_fma_f32 v65, v128, v92, -v65
	v_mul_f32_e32 v64, v131, v95
	v_fmac_f32_e32 v154, v129, v92
	v_fmac_f32_e32 v156, v133, v96
	v_dual_add_f32 v62, v62, v63 :: v_dual_mul_f32 v63, v133, v97
	v_add_f32_e32 v60, v60, v147
	v_fma_f32 v64, v130, v94, -v64
	s_delay_alu instid0(VALU_DEP_3) | instskip(NEXT) | instid1(VALU_DEP_3)
	v_dual_add_f32 v62, v62, v65 :: v_dual_mul_f32 v65, v139, v135
	v_add_f32_e32 v60, v60, v148
	v_fma_f32 v63, v132, v96, -v63
	s_delay_alu instid0(VALU_DEP_3) | instskip(NEXT) | instid1(VALU_DEP_4)
	v_add_f32_e32 v62, v62, v64
	v_fma_f32 v64, v138, v134, -v65
	s_delay_alu instid0(VALU_DEP_4) | instskip(NEXT) | instid1(VALU_DEP_3)
	v_add_f32_e32 v60, v60, v149
	v_add_f32_e32 v62, v62, v63
	s_delay_alu instid0(VALU_DEP_2) | instskip(NEXT) | instid1(VALU_DEP_2)
	v_add_f32_e32 v60, v60, v150
	v_add_f32_e32 v62, v62, v64
	s_delay_alu instid0(VALU_DEP_2) | instskip(SKIP_1) | instid1(VALU_DEP_2)
	v_add_f32_e32 v60, v60, v151
	s_wait_loadcnt 0x0
	v_sub_f32_e32 v62, v136, v62
	s_delay_alu instid0(VALU_DEP_2) | instskip(NEXT) | instid1(VALU_DEP_1)
	v_add_f32_e32 v60, v60, v152
	v_add_f32_e32 v60, v60, v153
	s_delay_alu instid0(VALU_DEP_1) | instskip(NEXT) | instid1(VALU_DEP_1)
	v_add_f32_e32 v60, v60, v154
	v_add_f32_e32 v60, v60, v155
	s_delay_alu instid0(VALU_DEP_1) | instskip(NEXT) | instid1(VALU_DEP_1)
	v_add_f32_e32 v60, v60, v156
	v_add_f32_e32 v60, v60, v157
	s_delay_alu instid0(VALU_DEP_1)
	v_sub_f32_e32 v63, v137, v60
	scratch_store_b64 off, v[62:63], off offset:72
	v_cmpx_lt_u32_e32 8, v0
	s_cbranch_execz .LBB28_171
; %bb.170:
	scratch_load_b64 v[62:63], off, off offset:64
	v_mov_b32_e32 v60, v59
	scratch_store_b64 off, v[59:60], off offset:64
	s_wait_loadcnt 0x0
	ds_store_b64 v61, v[62:63]
.LBB28_171:
	s_wait_alu 0xfffe
	s_or_b32 exec_lo, exec_lo, s0
	s_wait_storecnt_dscnt 0x0
	s_barrier_signal -1
	s_barrier_wait -1
	global_inv scope:SCOPE_SE
	s_clause 0xa
	scratch_load_b128 v[62:65], off, off offset:72
	scratch_load_b128 v[66:69], off, off offset:88
	;; [unrolled: 1-line block ×10, first 2 shown]
	scratch_load_b64 v[142:143], off, off offset:64
	ds_load_2addr_b64 v[102:105], v59 offset0:39 offset1:40
	ds_load_2addr_b64 v[106:109], v59 offset0:41 offset1:42
	;; [unrolled: 1-line block ×10, first 2 shown]
	s_mov_b32 s0, exec_lo
	s_wait_loadcnt_dscnt 0xa09
	v_dual_mul_f32 v59, v102, v63 :: v_dual_mul_f32 v60, v104, v65
	v_mul_f32_e32 v63, v103, v63
	s_wait_loadcnt_dscnt 0x908
	v_dual_mul_f32 v65, v105, v65 :: v_dual_mul_f32 v144, v106, v67
	s_delay_alu instid0(VALU_DEP_3) | instskip(NEXT) | instid1(VALU_DEP_3)
	v_dual_mul_f32 v145, v108, v69 :: v_dual_fmac_f32 v60, v105, v64
	v_fma_f32 v63, v102, v62, -v63
	v_fmac_f32_e32 v59, v103, v62
	v_mul_f32_e32 v62, v107, v67
	v_fma_f32 v64, v104, v64, -v65
	v_mul_f32_e32 v65, v109, v69
	v_dual_add_f32 v63, 0, v63 :: v_dual_fmac_f32 v144, v107, v66
	s_delay_alu instid0(VALU_DEP_4) | instskip(SKIP_2) | instid1(VALU_DEP_3)
	v_fma_f32 v62, v106, v66, -v62
	s_wait_loadcnt_dscnt 0x807
	v_dual_mul_f32 v146, v110, v71 :: v_dual_mul_f32 v147, v112, v73
	v_add_f32_e32 v63, v63, v64
	v_fmac_f32_e32 v145, v109, v68
	v_fma_f32 v64, v108, v68, -v65
	s_wait_loadcnt_dscnt 0x706
	v_dual_mul_f32 v148, v114, v75 :: v_dual_mul_f32 v149, v116, v77
	v_dual_add_f32 v62, v63, v62 :: v_dual_mul_f32 v63, v113, v73
	v_fmac_f32_e32 v146, v111, v70
	s_wait_loadcnt_dscnt 0x605
	v_dual_mul_f32 v150, v118, v79 :: v_dual_mul_f32 v151, v120, v81
	s_delay_alu instid0(VALU_DEP_3) | instskip(SKIP_3) | instid1(VALU_DEP_4)
	v_dual_add_f32 v62, v62, v64 :: v_dual_add_f32 v59, 0, v59
	v_mul_f32_e32 v64, v115, v75
	v_fma_f32 v63, v112, v72, -v63
	v_dual_fmac_f32 v147, v113, v72 :: v_dual_fmac_f32 v148, v115, v74
	v_add_f32_e32 v59, v59, v60
	v_mul_f32_e32 v60, v111, v71
	v_fma_f32 v64, v114, v74, -v64
	v_dual_fmac_f32 v149, v117, v76 :: v_dual_fmac_f32 v150, v119, v78
	s_wait_loadcnt_dscnt 0x504
	v_dual_mul_f32 v152, v122, v83 :: v_dual_mul_f32 v153, v124, v85
	v_fma_f32 v60, v110, v70, -v60
	s_wait_loadcnt_dscnt 0x403
	v_dual_mul_f32 v154, v126, v87 :: v_dual_mul_f32 v155, v128, v89
	s_wait_loadcnt_dscnt 0x302
	v_dual_mul_f32 v156, v130, v91 :: v_dual_mul_f32 v157, v132, v93
	v_add_f32_e32 v60, v62, v60
	v_mul_f32_e32 v62, v117, v77
	v_dual_fmac_f32 v154, v127, v86 :: v_dual_fmac_f32 v155, v129, v88
	s_delay_alu instid0(VALU_DEP_4) | instskip(NEXT) | instid1(VALU_DEP_4)
	v_dual_fmac_f32 v156, v131, v90 :: v_dual_fmac_f32 v157, v133, v92
	v_dual_add_f32 v60, v60, v63 :: v_dual_add_f32 v59, v59, v144
	v_mul_f32_e32 v63, v119, v79
	v_fma_f32 v62, v116, v76, -v62
	v_fmac_f32_e32 v151, v121, v80
	s_delay_alu instid0(VALU_DEP_4)
	v_add_f32_e32 v60, v60, v64
	v_mul_f32_e32 v64, v121, v81
	v_add_f32_e32 v59, v59, v145
	v_fma_f32 v63, v118, v78, -v63
	v_fmac_f32_e32 v152, v123, v82
	v_add_f32_e32 v60, v60, v62
	v_mul_f32_e32 v62, v123, v83
	v_add_f32_e32 v59, v59, v146
	v_fma_f32 v64, v120, v80, -v64
	s_delay_alu instid0(VALU_DEP_4) | instskip(SKIP_1) | instid1(VALU_DEP_4)
	v_dual_fmac_f32 v153, v125, v84 :: v_dual_add_f32 v60, v60, v63
	v_mul_f32_e32 v63, v125, v85
	v_add_f32_e32 v59, v59, v147
	v_fma_f32 v62, v122, v82, -v62
	s_wait_loadcnt_dscnt 0x201
	v_dual_mul_f32 v158, v134, v95 :: v_dual_mul_f32 v159, v136, v97
	v_add_f32_e32 v60, v60, v64
	v_add_f32_e32 v59, v59, v148
	v_fma_f32 v63, v124, v84, -v63
	v_mul_f32_e32 v64, v127, v87
	s_wait_loadcnt_dscnt 0x100
	v_dual_mul_f32 v160, v138, v99 :: v_dual_mul_f32 v161, v140, v101
	v_dual_add_f32 v60, v60, v62 :: v_dual_add_f32 v59, v59, v149
	v_mul_f32_e32 v62, v129, v89
	v_fma_f32 v64, v126, v86, -v64
	v_dual_fmac_f32 v158, v135, v94 :: v_dual_fmac_f32 v159, v137, v96
	s_delay_alu instid0(VALU_DEP_4) | instskip(SKIP_3) | instid1(VALU_DEP_4)
	v_dual_add_f32 v60, v60, v63 :: v_dual_add_f32 v59, v59, v150
	v_mul_f32_e32 v63, v131, v91
	v_fma_f32 v62, v128, v88, -v62
	v_fmac_f32_e32 v161, v141, v100
	v_dual_add_f32 v60, v60, v64 :: v_dual_add_f32 v59, v59, v151
	v_mul_f32_e32 v64, v133, v93
	v_fma_f32 v63, v130, v90, -v63
	s_delay_alu instid0(VALU_DEP_3) | instskip(SKIP_1) | instid1(VALU_DEP_4)
	v_dual_add_f32 v60, v60, v62 :: v_dual_add_f32 v59, v59, v152
	v_mul_f32_e32 v62, v135, v95
	v_fma_f32 v64, v132, v92, -v64
	s_delay_alu instid0(VALU_DEP_3) | instskip(SKIP_1) | instid1(VALU_DEP_4)
	;; [unrolled: 4-line block ×4, first 2 shown]
	v_dual_add_f32 v60, v60, v62 :: v_dual_add_f32 v59, v59, v155
	v_mul_f32_e32 v62, v141, v101
	v_fma_f32 v64, v138, v98, -v64
	s_delay_alu instid0(VALU_DEP_3) | instskip(NEXT) | instid1(VALU_DEP_3)
	v_dual_add_f32 v60, v60, v63 :: v_dual_add_f32 v59, v59, v156
	v_fma_f32 v62, v140, v100, -v62
	s_delay_alu instid0(VALU_DEP_2) | instskip(NEXT) | instid1(VALU_DEP_1)
	v_dual_add_f32 v60, v60, v64 :: v_dual_add_f32 v59, v59, v157
	v_add_f32_e32 v60, v60, v62
	s_delay_alu instid0(VALU_DEP_2) | instskip(SKIP_1) | instid1(VALU_DEP_2)
	v_add_f32_e32 v59, v59, v158
	v_fmac_f32_e32 v160, v139, v98
	v_add_f32_e32 v59, v59, v159
	s_delay_alu instid0(VALU_DEP_1) | instskip(SKIP_1) | instid1(VALU_DEP_1)
	v_add_f32_e32 v59, v59, v160
	s_wait_loadcnt 0x0
	v_dual_add_f32 v62, v59, v161 :: v_dual_sub_f32 v59, v142, v60
	s_delay_alu instid0(VALU_DEP_1)
	v_sub_f32_e32 v60, v143, v62
	scratch_store_b64 off, v[59:60], off offset:64
	v_cmpx_lt_u32_e32 7, v0
	s_cbranch_execz .LBB28_173
; %bb.172:
	scratch_load_b64 v[59:60], off, off offset:56
	v_mov_b32_e32 v62, 0
	s_delay_alu instid0(VALU_DEP_1)
	v_mov_b32_e32 v63, v62
	scratch_store_b64 off, v[62:63], off offset:56
	s_wait_loadcnt 0x0
	ds_store_b64 v61, v[59:60]
.LBB28_173:
	s_wait_alu 0xfffe
	s_or_b32 exec_lo, exec_lo, s0
	s_wait_storecnt_dscnt 0x0
	s_barrier_signal -1
	s_barrier_wait -1
	global_inv scope:SCOPE_SE
	s_clause 0xb
	scratch_load_b128 v[62:65], off, off offset:64
	scratch_load_b128 v[66:69], off, off offset:80
	;; [unrolled: 1-line block ×10, first 2 shown]
	scratch_load_b64 v[142:143], off, off offset:224
	scratch_load_b64 v[144:145], off, off offset:56
	v_mov_b32_e32 v59, 0
	ds_load_b128 v[102:105], v59 offset:304
	ds_load_b128 v[106:109], v59 offset:320
	;; [unrolled: 1-line block ×10, first 2 shown]
	ds_load_b64 v[146:147], v59 offset:464
	s_mov_b32 s0, exec_lo
	s_wait_loadcnt_dscnt 0xb0a
	v_mul_f32_e32 v60, v102, v63
	s_wait_loadcnt_dscnt 0xa09
	v_dual_mul_f32 v148, v104, v65 :: v_dual_mul_f32 v149, v106, v67
	v_mul_f32_e32 v65, v105, v65
	v_dual_mul_f32 v63, v103, v63 :: v_dual_mul_f32 v150, v108, v69
	s_wait_loadcnt_dscnt 0x908
	v_dual_mul_f32 v151, v110, v71 :: v_dual_fmac_f32 v60, v103, v62
	s_wait_loadcnt_dscnt 0x302
	v_mul_f32_e32 v164, v136, v97
	v_fma_f32 v63, v102, v62, -v63
	s_wait_loadcnt_dscnt 0x100
	v_mul_f32_e32 v167, v146, v143
	v_mul_f32_e32 v62, v107, v67
	v_fmac_f32_e32 v148, v105, v64
	v_fma_f32 v64, v104, v64, -v65
	v_dual_add_f32 v63, 0, v63 :: v_dual_add_f32 v60, 0, v60
	v_mul_f32_e32 v65, v109, v69
	v_fmac_f32_e32 v149, v107, v66
	v_fma_f32 v62, v106, v66, -v62
	v_dual_mul_f32 v154, v116, v77 :: v_dual_mul_f32 v155, v118, v79
	v_add_f32_e32 v60, v60, v148
	v_add_f32_e32 v63, v63, v64
	v_mul_f32_e32 v64, v111, v71
	v_fma_f32 v65, v108, v68, -v65
	v_dual_mul_f32 v156, v120, v81 :: v_dual_mul_f32 v157, v122, v83
	v_add_f32_e32 v60, v60, v149
	v_dual_add_f32 v62, v63, v62 :: v_dual_mul_f32 v63, v113, v73
	v_fma_f32 v64, v110, v70, -v64
	v_dual_mul_f32 v158, v124, v85 :: v_dual_mul_f32 v159, v126, v87
	s_delay_alu instid0(VALU_DEP_3) | instskip(NEXT) | instid1(VALU_DEP_4)
	v_dual_add_f32 v62, v62, v65 :: v_dual_mul_f32 v65, v115, v75
	v_fma_f32 v63, v112, v72, -v63
	v_dual_fmac_f32 v150, v109, v68 :: v_dual_fmac_f32 v151, v111, v70
	s_delay_alu instid0(VALU_DEP_3) | instskip(SKIP_2) | instid1(VALU_DEP_3)
	v_dual_add_f32 v62, v62, v64 :: v_dual_fmac_f32 v155, v119, v78
	v_dual_mul_f32 v64, v117, v77 :: v_dual_fmac_f32 v157, v123, v82
	v_fma_f32 v65, v114, v74, -v65
	v_dual_add_f32 v62, v62, v63 :: v_dual_fmac_f32 v159, v127, v86
	v_dual_mul_f32 v160, v128, v89 :: v_dual_mul_f32 v161, v130, v91
	v_dual_add_f32 v60, v60, v150 :: v_dual_mul_f32 v63, v119, v79
	v_fma_f32 v64, v116, v76, -v64
	s_delay_alu instid0(VALU_DEP_3) | instskip(SKIP_1) | instid1(VALU_DEP_4)
	v_dual_add_f32 v62, v62, v65 :: v_dual_fmac_f32 v161, v131, v90
	v_mul_f32_e32 v65, v121, v81
	v_fma_f32 v63, v118, v78, -v63
	v_dual_mul_f32 v152, v112, v73 :: v_dual_mul_f32 v153, v114, v75
	s_delay_alu instid0(VALU_DEP_4) | instskip(SKIP_3) | instid1(VALU_DEP_3)
	v_add_f32_e32 v62, v62, v64
	v_dual_mul_f32 v165, v138, v99 :: v_dual_mul_f32 v166, v140, v101
	v_mul_f32_e32 v64, v123, v83
	v_fma_f32 v65, v120, v80, -v65
	v_dual_add_f32 v62, v62, v63 :: v_dual_fmac_f32 v165, v139, v98
	v_dual_fmac_f32 v152, v113, v72 :: v_dual_fmac_f32 v153, v115, v74
	v_dual_add_f32 v60, v60, v151 :: v_dual_mul_f32 v63, v125, v85
	v_fma_f32 v64, v122, v82, -v64
	s_delay_alu instid0(VALU_DEP_4) | instskip(NEXT) | instid1(VALU_DEP_3)
	v_dual_add_f32 v62, v62, v65 :: v_dual_mul_f32 v65, v127, v87
	v_add_f32_e32 v60, v60, v152
	s_delay_alu instid0(VALU_DEP_4) | instskip(SKIP_1) | instid1(VALU_DEP_4)
	v_fma_f32 v63, v124, v84, -v63
	v_dual_mul_f32 v162, v132, v93 :: v_dual_mul_f32 v163, v134, v95
	v_add_f32_e32 v62, v62, v64
	v_mul_f32_e32 v64, v129, v89
	v_fma_f32 v65, v126, v86, -v65
	v_fmac_f32_e32 v154, v117, v76
	v_dual_add_f32 v60, v60, v153 :: v_dual_fmac_f32 v163, v135, v94
	v_add_f32_e32 v62, v62, v63
	v_mul_f32_e32 v63, v131, v91
	v_fma_f32 v64, v128, v88, -v64
	s_delay_alu instid0(VALU_DEP_4)
	v_add_f32_e32 v60, v60, v154
	v_fmac_f32_e32 v156, v121, v80
	v_add_f32_e32 v62, v62, v65
	v_mul_f32_e32 v65, v133, v93
	v_fma_f32 v63, v130, v90, -v63
	v_dual_fmac_f32 v167, v147, v142 :: v_dual_fmac_f32 v158, v125, v84
	s_delay_alu instid0(VALU_DEP_4) | instskip(NEXT) | instid1(VALU_DEP_4)
	v_add_f32_e32 v62, v62, v64
	v_fma_f32 v65, v132, v92, -v65
	v_fmac_f32_e32 v160, v129, v88
	v_mul_f32_e32 v64, v135, v95
	v_fmac_f32_e32 v162, v133, v92
	v_dual_add_f32 v62, v62, v63 :: v_dual_mul_f32 v63, v137, v97
	v_add_f32_e32 v60, v60, v155
	s_delay_alu instid0(VALU_DEP_4) | instskip(SKIP_1) | instid1(VALU_DEP_4)
	v_fma_f32 v64, v134, v94, -v64
	v_fmac_f32_e32 v164, v137, v96
	v_dual_add_f32 v62, v62, v65 :: v_dual_mul_f32 v65, v139, v99
	s_delay_alu instid0(VALU_DEP_4) | instskip(SKIP_2) | instid1(VALU_DEP_4)
	v_add_f32_e32 v60, v60, v156
	v_fma_f32 v63, v136, v96, -v63
	v_fmac_f32_e32 v166, v141, v100
	v_add_f32_e32 v62, v62, v64
	v_mul_f32_e32 v64, v141, v101
	v_add_f32_e32 v60, v60, v157
	v_fma_f32 v65, v138, v98, -v65
	s_delay_alu instid0(VALU_DEP_4) | instskip(NEXT) | instid1(VALU_DEP_3)
	v_add_f32_e32 v62, v62, v63
	v_dual_mul_f32 v63, v147, v143 :: v_dual_add_f32 v60, v60, v158
	v_fma_f32 v64, v140, v100, -v64
	s_delay_alu instid0(VALU_DEP_3) | instskip(NEXT) | instid1(VALU_DEP_3)
	v_add_f32_e32 v62, v62, v65
	v_fma_f32 v63, v146, v142, -v63
	s_delay_alu instid0(VALU_DEP_4) | instskip(NEXT) | instid1(VALU_DEP_3)
	v_add_f32_e32 v60, v60, v159
	v_add_f32_e32 v62, v62, v64
	s_delay_alu instid0(VALU_DEP_2) | instskip(NEXT) | instid1(VALU_DEP_2)
	v_add_f32_e32 v60, v60, v160
	v_add_f32_e32 v62, v62, v63
	s_delay_alu instid0(VALU_DEP_2) | instskip(SKIP_1) | instid1(VALU_DEP_2)
	v_add_f32_e32 v60, v60, v161
	s_wait_loadcnt 0x0
	v_sub_f32_e32 v62, v144, v62
	s_delay_alu instid0(VALU_DEP_2) | instskip(NEXT) | instid1(VALU_DEP_1)
	v_add_f32_e32 v60, v60, v162
	v_add_f32_e32 v60, v60, v163
	s_delay_alu instid0(VALU_DEP_1) | instskip(NEXT) | instid1(VALU_DEP_1)
	v_add_f32_e32 v60, v60, v164
	v_add_f32_e32 v60, v60, v165
	s_delay_alu instid0(VALU_DEP_1) | instskip(NEXT) | instid1(VALU_DEP_1)
	v_add_f32_e32 v60, v60, v166
	v_add_f32_e32 v60, v60, v167
	s_delay_alu instid0(VALU_DEP_1)
	v_sub_f32_e32 v63, v145, v60
	scratch_store_b64 off, v[62:63], off offset:56
	v_cmpx_lt_u32_e32 6, v0
	s_cbranch_execz .LBB28_175
; %bb.174:
	scratch_load_b64 v[62:63], off, off offset:48
	v_mov_b32_e32 v60, v59
	scratch_store_b64 off, v[59:60], off offset:48
	s_wait_loadcnt 0x0
	ds_store_b64 v61, v[62:63]
.LBB28_175:
	s_wait_alu 0xfffe
	s_or_b32 exec_lo, exec_lo, s0
	s_wait_storecnt_dscnt 0x0
	s_barrier_signal -1
	s_barrier_wait -1
	global_inv scope:SCOPE_SE
	s_clause 0xb
	scratch_load_b128 v[62:65], off, off offset:56
	scratch_load_b128 v[66:69], off, off offset:72
	;; [unrolled: 1-line block ×11, first 2 shown]
	scratch_load_b64 v[150:151], off, off offset:48
	ds_load_2addr_b64 v[106:109], v59 offset0:37 offset1:38
	ds_load_2addr_b64 v[110:113], v59 offset0:39 offset1:40
	;; [unrolled: 1-line block ×11, first 2 shown]
	s_mov_b32 s0, exec_lo
	s_wait_loadcnt_dscnt 0xb0a
	v_dual_mul_f32 v59, v106, v63 :: v_dual_mul_f32 v60, v108, v65
	v_mul_f32_e32 v63, v107, v63
	s_wait_loadcnt_dscnt 0xa09
	v_dual_mul_f32 v65, v109, v65 :: v_dual_mul_f32 v152, v110, v67
	s_delay_alu instid0(VALU_DEP_3) | instskip(NEXT) | instid1(VALU_DEP_3)
	v_dual_mul_f32 v153, v112, v69 :: v_dual_fmac_f32 v60, v109, v64
	v_fma_f32 v63, v106, v62, -v63
	v_fmac_f32_e32 v59, v107, v62
	v_mul_f32_e32 v62, v111, v67
	v_fma_f32 v64, v108, v64, -v65
	v_mul_f32_e32 v65, v113, v69
	v_dual_add_f32 v63, 0, v63 :: v_dual_fmac_f32 v152, v111, v66
	s_delay_alu instid0(VALU_DEP_4) | instskip(SKIP_2) | instid1(VALU_DEP_3)
	v_fma_f32 v62, v110, v66, -v62
	s_wait_loadcnt_dscnt 0x908
	v_dual_mul_f32 v154, v114, v71 :: v_dual_mul_f32 v155, v116, v73
	v_add_f32_e32 v63, v63, v64
	v_fmac_f32_e32 v153, v113, v68
	v_fma_f32 v64, v112, v68, -v65
	s_wait_loadcnt_dscnt 0x807
	v_dual_mul_f32 v156, v118, v75 :: v_dual_mul_f32 v157, v120, v77
	v_dual_add_f32 v62, v63, v62 :: v_dual_mul_f32 v63, v117, v73
	v_fmac_f32_e32 v154, v115, v70
	s_wait_loadcnt_dscnt 0x706
	v_dual_mul_f32 v158, v122, v79 :: v_dual_mul_f32 v159, v124, v81
	s_delay_alu instid0(VALU_DEP_3) | instskip(SKIP_3) | instid1(VALU_DEP_4)
	v_dual_add_f32 v62, v62, v64 :: v_dual_add_f32 v59, 0, v59
	v_mul_f32_e32 v64, v119, v75
	v_fma_f32 v63, v116, v72, -v63
	v_dual_fmac_f32 v155, v117, v72 :: v_dual_fmac_f32 v156, v119, v74
	v_add_f32_e32 v59, v59, v60
	v_mul_f32_e32 v60, v115, v71
	v_fma_f32 v64, v118, v74, -v64
	v_dual_fmac_f32 v157, v121, v76 :: v_dual_fmac_f32 v158, v123, v78
	s_wait_loadcnt_dscnt 0x605
	v_dual_mul_f32 v160, v126, v83 :: v_dual_mul_f32 v161, v128, v85
	v_fma_f32 v60, v114, v70, -v60
	s_wait_loadcnt_dscnt 0x504
	v_dual_mul_f32 v162, v130, v87 :: v_dual_mul_f32 v163, v132, v89
	s_wait_loadcnt_dscnt 0x403
	v_dual_mul_f32 v164, v134, v91 :: v_dual_mul_f32 v165, v136, v93
	v_add_f32_e32 v60, v62, v60
	v_mul_f32_e32 v62, v121, v77
	v_dual_fmac_f32 v162, v131, v86 :: v_dual_fmac_f32 v163, v133, v88
	s_delay_alu instid0(VALU_DEP_4) | instskip(NEXT) | instid1(VALU_DEP_4)
	v_dual_fmac_f32 v164, v135, v90 :: v_dual_fmac_f32 v165, v137, v92
	v_dual_add_f32 v60, v60, v63 :: v_dual_add_f32 v59, v59, v152
	v_mul_f32_e32 v63, v123, v79
	v_fma_f32 v62, v120, v76, -v62
	v_fmac_f32_e32 v159, v125, v80
	s_delay_alu instid0(VALU_DEP_4)
	v_add_f32_e32 v60, v60, v64
	v_mul_f32_e32 v64, v125, v81
	v_add_f32_e32 v59, v59, v153
	v_fma_f32 v63, v122, v78, -v63
	v_fmac_f32_e32 v160, v127, v82
	v_add_f32_e32 v60, v60, v62
	v_mul_f32_e32 v62, v127, v83
	v_add_f32_e32 v59, v59, v154
	v_fma_f32 v64, v124, v80, -v64
	s_delay_alu instid0(VALU_DEP_4) | instskip(SKIP_1) | instid1(VALU_DEP_4)
	v_dual_fmac_f32 v161, v129, v84 :: v_dual_add_f32 v60, v60, v63
	v_mul_f32_e32 v63, v129, v85
	v_add_f32_e32 v59, v59, v155
	v_fma_f32 v62, v126, v82, -v62
	s_wait_loadcnt_dscnt 0x302
	v_dual_mul_f32 v166, v138, v95 :: v_dual_mul_f32 v167, v140, v97
	v_add_f32_e32 v60, v60, v64
	v_add_f32_e32 v59, v59, v156
	v_fma_f32 v63, v128, v84, -v63
	v_mul_f32_e32 v64, v131, v87
	s_wait_loadcnt_dscnt 0x201
	v_dual_mul_f32 v168, v142, v99 :: v_dual_mul_f32 v169, v144, v101
	v_dual_add_f32 v60, v60, v62 :: v_dual_add_f32 v59, v59, v157
	v_mul_f32_e32 v62, v133, v89
	v_fma_f32 v64, v130, v86, -v64
	v_dual_fmac_f32 v166, v139, v94 :: v_dual_fmac_f32 v167, v141, v96
	s_delay_alu instid0(VALU_DEP_4)
	v_dual_add_f32 v60, v60, v63 :: v_dual_add_f32 v59, v59, v158
	v_mul_f32_e32 v63, v135, v91
	v_fma_f32 v62, v132, v88, -v62
	s_wait_loadcnt_dscnt 0x100
	v_dual_mul_f32 v170, v146, v103 :: v_dual_mul_f32 v171, v148, v105
	v_dual_add_f32 v59, v59, v159 :: v_dual_add_f32 v60, v60, v64
	v_mul_f32_e32 v64, v137, v93
	v_fma_f32 v63, v134, v90, -v63
	s_delay_alu instid0(VALU_DEP_4) | instskip(NEXT) | instid1(VALU_DEP_4)
	v_dual_fmac_f32 v168, v143, v98 :: v_dual_fmac_f32 v171, v149, v104
	v_dual_add_f32 v59, v59, v160 :: v_dual_add_f32 v60, v60, v62
	v_mul_f32_e32 v62, v139, v95
	v_fma_f32 v64, v136, v92, -v64
	v_fmac_f32_e32 v169, v145, v100
	s_delay_alu instid0(VALU_DEP_4) | instskip(SKIP_2) | instid1(VALU_DEP_3)
	v_dual_add_f32 v59, v59, v161 :: v_dual_add_f32 v60, v60, v63
	v_mul_f32_e32 v63, v141, v97
	v_fma_f32 v62, v138, v94, -v62
	v_dual_add_f32 v59, v59, v162 :: v_dual_add_f32 v60, v60, v64
	v_mul_f32_e32 v64, v143, v99
	s_delay_alu instid0(VALU_DEP_4) | instskip(NEXT) | instid1(VALU_DEP_3)
	v_fma_f32 v63, v140, v96, -v63
	v_dual_add_f32 v59, v59, v163 :: v_dual_add_f32 v60, v60, v62
	v_mul_f32_e32 v62, v145, v101
	s_delay_alu instid0(VALU_DEP_4) | instskip(NEXT) | instid1(VALU_DEP_3)
	;; [unrolled: 4-line block ×4, first 2 shown]
	v_fma_f32 v63, v146, v102, -v63
	v_add_f32_e32 v59, v59, v166
	s_delay_alu instid0(VALU_DEP_4) | instskip(NEXT) | instid1(VALU_DEP_4)
	v_add_f32_e32 v60, v60, v62
	v_fma_f32 v62, v148, v104, -v64
	s_delay_alu instid0(VALU_DEP_3) | instskip(NEXT) | instid1(VALU_DEP_1)
	v_add_f32_e32 v59, v59, v167
	v_dual_add_f32 v60, v60, v63 :: v_dual_add_f32 v59, v59, v168
	s_delay_alu instid0(VALU_DEP_1) | instskip(SKIP_1) | instid1(VALU_DEP_3)
	v_add_f32_e32 v60, v60, v62
	v_fmac_f32_e32 v170, v147, v102
	v_add_f32_e32 v59, v59, v169
	s_delay_alu instid0(VALU_DEP_1) | instskip(SKIP_1) | instid1(VALU_DEP_1)
	v_add_f32_e32 v59, v59, v170
	s_wait_loadcnt 0x0
	v_dual_add_f32 v62, v59, v171 :: v_dual_sub_f32 v59, v150, v60
	s_delay_alu instid0(VALU_DEP_1)
	v_sub_f32_e32 v60, v151, v62
	scratch_store_b64 off, v[59:60], off offset:48
	v_cmpx_lt_u32_e32 5, v0
	s_cbranch_execz .LBB28_177
; %bb.176:
	scratch_load_b64 v[59:60], off, off offset:40
	v_mov_b32_e32 v62, 0
	s_delay_alu instid0(VALU_DEP_1)
	v_mov_b32_e32 v63, v62
	scratch_store_b64 off, v[62:63], off offset:40
	s_wait_loadcnt 0x0
	ds_store_b64 v61, v[59:60]
.LBB28_177:
	s_wait_alu 0xfffe
	s_or_b32 exec_lo, exec_lo, s0
	s_wait_storecnt_dscnt 0x0
	s_barrier_signal -1
	s_barrier_wait -1
	global_inv scope:SCOPE_SE
	s_clause 0xc
	scratch_load_b128 v[62:65], off, off offset:48
	scratch_load_b128 v[66:69], off, off offset:64
	;; [unrolled: 1-line block ×11, first 2 shown]
	scratch_load_b64 v[150:151], off, off offset:224
	scratch_load_b64 v[152:153], off, off offset:40
	v_mov_b32_e32 v59, 0
	ds_load_b128 v[106:109], v59 offset:288
	ds_load_b128 v[110:113], v59 offset:304
	;; [unrolled: 1-line block ×11, first 2 shown]
	ds_load_b64 v[154:155], v59 offset:464
	s_mov_b32 s0, exec_lo
	s_wait_loadcnt_dscnt 0xc0b
	v_mul_f32_e32 v60, v106, v63
	s_wait_loadcnt_dscnt 0xb0a
	v_dual_mul_f32 v156, v108, v65 :: v_dual_mul_f32 v157, v110, v67
	v_mul_f32_e32 v65, v109, v65
	s_wait_loadcnt_dscnt 0xa09
	v_dual_mul_f32 v158, v112, v69 :: v_dual_mul_f32 v159, v114, v71
	v_mul_f32_e32 v63, v107, v63
	v_fmac_f32_e32 v60, v107, v62
	s_wait_loadcnt_dscnt 0x807
	v_dual_mul_f32 v162, v120, v77 :: v_dual_mul_f32 v163, v122, v79
	s_wait_loadcnt_dscnt 0x100
	v_dual_mul_f32 v174, v144, v101 :: v_dual_mul_f32 v177, v154, v151
	v_fma_f32 v63, v106, v62, -v63
	v_mul_f32_e32 v62, v111, v67
	v_fmac_f32_e32 v156, v109, v64
	v_fma_f32 v64, v108, v64, -v65
	v_dual_add_f32 v60, 0, v60 :: v_dual_mul_f32 v65, v113, v69
	v_add_f32_e32 v63, 0, v63
	v_fmac_f32_e32 v157, v111, v66
	v_fma_f32 v62, v110, v66, -v62
	s_delay_alu instid0(VALU_DEP_4)
	v_add_f32_e32 v60, v60, v156
	v_fma_f32 v65, v112, v68, -v65
	v_add_f32_e32 v63, v63, v64
	v_mul_f32_e32 v64, v115, v71
	v_dual_mul_f32 v164, v124, v81 :: v_dual_mul_f32 v165, v126, v83
	v_add_f32_e32 v60, v60, v157
	s_delay_alu instid0(VALU_DEP_4) | instskip(NEXT) | instid1(VALU_DEP_4)
	v_dual_add_f32 v62, v63, v62 :: v_dual_mul_f32 v63, v117, v73
	v_fma_f32 v64, v114, v70, -v64
	v_dual_mul_f32 v166, v128, v85 :: v_dual_mul_f32 v167, v130, v87
	s_delay_alu instid0(VALU_DEP_3) | instskip(NEXT) | instid1(VALU_DEP_4)
	v_dual_add_f32 v62, v62, v65 :: v_dual_mul_f32 v65, v119, v75
	v_fma_f32 v63, v116, v72, -v63
	v_dual_fmac_f32 v158, v113, v68 :: v_dual_fmac_f32 v159, v115, v70
	s_delay_alu instid0(VALU_DEP_3) | instskip(SKIP_2) | instid1(VALU_DEP_3)
	v_dual_add_f32 v62, v62, v64 :: v_dual_fmac_f32 v163, v123, v78
	v_dual_mul_f32 v64, v121, v77 :: v_dual_fmac_f32 v165, v127, v82
	v_fma_f32 v65, v118, v74, -v65
	v_dual_add_f32 v62, v62, v63 :: v_dual_fmac_f32 v167, v131, v86
	v_dual_mul_f32 v168, v132, v89 :: v_dual_mul_f32 v169, v134, v91
	v_dual_add_f32 v60, v60, v158 :: v_dual_mul_f32 v63, v123, v79
	v_fma_f32 v64, v120, v76, -v64
	s_delay_alu instid0(VALU_DEP_3) | instskip(SKIP_1) | instid1(VALU_DEP_4)
	v_dual_add_f32 v62, v62, v65 :: v_dual_fmac_f32 v169, v135, v90
	v_mul_f32_e32 v65, v125, v81
	v_fma_f32 v63, v122, v78, -v63
	v_dual_mul_f32 v160, v116, v73 :: v_dual_mul_f32 v161, v118, v75
	s_delay_alu instid0(VALU_DEP_4) | instskip(SKIP_3) | instid1(VALU_DEP_4)
	v_add_f32_e32 v62, v62, v64
	v_dual_mul_f32 v172, v140, v97 :: v_dual_mul_f32 v173, v142, v99
	v_mul_f32_e32 v64, v127, v83
	v_fma_f32 v65, v124, v80, -v65
	v_add_f32_e32 v62, v62, v63
	v_dual_fmac_f32 v160, v117, v72 :: v_dual_fmac_f32 v161, v119, v74
	v_dual_add_f32 v60, v60, v159 :: v_dual_mul_f32 v63, v129, v85
	v_fma_f32 v64, v126, v82, -v64
	s_delay_alu instid0(VALU_DEP_4) | instskip(NEXT) | instid1(VALU_DEP_3)
	v_dual_fmac_f32 v173, v143, v98 :: v_dual_add_f32 v62, v62, v65
	v_dual_add_f32 v60, v60, v160 :: v_dual_mul_f32 v65, v131, v87
	s_delay_alu instid0(VALU_DEP_4) | instskip(SKIP_1) | instid1(VALU_DEP_4)
	v_fma_f32 v63, v128, v84, -v63
	v_dual_mul_f32 v170, v136, v93 :: v_dual_mul_f32 v171, v138, v95
	v_add_f32_e32 v62, v62, v64
	v_mul_f32_e32 v64, v133, v89
	v_fma_f32 v65, v130, v86, -v65
	v_fmac_f32_e32 v162, v121, v76
	v_dual_add_f32 v60, v60, v161 :: v_dual_fmac_f32 v171, v139, v94
	v_add_f32_e32 v62, v62, v63
	v_mul_f32_e32 v63, v135, v91
	v_fma_f32 v64, v132, v88, -v64
	s_delay_alu instid0(VALU_DEP_4)
	v_dual_add_f32 v60, v60, v162 :: v_dual_mul_f32 v175, v146, v103
	v_mul_f32_e32 v176, v148, v105
	v_add_f32_e32 v62, v62, v65
	v_mul_f32_e32 v65, v137, v93
	v_fma_f32 v63, v134, v90, -v63
	v_dual_fmac_f32 v164, v125, v80 :: v_dual_fmac_f32 v175, v147, v102
	s_delay_alu instid0(VALU_DEP_4) | instskip(NEXT) | instid1(VALU_DEP_4)
	v_add_f32_e32 v62, v62, v64
	v_fma_f32 v65, v136, v92, -v65
	v_dual_fmac_f32 v166, v129, v84 :: v_dual_fmac_f32 v177, v155, v150
	v_fmac_f32_e32 v168, v133, v88
	s_delay_alu instid0(VALU_DEP_4) | instskip(SKIP_3) | instid1(VALU_DEP_4)
	v_dual_add_f32 v62, v62, v63 :: v_dual_mul_f32 v63, v141, v97
	v_add_f32_e32 v60, v60, v163
	v_mul_f32_e32 v64, v139, v95
	v_fmac_f32_e32 v170, v137, v92
	v_dual_add_f32 v62, v62, v65 :: v_dual_mul_f32 v65, v143, v99
	s_delay_alu instid0(VALU_DEP_4) | instskip(NEXT) | instid1(VALU_DEP_4)
	v_add_f32_e32 v60, v60, v164
	v_fma_f32 v64, v138, v94, -v64
	v_fmac_f32_e32 v172, v141, v96
	v_fma_f32 v63, v140, v96, -v63
	v_fma_f32 v65, v142, v98, -v65
	v_add_f32_e32 v60, v60, v165
	v_add_f32_e32 v62, v62, v64
	v_mul_f32_e32 v64, v145, v101
	v_fmac_f32_e32 v174, v145, v100
	v_fmac_f32_e32 v176, v149, v104
	v_add_f32_e32 v60, v60, v166
	v_add_f32_e32 v62, v62, v63
	v_mul_f32_e32 v63, v147, v103
	v_fma_f32 v64, v144, v100, -v64
	s_delay_alu instid0(VALU_DEP_4) | instskip(NEXT) | instid1(VALU_DEP_4)
	v_add_f32_e32 v60, v60, v167
	v_add_f32_e32 v62, v62, v65
	v_mul_f32_e32 v65, v149, v105
	v_fma_f32 v63, v146, v102, -v63
	s_delay_alu instid0(VALU_DEP_4) | instskip(NEXT) | instid1(VALU_DEP_4)
	;; [unrolled: 5-line block ×3, first 2 shown]
	v_add_f32_e32 v60, v60, v169
	v_add_f32_e32 v62, v62, v63
	s_delay_alu instid0(VALU_DEP_4) | instskip(NEXT) | instid1(VALU_DEP_3)
	v_fma_f32 v63, v154, v150, -v64
	v_add_f32_e32 v60, v60, v170
	s_delay_alu instid0(VALU_DEP_3) | instskip(NEXT) | instid1(VALU_DEP_2)
	v_add_f32_e32 v62, v62, v65
	v_add_f32_e32 v60, v60, v171
	s_delay_alu instid0(VALU_DEP_2) | instskip(NEXT) | instid1(VALU_DEP_2)
	v_add_f32_e32 v62, v62, v63
	v_add_f32_e32 v60, v60, v172
	s_wait_loadcnt 0x0
	s_delay_alu instid0(VALU_DEP_2) | instskip(NEXT) | instid1(VALU_DEP_2)
	v_sub_f32_e32 v62, v152, v62
	v_add_f32_e32 v60, v60, v173
	s_delay_alu instid0(VALU_DEP_1) | instskip(NEXT) | instid1(VALU_DEP_1)
	v_add_f32_e32 v60, v60, v174
	v_add_f32_e32 v60, v60, v175
	s_delay_alu instid0(VALU_DEP_1) | instskip(NEXT) | instid1(VALU_DEP_1)
	v_add_f32_e32 v60, v60, v176
	v_add_f32_e32 v60, v60, v177
	s_delay_alu instid0(VALU_DEP_1)
	v_sub_f32_e32 v63, v153, v60
	scratch_store_b64 off, v[62:63], off offset:40
	v_cmpx_lt_u32_e32 4, v0
	s_cbranch_execz .LBB28_179
; %bb.178:
	scratch_load_b64 v[62:63], off, off offset:32
	v_mov_b32_e32 v60, v59
	scratch_store_b64 off, v[59:60], off offset:32
	s_wait_loadcnt 0x0
	ds_store_b64 v61, v[62:63]
.LBB28_179:
	s_wait_alu 0xfffe
	s_or_b32 exec_lo, exec_lo, s0
	s_wait_storecnt_dscnt 0x0
	s_barrier_signal -1
	s_barrier_wait -1
	global_inv scope:SCOPE_SE
	s_clause 0xc
	scratch_load_b128 v[62:65], off, off offset:40
	scratch_load_b128 v[66:69], off, off offset:56
	;; [unrolled: 1-line block ×12, first 2 shown]
	scratch_load_b64 v[158:159], off, off offset:32
	ds_load_2addr_b64 v[110:113], v59 offset0:35 offset1:36
	ds_load_2addr_b64 v[114:117], v59 offset0:37 offset1:38
	;; [unrolled: 1-line block ×12, first 2 shown]
	s_mov_b32 s0, exec_lo
	s_wait_loadcnt_dscnt 0xc0b
	v_dual_mul_f32 v59, v110, v63 :: v_dual_mul_f32 v60, v112, v65
	v_mul_f32_e32 v63, v111, v63
	s_wait_loadcnt_dscnt 0xb0a
	v_dual_mul_f32 v65, v113, v65 :: v_dual_mul_f32 v160, v114, v67
	s_delay_alu instid0(VALU_DEP_3) | instskip(NEXT) | instid1(VALU_DEP_3)
	v_dual_mul_f32 v161, v116, v69 :: v_dual_fmac_f32 v60, v113, v64
	v_fma_f32 v63, v110, v62, -v63
	v_fmac_f32_e32 v59, v111, v62
	v_mul_f32_e32 v62, v115, v67
	v_fma_f32 v64, v112, v64, -v65
	v_mul_f32_e32 v65, v117, v69
	v_dual_add_f32 v63, 0, v63 :: v_dual_fmac_f32 v160, v115, v66
	s_delay_alu instid0(VALU_DEP_4) | instskip(SKIP_2) | instid1(VALU_DEP_3)
	v_fma_f32 v62, v114, v66, -v62
	s_wait_loadcnt_dscnt 0xa09
	v_dual_mul_f32 v162, v118, v71 :: v_dual_mul_f32 v163, v120, v73
	v_add_f32_e32 v63, v63, v64
	v_fmac_f32_e32 v161, v117, v68
	v_fma_f32 v64, v116, v68, -v65
	s_wait_loadcnt_dscnt 0x908
	v_dual_mul_f32 v164, v122, v75 :: v_dual_mul_f32 v165, v124, v77
	v_dual_add_f32 v62, v63, v62 :: v_dual_mul_f32 v63, v121, v73
	v_fmac_f32_e32 v162, v119, v70
	s_wait_loadcnt_dscnt 0x807
	v_dual_mul_f32 v166, v126, v79 :: v_dual_mul_f32 v167, v128, v81
	s_delay_alu instid0(VALU_DEP_3) | instskip(SKIP_3) | instid1(VALU_DEP_4)
	v_dual_add_f32 v62, v62, v64 :: v_dual_add_f32 v59, 0, v59
	v_mul_f32_e32 v64, v123, v75
	v_fma_f32 v63, v120, v72, -v63
	v_dual_fmac_f32 v163, v121, v72 :: v_dual_fmac_f32 v164, v123, v74
	v_add_f32_e32 v59, v59, v60
	v_mul_f32_e32 v60, v119, v71
	v_fma_f32 v64, v122, v74, -v64
	v_dual_fmac_f32 v165, v125, v76 :: v_dual_fmac_f32 v166, v127, v78
	s_wait_loadcnt_dscnt 0x706
	v_dual_mul_f32 v168, v130, v83 :: v_dual_mul_f32 v169, v132, v85
	v_fma_f32 v60, v118, v70, -v60
	s_wait_loadcnt_dscnt 0x605
	v_dual_mul_f32 v170, v134, v87 :: v_dual_mul_f32 v171, v136, v89
	s_wait_loadcnt_dscnt 0x504
	v_dual_mul_f32 v172, v138, v91 :: v_dual_mul_f32 v173, v140, v93
	v_add_f32_e32 v60, v62, v60
	v_mul_f32_e32 v62, v125, v77
	v_dual_fmac_f32 v170, v135, v86 :: v_dual_fmac_f32 v171, v137, v88
	s_delay_alu instid0(VALU_DEP_4) | instskip(NEXT) | instid1(VALU_DEP_4)
	v_dual_fmac_f32 v172, v139, v90 :: v_dual_fmac_f32 v173, v141, v92
	v_dual_add_f32 v60, v60, v63 :: v_dual_add_f32 v59, v59, v160
	v_mul_f32_e32 v63, v127, v79
	v_fma_f32 v62, v124, v76, -v62
	v_fmac_f32_e32 v167, v129, v80
	s_delay_alu instid0(VALU_DEP_4)
	v_add_f32_e32 v60, v60, v64
	v_mul_f32_e32 v64, v129, v81
	v_add_f32_e32 v59, v59, v161
	v_fma_f32 v63, v126, v78, -v63
	v_fmac_f32_e32 v168, v131, v82
	v_add_f32_e32 v60, v60, v62
	v_mul_f32_e32 v62, v131, v83
	v_add_f32_e32 v59, v59, v162
	v_fma_f32 v64, v128, v80, -v64
	s_delay_alu instid0(VALU_DEP_4) | instskip(SKIP_1) | instid1(VALU_DEP_4)
	v_dual_fmac_f32 v169, v133, v84 :: v_dual_add_f32 v60, v60, v63
	v_mul_f32_e32 v63, v133, v85
	v_add_f32_e32 v59, v59, v163
	v_fma_f32 v62, v130, v82, -v62
	s_wait_loadcnt_dscnt 0x403
	v_dual_mul_f32 v174, v142, v95 :: v_dual_mul_f32 v175, v144, v97
	v_add_f32_e32 v60, v60, v64
	v_add_f32_e32 v59, v59, v164
	v_fma_f32 v63, v132, v84, -v63
	v_mul_f32_e32 v64, v135, v87
	s_wait_loadcnt_dscnt 0x302
	v_dual_mul_f32 v176, v146, v99 :: v_dual_mul_f32 v177, v148, v101
	v_dual_add_f32 v60, v60, v62 :: v_dual_add_f32 v59, v59, v165
	v_mul_f32_e32 v62, v137, v89
	v_fma_f32 v64, v134, v86, -v64
	v_dual_fmac_f32 v174, v143, v94 :: v_dual_fmac_f32 v175, v145, v96
	s_delay_alu instid0(VALU_DEP_4)
	v_dual_add_f32 v60, v60, v63 :: v_dual_add_f32 v59, v59, v166
	v_mul_f32_e32 v63, v139, v91
	v_fma_f32 v62, v136, v88, -v62
	s_wait_loadcnt_dscnt 0x201
	v_dual_mul_f32 v178, v150, v103 :: v_dual_mul_f32 v179, v152, v105
	v_dual_add_f32 v59, v59, v167 :: v_dual_add_f32 v60, v60, v64
	v_mul_f32_e32 v64, v141, v93
	v_fma_f32 v63, v138, v90, -v63
	s_delay_alu instid0(VALU_DEP_4) | instskip(NEXT) | instid1(VALU_DEP_4)
	v_dual_fmac_f32 v176, v147, v98 :: v_dual_fmac_f32 v179, v153, v104
	v_dual_add_f32 v59, v59, v168 :: v_dual_add_f32 v60, v60, v62
	v_mul_f32_e32 v62, v143, v95
	v_fma_f32 v64, v140, v92, -v64
	v_fmac_f32_e32 v177, v149, v100
	s_delay_alu instid0(VALU_DEP_4)
	v_dual_add_f32 v59, v59, v169 :: v_dual_add_f32 v60, v60, v63
	v_mul_f32_e32 v63, v145, v97
	v_fma_f32 v62, v142, v94, -v62
	s_wait_loadcnt_dscnt 0x100
	v_dual_mul_f32 v180, v154, v107 :: v_dual_mul_f32 v181, v156, v109
	v_dual_add_f32 v59, v59, v170 :: v_dual_add_f32 v60, v60, v64
	v_mul_f32_e32 v64, v147, v99
	v_fma_f32 v63, v144, v96, -v63
	v_fmac_f32_e32 v178, v151, v102
	s_delay_alu instid0(VALU_DEP_4) | instskip(SKIP_3) | instid1(VALU_DEP_4)
	v_dual_add_f32 v59, v59, v171 :: v_dual_add_f32 v60, v60, v62
	v_mul_f32_e32 v62, v149, v101
	v_fma_f32 v64, v146, v98, -v64
	v_fmac_f32_e32 v181, v157, v108
	v_dual_add_f32 v59, v59, v172 :: v_dual_add_f32 v60, v60, v63
	v_mul_f32_e32 v63, v151, v103
	v_fma_f32 v62, v148, v100, -v62
	s_delay_alu instid0(VALU_DEP_3) | instskip(SKIP_1) | instid1(VALU_DEP_4)
	v_dual_add_f32 v59, v59, v173 :: v_dual_add_f32 v60, v60, v64
	v_mul_f32_e32 v64, v153, v105
	v_fma_f32 v63, v150, v102, -v63
	s_delay_alu instid0(VALU_DEP_3) | instskip(NEXT) | instid1(VALU_DEP_4)
	v_add_f32_e32 v59, v59, v174
	v_add_f32_e32 v60, v60, v62
	v_mul_f32_e32 v62, v155, v107
	v_fma_f32 v64, v152, v104, -v64
	s_delay_alu instid0(VALU_DEP_4) | instskip(NEXT) | instid1(VALU_DEP_4)
	v_add_f32_e32 v59, v59, v175
	v_dual_add_f32 v60, v60, v63 :: v_dual_mul_f32 v63, v157, v109
	s_delay_alu instid0(VALU_DEP_4) | instskip(NEXT) | instid1(VALU_DEP_3)
	v_fma_f32 v62, v154, v106, -v62
	v_add_f32_e32 v59, v59, v176
	s_delay_alu instid0(VALU_DEP_3) | instskip(NEXT) | instid1(VALU_DEP_4)
	v_add_f32_e32 v60, v60, v64
	v_fma_f32 v63, v156, v108, -v63
	s_delay_alu instid0(VALU_DEP_2) | instskip(NEXT) | instid1(VALU_DEP_1)
	v_dual_add_f32 v59, v59, v177 :: v_dual_add_f32 v60, v60, v62
	v_dual_add_f32 v59, v59, v178 :: v_dual_add_f32 v60, v60, v63
	v_fmac_f32_e32 v180, v155, v106
	s_delay_alu instid0(VALU_DEP_2) | instskip(NEXT) | instid1(VALU_DEP_1)
	v_add_f32_e32 v59, v59, v179
	v_add_f32_e32 v59, v59, v180
	s_wait_loadcnt 0x0
	s_delay_alu instid0(VALU_DEP_1) | instskip(NEXT) | instid1(VALU_DEP_1)
	v_dual_add_f32 v62, v59, v181 :: v_dual_sub_f32 v59, v158, v60
	v_sub_f32_e32 v60, v159, v62
	scratch_store_b64 off, v[59:60], off offset:32
	v_cmpx_lt_u32_e32 3, v0
	s_cbranch_execz .LBB28_181
; %bb.180:
	scratch_load_b64 v[59:60], off, off offset:24
	v_mov_b32_e32 v62, 0
	s_delay_alu instid0(VALU_DEP_1)
	v_mov_b32_e32 v63, v62
	scratch_store_b64 off, v[62:63], off offset:24
	s_wait_loadcnt 0x0
	ds_store_b64 v61, v[59:60]
.LBB28_181:
	s_wait_alu 0xfffe
	s_or_b32 exec_lo, exec_lo, s0
	s_wait_storecnt_dscnt 0x0
	s_barrier_signal -1
	s_barrier_wait -1
	global_inv scope:SCOPE_SE
	s_clause 0xd
	scratch_load_b128 v[62:65], off, off offset:32
	scratch_load_b128 v[66:69], off, off offset:48
	;; [unrolled: 1-line block ×12, first 2 shown]
	scratch_load_b64 v[158:159], off, off offset:224
	scratch_load_b64 v[160:161], off, off offset:24
	v_mov_b32_e32 v59, 0
	ds_load_b128 v[110:113], v59 offset:272
	ds_load_b128 v[114:117], v59 offset:288
	;; [unrolled: 1-line block ×12, first 2 shown]
	ds_load_b64 v[162:163], v59 offset:464
	s_mov_b32 s0, exec_lo
	s_wait_loadcnt_dscnt 0xd0c
	v_mul_f32_e32 v60, v110, v63
	s_wait_loadcnt_dscnt 0xc0b
	v_dual_mul_f32 v164, v112, v65 :: v_dual_mul_f32 v165, v114, v67
	v_mul_f32_e32 v65, v113, v65
	s_wait_loadcnt_dscnt 0xb0a
	v_dual_mul_f32 v166, v116, v69 :: v_dual_mul_f32 v167, v118, v71
	s_wait_loadcnt_dscnt 0xa09
	v_dual_mul_f32 v63, v111, v63 :: v_dual_mul_f32 v170, v124, v77
	s_wait_loadcnt_dscnt 0x908
	v_dual_mul_f32 v171, v126, v79 :: v_dual_fmac_f32 v60, v111, v62
	s_wait_loadcnt_dscnt 0x302
	v_mul_f32_e32 v184, v152, v105
	v_fma_f32 v63, v110, v62, -v63
	s_wait_loadcnt_dscnt 0x100
	v_mul_f32_e32 v187, v162, v159
	v_mul_f32_e32 v62, v115, v67
	v_fmac_f32_e32 v164, v113, v64
	v_fma_f32 v64, v112, v64, -v65
	v_dual_add_f32 v63, 0, v63 :: v_dual_add_f32 v60, 0, v60
	v_mul_f32_e32 v65, v117, v69
	v_fmac_f32_e32 v165, v115, v66
	v_fma_f32 v62, v114, v66, -v62
	v_dual_mul_f32 v172, v128, v81 :: v_dual_mul_f32 v173, v130, v83
	v_add_f32_e32 v60, v60, v164
	v_add_f32_e32 v63, v63, v64
	v_mul_f32_e32 v64, v119, v71
	v_fma_f32 v65, v116, v68, -v65
	v_dual_mul_f32 v174, v132, v85 :: v_dual_mul_f32 v175, v134, v87
	v_add_f32_e32 v60, v60, v165
	v_dual_add_f32 v62, v63, v62 :: v_dual_mul_f32 v63, v121, v73
	v_fma_f32 v64, v118, v70, -v64
	v_dual_fmac_f32 v166, v117, v68 :: v_dual_fmac_f32 v167, v119, v70
	s_delay_alu instid0(VALU_DEP_3) | instskip(NEXT) | instid1(VALU_DEP_4)
	v_dual_add_f32 v62, v62, v65 :: v_dual_mul_f32 v65, v123, v75
	v_fma_f32 v63, v120, v72, -v63
	v_dual_fmac_f32 v171, v127, v78 :: v_dual_mul_f32 v176, v136, v89
	v_mul_f32_e32 v177, v138, v91
	s_delay_alu instid0(VALU_DEP_4) | instskip(SKIP_3) | instid1(VALU_DEP_4)
	v_add_f32_e32 v62, v62, v64
	v_dual_mul_f32 v64, v125, v77 :: v_dual_fmac_f32 v173, v131, v82
	v_fma_f32 v65, v122, v74, -v65
	v_add_f32_e32 v60, v60, v166
	v_dual_add_f32 v62, v62, v63 :: v_dual_fmac_f32 v175, v135, v86
	v_mul_f32_e32 v63, v127, v79
	v_fma_f32 v64, v124, v76, -v64
	s_delay_alu instid0(VALU_DEP_3) | instskip(SKIP_1) | instid1(VALU_DEP_4)
	v_dual_fmac_f32 v177, v139, v90 :: v_dual_add_f32 v62, v62, v65
	v_mul_f32_e32 v65, v129, v81
	v_fma_f32 v63, v126, v78, -v63
	v_dual_mul_f32 v168, v120, v73 :: v_dual_mul_f32 v169, v122, v75
	s_delay_alu instid0(VALU_DEP_4) | instskip(SKIP_3) | instid1(VALU_DEP_4)
	v_add_f32_e32 v62, v62, v64
	v_dual_mul_f32 v180, v144, v97 :: v_dual_mul_f32 v181, v146, v99
	v_mul_f32_e32 v64, v131, v83
	v_fma_f32 v65, v128, v80, -v65
	v_add_f32_e32 v62, v62, v63
	v_dual_fmac_f32 v168, v121, v72 :: v_dual_fmac_f32 v169, v123, v74
	v_dual_add_f32 v60, v60, v167 :: v_dual_mul_f32 v63, v133, v85
	v_fma_f32 v64, v130, v82, -v64
	s_delay_alu instid0(VALU_DEP_4) | instskip(NEXT) | instid1(VALU_DEP_3)
	v_dual_fmac_f32 v181, v147, v98 :: v_dual_add_f32 v62, v62, v65
	v_dual_add_f32 v60, v60, v168 :: v_dual_mul_f32 v65, v135, v87
	s_delay_alu instid0(VALU_DEP_4) | instskip(SKIP_1) | instid1(VALU_DEP_4)
	v_fma_f32 v63, v132, v84, -v63
	v_fmac_f32_e32 v170, v125, v76
	v_add_f32_e32 v62, v62, v64
	v_mul_f32_e32 v64, v137, v89
	v_fma_f32 v65, v134, v86, -v65
	v_dual_mul_f32 v178, v140, v93 :: v_dual_mul_f32 v179, v142, v95
	s_delay_alu instid0(VALU_DEP_4) | instskip(SKIP_2) | instid1(VALU_DEP_4)
	v_add_f32_e32 v62, v62, v63
	v_mul_f32_e32 v63, v139, v91
	v_fma_f32 v64, v136, v88, -v64
	v_dual_add_f32 v60, v60, v169 :: v_dual_fmac_f32 v179, v143, v94
	s_delay_alu instid0(VALU_DEP_4) | instskip(SKIP_2) | instid1(VALU_DEP_4)
	v_add_f32_e32 v62, v62, v65
	v_mul_f32_e32 v65, v141, v93
	v_fma_f32 v63, v138, v90, -v63
	v_add_f32_e32 v60, v60, v170
	v_fmac_f32_e32 v172, v129, v80
	v_add_f32_e32 v62, v62, v64
	v_mul_f32_e32 v64, v143, v95
	v_fma_f32 v65, v140, v92, -v65
	v_dual_mul_f32 v182, v148, v101 :: v_dual_mul_f32 v183, v150, v103
	s_delay_alu instid0(VALU_DEP_4) | instskip(NEXT) | instid1(VALU_DEP_4)
	v_dual_add_f32 v62, v62, v63 :: v_dual_mul_f32 v63, v145, v97
	v_fma_f32 v64, v142, v94, -v64
	s_delay_alu instid0(VALU_DEP_3) | instskip(NEXT) | instid1(VALU_DEP_3)
	v_dual_add_f32 v60, v60, v171 :: v_dual_fmac_f32 v183, v151, v102
	v_dual_add_f32 v62, v62, v65 :: v_dual_mul_f32 v65, v147, v99
	s_delay_alu instid0(VALU_DEP_4) | instskip(NEXT) | instid1(VALU_DEP_3)
	v_fma_f32 v63, v144, v96, -v63
	v_dual_add_f32 v60, v60, v172 :: v_dual_mul_f32 v185, v154, v107
	v_mul_f32_e32 v186, v156, v109
	s_delay_alu instid0(VALU_DEP_4) | instskip(SKIP_3) | instid1(VALU_DEP_4)
	v_add_f32_e32 v62, v62, v64
	v_mul_f32_e32 v64, v149, v101
	v_fma_f32 v65, v146, v98, -v65
	v_dual_fmac_f32 v174, v133, v84 :: v_dual_fmac_f32 v185, v155, v106
	v_add_f32_e32 v62, v62, v63
	v_mul_f32_e32 v63, v151, v103
	v_fma_f32 v64, v148, v100, -v64
	v_fmac_f32_e32 v176, v137, v88
	v_fmac_f32_e32 v178, v141, v92
	v_add_f32_e32 v62, v62, v65
	v_fma_f32 v63, v150, v102, -v63
	v_dual_fmac_f32 v187, v163, v158 :: v_dual_fmac_f32 v180, v145, v96
	v_fmac_f32_e32 v182, v149, v100
	s_delay_alu instid0(VALU_DEP_4) | instskip(SKIP_3) | instid1(VALU_DEP_4)
	v_dual_add_f32 v62, v62, v64 :: v_dual_mul_f32 v65, v153, v105
	v_mul_f32_e32 v64, v155, v107
	v_fmac_f32_e32 v184, v153, v104
	v_fmac_f32_e32 v186, v157, v108
	v_dual_add_f32 v62, v62, v63 :: v_dual_mul_f32 v63, v157, v109
	v_add_f32_e32 v60, v60, v173
	v_fma_f32 v65, v152, v104, -v65
	v_fma_f32 v64, v154, v106, -v64
	s_delay_alu instid0(VALU_DEP_4) | instskip(NEXT) | instid1(VALU_DEP_4)
	v_fma_f32 v63, v156, v108, -v63
	v_add_f32_e32 v60, v60, v174
	s_delay_alu instid0(VALU_DEP_4) | instskip(NEXT) | instid1(VALU_DEP_2)
	v_dual_add_f32 v62, v62, v65 :: v_dual_mul_f32 v65, v163, v159
	v_add_f32_e32 v60, v60, v175
	s_delay_alu instid0(VALU_DEP_2) | instskip(NEXT) | instid1(VALU_DEP_3)
	v_add_f32_e32 v62, v62, v64
	v_fma_f32 v64, v162, v158, -v65
	s_delay_alu instid0(VALU_DEP_3) | instskip(NEXT) | instid1(VALU_DEP_3)
	v_add_f32_e32 v60, v60, v176
	v_add_f32_e32 v62, v62, v63
	s_delay_alu instid0(VALU_DEP_2) | instskip(NEXT) | instid1(VALU_DEP_2)
	v_add_f32_e32 v60, v60, v177
	v_add_f32_e32 v62, v62, v64
	s_delay_alu instid0(VALU_DEP_2) | instskip(SKIP_1) | instid1(VALU_DEP_2)
	v_add_f32_e32 v60, v60, v178
	s_wait_loadcnt 0x0
	v_sub_f32_e32 v62, v160, v62
	s_delay_alu instid0(VALU_DEP_2) | instskip(NEXT) | instid1(VALU_DEP_1)
	v_add_f32_e32 v60, v60, v179
	v_add_f32_e32 v60, v60, v180
	s_delay_alu instid0(VALU_DEP_1) | instskip(NEXT) | instid1(VALU_DEP_1)
	v_add_f32_e32 v60, v60, v181
	v_add_f32_e32 v60, v60, v182
	s_delay_alu instid0(VALU_DEP_1) | instskip(NEXT) | instid1(VALU_DEP_1)
	;; [unrolled: 3-line block ×4, first 2 shown]
	v_add_f32_e32 v60, v60, v187
	v_sub_f32_e32 v63, v161, v60
	scratch_store_b64 off, v[62:63], off offset:24
	v_cmpx_lt_u32_e32 2, v0
	s_cbranch_execz .LBB28_183
; %bb.182:
	scratch_load_b64 v[62:63], off, off offset:16
	v_mov_b32_e32 v60, v59
	scratch_store_b64 off, v[59:60], off offset:16
	s_wait_loadcnt 0x0
	ds_store_b64 v61, v[62:63]
.LBB28_183:
	s_wait_alu 0xfffe
	s_or_b32 exec_lo, exec_lo, s0
	s_wait_storecnt_dscnt 0x0
	s_barrier_signal -1
	s_barrier_wait -1
	global_inv scope:SCOPE_SE
	s_clause 0xd
	scratch_load_b128 v[62:65], off, off offset:24
	scratch_load_b128 v[66:69], off, off offset:40
	;; [unrolled: 1-line block ×13, first 2 shown]
	scratch_load_b64 v[166:167], off, off offset:16
	ds_load_2addr_b64 v[114:117], v59 offset0:33 offset1:34
	ds_load_2addr_b64 v[118:121], v59 offset0:35 offset1:36
	;; [unrolled: 1-line block ×13, first 2 shown]
	s_mov_b32 s0, exec_lo
	s_wait_loadcnt_dscnt 0xd0c
	v_dual_mul_f32 v59, v114, v63 :: v_dual_mul_f32 v60, v116, v65
	v_mul_f32_e32 v63, v115, v63
	s_wait_loadcnt_dscnt 0xc0b
	v_dual_mul_f32 v65, v117, v65 :: v_dual_mul_f32 v168, v118, v67
	s_delay_alu instid0(VALU_DEP_3) | instskip(NEXT) | instid1(VALU_DEP_3)
	v_dual_mul_f32 v169, v120, v69 :: v_dual_fmac_f32 v60, v117, v64
	v_fma_f32 v63, v114, v62, -v63
	v_fmac_f32_e32 v59, v115, v62
	v_mul_f32_e32 v62, v119, v67
	v_fma_f32 v64, v116, v64, -v65
	v_mul_f32_e32 v65, v121, v69
	v_dual_add_f32 v63, 0, v63 :: v_dual_fmac_f32 v168, v119, v66
	s_delay_alu instid0(VALU_DEP_4) | instskip(SKIP_2) | instid1(VALU_DEP_3)
	v_fma_f32 v62, v118, v66, -v62
	s_wait_loadcnt_dscnt 0xb0a
	v_dual_mul_f32 v170, v122, v71 :: v_dual_mul_f32 v171, v124, v73
	v_add_f32_e32 v63, v63, v64
	v_fmac_f32_e32 v169, v121, v68
	v_fma_f32 v64, v120, v68, -v65
	s_wait_loadcnt_dscnt 0xa09
	v_dual_mul_f32 v172, v126, v75 :: v_dual_mul_f32 v173, v128, v77
	v_dual_add_f32 v62, v63, v62 :: v_dual_mul_f32 v63, v125, v73
	v_fmac_f32_e32 v170, v123, v70
	s_wait_loadcnt_dscnt 0x908
	v_dual_mul_f32 v174, v130, v79 :: v_dual_mul_f32 v175, v132, v81
	s_delay_alu instid0(VALU_DEP_3) | instskip(SKIP_3) | instid1(VALU_DEP_4)
	v_dual_add_f32 v62, v62, v64 :: v_dual_add_f32 v59, 0, v59
	v_mul_f32_e32 v64, v127, v75
	v_fma_f32 v63, v124, v72, -v63
	v_dual_fmac_f32 v171, v125, v72 :: v_dual_fmac_f32 v172, v127, v74
	v_add_f32_e32 v59, v59, v60
	v_mul_f32_e32 v60, v123, v71
	v_fma_f32 v64, v126, v74, -v64
	v_dual_fmac_f32 v173, v129, v76 :: v_dual_fmac_f32 v174, v131, v78
	s_wait_loadcnt_dscnt 0x807
	v_dual_mul_f32 v176, v134, v83 :: v_dual_mul_f32 v177, v136, v85
	v_fma_f32 v60, v122, v70, -v60
	s_wait_loadcnt_dscnt 0x706
	v_dual_mul_f32 v178, v138, v87 :: v_dual_mul_f32 v179, v140, v89
	s_wait_loadcnt_dscnt 0x605
	v_dual_mul_f32 v180, v142, v91 :: v_dual_mul_f32 v181, v144, v93
	v_add_f32_e32 v60, v62, v60
	v_mul_f32_e32 v62, v129, v77
	v_dual_fmac_f32 v178, v139, v86 :: v_dual_fmac_f32 v179, v141, v88
	s_delay_alu instid0(VALU_DEP_4) | instskip(NEXT) | instid1(VALU_DEP_4)
	v_dual_fmac_f32 v180, v143, v90 :: v_dual_fmac_f32 v181, v145, v92
	v_dual_add_f32 v60, v60, v63 :: v_dual_add_f32 v59, v59, v168
	v_mul_f32_e32 v63, v131, v79
	v_fma_f32 v62, v128, v76, -v62
	v_fmac_f32_e32 v175, v133, v80
	s_delay_alu instid0(VALU_DEP_4)
	v_add_f32_e32 v60, v60, v64
	v_mul_f32_e32 v64, v133, v81
	v_add_f32_e32 v59, v59, v169
	v_fma_f32 v63, v130, v78, -v63
	v_fmac_f32_e32 v176, v135, v82
	v_add_f32_e32 v60, v60, v62
	v_mul_f32_e32 v62, v135, v83
	v_add_f32_e32 v59, v59, v170
	v_fma_f32 v64, v132, v80, -v64
	s_delay_alu instid0(VALU_DEP_4) | instskip(SKIP_1) | instid1(VALU_DEP_4)
	v_dual_fmac_f32 v177, v137, v84 :: v_dual_add_f32 v60, v60, v63
	v_mul_f32_e32 v63, v137, v85
	v_add_f32_e32 v59, v59, v171
	v_fma_f32 v62, v134, v82, -v62
	s_wait_loadcnt_dscnt 0x504
	v_dual_mul_f32 v182, v146, v95 :: v_dual_mul_f32 v183, v148, v97
	v_add_f32_e32 v60, v60, v64
	v_add_f32_e32 v59, v59, v172
	v_fma_f32 v63, v136, v84, -v63
	v_mul_f32_e32 v64, v139, v87
	v_dual_fmac_f32 v182, v147, v94 :: v_dual_fmac_f32 v183, v149, v96
	s_delay_alu instid0(VALU_DEP_4) | instskip(SKIP_1) | instid1(VALU_DEP_4)
	v_dual_add_f32 v60, v60, v62 :: v_dual_add_f32 v59, v59, v173
	v_mul_f32_e32 v62, v141, v89
	v_fma_f32 v64, v138, v86, -v64
	s_wait_loadcnt_dscnt 0x403
	v_dual_mul_f32 v184, v150, v99 :: v_dual_mul_f32 v185, v152, v101
	v_dual_add_f32 v60, v60, v63 :: v_dual_add_f32 v59, v59, v174
	v_mul_f32_e32 v63, v143, v91
	v_fma_f32 v62, v140, v88, -v62
	s_wait_loadcnt_dscnt 0x302
	v_dual_mul_f32 v186, v154, v103 :: v_dual_mul_f32 v187, v156, v105
	v_dual_add_f32 v59, v59, v175 :: v_dual_add_f32 v60, v60, v64
	v_mul_f32_e32 v64, v145, v93
	v_fma_f32 v63, v142, v90, -v63
	s_delay_alu instid0(VALU_DEP_4) | instskip(NEXT) | instid1(VALU_DEP_4)
	v_dual_fmac_f32 v184, v151, v98 :: v_dual_fmac_f32 v187, v157, v104
	v_dual_add_f32 v59, v59, v176 :: v_dual_add_f32 v60, v60, v62
	v_mul_f32_e32 v62, v147, v95
	v_fma_f32 v64, v144, v92, -v64
	v_fmac_f32_e32 v185, v153, v100
	s_delay_alu instid0(VALU_DEP_4) | instskip(SKIP_3) | instid1(VALU_DEP_4)
	v_dual_add_f32 v59, v59, v177 :: v_dual_add_f32 v60, v60, v63
	v_mul_f32_e32 v63, v149, v97
	v_fma_f32 v62, v146, v94, -v62
	v_fmac_f32_e32 v186, v155, v102
	v_dual_add_f32 v59, v59, v178 :: v_dual_add_f32 v60, v60, v64
	s_delay_alu instid0(VALU_DEP_4)
	v_fma_f32 v63, v148, v96, -v63
	v_mul_f32_e32 v64, v151, v99
	s_wait_loadcnt_dscnt 0x201
	v_dual_mul_f32 v188, v158, v107 :: v_dual_mul_f32 v189, v160, v109
	v_dual_add_f32 v59, v59, v179 :: v_dual_add_f32 v60, v60, v62
	v_mul_f32_e32 v62, v153, v101
	v_fma_f32 v64, v150, v98, -v64
	s_wait_loadcnt_dscnt 0x100
	v_dual_mul_f32 v190, v162, v111 :: v_dual_mul_f32 v191, v164, v113
	v_dual_add_f32 v59, v59, v180 :: v_dual_add_f32 v60, v60, v63
	v_mul_f32_e32 v63, v155, v103
	v_fma_f32 v62, v152, v100, -v62
	s_delay_alu instid0(VALU_DEP_4) | instskip(NEXT) | instid1(VALU_DEP_4)
	v_dual_fmac_f32 v188, v159, v106 :: v_dual_fmac_f32 v191, v165, v112
	v_dual_add_f32 v59, v59, v181 :: v_dual_add_f32 v60, v60, v64
	v_mul_f32_e32 v64, v157, v105
	v_fma_f32 v63, v154, v102, -v63
	v_fmac_f32_e32 v189, v161, v108
	s_delay_alu instid0(VALU_DEP_4)
	v_add_f32_e32 v59, v59, v182
	v_add_f32_e32 v60, v60, v62
	v_mul_f32_e32 v62, v159, v107
	v_fma_f32 v64, v156, v104, -v64
	v_fmac_f32_e32 v190, v163, v110
	v_add_f32_e32 v59, v59, v183
	v_dual_add_f32 v60, v60, v63 :: v_dual_mul_f32 v63, v161, v109
	v_fma_f32 v62, v158, v106, -v62
	s_delay_alu instid0(VALU_DEP_3) | instskip(NEXT) | instid1(VALU_DEP_3)
	v_add_f32_e32 v59, v59, v184
	v_add_f32_e32 v60, v60, v64
	v_mul_f32_e32 v64, v163, v111
	v_fma_f32 v63, v160, v108, -v63
	s_delay_alu instid0(VALU_DEP_3) | instskip(SKIP_1) | instid1(VALU_DEP_4)
	v_dual_add_f32 v59, v59, v185 :: v_dual_add_f32 v60, v60, v62
	v_mul_f32_e32 v62, v165, v113
	v_fma_f32 v64, v162, v110, -v64
	s_delay_alu instid0(VALU_DEP_3) | instskip(NEXT) | instid1(VALU_DEP_3)
	v_add_f32_e32 v59, v59, v186
	v_fma_f32 v62, v164, v112, -v62
	s_delay_alu instid0(VALU_DEP_2) | instskip(NEXT) | instid1(VALU_DEP_1)
	v_add_f32_e32 v59, v59, v187
	v_dual_add_f32 v59, v59, v188 :: v_dual_add_f32 v60, v60, v63
	s_delay_alu instid0(VALU_DEP_1) | instskip(NEXT) | instid1(VALU_DEP_1)
	v_dual_add_f32 v59, v59, v189 :: v_dual_add_f32 v60, v60, v64
	v_add_f32_e32 v59, v59, v190
	s_delay_alu instid0(VALU_DEP_2) | instskip(SKIP_1) | instid1(VALU_DEP_1)
	v_add_f32_e32 v60, v60, v62
	s_wait_loadcnt 0x0
	v_dual_add_f32 v62, v59, v191 :: v_dual_sub_f32 v59, v166, v60
	s_delay_alu instid0(VALU_DEP_1)
	v_sub_f32_e32 v60, v167, v62
	scratch_store_b64 off, v[59:60], off offset:16
	v_cmpx_lt_u32_e32 1, v0
	s_cbranch_execz .LBB28_185
; %bb.184:
	scratch_load_b64 v[59:60], off, off offset:8
	v_mov_b32_e32 v62, 0
	s_delay_alu instid0(VALU_DEP_1)
	v_mov_b32_e32 v63, v62
	scratch_store_b64 off, v[62:63], off offset:8
	s_wait_loadcnt 0x0
	ds_store_b64 v61, v[59:60]
.LBB28_185:
	s_wait_alu 0xfffe
	s_or_b32 exec_lo, exec_lo, s0
	s_wait_storecnt_dscnt 0x0
	s_barrier_signal -1
	s_barrier_wait -1
	global_inv scope:SCOPE_SE
	s_clause 0xe
	scratch_load_b128 v[62:65], off, off offset:16
	scratch_load_b128 v[66:69], off, off offset:32
	;; [unrolled: 1-line block ×13, first 2 shown]
	scratch_load_b64 v[166:167], off, off offset:224
	scratch_load_b64 v[168:169], off, off offset:8
	v_mov_b32_e32 v59, 0
	ds_load_b128 v[114:117], v59 offset:256
	ds_load_b128 v[118:121], v59 offset:272
	;; [unrolled: 1-line block ×13, first 2 shown]
	ds_load_b64 v[170:171], v59 offset:464
	s_mov_b32 s0, exec_lo
	s_wait_loadcnt_dscnt 0xe0d
	v_mul_f32_e32 v60, v114, v63
	s_wait_loadcnt_dscnt 0xd0c
	v_dual_mul_f32 v172, v116, v65 :: v_dual_mul_f32 v173, v118, v67
	v_mul_f32_e32 v65, v117, v65
	s_wait_loadcnt_dscnt 0xc0b
	v_dual_mul_f32 v174, v120, v69 :: v_dual_mul_f32 v175, v122, v71
	s_wait_loadcnt_dscnt 0xa09
	v_dual_mul_f32 v178, v128, v77 :: v_dual_mul_f32 v179, v130, v79
	v_mul_f32_e32 v63, v115, v63
	v_fmac_f32_e32 v60, v115, v62
	s_wait_loadcnt_dscnt 0x908
	v_dual_mul_f32 v180, v132, v81 :: v_dual_mul_f32 v181, v134, v83
	s_wait_loadcnt_dscnt 0x100
	v_dual_mul_f32 v194, v160, v109 :: v_dual_mul_f32 v197, v170, v167
	v_fma_f32 v63, v114, v62, -v63
	v_mul_f32_e32 v62, v119, v67
	v_fmac_f32_e32 v172, v117, v64
	v_fma_f32 v64, v116, v64, -v65
	v_dual_add_f32 v60, 0, v60 :: v_dual_mul_f32 v65, v121, v69
	v_add_f32_e32 v63, 0, v63
	v_fmac_f32_e32 v173, v119, v66
	v_fma_f32 v62, v118, v66, -v62
	s_delay_alu instid0(VALU_DEP_4)
	v_add_f32_e32 v60, v60, v172
	v_fma_f32 v65, v120, v68, -v65
	v_add_f32_e32 v63, v63, v64
	v_mul_f32_e32 v64, v123, v71
	v_dual_mul_f32 v182, v136, v85 :: v_dual_mul_f32 v183, v138, v87
	v_add_f32_e32 v60, v60, v173
	s_delay_alu instid0(VALU_DEP_4) | instskip(NEXT) | instid1(VALU_DEP_4)
	v_dual_add_f32 v62, v63, v62 :: v_dual_mul_f32 v63, v125, v73
	v_fma_f32 v64, v122, v70, -v64
	v_dual_fmac_f32 v174, v121, v68 :: v_dual_fmac_f32 v175, v123, v70
	s_delay_alu instid0(VALU_DEP_3) | instskip(NEXT) | instid1(VALU_DEP_4)
	v_dual_add_f32 v62, v62, v65 :: v_dual_mul_f32 v65, v127, v75
	v_fma_f32 v63, v124, v72, -v63
	v_dual_fmac_f32 v179, v131, v78 :: v_dual_mul_f32 v184, v140, v89
	v_mul_f32_e32 v185, v142, v91
	s_delay_alu instid0(VALU_DEP_4) | instskip(SKIP_3) | instid1(VALU_DEP_4)
	v_add_f32_e32 v62, v62, v64
	v_dual_mul_f32 v64, v129, v77 :: v_dual_fmac_f32 v181, v135, v82
	v_fma_f32 v65, v126, v74, -v65
	v_add_f32_e32 v60, v60, v174
	v_dual_add_f32 v62, v62, v63 :: v_dual_fmac_f32 v183, v139, v86
	v_mul_f32_e32 v63, v131, v79
	v_fma_f32 v64, v128, v76, -v64
	s_delay_alu instid0(VALU_DEP_3) | instskip(SKIP_1) | instid1(VALU_DEP_4)
	v_dual_fmac_f32 v185, v143, v90 :: v_dual_add_f32 v62, v62, v65
	v_mul_f32_e32 v65, v133, v81
	v_fma_f32 v63, v130, v78, -v63
	v_dual_mul_f32 v176, v124, v73 :: v_dual_mul_f32 v177, v126, v75
	s_delay_alu instid0(VALU_DEP_4) | instskip(SKIP_3) | instid1(VALU_DEP_4)
	v_add_f32_e32 v62, v62, v64
	v_dual_mul_f32 v188, v148, v97 :: v_dual_mul_f32 v189, v150, v99
	v_mul_f32_e32 v64, v135, v83
	v_fma_f32 v65, v132, v80, -v65
	v_add_f32_e32 v62, v62, v63
	v_dual_fmac_f32 v176, v125, v72 :: v_dual_fmac_f32 v177, v127, v74
	v_dual_add_f32 v60, v60, v175 :: v_dual_mul_f32 v63, v137, v85
	v_fma_f32 v64, v134, v82, -v64
	s_delay_alu instid0(VALU_DEP_4) | instskip(NEXT) | instid1(VALU_DEP_3)
	v_dual_fmac_f32 v189, v151, v98 :: v_dual_add_f32 v62, v62, v65
	v_dual_add_f32 v60, v60, v176 :: v_dual_mul_f32 v65, v139, v87
	s_delay_alu instid0(VALU_DEP_4) | instskip(SKIP_1) | instid1(VALU_DEP_4)
	v_fma_f32 v63, v136, v84, -v63
	v_fmac_f32_e32 v178, v129, v76
	v_add_f32_e32 v62, v62, v64
	v_mul_f32_e32 v64, v141, v89
	v_fma_f32 v65, v138, v86, -v65
	v_dual_fmac_f32 v197, v171, v166 :: v_dual_mul_f32 v186, v144, v93
	v_mul_f32_e32 v187, v146, v95
	v_add_f32_e32 v62, v62, v63
	v_mul_f32_e32 v63, v143, v91
	v_fma_f32 v64, v140, v88, -v64
	s_delay_alu instid0(VALU_DEP_4) | instskip(NEXT) | instid1(VALU_DEP_4)
	v_dual_add_f32 v60, v60, v177 :: v_dual_fmac_f32 v187, v147, v94
	v_add_f32_e32 v62, v62, v65
	v_mul_f32_e32 v65, v145, v93
	v_fma_f32 v63, v142, v90, -v63
	s_delay_alu instid0(VALU_DEP_4)
	v_add_f32_e32 v60, v60, v178
	v_fmac_f32_e32 v180, v133, v80
	v_add_f32_e32 v62, v62, v64
	v_mul_f32_e32 v64, v147, v95
	v_fma_f32 v65, v144, v92, -v65
	v_dual_mul_f32 v190, v152, v101 :: v_dual_mul_f32 v191, v154, v103
	s_delay_alu instid0(VALU_DEP_4) | instskip(NEXT) | instid1(VALU_DEP_4)
	v_dual_add_f32 v62, v62, v63 :: v_dual_mul_f32 v63, v149, v97
	v_fma_f32 v64, v146, v94, -v64
	s_delay_alu instid0(VALU_DEP_3) | instskip(NEXT) | instid1(VALU_DEP_3)
	v_dual_add_f32 v60, v60, v179 :: v_dual_fmac_f32 v191, v155, v102
	v_dual_add_f32 v62, v62, v65 :: v_dual_mul_f32 v65, v151, v99
	s_delay_alu instid0(VALU_DEP_4) | instskip(NEXT) | instid1(VALU_DEP_3)
	v_fma_f32 v63, v148, v96, -v63
	v_add_f32_e32 v60, v60, v180
	v_dual_mul_f32 v192, v156, v105 :: v_dual_mul_f32 v193, v158, v107
	s_delay_alu instid0(VALU_DEP_4) | instskip(SKIP_3) | instid1(VALU_DEP_4)
	v_add_f32_e32 v62, v62, v64
	v_mul_f32_e32 v64, v153, v101
	v_fma_f32 v65, v150, v98, -v65
	v_dual_mul_f32 v195, v162, v111 :: v_dual_mul_f32 v196, v164, v113
	v_add_f32_e32 v62, v62, v63
	v_mul_f32_e32 v63, v155, v103
	v_fma_f32 v64, v152, v100, -v64
	v_dual_fmac_f32 v182, v137, v84 :: v_dual_fmac_f32 v193, v159, v106
	s_delay_alu instid0(VALU_DEP_4) | instskip(NEXT) | instid1(VALU_DEP_4)
	v_add_f32_e32 v62, v62, v65
	v_fma_f32 v63, v154, v102, -v63
	v_dual_fmac_f32 v195, v163, v110 :: v_dual_fmac_f32 v184, v141, v88
	v_fmac_f32_e32 v186, v145, v92
	s_delay_alu instid0(VALU_DEP_4) | instskip(SKIP_3) | instid1(VALU_DEP_4)
	v_add_f32_e32 v62, v62, v64
	v_fmac_f32_e32 v188, v149, v96
	v_fmac_f32_e32 v190, v153, v100
	v_dual_mul_f32 v65, v157, v105 :: v_dual_mul_f32 v64, v159, v107
	v_dual_add_f32 v62, v62, v63 :: v_dual_mul_f32 v63, v161, v109
	v_add_f32_e32 v60, v60, v181
	v_fmac_f32_e32 v192, v157, v104
	s_delay_alu instid0(VALU_DEP_4)
	v_fma_f32 v65, v156, v104, -v65
	v_fma_f32 v64, v158, v106, -v64
	v_fmac_f32_e32 v194, v161, v108
	v_add_f32_e32 v60, v60, v182
	v_fma_f32 v63, v160, v108, -v63
	v_dual_add_f32 v62, v62, v65 :: v_dual_mul_f32 v65, v163, v111
	v_fmac_f32_e32 v196, v165, v112
	s_delay_alu instid0(VALU_DEP_4) | instskip(NEXT) | instid1(VALU_DEP_3)
	v_add_f32_e32 v60, v60, v183
	v_add_f32_e32 v62, v62, v64
	v_mul_f32_e32 v64, v165, v113
	v_fma_f32 v65, v162, v110, -v65
	s_delay_alu instid0(VALU_DEP_4) | instskip(NEXT) | instid1(VALU_DEP_4)
	v_add_f32_e32 v60, v60, v184
	v_add_f32_e32 v62, v62, v63
	v_mul_f32_e32 v63, v171, v167
	v_fma_f32 v64, v164, v112, -v64
	s_delay_alu instid0(VALU_DEP_4) | instskip(NEXT) | instid1(VALU_DEP_4)
	v_add_f32_e32 v60, v60, v185
	v_add_f32_e32 v62, v62, v65
	s_delay_alu instid0(VALU_DEP_4) | instskip(NEXT) | instid1(VALU_DEP_3)
	v_fma_f32 v63, v170, v166, -v63
	v_add_f32_e32 v60, v60, v186
	s_delay_alu instid0(VALU_DEP_3) | instskip(NEXT) | instid1(VALU_DEP_2)
	v_add_f32_e32 v62, v62, v64
	v_add_f32_e32 v60, v60, v187
	s_delay_alu instid0(VALU_DEP_2) | instskip(NEXT) | instid1(VALU_DEP_2)
	v_add_f32_e32 v62, v62, v63
	v_add_f32_e32 v60, v60, v188
	s_wait_loadcnt 0x0
	s_delay_alu instid0(VALU_DEP_2) | instskip(NEXT) | instid1(VALU_DEP_2)
	v_sub_f32_e32 v62, v168, v62
	v_add_f32_e32 v60, v60, v189
	s_delay_alu instid0(VALU_DEP_1) | instskip(NEXT) | instid1(VALU_DEP_1)
	v_add_f32_e32 v60, v60, v190
	v_add_f32_e32 v60, v60, v191
	s_delay_alu instid0(VALU_DEP_1) | instskip(NEXT) | instid1(VALU_DEP_1)
	v_add_f32_e32 v60, v60, v192
	;; [unrolled: 3-line block ×4, first 2 shown]
	v_add_f32_e32 v60, v60, v197
	s_delay_alu instid0(VALU_DEP_1)
	v_sub_f32_e32 v63, v169, v60
	scratch_store_b64 off, v[62:63], off offset:8
	v_cmpx_ne_u32_e32 0, v0
	s_cbranch_execz .LBB28_187
; %bb.186:
	scratch_load_b64 v[62:63], off, off
	v_mov_b32_e32 v60, v59
	scratch_store_b64 off, v[59:60], off
	s_wait_loadcnt 0x0
	ds_store_b64 v61, v[62:63]
.LBB28_187:
	s_wait_alu 0xfffe
	s_or_b32 exec_lo, exec_lo, s0
	s_wait_storecnt_dscnt 0x0
	s_barrier_signal -1
	s_barrier_wait -1
	global_inv scope:SCOPE_SE
	s_clause 0xe
	scratch_load_b128 v[60:63], off, off offset:8
	scratch_load_b128 v[64:67], off, off offset:24
	;; [unrolled: 1-line block ×14, first 2 shown]
	scratch_load_b64 v[172:173], off, off
	ds_load_2addr_b64 v[116:119], v59 offset0:31 offset1:32
	ds_load_2addr_b64 v[120:123], v59 offset0:33 offset1:34
	;; [unrolled: 1-line block ×14, first 2 shown]
	s_and_b32 vcc_lo, exec_lo, s18
	s_wait_loadcnt_dscnt 0xe0d
	v_dual_mul_f32 v0, v116, v61 :: v_dual_mul_f32 v59, v118, v63
	s_wait_loadcnt_dscnt 0xd0c
	v_dual_mul_f32 v63, v119, v63 :: v_dual_mul_f32 v174, v120, v65
	s_delay_alu instid0(VALU_DEP_2) | instskip(SKIP_2) | instid1(VALU_DEP_4)
	v_dual_mul_f32 v175, v122, v67 :: v_dual_fmac_f32 v0, v117, v60
	v_mul_f32_e32 v61, v117, v61
	v_fmac_f32_e32 v59, v119, v62
	v_fma_f32 v62, v118, v62, -v63
	s_wait_loadcnt_dscnt 0xc0b
	v_dual_mul_f32 v176, v124, v69 :: v_dual_mul_f32 v177, v126, v71
	v_add_f32_e32 v0, 0, v0
	v_fma_f32 v61, v116, v60, -v61
	v_mul_f32_e32 v60, v121, v65
	v_dual_fmac_f32 v174, v121, v64 :: v_dual_fmac_f32 v175, v123, v66
	s_delay_alu instid0(VALU_DEP_3) | instskip(NEXT) | instid1(VALU_DEP_3)
	v_dual_fmac_f32 v176, v125, v68 :: v_dual_add_f32 v61, 0, v61
	v_fma_f32 v60, v120, v64, -v60
	v_dual_add_f32 v0, v0, v59 :: v_dual_mul_f32 v59, v125, v69
	s_wait_loadcnt_dscnt 0xb0a
	v_dual_mul_f32 v178, v128, v73 :: v_dual_mul_f32 v179, v130, v75
	v_add_f32_e32 v61, v61, v62
	s_delay_alu instid0(VALU_DEP_3) | instskip(SKIP_1) | instid1(VALU_DEP_3)
	v_dual_mul_f32 v63, v123, v67 :: v_dual_add_f32 v0, v0, v174
	v_fma_f32 v59, v124, v68, -v59
	v_dual_fmac_f32 v177, v127, v70 :: v_dual_add_f32 v60, v61, v60
	s_delay_alu instid0(VALU_DEP_3) | instskip(SKIP_3) | instid1(VALU_DEP_4)
	v_fma_f32 v62, v122, v66, -v63
	v_mul_f32_e32 v61, v127, v71
	v_add_f32_e32 v0, v0, v175
	v_dual_fmac_f32 v178, v129, v72 :: v_dual_fmac_f32 v179, v131, v74
	v_add_f32_e32 v60, v60, v62
	v_mul_f32_e32 v62, v129, v73
	v_fma_f32 v61, v126, v70, -v61
	s_wait_loadcnt_dscnt 0xa09
	v_dual_mul_f32 v180, v132, v77 :: v_dual_mul_f32 v181, v134, v79
	v_add_f32_e32 v59, v60, v59
	v_add_f32_e32 v0, v0, v176
	v_mul_f32_e32 v60, v131, v75
	v_fma_f32 v62, v128, v72, -v62
	v_dual_fmac_f32 v180, v133, v76 :: v_dual_fmac_f32 v181, v135, v78
	v_add_f32_e32 v59, v59, v61
	v_add_f32_e32 v0, v0, v177
	v_mul_f32_e32 v61, v133, v77
	v_fma_f32 v60, v130, v74, -v60
	s_wait_loadcnt_dscnt 0x908
	v_dual_mul_f32 v182, v136, v81 :: v_dual_mul_f32 v183, v138, v83
	v_add_f32_e32 v59, v59, v62
	v_add_f32_e32 v0, v0, v178
	v_mul_f32_e32 v62, v135, v79
	v_fma_f32 v61, v132, v76, -v61
	s_wait_loadcnt_dscnt 0x807
	v_dual_mul_f32 v184, v140, v85 :: v_dual_mul_f32 v185, v142, v87
	v_dual_add_f32 v59, v59, v60 :: v_dual_add_f32 v0, v0, v179
	v_mul_f32_e32 v60, v137, v81
	v_fma_f32 v62, v134, v78, -v62
	v_dual_fmac_f32 v182, v137, v80 :: v_dual_fmac_f32 v183, v139, v82
	s_delay_alu instid0(VALU_DEP_4) | instskip(SKIP_3) | instid1(VALU_DEP_4)
	v_dual_add_f32 v59, v59, v61 :: v_dual_add_f32 v0, v0, v180
	v_mul_f32_e32 v61, v139, v83
	v_fma_f32 v60, v136, v80, -v60
	v_fmac_f32_e32 v185, v143, v86
	v_dual_add_f32 v59, v59, v62 :: v_dual_add_f32 v0, v0, v181
	v_mul_f32_e32 v62, v141, v85
	v_fma_f32 v61, v138, v82, -v61
	s_wait_loadcnt_dscnt 0x706
	v_dual_mul_f32 v186, v144, v89 :: v_dual_mul_f32 v187, v146, v91
	v_dual_add_f32 v59, v59, v60 :: v_dual_add_f32 v0, v0, v182
	v_mul_f32_e32 v60, v143, v87
	v_fma_f32 v62, v140, v84, -v62
	s_delay_alu instid0(VALU_DEP_4) | instskip(NEXT) | instid1(VALU_DEP_4)
	v_fmac_f32_e32 v187, v147, v90
	v_dual_add_f32 v59, v59, v61 :: v_dual_fmac_f32 v184, v141, v84
	v_mul_f32_e32 v61, v145, v89
	v_fma_f32 v60, v142, v86, -v60
	s_wait_loadcnt_dscnt 0x605
	v_dual_mul_f32 v188, v148, v93 :: v_dual_mul_f32 v189, v150, v95
	v_dual_add_f32 v59, v59, v62 :: v_dual_add_f32 v0, v0, v183
	v_mul_f32_e32 v62, v147, v91
	v_fma_f32 v61, v144, v88, -v61
	s_wait_loadcnt_dscnt 0x504
	v_dual_mul_f32 v190, v152, v97 :: v_dual_mul_f32 v191, v154, v99
	v_add_f32_e32 v59, v59, v60
	v_add_f32_e32 v0, v0, v184
	v_fmac_f32_e32 v186, v145, v88
	v_fma_f32 v62, v146, v90, -v62
	v_dual_fmac_f32 v188, v149, v92 :: v_dual_fmac_f32 v189, v151, v94
	v_add_f32_e32 v59, v59, v61
	v_mul_f32_e32 v60, v149, v93
	v_dual_add_f32 v0, v0, v185 :: v_dual_mul_f32 v61, v151, v95
	v_fmac_f32_e32 v191, v155, v98
	s_delay_alu instid0(VALU_DEP_4) | instskip(NEXT) | instid1(VALU_DEP_4)
	v_add_f32_e32 v59, v59, v62
	v_fma_f32 v60, v148, v92, -v60
	s_delay_alu instid0(VALU_DEP_4)
	v_add_f32_e32 v0, v0, v186
	v_mul_f32_e32 v62, v153, v97
	v_fma_f32 v61, v150, v94, -v61
	s_wait_loadcnt_dscnt 0x403
	v_dual_mul_f32 v192, v156, v101 :: v_dual_mul_f32 v193, v158, v103
	v_dual_add_f32 v59, v59, v60 :: v_dual_add_f32 v0, v0, v187
	v_mul_f32_e32 v60, v155, v99
	v_fma_f32 v62, v152, v96, -v62
	s_delay_alu instid0(VALU_DEP_4) | instskip(NEXT) | instid1(VALU_DEP_4)
	v_dual_fmac_f32 v190, v153, v96 :: v_dual_fmac_f32 v193, v159, v102
	v_dual_add_f32 v59, v59, v61 :: v_dual_add_f32 v0, v0, v188
	v_mul_f32_e32 v61, v157, v101
	v_fma_f32 v60, v154, v98, -v60
	s_wait_loadcnt_dscnt 0x302
	v_dual_mul_f32 v194, v160, v105 :: v_dual_mul_f32 v195, v162, v107
	v_dual_add_f32 v59, v59, v62 :: v_dual_add_f32 v0, v0, v189
	v_mul_f32_e32 v62, v159, v103
	v_fma_f32 v61, v156, v100, -v61
	v_fmac_f32_e32 v192, v157, v100
	s_delay_alu instid0(VALU_DEP_4) | instskip(SKIP_2) | instid1(VALU_DEP_3)
	v_dual_add_f32 v59, v59, v60 :: v_dual_add_f32 v0, v0, v190
	v_dual_mul_f32 v60, v161, v105 :: v_dual_fmac_f32 v195, v163, v106
	v_fma_f32 v62, v158, v102, -v62
	v_dual_add_f32 v59, v59, v61 :: v_dual_add_f32 v0, v0, v191
	v_mul_f32_e32 v61, v163, v107
	s_delay_alu instid0(VALU_DEP_4) | instskip(SKIP_4) | instid1(VALU_DEP_3)
	v_fma_f32 v60, v160, v104, -v60
	s_wait_loadcnt_dscnt 0x201
	v_dual_mul_f32 v196, v164, v109 :: v_dual_mul_f32 v197, v166, v111
	v_dual_add_f32 v59, v59, v62 :: v_dual_mul_f32 v62, v165, v109
	v_fma_f32 v61, v162, v106, -v61
	v_dual_fmac_f32 v194, v161, v104 :: v_dual_fmac_f32 v197, v167, v110
	s_delay_alu instid0(VALU_DEP_3)
	v_add_f32_e32 v59, v59, v60
	v_add_f32_e32 v0, v0, v192
	v_mul_f32_e32 v60, v167, v111
	v_fma_f32 v62, v164, v108, -v62
	s_wait_loadcnt_dscnt 0x100
	v_dual_mul_f32 v198, v168, v113 :: v_dual_mul_f32 v199, v170, v115
	v_add_f32_e32 v59, v59, v61
	v_add_f32_e32 v0, v0, v193
	v_mul_f32_e32 v61, v169, v113
	v_fma_f32 v60, v166, v110, -v60
	v_dual_fmac_f32 v196, v165, v108 :: v_dual_fmac_f32 v199, v171, v114
	v_add_f32_e32 v59, v59, v62
	v_add_f32_e32 v0, v0, v194
	v_mul_f32_e32 v62, v171, v115
	v_fma_f32 v61, v168, v112, -v61
	s_delay_alu instid0(VALU_DEP_3) | instskip(NEXT) | instid1(VALU_DEP_3)
	v_dual_add_f32 v59, v59, v60 :: v_dual_add_f32 v0, v0, v195
	v_fma_f32 v60, v170, v114, -v62
	s_delay_alu instid0(VALU_DEP_2) | instskip(NEXT) | instid1(VALU_DEP_1)
	v_dual_add_f32 v59, v59, v61 :: v_dual_add_f32 v0, v0, v196
	v_dual_add_f32 v59, v59, v60 :: v_dual_add_f32 v0, v0, v197
	s_wait_loadcnt 0x0
	s_delay_alu instid0(VALU_DEP_1) | instskip(NEXT) | instid1(VALU_DEP_1)
	v_dual_fmac_f32 v198, v169, v112 :: v_dual_sub_f32 v59, v172, v59
	v_add_f32_e32 v0, v0, v198
	s_delay_alu instid0(VALU_DEP_1) | instskip(NEXT) | instid1(VALU_DEP_1)
	v_add_f32_e32 v0, v0, v199
	v_sub_f32_e32 v60, v173, v0
	scratch_store_b64 off, v[59:60], off
	s_wait_alu 0xfffe
	s_cbranch_vccz .LBB28_244
; %bb.188:
	v_mov_b32_e32 v0, 0
	global_load_b32 v59, v0, s[2:3] offset:108
	s_wait_loadcnt 0x0
	v_cmp_ne_u32_e32 vcc_lo, 28, v59
	s_cbranch_vccz .LBB28_190
; %bb.189:
	v_lshlrev_b32_e32 v59, 3, v59
	s_delay_alu instid0(VALU_DEP_1)
	v_mov_b32_e32 v63, v59
	scratch_load_b64 v[59:60], v63, off offset:-8
	scratch_load_b64 v[61:62], off, off offset:216
	s_wait_loadcnt 0x1
	scratch_store_b64 off, v[59:60], off offset:216
	s_wait_loadcnt 0x0
	scratch_store_b64 v63, v[61:62], off offset:-8
.LBB28_190:
	global_load_b32 v0, v0, s[2:3] offset:104
	s_wait_loadcnt 0x0
	v_cmp_eq_u32_e32 vcc_lo, 27, v0
	s_cbranch_vccnz .LBB28_192
; %bb.191:
	v_lshlrev_b32_e32 v0, 3, v0
	scratch_load_b64 v[59:60], v0, off offset:-8
	scratch_load_b64 v[61:62], off, off offset:208
	s_wait_loadcnt 0x1
	scratch_store_b64 off, v[59:60], off offset:208
	s_wait_loadcnt 0x0
	scratch_store_b64 v0, v[61:62], off offset:-8
.LBB28_192:
	v_mov_b32_e32 v0, 0
	global_load_b32 v59, v0, s[2:3] offset:100
	s_wait_loadcnt 0x0
	v_cmp_eq_u32_e32 vcc_lo, 26, v59
	s_cbranch_vccnz .LBB28_194
; %bb.193:
	v_lshlrev_b32_e32 v59, 3, v59
	s_delay_alu instid0(VALU_DEP_1)
	v_mov_b32_e32 v63, v59
	scratch_load_b64 v[59:60], v63, off offset:-8
	scratch_load_b64 v[61:62], off, off offset:200
	s_wait_loadcnt 0x1
	scratch_store_b64 off, v[59:60], off offset:200
	s_wait_loadcnt 0x0
	scratch_store_b64 v63, v[61:62], off offset:-8
.LBB28_194:
	global_load_b32 v0, v0, s[2:3] offset:96
	s_wait_loadcnt 0x0
	v_cmp_eq_u32_e32 vcc_lo, 25, v0
	s_cbranch_vccnz .LBB28_196
; %bb.195:
	v_lshlrev_b32_e32 v0, 3, v0
	scratch_load_b64 v[59:60], v0, off offset:-8
	scratch_load_b64 v[61:62], off, off offset:192
	s_wait_loadcnt 0x1
	scratch_store_b64 off, v[59:60], off offset:192
	s_wait_loadcnt 0x0
	scratch_store_b64 v0, v[61:62], off offset:-8
.LBB28_196:
	v_mov_b32_e32 v0, 0
	global_load_b32 v59, v0, s[2:3] offset:92
	s_wait_loadcnt 0x0
	v_cmp_eq_u32_e32 vcc_lo, 24, v59
	s_cbranch_vccnz .LBB28_198
; %bb.197:
	v_lshlrev_b32_e32 v59, 3, v59
	s_delay_alu instid0(VALU_DEP_1)
	v_mov_b32_e32 v63, v59
	scratch_load_b64 v[59:60], v63, off offset:-8
	scratch_load_b64 v[61:62], off, off offset:184
	s_wait_loadcnt 0x1
	scratch_store_b64 off, v[59:60], off offset:184
	s_wait_loadcnt 0x0
	scratch_store_b64 v63, v[61:62], off offset:-8
.LBB28_198:
	global_load_b32 v0, v0, s[2:3] offset:88
	s_wait_loadcnt 0x0
	v_cmp_eq_u32_e32 vcc_lo, 23, v0
	s_cbranch_vccnz .LBB28_200
; %bb.199:
	v_lshlrev_b32_e32 v0, 3, v0
	scratch_load_b64 v[59:60], v0, off offset:-8
	scratch_load_b64 v[61:62], off, off offset:176
	s_wait_loadcnt 0x1
	scratch_store_b64 off, v[59:60], off offset:176
	s_wait_loadcnt 0x0
	scratch_store_b64 v0, v[61:62], off offset:-8
.LBB28_200:
	v_mov_b32_e32 v0, 0
	global_load_b32 v59, v0, s[2:3] offset:84
	s_wait_loadcnt 0x0
	v_cmp_eq_u32_e32 vcc_lo, 22, v59
	s_cbranch_vccnz .LBB28_202
; %bb.201:
	v_lshlrev_b32_e32 v59, 3, v59
	s_delay_alu instid0(VALU_DEP_1)
	v_mov_b32_e32 v63, v59
	scratch_load_b64 v[59:60], v63, off offset:-8
	scratch_load_b64 v[61:62], off, off offset:168
	s_wait_loadcnt 0x1
	scratch_store_b64 off, v[59:60], off offset:168
	s_wait_loadcnt 0x0
	scratch_store_b64 v63, v[61:62], off offset:-8
.LBB28_202:
	global_load_b32 v0, v0, s[2:3] offset:80
	s_wait_loadcnt 0x0
	v_cmp_eq_u32_e32 vcc_lo, 21, v0
	s_cbranch_vccnz .LBB28_204
; %bb.203:
	v_lshlrev_b32_e32 v0, 3, v0
	scratch_load_b64 v[59:60], v0, off offset:-8
	scratch_load_b64 v[61:62], off, off offset:160
	s_wait_loadcnt 0x1
	scratch_store_b64 off, v[59:60], off offset:160
	s_wait_loadcnt 0x0
	scratch_store_b64 v0, v[61:62], off offset:-8
.LBB28_204:
	v_mov_b32_e32 v0, 0
	global_load_b32 v59, v0, s[2:3] offset:76
	s_wait_loadcnt 0x0
	v_cmp_eq_u32_e32 vcc_lo, 20, v59
	s_cbranch_vccnz .LBB28_206
; %bb.205:
	v_lshlrev_b32_e32 v59, 3, v59
	s_delay_alu instid0(VALU_DEP_1)
	v_mov_b32_e32 v63, v59
	scratch_load_b64 v[59:60], v63, off offset:-8
	scratch_load_b64 v[61:62], off, off offset:152
	s_wait_loadcnt 0x1
	scratch_store_b64 off, v[59:60], off offset:152
	s_wait_loadcnt 0x0
	scratch_store_b64 v63, v[61:62], off offset:-8
.LBB28_206:
	global_load_b32 v0, v0, s[2:3] offset:72
	s_wait_loadcnt 0x0
	v_cmp_eq_u32_e32 vcc_lo, 19, v0
	s_cbranch_vccnz .LBB28_208
; %bb.207:
	v_lshlrev_b32_e32 v0, 3, v0
	scratch_load_b64 v[59:60], v0, off offset:-8
	scratch_load_b64 v[61:62], off, off offset:144
	s_wait_loadcnt 0x1
	scratch_store_b64 off, v[59:60], off offset:144
	s_wait_loadcnt 0x0
	scratch_store_b64 v0, v[61:62], off offset:-8
.LBB28_208:
	v_mov_b32_e32 v0, 0
	global_load_b32 v59, v0, s[2:3] offset:68
	s_wait_loadcnt 0x0
	v_cmp_eq_u32_e32 vcc_lo, 18, v59
	s_cbranch_vccnz .LBB28_210
; %bb.209:
	v_lshlrev_b32_e32 v59, 3, v59
	s_delay_alu instid0(VALU_DEP_1)
	v_mov_b32_e32 v63, v59
	scratch_load_b64 v[59:60], v63, off offset:-8
	scratch_load_b64 v[61:62], off, off offset:136
	s_wait_loadcnt 0x1
	scratch_store_b64 off, v[59:60], off offset:136
	s_wait_loadcnt 0x0
	scratch_store_b64 v63, v[61:62], off offset:-8
.LBB28_210:
	global_load_b32 v0, v0, s[2:3] offset:64
	s_wait_loadcnt 0x0
	v_cmp_eq_u32_e32 vcc_lo, 17, v0
	s_cbranch_vccnz .LBB28_212
; %bb.211:
	v_lshlrev_b32_e32 v0, 3, v0
	scratch_load_b64 v[59:60], v0, off offset:-8
	scratch_load_b64 v[61:62], off, off offset:128
	s_wait_loadcnt 0x1
	scratch_store_b64 off, v[59:60], off offset:128
	s_wait_loadcnt 0x0
	scratch_store_b64 v0, v[61:62], off offset:-8
.LBB28_212:
	v_mov_b32_e32 v0, 0
	global_load_b32 v59, v0, s[2:3] offset:60
	s_wait_loadcnt 0x0
	v_cmp_eq_u32_e32 vcc_lo, 16, v59
	s_cbranch_vccnz .LBB28_214
; %bb.213:
	v_lshlrev_b32_e32 v59, 3, v59
	s_delay_alu instid0(VALU_DEP_1)
	v_mov_b32_e32 v63, v59
	scratch_load_b64 v[59:60], v63, off offset:-8
	scratch_load_b64 v[61:62], off, off offset:120
	s_wait_loadcnt 0x1
	scratch_store_b64 off, v[59:60], off offset:120
	s_wait_loadcnt 0x0
	scratch_store_b64 v63, v[61:62], off offset:-8
.LBB28_214:
	global_load_b32 v0, v0, s[2:3] offset:56
	s_wait_loadcnt 0x0
	v_cmp_eq_u32_e32 vcc_lo, 15, v0
	s_cbranch_vccnz .LBB28_216
; %bb.215:
	v_lshlrev_b32_e32 v0, 3, v0
	scratch_load_b64 v[59:60], v0, off offset:-8
	scratch_load_b64 v[61:62], off, off offset:112
	s_wait_loadcnt 0x1
	scratch_store_b64 off, v[59:60], off offset:112
	s_wait_loadcnt 0x0
	scratch_store_b64 v0, v[61:62], off offset:-8
.LBB28_216:
	v_mov_b32_e32 v0, 0
	global_load_b32 v59, v0, s[2:3] offset:52
	s_wait_loadcnt 0x0
	v_cmp_eq_u32_e32 vcc_lo, 14, v59
	s_cbranch_vccnz .LBB28_218
; %bb.217:
	v_lshlrev_b32_e32 v59, 3, v59
	s_delay_alu instid0(VALU_DEP_1)
	v_mov_b32_e32 v63, v59
	scratch_load_b64 v[59:60], v63, off offset:-8
	scratch_load_b64 v[61:62], off, off offset:104
	s_wait_loadcnt 0x1
	scratch_store_b64 off, v[59:60], off offset:104
	s_wait_loadcnt 0x0
	scratch_store_b64 v63, v[61:62], off offset:-8
.LBB28_218:
	global_load_b32 v0, v0, s[2:3] offset:48
	s_wait_loadcnt 0x0
	v_cmp_eq_u32_e32 vcc_lo, 13, v0
	s_cbranch_vccnz .LBB28_220
; %bb.219:
	v_lshlrev_b32_e32 v0, 3, v0
	scratch_load_b64 v[59:60], v0, off offset:-8
	scratch_load_b64 v[61:62], off, off offset:96
	s_wait_loadcnt 0x1
	scratch_store_b64 off, v[59:60], off offset:96
	s_wait_loadcnt 0x0
	scratch_store_b64 v0, v[61:62], off offset:-8
.LBB28_220:
	v_mov_b32_e32 v0, 0
	global_load_b32 v59, v0, s[2:3] offset:44
	s_wait_loadcnt 0x0
	v_cmp_eq_u32_e32 vcc_lo, 12, v59
	s_cbranch_vccnz .LBB28_222
; %bb.221:
	v_lshlrev_b32_e32 v59, 3, v59
	s_delay_alu instid0(VALU_DEP_1)
	v_mov_b32_e32 v63, v59
	scratch_load_b64 v[59:60], v63, off offset:-8
	scratch_load_b64 v[61:62], off, off offset:88
	s_wait_loadcnt 0x1
	scratch_store_b64 off, v[59:60], off offset:88
	s_wait_loadcnt 0x0
	scratch_store_b64 v63, v[61:62], off offset:-8
.LBB28_222:
	global_load_b32 v0, v0, s[2:3] offset:40
	s_wait_loadcnt 0x0
	v_cmp_eq_u32_e32 vcc_lo, 11, v0
	s_cbranch_vccnz .LBB28_224
; %bb.223:
	v_lshlrev_b32_e32 v0, 3, v0
	scratch_load_b64 v[59:60], v0, off offset:-8
	scratch_load_b64 v[61:62], off, off offset:80
	s_wait_loadcnt 0x1
	scratch_store_b64 off, v[59:60], off offset:80
	s_wait_loadcnt 0x0
	scratch_store_b64 v0, v[61:62], off offset:-8
.LBB28_224:
	v_mov_b32_e32 v0, 0
	global_load_b32 v59, v0, s[2:3] offset:36
	s_wait_loadcnt 0x0
	v_cmp_eq_u32_e32 vcc_lo, 10, v59
	s_cbranch_vccnz .LBB28_226
; %bb.225:
	v_lshlrev_b32_e32 v59, 3, v59
	s_delay_alu instid0(VALU_DEP_1)
	v_mov_b32_e32 v63, v59
	scratch_load_b64 v[59:60], v63, off offset:-8
	scratch_load_b64 v[61:62], off, off offset:72
	s_wait_loadcnt 0x1
	scratch_store_b64 off, v[59:60], off offset:72
	s_wait_loadcnt 0x0
	scratch_store_b64 v63, v[61:62], off offset:-8
.LBB28_226:
	global_load_b32 v0, v0, s[2:3] offset:32
	s_wait_loadcnt 0x0
	v_cmp_eq_u32_e32 vcc_lo, 9, v0
	s_cbranch_vccnz .LBB28_228
; %bb.227:
	v_lshlrev_b32_e32 v0, 3, v0
	scratch_load_b64 v[59:60], v0, off offset:-8
	scratch_load_b64 v[61:62], off, off offset:64
	s_wait_loadcnt 0x1
	scratch_store_b64 off, v[59:60], off offset:64
	s_wait_loadcnt 0x0
	scratch_store_b64 v0, v[61:62], off offset:-8
.LBB28_228:
	v_mov_b32_e32 v0, 0
	global_load_b32 v59, v0, s[2:3] offset:28
	s_wait_loadcnt 0x0
	v_cmp_eq_u32_e32 vcc_lo, 8, v59
	s_cbranch_vccnz .LBB28_230
; %bb.229:
	v_lshlrev_b32_e32 v59, 3, v59
	s_delay_alu instid0(VALU_DEP_1)
	v_mov_b32_e32 v63, v59
	scratch_load_b64 v[59:60], v63, off offset:-8
	scratch_load_b64 v[61:62], off, off offset:56
	s_wait_loadcnt 0x1
	scratch_store_b64 off, v[59:60], off offset:56
	s_wait_loadcnt 0x0
	scratch_store_b64 v63, v[61:62], off offset:-8
.LBB28_230:
	global_load_b32 v0, v0, s[2:3] offset:24
	s_wait_loadcnt 0x0
	v_cmp_eq_u32_e32 vcc_lo, 7, v0
	s_cbranch_vccnz .LBB28_232
; %bb.231:
	v_lshlrev_b32_e32 v0, 3, v0
	scratch_load_b64 v[59:60], v0, off offset:-8
	scratch_load_b64 v[61:62], off, off offset:48
	s_wait_loadcnt 0x1
	scratch_store_b64 off, v[59:60], off offset:48
	s_wait_loadcnt 0x0
	scratch_store_b64 v0, v[61:62], off offset:-8
.LBB28_232:
	v_mov_b32_e32 v0, 0
	global_load_b32 v59, v0, s[2:3] offset:20
	s_wait_loadcnt 0x0
	v_cmp_eq_u32_e32 vcc_lo, 6, v59
	s_cbranch_vccnz .LBB28_234
; %bb.233:
	v_lshlrev_b32_e32 v59, 3, v59
	s_delay_alu instid0(VALU_DEP_1)
	v_mov_b32_e32 v63, v59
	scratch_load_b64 v[59:60], v63, off offset:-8
	scratch_load_b64 v[61:62], off, off offset:40
	s_wait_loadcnt 0x1
	scratch_store_b64 off, v[59:60], off offset:40
	s_wait_loadcnt 0x0
	scratch_store_b64 v63, v[61:62], off offset:-8
.LBB28_234:
	global_load_b32 v0, v0, s[2:3] offset:16
	s_wait_loadcnt 0x0
	v_cmp_eq_u32_e32 vcc_lo, 5, v0
	s_cbranch_vccnz .LBB28_236
; %bb.235:
	v_lshlrev_b32_e32 v0, 3, v0
	scratch_load_b64 v[59:60], v0, off offset:-8
	scratch_load_b64 v[61:62], off, off offset:32
	s_wait_loadcnt 0x1
	scratch_store_b64 off, v[59:60], off offset:32
	s_wait_loadcnt 0x0
	scratch_store_b64 v0, v[61:62], off offset:-8
.LBB28_236:
	v_mov_b32_e32 v0, 0
	global_load_b32 v59, v0, s[2:3] offset:12
	s_wait_loadcnt 0x0
	v_cmp_eq_u32_e32 vcc_lo, 4, v59
	s_cbranch_vccnz .LBB28_238
; %bb.237:
	v_lshlrev_b32_e32 v59, 3, v59
	s_delay_alu instid0(VALU_DEP_1)
	v_mov_b32_e32 v63, v59
	scratch_load_b64 v[59:60], v63, off offset:-8
	scratch_load_b64 v[61:62], off, off offset:24
	s_wait_loadcnt 0x1
	scratch_store_b64 off, v[59:60], off offset:24
	s_wait_loadcnt 0x0
	scratch_store_b64 v63, v[61:62], off offset:-8
.LBB28_238:
	global_load_b32 v0, v0, s[2:3] offset:8
	s_wait_loadcnt 0x0
	v_cmp_eq_u32_e32 vcc_lo, 3, v0
	s_cbranch_vccnz .LBB28_240
; %bb.239:
	v_lshlrev_b32_e32 v0, 3, v0
	scratch_load_b64 v[59:60], v0, off offset:-8
	scratch_load_b64 v[61:62], off, off offset:16
	s_wait_loadcnt 0x1
	scratch_store_b64 off, v[59:60], off offset:16
	s_wait_loadcnt 0x0
	scratch_store_b64 v0, v[61:62], off offset:-8
.LBB28_240:
	v_mov_b32_e32 v0, 0
	global_load_b32 v59, v0, s[2:3] offset:4
	s_wait_loadcnt 0x0
	v_cmp_eq_u32_e32 vcc_lo, 2, v59
	s_cbranch_vccnz .LBB28_242
; %bb.241:
	v_lshlrev_b32_e32 v59, 3, v59
	s_delay_alu instid0(VALU_DEP_1)
	v_mov_b32_e32 v63, v59
	scratch_load_b64 v[59:60], v63, off offset:-8
	scratch_load_b64 v[61:62], off, off offset:8
	s_wait_loadcnt 0x1
	scratch_store_b64 off, v[59:60], off offset:8
	s_wait_loadcnt 0x0
	scratch_store_b64 v63, v[61:62], off offset:-8
.LBB28_242:
	global_load_b32 v0, v0, s[2:3]
	s_wait_loadcnt 0x0
	v_cmp_eq_u32_e32 vcc_lo, 1, v0
	s_cbranch_vccnz .LBB28_244
; %bb.243:
	v_lshlrev_b32_e32 v0, 3, v0
	scratch_load_b64 v[59:60], v0, off offset:-8
	scratch_load_b64 v[61:62], off, off
	s_wait_loadcnt 0x1
	scratch_store_b64 off, v[59:60], off
	s_wait_loadcnt 0x0
	scratch_store_b64 v0, v[61:62], off offset:-8
.LBB28_244:
	s_clause 0xe
	scratch_load_b128 v[59:62], off, off
	scratch_load_b128 v[63:66], off, off offset:16
	scratch_load_b128 v[67:70], off, off offset:32
	;; [unrolled: 1-line block ×13, first 2 shown]
	scratch_load_b64 v[115:116], off, off offset:224
	s_wait_loadcnt 0xe
	s_clause 0x1
	global_store_b64 v[1:2], v[59:60], off
	global_store_b64 v[3:4], v[61:62], off
	s_wait_loadcnt 0xd
	s_clause 0x1
	global_store_b64 v[5:6], v[63:64], off
	global_store_b64 v[7:8], v[65:66], off
	;; [unrolled: 4-line block ×14, first 2 shown]
	s_wait_loadcnt 0x0
	global_store_b64 v[57:58], v[115:116], off
	s_nop 0
	s_sendmsg sendmsg(MSG_DEALLOC_VGPRS)
	s_endpgm
	.section	.rodata,"a",@progbits
	.p2align	6, 0x0
	.amdhsa_kernel _ZN9rocsolver6v33100L18getri_kernel_smallILi29E19rocblas_complex_numIfEPS3_EEvT1_iilPiilS6_bb
		.amdhsa_group_segment_fixed_size 472
		.amdhsa_private_segment_fixed_size 240
		.amdhsa_kernarg_size 60
		.amdhsa_user_sgpr_count 2
		.amdhsa_user_sgpr_dispatch_ptr 0
		.amdhsa_user_sgpr_queue_ptr 0
		.amdhsa_user_sgpr_kernarg_segment_ptr 1
		.amdhsa_user_sgpr_dispatch_id 0
		.amdhsa_user_sgpr_private_segment_size 0
		.amdhsa_wavefront_size32 1
		.amdhsa_uses_dynamic_stack 0
		.amdhsa_enable_private_segment 1
		.amdhsa_system_sgpr_workgroup_id_x 1
		.amdhsa_system_sgpr_workgroup_id_y 0
		.amdhsa_system_sgpr_workgroup_id_z 0
		.amdhsa_system_sgpr_workgroup_info 0
		.amdhsa_system_vgpr_workitem_id 0
		.amdhsa_next_free_vgpr 200
		.amdhsa_next_free_sgpr 19
		.amdhsa_reserve_vcc 1
		.amdhsa_float_round_mode_32 0
		.amdhsa_float_round_mode_16_64 0
		.amdhsa_float_denorm_mode_32 3
		.amdhsa_float_denorm_mode_16_64 3
		.amdhsa_fp16_overflow 0
		.amdhsa_workgroup_processor_mode 1
		.amdhsa_memory_ordered 1
		.amdhsa_forward_progress 1
		.amdhsa_inst_pref_size 255
		.amdhsa_round_robin_scheduling 0
		.amdhsa_exception_fp_ieee_invalid_op 0
		.amdhsa_exception_fp_denorm_src 0
		.amdhsa_exception_fp_ieee_div_zero 0
		.amdhsa_exception_fp_ieee_overflow 0
		.amdhsa_exception_fp_ieee_underflow 0
		.amdhsa_exception_fp_ieee_inexact 0
		.amdhsa_exception_int_div_zero 0
	.end_amdhsa_kernel
	.section	.text._ZN9rocsolver6v33100L18getri_kernel_smallILi29E19rocblas_complex_numIfEPS3_EEvT1_iilPiilS6_bb,"axG",@progbits,_ZN9rocsolver6v33100L18getri_kernel_smallILi29E19rocblas_complex_numIfEPS3_EEvT1_iilPiilS6_bb,comdat
.Lfunc_end28:
	.size	_ZN9rocsolver6v33100L18getri_kernel_smallILi29E19rocblas_complex_numIfEPS3_EEvT1_iilPiilS6_bb, .Lfunc_end28-_ZN9rocsolver6v33100L18getri_kernel_smallILi29E19rocblas_complex_numIfEPS3_EEvT1_iilPiilS6_bb
                                        ; -- End function
	.set _ZN9rocsolver6v33100L18getri_kernel_smallILi29E19rocblas_complex_numIfEPS3_EEvT1_iilPiilS6_bb.num_vgpr, 200
	.set _ZN9rocsolver6v33100L18getri_kernel_smallILi29E19rocblas_complex_numIfEPS3_EEvT1_iilPiilS6_bb.num_agpr, 0
	.set _ZN9rocsolver6v33100L18getri_kernel_smallILi29E19rocblas_complex_numIfEPS3_EEvT1_iilPiilS6_bb.numbered_sgpr, 19
	.set _ZN9rocsolver6v33100L18getri_kernel_smallILi29E19rocblas_complex_numIfEPS3_EEvT1_iilPiilS6_bb.num_named_barrier, 0
	.set _ZN9rocsolver6v33100L18getri_kernel_smallILi29E19rocblas_complex_numIfEPS3_EEvT1_iilPiilS6_bb.private_seg_size, 240
	.set _ZN9rocsolver6v33100L18getri_kernel_smallILi29E19rocblas_complex_numIfEPS3_EEvT1_iilPiilS6_bb.uses_vcc, 1
	.set _ZN9rocsolver6v33100L18getri_kernel_smallILi29E19rocblas_complex_numIfEPS3_EEvT1_iilPiilS6_bb.uses_flat_scratch, 1
	.set _ZN9rocsolver6v33100L18getri_kernel_smallILi29E19rocblas_complex_numIfEPS3_EEvT1_iilPiilS6_bb.has_dyn_sized_stack, 0
	.set _ZN9rocsolver6v33100L18getri_kernel_smallILi29E19rocblas_complex_numIfEPS3_EEvT1_iilPiilS6_bb.has_recursion, 0
	.set _ZN9rocsolver6v33100L18getri_kernel_smallILi29E19rocblas_complex_numIfEPS3_EEvT1_iilPiilS6_bb.has_indirect_call, 0
	.section	.AMDGPU.csdata,"",@progbits
; Kernel info:
; codeLenInByte = 35020
; TotalNumSgprs: 21
; NumVgprs: 200
; ScratchSize: 240
; MemoryBound: 0
; FloatMode: 240
; IeeeMode: 1
; LDSByteSize: 472 bytes/workgroup (compile time only)
; SGPRBlocks: 0
; VGPRBlocks: 24
; NumSGPRsForWavesPerEU: 21
; NumVGPRsForWavesPerEU: 200
; Occupancy: 7
; WaveLimiterHint : 1
; COMPUTE_PGM_RSRC2:SCRATCH_EN: 1
; COMPUTE_PGM_RSRC2:USER_SGPR: 2
; COMPUTE_PGM_RSRC2:TRAP_HANDLER: 0
; COMPUTE_PGM_RSRC2:TGID_X_EN: 1
; COMPUTE_PGM_RSRC2:TGID_Y_EN: 0
; COMPUTE_PGM_RSRC2:TGID_Z_EN: 0
; COMPUTE_PGM_RSRC2:TIDIG_COMP_CNT: 0
	.section	.text._ZN9rocsolver6v33100L18getri_kernel_smallILi30E19rocblas_complex_numIfEPS3_EEvT1_iilPiilS6_bb,"axG",@progbits,_ZN9rocsolver6v33100L18getri_kernel_smallILi30E19rocblas_complex_numIfEPS3_EEvT1_iilPiilS6_bb,comdat
	.globl	_ZN9rocsolver6v33100L18getri_kernel_smallILi30E19rocblas_complex_numIfEPS3_EEvT1_iilPiilS6_bb ; -- Begin function _ZN9rocsolver6v33100L18getri_kernel_smallILi30E19rocblas_complex_numIfEPS3_EEvT1_iilPiilS6_bb
	.p2align	8
	.type	_ZN9rocsolver6v33100L18getri_kernel_smallILi30E19rocblas_complex_numIfEPS3_EEvT1_iilPiilS6_bb,@function
_ZN9rocsolver6v33100L18getri_kernel_smallILi30E19rocblas_complex_numIfEPS3_EEvT1_iilPiilS6_bb: ; @_ZN9rocsolver6v33100L18getri_kernel_smallILi30E19rocblas_complex_numIfEPS3_EEvT1_iilPiilS6_bb
; %bb.0:
	s_mov_b32 s2, exec_lo
	v_cmpx_gt_u32_e32 30, v0
	s_cbranch_execz .LBB29_134
; %bb.1:
	s_clause 0x2
	s_load_b32 s2, s[0:1], 0x38
	s_load_b128 s[12:15], s[0:1], 0x10
	s_load_b128 s[4:7], s[0:1], 0x28
	s_mov_b32 s16, ttmp9
	s_wait_kmcnt 0x0
	s_bitcmp1_b32 s2, 8
	s_cselect_b32 s18, -1, 0
	s_bfe_u32 s2, s2, 0x10008
	s_ashr_i32 s17, ttmp9, 31
	s_cmp_eq_u32 s2, 0
                                        ; implicit-def: $sgpr2_sgpr3
	s_cbranch_scc1 .LBB29_3
; %bb.2:
	s_load_b32 s2, s[0:1], 0x20
	s_mul_u64 s[4:5], s[4:5], s[16:17]
	s_delay_alu instid0(SALU_CYCLE_1) | instskip(NEXT) | instid1(SALU_CYCLE_1)
	s_lshl_b64 s[4:5], s[4:5], 2
	s_add_nc_u64 s[4:5], s[14:15], s[4:5]
	s_wait_kmcnt 0x0
	s_ashr_i32 s3, s2, 31
	s_delay_alu instid0(SALU_CYCLE_1) | instskip(NEXT) | instid1(SALU_CYCLE_1)
	s_lshl_b64 s[2:3], s[2:3], 2
	s_add_nc_u64 s[2:3], s[4:5], s[2:3]
.LBB29_3:
	s_clause 0x1
	s_load_b128 s[8:11], s[0:1], 0x0
	s_load_b32 s4, s[0:1], 0x38
	s_mul_u64 s[0:1], s[12:13], s[16:17]
	v_lshlrev_b32_e32 v67, 3, v0
	s_lshl_b64 s[0:1], s[0:1], 3
	s_wait_kmcnt 0x0
	v_add3_u32 v3, s11, s11, v0
	s_ashr_i32 s13, s10, 31
	s_mov_b32 s12, s10
	s_add_nc_u64 s[0:1], s[8:9], s[0:1]
	s_lshl_b64 s[12:13], s[12:13], 3
	v_add_nc_u32_e32 v5, s11, v3
	v_ashrrev_i32_e32 v4, 31, v3
	s_add_nc_u64 s[0:1], s[0:1], s[12:13]
	s_ashr_i32 s9, s11, 31
	v_add_co_u32 v1, s5, s0, v67
	v_add_nc_u32_e32 v9, s11, v5
	v_ashrrev_i32_e32 v6, 31, v5
	s_mov_b32 s8, s11
	v_lshlrev_b64_e32 v[7:8], 3, v[3:4]
	v_add_co_ci_u32_e64 v2, null, s1, 0, s5
	v_add_nc_u32_e32 v13, s11, v9
	s_lshl_b64 s[8:9], s[8:9], 3
	v_lshlrev_b64_e32 v[11:12], 3, v[5:6]
	v_add_co_u32 v3, vcc_lo, v1, s8
	s_delay_alu instid0(VALU_DEP_3)
	v_ashrrev_i32_e32 v14, 31, v13
	v_add_nc_u32_e32 v15, s11, v13
	v_add_co_ci_u32_e64 v4, null, s9, v2, vcc_lo
	v_add_co_u32 v5, vcc_lo, s0, v7
	s_wait_alu 0xfffd
	v_add_co_ci_u32_e64 v6, null, s1, v8, vcc_lo
	v_add_co_u32 v7, vcc_lo, s0, v11
	s_wait_alu 0xfffd
	v_add_co_ci_u32_e64 v8, null, s1, v12, vcc_lo
	v_lshlrev_b64_e32 v[11:12], 3, v[13:14]
	v_add_nc_u32_e32 v13, s11, v15
	v_ashrrev_i32_e32 v10, 31, v9
	v_ashrrev_i32_e32 v16, 31, v15
	global_load_b64 v[61:62], v67, s[0:1]
	s_bitcmp0_b32 s4, 0
	v_add_nc_u32_e32 v17, s11, v13
	v_lshlrev_b64_e32 v[9:10], 3, v[9:10]
	v_ashrrev_i32_e32 v14, 31, v13
	v_lshlrev_b64_e32 v[15:16], 3, v[15:16]
	s_delay_alu instid0(VALU_DEP_4)
	v_ashrrev_i32_e32 v18, 31, v17
	v_add_nc_u32_e32 v23, s11, v17
	v_add_co_u32 v9, vcc_lo, s0, v9
	v_lshlrev_b64_e32 v[19:20], 3, v[13:14]
	s_wait_alu 0xfffd
	v_add_co_ci_u32_e64 v10, null, s1, v10, vcc_lo
	v_add_co_u32 v11, vcc_lo, s0, v11
	v_lshlrev_b64_e32 v[21:22], 3, v[17:18]
	s_wait_alu 0xfffd
	v_add_co_ci_u32_e64 v12, null, s1, v12, vcc_lo
	v_add_co_u32 v13, vcc_lo, s0, v15
	s_wait_alu 0xfffd
	v_add_co_ci_u32_e64 v14, null, s1, v16, vcc_lo
	v_add_co_u32 v15, vcc_lo, s0, v19
	v_ashrrev_i32_e32 v24, 31, v23
	v_add_nc_u32_e32 v19, s11, v23
	s_wait_alu 0xfffd
	v_add_co_ci_u32_e64 v16, null, s1, v20, vcc_lo
	v_add_co_u32 v17, vcc_lo, s0, v21
	s_wait_alu 0xfffd
	v_add_co_ci_u32_e64 v18, null, s1, v22, vcc_lo
	v_lshlrev_b64_e32 v[21:22], 3, v[23:24]
	v_add_nc_u32_e32 v23, s11, v19
	v_ashrrev_i32_e32 v20, 31, v19
	s_clause 0x7
	global_load_b64 v[63:64], v[3:4], off
	global_load_b64 v[68:69], v[5:6], off
	global_load_b64 v[70:71], v[7:8], off
	global_load_b64 v[72:73], v[9:10], off
	global_load_b64 v[74:75], v[11:12], off
	global_load_b64 v[76:77], v[13:14], off
	global_load_b64 v[78:79], v[15:16], off
	global_load_b64 v[80:81], v[17:18], off
	v_add_nc_u32_e32 v27, s11, v23
	v_lshlrev_b64_e32 v[25:26], 3, v[19:20]
	v_add_co_u32 v19, vcc_lo, s0, v21
	s_wait_alu 0xfffd
	v_add_co_ci_u32_e64 v20, null, s1, v22, vcc_lo
	v_ashrrev_i32_e32 v28, 31, v27
	v_add_nc_u32_e32 v29, s11, v27
	v_add_co_u32 v21, vcc_lo, s0, v25
	s_wait_alu 0xfffd
	v_add_co_ci_u32_e64 v22, null, s1, v26, vcc_lo
	v_lshlrev_b64_e32 v[25:26], 3, v[27:28]
	v_add_nc_u32_e32 v27, s11, v29
	v_ashrrev_i32_e32 v24, 31, v23
	v_ashrrev_i32_e32 v30, 31, v29
	s_delay_alu instid0(VALU_DEP_3) | instskip(NEXT) | instid1(VALU_DEP_3)
	v_add_nc_u32_e32 v31, s11, v27
	v_lshlrev_b64_e32 v[23:24], 3, v[23:24]
	v_ashrrev_i32_e32 v28, 31, v27
	s_delay_alu instid0(VALU_DEP_4) | instskip(NEXT) | instid1(VALU_DEP_4)
	v_lshlrev_b64_e32 v[29:30], 3, v[29:30]
	v_add_nc_u32_e32 v35, s11, v31
	v_ashrrev_i32_e32 v32, 31, v31
	v_add_co_u32 v23, vcc_lo, s0, v23
	v_lshlrev_b64_e32 v[33:34], 3, v[27:28]
	s_delay_alu instid0(VALU_DEP_4) | instskip(SKIP_3) | instid1(VALU_DEP_3)
	v_add_nc_u32_e32 v37, s11, v35
	s_wait_alu 0xfffd
	v_add_co_ci_u32_e64 v24, null, s1, v24, vcc_lo
	v_add_co_u32 v25, vcc_lo, s0, v25
	v_add_nc_u32_e32 v39, s11, v37
	v_ashrrev_i32_e32 v36, 31, v35
	v_ashrrev_i32_e32 v38, 31, v37
	s_wait_alu 0xfffd
	v_add_co_ci_u32_e64 v26, null, s1, v26, vcc_lo
	v_ashrrev_i32_e32 v40, 31, v39
	v_add_nc_u32_e32 v41, s11, v39
	v_add_co_u32 v27, vcc_lo, s0, v29
	s_wait_alu 0xfffd
	v_add_co_ci_u32_e64 v28, null, s1, v30, vcc_lo
	v_add_co_u32 v29, vcc_lo, s0, v33
	s_wait_alu 0xfffd
	v_add_co_ci_u32_e64 v30, null, s1, v34, vcc_lo
	v_lshlrev_b64_e32 v[33:34], 3, v[35:36]
	v_lshlrev_b64_e32 v[35:36], 3, v[37:38]
	;; [unrolled: 1-line block ×3, first 2 shown]
	v_add_nc_u32_e32 v39, s11, v41
	v_lshlrev_b64_e32 v[31:32], 3, v[31:32]
	v_ashrrev_i32_e32 v42, 31, v41
	s_clause 0x3
	global_load_b64 v[82:83], v[19:20], off
	global_load_b64 v[84:85], v[21:22], off
	;; [unrolled: 1-line block ×4, first 2 shown]
	v_add_nc_u32_e32 v43, s11, v39
	v_ashrrev_i32_e32 v40, 31, v39
	v_add_co_u32 v31, vcc_lo, s0, v31
	s_wait_alu 0xfffd
	v_add_co_ci_u32_e64 v32, null, s1, v32, vcc_lo
	v_add_nc_u32_e32 v47, s11, v43
	v_add_co_u32 v33, vcc_lo, s0, v33
	v_lshlrev_b64_e32 v[41:42], 3, v[41:42]
	s_wait_alu 0xfffd
	v_add_co_ci_u32_e64 v34, null, s1, v34, vcc_lo
	v_add_nc_u32_e32 v49, s11, v47
	v_add_co_u32 v35, vcc_lo, s0, v35
	v_lshlrev_b64_e32 v[45:46], 3, v[39:40]
	s_wait_alu 0xfffd
	v_add_co_ci_u32_e64 v36, null, s1, v36, vcc_lo
	v_add_co_u32 v37, vcc_lo, s0, v37
	v_ashrrev_i32_e32 v48, 31, v47
	v_ashrrev_i32_e32 v50, 31, v49
	v_add_nc_u32_e32 v51, s11, v49
	s_wait_alu 0xfffd
	v_add_co_ci_u32_e64 v38, null, s1, v38, vcc_lo
	v_add_co_u32 v39, vcc_lo, s0, v41
	v_ashrrev_i32_e32 v44, 31, v43
	s_wait_alu 0xfffd
	v_add_co_ci_u32_e64 v40, null, s1, v42, vcc_lo
	v_add_co_u32 v41, vcc_lo, s0, v45
	s_wait_alu 0xfffd
	v_add_co_ci_u32_e64 v42, null, s1, v46, vcc_lo
	v_lshlrev_b64_e32 v[45:46], 3, v[47:48]
	v_lshlrev_b64_e32 v[47:48], 3, v[49:50]
	v_add_nc_u32_e32 v49, s11, v51
	v_lshlrev_b64_e32 v[43:44], 3, v[43:44]
	v_ashrrev_i32_e32 v52, 31, v51
	s_clause 0x7
	global_load_b64 v[90:91], v[27:28], off
	global_load_b64 v[92:93], v[29:30], off
	;; [unrolled: 1-line block ×8, first 2 shown]
	v_ashrrev_i32_e32 v50, 31, v49
	v_add_nc_u32_e32 v53, s11, v49
	v_add_co_u32 v43, vcc_lo, s0, v43
	v_lshlrev_b64_e32 v[51:52], 3, v[51:52]
	s_wait_alu 0xfffd
	v_add_co_ci_u32_e64 v44, null, s1, v44, vcc_lo
	v_add_co_u32 v45, vcc_lo, s0, v45
	v_lshlrev_b64_e32 v[55:56], 3, v[49:50]
	v_add_nc_u32_e32 v57, s11, v53
	s_wait_alu 0xfffd
	v_add_co_ci_u32_e64 v46, null, s1, v46, vcc_lo
	v_add_co_u32 v47, vcc_lo, s0, v47
	s_wait_alu 0xfffd
	v_add_co_ci_u32_e64 v48, null, s1, v48, vcc_lo
	v_add_co_u32 v49, vcc_lo, s0, v51
	s_wait_alu 0xfffd
	v_add_co_ci_u32_e64 v50, null, s1, v52, vcc_lo
	v_add_co_u32 v51, vcc_lo, s0, v55
	v_add_nc_u32_e32 v55, s11, v57
	v_ashrrev_i32_e32 v54, 31, v53
	v_ashrrev_i32_e32 v58, 31, v57
	s_wait_alu 0xfffd
	v_add_co_ci_u32_e64 v52, null, s1, v56, vcc_lo
	v_add_nc_u32_e32 v59, s11, v55
	v_ashrrev_i32_e32 v56, 31, v55
	v_lshlrev_b64_e32 v[53:54], 3, v[53:54]
	v_lshlrev_b64_e32 v[57:58], 3, v[57:58]
	s_clause 0x3
	global_load_b64 v[106:107], v[43:44], off
	global_load_b64 v[108:109], v[45:46], off
	;; [unrolled: 1-line block ×4, first 2 shown]
	v_ashrrev_i32_e32 v60, 31, v59
	v_lshlrev_b64_e32 v[65:66], 3, v[55:56]
	v_add_co_u32 v53, vcc_lo, s0, v53
	s_delay_alu instid0(VALU_DEP_3)
	v_lshlrev_b64_e32 v[59:60], 3, v[59:60]
	s_wait_alu 0xfffd
	v_add_co_ci_u32_e64 v54, null, s1, v54, vcc_lo
	v_add_co_u32 v55, vcc_lo, s0, v57
	s_wait_alu 0xfffd
	v_add_co_ci_u32_e64 v56, null, s1, v58, vcc_lo
	v_add_co_u32 v57, vcc_lo, s0, v65
	;; [unrolled: 3-line block ×3, first 2 shown]
	s_wait_alu 0xfffd
	v_add_co_ci_u32_e64 v60, null, s1, v60, vcc_lo
	s_clause 0x4
	global_load_b64 v[114:115], v[51:52], off
	global_load_b64 v[116:117], v[53:54], off
	;; [unrolled: 1-line block ×5, first 2 shown]
	s_mov_b32 s1, -1
	s_wait_loadcnt 0x1c
	scratch_store_b128 off, v[61:64], off
	s_wait_loadcnt 0x1a
	scratch_store_b128 off, v[68:71], off offset:16
	s_wait_loadcnt 0x18
	scratch_store_b128 off, v[72:75], off offset:32
	s_wait_loadcnt 0x16
	scratch_store_b128 off, v[76:79], off offset:48
	s_wait_loadcnt 0x14
	scratch_store_b128 off, v[80:83], off offset:64
	s_wait_loadcnt 0x12
	scratch_store_b128 off, v[84:87], off offset:80
	s_wait_loadcnt 0x10
	scratch_store_b128 off, v[88:91], off offset:96
	s_wait_loadcnt 0xe
	scratch_store_b128 off, v[92:95], off offset:112
	s_wait_loadcnt 0xc
	scratch_store_b128 off, v[96:99], off offset:128
	s_wait_loadcnt 0xa
	scratch_store_b128 off, v[100:103], off offset:144
	s_wait_loadcnt 0x8
	scratch_store_b128 off, v[104:107], off offset:160
	s_wait_loadcnt 0x6
	scratch_store_b128 off, v[108:111], off offset:176
	s_wait_loadcnt 0x4
	scratch_store_b128 off, v[112:115], off offset:192
	s_wait_loadcnt 0x2
	scratch_store_b128 off, v[116:119], off offset:208
	s_wait_loadcnt 0x0
	scratch_store_b128 off, v[120:123], off offset:224
	s_cbranch_scc1 .LBB29_132
; %bb.4:
	v_cmp_eq_u32_e64 s0, 0, v0
	s_and_saveexec_b32 s1, s0
; %bb.5:
	v_mov_b32_e32 v61, 0
	ds_store_b32 v61, v61 offset:480
; %bb.6:
	s_wait_alu 0xfffe
	s_or_b32 exec_lo, exec_lo, s1
	s_wait_storecnt_dscnt 0x0
	s_barrier_signal -1
	s_barrier_wait -1
	global_inv scope:SCOPE_SE
	scratch_load_b64 v[61:62], v67, off
	s_wait_loadcnt 0x0
	v_cmp_eq_f32_e32 vcc_lo, 0, v61
	v_cmp_eq_f32_e64 s1, 0, v62
	s_and_b32 s1, vcc_lo, s1
	s_wait_alu 0xfffe
	s_and_saveexec_b32 s4, s1
	s_cbranch_execz .LBB29_10
; %bb.7:
	v_mov_b32_e32 v61, 0
	s_mov_b32 s5, 0
	ds_load_b32 v62, v61 offset:480
	s_wait_dscnt 0x0
	v_readfirstlane_b32 s1, v62
	v_add_nc_u32_e32 v62, 1, v0
	s_cmp_eq_u32 s1, 0
	s_delay_alu instid0(VALU_DEP_1)
	v_cmp_gt_i32_e32 vcc_lo, s1, v62
	s_cselect_b32 s8, -1, 0
	s_wait_alu 0xfffe
	s_or_b32 s8, s8, vcc_lo
	s_wait_alu 0xfffe
	s_and_b32 exec_lo, exec_lo, s8
	s_cbranch_execz .LBB29_10
; %bb.8:
	v_mov_b32_e32 v63, s1
.LBB29_9:                               ; =>This Inner Loop Header: Depth=1
	ds_cmpstore_rtn_b32 v63, v61, v62, v63 offset:480
	s_wait_dscnt 0x0
	v_cmp_ne_u32_e32 vcc_lo, 0, v63
	v_cmp_le_i32_e64 s1, v63, v62
	s_and_b32 s1, vcc_lo, s1
	s_wait_alu 0xfffe
	s_and_b32 s1, exec_lo, s1
	s_wait_alu 0xfffe
	s_or_b32 s5, s1, s5
	s_wait_alu 0xfffe
	s_and_not1_b32 exec_lo, exec_lo, s5
	s_cbranch_execnz .LBB29_9
.LBB29_10:
	s_wait_alu 0xfffe
	s_or_b32 exec_lo, exec_lo, s4
	v_mov_b32_e32 v61, 0
	s_barrier_signal -1
	s_barrier_wait -1
	global_inv scope:SCOPE_SE
	ds_load_b32 v62, v61 offset:480
	s_and_saveexec_b32 s1, s0
	s_cbranch_execz .LBB29_12
; %bb.11:
	s_lshl_b64 s[4:5], s[16:17], 2
	s_wait_alu 0xfffe
	s_add_nc_u64 s[4:5], s[6:7], s[4:5]
	s_wait_dscnt 0x0
	global_store_b32 v61, v62, s[4:5]
.LBB29_12:
	s_wait_alu 0xfffe
	s_or_b32 exec_lo, exec_lo, s1
	s_wait_dscnt 0x0
	v_cmp_ne_u32_e32 vcc_lo, 0, v62
	s_mov_b32 s1, 0
	s_cbranch_vccnz .LBB29_132
; %bb.13:
	v_mov_b32_e32 v68, v67
                                        ; implicit-def: $vgpr63
                                        ; implicit-def: $vgpr65
	scratch_load_b64 v[61:62], v68, off
	s_wait_loadcnt 0x0
	v_cmp_ngt_f32_e64 s1, |v61|, |v62|
	s_wait_alu 0xfffe
	s_and_saveexec_b32 s4, s1
	s_wait_alu 0xfffe
	s_xor_b32 s1, exec_lo, s4
	s_cbranch_execz .LBB29_15
; %bb.14:
	v_div_scale_f32 v63, null, v62, v62, v61
	v_div_scale_f32 v66, vcc_lo, v61, v62, v61
	s_delay_alu instid0(VALU_DEP_2) | instskip(NEXT) | instid1(TRANS32_DEP_1)
	v_rcp_f32_e32 v64, v63
	v_fma_f32 v65, -v63, v64, 1.0
	s_delay_alu instid0(VALU_DEP_1) | instskip(NEXT) | instid1(VALU_DEP_1)
	v_fmac_f32_e32 v64, v65, v64
	v_mul_f32_e32 v65, v66, v64
	s_delay_alu instid0(VALU_DEP_1) | instskip(NEXT) | instid1(VALU_DEP_1)
	v_fma_f32 v69, -v63, v65, v66
	v_fmac_f32_e32 v65, v69, v64
	s_delay_alu instid0(VALU_DEP_1) | instskip(SKIP_1) | instid1(VALU_DEP_1)
	v_fma_f32 v63, -v63, v65, v66
	s_wait_alu 0xfffd
	v_div_fmas_f32 v63, v63, v64, v65
	s_delay_alu instid0(VALU_DEP_1) | instskip(NEXT) | instid1(VALU_DEP_1)
	v_div_fixup_f32 v63, v63, v62, v61
	v_fmac_f32_e32 v62, v61, v63
	s_delay_alu instid0(VALU_DEP_1) | instskip(NEXT) | instid1(VALU_DEP_1)
	v_div_scale_f32 v61, null, v62, v62, 1.0
	v_rcp_f32_e32 v64, v61
	s_delay_alu instid0(TRANS32_DEP_1) | instskip(NEXT) | instid1(VALU_DEP_1)
	v_fma_f32 v65, -v61, v64, 1.0
	v_fmac_f32_e32 v64, v65, v64
	v_div_scale_f32 v65, vcc_lo, 1.0, v62, 1.0
	s_delay_alu instid0(VALU_DEP_1) | instskip(NEXT) | instid1(VALU_DEP_1)
	v_mul_f32_e32 v66, v65, v64
	v_fma_f32 v69, -v61, v66, v65
	s_delay_alu instid0(VALU_DEP_1) | instskip(NEXT) | instid1(VALU_DEP_1)
	v_fmac_f32_e32 v66, v69, v64
	v_fma_f32 v61, -v61, v66, v65
	s_wait_alu 0xfffd
	s_delay_alu instid0(VALU_DEP_1) | instskip(NEXT) | instid1(VALU_DEP_1)
	v_div_fmas_f32 v61, v61, v64, v66
	v_div_fixup_f32 v61, v61, v62, 1.0
	s_delay_alu instid0(VALU_DEP_1) | instskip(SKIP_1) | instid1(VALU_DEP_2)
	v_mul_f32_e32 v63, v63, v61
	v_xor_b32_e32 v64, 0x80000000, v61
                                        ; implicit-def: $vgpr61_vgpr62
	v_xor_b32_e32 v65, 0x80000000, v63
.LBB29_15:
	s_wait_alu 0xfffe
	s_and_not1_saveexec_b32 s1, s1
	s_cbranch_execz .LBB29_17
; %bb.16:
	v_div_scale_f32 v63, null, v61, v61, v62
	v_div_scale_f32 v66, vcc_lo, v62, v61, v62
	s_delay_alu instid0(VALU_DEP_2) | instskip(NEXT) | instid1(TRANS32_DEP_1)
	v_rcp_f32_e32 v64, v63
	v_fma_f32 v65, -v63, v64, 1.0
	s_delay_alu instid0(VALU_DEP_1) | instskip(NEXT) | instid1(VALU_DEP_1)
	v_fmac_f32_e32 v64, v65, v64
	v_mul_f32_e32 v65, v66, v64
	s_delay_alu instid0(VALU_DEP_1) | instskip(NEXT) | instid1(VALU_DEP_1)
	v_fma_f32 v69, -v63, v65, v66
	v_fmac_f32_e32 v65, v69, v64
	s_delay_alu instid0(VALU_DEP_1) | instskip(SKIP_1) | instid1(VALU_DEP_1)
	v_fma_f32 v63, -v63, v65, v66
	s_wait_alu 0xfffd
	v_div_fmas_f32 v63, v63, v64, v65
	s_delay_alu instid0(VALU_DEP_1) | instskip(NEXT) | instid1(VALU_DEP_1)
	v_div_fixup_f32 v64, v63, v61, v62
	v_fmac_f32_e32 v61, v62, v64
	s_delay_alu instid0(VALU_DEP_1) | instskip(SKIP_1) | instid1(VALU_DEP_2)
	v_div_scale_f32 v62, null, v61, v61, 1.0
	v_div_scale_f32 v66, vcc_lo, 1.0, v61, 1.0
	v_rcp_f32_e32 v63, v62
	s_delay_alu instid0(TRANS32_DEP_1) | instskip(NEXT) | instid1(VALU_DEP_1)
	v_fma_f32 v65, -v62, v63, 1.0
	v_fmac_f32_e32 v63, v65, v63
	s_delay_alu instid0(VALU_DEP_1) | instskip(NEXT) | instid1(VALU_DEP_1)
	v_mul_f32_e32 v65, v66, v63
	v_fma_f32 v69, -v62, v65, v66
	s_delay_alu instid0(VALU_DEP_1) | instskip(NEXT) | instid1(VALU_DEP_1)
	v_fmac_f32_e32 v65, v69, v63
	v_fma_f32 v62, -v62, v65, v66
	s_wait_alu 0xfffd
	s_delay_alu instid0(VALU_DEP_1) | instskip(NEXT) | instid1(VALU_DEP_1)
	v_div_fmas_f32 v62, v62, v63, v65
	v_div_fixup_f32 v63, v62, v61, 1.0
	s_delay_alu instid0(VALU_DEP_1)
	v_xor_b32_e32 v65, 0x80000000, v63
	v_mul_f32_e64 v64, v64, -v63
.LBB29_17:
	s_wait_alu 0xfffe
	s_or_b32 exec_lo, exec_lo, s1
	scratch_store_b64 v68, v[63:64], off
	scratch_load_b64 v[62:63], off, off offset:8
	v_xor_b32_e32 v66, 0x80000000, v64
	v_add_nc_u32_e32 v61, 0xf0, v67
	s_wait_loadcnt 0x0
	ds_store_2addr_b64 v67, v[65:66], v[62:63] offset1:30
	s_wait_storecnt_dscnt 0x0
	s_barrier_signal -1
	s_barrier_wait -1
	global_inv scope:SCOPE_SE
	s_and_saveexec_b32 s1, s0
	s_cbranch_execz .LBB29_19
; %bb.18:
	scratch_load_b64 v[62:63], v68, off
	ds_load_b64 v[64:65], v61
	v_mov_b32_e32 v66, 0
	ds_load_b64 v[69:70], v66 offset:8
	s_wait_loadcnt_dscnt 0x1
	v_mul_f32_e32 v66, v64, v63
	v_mul_f32_e32 v63, v65, v63
	s_delay_alu instid0(VALU_DEP_2) | instskip(NEXT) | instid1(VALU_DEP_2)
	v_fmac_f32_e32 v66, v65, v62
	v_fma_f32 v62, v64, v62, -v63
	s_delay_alu instid0(VALU_DEP_2) | instskip(NEXT) | instid1(VALU_DEP_2)
	v_add_f32_e32 v64, 0, v66
	v_add_f32_e32 v62, 0, v62
	s_wait_dscnt 0x0
	s_delay_alu instid0(VALU_DEP_2) | instskip(NEXT) | instid1(VALU_DEP_2)
	v_mul_f32_e32 v65, v64, v70
	v_mul_f32_e32 v63, v62, v70
	s_delay_alu instid0(VALU_DEP_2) | instskip(NEXT) | instid1(VALU_DEP_2)
	v_fma_f32 v62, v62, v69, -v65
	v_fmac_f32_e32 v63, v64, v69
	scratch_store_b64 off, v[62:63], off offset:8
.LBB29_19:
	s_wait_alu 0xfffe
	s_or_b32 exec_lo, exec_lo, s1
	s_wait_loadcnt 0x0
	s_wait_storecnt 0x0
	s_barrier_signal -1
	s_barrier_wait -1
	global_inv scope:SCOPE_SE
	scratch_load_b64 v[62:63], off, off offset:16
	s_mov_b32 s1, exec_lo
	s_wait_loadcnt 0x0
	ds_store_b64 v61, v[62:63]
	s_wait_dscnt 0x0
	s_barrier_signal -1
	s_barrier_wait -1
	global_inv scope:SCOPE_SE
	v_cmpx_gt_u32_e32 2, v0
	s_cbranch_execz .LBB29_23
; %bb.20:
	scratch_load_b64 v[62:63], v68, off
	ds_load_b64 v[64:65], v61
	s_wait_loadcnt_dscnt 0x0
	v_mul_f32_e32 v66, v65, v63
	v_mul_f32_e32 v69, v64, v63
	s_delay_alu instid0(VALU_DEP_2) | instskip(NEXT) | instid1(VALU_DEP_2)
	v_fma_f32 v63, v64, v62, -v66
	v_fmac_f32_e32 v69, v65, v62
	s_delay_alu instid0(VALU_DEP_1)
	v_dual_add_f32 v63, 0, v63 :: v_dual_add_f32 v62, 0, v69
	s_and_saveexec_b32 s4, s0
	s_cbranch_execz .LBB29_22
; %bb.21:
	scratch_load_b64 v[64:65], off, off offset:8
	v_mov_b32_e32 v66, 0
	ds_load_b64 v[69:70], v66 offset:248
	s_wait_loadcnt_dscnt 0x0
	v_mul_f32_e32 v66, v69, v65
	v_mul_f32_e32 v65, v70, v65
	s_delay_alu instid0(VALU_DEP_2) | instskip(NEXT) | instid1(VALU_DEP_2)
	v_fmac_f32_e32 v66, v70, v64
	v_fma_f32 v64, v69, v64, -v65
	s_delay_alu instid0(VALU_DEP_1)
	v_dual_add_f32 v62, v62, v66 :: v_dual_add_f32 v63, v63, v64
.LBB29_22:
	s_wait_alu 0xfffe
	s_or_b32 exec_lo, exec_lo, s4
	v_mov_b32_e32 v64, 0
	ds_load_b64 v[64:65], v64 offset:16
	s_wait_dscnt 0x0
	v_mul_f32_e32 v69, v62, v65
	v_mul_f32_e32 v66, v63, v65
	s_delay_alu instid0(VALU_DEP_2) | instskip(NEXT) | instid1(VALU_DEP_2)
	v_fma_f32 v65, v63, v64, -v69
	v_fmac_f32_e32 v66, v62, v64
	scratch_store_b64 off, v[65:66], off offset:16
.LBB29_23:
	s_wait_alu 0xfffe
	s_or_b32 exec_lo, exec_lo, s1
	s_wait_loadcnt 0x0
	s_wait_storecnt 0x0
	s_barrier_signal -1
	s_barrier_wait -1
	global_inv scope:SCOPE_SE
	scratch_load_b64 v[63:64], off, off offset:24
	v_add_nc_u32_e32 v62, -1, v0
	s_mov_b32 s0, exec_lo
	s_wait_loadcnt 0x0
	ds_store_b64 v61, v[63:64]
	s_wait_dscnt 0x0
	s_barrier_signal -1
	s_barrier_wait -1
	global_inv scope:SCOPE_SE
	v_cmpx_gt_u32_e32 3, v0
	s_cbranch_execz .LBB29_27
; %bb.24:
	v_dual_mov_b32 v63, 0 :: v_dual_add_nc_u32 v64, -1, v0
	v_dual_mov_b32 v66, v67 :: v_dual_add_nc_u32 v65, 0xf0, v67
	v_mov_b32_e32 v69, 0
	s_mov_b32 s1, 0
.LBB29_25:                              ; =>This Inner Loop Header: Depth=1
	scratch_load_b64 v[70:71], v66, off
	ds_load_b64 v[72:73], v65
	v_add_nc_u32_e32 v64, 1, v64
	v_add_nc_u32_e32 v65, 8, v65
	s_delay_alu instid0(VALU_DEP_2)
	v_cmp_lt_u32_e32 vcc_lo, 1, v64
	s_wait_alu 0xfffe
	s_or_b32 s1, vcc_lo, s1
	s_wait_loadcnt_dscnt 0x0
	v_mul_f32_e32 v74, v73, v71
	v_mul_f32_e32 v71, v72, v71
	s_delay_alu instid0(VALU_DEP_2) | instskip(NEXT) | instid1(VALU_DEP_2)
	v_fma_f32 v72, v72, v70, -v74
	v_fmac_f32_e32 v71, v73, v70
	s_delay_alu instid0(VALU_DEP_2) | instskip(NEXT) | instid1(VALU_DEP_2)
	v_dual_add_f32 v69, v69, v72 :: v_dual_add_nc_u32 v66, 8, v66
	v_add_f32_e32 v63, v63, v71
	s_wait_alu 0xfffe
	s_and_not1_b32 exec_lo, exec_lo, s1
	s_cbranch_execnz .LBB29_25
; %bb.26:
	s_or_b32 exec_lo, exec_lo, s1
	v_mov_b32_e32 v64, 0
	ds_load_b64 v[64:65], v64 offset:24
	s_wait_dscnt 0x0
	v_mul_f32_e32 v70, v63, v65
	v_mul_f32_e32 v66, v69, v65
	s_delay_alu instid0(VALU_DEP_2) | instskip(NEXT) | instid1(VALU_DEP_2)
	v_fma_f32 v65, v69, v64, -v70
	v_fmac_f32_e32 v66, v63, v64
	scratch_store_b64 off, v[65:66], off offset:24
.LBB29_27:
	s_wait_alu 0xfffe
	s_or_b32 exec_lo, exec_lo, s0
	s_wait_loadcnt 0x0
	s_wait_storecnt 0x0
	s_barrier_signal -1
	s_barrier_wait -1
	global_inv scope:SCOPE_SE
	scratch_load_b64 v[63:64], off, off offset:32
	s_mov_b32 s0, exec_lo
	s_wait_loadcnt 0x0
	ds_store_b64 v61, v[63:64]
	s_wait_dscnt 0x0
	s_barrier_signal -1
	s_barrier_wait -1
	global_inv scope:SCOPE_SE
	v_cmpx_gt_u32_e32 4, v0
	s_cbranch_execz .LBB29_31
; %bb.28:
	v_dual_mov_b32 v63, 0 :: v_dual_add_nc_u32 v64, -1, v0
	v_dual_mov_b32 v66, v67 :: v_dual_add_nc_u32 v65, 0xf0, v67
	v_mov_b32_e32 v69, 0
	s_mov_b32 s1, 0
.LBB29_29:                              ; =>This Inner Loop Header: Depth=1
	scratch_load_b64 v[70:71], v66, off
	ds_load_b64 v[72:73], v65
	v_add_nc_u32_e32 v64, 1, v64
	v_add_nc_u32_e32 v65, 8, v65
	s_delay_alu instid0(VALU_DEP_2)
	v_cmp_lt_u32_e32 vcc_lo, 2, v64
	s_wait_alu 0xfffe
	s_or_b32 s1, vcc_lo, s1
	s_wait_loadcnt_dscnt 0x0
	v_mul_f32_e32 v74, v73, v71
	v_mul_f32_e32 v71, v72, v71
	s_delay_alu instid0(VALU_DEP_2) | instskip(NEXT) | instid1(VALU_DEP_2)
	v_fma_f32 v72, v72, v70, -v74
	v_fmac_f32_e32 v71, v73, v70
	s_delay_alu instid0(VALU_DEP_2) | instskip(NEXT) | instid1(VALU_DEP_2)
	v_dual_add_f32 v69, v69, v72 :: v_dual_add_nc_u32 v66, 8, v66
	v_add_f32_e32 v63, v63, v71
	s_wait_alu 0xfffe
	s_and_not1_b32 exec_lo, exec_lo, s1
	s_cbranch_execnz .LBB29_29
; %bb.30:
	s_or_b32 exec_lo, exec_lo, s1
	v_mov_b32_e32 v64, 0
	ds_load_b64 v[64:65], v64 offset:32
	s_wait_dscnt 0x0
	v_mul_f32_e32 v70, v63, v65
	v_mul_f32_e32 v66, v69, v65
	s_delay_alu instid0(VALU_DEP_2) | instskip(NEXT) | instid1(VALU_DEP_2)
	v_fma_f32 v65, v69, v64, -v70
	v_fmac_f32_e32 v66, v63, v64
	scratch_store_b64 off, v[65:66], off offset:32
.LBB29_31:
	s_wait_alu 0xfffe
	s_or_b32 exec_lo, exec_lo, s0
	s_wait_loadcnt 0x0
	s_wait_storecnt 0x0
	s_barrier_signal -1
	s_barrier_wait -1
	global_inv scope:SCOPE_SE
	scratch_load_b64 v[63:64], off, off offset:40
	;; [unrolled: 55-line block ×19, first 2 shown]
	s_mov_b32 s0, exec_lo
	s_wait_loadcnt 0x0
	ds_store_b64 v61, v[63:64]
	s_wait_dscnt 0x0
	s_barrier_signal -1
	s_barrier_wait -1
	global_inv scope:SCOPE_SE
	v_cmpx_gt_u32_e32 22, v0
	s_cbranch_execz .LBB29_103
; %bb.100:
	v_dual_mov_b32 v63, 0 :: v_dual_add_nc_u32 v64, -1, v0
	v_dual_mov_b32 v66, v67 :: v_dual_add_nc_u32 v65, 0xf0, v67
	v_mov_b32_e32 v69, 0
	s_mov_b32 s1, 0
.LBB29_101:                             ; =>This Inner Loop Header: Depth=1
	scratch_load_b64 v[70:71], v66, off
	ds_load_b64 v[72:73], v65
	v_add_nc_u32_e32 v64, 1, v64
	v_add_nc_u32_e32 v65, 8, v65
	s_delay_alu instid0(VALU_DEP_2)
	v_cmp_lt_u32_e32 vcc_lo, 20, v64
	s_wait_alu 0xfffe
	s_or_b32 s1, vcc_lo, s1
	s_wait_loadcnt_dscnt 0x0
	v_mul_f32_e32 v74, v73, v71
	v_mul_f32_e32 v71, v72, v71
	s_delay_alu instid0(VALU_DEP_2) | instskip(NEXT) | instid1(VALU_DEP_2)
	v_fma_f32 v72, v72, v70, -v74
	v_fmac_f32_e32 v71, v73, v70
	s_delay_alu instid0(VALU_DEP_2) | instskip(NEXT) | instid1(VALU_DEP_2)
	v_dual_add_f32 v69, v69, v72 :: v_dual_add_nc_u32 v66, 8, v66
	v_add_f32_e32 v63, v63, v71
	s_wait_alu 0xfffe
	s_and_not1_b32 exec_lo, exec_lo, s1
	s_cbranch_execnz .LBB29_101
; %bb.102:
	s_or_b32 exec_lo, exec_lo, s1
	v_mov_b32_e32 v64, 0
	ds_load_b64 v[64:65], v64 offset:176
	s_wait_dscnt 0x0
	v_mul_f32_e32 v70, v63, v65
	v_mul_f32_e32 v66, v69, v65
	s_delay_alu instid0(VALU_DEP_2) | instskip(NEXT) | instid1(VALU_DEP_2)
	v_fma_f32 v65, v69, v64, -v70
	v_fmac_f32_e32 v66, v63, v64
	scratch_store_b64 off, v[65:66], off offset:176
.LBB29_103:
	s_wait_alu 0xfffe
	s_or_b32 exec_lo, exec_lo, s0
	s_wait_loadcnt 0x0
	s_wait_storecnt 0x0
	s_barrier_signal -1
	s_barrier_wait -1
	global_inv scope:SCOPE_SE
	scratch_load_b64 v[63:64], off, off offset:184
	s_mov_b32 s0, exec_lo
	s_wait_loadcnt 0x0
	ds_store_b64 v61, v[63:64]
	s_wait_dscnt 0x0
	s_barrier_signal -1
	s_barrier_wait -1
	global_inv scope:SCOPE_SE
	v_cmpx_gt_u32_e32 23, v0
	s_cbranch_execz .LBB29_107
; %bb.104:
	v_dual_mov_b32 v63, 0 :: v_dual_add_nc_u32 v64, -1, v0
	v_dual_mov_b32 v66, v67 :: v_dual_add_nc_u32 v65, 0xf0, v67
	v_mov_b32_e32 v69, 0
	s_mov_b32 s1, 0
.LBB29_105:                             ; =>This Inner Loop Header: Depth=1
	scratch_load_b64 v[70:71], v66, off
	ds_load_b64 v[72:73], v65
	v_add_nc_u32_e32 v64, 1, v64
	v_add_nc_u32_e32 v65, 8, v65
	s_delay_alu instid0(VALU_DEP_2)
	v_cmp_lt_u32_e32 vcc_lo, 21, v64
	s_wait_alu 0xfffe
	s_or_b32 s1, vcc_lo, s1
	s_wait_loadcnt_dscnt 0x0
	v_mul_f32_e32 v74, v73, v71
	v_mul_f32_e32 v71, v72, v71
	s_delay_alu instid0(VALU_DEP_2) | instskip(NEXT) | instid1(VALU_DEP_2)
	v_fma_f32 v72, v72, v70, -v74
	v_fmac_f32_e32 v71, v73, v70
	s_delay_alu instid0(VALU_DEP_2) | instskip(NEXT) | instid1(VALU_DEP_2)
	v_dual_add_f32 v69, v69, v72 :: v_dual_add_nc_u32 v66, 8, v66
	v_add_f32_e32 v63, v63, v71
	s_wait_alu 0xfffe
	s_and_not1_b32 exec_lo, exec_lo, s1
	s_cbranch_execnz .LBB29_105
; %bb.106:
	s_or_b32 exec_lo, exec_lo, s1
	v_mov_b32_e32 v64, 0
	ds_load_b64 v[64:65], v64 offset:184
	s_wait_dscnt 0x0
	v_mul_f32_e32 v70, v63, v65
	v_mul_f32_e32 v66, v69, v65
	s_delay_alu instid0(VALU_DEP_2) | instskip(NEXT) | instid1(VALU_DEP_2)
	v_fma_f32 v65, v69, v64, -v70
	v_fmac_f32_e32 v66, v63, v64
	scratch_store_b64 off, v[65:66], off offset:184
.LBB29_107:
	s_wait_alu 0xfffe
	s_or_b32 exec_lo, exec_lo, s0
	s_wait_loadcnt 0x0
	s_wait_storecnt 0x0
	s_barrier_signal -1
	s_barrier_wait -1
	global_inv scope:SCOPE_SE
	scratch_load_b64 v[63:64], off, off offset:192
	;; [unrolled: 55-line block ×6, first 2 shown]
	s_mov_b32 s0, exec_lo
	s_wait_loadcnt 0x0
	ds_store_b64 v61, v[63:64]
	s_wait_dscnt 0x0
	s_barrier_signal -1
	s_barrier_wait -1
	global_inv scope:SCOPE_SE
	v_cmpx_gt_u32_e32 28, v0
	s_cbranch_execz .LBB29_127
; %bb.124:
	v_dual_mov_b32 v63, 0 :: v_dual_add_nc_u32 v64, -1, v0
	v_dual_mov_b32 v66, v67 :: v_dual_add_nc_u32 v65, 0xf0, v67
	v_mov_b32_e32 v67, 0
	s_mov_b32 s1, 0
.LBB29_125:                             ; =>This Inner Loop Header: Depth=1
	scratch_load_b64 v[69:70], v66, off
	ds_load_b64 v[71:72], v65
	v_add_nc_u32_e32 v66, 8, v66
	v_add_nc_u32_e32 v64, 1, v64
	;; [unrolled: 1-line block ×3, first 2 shown]
	s_delay_alu instid0(VALU_DEP_2)
	v_cmp_lt_u32_e32 vcc_lo, 26, v64
	s_wait_alu 0xfffe
	s_or_b32 s1, vcc_lo, s1
	s_wait_loadcnt_dscnt 0x0
	v_mul_f32_e32 v73, v72, v70
	v_mul_f32_e32 v70, v71, v70
	s_delay_alu instid0(VALU_DEP_2) | instskip(NEXT) | instid1(VALU_DEP_1)
	v_fma_f32 v71, v71, v69, -v73
	v_dual_fmac_f32 v70, v72, v69 :: v_dual_add_f32 v67, v67, v71
	s_delay_alu instid0(VALU_DEP_1)
	v_add_f32_e32 v63, v63, v70
	s_wait_alu 0xfffe
	s_and_not1_b32 exec_lo, exec_lo, s1
	s_cbranch_execnz .LBB29_125
; %bb.126:
	s_or_b32 exec_lo, exec_lo, s1
	v_mov_b32_e32 v64, 0
	ds_load_b64 v[64:65], v64 offset:224
	s_wait_dscnt 0x0
	v_mul_f32_e32 v69, v63, v65
	v_mul_f32_e32 v66, v67, v65
	s_delay_alu instid0(VALU_DEP_2) | instskip(NEXT) | instid1(VALU_DEP_2)
	v_fma_f32 v65, v67, v64, -v69
	v_fmac_f32_e32 v66, v63, v64
	scratch_store_b64 off, v[65:66], off offset:224
.LBB29_127:
	s_wait_alu 0xfffe
	s_or_b32 exec_lo, exec_lo, s0
	s_wait_loadcnt 0x0
	s_wait_storecnt 0x0
	s_barrier_signal -1
	s_barrier_wait -1
	global_inv scope:SCOPE_SE
	scratch_load_b64 v[63:64], off, off offset:232
	s_mov_b32 s0, exec_lo
	s_wait_loadcnt 0x0
	ds_store_b64 v61, v[63:64]
	s_wait_dscnt 0x0
	s_barrier_signal -1
	s_barrier_wait -1
	global_inv scope:SCOPE_SE
	v_cmpx_ne_u32_e32 29, v0
	s_cbranch_execz .LBB29_131
; %bb.128:
	v_dual_mov_b32 v63, 0 :: v_dual_mov_b32 v64, 0
	s_mov_b32 s1, 0
.LBB29_129:                             ; =>This Inner Loop Header: Depth=1
	scratch_load_b64 v[65:66], v68, off
	ds_load_b64 v[69:70], v61
	v_add_nc_u32_e32 v62, 1, v62
	v_add_nc_u32_e32 v61, 8, v61
	;; [unrolled: 1-line block ×3, first 2 shown]
	s_delay_alu instid0(VALU_DEP_3)
	v_cmp_lt_u32_e32 vcc_lo, 27, v62
	s_wait_alu 0xfffe
	s_or_b32 s1, vcc_lo, s1
	s_wait_loadcnt_dscnt 0x0
	v_mul_f32_e32 v67, v70, v66
	v_mul_f32_e32 v66, v69, v66
	s_delay_alu instid0(VALU_DEP_2) | instskip(NEXT) | instid1(VALU_DEP_2)
	v_fma_f32 v67, v69, v65, -v67
	v_fmac_f32_e32 v66, v70, v65
	s_delay_alu instid0(VALU_DEP_1)
	v_dual_add_f32 v64, v64, v67 :: v_dual_add_f32 v63, v63, v66
	s_wait_alu 0xfffe
	s_and_not1_b32 exec_lo, exec_lo, s1
	s_cbranch_execnz .LBB29_129
; %bb.130:
	s_or_b32 exec_lo, exec_lo, s1
	v_mov_b32_e32 v61, 0
	ds_load_b64 v[61:62], v61 offset:232
	s_wait_dscnt 0x0
	v_mul_f32_e32 v66, v63, v62
	v_mul_f32_e32 v65, v64, v62
	s_delay_alu instid0(VALU_DEP_2) | instskip(NEXT) | instid1(VALU_DEP_2)
	v_fma_f32 v64, v64, v61, -v66
	v_fmac_f32_e32 v65, v63, v61
	scratch_store_b64 off, v[64:65], off offset:232
.LBB29_131:
	s_wait_alu 0xfffe
	s_or_b32 exec_lo, exec_lo, s0
	s_mov_b32 s1, -1
	s_wait_loadcnt 0x0
	s_wait_storecnt 0x0
	s_barrier_signal -1
	s_barrier_wait -1
	global_inv scope:SCOPE_SE
.LBB29_132:
	s_wait_alu 0xfffe
	s_and_b32 vcc_lo, exec_lo, s1
	s_wait_alu 0xfffe
	s_cbranch_vccz .LBB29_134
; %bb.133:
	v_mov_b32_e32 v61, 0
	s_lshl_b64 s[0:1], s[16:17], 2
	s_wait_alu 0xfffe
	s_add_nc_u64 s[0:1], s[6:7], s[0:1]
	global_load_b32 v61, v61, s[0:1]
	s_wait_loadcnt 0x0
	v_cmp_ne_u32_e32 vcc_lo, 0, v61
	s_cbranch_vccz .LBB29_135
.LBB29_134:
	s_nop 0
	s_sendmsg sendmsg(MSG_DEALLOC_VGPRS)
	s_endpgm
.LBB29_135:
	v_lshl_add_u32 v63, v0, 3, 0xf0
	s_mov_b32 s0, exec_lo
	v_cmpx_eq_u32_e32 29, v0
	s_cbranch_execz .LBB29_137
; %bb.136:
	scratch_load_b64 v[61:62], off, off offset:224
	v_mov_b32_e32 v64, 0
	s_delay_alu instid0(VALU_DEP_1)
	v_mov_b32_e32 v65, v64
	scratch_store_b64 off, v[64:65], off offset:224
	s_wait_loadcnt 0x0
	ds_store_b64 v63, v[61:62]
.LBB29_137:
	s_wait_alu 0xfffe
	s_or_b32 exec_lo, exec_lo, s0
	s_wait_storecnt_dscnt 0x0
	s_barrier_signal -1
	s_barrier_wait -1
	global_inv scope:SCOPE_SE
	s_clause 0x1
	scratch_load_b64 v[64:65], off, off offset:232
	scratch_load_b64 v[66:67], off, off offset:224
	v_mov_b32_e32 v61, 0
	s_mov_b32 s0, exec_lo
	ds_load_b64 v[68:69], v61 offset:472
	s_wait_loadcnt_dscnt 0x100
	v_mul_f32_e32 v62, v69, v65
	s_delay_alu instid0(VALU_DEP_1) | instskip(NEXT) | instid1(VALU_DEP_1)
	v_fma_f32 v62, v68, v64, -v62
	v_dual_mul_f32 v65, v68, v65 :: v_dual_add_f32 v62, 0, v62
	s_wait_loadcnt 0x0
	s_delay_alu instid0(VALU_DEP_1) | instskip(NEXT) | instid1(VALU_DEP_1)
	v_dual_fmac_f32 v65, v69, v64 :: v_dual_sub_f32 v64, v66, v62
	v_add_f32_e32 v65, 0, v65
	s_delay_alu instid0(VALU_DEP_1)
	v_sub_f32_e32 v65, v67, v65
	scratch_store_b64 off, v[64:65], off offset:224
	v_cmpx_lt_u32_e32 27, v0
	s_cbranch_execz .LBB29_139
; %bb.138:
	scratch_load_b64 v[64:65], off, off offset:216
	v_mov_b32_e32 v62, v61
	scratch_store_b64 off, v[61:62], off offset:216
	s_wait_loadcnt 0x0
	ds_store_b64 v63, v[64:65]
.LBB29_139:
	s_wait_alu 0xfffe
	s_or_b32 exec_lo, exec_lo, s0
	s_wait_storecnt_dscnt 0x0
	s_barrier_signal -1
	s_barrier_wait -1
	global_inv scope:SCOPE_SE
	s_clause 0x1
	scratch_load_b128 v[64:67], off, off offset:224
	scratch_load_b64 v[72:73], off, off offset:216
	ds_load_b128 v[68:71], v61 offset:464
	s_mov_b32 s0, exec_lo
	s_wait_loadcnt_dscnt 0x100
	v_mul_f32_e32 v62, v68, v65
	s_delay_alu instid0(VALU_DEP_1) | instskip(SKIP_2) | instid1(VALU_DEP_1)
	v_fmac_f32_e32 v62, v69, v64
	v_mul_f32_e32 v61, v69, v65
	v_mul_f32_e32 v65, v70, v67
	v_fmac_f32_e32 v65, v71, v66
	s_delay_alu instid0(VALU_DEP_4) | instskip(NEXT) | instid1(VALU_DEP_4)
	v_dual_add_f32 v62, 0, v62 :: v_dual_mul_f32 v67, v71, v67
	v_fma_f32 v61, v68, v64, -v61
	s_delay_alu instid0(VALU_DEP_2) | instskip(NEXT) | instid1(VALU_DEP_3)
	v_add_f32_e32 v62, v62, v65
	v_fma_f32 v64, v70, v66, -v67
	s_wait_loadcnt 0x0
	s_delay_alu instid0(VALU_DEP_2) | instskip(NEXT) | instid1(VALU_DEP_1)
	v_dual_add_f32 v61, 0, v61 :: v_dual_sub_f32 v62, v73, v62
	v_add_f32_e32 v61, v61, v64
	s_delay_alu instid0(VALU_DEP_1)
	v_sub_f32_e32 v61, v72, v61
	scratch_store_b64 off, v[61:62], off offset:216
	v_cmpx_lt_u32_e32 26, v0
	s_cbranch_execz .LBB29_141
; %bb.140:
	scratch_load_b64 v[61:62], off, off offset:208
	v_mov_b32_e32 v64, 0
	s_delay_alu instid0(VALU_DEP_1)
	v_mov_b32_e32 v65, v64
	scratch_store_b64 off, v[64:65], off offset:208
	s_wait_loadcnt 0x0
	ds_store_b64 v63, v[61:62]
.LBB29_141:
	s_wait_alu 0xfffe
	s_or_b32 exec_lo, exec_lo, s0
	s_wait_storecnt_dscnt 0x0
	s_barrier_signal -1
	s_barrier_wait -1
	global_inv scope:SCOPE_SE
	s_clause 0x2
	scratch_load_b128 v[64:67], off, off offset:216
	scratch_load_b64 v[72:73], off, off offset:232
	scratch_load_b64 v[74:75], off, off offset:208
	v_mov_b32_e32 v61, 0
	ds_load_2addr_b64 v[68:71], v61 offset0:57 offset1:58
	ds_load_b64 v[76:77], v61 offset:472
	s_mov_b32 s0, exec_lo
	s_wait_loadcnt_dscnt 0x201
	v_mul_f32_e32 v62, v69, v65
	v_dual_mul_f32 v65, v68, v65 :: v_dual_mul_f32 v78, v70, v67
	v_mul_f32_e32 v67, v71, v67
	s_wait_loadcnt_dscnt 0x100
	v_mul_f32_e32 v79, v76, v73
	v_fma_f32 v62, v68, v64, -v62
	v_fmac_f32_e32 v65, v69, v64
	v_mul_f32_e32 v64, v77, v73
	v_fmac_f32_e32 v78, v71, v66
	v_fma_f32 v66, v70, v66, -v67
	s_delay_alu instid0(VALU_DEP_4) | instskip(NEXT) | instid1(VALU_DEP_4)
	v_dual_add_f32 v62, 0, v62 :: v_dual_add_f32 v65, 0, v65
	v_fma_f32 v64, v76, v72, -v64
	s_delay_alu instid0(VALU_DEP_2) | instskip(NEXT) | instid1(VALU_DEP_1)
	v_add_f32_e32 v62, v62, v66
	v_dual_add_f32 v65, v65, v78 :: v_dual_add_f32 v62, v62, v64
	s_wait_loadcnt 0x0
	s_delay_alu instid0(VALU_DEP_1) | instskip(NEXT) | instid1(VALU_DEP_1)
	v_dual_fmac_f32 v79, v77, v72 :: v_dual_sub_f32 v64, v74, v62
	v_add_f32_e32 v65, v65, v79
	s_delay_alu instid0(VALU_DEP_1)
	v_sub_f32_e32 v65, v75, v65
	scratch_store_b64 off, v[64:65], off offset:208
	v_cmpx_lt_u32_e32 25, v0
	s_cbranch_execz .LBB29_143
; %bb.142:
	scratch_load_b64 v[64:65], off, off offset:200
	v_mov_b32_e32 v62, v61
	scratch_store_b64 off, v[61:62], off offset:200
	s_wait_loadcnt 0x0
	ds_store_b64 v63, v[64:65]
.LBB29_143:
	s_wait_alu 0xfffe
	s_or_b32 exec_lo, exec_lo, s0
	s_wait_storecnt_dscnt 0x0
	s_barrier_signal -1
	s_barrier_wait -1
	global_inv scope:SCOPE_SE
	s_clause 0x2
	scratch_load_b128 v[64:67], off, off offset:208
	scratch_load_b128 v[68:71], off, off offset:224
	scratch_load_b64 v[80:81], off, off offset:200
	ds_load_b128 v[72:75], v61 offset:448
	ds_load_b128 v[76:79], v61 offset:464
	s_mov_b32 s0, exec_lo
	s_wait_loadcnt_dscnt 0x201
	v_mul_f32_e32 v62, v73, v65
	s_wait_loadcnt_dscnt 0x100
	v_dual_mul_f32 v82, v76, v69 :: v_dual_mul_f32 v83, v78, v71
	s_delay_alu instid0(VALU_DEP_2) | instskip(SKIP_2) | instid1(VALU_DEP_4)
	v_fma_f32 v62, v72, v64, -v62
	v_mul_f32_e32 v61, v72, v65
	v_mul_f32_e32 v65, v74, v67
	v_dual_mul_f32 v67, v75, v67 :: v_dual_fmac_f32 v82, v77, v68
	s_delay_alu instid0(VALU_DEP_3) | instskip(NEXT) | instid1(VALU_DEP_3)
	v_dual_add_f32 v62, 0, v62 :: v_dual_fmac_f32 v61, v73, v64
	v_dual_mul_f32 v64, v77, v69 :: v_dual_fmac_f32 v65, v75, v66
	s_delay_alu instid0(VALU_DEP_3) | instskip(SKIP_1) | instid1(VALU_DEP_3)
	v_fma_f32 v66, v74, v66, -v67
	v_fmac_f32_e32 v83, v79, v70
	v_fma_f32 v64, v76, v68, -v64
	s_delay_alu instid0(VALU_DEP_3) | instskip(NEXT) | instid1(VALU_DEP_1)
	v_dual_add_f32 v62, v62, v66 :: v_dual_add_f32 v61, 0, v61
	v_dual_add_f32 v62, v62, v64 :: v_dual_mul_f32 v67, v79, v71
	s_delay_alu instid0(VALU_DEP_2) | instskip(NEXT) | instid1(VALU_DEP_2)
	v_add_f32_e32 v61, v61, v65
	v_fma_f32 v65, v78, v70, -v67
	s_delay_alu instid0(VALU_DEP_1) | instskip(SKIP_1) | instid1(VALU_DEP_1)
	v_dual_add_f32 v61, v61, v82 :: v_dual_add_f32 v62, v62, v65
	s_wait_loadcnt 0x0
	v_dual_add_f32 v64, v61, v83 :: v_dual_sub_f32 v61, v80, v62
	s_delay_alu instid0(VALU_DEP_1)
	v_sub_f32_e32 v62, v81, v64
	scratch_store_b64 off, v[61:62], off offset:200
	v_cmpx_lt_u32_e32 24, v0
	s_cbranch_execz .LBB29_145
; %bb.144:
	scratch_load_b64 v[61:62], off, off offset:192
	v_mov_b32_e32 v64, 0
	s_delay_alu instid0(VALU_DEP_1)
	v_mov_b32_e32 v65, v64
	scratch_store_b64 off, v[64:65], off offset:192
	s_wait_loadcnt 0x0
	ds_store_b64 v63, v[61:62]
.LBB29_145:
	s_wait_alu 0xfffe
	s_or_b32 exec_lo, exec_lo, s0
	s_wait_storecnt_dscnt 0x0
	s_barrier_signal -1
	s_barrier_wait -1
	global_inv scope:SCOPE_SE
	s_clause 0x3
	scratch_load_b128 v[64:67], off, off offset:200
	scratch_load_b128 v[68:71], off, off offset:216
	scratch_load_b64 v[80:81], off, off offset:232
	scratch_load_b64 v[82:83], off, off offset:192
	v_mov_b32_e32 v61, 0
	ds_load_2addr_b64 v[72:75], v61 offset0:55 offset1:56
	ds_load_2addr_b64 v[76:79], v61 offset0:57 offset1:58
	ds_load_b64 v[84:85], v61 offset:472
	s_mov_b32 s0, exec_lo
	s_wait_loadcnt_dscnt 0x302
	v_mul_f32_e32 v62, v72, v65
	v_dual_mul_f32 v86, v74, v67 :: v_dual_mul_f32 v65, v73, v65
	s_wait_loadcnt_dscnt 0x100
	v_mul_f32_e32 v89, v84, v81
	v_dual_mul_f32 v87, v76, v69 :: v_dual_mul_f32 v88, v78, v71
	v_dual_fmac_f32 v62, v73, v64 :: v_dual_mul_f32 v67, v75, v67
	v_fma_f32 v65, v72, v64, -v65
	v_fmac_f32_e32 v86, v75, v66
	v_mul_f32_e32 v64, v77, v69
	s_delay_alu instid0(VALU_DEP_4) | instskip(SKIP_3) | instid1(VALU_DEP_4)
	v_add_f32_e32 v62, 0, v62
	v_fma_f32 v66, v74, v66, -v67
	v_add_f32_e32 v65, 0, v65
	v_mul_f32_e32 v67, v79, v71
	v_dual_fmac_f32 v87, v77, v68 :: v_dual_add_f32 v62, v62, v86
	v_dual_fmac_f32 v88, v79, v70 :: v_dual_fmac_f32 v89, v85, v80
	s_delay_alu instid0(VALU_DEP_4) | instskip(SKIP_1) | instid1(VALU_DEP_4)
	v_add_f32_e32 v65, v65, v66
	v_fma_f32 v64, v76, v68, -v64
	v_add_f32_e32 v62, v62, v87
	v_fma_f32 v67, v78, v70, -v67
	s_delay_alu instid0(VALU_DEP_3) | instskip(NEXT) | instid1(VALU_DEP_3)
	v_add_f32_e32 v64, v65, v64
	v_add_f32_e32 v62, v62, v88
	s_delay_alu instid0(VALU_DEP_2) | instskip(NEXT) | instid1(VALU_DEP_2)
	v_add_f32_e32 v64, v64, v67
	v_add_f32_e32 v62, v62, v89
	v_mul_f32_e32 v66, v85, v81
	s_delay_alu instid0(VALU_DEP_1) | instskip(SKIP_1) | instid1(VALU_DEP_1)
	v_fma_f32 v65, v84, v80, -v66
	s_wait_loadcnt 0x0
	v_dual_add_f32 v64, v64, v65 :: v_dual_sub_f32 v65, v83, v62
	s_delay_alu instid0(VALU_DEP_1)
	v_sub_f32_e32 v64, v82, v64
	scratch_store_b64 off, v[64:65], off offset:192
	v_cmpx_lt_u32_e32 23, v0
	s_cbranch_execz .LBB29_147
; %bb.146:
	scratch_load_b64 v[64:65], off, off offset:184
	v_mov_b32_e32 v62, v61
	scratch_store_b64 off, v[61:62], off offset:184
	s_wait_loadcnt 0x0
	ds_store_b64 v63, v[64:65]
.LBB29_147:
	s_wait_alu 0xfffe
	s_or_b32 exec_lo, exec_lo, s0
	s_wait_storecnt_dscnt 0x0
	s_barrier_signal -1
	s_barrier_wait -1
	global_inv scope:SCOPE_SE
	s_clause 0x3
	scratch_load_b128 v[64:67], off, off offset:192
	scratch_load_b128 v[68:71], off, off offset:208
	;; [unrolled: 1-line block ×3, first 2 shown]
	scratch_load_b64 v[88:89], off, off offset:184
	ds_load_b128 v[76:79], v61 offset:432
	ds_load_b128 v[80:83], v61 offset:448
	;; [unrolled: 1-line block ×3, first 2 shown]
	s_mov_b32 s0, exec_lo
	s_wait_loadcnt_dscnt 0x302
	v_dual_mul_f32 v61, v76, v65 :: v_dual_mul_f32 v62, v78, v67
	v_mul_f32_e32 v65, v77, v65
	s_wait_loadcnt_dscnt 0x201
	v_dual_mul_f32 v67, v79, v67 :: v_dual_mul_f32 v90, v80, v69
	s_delay_alu instid0(VALU_DEP_3) | instskip(NEXT) | instid1(VALU_DEP_3)
	v_dual_mul_f32 v91, v82, v71 :: v_dual_fmac_f32 v62, v79, v66
	v_fma_f32 v65, v76, v64, -v65
	v_fmac_f32_e32 v61, v77, v64
	v_mul_f32_e32 v64, v81, v69
	v_fma_f32 v66, v78, v66, -v67
	v_mul_f32_e32 v67, v83, v71
	v_dual_add_f32 v65, 0, v65 :: v_dual_fmac_f32 v90, v81, v68
	s_delay_alu instid0(VALU_DEP_4) | instskip(SKIP_2) | instid1(VALU_DEP_3)
	v_fma_f32 v64, v80, v68, -v64
	s_wait_loadcnt_dscnt 0x100
	v_dual_mul_f32 v92, v84, v73 :: v_dual_mul_f32 v93, v86, v75
	v_add_f32_e32 v65, v65, v66
	v_fmac_f32_e32 v91, v83, v70
	v_fma_f32 v66, v82, v70, -v67
	s_delay_alu instid0(VALU_DEP_4) | instskip(NEXT) | instid1(VALU_DEP_4)
	v_dual_fmac_f32 v92, v85, v72 :: v_dual_fmac_f32 v93, v87, v74
	v_add_f32_e32 v64, v65, v64
	s_delay_alu instid0(VALU_DEP_1) | instskip(SKIP_1) | instid1(VALU_DEP_1)
	v_dual_add_f32 v64, v64, v66 :: v_dual_add_f32 v61, 0, v61
	v_mul_f32_e32 v65, v87, v75
	v_fma_f32 v65, v86, v74, -v65
	s_delay_alu instid0(VALU_DEP_3) | instskip(SKIP_1) | instid1(VALU_DEP_1)
	v_add_f32_e32 v61, v61, v62
	v_mul_f32_e32 v62, v85, v73
	v_fma_f32 v62, v84, v72, -v62
	s_delay_alu instid0(VALU_DEP_1) | instskip(NEXT) | instid1(VALU_DEP_1)
	v_add_f32_e32 v62, v64, v62
	v_dual_add_f32 v62, v62, v65 :: v_dual_add_f32 v61, v61, v90
	s_delay_alu instid0(VALU_DEP_1) | instskip(NEXT) | instid1(VALU_DEP_1)
	v_add_f32_e32 v61, v61, v91
	v_add_f32_e32 v61, v61, v92
	s_wait_loadcnt 0x0
	s_delay_alu instid0(VALU_DEP_1) | instskip(NEXT) | instid1(VALU_DEP_1)
	v_dual_add_f32 v64, v61, v93 :: v_dual_sub_f32 v61, v88, v62
	v_sub_f32_e32 v62, v89, v64
	scratch_store_b64 off, v[61:62], off offset:184
	v_cmpx_lt_u32_e32 22, v0
	s_cbranch_execz .LBB29_149
; %bb.148:
	scratch_load_b64 v[61:62], off, off offset:176
	v_mov_b32_e32 v64, 0
	s_delay_alu instid0(VALU_DEP_1)
	v_mov_b32_e32 v65, v64
	scratch_store_b64 off, v[64:65], off offset:176
	s_wait_loadcnt 0x0
	ds_store_b64 v63, v[61:62]
.LBB29_149:
	s_wait_alu 0xfffe
	s_or_b32 exec_lo, exec_lo, s0
	s_wait_storecnt_dscnt 0x0
	s_barrier_signal -1
	s_barrier_wait -1
	global_inv scope:SCOPE_SE
	s_clause 0x4
	scratch_load_b128 v[64:67], off, off offset:184
	scratch_load_b128 v[68:71], off, off offset:200
	;; [unrolled: 1-line block ×3, first 2 shown]
	scratch_load_b64 v[88:89], off, off offset:232
	scratch_load_b64 v[90:91], off, off offset:176
	v_mov_b32_e32 v61, 0
	ds_load_2addr_b64 v[76:79], v61 offset0:53 offset1:54
	ds_load_2addr_b64 v[80:83], v61 offset0:55 offset1:56
	;; [unrolled: 1-line block ×3, first 2 shown]
	ds_load_b64 v[92:93], v61 offset:472
	s_mov_b32 s0, exec_lo
	s_wait_loadcnt_dscnt 0x403
	v_mul_f32_e32 v62, v76, v65
	s_wait_loadcnt_dscnt 0x302
	v_dual_mul_f32 v94, v78, v67 :: v_dual_mul_f32 v95, v80, v69
	v_dual_mul_f32 v96, v82, v71 :: v_dual_mul_f32 v65, v77, v65
	s_wait_loadcnt_dscnt 0x100
	v_dual_mul_f32 v99, v92, v89 :: v_dual_fmac_f32 v62, v77, v64
	v_mul_f32_e32 v67, v79, v67
	v_dual_mul_f32 v97, v84, v73 :: v_dual_mul_f32 v98, v86, v75
	v_fma_f32 v65, v76, v64, -v65
	v_fmac_f32_e32 v94, v79, v66
	v_add_f32_e32 v62, 0, v62
	v_mul_f32_e32 v64, v81, v69
	v_fma_f32 v66, v78, v66, -v67
	v_add_f32_e32 v65, 0, v65
	v_mul_f32_e32 v67, v83, v71
	v_dual_fmac_f32 v95, v81, v68 :: v_dual_add_f32 v62, v62, v94
	v_dual_fmac_f32 v96, v83, v70 :: v_dual_fmac_f32 v97, v85, v72
	s_delay_alu instid0(VALU_DEP_4) | instskip(SKIP_1) | instid1(VALU_DEP_4)
	v_add_f32_e32 v65, v65, v66
	v_dual_fmac_f32 v98, v87, v74 :: v_dual_fmac_f32 v99, v93, v88
	v_add_f32_e32 v62, v62, v95
	v_fma_f32 v64, v80, v68, -v64
	v_mul_f32_e32 v66, v85, v73
	v_fma_f32 v67, v82, v70, -v67
	s_delay_alu instid0(VALU_DEP_4) | instskip(NEXT) | instid1(VALU_DEP_1)
	v_add_f32_e32 v62, v62, v96
	v_add_f32_e32 v62, v62, v97
	s_delay_alu instid0(VALU_DEP_1) | instskip(NEXT) | instid1(VALU_DEP_1)
	v_add_f32_e32 v62, v62, v98
	v_add_f32_e32 v62, v62, v99
	v_dual_add_f32 v64, v65, v64 :: v_dual_mul_f32 v65, v87, v75
	v_fma_f32 v66, v84, v72, -v66
	s_delay_alu instid0(VALU_DEP_2) | instskip(NEXT) | instid1(VALU_DEP_3)
	v_dual_add_f32 v64, v64, v67 :: v_dual_mul_f32 v67, v93, v89
	v_fma_f32 v65, v86, v74, -v65
	s_delay_alu instid0(VALU_DEP_2) | instskip(NEXT) | instid1(VALU_DEP_3)
	v_add_f32_e32 v64, v64, v66
	v_fma_f32 v66, v92, v88, -v67
	s_wait_loadcnt 0x0
	s_delay_alu instid0(VALU_DEP_2) | instskip(NEXT) | instid1(VALU_DEP_1)
	v_dual_add_f32 v64, v64, v65 :: v_dual_sub_f32 v65, v91, v62
	v_add_f32_e32 v64, v64, v66
	s_delay_alu instid0(VALU_DEP_1)
	v_sub_f32_e32 v64, v90, v64
	scratch_store_b64 off, v[64:65], off offset:176
	v_cmpx_lt_u32_e32 21, v0
	s_cbranch_execz .LBB29_151
; %bb.150:
	scratch_load_b64 v[64:65], off, off offset:168
	v_mov_b32_e32 v62, v61
	scratch_store_b64 off, v[61:62], off offset:168
	s_wait_loadcnt 0x0
	ds_store_b64 v63, v[64:65]
.LBB29_151:
	s_wait_alu 0xfffe
	s_or_b32 exec_lo, exec_lo, s0
	s_wait_storecnt_dscnt 0x0
	s_barrier_signal -1
	s_barrier_wait -1
	global_inv scope:SCOPE_SE
	s_clause 0x4
	scratch_load_b128 v[64:67], off, off offset:176
	scratch_load_b128 v[68:71], off, off offset:192
	;; [unrolled: 1-line block ×4, first 2 shown]
	scratch_load_b64 v[96:97], off, off offset:168
	ds_load_b128 v[80:83], v61 offset:416
	ds_load_b128 v[84:87], v61 offset:432
	;; [unrolled: 1-line block ×4, first 2 shown]
	s_mov_b32 s0, exec_lo
	s_wait_loadcnt_dscnt 0x403
	v_dual_mul_f32 v61, v80, v65 :: v_dual_mul_f32 v62, v82, v67
	v_mul_f32_e32 v65, v81, v65
	s_wait_loadcnt_dscnt 0x302
	v_dual_mul_f32 v67, v83, v67 :: v_dual_mul_f32 v98, v84, v69
	s_delay_alu instid0(VALU_DEP_3) | instskip(NEXT) | instid1(VALU_DEP_3)
	v_dual_mul_f32 v99, v86, v71 :: v_dual_fmac_f32 v62, v83, v66
	v_fma_f32 v65, v80, v64, -v65
	v_fmac_f32_e32 v61, v81, v64
	v_mul_f32_e32 v64, v85, v69
	v_fma_f32 v66, v82, v66, -v67
	v_mul_f32_e32 v67, v87, v71
	v_dual_add_f32 v65, 0, v65 :: v_dual_fmac_f32 v98, v85, v68
	s_delay_alu instid0(VALU_DEP_4) | instskip(SKIP_2) | instid1(VALU_DEP_3)
	v_fma_f32 v64, v84, v68, -v64
	s_wait_loadcnt_dscnt 0x201
	v_dual_mul_f32 v100, v88, v73 :: v_dual_mul_f32 v101, v90, v75
	v_add_f32_e32 v65, v65, v66
	v_fmac_f32_e32 v99, v87, v70
	v_fma_f32 v66, v86, v70, -v67
	s_wait_loadcnt_dscnt 0x100
	v_dual_mul_f32 v102, v92, v77 :: v_dual_mul_f32 v103, v94, v79
	v_dual_add_f32 v64, v65, v64 :: v_dual_mul_f32 v65, v91, v75
	v_dual_fmac_f32 v100, v89, v72 :: v_dual_fmac_f32 v101, v91, v74
	s_delay_alu instid0(VALU_DEP_3) | instskip(NEXT) | instid1(VALU_DEP_3)
	v_fmac_f32_e32 v102, v93, v76
	v_dual_add_f32 v64, v64, v66 :: v_dual_add_f32 v61, 0, v61
	v_mul_f32_e32 v66, v93, v77
	v_fma_f32 v65, v90, v74, -v65
	v_fmac_f32_e32 v103, v95, v78
	s_delay_alu instid0(VALU_DEP_4) | instskip(SKIP_2) | instid1(VALU_DEP_2)
	v_add_f32_e32 v61, v61, v62
	v_mul_f32_e32 v62, v89, v73
	v_fma_f32 v66, v92, v76, -v66
	v_fma_f32 v62, v88, v72, -v62
	s_delay_alu instid0(VALU_DEP_1) | instskip(SKIP_1) | instid1(VALU_DEP_2)
	v_add_f32_e32 v62, v64, v62
	v_mul_f32_e32 v64, v95, v79
	v_add_f32_e32 v62, v62, v65
	s_delay_alu instid0(VALU_DEP_2) | instskip(NEXT) | instid1(VALU_DEP_2)
	v_fma_f32 v64, v94, v78, -v64
	v_add_f32_e32 v62, v62, v66
	s_delay_alu instid0(VALU_DEP_1) | instskip(NEXT) | instid1(VALU_DEP_1)
	v_dual_add_f32 v61, v61, v98 :: v_dual_add_f32 v62, v62, v64
	v_add_f32_e32 v61, v61, v99
	s_delay_alu instid0(VALU_DEP_1) | instskip(NEXT) | instid1(VALU_DEP_1)
	v_add_f32_e32 v61, v61, v100
	v_add_f32_e32 v61, v61, v101
	s_delay_alu instid0(VALU_DEP_1) | instskip(SKIP_1) | instid1(VALU_DEP_1)
	v_add_f32_e32 v61, v61, v102
	s_wait_loadcnt 0x0
	v_dual_add_f32 v64, v61, v103 :: v_dual_sub_f32 v61, v96, v62
	s_delay_alu instid0(VALU_DEP_1)
	v_sub_f32_e32 v62, v97, v64
	scratch_store_b64 off, v[61:62], off offset:168
	v_cmpx_lt_u32_e32 20, v0
	s_cbranch_execz .LBB29_153
; %bb.152:
	scratch_load_b64 v[61:62], off, off offset:160
	v_mov_b32_e32 v64, 0
	s_delay_alu instid0(VALU_DEP_1)
	v_mov_b32_e32 v65, v64
	scratch_store_b64 off, v[64:65], off offset:160
	s_wait_loadcnt 0x0
	ds_store_b64 v63, v[61:62]
.LBB29_153:
	s_wait_alu 0xfffe
	s_or_b32 exec_lo, exec_lo, s0
	s_wait_storecnt_dscnt 0x0
	s_barrier_signal -1
	s_barrier_wait -1
	global_inv scope:SCOPE_SE
	s_clause 0x5
	scratch_load_b128 v[64:67], off, off offset:168
	scratch_load_b128 v[68:71], off, off offset:184
	;; [unrolled: 1-line block ×4, first 2 shown]
	scratch_load_b64 v[96:97], off, off offset:232
	scratch_load_b64 v[98:99], off, off offset:160
	v_mov_b32_e32 v61, 0
	ds_load_2addr_b64 v[80:83], v61 offset0:51 offset1:52
	ds_load_2addr_b64 v[84:87], v61 offset0:53 offset1:54
	;; [unrolled: 1-line block ×4, first 2 shown]
	ds_load_b64 v[100:101], v61 offset:472
	s_mov_b32 s0, exec_lo
	s_wait_loadcnt_dscnt 0x504
	v_mul_f32_e32 v62, v80, v65
	s_wait_loadcnt_dscnt 0x403
	v_dual_mul_f32 v102, v82, v67 :: v_dual_mul_f32 v103, v84, v69
	s_wait_loadcnt_dscnt 0x302
	v_dual_mul_f32 v106, v90, v75 :: v_dual_mul_f32 v65, v81, v65
	s_wait_loadcnt_dscnt 0x100
	v_dual_mul_f32 v109, v100, v97 :: v_dual_fmac_f32 v62, v81, v64
	v_mul_f32_e32 v67, v83, v67
	v_dual_mul_f32 v104, v86, v71 :: v_dual_mul_f32 v105, v88, v73
	v_fma_f32 v65, v80, v64, -v65
	v_fmac_f32_e32 v102, v83, v66
	v_add_f32_e32 v62, 0, v62
	v_mul_f32_e32 v64, v85, v69
	v_fma_f32 v66, v82, v66, -v67
	v_add_f32_e32 v65, 0, v65
	v_mul_f32_e32 v67, v87, v71
	v_dual_fmac_f32 v103, v85, v68 :: v_dual_add_f32 v62, v62, v102
	v_dual_fmac_f32 v104, v87, v70 :: v_dual_fmac_f32 v105, v89, v72
	s_delay_alu instid0(VALU_DEP_4) | instskip(SKIP_1) | instid1(VALU_DEP_4)
	v_add_f32_e32 v65, v65, v66
	v_dual_mul_f32 v107, v92, v77 :: v_dual_mul_f32 v108, v94, v79
	v_add_f32_e32 v62, v62, v103
	v_dual_fmac_f32 v106, v91, v74 :: v_dual_fmac_f32 v109, v101, v96
	s_delay_alu instid0(VALU_DEP_3) | instskip(NEXT) | instid1(VALU_DEP_3)
	v_dual_fmac_f32 v107, v93, v76 :: v_dual_fmac_f32 v108, v95, v78
	v_add_f32_e32 v62, v62, v104
	v_fma_f32 v64, v84, v68, -v64
	v_mul_f32_e32 v66, v89, v73
	v_fma_f32 v67, v86, v70, -v67
	s_delay_alu instid0(VALU_DEP_4) | instskip(NEXT) | instid1(VALU_DEP_1)
	v_add_f32_e32 v62, v62, v105
	v_add_f32_e32 v62, v62, v106
	s_delay_alu instid0(VALU_DEP_1) | instskip(NEXT) | instid1(VALU_DEP_1)
	v_add_f32_e32 v62, v62, v107
	v_add_f32_e32 v62, v62, v108
	s_delay_alu instid0(VALU_DEP_1) | instskip(SKIP_2) | instid1(VALU_DEP_2)
	v_add_f32_e32 v62, v62, v109
	v_dual_add_f32 v64, v65, v64 :: v_dual_mul_f32 v65, v91, v75
	v_fma_f32 v66, v88, v72, -v66
	v_dual_add_f32 v64, v64, v67 :: v_dual_mul_f32 v67, v93, v77
	s_delay_alu instid0(VALU_DEP_3) | instskip(NEXT) | instid1(VALU_DEP_2)
	v_fma_f32 v65, v90, v74, -v65
	v_add_f32_e32 v64, v64, v66
	v_mul_f32_e32 v66, v95, v79
	s_delay_alu instid0(VALU_DEP_4) | instskip(NEXT) | instid1(VALU_DEP_3)
	v_fma_f32 v67, v92, v76, -v67
	v_add_f32_e32 v64, v64, v65
	v_mul_f32_e32 v65, v101, v97
	s_delay_alu instid0(VALU_DEP_4) | instskip(NEXT) | instid1(VALU_DEP_3)
	v_fma_f32 v66, v94, v78, -v66
	v_add_f32_e32 v64, v64, v67
	s_delay_alu instid0(VALU_DEP_3) | instskip(NEXT) | instid1(VALU_DEP_2)
	v_fma_f32 v65, v100, v96, -v65
	v_add_f32_e32 v64, v64, v66
	s_wait_loadcnt 0x0
	s_delay_alu instid0(VALU_DEP_1) | instskip(NEXT) | instid1(VALU_DEP_1)
	v_dual_add_f32 v64, v64, v65 :: v_dual_sub_f32 v65, v99, v62
	v_sub_f32_e32 v64, v98, v64
	scratch_store_b64 off, v[64:65], off offset:160
	v_cmpx_lt_u32_e32 19, v0
	s_cbranch_execz .LBB29_155
; %bb.154:
	scratch_load_b64 v[64:65], off, off offset:152
	v_mov_b32_e32 v62, v61
	scratch_store_b64 off, v[61:62], off offset:152
	s_wait_loadcnt 0x0
	ds_store_b64 v63, v[64:65]
.LBB29_155:
	s_wait_alu 0xfffe
	s_or_b32 exec_lo, exec_lo, s0
	s_wait_storecnt_dscnt 0x0
	s_barrier_signal -1
	s_barrier_wait -1
	global_inv scope:SCOPE_SE
	s_clause 0x5
	scratch_load_b128 v[64:67], off, off offset:160
	scratch_load_b128 v[68:71], off, off offset:176
	;; [unrolled: 1-line block ×5, first 2 shown]
	scratch_load_b64 v[104:105], off, off offset:152
	ds_load_b128 v[84:87], v61 offset:400
	ds_load_b128 v[88:91], v61 offset:416
	;; [unrolled: 1-line block ×5, first 2 shown]
	s_mov_b32 s0, exec_lo
	s_wait_loadcnt_dscnt 0x504
	v_dual_mul_f32 v61, v84, v65 :: v_dual_mul_f32 v62, v86, v67
	v_mul_f32_e32 v65, v85, v65
	s_wait_loadcnt_dscnt 0x403
	v_dual_mul_f32 v67, v87, v67 :: v_dual_mul_f32 v106, v88, v69
	s_delay_alu instid0(VALU_DEP_3) | instskip(NEXT) | instid1(VALU_DEP_3)
	v_dual_mul_f32 v107, v90, v71 :: v_dual_fmac_f32 v62, v87, v66
	v_fma_f32 v65, v84, v64, -v65
	v_fmac_f32_e32 v61, v85, v64
	v_mul_f32_e32 v64, v89, v69
	v_fma_f32 v66, v86, v66, -v67
	v_mul_f32_e32 v67, v91, v71
	v_dual_add_f32 v65, 0, v65 :: v_dual_fmac_f32 v106, v89, v68
	s_delay_alu instid0(VALU_DEP_4) | instskip(SKIP_2) | instid1(VALU_DEP_3)
	v_fma_f32 v64, v88, v68, -v64
	s_wait_loadcnt_dscnt 0x302
	v_dual_mul_f32 v108, v92, v73 :: v_dual_mul_f32 v109, v94, v75
	v_add_f32_e32 v65, v65, v66
	v_fmac_f32_e32 v107, v91, v70
	v_fma_f32 v66, v90, v70, -v67
	s_wait_loadcnt_dscnt 0x201
	v_dual_mul_f32 v110, v96, v77 :: v_dual_mul_f32 v111, v98, v79
	v_dual_add_f32 v64, v65, v64 :: v_dual_mul_f32 v65, v95, v75
	v_fmac_f32_e32 v108, v93, v72
	s_wait_loadcnt_dscnt 0x100
	v_dual_mul_f32 v112, v100, v81 :: v_dual_mul_f32 v113, v102, v83
	s_delay_alu instid0(VALU_DEP_3) | instskip(SKIP_3) | instid1(VALU_DEP_4)
	v_dual_add_f32 v64, v64, v66 :: v_dual_add_f32 v61, 0, v61
	v_mul_f32_e32 v66, v97, v77
	v_fma_f32 v65, v94, v74, -v65
	v_dual_fmac_f32 v109, v95, v74 :: v_dual_fmac_f32 v110, v97, v76
	v_add_f32_e32 v61, v61, v62
	v_mul_f32_e32 v62, v93, v73
	v_fma_f32 v66, v96, v76, -v66
	v_dual_fmac_f32 v111, v99, v78 :: v_dual_fmac_f32 v112, v101, v80
	s_delay_alu instid0(VALU_DEP_3) | instskip(NEXT) | instid1(VALU_DEP_1)
	v_fma_f32 v62, v92, v72, -v62
	v_add_f32_e32 v62, v64, v62
	v_mul_f32_e32 v64, v99, v79
	s_delay_alu instid0(VALU_DEP_2) | instskip(SKIP_1) | instid1(VALU_DEP_3)
	v_dual_add_f32 v62, v62, v65 :: v_dual_add_f32 v61, v61, v106
	v_mul_f32_e32 v65, v101, v81
	v_fma_f32 v64, v98, v78, -v64
	s_delay_alu instid0(VALU_DEP_3) | instskip(SKIP_3) | instid1(VALU_DEP_4)
	v_add_f32_e32 v62, v62, v66
	v_mul_f32_e32 v66, v103, v83
	v_add_f32_e32 v61, v61, v107
	v_fma_f32 v65, v100, v80, -v65
	v_dual_add_f32 v62, v62, v64 :: v_dual_fmac_f32 v113, v103, v82
	s_delay_alu instid0(VALU_DEP_3) | instskip(SKIP_1) | instid1(VALU_DEP_3)
	v_add_f32_e32 v61, v61, v108
	v_fma_f32 v64, v102, v82, -v66
	v_add_f32_e32 v62, v62, v65
	s_delay_alu instid0(VALU_DEP_1) | instskip(NEXT) | instid1(VALU_DEP_1)
	v_dual_add_f32 v61, v61, v109 :: v_dual_add_f32 v62, v62, v64
	v_add_f32_e32 v61, v61, v110
	s_delay_alu instid0(VALU_DEP_1) | instskip(NEXT) | instid1(VALU_DEP_1)
	v_add_f32_e32 v61, v61, v111
	v_add_f32_e32 v61, v61, v112
	s_wait_loadcnt 0x0
	s_delay_alu instid0(VALU_DEP_1) | instskip(NEXT) | instid1(VALU_DEP_1)
	v_dual_add_f32 v64, v61, v113 :: v_dual_sub_f32 v61, v104, v62
	v_sub_f32_e32 v62, v105, v64
	scratch_store_b64 off, v[61:62], off offset:152
	v_cmpx_lt_u32_e32 18, v0
	s_cbranch_execz .LBB29_157
; %bb.156:
	scratch_load_b64 v[61:62], off, off offset:144
	v_mov_b32_e32 v64, 0
	s_delay_alu instid0(VALU_DEP_1)
	v_mov_b32_e32 v65, v64
	scratch_store_b64 off, v[64:65], off offset:144
	s_wait_loadcnt 0x0
	ds_store_b64 v63, v[61:62]
.LBB29_157:
	s_wait_alu 0xfffe
	s_or_b32 exec_lo, exec_lo, s0
	s_wait_storecnt_dscnt 0x0
	s_barrier_signal -1
	s_barrier_wait -1
	global_inv scope:SCOPE_SE
	s_clause 0x6
	scratch_load_b128 v[64:67], off, off offset:152
	scratch_load_b128 v[68:71], off, off offset:168
	;; [unrolled: 1-line block ×5, first 2 shown]
	scratch_load_b64 v[104:105], off, off offset:232
	scratch_load_b64 v[106:107], off, off offset:144
	v_mov_b32_e32 v61, 0
	ds_load_2addr_b64 v[84:87], v61 offset0:49 offset1:50
	ds_load_2addr_b64 v[88:91], v61 offset0:51 offset1:52
	;; [unrolled: 1-line block ×5, first 2 shown]
	ds_load_b64 v[108:109], v61 offset:472
	s_mov_b32 s0, exec_lo
	s_wait_loadcnt_dscnt 0x605
	v_mul_f32_e32 v62, v84, v65
	v_dual_mul_f32 v65, v85, v65 :: v_dual_mul_f32 v110, v86, v67
	s_wait_loadcnt_dscnt 0x302
	v_dual_mul_f32 v111, v88, v69 :: v_dual_mul_f32 v116, v98, v79
	s_wait_loadcnt_dscnt 0x100
	v_dual_mul_f32 v119, v108, v105 :: v_dual_fmac_f32 v62, v85, v64
	v_mul_f32_e32 v67, v87, v67
	v_fma_f32 v65, v84, v64, -v65
	v_mul_f32_e32 v64, v89, v69
	v_fmac_f32_e32 v110, v87, v66
	v_add_f32_e32 v62, 0, v62
	v_fma_f32 v66, v86, v66, -v67
	v_add_f32_e32 v65, 0, v65
	v_mul_f32_e32 v67, v91, v71
	s_delay_alu instid0(VALU_DEP_4) | instskip(SKIP_1) | instid1(VALU_DEP_4)
	v_dual_fmac_f32 v111, v89, v68 :: v_dual_add_f32 v62, v62, v110
	v_fma_f32 v64, v88, v68, -v64
	v_dual_add_f32 v65, v65, v66 :: v_dual_mul_f32 v112, v90, v71
	v_mul_f32_e32 v113, v92, v73
	v_mul_f32_e32 v66, v93, v73
	v_fma_f32 v67, v90, v70, -v67
	v_add_f32_e32 v62, v62, v111
	v_add_f32_e32 v64, v65, v64
	v_dual_fmac_f32 v112, v91, v70 :: v_dual_fmac_f32 v113, v93, v72
	v_mul_f32_e32 v65, v95, v75
	v_fma_f32 v66, v92, v72, -v66
	s_delay_alu instid0(VALU_DEP_4) | instskip(SKIP_4) | instid1(VALU_DEP_3)
	v_dual_add_f32 v64, v64, v67 :: v_dual_mul_f32 v67, v97, v77
	v_dual_mul_f32 v114, v94, v75 :: v_dual_mul_f32 v115, v96, v77
	v_dual_mul_f32 v117, v100, v81 :: v_dual_mul_f32 v118, v102, v83
	v_add_f32_e32 v62, v62, v112
	v_fma_f32 v65, v94, v74, -v65
	v_dual_add_f32 v64, v64, v66 :: v_dual_fmac_f32 v117, v101, v80
	v_dual_fmac_f32 v114, v95, v74 :: v_dual_fmac_f32 v115, v97, v76
	v_mul_f32_e32 v66, v99, v79
	s_delay_alu instid0(VALU_DEP_3)
	v_add_f32_e32 v64, v64, v65
	v_mul_f32_e32 v65, v101, v81
	v_dual_add_f32 v62, v62, v113 :: v_dual_fmac_f32 v119, v109, v104
	v_fma_f32 v67, v96, v76, -v67
	v_fmac_f32_e32 v116, v99, v78
	v_fma_f32 v66, v98, v78, -v66
	s_delay_alu instid0(VALU_DEP_4)
	v_add_f32_e32 v62, v62, v114
	v_fma_f32 v65, v100, v80, -v65
	v_add_f32_e32 v64, v64, v67
	v_mul_f32_e32 v67, v103, v83
	v_fmac_f32_e32 v118, v103, v82
	v_add_f32_e32 v62, v62, v115
	s_delay_alu instid0(VALU_DEP_4) | instskip(SKIP_2) | instid1(VALU_DEP_4)
	v_add_f32_e32 v64, v64, v66
	v_mul_f32_e32 v66, v109, v105
	v_fma_f32 v67, v102, v82, -v67
	v_add_f32_e32 v62, v62, v116
	s_delay_alu instid0(VALU_DEP_4) | instskip(NEXT) | instid1(VALU_DEP_4)
	v_add_f32_e32 v64, v64, v65
	v_fma_f32 v65, v108, v104, -v66
	s_delay_alu instid0(VALU_DEP_3) | instskip(NEXT) | instid1(VALU_DEP_3)
	v_add_f32_e32 v62, v62, v117
	v_add_f32_e32 v64, v64, v67
	s_delay_alu instid0(VALU_DEP_2) | instskip(NEXT) | instid1(VALU_DEP_2)
	v_add_f32_e32 v62, v62, v118
	v_add_f32_e32 v64, v64, v65
	s_delay_alu instid0(VALU_DEP_2) | instskip(SKIP_1) | instid1(VALU_DEP_1)
	v_add_f32_e32 v62, v62, v119
	s_wait_loadcnt 0x0
	v_dual_sub_f32 v64, v106, v64 :: v_dual_sub_f32 v65, v107, v62
	scratch_store_b64 off, v[64:65], off offset:144
	v_cmpx_lt_u32_e32 17, v0
	s_cbranch_execz .LBB29_159
; %bb.158:
	scratch_load_b64 v[64:65], off, off offset:136
	v_mov_b32_e32 v62, v61
	scratch_store_b64 off, v[61:62], off offset:136
	s_wait_loadcnt 0x0
	ds_store_b64 v63, v[64:65]
.LBB29_159:
	s_wait_alu 0xfffe
	s_or_b32 exec_lo, exec_lo, s0
	s_wait_storecnt_dscnt 0x0
	s_barrier_signal -1
	s_barrier_wait -1
	global_inv scope:SCOPE_SE
	s_clause 0x6
	scratch_load_b128 v[64:67], off, off offset:144
	scratch_load_b128 v[68:71], off, off offset:160
	;; [unrolled: 1-line block ×6, first 2 shown]
	scratch_load_b64 v[112:113], off, off offset:136
	ds_load_b128 v[88:91], v61 offset:384
	ds_load_b128 v[92:95], v61 offset:400
	;; [unrolled: 1-line block ×6, first 2 shown]
	s_mov_b32 s0, exec_lo
	s_wait_loadcnt_dscnt 0x605
	v_dual_mul_f32 v61, v88, v65 :: v_dual_mul_f32 v62, v90, v67
	v_mul_f32_e32 v65, v89, v65
	s_wait_loadcnt_dscnt 0x504
	v_dual_mul_f32 v67, v91, v67 :: v_dual_mul_f32 v114, v92, v69
	s_delay_alu instid0(VALU_DEP_3) | instskip(NEXT) | instid1(VALU_DEP_3)
	v_dual_mul_f32 v115, v94, v71 :: v_dual_fmac_f32 v62, v91, v66
	v_fma_f32 v65, v88, v64, -v65
	v_fmac_f32_e32 v61, v89, v64
	v_mul_f32_e32 v64, v93, v69
	v_fma_f32 v66, v90, v66, -v67
	v_mul_f32_e32 v67, v95, v71
	v_dual_add_f32 v65, 0, v65 :: v_dual_fmac_f32 v114, v93, v68
	s_delay_alu instid0(VALU_DEP_4) | instskip(SKIP_2) | instid1(VALU_DEP_3)
	v_fma_f32 v64, v92, v68, -v64
	s_wait_loadcnt_dscnt 0x403
	v_dual_mul_f32 v116, v96, v73 :: v_dual_mul_f32 v117, v98, v75
	v_add_f32_e32 v65, v65, v66
	v_fmac_f32_e32 v115, v95, v70
	v_fma_f32 v66, v94, v70, -v67
	s_wait_loadcnt_dscnt 0x302
	v_dual_mul_f32 v118, v100, v77 :: v_dual_mul_f32 v119, v102, v79
	v_dual_add_f32 v64, v65, v64 :: v_dual_mul_f32 v65, v99, v75
	v_fmac_f32_e32 v116, v97, v72
	s_wait_loadcnt_dscnt 0x201
	v_dual_mul_f32 v120, v104, v81 :: v_dual_mul_f32 v121, v106, v83
	s_delay_alu instid0(VALU_DEP_3) | instskip(SKIP_3) | instid1(VALU_DEP_4)
	v_dual_add_f32 v64, v64, v66 :: v_dual_add_f32 v61, 0, v61
	v_mul_f32_e32 v66, v101, v77
	v_fma_f32 v65, v98, v74, -v65
	v_dual_fmac_f32 v117, v99, v74 :: v_dual_fmac_f32 v118, v101, v76
	v_add_f32_e32 v61, v61, v62
	v_mul_f32_e32 v62, v97, v73
	v_fma_f32 v66, v100, v76, -v66
	v_dual_fmac_f32 v119, v103, v78 :: v_dual_fmac_f32 v120, v105, v80
	s_wait_loadcnt_dscnt 0x100
	v_dual_mul_f32 v122, v108, v85 :: v_dual_mul_f32 v123, v110, v87
	v_fma_f32 v62, v96, v72, -v62
	s_delay_alu instid0(VALU_DEP_2) | instskip(NEXT) | instid1(VALU_DEP_3)
	v_dual_fmac_f32 v121, v107, v82 :: v_dual_fmac_f32 v122, v109, v84
	v_fmac_f32_e32 v123, v111, v86
	s_delay_alu instid0(VALU_DEP_3) | instskip(SKIP_1) | instid1(VALU_DEP_2)
	v_add_f32_e32 v62, v64, v62
	v_mul_f32_e32 v64, v103, v79
	v_dual_add_f32 v62, v62, v65 :: v_dual_add_f32 v61, v61, v114
	v_mul_f32_e32 v65, v105, v81
	s_delay_alu instid0(VALU_DEP_3) | instskip(NEXT) | instid1(VALU_DEP_3)
	v_fma_f32 v64, v102, v78, -v64
	v_add_f32_e32 v62, v62, v66
	v_mul_f32_e32 v66, v107, v83
	v_add_f32_e32 v61, v61, v115
	v_fma_f32 v65, v104, v80, -v65
	s_delay_alu instid0(VALU_DEP_4) | instskip(SKIP_1) | instid1(VALU_DEP_4)
	v_add_f32_e32 v62, v62, v64
	v_mul_f32_e32 v64, v109, v85
	v_add_f32_e32 v61, v61, v116
	v_fma_f32 v66, v106, v82, -v66
	s_delay_alu instid0(VALU_DEP_4) | instskip(NEXT) | instid1(VALU_DEP_3)
	v_dual_add_f32 v62, v62, v65 :: v_dual_mul_f32 v65, v111, v87
	v_add_f32_e32 v61, v61, v117
	v_fma_f32 v64, v108, v84, -v64
	s_delay_alu instid0(VALU_DEP_3) | instskip(NEXT) | instid1(VALU_DEP_4)
	v_add_f32_e32 v62, v62, v66
	v_fma_f32 v65, v110, v86, -v65
	s_delay_alu instid0(VALU_DEP_2) | instskip(NEXT) | instid1(VALU_DEP_1)
	v_dual_add_f32 v61, v61, v118 :: v_dual_add_f32 v62, v62, v64
	v_dual_add_f32 v61, v61, v119 :: v_dual_add_f32 v62, v62, v65
	s_delay_alu instid0(VALU_DEP_1) | instskip(NEXT) | instid1(VALU_DEP_1)
	v_add_f32_e32 v61, v61, v120
	v_add_f32_e32 v61, v61, v121
	s_delay_alu instid0(VALU_DEP_1) | instskip(SKIP_1) | instid1(VALU_DEP_1)
	v_add_f32_e32 v61, v61, v122
	s_wait_loadcnt 0x0
	v_dual_add_f32 v64, v61, v123 :: v_dual_sub_f32 v61, v112, v62
	s_delay_alu instid0(VALU_DEP_1)
	v_sub_f32_e32 v62, v113, v64
	scratch_store_b64 off, v[61:62], off offset:136
	v_cmpx_lt_u32_e32 16, v0
	s_cbranch_execz .LBB29_161
; %bb.160:
	scratch_load_b64 v[61:62], off, off offset:128
	v_mov_b32_e32 v64, 0
	s_delay_alu instid0(VALU_DEP_1)
	v_mov_b32_e32 v65, v64
	scratch_store_b64 off, v[64:65], off offset:128
	s_wait_loadcnt 0x0
	ds_store_b64 v63, v[61:62]
.LBB29_161:
	s_wait_alu 0xfffe
	s_or_b32 exec_lo, exec_lo, s0
	s_wait_storecnt_dscnt 0x0
	s_barrier_signal -1
	s_barrier_wait -1
	global_inv scope:SCOPE_SE
	s_clause 0x7
	scratch_load_b128 v[64:67], off, off offset:136
	scratch_load_b128 v[68:71], off, off offset:152
	;; [unrolled: 1-line block ×6, first 2 shown]
	scratch_load_b64 v[112:113], off, off offset:232
	scratch_load_b64 v[114:115], off, off offset:128
	v_mov_b32_e32 v61, 0
	ds_load_2addr_b64 v[88:91], v61 offset0:47 offset1:48
	ds_load_2addr_b64 v[92:95], v61 offset0:49 offset1:50
	;; [unrolled: 1-line block ×6, first 2 shown]
	ds_load_b64 v[116:117], v61 offset:472
	s_mov_b32 s0, exec_lo
	s_wait_loadcnt_dscnt 0x706
	v_mul_f32_e32 v62, v88, v65
	v_dual_mul_f32 v65, v89, v65 :: v_dual_mul_f32 v118, v90, v67
	s_wait_loadcnt_dscnt 0x302
	v_dual_mul_f32 v119, v92, v69 :: v_dual_mul_f32 v126, v106, v83
	v_mul_f32_e32 v67, v91, v67
	s_wait_loadcnt_dscnt 0x100
	v_dual_mul_f32 v129, v116, v113 :: v_dual_fmac_f32 v62, v89, v64
	v_fma_f32 v65, v88, v64, -v65
	v_mul_f32_e32 v64, v93, v69
	v_fmac_f32_e32 v118, v91, v66
	v_fma_f32 v66, v90, v66, -v67
	v_dual_add_f32 v62, 0, v62 :: v_dual_mul_f32 v67, v95, v71
	v_add_f32_e32 v65, 0, v65
	v_fmac_f32_e32 v119, v93, v68
	v_fma_f32 v64, v92, v68, -v64
	s_delay_alu instid0(VALU_DEP_4)
	v_add_f32_e32 v62, v62, v118
	v_fma_f32 v67, v94, v70, -v67
	v_add_f32_e32 v65, v65, v66
	v_mul_f32_e32 v66, v97, v73
	v_dual_mul_f32 v120, v94, v71 :: v_dual_mul_f32 v121, v96, v73
	v_add_f32_e32 v62, v62, v119
	s_delay_alu instid0(VALU_DEP_4) | instskip(NEXT) | instid1(VALU_DEP_4)
	v_dual_add_f32 v64, v65, v64 :: v_dual_mul_f32 v65, v99, v75
	v_fma_f32 v66, v96, v72, -v66
	v_dual_mul_f32 v124, v102, v79 :: v_dual_mul_f32 v125, v104, v81
	s_delay_alu instid0(VALU_DEP_3) | instskip(NEXT) | instid1(VALU_DEP_4)
	v_dual_add_f32 v64, v64, v67 :: v_dual_mul_f32 v67, v101, v77
	v_fma_f32 v65, v98, v74, -v65
	v_dual_mul_f32 v127, v108, v85 :: v_dual_mul_f32 v128, v110, v87
	s_delay_alu instid0(VALU_DEP_3) | instskip(SKIP_1) | instid1(VALU_DEP_3)
	v_dual_add_f32 v64, v64, v66 :: v_dual_fmac_f32 v125, v105, v80
	v_dual_fmac_f32 v120, v95, v70 :: v_dual_fmac_f32 v121, v97, v72
	v_dual_mul_f32 v66, v103, v79 :: v_dual_fmac_f32 v127, v109, v84
	v_fma_f32 v67, v100, v76, -v67
	s_delay_alu instid0(VALU_DEP_4) | instskip(SKIP_3) | instid1(VALU_DEP_4)
	v_dual_add_f32 v64, v64, v65 :: v_dual_fmac_f32 v129, v117, v112
	v_dual_mul_f32 v122, v98, v75 :: v_dual_mul_f32 v123, v100, v77
	v_dual_add_f32 v62, v62, v120 :: v_dual_mul_f32 v65, v105, v81
	v_fma_f32 v66, v102, v78, -v66
	v_add_f32_e32 v64, v64, v67
	s_delay_alu instid0(VALU_DEP_4) | instskip(NEXT) | instid1(VALU_DEP_4)
	v_dual_fmac_f32 v122, v99, v74 :: v_dual_fmac_f32 v123, v101, v76
	v_dual_add_f32 v62, v62, v121 :: v_dual_mul_f32 v67, v107, v83
	v_fma_f32 v65, v104, v80, -v65
	s_delay_alu instid0(VALU_DEP_4)
	v_add_f32_e32 v64, v64, v66
	v_fmac_f32_e32 v124, v103, v78
	v_mul_f32_e32 v66, v109, v85
	v_fma_f32 v67, v106, v82, -v67
	v_fmac_f32_e32 v126, v107, v82
	v_dual_add_f32 v64, v64, v65 :: v_dual_mul_f32 v65, v111, v87
	v_add_f32_e32 v62, v62, v122
	v_fma_f32 v66, v108, v84, -v66
	v_fmac_f32_e32 v128, v111, v86
	s_delay_alu instid0(VALU_DEP_4) | instskip(NEXT) | instid1(VALU_DEP_4)
	v_dual_add_f32 v64, v64, v67 :: v_dual_mul_f32 v67, v117, v113
	v_add_f32_e32 v62, v62, v123
	v_fma_f32 v65, v110, v86, -v65
	s_delay_alu instid0(VALU_DEP_3) | instskip(NEXT) | instid1(VALU_DEP_4)
	v_add_f32_e32 v64, v64, v66
	v_fma_f32 v66, v116, v112, -v67
	s_delay_alu instid0(VALU_DEP_4) | instskip(NEXT) | instid1(VALU_DEP_3)
	v_add_f32_e32 v62, v62, v124
	v_add_f32_e32 v64, v64, v65
	s_delay_alu instid0(VALU_DEP_2) | instskip(NEXT) | instid1(VALU_DEP_2)
	v_add_f32_e32 v62, v62, v125
	v_add_f32_e32 v64, v64, v66
	s_delay_alu instid0(VALU_DEP_2) | instskip(SKIP_1) | instid1(VALU_DEP_2)
	v_add_f32_e32 v62, v62, v126
	s_wait_loadcnt 0x0
	v_sub_f32_e32 v64, v114, v64
	s_delay_alu instid0(VALU_DEP_2) | instskip(NEXT) | instid1(VALU_DEP_1)
	v_add_f32_e32 v62, v62, v127
	v_add_f32_e32 v62, v62, v128
	s_delay_alu instid0(VALU_DEP_1) | instskip(NEXT) | instid1(VALU_DEP_1)
	v_add_f32_e32 v62, v62, v129
	v_sub_f32_e32 v65, v115, v62
	scratch_store_b64 off, v[64:65], off offset:128
	v_cmpx_lt_u32_e32 15, v0
	s_cbranch_execz .LBB29_163
; %bb.162:
	scratch_load_b64 v[64:65], off, off offset:120
	v_mov_b32_e32 v62, v61
	scratch_store_b64 off, v[61:62], off offset:120
	s_wait_loadcnt 0x0
	ds_store_b64 v63, v[64:65]
.LBB29_163:
	s_wait_alu 0xfffe
	s_or_b32 exec_lo, exec_lo, s0
	s_wait_storecnt_dscnt 0x0
	s_barrier_signal -1
	s_barrier_wait -1
	global_inv scope:SCOPE_SE
	s_clause 0x7
	scratch_load_b128 v[64:67], off, off offset:128
	scratch_load_b128 v[68:71], off, off offset:144
	;; [unrolled: 1-line block ×7, first 2 shown]
	scratch_load_b64 v[120:121], off, off offset:120
	ds_load_b128 v[92:95], v61 offset:368
	ds_load_b128 v[96:99], v61 offset:384
	;; [unrolled: 1-line block ×7, first 2 shown]
	s_mov_b32 s0, exec_lo
	s_wait_loadcnt_dscnt 0x706
	v_dual_mul_f32 v61, v92, v65 :: v_dual_mul_f32 v62, v94, v67
	v_mul_f32_e32 v65, v93, v65
	s_wait_loadcnt_dscnt 0x605
	v_dual_mul_f32 v67, v95, v67 :: v_dual_mul_f32 v122, v96, v69
	s_delay_alu instid0(VALU_DEP_3) | instskip(NEXT) | instid1(VALU_DEP_3)
	v_dual_mul_f32 v123, v98, v71 :: v_dual_fmac_f32 v62, v95, v66
	v_fma_f32 v65, v92, v64, -v65
	v_fmac_f32_e32 v61, v93, v64
	v_mul_f32_e32 v64, v97, v69
	v_fma_f32 v66, v94, v66, -v67
	v_mul_f32_e32 v67, v99, v71
	v_dual_add_f32 v65, 0, v65 :: v_dual_fmac_f32 v122, v97, v68
	s_delay_alu instid0(VALU_DEP_4) | instskip(SKIP_2) | instid1(VALU_DEP_3)
	v_fma_f32 v64, v96, v68, -v64
	s_wait_loadcnt_dscnt 0x504
	v_dual_mul_f32 v124, v100, v73 :: v_dual_mul_f32 v125, v102, v75
	v_add_f32_e32 v65, v65, v66
	v_fmac_f32_e32 v123, v99, v70
	v_fma_f32 v66, v98, v70, -v67
	s_wait_loadcnt_dscnt 0x403
	v_dual_mul_f32 v126, v104, v77 :: v_dual_mul_f32 v127, v106, v79
	v_dual_add_f32 v64, v65, v64 :: v_dual_mul_f32 v65, v103, v75
	v_fmac_f32_e32 v124, v101, v72
	s_wait_loadcnt_dscnt 0x302
	v_dual_mul_f32 v128, v108, v81 :: v_dual_mul_f32 v129, v110, v83
	s_delay_alu instid0(VALU_DEP_3) | instskip(SKIP_3) | instid1(VALU_DEP_4)
	v_dual_add_f32 v64, v64, v66 :: v_dual_add_f32 v61, 0, v61
	v_mul_f32_e32 v66, v105, v77
	v_fma_f32 v65, v102, v74, -v65
	v_dual_fmac_f32 v125, v103, v74 :: v_dual_fmac_f32 v126, v105, v76
	v_add_f32_e32 v61, v61, v62
	v_mul_f32_e32 v62, v101, v73
	v_fma_f32 v66, v104, v76, -v66
	v_dual_fmac_f32 v127, v107, v78 :: v_dual_fmac_f32 v128, v109, v80
	s_wait_loadcnt_dscnt 0x201
	v_dual_mul_f32 v130, v112, v85 :: v_dual_mul_f32 v131, v114, v87
	v_fma_f32 v62, v100, v72, -v62
	s_wait_loadcnt_dscnt 0x100
	v_dual_mul_f32 v132, v116, v89 :: v_dual_mul_f32 v133, v118, v91
	s_delay_alu instid0(VALU_DEP_3) | instskip(NEXT) | instid1(VALU_DEP_3)
	v_dual_fmac_f32 v129, v111, v82 :: v_dual_fmac_f32 v130, v113, v84
	v_add_f32_e32 v62, v64, v62
	v_mul_f32_e32 v64, v107, v79
	s_delay_alu instid0(VALU_DEP_4) | instskip(NEXT) | instid1(VALU_DEP_3)
	v_dual_fmac_f32 v132, v117, v88 :: v_dual_fmac_f32 v133, v119, v90
	v_dual_fmac_f32 v131, v115, v86 :: v_dual_add_f32 v62, v62, v65
	v_add_f32_e32 v61, v61, v122
	v_mul_f32_e32 v65, v109, v81
	v_fma_f32 v64, v106, v78, -v64
	s_delay_alu instid0(VALU_DEP_4) | instskip(SKIP_3) | instid1(VALU_DEP_4)
	v_add_f32_e32 v62, v62, v66
	v_mul_f32_e32 v66, v111, v83
	v_add_f32_e32 v61, v61, v123
	v_fma_f32 v65, v108, v80, -v65
	v_add_f32_e32 v62, v62, v64
	v_mul_f32_e32 v64, v113, v85
	s_delay_alu instid0(VALU_DEP_4) | instskip(SKIP_1) | instid1(VALU_DEP_4)
	v_add_f32_e32 v61, v61, v124
	v_fma_f32 v66, v110, v82, -v66
	v_dual_add_f32 v62, v62, v65 :: v_dual_mul_f32 v65, v115, v87
	s_delay_alu instid0(VALU_DEP_3) | instskip(SKIP_1) | instid1(VALU_DEP_3)
	v_add_f32_e32 v61, v61, v125
	v_fma_f32 v64, v112, v84, -v64
	v_add_f32_e32 v62, v62, v66
	s_delay_alu instid0(VALU_DEP_4) | instskip(NEXT) | instid1(VALU_DEP_4)
	v_fma_f32 v65, v114, v86, -v65
	v_add_f32_e32 v61, v61, v126
	v_mul_f32_e32 v66, v117, v89
	s_delay_alu instid0(VALU_DEP_4) | instskip(SKIP_1) | instid1(VALU_DEP_4)
	v_add_f32_e32 v62, v62, v64
	v_mul_f32_e32 v64, v119, v91
	v_add_f32_e32 v61, v61, v127
	s_delay_alu instid0(VALU_DEP_4) | instskip(NEXT) | instid1(VALU_DEP_4)
	v_fma_f32 v66, v116, v88, -v66
	v_add_f32_e32 v62, v62, v65
	s_delay_alu instid0(VALU_DEP_4) | instskip(NEXT) | instid1(VALU_DEP_2)
	v_fma_f32 v64, v118, v90, -v64
	v_dual_add_f32 v61, v61, v128 :: v_dual_add_f32 v62, v62, v66
	s_delay_alu instid0(VALU_DEP_1) | instskip(NEXT) | instid1(VALU_DEP_1)
	v_dual_add_f32 v61, v61, v129 :: v_dual_add_f32 v62, v62, v64
	v_add_f32_e32 v61, v61, v130
	s_delay_alu instid0(VALU_DEP_1) | instskip(NEXT) | instid1(VALU_DEP_1)
	v_add_f32_e32 v61, v61, v131
	v_add_f32_e32 v61, v61, v132
	s_wait_loadcnt 0x0
	s_delay_alu instid0(VALU_DEP_1) | instskip(NEXT) | instid1(VALU_DEP_1)
	v_dual_add_f32 v64, v61, v133 :: v_dual_sub_f32 v61, v120, v62
	v_sub_f32_e32 v62, v121, v64
	scratch_store_b64 off, v[61:62], off offset:120
	v_cmpx_lt_u32_e32 14, v0
	s_cbranch_execz .LBB29_165
; %bb.164:
	scratch_load_b64 v[61:62], off, off offset:112
	v_mov_b32_e32 v64, 0
	s_delay_alu instid0(VALU_DEP_1)
	v_mov_b32_e32 v65, v64
	scratch_store_b64 off, v[64:65], off offset:112
	s_wait_loadcnt 0x0
	ds_store_b64 v63, v[61:62]
.LBB29_165:
	s_wait_alu 0xfffe
	s_or_b32 exec_lo, exec_lo, s0
	s_wait_storecnt_dscnt 0x0
	s_barrier_signal -1
	s_barrier_wait -1
	global_inv scope:SCOPE_SE
	s_clause 0x8
	scratch_load_b128 v[64:67], off, off offset:120
	scratch_load_b128 v[68:71], off, off offset:136
	scratch_load_b128 v[72:75], off, off offset:152
	scratch_load_b128 v[76:79], off, off offset:168
	scratch_load_b128 v[80:83], off, off offset:184
	scratch_load_b128 v[84:87], off, off offset:200
	scratch_load_b128 v[88:91], off, off offset:216
	scratch_load_b64 v[120:121], off, off offset:232
	scratch_load_b64 v[122:123], off, off offset:112
	v_mov_b32_e32 v61, 0
	ds_load_2addr_b64 v[92:95], v61 offset0:45 offset1:46
	ds_load_2addr_b64 v[96:99], v61 offset0:47 offset1:48
	ds_load_2addr_b64 v[100:103], v61 offset0:49 offset1:50
	ds_load_2addr_b64 v[104:107], v61 offset0:51 offset1:52
	ds_load_2addr_b64 v[108:111], v61 offset0:53 offset1:54
	ds_load_2addr_b64 v[112:115], v61 offset0:55 offset1:56
	ds_load_2addr_b64 v[116:119], v61 offset0:57 offset1:58
	ds_load_b64 v[124:125], v61 offset:472
	s_mov_b32 s0, exec_lo
	s_wait_loadcnt_dscnt 0x807
	v_mul_f32_e32 v62, v92, v65
	v_dual_mul_f32 v65, v93, v65 :: v_dual_mul_f32 v126, v94, v67
	s_wait_loadcnt_dscnt 0x706
	v_mul_f32_e32 v127, v96, v69
	v_mul_f32_e32 v67, v95, v67
	s_wait_loadcnt_dscnt 0x302
	v_mul_f32_e32 v136, v114, v87
	v_fma_f32 v65, v92, v64, -v65
	s_wait_loadcnt_dscnt 0x100
	v_dual_mul_f32 v139, v124, v121 :: v_dual_fmac_f32 v62, v93, v64
	v_mul_f32_e32 v64, v97, v69
	s_delay_alu instid0(VALU_DEP_3) | instskip(SKIP_1) | instid1(VALU_DEP_4)
	v_dual_fmac_f32 v126, v95, v66 :: v_dual_add_f32 v65, 0, v65
	v_fma_f32 v66, v94, v66, -v67
	v_dual_add_f32 v62, 0, v62 :: v_dual_mul_f32 v67, v99, v71
	v_fmac_f32_e32 v127, v97, v68
	v_fma_f32 v64, v96, v68, -v64
	v_dual_mul_f32 v128, v98, v71 :: v_dual_mul_f32 v129, v100, v73
	s_delay_alu instid0(VALU_DEP_4)
	v_add_f32_e32 v62, v62, v126
	v_add_f32_e32 v65, v65, v66
	v_mul_f32_e32 v66, v101, v73
	v_fma_f32 v67, v98, v70, -v67
	v_dual_mul_f32 v132, v106, v79 :: v_dual_mul_f32 v133, v108, v81
	v_add_f32_e32 v62, v62, v127
	v_dual_add_f32 v64, v65, v64 :: v_dual_mul_f32 v65, v103, v75
	v_fma_f32 v66, v100, v72, -v66
	v_dual_mul_f32 v134, v110, v83 :: v_dual_mul_f32 v135, v112, v85
	s_delay_alu instid0(VALU_DEP_3) | instskip(NEXT) | instid1(VALU_DEP_4)
	v_dual_add_f32 v64, v64, v67 :: v_dual_mul_f32 v67, v105, v77
	v_fma_f32 v65, v102, v74, -v65
	v_dual_mul_f32 v137, v116, v89 :: v_dual_mul_f32 v138, v118, v91
	s_delay_alu instid0(VALU_DEP_3) | instskip(SKIP_3) | instid1(VALU_DEP_4)
	v_dual_add_f32 v64, v64, v66 :: v_dual_fmac_f32 v133, v109, v80
	v_dual_fmac_f32 v128, v99, v70 :: v_dual_fmac_f32 v129, v101, v72
	v_dual_mul_f32 v66, v107, v79 :: v_dual_fmac_f32 v135, v113, v84
	v_fma_f32 v67, v104, v76, -v67
	v_dual_add_f32 v64, v64, v65 :: v_dual_fmac_f32 v137, v117, v88
	s_delay_alu instid0(VALU_DEP_4) | instskip(NEXT) | instid1(VALU_DEP_4)
	v_dual_add_f32 v62, v62, v128 :: v_dual_mul_f32 v65, v109, v81
	v_fma_f32 v66, v106, v78, -v66
	s_delay_alu instid0(VALU_DEP_3) | instskip(SKIP_3) | instid1(VALU_DEP_4)
	v_dual_add_f32 v64, v64, v67 :: v_dual_fmac_f32 v139, v125, v120
	v_dual_mul_f32 v130, v102, v75 :: v_dual_mul_f32 v131, v104, v77
	v_mul_f32_e32 v67, v111, v83
	v_fma_f32 v65, v108, v80, -v65
	v_add_f32_e32 v64, v64, v66
	s_delay_alu instid0(VALU_DEP_4) | instskip(SKIP_4) | instid1(VALU_DEP_4)
	v_dual_fmac_f32 v130, v103, v74 :: v_dual_fmac_f32 v131, v105, v76
	v_add_f32_e32 v62, v62, v129
	v_mul_f32_e32 v66, v113, v85
	v_fma_f32 v67, v110, v82, -v67
	v_dual_add_f32 v64, v64, v65 :: v_dual_mul_f32 v65, v115, v87
	v_add_f32_e32 v62, v62, v130
	s_delay_alu instid0(VALU_DEP_4) | instskip(SKIP_1) | instid1(VALU_DEP_4)
	v_fma_f32 v66, v112, v84, -v66
	v_fmac_f32_e32 v132, v107, v78
	v_dual_add_f32 v64, v64, v67 :: v_dual_mul_f32 v67, v117, v89
	s_delay_alu instid0(VALU_DEP_4) | instskip(SKIP_2) | instid1(VALU_DEP_4)
	v_add_f32_e32 v62, v62, v131
	v_fma_f32 v65, v114, v86, -v65
	v_fmac_f32_e32 v134, v111, v82
	v_add_f32_e32 v64, v64, v66
	v_fmac_f32_e32 v136, v115, v86
	v_mul_f32_e32 v66, v119, v91
	v_fma_f32 v67, v116, v88, -v67
	v_fmac_f32_e32 v138, v119, v90
	v_add_f32_e32 v64, v64, v65
	v_dual_mul_f32 v65, v125, v121 :: v_dual_add_f32 v62, v62, v132
	v_fma_f32 v66, v118, v90, -v66
	s_delay_alu instid0(VALU_DEP_3) | instskip(NEXT) | instid1(VALU_DEP_3)
	v_add_f32_e32 v64, v64, v67
	v_fma_f32 v65, v124, v120, -v65
	s_delay_alu instid0(VALU_DEP_4) | instskip(NEXT) | instid1(VALU_DEP_3)
	v_add_f32_e32 v62, v62, v133
	v_add_f32_e32 v64, v64, v66
	s_delay_alu instid0(VALU_DEP_2) | instskip(NEXT) | instid1(VALU_DEP_2)
	v_add_f32_e32 v62, v62, v134
	v_add_f32_e32 v64, v64, v65
	s_delay_alu instid0(VALU_DEP_2) | instskip(SKIP_1) | instid1(VALU_DEP_2)
	v_add_f32_e32 v62, v62, v135
	s_wait_loadcnt 0x0
	v_sub_f32_e32 v64, v122, v64
	s_delay_alu instid0(VALU_DEP_2) | instskip(NEXT) | instid1(VALU_DEP_1)
	v_add_f32_e32 v62, v62, v136
	v_add_f32_e32 v62, v62, v137
	s_delay_alu instid0(VALU_DEP_1) | instskip(NEXT) | instid1(VALU_DEP_1)
	v_add_f32_e32 v62, v62, v138
	v_add_f32_e32 v62, v62, v139
	s_delay_alu instid0(VALU_DEP_1)
	v_sub_f32_e32 v65, v123, v62
	scratch_store_b64 off, v[64:65], off offset:112
	v_cmpx_lt_u32_e32 13, v0
	s_cbranch_execz .LBB29_167
; %bb.166:
	scratch_load_b64 v[64:65], off, off offset:104
	v_mov_b32_e32 v62, v61
	scratch_store_b64 off, v[61:62], off offset:104
	s_wait_loadcnt 0x0
	ds_store_b64 v63, v[64:65]
.LBB29_167:
	s_wait_alu 0xfffe
	s_or_b32 exec_lo, exec_lo, s0
	s_wait_storecnt_dscnt 0x0
	s_barrier_signal -1
	s_barrier_wait -1
	global_inv scope:SCOPE_SE
	s_clause 0x8
	scratch_load_b128 v[64:67], off, off offset:112
	scratch_load_b128 v[68:71], off, off offset:128
	;; [unrolled: 1-line block ×8, first 2 shown]
	scratch_load_b64 v[128:129], off, off offset:104
	ds_load_b128 v[96:99], v61 offset:352
	ds_load_b128 v[100:103], v61 offset:368
	;; [unrolled: 1-line block ×8, first 2 shown]
	s_mov_b32 s0, exec_lo
	s_wait_loadcnt_dscnt 0x807
	v_dual_mul_f32 v61, v96, v65 :: v_dual_mul_f32 v62, v98, v67
	v_mul_f32_e32 v65, v97, v65
	s_wait_loadcnt_dscnt 0x706
	v_dual_mul_f32 v67, v99, v67 :: v_dual_mul_f32 v130, v100, v69
	s_delay_alu instid0(VALU_DEP_3) | instskip(NEXT) | instid1(VALU_DEP_3)
	v_dual_mul_f32 v131, v102, v71 :: v_dual_fmac_f32 v62, v99, v66
	v_fma_f32 v65, v96, v64, -v65
	v_fmac_f32_e32 v61, v97, v64
	v_mul_f32_e32 v64, v101, v69
	v_fma_f32 v66, v98, v66, -v67
	v_mul_f32_e32 v67, v103, v71
	v_dual_add_f32 v65, 0, v65 :: v_dual_fmac_f32 v130, v101, v68
	s_delay_alu instid0(VALU_DEP_4) | instskip(SKIP_2) | instid1(VALU_DEP_3)
	v_fma_f32 v64, v100, v68, -v64
	s_wait_loadcnt_dscnt 0x605
	v_dual_mul_f32 v132, v104, v73 :: v_dual_mul_f32 v133, v106, v75
	v_add_f32_e32 v65, v65, v66
	v_fmac_f32_e32 v131, v103, v70
	v_fma_f32 v66, v102, v70, -v67
	s_wait_loadcnt_dscnt 0x504
	v_dual_mul_f32 v134, v108, v77 :: v_dual_mul_f32 v135, v110, v79
	v_dual_add_f32 v64, v65, v64 :: v_dual_mul_f32 v65, v107, v75
	v_fmac_f32_e32 v132, v105, v72
	s_wait_loadcnt_dscnt 0x403
	v_dual_mul_f32 v136, v112, v81 :: v_dual_mul_f32 v137, v114, v83
	s_delay_alu instid0(VALU_DEP_3) | instskip(SKIP_3) | instid1(VALU_DEP_4)
	v_dual_add_f32 v64, v64, v66 :: v_dual_add_f32 v61, 0, v61
	v_mul_f32_e32 v66, v109, v77
	v_fma_f32 v65, v106, v74, -v65
	v_dual_fmac_f32 v133, v107, v74 :: v_dual_fmac_f32 v134, v109, v76
	v_add_f32_e32 v61, v61, v62
	v_mul_f32_e32 v62, v105, v73
	v_fma_f32 v66, v108, v76, -v66
	v_dual_fmac_f32 v135, v111, v78 :: v_dual_fmac_f32 v136, v113, v80
	s_wait_loadcnt_dscnt 0x302
	v_dual_mul_f32 v138, v116, v85 :: v_dual_mul_f32 v139, v118, v87
	v_fma_f32 v62, v104, v72, -v62
	s_wait_loadcnt_dscnt 0x201
	v_dual_mul_f32 v140, v120, v89 :: v_dual_mul_f32 v141, v122, v91
	s_wait_loadcnt_dscnt 0x100
	v_dual_mul_f32 v142, v124, v93 :: v_dual_mul_f32 v143, v126, v95
	v_add_f32_e32 v62, v64, v62
	v_mul_f32_e32 v64, v111, v79
	v_dual_fmac_f32 v140, v121, v88 :: v_dual_fmac_f32 v141, v123, v90
	s_delay_alu instid0(VALU_DEP_4) | instskip(NEXT) | instid1(VALU_DEP_4)
	v_dual_fmac_f32 v142, v125, v92 :: v_dual_fmac_f32 v143, v127, v94
	v_dual_add_f32 v62, v62, v65 :: v_dual_add_f32 v61, v61, v130
	v_mul_f32_e32 v65, v113, v81
	v_fma_f32 v64, v110, v78, -v64
	v_fmac_f32_e32 v137, v115, v82
	s_delay_alu instid0(VALU_DEP_4)
	v_add_f32_e32 v62, v62, v66
	v_mul_f32_e32 v66, v115, v83
	v_add_f32_e32 v61, v61, v131
	v_fma_f32 v65, v112, v80, -v65
	v_fmac_f32_e32 v138, v117, v84
	v_add_f32_e32 v62, v62, v64
	v_mul_f32_e32 v64, v117, v85
	v_add_f32_e32 v61, v61, v132
	v_fma_f32 v66, v114, v82, -v66
	s_delay_alu instid0(VALU_DEP_4) | instskip(SKIP_1) | instid1(VALU_DEP_4)
	v_dual_fmac_f32 v139, v119, v86 :: v_dual_add_f32 v62, v62, v65
	v_mul_f32_e32 v65, v119, v87
	v_add_f32_e32 v61, v61, v133
	v_fma_f32 v64, v116, v84, -v64
	s_delay_alu instid0(VALU_DEP_4) | instskip(NEXT) | instid1(VALU_DEP_4)
	v_add_f32_e32 v62, v62, v66
	v_fma_f32 v65, v118, v86, -v65
	s_delay_alu instid0(VALU_DEP_4) | instskip(SKIP_1) | instid1(VALU_DEP_4)
	v_add_f32_e32 v61, v61, v134
	v_mul_f32_e32 v66, v121, v89
	v_add_f32_e32 v62, v62, v64
	v_mul_f32_e32 v64, v123, v91
	s_delay_alu instid0(VALU_DEP_4) | instskip(NEXT) | instid1(VALU_DEP_4)
	v_add_f32_e32 v61, v61, v135
	v_fma_f32 v66, v120, v88, -v66
	s_delay_alu instid0(VALU_DEP_4) | instskip(SKIP_1) | instid1(VALU_DEP_4)
	v_add_f32_e32 v62, v62, v65
	v_mul_f32_e32 v65, v125, v93
	v_add_f32_e32 v61, v61, v136
	v_fma_f32 v64, v122, v90, -v64
	s_delay_alu instid0(VALU_DEP_4) | instskip(NEXT) | instid1(VALU_DEP_3)
	v_add_f32_e32 v62, v62, v66
	v_dual_mul_f32 v66, v127, v95 :: v_dual_add_f32 v61, v61, v137
	v_fma_f32 v65, v124, v92, -v65
	s_delay_alu instid0(VALU_DEP_3) | instskip(NEXT) | instid1(VALU_DEP_3)
	v_add_f32_e32 v62, v62, v64
	v_fma_f32 v64, v126, v94, -v66
	s_delay_alu instid0(VALU_DEP_2) | instskip(NEXT) | instid1(VALU_DEP_1)
	v_dual_add_f32 v61, v61, v138 :: v_dual_add_f32 v62, v62, v65
	v_dual_add_f32 v61, v61, v139 :: v_dual_add_f32 v62, v62, v64
	s_delay_alu instid0(VALU_DEP_1) | instskip(NEXT) | instid1(VALU_DEP_1)
	v_add_f32_e32 v61, v61, v140
	v_add_f32_e32 v61, v61, v141
	s_delay_alu instid0(VALU_DEP_1) | instskip(SKIP_1) | instid1(VALU_DEP_1)
	v_add_f32_e32 v61, v61, v142
	s_wait_loadcnt 0x0
	v_dual_add_f32 v64, v61, v143 :: v_dual_sub_f32 v61, v128, v62
	s_delay_alu instid0(VALU_DEP_1)
	v_sub_f32_e32 v62, v129, v64
	scratch_store_b64 off, v[61:62], off offset:104
	v_cmpx_lt_u32_e32 12, v0
	s_cbranch_execz .LBB29_169
; %bb.168:
	scratch_load_b64 v[61:62], off, off offset:96
	v_mov_b32_e32 v64, 0
	s_delay_alu instid0(VALU_DEP_1)
	v_mov_b32_e32 v65, v64
	scratch_store_b64 off, v[64:65], off offset:96
	s_wait_loadcnt 0x0
	ds_store_b64 v63, v[61:62]
.LBB29_169:
	s_wait_alu 0xfffe
	s_or_b32 exec_lo, exec_lo, s0
	s_wait_storecnt_dscnt 0x0
	s_barrier_signal -1
	s_barrier_wait -1
	global_inv scope:SCOPE_SE
	s_clause 0x9
	scratch_load_b128 v[64:67], off, off offset:104
	scratch_load_b128 v[68:71], off, off offset:120
	;; [unrolled: 1-line block ×8, first 2 shown]
	scratch_load_b64 v[128:129], off, off offset:232
	scratch_load_b64 v[130:131], off, off offset:96
	v_mov_b32_e32 v61, 0
	ds_load_2addr_b64 v[96:99], v61 offset0:43 offset1:44
	ds_load_2addr_b64 v[100:103], v61 offset0:45 offset1:46
	;; [unrolled: 1-line block ×8, first 2 shown]
	ds_load_b64 v[132:133], v61 offset:472
	s_mov_b32 s0, exec_lo
	s_wait_loadcnt_dscnt 0x908
	v_mul_f32_e32 v62, v96, v65
	s_wait_loadcnt_dscnt 0x807
	v_dual_mul_f32 v134, v98, v67 :: v_dual_mul_f32 v135, v100, v69
	v_mul_f32_e32 v65, v97, v65
	s_delay_alu instid0(VALU_DEP_3)
	v_dual_mul_f32 v67, v99, v67 :: v_dual_fmac_f32 v62, v97, v64
	s_wait_loadcnt_dscnt 0x302
	v_mul_f32_e32 v146, v122, v91
	v_dual_mul_f32 v136, v102, v71 :: v_dual_mul_f32 v137, v104, v73
	s_wait_loadcnt_dscnt 0x100
	v_mul_f32_e32 v149, v132, v129
	v_fma_f32 v65, v96, v64, -v65
	v_mul_f32_e32 v64, v101, v69
	v_fmac_f32_e32 v134, v99, v66
	v_fma_f32 v66, v98, v66, -v67
	v_dual_add_f32 v62, 0, v62 :: v_dual_mul_f32 v67, v103, v71
	v_add_f32_e32 v65, 0, v65
	v_fmac_f32_e32 v135, v101, v68
	v_fma_f32 v64, v100, v68, -v64
	s_delay_alu instid0(VALU_DEP_4)
	v_add_f32_e32 v62, v62, v134
	v_fma_f32 v67, v102, v70, -v67
	v_add_f32_e32 v65, v65, v66
	v_mul_f32_e32 v66, v105, v73
	v_dual_mul_f32 v140, v110, v79 :: v_dual_mul_f32 v141, v112, v81
	v_add_f32_e32 v62, v62, v135
	s_delay_alu instid0(VALU_DEP_4) | instskip(NEXT) | instid1(VALU_DEP_4)
	v_dual_add_f32 v64, v65, v64 :: v_dual_mul_f32 v65, v107, v75
	v_fma_f32 v66, v104, v72, -v66
	v_dual_mul_f32 v142, v114, v83 :: v_dual_mul_f32 v143, v116, v85
	s_delay_alu instid0(VALU_DEP_3) | instskip(NEXT) | instid1(VALU_DEP_4)
	v_dual_add_f32 v64, v64, v67 :: v_dual_mul_f32 v67, v109, v77
	v_fma_f32 v65, v106, v74, -v65
	v_dual_mul_f32 v144, v118, v87 :: v_dual_mul_f32 v145, v120, v89
	s_delay_alu instid0(VALU_DEP_3) | instskip(SKIP_3) | instid1(VALU_DEP_4)
	v_dual_add_f32 v64, v64, v66 :: v_dual_fmac_f32 v141, v113, v80
	v_dual_fmac_f32 v136, v103, v70 :: v_dual_fmac_f32 v137, v105, v72
	v_dual_mul_f32 v66, v111, v79 :: v_dual_fmac_f32 v143, v117, v84
	v_fma_f32 v67, v108, v76, -v67
	v_dual_add_f32 v64, v64, v65 :: v_dual_fmac_f32 v145, v121, v88
	v_dual_mul_f32 v147, v124, v93 :: v_dual_mul_f32 v148, v126, v95
	v_dual_add_f32 v62, v62, v136 :: v_dual_mul_f32 v65, v113, v81
	v_fma_f32 v66, v110, v78, -v66
	s_delay_alu instid0(VALU_DEP_3) | instskip(SKIP_3) | instid1(VALU_DEP_4)
	v_dual_add_f32 v64, v64, v67 :: v_dual_fmac_f32 v147, v125, v92
	v_dual_mul_f32 v138, v106, v75 :: v_dual_mul_f32 v139, v108, v77
	v_mul_f32_e32 v67, v115, v83
	v_fma_f32 v65, v112, v80, -v65
	v_add_f32_e32 v64, v64, v66
	s_delay_alu instid0(VALU_DEP_4) | instskip(SKIP_4) | instid1(VALU_DEP_4)
	v_dual_fmac_f32 v138, v107, v74 :: v_dual_fmac_f32 v139, v109, v76
	v_add_f32_e32 v62, v62, v137
	v_mul_f32_e32 v66, v117, v85
	v_fma_f32 v67, v114, v82, -v67
	v_dual_add_f32 v64, v64, v65 :: v_dual_mul_f32 v65, v119, v87
	v_add_f32_e32 v62, v62, v138
	s_delay_alu instid0(VALU_DEP_4) | instskip(SKIP_1) | instid1(VALU_DEP_4)
	v_fma_f32 v66, v116, v84, -v66
	v_fmac_f32_e32 v140, v111, v78
	v_dual_add_f32 v64, v64, v67 :: v_dual_mul_f32 v67, v121, v89
	s_delay_alu instid0(VALU_DEP_4) | instskip(SKIP_1) | instid1(VALU_DEP_3)
	v_dual_add_f32 v62, v62, v139 :: v_dual_fmac_f32 v149, v133, v128
	v_fma_f32 v65, v118, v86, -v65
	v_add_f32_e32 v64, v64, v66
	v_fmac_f32_e32 v142, v115, v82
	v_fmac_f32_e32 v144, v119, v86
	v_mul_f32_e32 v66, v123, v91
	v_fma_f32 v67, v120, v88, -v67
	v_add_f32_e32 v64, v64, v65
	v_dual_mul_f32 v65, v125, v93 :: v_dual_add_f32 v62, v62, v140
	v_fmac_f32_e32 v146, v123, v90
	v_fma_f32 v66, v122, v90, -v66
	s_delay_alu instid0(VALU_DEP_4) | instskip(NEXT) | instid1(VALU_DEP_4)
	v_add_f32_e32 v64, v64, v67
	v_dual_mul_f32 v67, v127, v95 :: v_dual_add_f32 v62, v62, v141
	v_fma_f32 v65, v124, v92, -v65
	v_fmac_f32_e32 v148, v127, v94
	s_delay_alu instid0(VALU_DEP_4) | instskip(SKIP_3) | instid1(VALU_DEP_4)
	v_add_f32_e32 v64, v64, v66
	v_mul_f32_e32 v66, v133, v129
	v_add_f32_e32 v62, v62, v142
	v_fma_f32 v67, v126, v94, -v67
	v_add_f32_e32 v64, v64, v65
	s_delay_alu instid0(VALU_DEP_4) | instskip(NEXT) | instid1(VALU_DEP_4)
	v_fma_f32 v65, v132, v128, -v66
	v_add_f32_e32 v62, v62, v143
	s_delay_alu instid0(VALU_DEP_3) | instskip(NEXT) | instid1(VALU_DEP_2)
	v_add_f32_e32 v64, v64, v67
	v_add_f32_e32 v62, v62, v144
	s_delay_alu instid0(VALU_DEP_2) | instskip(NEXT) | instid1(VALU_DEP_2)
	v_add_f32_e32 v64, v64, v65
	v_add_f32_e32 v62, v62, v145
	s_wait_loadcnt 0x0
	s_delay_alu instid0(VALU_DEP_2) | instskip(NEXT) | instid1(VALU_DEP_2)
	v_sub_f32_e32 v64, v130, v64
	v_add_f32_e32 v62, v62, v146
	s_delay_alu instid0(VALU_DEP_1) | instskip(NEXT) | instid1(VALU_DEP_1)
	v_add_f32_e32 v62, v62, v147
	v_add_f32_e32 v62, v62, v148
	s_delay_alu instid0(VALU_DEP_1) | instskip(NEXT) | instid1(VALU_DEP_1)
	v_add_f32_e32 v62, v62, v149
	v_sub_f32_e32 v65, v131, v62
	scratch_store_b64 off, v[64:65], off offset:96
	v_cmpx_lt_u32_e32 11, v0
	s_cbranch_execz .LBB29_171
; %bb.170:
	scratch_load_b64 v[64:65], off, off offset:88
	v_mov_b32_e32 v62, v61
	scratch_store_b64 off, v[61:62], off offset:88
	s_wait_loadcnt 0x0
	ds_store_b64 v63, v[64:65]
.LBB29_171:
	s_wait_alu 0xfffe
	s_or_b32 exec_lo, exec_lo, s0
	s_wait_storecnt_dscnt 0x0
	s_barrier_signal -1
	s_barrier_wait -1
	global_inv scope:SCOPE_SE
	s_clause 0x9
	scratch_load_b128 v[64:67], off, off offset:96
	scratch_load_b128 v[68:71], off, off offset:112
	;; [unrolled: 1-line block ×9, first 2 shown]
	scratch_load_b64 v[136:137], off, off offset:88
	ds_load_b128 v[100:103], v61 offset:336
	ds_load_b128 v[104:107], v61 offset:352
	ds_load_b128 v[108:111], v61 offset:368
	ds_load_b128 v[112:115], v61 offset:384
	ds_load_b128 v[116:119], v61 offset:400
	ds_load_b128 v[120:123], v61 offset:416
	ds_load_b128 v[124:127], v61 offset:432
	ds_load_b128 v[128:131], v61 offset:448
	ds_load_b128 v[132:135], v61 offset:464
	s_mov_b32 s0, exec_lo
	s_wait_loadcnt_dscnt 0x908
	v_dual_mul_f32 v61, v100, v65 :: v_dual_mul_f32 v62, v102, v67
	v_mul_f32_e32 v65, v101, v65
	s_wait_loadcnt_dscnt 0x807
	v_dual_mul_f32 v67, v103, v67 :: v_dual_mul_f32 v138, v104, v69
	s_delay_alu instid0(VALU_DEP_3) | instskip(NEXT) | instid1(VALU_DEP_3)
	v_dual_mul_f32 v139, v106, v71 :: v_dual_fmac_f32 v62, v103, v66
	v_fma_f32 v65, v100, v64, -v65
	v_fmac_f32_e32 v61, v101, v64
	v_mul_f32_e32 v64, v105, v69
	v_fma_f32 v66, v102, v66, -v67
	v_mul_f32_e32 v67, v107, v71
	v_dual_add_f32 v65, 0, v65 :: v_dual_fmac_f32 v138, v105, v68
	s_delay_alu instid0(VALU_DEP_4) | instskip(SKIP_2) | instid1(VALU_DEP_3)
	v_fma_f32 v64, v104, v68, -v64
	s_wait_loadcnt_dscnt 0x706
	v_dual_mul_f32 v140, v108, v73 :: v_dual_mul_f32 v141, v110, v75
	v_add_f32_e32 v65, v65, v66
	v_fmac_f32_e32 v139, v107, v70
	v_fma_f32 v66, v106, v70, -v67
	s_wait_loadcnt_dscnt 0x605
	v_dual_mul_f32 v142, v112, v77 :: v_dual_mul_f32 v143, v114, v79
	v_dual_add_f32 v64, v65, v64 :: v_dual_mul_f32 v65, v111, v75
	v_fmac_f32_e32 v140, v109, v72
	s_wait_loadcnt_dscnt 0x504
	v_dual_mul_f32 v144, v116, v81 :: v_dual_mul_f32 v145, v118, v83
	s_delay_alu instid0(VALU_DEP_3) | instskip(SKIP_3) | instid1(VALU_DEP_4)
	v_dual_add_f32 v64, v64, v66 :: v_dual_add_f32 v61, 0, v61
	v_mul_f32_e32 v66, v113, v77
	v_fma_f32 v65, v110, v74, -v65
	v_dual_fmac_f32 v141, v111, v74 :: v_dual_fmac_f32 v142, v113, v76
	v_add_f32_e32 v61, v61, v62
	v_mul_f32_e32 v62, v109, v73
	v_fma_f32 v66, v112, v76, -v66
	v_dual_fmac_f32 v143, v115, v78 :: v_dual_fmac_f32 v144, v117, v80
	s_wait_loadcnt_dscnt 0x403
	v_dual_mul_f32 v146, v120, v85 :: v_dual_mul_f32 v147, v122, v87
	v_fma_f32 v62, v108, v72, -v62
	s_wait_loadcnt_dscnt 0x302
	v_dual_mul_f32 v148, v124, v89 :: v_dual_mul_f32 v149, v126, v91
	s_wait_loadcnt_dscnt 0x201
	v_dual_mul_f32 v150, v128, v93 :: v_dual_mul_f32 v151, v130, v95
	v_add_f32_e32 v62, v64, v62
	v_mul_f32_e32 v64, v115, v79
	v_dual_fmac_f32 v148, v125, v88 :: v_dual_fmac_f32 v149, v127, v90
	s_delay_alu instid0(VALU_DEP_4) | instskip(NEXT) | instid1(VALU_DEP_4)
	v_dual_fmac_f32 v150, v129, v92 :: v_dual_fmac_f32 v151, v131, v94
	v_dual_add_f32 v62, v62, v65 :: v_dual_add_f32 v61, v61, v138
	v_mul_f32_e32 v65, v117, v81
	v_fma_f32 v64, v114, v78, -v64
	v_fmac_f32_e32 v145, v119, v82
	s_delay_alu instid0(VALU_DEP_4)
	v_add_f32_e32 v62, v62, v66
	v_mul_f32_e32 v66, v119, v83
	v_add_f32_e32 v61, v61, v139
	v_fma_f32 v65, v116, v80, -v65
	v_fmac_f32_e32 v146, v121, v84
	v_add_f32_e32 v62, v62, v64
	v_mul_f32_e32 v64, v121, v85
	v_add_f32_e32 v61, v61, v140
	v_fma_f32 v66, v118, v82, -v66
	s_delay_alu instid0(VALU_DEP_4) | instskip(SKIP_1) | instid1(VALU_DEP_4)
	v_dual_fmac_f32 v147, v123, v86 :: v_dual_add_f32 v62, v62, v65
	v_mul_f32_e32 v65, v123, v87
	v_add_f32_e32 v61, v61, v141
	v_fma_f32 v64, v120, v84, -v64
	s_wait_loadcnt_dscnt 0x100
	v_dual_mul_f32 v152, v132, v97 :: v_dual_mul_f32 v153, v134, v99
	v_add_f32_e32 v62, v62, v66
	v_add_f32_e32 v61, v61, v142
	v_fma_f32 v65, v122, v86, -v65
	v_mul_f32_e32 v66, v125, v89
	v_dual_fmac_f32 v152, v133, v96 :: v_dual_fmac_f32 v153, v135, v98
	s_delay_alu instid0(VALU_DEP_4) | instskip(SKIP_1) | instid1(VALU_DEP_4)
	v_dual_add_f32 v62, v62, v64 :: v_dual_add_f32 v61, v61, v143
	v_mul_f32_e32 v64, v127, v91
	v_fma_f32 v66, v124, v88, -v66
	s_delay_alu instid0(VALU_DEP_3) | instskip(SKIP_1) | instid1(VALU_DEP_4)
	v_dual_add_f32 v62, v62, v65 :: v_dual_add_f32 v61, v61, v144
	v_mul_f32_e32 v65, v129, v93
	v_fma_f32 v64, v126, v90, -v64
	s_delay_alu instid0(VALU_DEP_3) | instskip(SKIP_1) | instid1(VALU_DEP_4)
	;; [unrolled: 4-line block ×4, first 2 shown]
	v_dual_add_f32 v62, v62, v65 :: v_dual_add_f32 v61, v61, v147
	v_mul_f32_e32 v65, v135, v99
	v_fma_f32 v64, v132, v96, -v64
	s_delay_alu instid0(VALU_DEP_3) | instskip(NEXT) | instid1(VALU_DEP_3)
	v_dual_add_f32 v62, v62, v66 :: v_dual_add_f32 v61, v61, v148
	v_fma_f32 v65, v134, v98, -v65
	s_delay_alu instid0(VALU_DEP_2) | instskip(NEXT) | instid1(VALU_DEP_1)
	v_dual_add_f32 v62, v62, v64 :: v_dual_add_f32 v61, v61, v149
	v_dual_add_f32 v62, v62, v65 :: v_dual_add_f32 v61, v61, v150
	s_delay_alu instid0(VALU_DEP_1) | instskip(NEXT) | instid1(VALU_DEP_1)
	v_add_f32_e32 v61, v61, v151
	v_add_f32_e32 v61, v61, v152
	s_wait_loadcnt 0x0
	s_delay_alu instid0(VALU_DEP_1) | instskip(NEXT) | instid1(VALU_DEP_1)
	v_dual_add_f32 v64, v61, v153 :: v_dual_sub_f32 v61, v136, v62
	v_sub_f32_e32 v62, v137, v64
	scratch_store_b64 off, v[61:62], off offset:88
	v_cmpx_lt_u32_e32 10, v0
	s_cbranch_execz .LBB29_173
; %bb.172:
	scratch_load_b64 v[61:62], off, off offset:80
	v_mov_b32_e32 v64, 0
	s_delay_alu instid0(VALU_DEP_1)
	v_mov_b32_e32 v65, v64
	scratch_store_b64 off, v[64:65], off offset:80
	s_wait_loadcnt 0x0
	ds_store_b64 v63, v[61:62]
.LBB29_173:
	s_wait_alu 0xfffe
	s_or_b32 exec_lo, exec_lo, s0
	s_wait_storecnt_dscnt 0x0
	s_barrier_signal -1
	s_barrier_wait -1
	global_inv scope:SCOPE_SE
	s_clause 0xa
	scratch_load_b128 v[64:67], off, off offset:88
	scratch_load_b128 v[68:71], off, off offset:104
	;; [unrolled: 1-line block ×9, first 2 shown]
	scratch_load_b64 v[136:137], off, off offset:232
	scratch_load_b64 v[138:139], off, off offset:80
	v_mov_b32_e32 v61, 0
	ds_load_2addr_b64 v[100:103], v61 offset0:41 offset1:42
	ds_load_2addr_b64 v[104:107], v61 offset0:43 offset1:44
	;; [unrolled: 1-line block ×9, first 2 shown]
	ds_load_b64 v[140:141], v61 offset:472
	s_mov_b32 s0, exec_lo
	s_wait_loadcnt_dscnt 0xa09
	v_mul_f32_e32 v62, v100, v65
	s_wait_loadcnt_dscnt 0x908
	v_dual_mul_f32 v142, v102, v67 :: v_dual_mul_f32 v143, v104, v69
	v_mul_f32_e32 v65, v101, v65
	s_delay_alu instid0(VALU_DEP_3)
	v_dual_mul_f32 v67, v103, v67 :: v_dual_fmac_f32 v62, v101, v64
	s_wait_loadcnt_dscnt 0x807
	v_dual_mul_f32 v144, v106, v71 :: v_dual_mul_f32 v145, v108, v73
	s_wait_loadcnt_dscnt 0x100
	v_dual_mul_f32 v156, v130, v95 :: v_dual_mul_f32 v159, v140, v137
	v_fma_f32 v65, v100, v64, -v65
	v_mul_f32_e32 v64, v105, v69
	v_fmac_f32_e32 v142, v103, v66
	v_fma_f32 v66, v102, v66, -v67
	v_dual_add_f32 v62, 0, v62 :: v_dual_mul_f32 v67, v107, v71
	v_add_f32_e32 v65, 0, v65
	v_fmac_f32_e32 v143, v105, v68
	v_fma_f32 v64, v104, v68, -v64
	s_delay_alu instid0(VALU_DEP_4)
	v_add_f32_e32 v62, v62, v142
	v_fma_f32 v67, v106, v70, -v67
	v_add_f32_e32 v65, v65, v66
	v_mul_f32_e32 v66, v109, v73
	v_dual_mul_f32 v148, v114, v79 :: v_dual_mul_f32 v149, v116, v81
	v_add_f32_e32 v62, v62, v143
	s_delay_alu instid0(VALU_DEP_4) | instskip(NEXT) | instid1(VALU_DEP_4)
	v_dual_add_f32 v64, v65, v64 :: v_dual_mul_f32 v65, v111, v75
	v_fma_f32 v66, v108, v72, -v66
	v_dual_mul_f32 v150, v118, v83 :: v_dual_mul_f32 v151, v120, v85
	s_delay_alu instid0(VALU_DEP_3) | instskip(NEXT) | instid1(VALU_DEP_4)
	v_dual_add_f32 v64, v64, v67 :: v_dual_mul_f32 v67, v113, v77
	v_fma_f32 v65, v110, v74, -v65
	v_dual_mul_f32 v152, v122, v87 :: v_dual_mul_f32 v153, v124, v89
	s_delay_alu instid0(VALU_DEP_3) | instskip(SKIP_3) | instid1(VALU_DEP_4)
	v_dual_add_f32 v64, v64, v66 :: v_dual_fmac_f32 v149, v117, v80
	v_dual_fmac_f32 v144, v107, v70 :: v_dual_fmac_f32 v145, v109, v72
	v_dual_mul_f32 v66, v115, v79 :: v_dual_fmac_f32 v151, v121, v84
	v_fma_f32 v67, v112, v76, -v67
	v_dual_add_f32 v64, v64, v65 :: v_dual_fmac_f32 v153, v125, v88
	v_dual_mul_f32 v154, v126, v91 :: v_dual_mul_f32 v155, v128, v93
	v_dual_add_f32 v62, v62, v144 :: v_dual_mul_f32 v65, v117, v81
	v_fma_f32 v66, v114, v78, -v66
	s_delay_alu instid0(VALU_DEP_3) | instskip(SKIP_1) | instid1(VALU_DEP_4)
	v_dual_add_f32 v64, v64, v67 :: v_dual_fmac_f32 v155, v129, v92
	v_mul_f32_e32 v67, v119, v83
	v_fma_f32 v65, v116, v80, -v65
	v_dual_mul_f32 v146, v110, v75 :: v_dual_mul_f32 v147, v112, v77
	s_delay_alu instid0(VALU_DEP_4) | instskip(SKIP_2) | instid1(VALU_DEP_4)
	v_add_f32_e32 v64, v64, v66
	v_mul_f32_e32 v66, v121, v85
	v_fma_f32 v67, v118, v82, -v67
	v_dual_fmac_f32 v146, v111, v74 :: v_dual_fmac_f32 v147, v113, v76
	s_delay_alu instid0(VALU_DEP_4) | instskip(SKIP_2) | instid1(VALU_DEP_3)
	v_dual_add_f32 v64, v64, v65 :: v_dual_fmac_f32 v159, v141, v136
	v_dual_add_f32 v62, v62, v145 :: v_dual_mul_f32 v65, v123, v87
	v_fma_f32 v66, v120, v84, -v66
	v_dual_add_f32 v64, v64, v67 :: v_dual_mul_f32 v67, v125, v89
	s_delay_alu instid0(VALU_DEP_3) | instskip(NEXT) | instid1(VALU_DEP_4)
	v_add_f32_e32 v62, v62, v146
	v_fma_f32 v65, v122, v86, -v65
	v_dual_mul_f32 v157, v132, v97 :: v_dual_mul_f32 v158, v134, v99
	s_delay_alu instid0(VALU_DEP_4)
	v_add_f32_e32 v64, v64, v66
	v_mul_f32_e32 v66, v127, v91
	v_fma_f32 v67, v124, v88, -v67
	v_fmac_f32_e32 v148, v115, v78
	v_dual_add_f32 v62, v62, v147 :: v_dual_fmac_f32 v157, v133, v96
	v_add_f32_e32 v64, v64, v65
	v_mul_f32_e32 v65, v129, v93
	v_fma_f32 v66, v126, v90, -v66
	s_delay_alu instid0(VALU_DEP_4)
	v_add_f32_e32 v62, v62, v148
	v_fmac_f32_e32 v150, v119, v82
	v_add_f32_e32 v64, v64, v67
	v_mul_f32_e32 v67, v131, v95
	v_fma_f32 v65, v128, v92, -v65
	v_fmac_f32_e32 v152, v123, v86
	v_fmac_f32_e32 v154, v127, v90
	v_add_f32_e32 v64, v64, v66
	v_fma_f32 v67, v130, v94, -v67
	v_mul_f32_e32 v66, v133, v97
	v_fmac_f32_e32 v156, v131, v94
	v_fmac_f32_e32 v158, v135, v98
	v_dual_add_f32 v64, v64, v65 :: v_dual_mul_f32 v65, v135, v99
	v_add_f32_e32 v62, v62, v149
	v_fma_f32 v66, v132, v96, -v66
	s_delay_alu instid0(VALU_DEP_3) | instskip(NEXT) | instid1(VALU_DEP_3)
	v_dual_add_f32 v64, v64, v67 :: v_dual_mul_f32 v67, v141, v137
	v_add_f32_e32 v62, v62, v150
	v_fma_f32 v65, v134, v98, -v65
	s_delay_alu instid0(VALU_DEP_3) | instskip(NEXT) | instid1(VALU_DEP_4)
	v_add_f32_e32 v64, v64, v66
	v_fma_f32 v66, v140, v136, -v67
	s_delay_alu instid0(VALU_DEP_4) | instskip(NEXT) | instid1(VALU_DEP_3)
	v_add_f32_e32 v62, v62, v151
	v_add_f32_e32 v64, v64, v65
	s_delay_alu instid0(VALU_DEP_2) | instskip(NEXT) | instid1(VALU_DEP_2)
	v_add_f32_e32 v62, v62, v152
	v_add_f32_e32 v64, v64, v66
	s_delay_alu instid0(VALU_DEP_2) | instskip(SKIP_1) | instid1(VALU_DEP_2)
	v_add_f32_e32 v62, v62, v153
	s_wait_loadcnt 0x0
	v_sub_f32_e32 v64, v138, v64
	s_delay_alu instid0(VALU_DEP_2) | instskip(NEXT) | instid1(VALU_DEP_1)
	v_add_f32_e32 v62, v62, v154
	v_add_f32_e32 v62, v62, v155
	s_delay_alu instid0(VALU_DEP_1) | instskip(NEXT) | instid1(VALU_DEP_1)
	v_add_f32_e32 v62, v62, v156
	v_add_f32_e32 v62, v62, v157
	s_delay_alu instid0(VALU_DEP_1) | instskip(NEXT) | instid1(VALU_DEP_1)
	v_add_f32_e32 v62, v62, v158
	v_add_f32_e32 v62, v62, v159
	s_delay_alu instid0(VALU_DEP_1)
	v_sub_f32_e32 v65, v139, v62
	scratch_store_b64 off, v[64:65], off offset:80
	v_cmpx_lt_u32_e32 9, v0
	s_cbranch_execz .LBB29_175
; %bb.174:
	scratch_load_b64 v[64:65], off, off offset:72
	v_mov_b32_e32 v62, v61
	scratch_store_b64 off, v[61:62], off offset:72
	s_wait_loadcnt 0x0
	ds_store_b64 v63, v[64:65]
.LBB29_175:
	s_wait_alu 0xfffe
	s_or_b32 exec_lo, exec_lo, s0
	s_wait_storecnt_dscnt 0x0
	s_barrier_signal -1
	s_barrier_wait -1
	global_inv scope:SCOPE_SE
	s_clause 0xa
	scratch_load_b128 v[64:67], off, off offset:80
	scratch_load_b128 v[68:71], off, off offset:96
	;; [unrolled: 1-line block ×10, first 2 shown]
	scratch_load_b64 v[144:145], off, off offset:72
	ds_load_b128 v[104:107], v61 offset:320
	ds_load_b128 v[108:111], v61 offset:336
	;; [unrolled: 1-line block ×10, first 2 shown]
	s_mov_b32 s0, exec_lo
	s_wait_loadcnt_dscnt 0xa09
	v_dual_mul_f32 v61, v104, v65 :: v_dual_mul_f32 v62, v106, v67
	v_mul_f32_e32 v65, v105, v65
	s_wait_loadcnt_dscnt 0x908
	v_dual_mul_f32 v67, v107, v67 :: v_dual_mul_f32 v146, v108, v69
	s_delay_alu instid0(VALU_DEP_3) | instskip(NEXT) | instid1(VALU_DEP_3)
	v_dual_mul_f32 v147, v110, v71 :: v_dual_fmac_f32 v62, v107, v66
	v_fma_f32 v65, v104, v64, -v65
	v_fmac_f32_e32 v61, v105, v64
	v_mul_f32_e32 v64, v109, v69
	v_fma_f32 v66, v106, v66, -v67
	v_mul_f32_e32 v67, v111, v71
	v_dual_add_f32 v65, 0, v65 :: v_dual_fmac_f32 v146, v109, v68
	s_delay_alu instid0(VALU_DEP_4) | instskip(SKIP_2) | instid1(VALU_DEP_3)
	v_fma_f32 v64, v108, v68, -v64
	s_wait_loadcnt_dscnt 0x807
	v_dual_mul_f32 v148, v112, v73 :: v_dual_mul_f32 v149, v114, v75
	v_add_f32_e32 v65, v65, v66
	v_fmac_f32_e32 v147, v111, v70
	v_fma_f32 v66, v110, v70, -v67
	s_wait_loadcnt_dscnt 0x706
	v_dual_mul_f32 v150, v116, v77 :: v_dual_mul_f32 v151, v118, v79
	v_dual_add_f32 v64, v65, v64 :: v_dual_mul_f32 v65, v115, v75
	v_fmac_f32_e32 v148, v113, v72
	s_wait_loadcnt_dscnt 0x605
	v_dual_mul_f32 v152, v120, v81 :: v_dual_mul_f32 v153, v122, v83
	s_delay_alu instid0(VALU_DEP_3) | instskip(SKIP_3) | instid1(VALU_DEP_4)
	v_dual_add_f32 v64, v64, v66 :: v_dual_add_f32 v61, 0, v61
	v_mul_f32_e32 v66, v117, v77
	v_fma_f32 v65, v114, v74, -v65
	v_dual_fmac_f32 v149, v115, v74 :: v_dual_fmac_f32 v150, v117, v76
	v_add_f32_e32 v61, v61, v62
	v_mul_f32_e32 v62, v113, v73
	v_fma_f32 v66, v116, v76, -v66
	v_dual_fmac_f32 v151, v119, v78 :: v_dual_fmac_f32 v152, v121, v80
	s_wait_loadcnt_dscnt 0x504
	v_dual_mul_f32 v154, v124, v85 :: v_dual_mul_f32 v155, v126, v87
	v_fma_f32 v62, v112, v72, -v62
	s_wait_loadcnt_dscnt 0x403
	v_dual_mul_f32 v156, v128, v89 :: v_dual_mul_f32 v157, v130, v91
	s_wait_loadcnt_dscnt 0x302
	v_dual_mul_f32 v158, v132, v93 :: v_dual_mul_f32 v159, v134, v95
	v_add_f32_e32 v62, v64, v62
	v_mul_f32_e32 v64, v119, v79
	v_dual_fmac_f32 v156, v129, v88 :: v_dual_fmac_f32 v157, v131, v90
	s_delay_alu instid0(VALU_DEP_4) | instskip(NEXT) | instid1(VALU_DEP_4)
	v_dual_fmac_f32 v158, v133, v92 :: v_dual_fmac_f32 v159, v135, v94
	v_dual_add_f32 v62, v62, v65 :: v_dual_add_f32 v61, v61, v146
	v_mul_f32_e32 v65, v121, v81
	v_fma_f32 v64, v118, v78, -v64
	v_fmac_f32_e32 v153, v123, v82
	s_delay_alu instid0(VALU_DEP_4)
	v_add_f32_e32 v62, v62, v66
	v_mul_f32_e32 v66, v123, v83
	v_add_f32_e32 v61, v61, v147
	v_fma_f32 v65, v120, v80, -v65
	v_fmac_f32_e32 v154, v125, v84
	v_add_f32_e32 v62, v62, v64
	v_mul_f32_e32 v64, v125, v85
	v_add_f32_e32 v61, v61, v148
	v_fma_f32 v66, v122, v82, -v66
	s_delay_alu instid0(VALU_DEP_4) | instskip(SKIP_1) | instid1(VALU_DEP_4)
	v_dual_fmac_f32 v155, v127, v86 :: v_dual_add_f32 v62, v62, v65
	v_mul_f32_e32 v65, v127, v87
	v_add_f32_e32 v61, v61, v149
	v_fma_f32 v64, v124, v84, -v64
	s_wait_loadcnt_dscnt 0x201
	v_dual_mul_f32 v160, v136, v97 :: v_dual_mul_f32 v161, v138, v99
	v_add_f32_e32 v62, v62, v66
	v_add_f32_e32 v61, v61, v150
	v_fma_f32 v65, v126, v86, -v65
	v_mul_f32_e32 v66, v129, v89
	s_wait_loadcnt_dscnt 0x100
	v_dual_mul_f32 v162, v140, v101 :: v_dual_mul_f32 v163, v142, v103
	v_dual_add_f32 v62, v62, v64 :: v_dual_add_f32 v61, v61, v151
	v_mul_f32_e32 v64, v131, v91
	v_fma_f32 v66, v128, v88, -v66
	v_dual_fmac_f32 v160, v137, v96 :: v_dual_fmac_f32 v161, v139, v98
	s_delay_alu instid0(VALU_DEP_4) | instskip(SKIP_3) | instid1(VALU_DEP_4)
	v_dual_add_f32 v62, v62, v65 :: v_dual_add_f32 v61, v61, v152
	v_mul_f32_e32 v65, v133, v93
	v_fma_f32 v64, v130, v90, -v64
	v_fmac_f32_e32 v163, v143, v102
	v_dual_add_f32 v62, v62, v66 :: v_dual_add_f32 v61, v61, v153
	v_mul_f32_e32 v66, v135, v95
	v_fma_f32 v65, v132, v92, -v65
	s_delay_alu instid0(VALU_DEP_3) | instskip(SKIP_1) | instid1(VALU_DEP_4)
	v_dual_add_f32 v62, v62, v64 :: v_dual_add_f32 v61, v61, v154
	v_mul_f32_e32 v64, v137, v97
	v_fma_f32 v66, v134, v94, -v66
	s_delay_alu instid0(VALU_DEP_3) | instskip(SKIP_1) | instid1(VALU_DEP_4)
	v_dual_add_f32 v62, v62, v65 :: v_dual_add_f32 v61, v61, v155
	v_mul_f32_e32 v65, v139, v99
	v_fma_f32 v64, v136, v96, -v64
	s_delay_alu instid0(VALU_DEP_3) | instskip(SKIP_1) | instid1(VALU_DEP_4)
	v_dual_add_f32 v62, v62, v66 :: v_dual_add_f32 v61, v61, v156
	v_mul_f32_e32 v66, v141, v101
	v_fma_f32 v65, v138, v98, -v65
	s_delay_alu instid0(VALU_DEP_3) | instskip(SKIP_1) | instid1(VALU_DEP_4)
	v_dual_add_f32 v62, v62, v64 :: v_dual_add_f32 v61, v61, v157
	v_mul_f32_e32 v64, v143, v103
	v_fma_f32 v66, v140, v100, -v66
	s_delay_alu instid0(VALU_DEP_3) | instskip(NEXT) | instid1(VALU_DEP_3)
	v_dual_add_f32 v62, v62, v65 :: v_dual_add_f32 v61, v61, v158
	v_fma_f32 v64, v142, v102, -v64
	s_delay_alu instid0(VALU_DEP_2) | instskip(NEXT) | instid1(VALU_DEP_1)
	v_dual_add_f32 v62, v62, v66 :: v_dual_add_f32 v61, v61, v159
	v_add_f32_e32 v62, v62, v64
	s_delay_alu instid0(VALU_DEP_2) | instskip(SKIP_1) | instid1(VALU_DEP_2)
	v_add_f32_e32 v61, v61, v160
	v_fmac_f32_e32 v162, v141, v100
	v_add_f32_e32 v61, v61, v161
	s_delay_alu instid0(VALU_DEP_1) | instskip(SKIP_1) | instid1(VALU_DEP_1)
	v_add_f32_e32 v61, v61, v162
	s_wait_loadcnt 0x0
	v_dual_add_f32 v64, v61, v163 :: v_dual_sub_f32 v61, v144, v62
	s_delay_alu instid0(VALU_DEP_1)
	v_sub_f32_e32 v62, v145, v64
	scratch_store_b64 off, v[61:62], off offset:72
	v_cmpx_lt_u32_e32 8, v0
	s_cbranch_execz .LBB29_177
; %bb.176:
	scratch_load_b64 v[61:62], off, off offset:64
	v_mov_b32_e32 v64, 0
	s_delay_alu instid0(VALU_DEP_1)
	v_mov_b32_e32 v65, v64
	scratch_store_b64 off, v[64:65], off offset:64
	s_wait_loadcnt 0x0
	ds_store_b64 v63, v[61:62]
.LBB29_177:
	s_wait_alu 0xfffe
	s_or_b32 exec_lo, exec_lo, s0
	s_wait_storecnt_dscnt 0x0
	s_barrier_signal -1
	s_barrier_wait -1
	global_inv scope:SCOPE_SE
	s_clause 0xb
	scratch_load_b128 v[64:67], off, off offset:72
	scratch_load_b128 v[68:71], off, off offset:88
	;; [unrolled: 1-line block ×10, first 2 shown]
	scratch_load_b64 v[144:145], off, off offset:232
	scratch_load_b64 v[146:147], off, off offset:64
	v_mov_b32_e32 v61, 0
	ds_load_2addr_b64 v[104:107], v61 offset0:39 offset1:40
	ds_load_2addr_b64 v[108:111], v61 offset0:41 offset1:42
	;; [unrolled: 1-line block ×10, first 2 shown]
	ds_load_b64 v[148:149], v61 offset:472
	s_mov_b32 s0, exec_lo
	s_wait_loadcnt_dscnt 0xb0a
	v_mul_f32_e32 v62, v104, v65
	s_wait_loadcnt_dscnt 0xa09
	v_dual_mul_f32 v150, v106, v67 :: v_dual_mul_f32 v151, v108, v69
	v_mul_f32_e32 v67, v107, v67
	v_dual_mul_f32 v65, v105, v65 :: v_dual_mul_f32 v152, v110, v71
	s_wait_loadcnt_dscnt 0x908
	v_dual_mul_f32 v153, v112, v73 :: v_dual_fmac_f32 v62, v105, v64
	s_wait_loadcnt_dscnt 0x302
	v_mul_f32_e32 v166, v138, v99
	v_fma_f32 v65, v104, v64, -v65
	s_wait_loadcnt_dscnt 0x100
	v_mul_f32_e32 v169, v148, v145
	v_mul_f32_e32 v64, v109, v69
	v_fmac_f32_e32 v150, v107, v66
	v_fma_f32 v66, v106, v66, -v67
	v_dual_add_f32 v65, 0, v65 :: v_dual_add_f32 v62, 0, v62
	v_mul_f32_e32 v67, v111, v71
	v_fmac_f32_e32 v151, v109, v68
	v_fma_f32 v64, v108, v68, -v64
	v_dual_mul_f32 v156, v118, v79 :: v_dual_mul_f32 v157, v120, v81
	v_add_f32_e32 v62, v62, v150
	v_add_f32_e32 v65, v65, v66
	v_mul_f32_e32 v66, v113, v73
	v_fma_f32 v67, v110, v70, -v67
	v_dual_mul_f32 v158, v122, v83 :: v_dual_mul_f32 v159, v124, v85
	v_add_f32_e32 v62, v62, v151
	v_dual_add_f32 v64, v65, v64 :: v_dual_mul_f32 v65, v115, v75
	v_fma_f32 v66, v112, v72, -v66
	v_dual_mul_f32 v160, v126, v87 :: v_dual_mul_f32 v161, v128, v89
	s_delay_alu instid0(VALU_DEP_3) | instskip(NEXT) | instid1(VALU_DEP_4)
	v_dual_add_f32 v64, v64, v67 :: v_dual_mul_f32 v67, v117, v77
	v_fma_f32 v65, v114, v74, -v65
	v_dual_fmac_f32 v152, v111, v70 :: v_dual_fmac_f32 v153, v113, v72
	s_delay_alu instid0(VALU_DEP_3) | instskip(SKIP_2) | instid1(VALU_DEP_3)
	v_dual_add_f32 v64, v64, v66 :: v_dual_fmac_f32 v157, v121, v80
	v_dual_mul_f32 v66, v119, v79 :: v_dual_fmac_f32 v159, v125, v84
	v_fma_f32 v67, v116, v76, -v67
	v_dual_add_f32 v64, v64, v65 :: v_dual_fmac_f32 v161, v129, v88
	v_dual_mul_f32 v162, v130, v91 :: v_dual_mul_f32 v163, v132, v93
	v_dual_add_f32 v62, v62, v152 :: v_dual_mul_f32 v65, v121, v81
	v_fma_f32 v66, v118, v78, -v66
	s_delay_alu instid0(VALU_DEP_3) | instskip(SKIP_1) | instid1(VALU_DEP_4)
	v_dual_add_f32 v64, v64, v67 :: v_dual_fmac_f32 v163, v133, v92
	v_mul_f32_e32 v67, v123, v83
	v_fma_f32 v65, v120, v80, -v65
	v_dual_mul_f32 v154, v114, v75 :: v_dual_mul_f32 v155, v116, v77
	s_delay_alu instid0(VALU_DEP_4) | instskip(SKIP_3) | instid1(VALU_DEP_3)
	v_add_f32_e32 v64, v64, v66
	v_dual_mul_f32 v167, v140, v101 :: v_dual_mul_f32 v168, v142, v103
	v_mul_f32_e32 v66, v125, v85
	v_fma_f32 v67, v122, v82, -v67
	v_dual_add_f32 v64, v64, v65 :: v_dual_fmac_f32 v167, v141, v100
	v_dual_fmac_f32 v154, v115, v74 :: v_dual_fmac_f32 v155, v117, v76
	v_dual_add_f32 v62, v62, v153 :: v_dual_mul_f32 v65, v127, v87
	v_fma_f32 v66, v124, v84, -v66
	s_delay_alu instid0(VALU_DEP_4) | instskip(NEXT) | instid1(VALU_DEP_3)
	v_dual_add_f32 v64, v64, v67 :: v_dual_mul_f32 v67, v129, v89
	v_add_f32_e32 v62, v62, v154
	s_delay_alu instid0(VALU_DEP_4) | instskip(SKIP_1) | instid1(VALU_DEP_4)
	v_fma_f32 v65, v126, v86, -v65
	v_dual_mul_f32 v164, v134, v95 :: v_dual_mul_f32 v165, v136, v97
	v_add_f32_e32 v64, v64, v66
	v_mul_f32_e32 v66, v131, v91
	v_fma_f32 v67, v128, v88, -v67
	v_fmac_f32_e32 v156, v119, v78
	v_dual_add_f32 v62, v62, v155 :: v_dual_fmac_f32 v165, v137, v96
	v_add_f32_e32 v64, v64, v65
	v_mul_f32_e32 v65, v133, v93
	v_fma_f32 v66, v130, v90, -v66
	s_delay_alu instid0(VALU_DEP_4)
	v_add_f32_e32 v62, v62, v156
	v_fmac_f32_e32 v158, v123, v82
	v_add_f32_e32 v64, v64, v67
	v_mul_f32_e32 v67, v135, v95
	v_fma_f32 v65, v132, v92, -v65
	v_dual_fmac_f32 v169, v149, v144 :: v_dual_fmac_f32 v160, v127, v86
	s_delay_alu instid0(VALU_DEP_4) | instskip(NEXT) | instid1(VALU_DEP_4)
	v_add_f32_e32 v64, v64, v66
	v_fma_f32 v67, v134, v94, -v67
	v_fmac_f32_e32 v162, v131, v90
	v_mul_f32_e32 v66, v137, v97
	v_fmac_f32_e32 v164, v135, v94
	v_dual_add_f32 v64, v64, v65 :: v_dual_mul_f32 v65, v139, v99
	v_add_f32_e32 v62, v62, v157
	s_delay_alu instid0(VALU_DEP_4) | instskip(SKIP_1) | instid1(VALU_DEP_4)
	v_fma_f32 v66, v136, v96, -v66
	v_fmac_f32_e32 v166, v139, v98
	v_dual_add_f32 v64, v64, v67 :: v_dual_mul_f32 v67, v141, v101
	s_delay_alu instid0(VALU_DEP_4) | instskip(SKIP_2) | instid1(VALU_DEP_4)
	v_add_f32_e32 v62, v62, v158
	v_fma_f32 v65, v138, v98, -v65
	v_fmac_f32_e32 v168, v143, v102
	v_add_f32_e32 v64, v64, v66
	v_mul_f32_e32 v66, v143, v103
	v_add_f32_e32 v62, v62, v159
	v_fma_f32 v67, v140, v100, -v67
	s_delay_alu instid0(VALU_DEP_4) | instskip(NEXT) | instid1(VALU_DEP_3)
	v_add_f32_e32 v64, v64, v65
	v_dual_mul_f32 v65, v149, v145 :: v_dual_add_f32 v62, v62, v160
	v_fma_f32 v66, v142, v102, -v66
	s_delay_alu instid0(VALU_DEP_3) | instskip(NEXT) | instid1(VALU_DEP_3)
	v_add_f32_e32 v64, v64, v67
	v_fma_f32 v65, v148, v144, -v65
	s_delay_alu instid0(VALU_DEP_4) | instskip(NEXT) | instid1(VALU_DEP_3)
	v_add_f32_e32 v62, v62, v161
	v_add_f32_e32 v64, v64, v66
	s_delay_alu instid0(VALU_DEP_2) | instskip(NEXT) | instid1(VALU_DEP_2)
	v_add_f32_e32 v62, v62, v162
	v_add_f32_e32 v64, v64, v65
	s_delay_alu instid0(VALU_DEP_2) | instskip(SKIP_1) | instid1(VALU_DEP_2)
	v_add_f32_e32 v62, v62, v163
	s_wait_loadcnt 0x0
	v_sub_f32_e32 v64, v146, v64
	s_delay_alu instid0(VALU_DEP_2) | instskip(NEXT) | instid1(VALU_DEP_1)
	v_add_f32_e32 v62, v62, v164
	v_add_f32_e32 v62, v62, v165
	s_delay_alu instid0(VALU_DEP_1) | instskip(NEXT) | instid1(VALU_DEP_1)
	v_add_f32_e32 v62, v62, v166
	v_add_f32_e32 v62, v62, v167
	s_delay_alu instid0(VALU_DEP_1) | instskip(NEXT) | instid1(VALU_DEP_1)
	v_add_f32_e32 v62, v62, v168
	v_add_f32_e32 v62, v62, v169
	s_delay_alu instid0(VALU_DEP_1)
	v_sub_f32_e32 v65, v147, v62
	scratch_store_b64 off, v[64:65], off offset:64
	v_cmpx_lt_u32_e32 7, v0
	s_cbranch_execz .LBB29_179
; %bb.178:
	scratch_load_b64 v[64:65], off, off offset:56
	v_mov_b32_e32 v62, v61
	scratch_store_b64 off, v[61:62], off offset:56
	s_wait_loadcnt 0x0
	ds_store_b64 v63, v[64:65]
.LBB29_179:
	s_wait_alu 0xfffe
	s_or_b32 exec_lo, exec_lo, s0
	s_wait_storecnt_dscnt 0x0
	s_barrier_signal -1
	s_barrier_wait -1
	global_inv scope:SCOPE_SE
	s_clause 0xb
	scratch_load_b128 v[64:67], off, off offset:64
	scratch_load_b128 v[68:71], off, off offset:80
	scratch_load_b128 v[72:75], off, off offset:96
	scratch_load_b128 v[76:79], off, off offset:112
	scratch_load_b128 v[80:83], off, off offset:128
	scratch_load_b128 v[84:87], off, off offset:144
	scratch_load_b128 v[88:91], off, off offset:160
	scratch_load_b128 v[92:95], off, off offset:176
	scratch_load_b128 v[96:99], off, off offset:192
	scratch_load_b128 v[100:103], off, off offset:208
	scratch_load_b128 v[104:107], off, off offset:224
	scratch_load_b64 v[152:153], off, off offset:56
	ds_load_b128 v[108:111], v61 offset:304
	ds_load_b128 v[112:115], v61 offset:320
	;; [unrolled: 1-line block ×11, first 2 shown]
	s_mov_b32 s0, exec_lo
	s_wait_loadcnt_dscnt 0xb0a
	v_dual_mul_f32 v61, v108, v65 :: v_dual_mul_f32 v62, v110, v67
	v_mul_f32_e32 v65, v109, v65
	s_wait_loadcnt_dscnt 0xa09
	v_dual_mul_f32 v67, v111, v67 :: v_dual_mul_f32 v154, v112, v69
	s_delay_alu instid0(VALU_DEP_3) | instskip(NEXT) | instid1(VALU_DEP_3)
	v_dual_mul_f32 v155, v114, v71 :: v_dual_fmac_f32 v62, v111, v66
	v_fma_f32 v65, v108, v64, -v65
	v_fmac_f32_e32 v61, v109, v64
	v_mul_f32_e32 v64, v113, v69
	v_fma_f32 v66, v110, v66, -v67
	v_mul_f32_e32 v67, v115, v71
	v_dual_add_f32 v65, 0, v65 :: v_dual_fmac_f32 v154, v113, v68
	s_delay_alu instid0(VALU_DEP_4) | instskip(SKIP_2) | instid1(VALU_DEP_3)
	v_fma_f32 v64, v112, v68, -v64
	s_wait_loadcnt_dscnt 0x908
	v_dual_mul_f32 v156, v116, v73 :: v_dual_mul_f32 v157, v118, v75
	v_add_f32_e32 v65, v65, v66
	v_fmac_f32_e32 v155, v115, v70
	v_fma_f32 v66, v114, v70, -v67
	s_wait_loadcnt_dscnt 0x807
	v_dual_mul_f32 v158, v120, v77 :: v_dual_mul_f32 v159, v122, v79
	v_dual_add_f32 v64, v65, v64 :: v_dual_mul_f32 v65, v119, v75
	v_fmac_f32_e32 v156, v117, v72
	s_wait_loadcnt_dscnt 0x706
	v_dual_mul_f32 v160, v124, v81 :: v_dual_mul_f32 v161, v126, v83
	s_delay_alu instid0(VALU_DEP_3) | instskip(SKIP_3) | instid1(VALU_DEP_4)
	v_dual_add_f32 v64, v64, v66 :: v_dual_add_f32 v61, 0, v61
	v_mul_f32_e32 v66, v121, v77
	v_fma_f32 v65, v118, v74, -v65
	v_dual_fmac_f32 v157, v119, v74 :: v_dual_fmac_f32 v158, v121, v76
	v_add_f32_e32 v61, v61, v62
	v_mul_f32_e32 v62, v117, v73
	v_fma_f32 v66, v120, v76, -v66
	v_dual_fmac_f32 v159, v123, v78 :: v_dual_fmac_f32 v160, v125, v80
	s_wait_loadcnt_dscnt 0x605
	v_dual_mul_f32 v162, v128, v85 :: v_dual_mul_f32 v163, v130, v87
	v_fma_f32 v62, v116, v72, -v62
	s_wait_loadcnt_dscnt 0x504
	v_dual_mul_f32 v164, v132, v89 :: v_dual_mul_f32 v165, v134, v91
	s_wait_loadcnt_dscnt 0x403
	v_dual_mul_f32 v166, v136, v93 :: v_dual_mul_f32 v167, v138, v95
	v_add_f32_e32 v62, v64, v62
	v_mul_f32_e32 v64, v123, v79
	v_dual_fmac_f32 v164, v133, v88 :: v_dual_fmac_f32 v165, v135, v90
	s_delay_alu instid0(VALU_DEP_4) | instskip(NEXT) | instid1(VALU_DEP_4)
	v_dual_fmac_f32 v166, v137, v92 :: v_dual_fmac_f32 v167, v139, v94
	v_dual_add_f32 v62, v62, v65 :: v_dual_add_f32 v61, v61, v154
	v_mul_f32_e32 v65, v125, v81
	v_fma_f32 v64, v122, v78, -v64
	v_fmac_f32_e32 v161, v127, v82
	s_delay_alu instid0(VALU_DEP_4)
	v_add_f32_e32 v62, v62, v66
	v_mul_f32_e32 v66, v127, v83
	v_add_f32_e32 v61, v61, v155
	v_fma_f32 v65, v124, v80, -v65
	v_fmac_f32_e32 v162, v129, v84
	v_add_f32_e32 v62, v62, v64
	v_mul_f32_e32 v64, v129, v85
	v_add_f32_e32 v61, v61, v156
	v_fma_f32 v66, v126, v82, -v66
	s_delay_alu instid0(VALU_DEP_4) | instskip(SKIP_1) | instid1(VALU_DEP_4)
	v_dual_fmac_f32 v163, v131, v86 :: v_dual_add_f32 v62, v62, v65
	v_mul_f32_e32 v65, v131, v87
	v_add_f32_e32 v61, v61, v157
	v_fma_f32 v64, v128, v84, -v64
	s_wait_loadcnt_dscnt 0x302
	v_dual_mul_f32 v168, v140, v97 :: v_dual_mul_f32 v169, v142, v99
	v_add_f32_e32 v62, v62, v66
	v_add_f32_e32 v61, v61, v158
	v_fma_f32 v65, v130, v86, -v65
	v_mul_f32_e32 v66, v133, v89
	s_wait_loadcnt_dscnt 0x201
	v_dual_mul_f32 v170, v144, v101 :: v_dual_mul_f32 v171, v146, v103
	v_dual_add_f32 v62, v62, v64 :: v_dual_add_f32 v61, v61, v159
	v_mul_f32_e32 v64, v135, v91
	v_fma_f32 v66, v132, v88, -v66
	v_dual_fmac_f32 v168, v141, v96 :: v_dual_fmac_f32 v169, v143, v98
	s_delay_alu instid0(VALU_DEP_4)
	v_dual_add_f32 v62, v62, v65 :: v_dual_add_f32 v61, v61, v160
	v_mul_f32_e32 v65, v137, v93
	v_fma_f32 v64, v134, v90, -v64
	s_wait_loadcnt_dscnt 0x100
	v_dual_mul_f32 v172, v148, v105 :: v_dual_mul_f32 v173, v150, v107
	v_dual_add_f32 v61, v61, v161 :: v_dual_add_f32 v62, v62, v66
	v_mul_f32_e32 v66, v139, v95
	v_fma_f32 v65, v136, v92, -v65
	s_delay_alu instid0(VALU_DEP_4) | instskip(NEXT) | instid1(VALU_DEP_4)
	v_dual_fmac_f32 v170, v145, v100 :: v_dual_fmac_f32 v173, v151, v106
	v_dual_add_f32 v61, v61, v162 :: v_dual_add_f32 v62, v62, v64
	v_mul_f32_e32 v64, v141, v97
	v_fma_f32 v66, v138, v94, -v66
	v_fmac_f32_e32 v171, v147, v102
	s_delay_alu instid0(VALU_DEP_4) | instskip(SKIP_2) | instid1(VALU_DEP_3)
	v_dual_add_f32 v61, v61, v163 :: v_dual_add_f32 v62, v62, v65
	v_mul_f32_e32 v65, v143, v99
	v_fma_f32 v64, v140, v96, -v64
	v_dual_add_f32 v61, v61, v164 :: v_dual_add_f32 v62, v62, v66
	v_mul_f32_e32 v66, v145, v101
	s_delay_alu instid0(VALU_DEP_4) | instskip(NEXT) | instid1(VALU_DEP_3)
	v_fma_f32 v65, v142, v98, -v65
	v_dual_add_f32 v61, v61, v165 :: v_dual_add_f32 v62, v62, v64
	v_mul_f32_e32 v64, v147, v103
	s_delay_alu instid0(VALU_DEP_4) | instskip(NEXT) | instid1(VALU_DEP_3)
	;; [unrolled: 4-line block ×4, first 2 shown]
	v_fma_f32 v65, v148, v104, -v65
	v_add_f32_e32 v61, v61, v168
	s_delay_alu instid0(VALU_DEP_4) | instskip(NEXT) | instid1(VALU_DEP_4)
	v_add_f32_e32 v62, v62, v64
	v_fma_f32 v64, v150, v106, -v66
	s_delay_alu instid0(VALU_DEP_3) | instskip(NEXT) | instid1(VALU_DEP_1)
	v_add_f32_e32 v61, v61, v169
	v_dual_add_f32 v62, v62, v65 :: v_dual_add_f32 v61, v61, v170
	s_delay_alu instid0(VALU_DEP_1) | instskip(SKIP_1) | instid1(VALU_DEP_3)
	v_add_f32_e32 v62, v62, v64
	v_fmac_f32_e32 v172, v149, v104
	v_add_f32_e32 v61, v61, v171
	s_delay_alu instid0(VALU_DEP_1) | instskip(SKIP_1) | instid1(VALU_DEP_1)
	v_add_f32_e32 v61, v61, v172
	s_wait_loadcnt 0x0
	v_dual_add_f32 v64, v61, v173 :: v_dual_sub_f32 v61, v152, v62
	s_delay_alu instid0(VALU_DEP_1)
	v_sub_f32_e32 v62, v153, v64
	scratch_store_b64 off, v[61:62], off offset:56
	v_cmpx_lt_u32_e32 6, v0
	s_cbranch_execz .LBB29_181
; %bb.180:
	scratch_load_b64 v[61:62], off, off offset:48
	v_mov_b32_e32 v64, 0
	s_delay_alu instid0(VALU_DEP_1)
	v_mov_b32_e32 v65, v64
	scratch_store_b64 off, v[64:65], off offset:48
	s_wait_loadcnt 0x0
	ds_store_b64 v63, v[61:62]
.LBB29_181:
	s_wait_alu 0xfffe
	s_or_b32 exec_lo, exec_lo, s0
	s_wait_storecnt_dscnt 0x0
	s_barrier_signal -1
	s_barrier_wait -1
	global_inv scope:SCOPE_SE
	s_clause 0xc
	scratch_load_b128 v[64:67], off, off offset:56
	scratch_load_b128 v[68:71], off, off offset:72
	;; [unrolled: 1-line block ×11, first 2 shown]
	scratch_load_b64 v[152:153], off, off offset:232
	scratch_load_b64 v[154:155], off, off offset:48
	v_mov_b32_e32 v61, 0
	ds_load_2addr_b64 v[108:111], v61 offset0:37 offset1:38
	ds_load_2addr_b64 v[112:115], v61 offset0:39 offset1:40
	;; [unrolled: 1-line block ×11, first 2 shown]
	ds_load_b64 v[156:157], v61 offset:472
	s_mov_b32 s0, exec_lo
	s_wait_loadcnt_dscnt 0xc0b
	v_mul_f32_e32 v62, v108, v65
	s_wait_loadcnt_dscnt 0xb0a
	v_dual_mul_f32 v158, v110, v67 :: v_dual_mul_f32 v159, v112, v69
	v_mul_f32_e32 v67, v111, v67
	s_wait_loadcnt_dscnt 0xa09
	v_dual_mul_f32 v160, v114, v71 :: v_dual_mul_f32 v161, v116, v73
	v_mul_f32_e32 v65, v109, v65
	v_fmac_f32_e32 v62, v109, v64
	s_wait_loadcnt_dscnt 0x807
	v_dual_mul_f32 v164, v122, v79 :: v_dual_mul_f32 v165, v124, v81
	s_wait_loadcnt_dscnt 0x100
	v_dual_mul_f32 v176, v146, v103 :: v_dual_mul_f32 v179, v156, v153
	v_fma_f32 v65, v108, v64, -v65
	v_mul_f32_e32 v64, v113, v69
	v_fmac_f32_e32 v158, v111, v66
	v_fma_f32 v66, v110, v66, -v67
	v_dual_add_f32 v62, 0, v62 :: v_dual_mul_f32 v67, v115, v71
	v_add_f32_e32 v65, 0, v65
	v_fmac_f32_e32 v159, v113, v68
	v_fma_f32 v64, v112, v68, -v64
	s_delay_alu instid0(VALU_DEP_4)
	v_add_f32_e32 v62, v62, v158
	v_fma_f32 v67, v114, v70, -v67
	v_add_f32_e32 v65, v65, v66
	v_mul_f32_e32 v66, v117, v73
	v_dual_mul_f32 v166, v126, v83 :: v_dual_mul_f32 v167, v128, v85
	v_add_f32_e32 v62, v62, v159
	s_delay_alu instid0(VALU_DEP_4) | instskip(NEXT) | instid1(VALU_DEP_4)
	v_dual_add_f32 v64, v65, v64 :: v_dual_mul_f32 v65, v119, v75
	v_fma_f32 v66, v116, v72, -v66
	v_dual_mul_f32 v168, v130, v87 :: v_dual_mul_f32 v169, v132, v89
	s_delay_alu instid0(VALU_DEP_3) | instskip(NEXT) | instid1(VALU_DEP_4)
	v_dual_add_f32 v64, v64, v67 :: v_dual_mul_f32 v67, v121, v77
	v_fma_f32 v65, v118, v74, -v65
	v_dual_fmac_f32 v160, v115, v70 :: v_dual_fmac_f32 v161, v117, v72
	s_delay_alu instid0(VALU_DEP_3) | instskip(SKIP_2) | instid1(VALU_DEP_3)
	v_dual_add_f32 v64, v64, v66 :: v_dual_fmac_f32 v165, v125, v80
	v_dual_mul_f32 v66, v123, v79 :: v_dual_fmac_f32 v167, v129, v84
	v_fma_f32 v67, v120, v76, -v67
	v_dual_add_f32 v64, v64, v65 :: v_dual_fmac_f32 v169, v133, v88
	v_dual_mul_f32 v170, v134, v91 :: v_dual_mul_f32 v171, v136, v93
	v_dual_add_f32 v62, v62, v160 :: v_dual_mul_f32 v65, v125, v81
	v_fma_f32 v66, v122, v78, -v66
	s_delay_alu instid0(VALU_DEP_3) | instskip(SKIP_1) | instid1(VALU_DEP_4)
	v_dual_add_f32 v64, v64, v67 :: v_dual_fmac_f32 v171, v137, v92
	v_mul_f32_e32 v67, v127, v83
	v_fma_f32 v65, v124, v80, -v65
	v_dual_mul_f32 v162, v118, v75 :: v_dual_mul_f32 v163, v120, v77
	s_delay_alu instid0(VALU_DEP_4) | instskip(SKIP_3) | instid1(VALU_DEP_4)
	v_add_f32_e32 v64, v64, v66
	v_dual_mul_f32 v174, v142, v99 :: v_dual_mul_f32 v175, v144, v101
	v_mul_f32_e32 v66, v129, v85
	v_fma_f32 v67, v126, v82, -v67
	v_add_f32_e32 v64, v64, v65
	v_dual_fmac_f32 v162, v119, v74 :: v_dual_fmac_f32 v163, v121, v76
	v_dual_add_f32 v62, v62, v161 :: v_dual_mul_f32 v65, v131, v87
	v_fma_f32 v66, v128, v84, -v66
	s_delay_alu instid0(VALU_DEP_4) | instskip(NEXT) | instid1(VALU_DEP_3)
	v_dual_fmac_f32 v175, v145, v100 :: v_dual_add_f32 v64, v64, v67
	v_dual_add_f32 v62, v62, v162 :: v_dual_mul_f32 v67, v133, v89
	s_delay_alu instid0(VALU_DEP_4) | instskip(SKIP_1) | instid1(VALU_DEP_4)
	v_fma_f32 v65, v130, v86, -v65
	v_dual_mul_f32 v172, v138, v95 :: v_dual_mul_f32 v173, v140, v97
	v_add_f32_e32 v64, v64, v66
	v_mul_f32_e32 v66, v135, v91
	v_fma_f32 v67, v132, v88, -v67
	v_fmac_f32_e32 v164, v123, v78
	v_dual_add_f32 v62, v62, v163 :: v_dual_fmac_f32 v173, v141, v96
	v_add_f32_e32 v64, v64, v65
	v_mul_f32_e32 v65, v137, v93
	v_fma_f32 v66, v134, v90, -v66
	s_delay_alu instid0(VALU_DEP_4)
	v_dual_add_f32 v62, v62, v164 :: v_dual_mul_f32 v177, v148, v105
	v_mul_f32_e32 v178, v150, v107
	v_add_f32_e32 v64, v64, v67
	v_mul_f32_e32 v67, v139, v95
	v_fma_f32 v65, v136, v92, -v65
	v_dual_fmac_f32 v166, v127, v82 :: v_dual_fmac_f32 v177, v149, v104
	s_delay_alu instid0(VALU_DEP_4) | instskip(NEXT) | instid1(VALU_DEP_4)
	v_add_f32_e32 v64, v64, v66
	v_fma_f32 v67, v138, v94, -v67
	v_dual_fmac_f32 v168, v131, v86 :: v_dual_fmac_f32 v179, v157, v152
	v_fmac_f32_e32 v170, v135, v90
	s_delay_alu instid0(VALU_DEP_4) | instskip(SKIP_3) | instid1(VALU_DEP_4)
	v_dual_add_f32 v64, v64, v65 :: v_dual_mul_f32 v65, v143, v99
	v_add_f32_e32 v62, v62, v165
	v_mul_f32_e32 v66, v141, v97
	v_fmac_f32_e32 v172, v139, v94
	v_dual_add_f32 v64, v64, v67 :: v_dual_mul_f32 v67, v145, v101
	s_delay_alu instid0(VALU_DEP_4) | instskip(NEXT) | instid1(VALU_DEP_4)
	v_add_f32_e32 v62, v62, v166
	v_fma_f32 v66, v140, v96, -v66
	v_fmac_f32_e32 v174, v143, v98
	v_fma_f32 v65, v142, v98, -v65
	v_fma_f32 v67, v144, v100, -v67
	v_add_f32_e32 v62, v62, v167
	v_add_f32_e32 v64, v64, v66
	v_mul_f32_e32 v66, v147, v103
	v_fmac_f32_e32 v176, v147, v102
	v_fmac_f32_e32 v178, v151, v106
	v_add_f32_e32 v62, v62, v168
	v_add_f32_e32 v64, v64, v65
	v_mul_f32_e32 v65, v149, v105
	v_fma_f32 v66, v146, v102, -v66
	s_delay_alu instid0(VALU_DEP_4) | instskip(NEXT) | instid1(VALU_DEP_4)
	v_add_f32_e32 v62, v62, v169
	v_add_f32_e32 v64, v64, v67
	v_mul_f32_e32 v67, v151, v107
	v_fma_f32 v65, v148, v104, -v65
	s_delay_alu instid0(VALU_DEP_4) | instskip(NEXT) | instid1(VALU_DEP_4)
	;; [unrolled: 5-line block ×3, first 2 shown]
	v_add_f32_e32 v62, v62, v171
	v_add_f32_e32 v64, v64, v65
	s_delay_alu instid0(VALU_DEP_4) | instskip(NEXT) | instid1(VALU_DEP_3)
	v_fma_f32 v65, v156, v152, -v66
	v_add_f32_e32 v62, v62, v172
	s_delay_alu instid0(VALU_DEP_3) | instskip(NEXT) | instid1(VALU_DEP_2)
	v_add_f32_e32 v64, v64, v67
	v_add_f32_e32 v62, v62, v173
	s_delay_alu instid0(VALU_DEP_2) | instskip(NEXT) | instid1(VALU_DEP_2)
	v_add_f32_e32 v64, v64, v65
	v_add_f32_e32 v62, v62, v174
	s_wait_loadcnt 0x0
	s_delay_alu instid0(VALU_DEP_2) | instskip(NEXT) | instid1(VALU_DEP_2)
	v_sub_f32_e32 v64, v154, v64
	v_add_f32_e32 v62, v62, v175
	s_delay_alu instid0(VALU_DEP_1) | instskip(NEXT) | instid1(VALU_DEP_1)
	v_add_f32_e32 v62, v62, v176
	v_add_f32_e32 v62, v62, v177
	s_delay_alu instid0(VALU_DEP_1) | instskip(NEXT) | instid1(VALU_DEP_1)
	v_add_f32_e32 v62, v62, v178
	v_add_f32_e32 v62, v62, v179
	s_delay_alu instid0(VALU_DEP_1)
	v_sub_f32_e32 v65, v155, v62
	scratch_store_b64 off, v[64:65], off offset:48
	v_cmpx_lt_u32_e32 5, v0
	s_cbranch_execz .LBB29_183
; %bb.182:
	scratch_load_b64 v[64:65], off, off offset:40
	v_mov_b32_e32 v62, v61
	scratch_store_b64 off, v[61:62], off offset:40
	s_wait_loadcnt 0x0
	ds_store_b64 v63, v[64:65]
.LBB29_183:
	s_wait_alu 0xfffe
	s_or_b32 exec_lo, exec_lo, s0
	s_wait_storecnt_dscnt 0x0
	s_barrier_signal -1
	s_barrier_wait -1
	global_inv scope:SCOPE_SE
	s_clause 0xc
	scratch_load_b128 v[64:67], off, off offset:48
	scratch_load_b128 v[68:71], off, off offset:64
	scratch_load_b128 v[72:75], off, off offset:80
	scratch_load_b128 v[76:79], off, off offset:96
	scratch_load_b128 v[80:83], off, off offset:112
	scratch_load_b128 v[84:87], off, off offset:128
	scratch_load_b128 v[88:91], off, off offset:144
	scratch_load_b128 v[92:95], off, off offset:160
	scratch_load_b128 v[96:99], off, off offset:176
	scratch_load_b128 v[100:103], off, off offset:192
	scratch_load_b128 v[104:107], off, off offset:208
	scratch_load_b128 v[108:111], off, off offset:224
	scratch_load_b64 v[160:161], off, off offset:40
	ds_load_b128 v[112:115], v61 offset:288
	ds_load_b128 v[116:119], v61 offset:304
	;; [unrolled: 1-line block ×12, first 2 shown]
	s_mov_b32 s0, exec_lo
	s_wait_loadcnt_dscnt 0xc0b
	v_dual_mul_f32 v61, v112, v65 :: v_dual_mul_f32 v62, v114, v67
	v_mul_f32_e32 v65, v113, v65
	s_wait_loadcnt_dscnt 0xb0a
	v_dual_mul_f32 v67, v115, v67 :: v_dual_mul_f32 v162, v116, v69
	s_delay_alu instid0(VALU_DEP_3) | instskip(NEXT) | instid1(VALU_DEP_3)
	v_dual_mul_f32 v163, v118, v71 :: v_dual_fmac_f32 v62, v115, v66
	v_fma_f32 v65, v112, v64, -v65
	v_fmac_f32_e32 v61, v113, v64
	v_mul_f32_e32 v64, v117, v69
	v_fma_f32 v66, v114, v66, -v67
	v_mul_f32_e32 v67, v119, v71
	v_dual_add_f32 v65, 0, v65 :: v_dual_fmac_f32 v162, v117, v68
	s_delay_alu instid0(VALU_DEP_4) | instskip(SKIP_2) | instid1(VALU_DEP_3)
	v_fma_f32 v64, v116, v68, -v64
	s_wait_loadcnt_dscnt 0xa09
	v_dual_mul_f32 v164, v120, v73 :: v_dual_mul_f32 v165, v122, v75
	v_add_f32_e32 v65, v65, v66
	v_fmac_f32_e32 v163, v119, v70
	v_fma_f32 v66, v118, v70, -v67
	s_wait_loadcnt_dscnt 0x908
	v_dual_mul_f32 v166, v124, v77 :: v_dual_mul_f32 v167, v126, v79
	v_dual_add_f32 v64, v65, v64 :: v_dual_mul_f32 v65, v123, v75
	v_fmac_f32_e32 v164, v121, v72
	s_wait_loadcnt_dscnt 0x807
	v_dual_mul_f32 v168, v128, v81 :: v_dual_mul_f32 v169, v130, v83
	s_delay_alu instid0(VALU_DEP_3) | instskip(SKIP_3) | instid1(VALU_DEP_4)
	v_dual_add_f32 v64, v64, v66 :: v_dual_add_f32 v61, 0, v61
	v_mul_f32_e32 v66, v125, v77
	v_fma_f32 v65, v122, v74, -v65
	v_dual_fmac_f32 v165, v123, v74 :: v_dual_fmac_f32 v166, v125, v76
	v_add_f32_e32 v61, v61, v62
	v_mul_f32_e32 v62, v121, v73
	v_fma_f32 v66, v124, v76, -v66
	v_dual_fmac_f32 v167, v127, v78 :: v_dual_fmac_f32 v168, v129, v80
	s_wait_loadcnt_dscnt 0x706
	v_dual_mul_f32 v170, v132, v85 :: v_dual_mul_f32 v171, v134, v87
	v_fma_f32 v62, v120, v72, -v62
	s_wait_loadcnt_dscnt 0x605
	v_dual_mul_f32 v172, v136, v89 :: v_dual_mul_f32 v173, v138, v91
	s_wait_loadcnt_dscnt 0x504
	v_dual_mul_f32 v174, v140, v93 :: v_dual_mul_f32 v175, v142, v95
	v_add_f32_e32 v62, v64, v62
	v_mul_f32_e32 v64, v127, v79
	v_dual_fmac_f32 v172, v137, v88 :: v_dual_fmac_f32 v173, v139, v90
	s_delay_alu instid0(VALU_DEP_4) | instskip(NEXT) | instid1(VALU_DEP_4)
	v_dual_fmac_f32 v174, v141, v92 :: v_dual_fmac_f32 v175, v143, v94
	v_dual_add_f32 v62, v62, v65 :: v_dual_add_f32 v61, v61, v162
	v_mul_f32_e32 v65, v129, v81
	v_fma_f32 v64, v126, v78, -v64
	v_fmac_f32_e32 v169, v131, v82
	s_delay_alu instid0(VALU_DEP_4)
	v_add_f32_e32 v62, v62, v66
	v_mul_f32_e32 v66, v131, v83
	v_add_f32_e32 v61, v61, v163
	v_fma_f32 v65, v128, v80, -v65
	v_fmac_f32_e32 v170, v133, v84
	v_add_f32_e32 v62, v62, v64
	v_mul_f32_e32 v64, v133, v85
	v_add_f32_e32 v61, v61, v164
	v_fma_f32 v66, v130, v82, -v66
	s_delay_alu instid0(VALU_DEP_4) | instskip(SKIP_1) | instid1(VALU_DEP_4)
	v_dual_fmac_f32 v171, v135, v86 :: v_dual_add_f32 v62, v62, v65
	v_mul_f32_e32 v65, v135, v87
	v_add_f32_e32 v61, v61, v165
	v_fma_f32 v64, v132, v84, -v64
	s_wait_loadcnt_dscnt 0x403
	v_dual_mul_f32 v176, v144, v97 :: v_dual_mul_f32 v177, v146, v99
	v_add_f32_e32 v62, v62, v66
	v_add_f32_e32 v61, v61, v166
	v_fma_f32 v65, v134, v86, -v65
	v_mul_f32_e32 v66, v137, v89
	s_wait_loadcnt_dscnt 0x302
	v_dual_mul_f32 v178, v148, v101 :: v_dual_mul_f32 v179, v150, v103
	v_dual_add_f32 v62, v62, v64 :: v_dual_add_f32 v61, v61, v167
	v_mul_f32_e32 v64, v139, v91
	v_fma_f32 v66, v136, v88, -v66
	v_dual_fmac_f32 v176, v145, v96 :: v_dual_fmac_f32 v177, v147, v98
	s_delay_alu instid0(VALU_DEP_4)
	v_dual_add_f32 v62, v62, v65 :: v_dual_add_f32 v61, v61, v168
	v_mul_f32_e32 v65, v141, v93
	v_fma_f32 v64, v138, v90, -v64
	s_wait_loadcnt_dscnt 0x201
	v_dual_mul_f32 v180, v152, v105 :: v_dual_mul_f32 v181, v154, v107
	v_dual_add_f32 v61, v61, v169 :: v_dual_add_f32 v62, v62, v66
	v_mul_f32_e32 v66, v143, v95
	v_fma_f32 v65, v140, v92, -v65
	s_delay_alu instid0(VALU_DEP_4) | instskip(NEXT) | instid1(VALU_DEP_4)
	v_dual_fmac_f32 v178, v149, v100 :: v_dual_fmac_f32 v181, v155, v106
	v_dual_add_f32 v61, v61, v170 :: v_dual_add_f32 v62, v62, v64
	v_mul_f32_e32 v64, v145, v97
	v_fma_f32 v66, v142, v94, -v66
	v_fmac_f32_e32 v179, v151, v102
	s_delay_alu instid0(VALU_DEP_4)
	v_dual_add_f32 v61, v61, v171 :: v_dual_add_f32 v62, v62, v65
	v_mul_f32_e32 v65, v147, v99
	v_fma_f32 v64, v144, v96, -v64
	s_wait_loadcnt_dscnt 0x100
	v_dual_mul_f32 v182, v156, v109 :: v_dual_mul_f32 v183, v158, v111
	v_dual_add_f32 v61, v61, v172 :: v_dual_add_f32 v62, v62, v66
	v_mul_f32_e32 v66, v149, v101
	v_fma_f32 v65, v146, v98, -v65
	v_fmac_f32_e32 v180, v153, v104
	s_delay_alu instid0(VALU_DEP_4) | instskip(SKIP_3) | instid1(VALU_DEP_4)
	v_dual_add_f32 v61, v61, v173 :: v_dual_add_f32 v62, v62, v64
	v_mul_f32_e32 v64, v151, v103
	v_fma_f32 v66, v148, v100, -v66
	v_fmac_f32_e32 v183, v159, v110
	v_dual_add_f32 v61, v61, v174 :: v_dual_add_f32 v62, v62, v65
	v_mul_f32_e32 v65, v153, v105
	v_fma_f32 v64, v150, v102, -v64
	s_delay_alu instid0(VALU_DEP_3) | instskip(SKIP_1) | instid1(VALU_DEP_4)
	v_dual_add_f32 v61, v61, v175 :: v_dual_add_f32 v62, v62, v66
	v_mul_f32_e32 v66, v155, v107
	v_fma_f32 v65, v152, v104, -v65
	s_delay_alu instid0(VALU_DEP_3) | instskip(NEXT) | instid1(VALU_DEP_4)
	v_add_f32_e32 v61, v61, v176
	v_add_f32_e32 v62, v62, v64
	v_mul_f32_e32 v64, v157, v109
	v_fma_f32 v66, v154, v106, -v66
	s_delay_alu instid0(VALU_DEP_4) | instskip(NEXT) | instid1(VALU_DEP_4)
	v_add_f32_e32 v61, v61, v177
	v_dual_add_f32 v62, v62, v65 :: v_dual_mul_f32 v65, v159, v111
	s_delay_alu instid0(VALU_DEP_4) | instskip(NEXT) | instid1(VALU_DEP_3)
	v_fma_f32 v64, v156, v108, -v64
	v_add_f32_e32 v61, v61, v178
	s_delay_alu instid0(VALU_DEP_3) | instskip(NEXT) | instid1(VALU_DEP_4)
	v_add_f32_e32 v62, v62, v66
	v_fma_f32 v65, v158, v110, -v65
	s_delay_alu instid0(VALU_DEP_2) | instskip(NEXT) | instid1(VALU_DEP_1)
	v_dual_add_f32 v61, v61, v179 :: v_dual_add_f32 v62, v62, v64
	v_dual_add_f32 v61, v61, v180 :: v_dual_add_f32 v62, v62, v65
	v_fmac_f32_e32 v182, v157, v108
	s_delay_alu instid0(VALU_DEP_2) | instskip(NEXT) | instid1(VALU_DEP_1)
	v_add_f32_e32 v61, v61, v181
	v_add_f32_e32 v61, v61, v182
	s_wait_loadcnt 0x0
	s_delay_alu instid0(VALU_DEP_1) | instskip(NEXT) | instid1(VALU_DEP_1)
	v_dual_add_f32 v64, v61, v183 :: v_dual_sub_f32 v61, v160, v62
	v_sub_f32_e32 v62, v161, v64
	scratch_store_b64 off, v[61:62], off offset:40
	v_cmpx_lt_u32_e32 4, v0
	s_cbranch_execz .LBB29_185
; %bb.184:
	scratch_load_b64 v[61:62], off, off offset:32
	v_mov_b32_e32 v64, 0
	s_delay_alu instid0(VALU_DEP_1)
	v_mov_b32_e32 v65, v64
	scratch_store_b64 off, v[64:65], off offset:32
	s_wait_loadcnt 0x0
	ds_store_b64 v63, v[61:62]
.LBB29_185:
	s_wait_alu 0xfffe
	s_or_b32 exec_lo, exec_lo, s0
	s_wait_storecnt_dscnt 0x0
	s_barrier_signal -1
	s_barrier_wait -1
	global_inv scope:SCOPE_SE
	s_clause 0xd
	scratch_load_b128 v[64:67], off, off offset:40
	scratch_load_b128 v[68:71], off, off offset:56
	;; [unrolled: 1-line block ×12, first 2 shown]
	scratch_load_b64 v[160:161], off, off offset:232
	scratch_load_b64 v[162:163], off, off offset:32
	v_mov_b32_e32 v61, 0
	ds_load_2addr_b64 v[112:115], v61 offset0:35 offset1:36
	ds_load_2addr_b64 v[116:119], v61 offset0:37 offset1:38
	;; [unrolled: 1-line block ×12, first 2 shown]
	ds_load_b64 v[164:165], v61 offset:472
	s_mov_b32 s0, exec_lo
	s_wait_loadcnt_dscnt 0xd0c
	v_mul_f32_e32 v62, v112, v65
	s_wait_loadcnt_dscnt 0xc0b
	v_dual_mul_f32 v166, v114, v67 :: v_dual_mul_f32 v167, v116, v69
	v_mul_f32_e32 v67, v115, v67
	s_wait_loadcnt_dscnt 0xb0a
	v_dual_mul_f32 v168, v118, v71 :: v_dual_mul_f32 v169, v120, v73
	s_wait_loadcnt_dscnt 0xa09
	v_dual_mul_f32 v65, v113, v65 :: v_dual_mul_f32 v172, v126, v79
	s_wait_loadcnt_dscnt 0x908
	v_dual_mul_f32 v173, v128, v81 :: v_dual_fmac_f32 v62, v113, v64
	s_wait_loadcnt_dscnt 0x302
	v_mul_f32_e32 v186, v154, v107
	v_fma_f32 v65, v112, v64, -v65
	s_wait_loadcnt_dscnt 0x100
	v_mul_f32_e32 v189, v164, v161
	v_mul_f32_e32 v64, v117, v69
	v_fmac_f32_e32 v166, v115, v66
	v_fma_f32 v66, v114, v66, -v67
	v_dual_add_f32 v65, 0, v65 :: v_dual_add_f32 v62, 0, v62
	v_mul_f32_e32 v67, v119, v71
	v_fmac_f32_e32 v167, v117, v68
	v_fma_f32 v64, v116, v68, -v64
	v_dual_mul_f32 v174, v130, v83 :: v_dual_mul_f32 v175, v132, v85
	v_add_f32_e32 v62, v62, v166
	v_add_f32_e32 v65, v65, v66
	v_mul_f32_e32 v66, v121, v73
	v_fma_f32 v67, v118, v70, -v67
	v_dual_mul_f32 v176, v134, v87 :: v_dual_mul_f32 v177, v136, v89
	v_add_f32_e32 v62, v62, v167
	v_dual_add_f32 v64, v65, v64 :: v_dual_mul_f32 v65, v123, v75
	v_fma_f32 v66, v120, v72, -v66
	v_dual_fmac_f32 v168, v119, v70 :: v_dual_fmac_f32 v169, v121, v72
	s_delay_alu instid0(VALU_DEP_3) | instskip(NEXT) | instid1(VALU_DEP_4)
	v_dual_add_f32 v64, v64, v67 :: v_dual_mul_f32 v67, v125, v77
	v_fma_f32 v65, v122, v74, -v65
	v_dual_fmac_f32 v173, v129, v80 :: v_dual_mul_f32 v178, v138, v91
	v_mul_f32_e32 v179, v140, v93
	s_delay_alu instid0(VALU_DEP_4) | instskip(SKIP_3) | instid1(VALU_DEP_4)
	v_add_f32_e32 v64, v64, v66
	v_dual_mul_f32 v66, v127, v79 :: v_dual_fmac_f32 v175, v133, v84
	v_fma_f32 v67, v124, v76, -v67
	v_add_f32_e32 v62, v62, v168
	v_dual_add_f32 v64, v64, v65 :: v_dual_fmac_f32 v177, v137, v88
	v_mul_f32_e32 v65, v129, v81
	v_fma_f32 v66, v126, v78, -v66
	s_delay_alu instid0(VALU_DEP_3) | instskip(SKIP_1) | instid1(VALU_DEP_4)
	v_dual_fmac_f32 v179, v141, v92 :: v_dual_add_f32 v64, v64, v67
	v_mul_f32_e32 v67, v131, v83
	v_fma_f32 v65, v128, v80, -v65
	v_dual_mul_f32 v170, v122, v75 :: v_dual_mul_f32 v171, v124, v77
	s_delay_alu instid0(VALU_DEP_4) | instskip(SKIP_3) | instid1(VALU_DEP_4)
	v_add_f32_e32 v64, v64, v66
	v_dual_mul_f32 v182, v146, v99 :: v_dual_mul_f32 v183, v148, v101
	v_mul_f32_e32 v66, v133, v85
	v_fma_f32 v67, v130, v82, -v67
	v_add_f32_e32 v64, v64, v65
	v_dual_fmac_f32 v170, v123, v74 :: v_dual_fmac_f32 v171, v125, v76
	v_dual_add_f32 v62, v62, v169 :: v_dual_mul_f32 v65, v135, v87
	v_fma_f32 v66, v132, v84, -v66
	s_delay_alu instid0(VALU_DEP_4) | instskip(NEXT) | instid1(VALU_DEP_3)
	v_dual_fmac_f32 v183, v149, v100 :: v_dual_add_f32 v64, v64, v67
	v_dual_add_f32 v62, v62, v170 :: v_dual_mul_f32 v67, v137, v89
	s_delay_alu instid0(VALU_DEP_4) | instskip(SKIP_1) | instid1(VALU_DEP_4)
	v_fma_f32 v65, v134, v86, -v65
	v_fmac_f32_e32 v172, v127, v78
	v_add_f32_e32 v64, v64, v66
	v_mul_f32_e32 v66, v139, v91
	v_fma_f32 v67, v136, v88, -v67
	v_dual_mul_f32 v180, v142, v95 :: v_dual_mul_f32 v181, v144, v97
	s_delay_alu instid0(VALU_DEP_4) | instskip(SKIP_2) | instid1(VALU_DEP_4)
	v_add_f32_e32 v64, v64, v65
	v_mul_f32_e32 v65, v141, v93
	v_fma_f32 v66, v138, v90, -v66
	v_dual_add_f32 v62, v62, v171 :: v_dual_fmac_f32 v181, v145, v96
	s_delay_alu instid0(VALU_DEP_4) | instskip(SKIP_2) | instid1(VALU_DEP_4)
	v_add_f32_e32 v64, v64, v67
	v_mul_f32_e32 v67, v143, v95
	v_fma_f32 v65, v140, v92, -v65
	v_add_f32_e32 v62, v62, v172
	v_fmac_f32_e32 v174, v131, v82
	v_add_f32_e32 v64, v64, v66
	v_mul_f32_e32 v66, v145, v97
	v_fma_f32 v67, v142, v94, -v67
	v_dual_mul_f32 v184, v150, v103 :: v_dual_mul_f32 v185, v152, v105
	s_delay_alu instid0(VALU_DEP_4) | instskip(NEXT) | instid1(VALU_DEP_4)
	v_dual_add_f32 v64, v64, v65 :: v_dual_mul_f32 v65, v147, v99
	v_fma_f32 v66, v144, v96, -v66
	s_delay_alu instid0(VALU_DEP_3) | instskip(NEXT) | instid1(VALU_DEP_3)
	v_dual_add_f32 v62, v62, v173 :: v_dual_fmac_f32 v185, v153, v104
	v_dual_add_f32 v64, v64, v67 :: v_dual_mul_f32 v67, v149, v101
	s_delay_alu instid0(VALU_DEP_4) | instskip(NEXT) | instid1(VALU_DEP_3)
	v_fma_f32 v65, v146, v98, -v65
	v_dual_add_f32 v62, v62, v174 :: v_dual_mul_f32 v187, v156, v109
	v_mul_f32_e32 v188, v158, v111
	s_delay_alu instid0(VALU_DEP_4) | instskip(SKIP_3) | instid1(VALU_DEP_4)
	v_add_f32_e32 v64, v64, v66
	v_mul_f32_e32 v66, v151, v103
	v_fma_f32 v67, v148, v100, -v67
	v_dual_fmac_f32 v176, v135, v86 :: v_dual_fmac_f32 v187, v157, v108
	v_add_f32_e32 v64, v64, v65
	v_mul_f32_e32 v65, v153, v105
	v_fma_f32 v66, v150, v102, -v66
	v_fmac_f32_e32 v178, v139, v90
	v_fmac_f32_e32 v180, v143, v94
	v_add_f32_e32 v64, v64, v67
	v_fma_f32 v65, v152, v104, -v65
	v_dual_fmac_f32 v189, v165, v160 :: v_dual_fmac_f32 v182, v147, v98
	v_fmac_f32_e32 v184, v151, v102
	s_delay_alu instid0(VALU_DEP_4) | instskip(SKIP_3) | instid1(VALU_DEP_4)
	v_dual_add_f32 v64, v64, v66 :: v_dual_mul_f32 v67, v155, v107
	v_mul_f32_e32 v66, v157, v109
	v_fmac_f32_e32 v186, v155, v106
	v_fmac_f32_e32 v188, v159, v110
	v_dual_add_f32 v64, v64, v65 :: v_dual_mul_f32 v65, v159, v111
	v_add_f32_e32 v62, v62, v175
	v_fma_f32 v67, v154, v106, -v67
	v_fma_f32 v66, v156, v108, -v66
	s_delay_alu instid0(VALU_DEP_4) | instskip(NEXT) | instid1(VALU_DEP_4)
	v_fma_f32 v65, v158, v110, -v65
	v_add_f32_e32 v62, v62, v176
	s_delay_alu instid0(VALU_DEP_4) | instskip(NEXT) | instid1(VALU_DEP_2)
	v_dual_add_f32 v64, v64, v67 :: v_dual_mul_f32 v67, v165, v161
	v_add_f32_e32 v62, v62, v177
	s_delay_alu instid0(VALU_DEP_2) | instskip(NEXT) | instid1(VALU_DEP_3)
	v_add_f32_e32 v64, v64, v66
	v_fma_f32 v66, v164, v160, -v67
	s_delay_alu instid0(VALU_DEP_3) | instskip(NEXT) | instid1(VALU_DEP_3)
	v_add_f32_e32 v62, v62, v178
	v_add_f32_e32 v64, v64, v65
	s_delay_alu instid0(VALU_DEP_2) | instskip(NEXT) | instid1(VALU_DEP_2)
	v_add_f32_e32 v62, v62, v179
	v_add_f32_e32 v64, v64, v66
	s_delay_alu instid0(VALU_DEP_2) | instskip(SKIP_1) | instid1(VALU_DEP_2)
	v_add_f32_e32 v62, v62, v180
	s_wait_loadcnt 0x0
	v_sub_f32_e32 v64, v162, v64
	s_delay_alu instid0(VALU_DEP_2) | instskip(NEXT) | instid1(VALU_DEP_1)
	v_add_f32_e32 v62, v62, v181
	v_add_f32_e32 v62, v62, v182
	s_delay_alu instid0(VALU_DEP_1) | instskip(NEXT) | instid1(VALU_DEP_1)
	v_add_f32_e32 v62, v62, v183
	v_add_f32_e32 v62, v62, v184
	s_delay_alu instid0(VALU_DEP_1) | instskip(NEXT) | instid1(VALU_DEP_1)
	;; [unrolled: 3-line block ×4, first 2 shown]
	v_add_f32_e32 v62, v62, v189
	v_sub_f32_e32 v65, v163, v62
	scratch_store_b64 off, v[64:65], off offset:32
	v_cmpx_lt_u32_e32 3, v0
	s_cbranch_execz .LBB29_187
; %bb.186:
	scratch_load_b64 v[64:65], off, off offset:24
	v_mov_b32_e32 v62, v61
	scratch_store_b64 off, v[61:62], off offset:24
	s_wait_loadcnt 0x0
	ds_store_b64 v63, v[64:65]
.LBB29_187:
	s_wait_alu 0xfffe
	s_or_b32 exec_lo, exec_lo, s0
	s_wait_storecnt_dscnt 0x0
	s_barrier_signal -1
	s_barrier_wait -1
	global_inv scope:SCOPE_SE
	s_clause 0xd
	scratch_load_b128 v[64:67], off, off offset:32
	scratch_load_b128 v[68:71], off, off offset:48
	scratch_load_b128 v[72:75], off, off offset:64
	scratch_load_b128 v[76:79], off, off offset:80
	scratch_load_b128 v[80:83], off, off offset:96
	scratch_load_b128 v[84:87], off, off offset:112
	scratch_load_b128 v[88:91], off, off offset:128
	scratch_load_b128 v[92:95], off, off offset:144
	scratch_load_b128 v[96:99], off, off offset:160
	scratch_load_b128 v[100:103], off, off offset:176
	scratch_load_b128 v[104:107], off, off offset:192
	scratch_load_b128 v[108:111], off, off offset:208
	scratch_load_b128 v[112:115], off, off offset:224
	scratch_load_b64 v[168:169], off, off offset:24
	ds_load_b128 v[116:119], v61 offset:272
	ds_load_b128 v[120:123], v61 offset:288
	;; [unrolled: 1-line block ×13, first 2 shown]
	s_mov_b32 s0, exec_lo
	s_wait_loadcnt_dscnt 0xd0c
	v_dual_mul_f32 v61, v116, v65 :: v_dual_mul_f32 v62, v118, v67
	v_mul_f32_e32 v65, v117, v65
	s_wait_loadcnt_dscnt 0xc0b
	v_dual_mul_f32 v67, v119, v67 :: v_dual_mul_f32 v170, v120, v69
	s_delay_alu instid0(VALU_DEP_3) | instskip(NEXT) | instid1(VALU_DEP_3)
	v_dual_mul_f32 v171, v122, v71 :: v_dual_fmac_f32 v62, v119, v66
	v_fma_f32 v65, v116, v64, -v65
	v_fmac_f32_e32 v61, v117, v64
	v_mul_f32_e32 v64, v121, v69
	v_fma_f32 v66, v118, v66, -v67
	v_mul_f32_e32 v67, v123, v71
	v_dual_add_f32 v65, 0, v65 :: v_dual_fmac_f32 v170, v121, v68
	s_delay_alu instid0(VALU_DEP_4) | instskip(SKIP_2) | instid1(VALU_DEP_3)
	v_fma_f32 v64, v120, v68, -v64
	s_wait_loadcnt_dscnt 0xb0a
	v_dual_mul_f32 v172, v124, v73 :: v_dual_mul_f32 v173, v126, v75
	v_add_f32_e32 v65, v65, v66
	v_fmac_f32_e32 v171, v123, v70
	v_fma_f32 v66, v122, v70, -v67
	s_wait_loadcnt_dscnt 0xa09
	v_dual_mul_f32 v174, v128, v77 :: v_dual_mul_f32 v175, v130, v79
	v_dual_add_f32 v64, v65, v64 :: v_dual_mul_f32 v65, v127, v75
	v_fmac_f32_e32 v172, v125, v72
	s_wait_loadcnt_dscnt 0x908
	v_dual_mul_f32 v176, v132, v81 :: v_dual_mul_f32 v177, v134, v83
	s_delay_alu instid0(VALU_DEP_3) | instskip(SKIP_3) | instid1(VALU_DEP_4)
	v_dual_add_f32 v64, v64, v66 :: v_dual_add_f32 v61, 0, v61
	v_mul_f32_e32 v66, v129, v77
	v_fma_f32 v65, v126, v74, -v65
	v_dual_fmac_f32 v173, v127, v74 :: v_dual_fmac_f32 v174, v129, v76
	v_add_f32_e32 v61, v61, v62
	v_mul_f32_e32 v62, v125, v73
	v_fma_f32 v66, v128, v76, -v66
	v_dual_fmac_f32 v175, v131, v78 :: v_dual_fmac_f32 v176, v133, v80
	s_wait_loadcnt_dscnt 0x807
	v_dual_mul_f32 v178, v136, v85 :: v_dual_mul_f32 v179, v138, v87
	v_fma_f32 v62, v124, v72, -v62
	s_wait_loadcnt_dscnt 0x706
	v_dual_mul_f32 v180, v140, v89 :: v_dual_mul_f32 v181, v142, v91
	s_wait_loadcnt_dscnt 0x605
	v_dual_mul_f32 v182, v144, v93 :: v_dual_mul_f32 v183, v146, v95
	v_add_f32_e32 v62, v64, v62
	v_mul_f32_e32 v64, v131, v79
	v_dual_fmac_f32 v180, v141, v88 :: v_dual_fmac_f32 v181, v143, v90
	s_delay_alu instid0(VALU_DEP_4) | instskip(NEXT) | instid1(VALU_DEP_4)
	v_dual_fmac_f32 v182, v145, v92 :: v_dual_fmac_f32 v183, v147, v94
	v_dual_add_f32 v62, v62, v65 :: v_dual_add_f32 v61, v61, v170
	v_mul_f32_e32 v65, v133, v81
	v_fma_f32 v64, v130, v78, -v64
	v_fmac_f32_e32 v177, v135, v82
	s_delay_alu instid0(VALU_DEP_4)
	v_add_f32_e32 v62, v62, v66
	v_mul_f32_e32 v66, v135, v83
	v_add_f32_e32 v61, v61, v171
	v_fma_f32 v65, v132, v80, -v65
	v_fmac_f32_e32 v178, v137, v84
	v_add_f32_e32 v62, v62, v64
	v_mul_f32_e32 v64, v137, v85
	v_add_f32_e32 v61, v61, v172
	v_fma_f32 v66, v134, v82, -v66
	s_delay_alu instid0(VALU_DEP_4) | instskip(SKIP_1) | instid1(VALU_DEP_4)
	v_dual_fmac_f32 v179, v139, v86 :: v_dual_add_f32 v62, v62, v65
	v_mul_f32_e32 v65, v139, v87
	v_add_f32_e32 v61, v61, v173
	v_fma_f32 v64, v136, v84, -v64
	s_wait_loadcnt_dscnt 0x504
	v_dual_mul_f32 v184, v148, v97 :: v_dual_mul_f32 v185, v150, v99
	v_add_f32_e32 v62, v62, v66
	v_add_f32_e32 v61, v61, v174
	v_fma_f32 v65, v138, v86, -v65
	v_mul_f32_e32 v66, v141, v89
	v_dual_fmac_f32 v184, v149, v96 :: v_dual_fmac_f32 v185, v151, v98
	s_delay_alu instid0(VALU_DEP_4) | instskip(SKIP_1) | instid1(VALU_DEP_4)
	v_dual_add_f32 v62, v62, v64 :: v_dual_add_f32 v61, v61, v175
	v_mul_f32_e32 v64, v143, v91
	v_fma_f32 v66, v140, v88, -v66
	s_wait_loadcnt_dscnt 0x403
	v_dual_mul_f32 v186, v152, v101 :: v_dual_mul_f32 v187, v154, v103
	v_dual_add_f32 v62, v62, v65 :: v_dual_add_f32 v61, v61, v176
	v_mul_f32_e32 v65, v145, v93
	v_fma_f32 v64, v142, v90, -v64
	s_wait_loadcnt_dscnt 0x302
	v_dual_mul_f32 v188, v156, v105 :: v_dual_mul_f32 v189, v158, v107
	v_dual_add_f32 v61, v61, v177 :: v_dual_add_f32 v62, v62, v66
	v_mul_f32_e32 v66, v147, v95
	v_fma_f32 v65, v144, v92, -v65
	s_delay_alu instid0(VALU_DEP_4) | instskip(NEXT) | instid1(VALU_DEP_4)
	v_dual_fmac_f32 v186, v153, v100 :: v_dual_fmac_f32 v189, v159, v106
	v_dual_add_f32 v61, v61, v178 :: v_dual_add_f32 v62, v62, v64
	v_mul_f32_e32 v64, v149, v97
	v_fma_f32 v66, v146, v94, -v66
	v_fmac_f32_e32 v187, v155, v102
	s_delay_alu instid0(VALU_DEP_4) | instskip(SKIP_3) | instid1(VALU_DEP_4)
	v_dual_add_f32 v61, v61, v179 :: v_dual_add_f32 v62, v62, v65
	v_mul_f32_e32 v65, v151, v99
	v_fma_f32 v64, v148, v96, -v64
	v_fmac_f32_e32 v188, v157, v104
	v_dual_add_f32 v61, v61, v180 :: v_dual_add_f32 v62, v62, v66
	s_delay_alu instid0(VALU_DEP_4)
	v_fma_f32 v65, v150, v98, -v65
	v_mul_f32_e32 v66, v153, v101
	s_wait_loadcnt_dscnt 0x201
	v_dual_mul_f32 v190, v160, v109 :: v_dual_mul_f32 v191, v162, v111
	v_dual_add_f32 v61, v61, v181 :: v_dual_add_f32 v62, v62, v64
	v_mul_f32_e32 v64, v155, v103
	v_fma_f32 v66, v152, v100, -v66
	s_wait_loadcnt_dscnt 0x100
	v_dual_mul_f32 v192, v164, v113 :: v_dual_mul_f32 v193, v166, v115
	v_dual_add_f32 v61, v61, v182 :: v_dual_add_f32 v62, v62, v65
	v_mul_f32_e32 v65, v157, v105
	v_fma_f32 v64, v154, v102, -v64
	s_delay_alu instid0(VALU_DEP_4) | instskip(NEXT) | instid1(VALU_DEP_4)
	v_dual_fmac_f32 v190, v161, v108 :: v_dual_fmac_f32 v193, v167, v114
	v_dual_add_f32 v61, v61, v183 :: v_dual_add_f32 v62, v62, v66
	v_mul_f32_e32 v66, v159, v107
	v_fma_f32 v65, v156, v104, -v65
	v_fmac_f32_e32 v191, v163, v110
	s_delay_alu instid0(VALU_DEP_4)
	v_add_f32_e32 v61, v61, v184
	v_add_f32_e32 v62, v62, v64
	v_mul_f32_e32 v64, v161, v109
	v_fma_f32 v66, v158, v106, -v66
	v_fmac_f32_e32 v192, v165, v112
	v_add_f32_e32 v61, v61, v185
	v_dual_add_f32 v62, v62, v65 :: v_dual_mul_f32 v65, v163, v111
	v_fma_f32 v64, v160, v108, -v64
	s_delay_alu instid0(VALU_DEP_3) | instskip(NEXT) | instid1(VALU_DEP_3)
	v_add_f32_e32 v61, v61, v186
	v_add_f32_e32 v62, v62, v66
	v_mul_f32_e32 v66, v165, v113
	v_fma_f32 v65, v162, v110, -v65
	s_delay_alu instid0(VALU_DEP_3) | instskip(SKIP_1) | instid1(VALU_DEP_4)
	v_dual_add_f32 v61, v61, v187 :: v_dual_add_f32 v62, v62, v64
	v_mul_f32_e32 v64, v167, v115
	v_fma_f32 v66, v164, v112, -v66
	s_delay_alu instid0(VALU_DEP_3) | instskip(NEXT) | instid1(VALU_DEP_3)
	v_add_f32_e32 v61, v61, v188
	v_fma_f32 v64, v166, v114, -v64
	s_delay_alu instid0(VALU_DEP_2) | instskip(NEXT) | instid1(VALU_DEP_1)
	v_add_f32_e32 v61, v61, v189
	v_dual_add_f32 v61, v61, v190 :: v_dual_add_f32 v62, v62, v65
	s_delay_alu instid0(VALU_DEP_1) | instskip(NEXT) | instid1(VALU_DEP_1)
	v_dual_add_f32 v61, v61, v191 :: v_dual_add_f32 v62, v62, v66
	v_add_f32_e32 v61, v61, v192
	s_delay_alu instid0(VALU_DEP_2) | instskip(SKIP_1) | instid1(VALU_DEP_1)
	v_add_f32_e32 v62, v62, v64
	s_wait_loadcnt 0x0
	v_dual_add_f32 v64, v61, v193 :: v_dual_sub_f32 v61, v168, v62
	s_delay_alu instid0(VALU_DEP_1)
	v_sub_f32_e32 v62, v169, v64
	scratch_store_b64 off, v[61:62], off offset:24
	v_cmpx_lt_u32_e32 2, v0
	s_cbranch_execz .LBB29_189
; %bb.188:
	scratch_load_b64 v[61:62], off, off offset:16
	v_mov_b32_e32 v64, 0
	s_delay_alu instid0(VALU_DEP_1)
	v_mov_b32_e32 v65, v64
	scratch_store_b64 off, v[64:65], off offset:16
	s_wait_loadcnt 0x0
	ds_store_b64 v63, v[61:62]
.LBB29_189:
	s_wait_alu 0xfffe
	s_or_b32 exec_lo, exec_lo, s0
	s_wait_storecnt_dscnt 0x0
	s_barrier_signal -1
	s_barrier_wait -1
	global_inv scope:SCOPE_SE
	s_clause 0xe
	scratch_load_b128 v[64:67], off, off offset:24
	scratch_load_b128 v[68:71], off, off offset:40
	;; [unrolled: 1-line block ×13, first 2 shown]
	scratch_load_b64 v[168:169], off, off offset:232
	scratch_load_b64 v[170:171], off, off offset:16
	v_mov_b32_e32 v61, 0
	ds_load_2addr_b64 v[116:119], v61 offset0:33 offset1:34
	ds_load_2addr_b64 v[120:123], v61 offset0:35 offset1:36
	ds_load_2addr_b64 v[124:127], v61 offset0:37 offset1:38
	ds_load_2addr_b64 v[128:131], v61 offset0:39 offset1:40
	ds_load_2addr_b64 v[132:135], v61 offset0:41 offset1:42
	ds_load_2addr_b64 v[136:139], v61 offset0:43 offset1:44
	ds_load_2addr_b64 v[140:143], v61 offset0:45 offset1:46
	ds_load_2addr_b64 v[144:147], v61 offset0:47 offset1:48
	ds_load_2addr_b64 v[148:151], v61 offset0:49 offset1:50
	ds_load_2addr_b64 v[152:155], v61 offset0:51 offset1:52
	ds_load_2addr_b64 v[156:159], v61 offset0:53 offset1:54
	ds_load_2addr_b64 v[160:163], v61 offset0:55 offset1:56
	ds_load_2addr_b64 v[164:167], v61 offset0:57 offset1:58
	ds_load_b64 v[172:173], v61 offset:472
	s_mov_b32 s0, exec_lo
	s_wait_loadcnt_dscnt 0xe0d
	v_mul_f32_e32 v62, v116, v65
	s_wait_loadcnt_dscnt 0xd0c
	v_dual_mul_f32 v174, v118, v67 :: v_dual_mul_f32 v175, v120, v69
	v_mul_f32_e32 v67, v119, v67
	s_wait_loadcnt_dscnt 0xc0b
	v_dual_mul_f32 v176, v122, v71 :: v_dual_mul_f32 v177, v124, v73
	s_wait_loadcnt_dscnt 0xa09
	v_dual_mul_f32 v180, v130, v79 :: v_dual_mul_f32 v181, v132, v81
	v_mul_f32_e32 v65, v117, v65
	v_fmac_f32_e32 v62, v117, v64
	s_wait_loadcnt_dscnt 0x908
	v_dual_mul_f32 v182, v134, v83 :: v_dual_mul_f32 v183, v136, v85
	s_wait_loadcnt_dscnt 0x100
	v_dual_mul_f32 v196, v162, v111 :: v_dual_mul_f32 v199, v172, v169
	v_fma_f32 v65, v116, v64, -v65
	v_mul_f32_e32 v64, v121, v69
	v_fmac_f32_e32 v174, v119, v66
	v_fma_f32 v66, v118, v66, -v67
	v_dual_add_f32 v62, 0, v62 :: v_dual_mul_f32 v67, v123, v71
	v_add_f32_e32 v65, 0, v65
	v_fmac_f32_e32 v175, v121, v68
	v_fma_f32 v64, v120, v68, -v64
	s_delay_alu instid0(VALU_DEP_4)
	v_add_f32_e32 v62, v62, v174
	v_fma_f32 v67, v122, v70, -v67
	v_add_f32_e32 v65, v65, v66
	v_mul_f32_e32 v66, v125, v73
	v_dual_mul_f32 v184, v138, v87 :: v_dual_mul_f32 v185, v140, v89
	v_add_f32_e32 v62, v62, v175
	s_delay_alu instid0(VALU_DEP_4) | instskip(NEXT) | instid1(VALU_DEP_4)
	v_dual_add_f32 v64, v65, v64 :: v_dual_mul_f32 v65, v127, v75
	v_fma_f32 v66, v124, v72, -v66
	v_dual_fmac_f32 v176, v123, v70 :: v_dual_fmac_f32 v177, v125, v72
	s_delay_alu instid0(VALU_DEP_3) | instskip(NEXT) | instid1(VALU_DEP_4)
	v_dual_add_f32 v64, v64, v67 :: v_dual_mul_f32 v67, v129, v77
	v_fma_f32 v65, v126, v74, -v65
	v_dual_fmac_f32 v181, v133, v80 :: v_dual_mul_f32 v186, v142, v91
	v_mul_f32_e32 v187, v144, v93
	s_delay_alu instid0(VALU_DEP_4) | instskip(SKIP_3) | instid1(VALU_DEP_4)
	v_add_f32_e32 v64, v64, v66
	v_dual_mul_f32 v66, v131, v79 :: v_dual_fmac_f32 v183, v137, v84
	v_fma_f32 v67, v128, v76, -v67
	v_add_f32_e32 v62, v62, v176
	v_dual_add_f32 v64, v64, v65 :: v_dual_fmac_f32 v185, v141, v88
	v_mul_f32_e32 v65, v133, v81
	v_fma_f32 v66, v130, v78, -v66
	s_delay_alu instid0(VALU_DEP_3) | instskip(SKIP_1) | instid1(VALU_DEP_4)
	v_dual_fmac_f32 v187, v145, v92 :: v_dual_add_f32 v64, v64, v67
	v_mul_f32_e32 v67, v135, v83
	v_fma_f32 v65, v132, v80, -v65
	v_dual_mul_f32 v178, v126, v75 :: v_dual_mul_f32 v179, v128, v77
	s_delay_alu instid0(VALU_DEP_4) | instskip(SKIP_3) | instid1(VALU_DEP_4)
	v_add_f32_e32 v64, v64, v66
	v_dual_mul_f32 v190, v150, v99 :: v_dual_mul_f32 v191, v152, v101
	v_mul_f32_e32 v66, v137, v85
	v_fma_f32 v67, v134, v82, -v67
	v_add_f32_e32 v64, v64, v65
	v_dual_fmac_f32 v178, v127, v74 :: v_dual_fmac_f32 v179, v129, v76
	v_dual_add_f32 v62, v62, v177 :: v_dual_mul_f32 v65, v139, v87
	v_fma_f32 v66, v136, v84, -v66
	s_delay_alu instid0(VALU_DEP_4) | instskip(NEXT) | instid1(VALU_DEP_3)
	v_dual_fmac_f32 v191, v153, v100 :: v_dual_add_f32 v64, v64, v67
	v_dual_add_f32 v62, v62, v178 :: v_dual_mul_f32 v67, v141, v89
	s_delay_alu instid0(VALU_DEP_4) | instskip(SKIP_1) | instid1(VALU_DEP_4)
	v_fma_f32 v65, v138, v86, -v65
	v_fmac_f32_e32 v180, v131, v78
	v_add_f32_e32 v64, v64, v66
	v_mul_f32_e32 v66, v143, v91
	v_fma_f32 v67, v140, v88, -v67
	v_dual_fmac_f32 v199, v173, v168 :: v_dual_mul_f32 v188, v146, v95
	v_mul_f32_e32 v189, v148, v97
	v_add_f32_e32 v64, v64, v65
	v_mul_f32_e32 v65, v145, v93
	v_fma_f32 v66, v142, v90, -v66
	s_delay_alu instid0(VALU_DEP_4) | instskip(NEXT) | instid1(VALU_DEP_4)
	v_dual_add_f32 v62, v62, v179 :: v_dual_fmac_f32 v189, v149, v96
	v_add_f32_e32 v64, v64, v67
	v_mul_f32_e32 v67, v147, v95
	v_fma_f32 v65, v144, v92, -v65
	s_delay_alu instid0(VALU_DEP_4)
	v_add_f32_e32 v62, v62, v180
	v_fmac_f32_e32 v182, v135, v82
	v_add_f32_e32 v64, v64, v66
	v_mul_f32_e32 v66, v149, v97
	v_fma_f32 v67, v146, v94, -v67
	v_dual_mul_f32 v192, v154, v103 :: v_dual_mul_f32 v193, v156, v105
	s_delay_alu instid0(VALU_DEP_4) | instskip(NEXT) | instid1(VALU_DEP_4)
	v_dual_add_f32 v64, v64, v65 :: v_dual_mul_f32 v65, v151, v99
	v_fma_f32 v66, v148, v96, -v66
	s_delay_alu instid0(VALU_DEP_3) | instskip(NEXT) | instid1(VALU_DEP_3)
	v_dual_add_f32 v62, v62, v181 :: v_dual_fmac_f32 v193, v157, v104
	v_dual_add_f32 v64, v64, v67 :: v_dual_mul_f32 v67, v153, v101
	s_delay_alu instid0(VALU_DEP_4) | instskip(NEXT) | instid1(VALU_DEP_3)
	v_fma_f32 v65, v150, v98, -v65
	v_add_f32_e32 v62, v62, v182
	v_dual_mul_f32 v194, v158, v107 :: v_dual_mul_f32 v195, v160, v109
	s_delay_alu instid0(VALU_DEP_4) | instskip(SKIP_3) | instid1(VALU_DEP_4)
	v_add_f32_e32 v64, v64, v66
	v_mul_f32_e32 v66, v155, v103
	v_fma_f32 v67, v152, v100, -v67
	v_dual_mul_f32 v197, v164, v113 :: v_dual_mul_f32 v198, v166, v115
	v_add_f32_e32 v64, v64, v65
	v_mul_f32_e32 v65, v157, v105
	v_fma_f32 v66, v154, v102, -v66
	v_dual_fmac_f32 v184, v139, v86 :: v_dual_fmac_f32 v195, v161, v108
	s_delay_alu instid0(VALU_DEP_4) | instskip(NEXT) | instid1(VALU_DEP_4)
	v_add_f32_e32 v64, v64, v67
	v_fma_f32 v65, v156, v104, -v65
	v_dual_fmac_f32 v197, v165, v112 :: v_dual_fmac_f32 v186, v143, v90
	v_fmac_f32_e32 v188, v147, v94
	s_delay_alu instid0(VALU_DEP_4) | instskip(SKIP_3) | instid1(VALU_DEP_4)
	v_add_f32_e32 v64, v64, v66
	v_fmac_f32_e32 v190, v151, v98
	v_fmac_f32_e32 v192, v155, v102
	v_dual_mul_f32 v67, v159, v107 :: v_dual_mul_f32 v66, v161, v109
	v_dual_add_f32 v64, v64, v65 :: v_dual_mul_f32 v65, v163, v111
	v_add_f32_e32 v62, v62, v183
	v_fmac_f32_e32 v194, v159, v106
	s_delay_alu instid0(VALU_DEP_4)
	v_fma_f32 v67, v158, v106, -v67
	v_fma_f32 v66, v160, v108, -v66
	v_fmac_f32_e32 v196, v163, v110
	v_add_f32_e32 v62, v62, v184
	v_fma_f32 v65, v162, v110, -v65
	v_dual_add_f32 v64, v64, v67 :: v_dual_mul_f32 v67, v165, v113
	v_fmac_f32_e32 v198, v167, v114
	s_delay_alu instid0(VALU_DEP_4) | instskip(NEXT) | instid1(VALU_DEP_3)
	v_add_f32_e32 v62, v62, v185
	v_add_f32_e32 v64, v64, v66
	v_mul_f32_e32 v66, v167, v115
	v_fma_f32 v67, v164, v112, -v67
	s_delay_alu instid0(VALU_DEP_4) | instskip(NEXT) | instid1(VALU_DEP_4)
	v_add_f32_e32 v62, v62, v186
	v_add_f32_e32 v64, v64, v65
	v_mul_f32_e32 v65, v173, v169
	v_fma_f32 v66, v166, v114, -v66
	s_delay_alu instid0(VALU_DEP_4) | instskip(NEXT) | instid1(VALU_DEP_4)
	v_add_f32_e32 v62, v62, v187
	v_add_f32_e32 v64, v64, v67
	s_delay_alu instid0(VALU_DEP_4) | instskip(NEXT) | instid1(VALU_DEP_3)
	v_fma_f32 v65, v172, v168, -v65
	v_add_f32_e32 v62, v62, v188
	s_delay_alu instid0(VALU_DEP_3) | instskip(NEXT) | instid1(VALU_DEP_2)
	v_add_f32_e32 v64, v64, v66
	v_add_f32_e32 v62, v62, v189
	s_delay_alu instid0(VALU_DEP_2) | instskip(NEXT) | instid1(VALU_DEP_2)
	v_add_f32_e32 v64, v64, v65
	v_add_f32_e32 v62, v62, v190
	s_wait_loadcnt 0x0
	s_delay_alu instid0(VALU_DEP_2) | instskip(NEXT) | instid1(VALU_DEP_2)
	v_sub_f32_e32 v64, v170, v64
	v_add_f32_e32 v62, v62, v191
	s_delay_alu instid0(VALU_DEP_1) | instskip(NEXT) | instid1(VALU_DEP_1)
	v_add_f32_e32 v62, v62, v192
	v_add_f32_e32 v62, v62, v193
	s_delay_alu instid0(VALU_DEP_1) | instskip(NEXT) | instid1(VALU_DEP_1)
	v_add_f32_e32 v62, v62, v194
	;; [unrolled: 3-line block ×4, first 2 shown]
	v_add_f32_e32 v62, v62, v199
	s_delay_alu instid0(VALU_DEP_1)
	v_sub_f32_e32 v65, v171, v62
	scratch_store_b64 off, v[64:65], off offset:16
	v_cmpx_lt_u32_e32 1, v0
	s_cbranch_execz .LBB29_191
; %bb.190:
	scratch_load_b64 v[64:65], off, off offset:8
	v_mov_b32_e32 v62, v61
	scratch_store_b64 off, v[61:62], off offset:8
	s_wait_loadcnt 0x0
	ds_store_b64 v63, v[64:65]
.LBB29_191:
	s_wait_alu 0xfffe
	s_or_b32 exec_lo, exec_lo, s0
	s_wait_storecnt_dscnt 0x0
	s_barrier_signal -1
	s_barrier_wait -1
	global_inv scope:SCOPE_SE
	s_clause 0xe
	scratch_load_b128 v[64:67], off, off offset:16
	scratch_load_b128 v[68:71], off, off offset:32
	;; [unrolled: 1-line block ×14, first 2 shown]
	scratch_load_b64 v[176:177], off, off offset:8
	ds_load_b128 v[120:123], v61 offset:256
	ds_load_b128 v[124:127], v61 offset:272
	;; [unrolled: 1-line block ×14, first 2 shown]
	s_mov_b32 s0, exec_lo
	s_wait_loadcnt_dscnt 0xe0d
	v_dual_mul_f32 v61, v120, v65 :: v_dual_mul_f32 v62, v122, v67
	v_mul_f32_e32 v65, v121, v65
	s_wait_loadcnt_dscnt 0xd0c
	v_dual_mul_f32 v67, v123, v67 :: v_dual_mul_f32 v178, v124, v69
	s_delay_alu instid0(VALU_DEP_3) | instskip(NEXT) | instid1(VALU_DEP_3)
	v_dual_mul_f32 v179, v126, v71 :: v_dual_fmac_f32 v62, v123, v66
	v_fma_f32 v65, v120, v64, -v65
	v_fmac_f32_e32 v61, v121, v64
	v_mul_f32_e32 v64, v125, v69
	v_fma_f32 v66, v122, v66, -v67
	v_mul_f32_e32 v67, v127, v71
	v_dual_add_f32 v65, 0, v65 :: v_dual_fmac_f32 v178, v125, v68
	s_delay_alu instid0(VALU_DEP_4) | instskip(SKIP_2) | instid1(VALU_DEP_3)
	v_fma_f32 v64, v124, v68, -v64
	s_wait_loadcnt_dscnt 0xc0b
	v_dual_mul_f32 v180, v128, v73 :: v_dual_mul_f32 v181, v130, v75
	v_add_f32_e32 v65, v65, v66
	v_fmac_f32_e32 v179, v127, v70
	v_fma_f32 v66, v126, v70, -v67
	s_wait_loadcnt_dscnt 0xb0a
	v_dual_mul_f32 v182, v132, v77 :: v_dual_mul_f32 v183, v134, v79
	v_dual_add_f32 v64, v65, v64 :: v_dual_mul_f32 v65, v131, v75
	v_fmac_f32_e32 v180, v129, v72
	s_wait_loadcnt_dscnt 0xa09
	v_dual_mul_f32 v184, v136, v81 :: v_dual_mul_f32 v185, v138, v83
	s_delay_alu instid0(VALU_DEP_3) | instskip(SKIP_3) | instid1(VALU_DEP_4)
	v_dual_add_f32 v64, v64, v66 :: v_dual_add_f32 v61, 0, v61
	v_mul_f32_e32 v66, v133, v77
	v_fma_f32 v65, v130, v74, -v65
	v_dual_fmac_f32 v181, v131, v74 :: v_dual_fmac_f32 v182, v133, v76
	v_add_f32_e32 v61, v61, v62
	v_mul_f32_e32 v62, v129, v73
	v_fma_f32 v66, v132, v76, -v66
	v_dual_fmac_f32 v183, v135, v78 :: v_dual_fmac_f32 v184, v137, v80
	s_wait_loadcnt_dscnt 0x908
	v_dual_mul_f32 v186, v140, v85 :: v_dual_mul_f32 v187, v142, v87
	v_fma_f32 v62, v128, v72, -v62
	s_wait_loadcnt_dscnt 0x807
	v_dual_mul_f32 v188, v144, v89 :: v_dual_mul_f32 v189, v146, v91
	s_wait_loadcnt_dscnt 0x706
	v_dual_mul_f32 v190, v148, v93 :: v_dual_mul_f32 v191, v150, v95
	v_add_f32_e32 v62, v64, v62
	v_mul_f32_e32 v64, v135, v79
	v_dual_fmac_f32 v188, v145, v88 :: v_dual_fmac_f32 v189, v147, v90
	s_delay_alu instid0(VALU_DEP_4) | instskip(NEXT) | instid1(VALU_DEP_4)
	v_dual_fmac_f32 v190, v149, v92 :: v_dual_fmac_f32 v191, v151, v94
	v_dual_add_f32 v62, v62, v65 :: v_dual_add_f32 v61, v61, v178
	v_mul_f32_e32 v65, v137, v81
	v_fma_f32 v64, v134, v78, -v64
	v_fmac_f32_e32 v185, v139, v82
	s_delay_alu instid0(VALU_DEP_4)
	v_add_f32_e32 v62, v62, v66
	v_mul_f32_e32 v66, v139, v83
	v_add_f32_e32 v61, v61, v179
	v_fma_f32 v65, v136, v80, -v65
	v_fmac_f32_e32 v186, v141, v84
	v_add_f32_e32 v62, v62, v64
	v_mul_f32_e32 v64, v141, v85
	v_add_f32_e32 v61, v61, v180
	v_fma_f32 v66, v138, v82, -v66
	s_delay_alu instid0(VALU_DEP_4) | instskip(SKIP_1) | instid1(VALU_DEP_4)
	v_dual_fmac_f32 v187, v143, v86 :: v_dual_add_f32 v62, v62, v65
	v_mul_f32_e32 v65, v143, v87
	v_add_f32_e32 v61, v61, v181
	v_fma_f32 v64, v140, v84, -v64
	s_wait_loadcnt_dscnt 0x605
	v_dual_mul_f32 v192, v152, v97 :: v_dual_mul_f32 v193, v154, v99
	v_add_f32_e32 v62, v62, v66
	v_add_f32_e32 v61, v61, v182
	v_fma_f32 v65, v142, v86, -v65
	v_mul_f32_e32 v66, v145, v89
	s_wait_loadcnt_dscnt 0x504
	v_dual_mul_f32 v194, v156, v101 :: v_dual_mul_f32 v195, v158, v103
	v_dual_add_f32 v62, v62, v64 :: v_dual_add_f32 v61, v61, v183
	v_mul_f32_e32 v64, v147, v91
	v_fma_f32 v66, v144, v88, -v66
	v_dual_fmac_f32 v192, v153, v96 :: v_dual_fmac_f32 v193, v155, v98
	s_delay_alu instid0(VALU_DEP_4)
	v_dual_add_f32 v62, v62, v65 :: v_dual_add_f32 v61, v61, v184
	v_mul_f32_e32 v65, v149, v93
	v_fma_f32 v64, v146, v90, -v64
	s_wait_loadcnt_dscnt 0x403
	v_dual_mul_f32 v196, v160, v105 :: v_dual_mul_f32 v197, v162, v107
	v_dual_add_f32 v61, v61, v185 :: v_dual_add_f32 v62, v62, v66
	v_mul_f32_e32 v66, v151, v95
	v_fma_f32 v65, v148, v92, -v65
	s_delay_alu instid0(VALU_DEP_4) | instskip(NEXT) | instid1(VALU_DEP_4)
	v_dual_fmac_f32 v194, v157, v100 :: v_dual_fmac_f32 v197, v163, v106
	v_dual_add_f32 v61, v61, v186 :: v_dual_add_f32 v62, v62, v64
	v_mul_f32_e32 v64, v153, v97
	v_fma_f32 v66, v150, v94, -v66
	v_fmac_f32_e32 v195, v159, v102
	s_delay_alu instid0(VALU_DEP_4)
	v_dual_add_f32 v61, v61, v187 :: v_dual_add_f32 v62, v62, v65
	v_mul_f32_e32 v65, v155, v99
	v_fma_f32 v64, v152, v96, -v64
	s_wait_loadcnt_dscnt 0x302
	v_dual_mul_f32 v198, v164, v109 :: v_dual_mul_f32 v199, v166, v111
	v_dual_add_f32 v61, v61, v188 :: v_dual_add_f32 v62, v62, v66
	v_mul_f32_e32 v66, v157, v101
	v_fma_f32 v65, v154, v98, -v65
	v_fmac_f32_e32 v196, v161, v104
	s_delay_alu instid0(VALU_DEP_4)
	v_dual_add_f32 v61, v61, v189 :: v_dual_add_f32 v62, v62, v64
	v_mul_f32_e32 v64, v159, v103
	v_fma_f32 v66, v156, v100, -v66
	s_wait_loadcnt_dscnt 0x201
	v_dual_mul_f32 v200, v168, v113 :: v_dual_mul_f32 v201, v170, v115
	;; [unrolled: 10-line block ×3, first 2 shown]
	v_add_f32_e32 v61, v61, v192
	v_add_f32_e32 v62, v62, v64
	v_mul_f32_e32 v64, v165, v109
	v_fma_f32 v66, v162, v106, -v66
	v_dual_fmac_f32 v198, v165, v108 :: v_dual_fmac_f32 v201, v171, v114
	v_add_f32_e32 v61, v61, v193
	v_dual_add_f32 v62, v62, v65 :: v_dual_mul_f32 v65, v167, v111
	v_fma_f32 v64, v164, v108, -v64
	v_fmac_f32_e32 v203, v175, v118
	s_delay_alu instid0(VALU_DEP_4) | instskip(NEXT) | instid1(VALU_DEP_4)
	v_add_f32_e32 v61, v61, v194
	v_add_f32_e32 v62, v62, v66
	v_mul_f32_e32 v66, v169, v113
	v_fma_f32 v65, v166, v110, -v65
	v_fmac_f32_e32 v202, v173, v116
	s_delay_alu instid0(VALU_DEP_4) | instskip(SKIP_2) | instid1(VALU_DEP_3)
	v_dual_add_f32 v61, v61, v195 :: v_dual_add_f32 v62, v62, v64
	v_mul_f32_e32 v64, v171, v115
	v_fma_f32 v66, v168, v112, -v66
	v_add_f32_e32 v61, v61, v196
	s_delay_alu instid0(VALU_DEP_3) | instskip(NEXT) | instid1(VALU_DEP_2)
	v_fma_f32 v64, v170, v114, -v64
	v_add_f32_e32 v61, v61, v197
	s_delay_alu instid0(VALU_DEP_1) | instskip(NEXT) | instid1(VALU_DEP_1)
	v_dual_add_f32 v61, v61, v198 :: v_dual_add_f32 v62, v62, v65
	v_add_f32_e32 v61, v61, v199
	s_delay_alu instid0(VALU_DEP_2) | instskip(SKIP_1) | instid1(VALU_DEP_2)
	v_dual_mul_f32 v65, v173, v117 :: v_dual_add_f32 v62, v62, v66
	v_mul_f32_e32 v66, v175, v119
	v_fma_f32 v65, v172, v116, -v65
	s_delay_alu instid0(VALU_DEP_3) | instskip(NEXT) | instid1(VALU_DEP_3)
	v_add_f32_e32 v62, v62, v64
	v_fma_f32 v64, v174, v118, -v66
	s_delay_alu instid0(VALU_DEP_2) | instskip(NEXT) | instid1(VALU_DEP_1)
	v_add_f32_e32 v62, v62, v65
	v_add_f32_e32 v62, v62, v64
	v_fmac_f32_e32 v200, v169, v112
	s_delay_alu instid0(VALU_DEP_1) | instskip(NEXT) | instid1(VALU_DEP_1)
	v_add_f32_e32 v61, v61, v200
	v_add_f32_e32 v61, v61, v201
	s_delay_alu instid0(VALU_DEP_1) | instskip(SKIP_1) | instid1(VALU_DEP_1)
	v_add_f32_e32 v61, v61, v202
	s_wait_loadcnt 0x0
	v_dual_add_f32 v64, v61, v203 :: v_dual_sub_f32 v61, v176, v62
	s_delay_alu instid0(VALU_DEP_1)
	v_sub_f32_e32 v62, v177, v64
	scratch_store_b64 off, v[61:62], off offset:8
	v_cmpx_ne_u32_e32 0, v0
	s_cbranch_execz .LBB29_193
; %bb.192:
	scratch_load_b64 v[61:62], off, off
	v_mov_b32_e32 v64, 0
	s_delay_alu instid0(VALU_DEP_1)
	v_mov_b32_e32 v65, v64
	scratch_store_b64 off, v[64:65], off
	s_wait_loadcnt 0x0
	ds_store_b64 v63, v[61:62]
.LBB29_193:
	s_wait_alu 0xfffe
	s_or_b32 exec_lo, exec_lo, s0
	s_wait_storecnt_dscnt 0x0
	s_barrier_signal -1
	s_barrier_wait -1
	global_inv scope:SCOPE_SE
	s_clause 0xf
	scratch_load_b128 v[61:64], off, off offset:8
	scratch_load_b128 v[65:68], off, off offset:24
	;; [unrolled: 1-line block ×14, first 2 shown]
	scratch_load_b64 v[173:174], off, off offset:232
	scratch_load_b64 v[175:176], off, off
	v_mov_b32_e32 v0, 0
	ds_load_2addr_b64 v[117:120], v0 offset0:31 offset1:32
	ds_load_2addr_b64 v[121:124], v0 offset0:33 offset1:34
	;; [unrolled: 1-line block ×14, first 2 shown]
	ds_load_b64 v[177:178], v0 offset:472
	s_and_b32 vcc_lo, exec_lo, s18
	s_wait_loadcnt_dscnt 0xf0e
	v_dual_mul_f32 v179, v117, v62 :: v_dual_mul_f32 v180, v119, v64
	s_wait_loadcnt_dscnt 0xe0d
	v_dual_mul_f32 v181, v121, v66 :: v_dual_mul_f32 v64, v120, v64
	;; [unrolled: 2-line block ×3, first 2 shown]
	v_dual_fmac_f32 v179, v118, v61 :: v_dual_fmac_f32 v180, v120, v63
	s_delay_alu instid0(VALU_DEP_3) | instskip(SKIP_1) | instid1(VALU_DEP_4)
	v_fmac_f32_e32 v181, v122, v65
	v_fma_f32 v63, v119, v63, -v64
	v_dual_fmac_f32 v182, v124, v67 :: v_dual_fmac_f32 v183, v126, v69
	s_delay_alu instid0(VALU_DEP_4)
	v_add_f32_e32 v64, 0, v179
	v_mul_f32_e32 v62, v118, v62
	s_wait_loadcnt_dscnt 0xc0b
	v_dual_mul_f32 v184, v127, v72 :: v_dual_mul_f32 v185, v129, v74
	s_wait_loadcnt_dscnt 0xb0a
	v_dual_mul_f32 v186, v131, v76 :: v_dual_mul_f32 v187, v133, v78
	v_fma_f32 v62, v117, v61, -v62
	v_dual_mul_f32 v61, v122, v66 :: v_dual_mul_f32 v66, v124, v68
	v_dual_fmac_f32 v184, v128, v71 :: v_dual_fmac_f32 v185, v130, v73
	s_delay_alu instid0(VALU_DEP_3) | instskip(NEXT) | instid1(VALU_DEP_3)
	v_add_f32_e32 v62, 0, v62
	v_fma_f32 v61, v121, v65, -v61
	s_delay_alu instid0(VALU_DEP_4) | instskip(SKIP_1) | instid1(VALU_DEP_4)
	v_fma_f32 v65, v123, v67, -v66
	v_dual_fmac_f32 v186, v132, v75 :: v_dual_fmac_f32 v187, v134, v77
	v_add_f32_e32 v62, v62, v63
	s_wait_loadcnt_dscnt 0xa09
	v_dual_mul_f32 v188, v135, v80 :: v_dual_mul_f32 v189, v137, v82
	s_wait_loadcnt_dscnt 0x908
	v_dual_mul_f32 v190, v139, v84 :: v_dual_mul_f32 v191, v141, v86
	v_add_f32_e32 v61, v62, v61
	v_add_f32_e32 v63, v64, v180
	v_dual_fmac_f32 v188, v136, v79 :: v_dual_fmac_f32 v189, v138, v81
	s_wait_loadcnt_dscnt 0x807
	v_dual_mul_f32 v192, v143, v88 :: v_dual_mul_f32 v193, v145, v90
	s_delay_alu instid0(VALU_DEP_3)
	v_dual_add_f32 v62, v63, v181 :: v_dual_mul_f32 v63, v128, v72
	v_add_f32_e32 v61, v61, v65
	v_dual_mul_f32 v65, v130, v74 :: v_dual_mul_f32 v194, v147, v92
	s_wait_loadcnt_dscnt 0x706
	v_mul_f32_e32 v195, v149, v94
	v_fma_f32 v63, v127, v71, -v63
	v_mul_f32_e32 v64, v126, v70
	v_fma_f32 v65, v129, v73, -v65
	v_dual_fmac_f32 v193, v146, v89 :: v_dual_fmac_f32 v194, v148, v91
	s_wait_loadcnt_dscnt 0x605
	v_dual_mul_f32 v196, v151, v96 :: v_dual_mul_f32 v197, v153, v98
	v_fma_f32 v64, v125, v69, -v64
	v_add_f32_e32 v62, v62, v182
	s_delay_alu instid0(VALU_DEP_3) | instskip(SKIP_4) | instid1(VALU_DEP_3)
	v_dual_fmac_f32 v195, v150, v93 :: v_dual_fmac_f32 v196, v152, v95
	s_wait_loadcnt_dscnt 0x504
	v_dual_mul_f32 v198, v155, v100 :: v_dual_mul_f32 v199, v157, v102
	v_add_f32_e32 v61, v61, v64
	v_dual_mul_f32 v64, v132, v76 :: v_dual_fmac_f32 v197, v154, v97
	v_fmac_f32_e32 v198, v156, v99
	s_wait_loadcnt_dscnt 0x403
	v_dual_mul_f32 v200, v159, v104 :: v_dual_mul_f32 v201, v161, v106
	v_add_f32_e32 v61, v61, v63
	v_add_f32_e32 v62, v62, v183
	v_mul_f32_e32 v63, v134, v78
	v_fma_f32 v64, v131, v75, -v64
	s_wait_loadcnt_dscnt 0x302
	v_dual_mul_f32 v202, v163, v108 :: v_dual_mul_f32 v203, v165, v110
	v_add_f32_e32 v61, v61, v65
	v_fma_f32 v63, v133, v77, -v63
	v_mul_f32_e32 v65, v136, v80
	s_delay_alu instid0(VALU_DEP_4) | instskip(NEXT) | instid1(VALU_DEP_4)
	v_dual_fmac_f32 v199, v158, v101 :: v_dual_fmac_f32 v202, v164, v107
	v_add_f32_e32 v61, v61, v64
	v_add_f32_e32 v62, v62, v184
	v_mul_f32_e32 v64, v138, v82
	v_fma_f32 v65, v135, v79, -v65
	v_fmac_f32_e32 v190, v140, v83
	s_delay_alu instid0(VALU_DEP_4) | instskip(SKIP_3) | instid1(VALU_DEP_4)
	v_dual_add_f32 v61, v61, v63 :: v_dual_add_f32 v62, v62, v185
	v_mul_f32_e32 v63, v140, v84
	v_fma_f32 v64, v137, v81, -v64
	v_fmac_f32_e32 v191, v142, v85
	v_dual_add_f32 v61, v61, v65 :: v_dual_add_f32 v62, v62, v186
	s_delay_alu instid0(VALU_DEP_4) | instskip(SKIP_1) | instid1(VALU_DEP_3)
	v_fma_f32 v63, v139, v83, -v63
	v_dual_mul_f32 v65, v142, v86 :: v_dual_fmac_f32 v192, v144, v87
	v_dual_add_f32 v61, v61, v64 :: v_dual_add_f32 v62, v62, v187
	v_mul_f32_e32 v64, v144, v88
	s_delay_alu instid0(VALU_DEP_3) | instskip(SKIP_1) | instid1(VALU_DEP_4)
	v_fma_f32 v65, v141, v85, -v65
	v_fmac_f32_e32 v201, v162, v105
	v_dual_add_f32 v61, v61, v63 :: v_dual_add_f32 v62, v62, v188
	v_mul_f32_e32 v63, v146, v90
	v_fma_f32 v64, v143, v87, -v64
	s_wait_loadcnt_dscnt 0x201
	v_dual_mul_f32 v204, v167, v112 :: v_dual_mul_f32 v205, v169, v114
	v_add_f32_e32 v62, v62, v189
	v_add_f32_e32 v61, v61, v65
	v_mul_f32_e32 v65, v148, v92
	v_fma_f32 v63, v145, v89, -v63
	s_wait_loadcnt_dscnt 0x100
	v_dual_mul_f32 v206, v171, v116 :: v_dual_mul_f32 v207, v177, v174
	v_dual_add_f32 v62, v62, v190 :: v_dual_add_f32 v61, v61, v64
	v_mul_f32_e32 v64, v150, v94
	v_fma_f32 v65, v147, v91, -v65
	s_delay_alu instid0(VALU_DEP_4) | instskip(NEXT) | instid1(VALU_DEP_4)
	v_dual_fmac_f32 v203, v166, v109 :: v_dual_fmac_f32 v206, v172, v115
	v_add_f32_e32 v62, v62, v191
	v_add_f32_e32 v61, v61, v63
	v_mul_f32_e32 v63, v152, v96
	v_fma_f32 v64, v149, v93, -v64
	v_fmac_f32_e32 v200, v160, v103
	v_add_f32_e32 v62, v62, v192
	v_fmac_f32_e32 v205, v170, v113
	v_fma_f32 v63, v151, v95, -v63
	v_dual_fmac_f32 v207, v178, v173 :: v_dual_fmac_f32 v204, v168, v111
	s_delay_alu instid0(VALU_DEP_4) | instskip(SKIP_2) | instid1(VALU_DEP_2)
	v_add_f32_e32 v62, v62, v193
	v_add_f32_e32 v61, v61, v65
	v_mul_f32_e32 v65, v154, v98
	v_dual_add_f32 v62, v62, v194 :: v_dual_add_f32 v61, v61, v64
	v_mul_f32_e32 v64, v156, v100
	s_delay_alu instid0(VALU_DEP_3) | instskip(NEXT) | instid1(VALU_DEP_3)
	v_fma_f32 v65, v153, v97, -v65
	v_add_f32_e32 v62, v62, v195
	s_delay_alu instid0(VALU_DEP_4) | instskip(SKIP_2) | instid1(VALU_DEP_4)
	v_add_f32_e32 v61, v61, v63
	v_mul_f32_e32 v63, v158, v102
	v_fma_f32 v64, v155, v99, -v64
	v_add_f32_e32 v62, v62, v196
	s_delay_alu instid0(VALU_DEP_3) | instskip(NEXT) | instid1(VALU_DEP_2)
	v_fma_f32 v63, v157, v101, -v63
	v_add_f32_e32 v62, v62, v197
	v_add_f32_e32 v61, v61, v65
	s_delay_alu instid0(VALU_DEP_2) | instskip(NEXT) | instid1(VALU_DEP_2)
	v_dual_mul_f32 v65, v160, v104 :: v_dual_add_f32 v62, v62, v198
	v_dual_add_f32 v61, v61, v64 :: v_dual_mul_f32 v64, v162, v106
	s_delay_alu instid0(VALU_DEP_2) | instskip(NEXT) | instid1(VALU_DEP_3)
	v_fma_f32 v65, v159, v103, -v65
	v_add_f32_e32 v62, v62, v199
	s_delay_alu instid0(VALU_DEP_3) | instskip(SKIP_2) | instid1(VALU_DEP_3)
	v_add_f32_e32 v61, v61, v63
	v_mul_f32_e32 v63, v164, v108
	v_fma_f32 v64, v161, v105, -v64
	v_dual_add_f32 v62, v62, v200 :: v_dual_add_f32 v61, v61, v65
	v_mul_f32_e32 v65, v166, v110
	s_delay_alu instid0(VALU_DEP_4) | instskip(NEXT) | instid1(VALU_DEP_3)
	v_fma_f32 v63, v163, v107, -v63
	v_add_f32_e32 v61, v61, v64
	v_mul_f32_e32 v64, v168, v112
	v_add_f32_e32 v62, v62, v201
	v_fma_f32 v65, v165, v109, -v65
	s_delay_alu instid0(VALU_DEP_3) | instskip(NEXT) | instid1(VALU_DEP_3)
	v_fma_f32 v64, v167, v111, -v64
	v_add_f32_e32 v62, v62, v202
	s_delay_alu instid0(VALU_DEP_1) | instskip(SKIP_2) | instid1(VALU_DEP_2)
	v_add_f32_e32 v62, v62, v203
	v_add_f32_e32 v61, v61, v63
	v_mul_f32_e32 v63, v170, v114
	v_dual_add_f32 v62, v62, v204 :: v_dual_add_f32 v61, v61, v65
	v_mul_f32_e32 v65, v172, v116
	s_delay_alu instid0(VALU_DEP_3) | instskip(NEXT) | instid1(VALU_DEP_3)
	v_fma_f32 v63, v169, v113, -v63
	v_dual_add_f32 v62, v62, v205 :: v_dual_add_f32 v61, v61, v64
	v_mul_f32_e32 v64, v178, v174
	s_delay_alu instid0(VALU_DEP_4) | instskip(NEXT) | instid1(VALU_DEP_3)
	v_fma_f32 v65, v171, v115, -v65
	v_dual_add_f32 v62, v62, v206 :: v_dual_add_f32 v61, v61, v63
	s_delay_alu instid0(VALU_DEP_3) | instskip(NEXT) | instid1(VALU_DEP_2)
	v_fma_f32 v63, v177, v173, -v64
	v_dual_add_f32 v62, v62, v207 :: v_dual_add_f32 v61, v61, v65
	s_wait_loadcnt 0x0
	s_delay_alu instid0(VALU_DEP_1) | instskip(NEXT) | instid1(VALU_DEP_1)
	v_dual_sub_f32 v62, v176, v62 :: v_dual_add_f32 v61, v61, v63
	v_sub_f32_e32 v61, v175, v61
	scratch_store_b64 off, v[61:62], off
	s_wait_alu 0xfffe
	s_cbranch_vccz .LBB29_252
; %bb.194:
	global_load_b32 v0, v0, s[2:3] offset:112
	s_wait_loadcnt 0x0
	v_cmp_ne_u32_e32 vcc_lo, 29, v0
	s_cbranch_vccz .LBB29_196
; %bb.195:
	v_lshlrev_b32_e32 v0, 3, v0
	scratch_load_b64 v[61:62], v0, off offset:-8
	scratch_load_b64 v[63:64], off, off offset:224
	s_wait_loadcnt 0x1
	scratch_store_b64 off, v[61:62], off offset:224
	s_wait_loadcnt 0x0
	scratch_store_b64 v0, v[63:64], off offset:-8
.LBB29_196:
	v_mov_b32_e32 v0, 0
	global_load_b32 v61, v0, s[2:3] offset:108
	s_wait_loadcnt 0x0
	v_cmp_eq_u32_e32 vcc_lo, 28, v61
	s_cbranch_vccnz .LBB29_198
; %bb.197:
	v_lshlrev_b32_e32 v61, 3, v61
	s_delay_alu instid0(VALU_DEP_1)
	v_mov_b32_e32 v65, v61
	scratch_load_b64 v[61:62], v65, off offset:-8
	scratch_load_b64 v[63:64], off, off offset:216
	s_wait_loadcnt 0x1
	scratch_store_b64 off, v[61:62], off offset:216
	s_wait_loadcnt 0x0
	scratch_store_b64 v65, v[63:64], off offset:-8
.LBB29_198:
	global_load_b32 v0, v0, s[2:3] offset:104
	s_wait_loadcnt 0x0
	v_cmp_eq_u32_e32 vcc_lo, 27, v0
	s_cbranch_vccnz .LBB29_200
; %bb.199:
	v_lshlrev_b32_e32 v0, 3, v0
	scratch_load_b64 v[61:62], v0, off offset:-8
	scratch_load_b64 v[63:64], off, off offset:208
	s_wait_loadcnt 0x1
	scratch_store_b64 off, v[61:62], off offset:208
	s_wait_loadcnt 0x0
	scratch_store_b64 v0, v[63:64], off offset:-8
.LBB29_200:
	v_mov_b32_e32 v0, 0
	global_load_b32 v61, v0, s[2:3] offset:100
	s_wait_loadcnt 0x0
	v_cmp_eq_u32_e32 vcc_lo, 26, v61
	s_cbranch_vccnz .LBB29_202
; %bb.201:
	v_lshlrev_b32_e32 v61, 3, v61
	s_delay_alu instid0(VALU_DEP_1)
	v_mov_b32_e32 v65, v61
	scratch_load_b64 v[61:62], v65, off offset:-8
	scratch_load_b64 v[63:64], off, off offset:200
	s_wait_loadcnt 0x1
	scratch_store_b64 off, v[61:62], off offset:200
	s_wait_loadcnt 0x0
	scratch_store_b64 v65, v[63:64], off offset:-8
.LBB29_202:
	global_load_b32 v0, v0, s[2:3] offset:96
	s_wait_loadcnt 0x0
	v_cmp_eq_u32_e32 vcc_lo, 25, v0
	s_cbranch_vccnz .LBB29_204
; %bb.203:
	v_lshlrev_b32_e32 v0, 3, v0
	scratch_load_b64 v[61:62], v0, off offset:-8
	scratch_load_b64 v[63:64], off, off offset:192
	s_wait_loadcnt 0x1
	scratch_store_b64 off, v[61:62], off offset:192
	s_wait_loadcnt 0x0
	scratch_store_b64 v0, v[63:64], off offset:-8
.LBB29_204:
	;; [unrolled: 29-line block ×13, first 2 shown]
	v_mov_b32_e32 v0, 0
	global_load_b32 v61, v0, s[2:3] offset:4
	s_wait_loadcnt 0x0
	v_cmp_eq_u32_e32 vcc_lo, 2, v61
	s_cbranch_vccnz .LBB29_250
; %bb.249:
	v_lshlrev_b32_e32 v61, 3, v61
	s_delay_alu instid0(VALU_DEP_1)
	v_mov_b32_e32 v65, v61
	scratch_load_b64 v[61:62], v65, off offset:-8
	scratch_load_b64 v[63:64], off, off offset:8
	s_wait_loadcnt 0x1
	scratch_store_b64 off, v[61:62], off offset:8
	s_wait_loadcnt 0x0
	scratch_store_b64 v65, v[63:64], off offset:-8
.LBB29_250:
	global_load_b32 v0, v0, s[2:3]
	s_wait_loadcnt 0x0
	v_cmp_eq_u32_e32 vcc_lo, 1, v0
	s_cbranch_vccnz .LBB29_252
; %bb.251:
	v_lshlrev_b32_e32 v0, 3, v0
	scratch_load_b64 v[61:62], v0, off offset:-8
	scratch_load_b64 v[63:64], off, off
	s_wait_loadcnt 0x1
	scratch_store_b64 off, v[61:62], off
	s_wait_loadcnt 0x0
	scratch_store_b64 v0, v[63:64], off offset:-8
.LBB29_252:
	s_clause 0xe
	scratch_load_b128 v[61:64], off, off
	scratch_load_b128 v[65:68], off, off offset:16
	scratch_load_b128 v[69:72], off, off offset:32
	;; [unrolled: 1-line block ×14, first 2 shown]
	s_wait_loadcnt 0xe
	s_clause 0x1
	global_store_b64 v[1:2], v[61:62], off
	global_store_b64 v[3:4], v[63:64], off
	s_wait_loadcnt 0xd
	s_clause 0x1
	global_store_b64 v[5:6], v[65:66], off
	global_store_b64 v[7:8], v[67:68], off
	;; [unrolled: 4-line block ×15, first 2 shown]
	s_nop 0
	s_sendmsg sendmsg(MSG_DEALLOC_VGPRS)
	s_endpgm
	.section	.rodata,"a",@progbits
	.p2align	6, 0x0
	.amdhsa_kernel _ZN9rocsolver6v33100L18getri_kernel_smallILi30E19rocblas_complex_numIfEPS3_EEvT1_iilPiilS6_bb
		.amdhsa_group_segment_fixed_size 484
		.amdhsa_private_segment_fixed_size 256
		.amdhsa_kernarg_size 60
		.amdhsa_user_sgpr_count 2
		.amdhsa_user_sgpr_dispatch_ptr 0
		.amdhsa_user_sgpr_queue_ptr 0
		.amdhsa_user_sgpr_kernarg_segment_ptr 1
		.amdhsa_user_sgpr_dispatch_id 0
		.amdhsa_user_sgpr_private_segment_size 0
		.amdhsa_wavefront_size32 1
		.amdhsa_uses_dynamic_stack 0
		.amdhsa_enable_private_segment 1
		.amdhsa_system_sgpr_workgroup_id_x 1
		.amdhsa_system_sgpr_workgroup_id_y 0
		.amdhsa_system_sgpr_workgroup_id_z 0
		.amdhsa_system_sgpr_workgroup_info 0
		.amdhsa_system_vgpr_workitem_id 0
		.amdhsa_next_free_vgpr 208
		.amdhsa_next_free_sgpr 19
		.amdhsa_reserve_vcc 1
		.amdhsa_float_round_mode_32 0
		.amdhsa_float_round_mode_16_64 0
		.amdhsa_float_denorm_mode_32 3
		.amdhsa_float_denorm_mode_16_64 3
		.amdhsa_fp16_overflow 0
		.amdhsa_workgroup_processor_mode 1
		.amdhsa_memory_ordered 1
		.amdhsa_forward_progress 1
		.amdhsa_inst_pref_size 255
		.amdhsa_round_robin_scheduling 0
		.amdhsa_exception_fp_ieee_invalid_op 0
		.amdhsa_exception_fp_denorm_src 0
		.amdhsa_exception_fp_ieee_div_zero 0
		.amdhsa_exception_fp_ieee_overflow 0
		.amdhsa_exception_fp_ieee_underflow 0
		.amdhsa_exception_fp_ieee_inexact 0
		.amdhsa_exception_int_div_zero 0
	.end_amdhsa_kernel
	.section	.text._ZN9rocsolver6v33100L18getri_kernel_smallILi30E19rocblas_complex_numIfEPS3_EEvT1_iilPiilS6_bb,"axG",@progbits,_ZN9rocsolver6v33100L18getri_kernel_smallILi30E19rocblas_complex_numIfEPS3_EEvT1_iilPiilS6_bb,comdat
.Lfunc_end29:
	.size	_ZN9rocsolver6v33100L18getri_kernel_smallILi30E19rocblas_complex_numIfEPS3_EEvT1_iilPiilS6_bb, .Lfunc_end29-_ZN9rocsolver6v33100L18getri_kernel_smallILi30E19rocblas_complex_numIfEPS3_EEvT1_iilPiilS6_bb
                                        ; -- End function
	.set _ZN9rocsolver6v33100L18getri_kernel_smallILi30E19rocblas_complex_numIfEPS3_EEvT1_iilPiilS6_bb.num_vgpr, 208
	.set _ZN9rocsolver6v33100L18getri_kernel_smallILi30E19rocblas_complex_numIfEPS3_EEvT1_iilPiilS6_bb.num_agpr, 0
	.set _ZN9rocsolver6v33100L18getri_kernel_smallILi30E19rocblas_complex_numIfEPS3_EEvT1_iilPiilS6_bb.numbered_sgpr, 19
	.set _ZN9rocsolver6v33100L18getri_kernel_smallILi30E19rocblas_complex_numIfEPS3_EEvT1_iilPiilS6_bb.num_named_barrier, 0
	.set _ZN9rocsolver6v33100L18getri_kernel_smallILi30E19rocblas_complex_numIfEPS3_EEvT1_iilPiilS6_bb.private_seg_size, 256
	.set _ZN9rocsolver6v33100L18getri_kernel_smallILi30E19rocblas_complex_numIfEPS3_EEvT1_iilPiilS6_bb.uses_vcc, 1
	.set _ZN9rocsolver6v33100L18getri_kernel_smallILi30E19rocblas_complex_numIfEPS3_EEvT1_iilPiilS6_bb.uses_flat_scratch, 1
	.set _ZN9rocsolver6v33100L18getri_kernel_smallILi30E19rocblas_complex_numIfEPS3_EEvT1_iilPiilS6_bb.has_dyn_sized_stack, 0
	.set _ZN9rocsolver6v33100L18getri_kernel_smallILi30E19rocblas_complex_numIfEPS3_EEvT1_iilPiilS6_bb.has_recursion, 0
	.set _ZN9rocsolver6v33100L18getri_kernel_smallILi30E19rocblas_complex_numIfEPS3_EEvT1_iilPiilS6_bb.has_indirect_call, 0
	.section	.AMDGPU.csdata,"",@progbits
; Kernel info:
; codeLenInByte = 36864
; TotalNumSgprs: 21
; NumVgprs: 208
; ScratchSize: 256
; MemoryBound: 0
; FloatMode: 240
; IeeeMode: 1
; LDSByteSize: 484 bytes/workgroup (compile time only)
; SGPRBlocks: 0
; VGPRBlocks: 25
; NumSGPRsForWavesPerEU: 21
; NumVGPRsForWavesPerEU: 208
; Occupancy: 7
; WaveLimiterHint : 1
; COMPUTE_PGM_RSRC2:SCRATCH_EN: 1
; COMPUTE_PGM_RSRC2:USER_SGPR: 2
; COMPUTE_PGM_RSRC2:TRAP_HANDLER: 0
; COMPUTE_PGM_RSRC2:TGID_X_EN: 1
; COMPUTE_PGM_RSRC2:TGID_Y_EN: 0
; COMPUTE_PGM_RSRC2:TGID_Z_EN: 0
; COMPUTE_PGM_RSRC2:TIDIG_COMP_CNT: 0
	.section	.text._ZN9rocsolver6v33100L18getri_kernel_smallILi31E19rocblas_complex_numIfEPS3_EEvT1_iilPiilS6_bb,"axG",@progbits,_ZN9rocsolver6v33100L18getri_kernel_smallILi31E19rocblas_complex_numIfEPS3_EEvT1_iilPiilS6_bb,comdat
	.globl	_ZN9rocsolver6v33100L18getri_kernel_smallILi31E19rocblas_complex_numIfEPS3_EEvT1_iilPiilS6_bb ; -- Begin function _ZN9rocsolver6v33100L18getri_kernel_smallILi31E19rocblas_complex_numIfEPS3_EEvT1_iilPiilS6_bb
	.p2align	8
	.type	_ZN9rocsolver6v33100L18getri_kernel_smallILi31E19rocblas_complex_numIfEPS3_EEvT1_iilPiilS6_bb,@function
_ZN9rocsolver6v33100L18getri_kernel_smallILi31E19rocblas_complex_numIfEPS3_EEvT1_iilPiilS6_bb: ; @_ZN9rocsolver6v33100L18getri_kernel_smallILi31E19rocblas_complex_numIfEPS3_EEvT1_iilPiilS6_bb
; %bb.0:
	s_mov_b32 s2, exec_lo
	v_cmpx_gt_u32_e32 31, v0
	s_cbranch_execz .LBB30_138
; %bb.1:
	s_clause 0x2
	s_load_b32 s2, s[0:1], 0x38
	s_load_b128 s[12:15], s[0:1], 0x10
	s_load_b128 s[4:7], s[0:1], 0x28
	s_mov_b32 s16, ttmp9
	s_wait_kmcnt 0x0
	s_bitcmp1_b32 s2, 8
	s_cselect_b32 s18, -1, 0
	s_bfe_u32 s2, s2, 0x10008
	s_ashr_i32 s17, ttmp9, 31
	s_cmp_eq_u32 s2, 0
                                        ; implicit-def: $sgpr2_sgpr3
	s_cbranch_scc1 .LBB30_3
; %bb.2:
	s_load_b32 s2, s[0:1], 0x20
	s_mul_u64 s[4:5], s[4:5], s[16:17]
	s_delay_alu instid0(SALU_CYCLE_1) | instskip(NEXT) | instid1(SALU_CYCLE_1)
	s_lshl_b64 s[4:5], s[4:5], 2
	s_add_nc_u64 s[4:5], s[14:15], s[4:5]
	s_wait_kmcnt 0x0
	s_ashr_i32 s3, s2, 31
	s_delay_alu instid0(SALU_CYCLE_1) | instskip(NEXT) | instid1(SALU_CYCLE_1)
	s_lshl_b64 s[2:3], s[2:3], 2
	s_add_nc_u64 s[2:3], s[4:5], s[2:3]
.LBB30_3:
	s_clause 0x1
	s_load_b128 s[8:11], s[0:1], 0x0
	s_load_b32 s4, s[0:1], 0x38
	s_mul_u64 s[0:1], s[12:13], s[16:17]
	v_lshlrev_b32_e32 v69, 3, v0
	s_lshl_b64 s[0:1], s[0:1], 3
	s_wait_kmcnt 0x0
	v_add3_u32 v3, s11, s11, v0
	s_ashr_i32 s13, s10, 31
	s_mov_b32 s12, s10
	s_add_nc_u64 s[0:1], s[8:9], s[0:1]
	s_lshl_b64 s[12:13], s[12:13], 3
	v_add_nc_u32_e32 v5, s11, v3
	v_ashrrev_i32_e32 v4, 31, v3
	s_add_nc_u64 s[0:1], s[0:1], s[12:13]
	s_ashr_i32 s9, s11, 31
	v_add_co_u32 v1, s5, s0, v69
	v_add_nc_u32_e32 v9, s11, v5
	v_ashrrev_i32_e32 v6, 31, v5
	s_mov_b32 s8, s11
	v_lshlrev_b64_e32 v[7:8], 3, v[3:4]
	v_add_co_ci_u32_e64 v2, null, s1, 0, s5
	v_add_nc_u32_e32 v13, s11, v9
	s_lshl_b64 s[8:9], s[8:9], 3
	v_lshlrev_b64_e32 v[11:12], 3, v[5:6]
	v_add_co_u32 v3, vcc_lo, v1, s8
	s_delay_alu instid0(VALU_DEP_3) | instskip(SKIP_3) | instid1(VALU_DEP_4)
	v_add_nc_u32_e32 v15, s11, v13
	v_ashrrev_i32_e32 v14, 31, v13
	v_add_co_ci_u32_e64 v4, null, s9, v2, vcc_lo
	v_add_co_u32 v5, vcc_lo, s0, v7
	v_ashrrev_i32_e32 v16, 31, v15
	v_add_nc_u32_e32 v17, s11, v15
	s_wait_alu 0xfffd
	v_add_co_ci_u32_e64 v6, null, s1, v8, vcc_lo
	v_add_co_u32 v7, vcc_lo, s0, v11
	v_ashrrev_i32_e32 v10, 31, v9
	s_wait_alu 0xfffd
	v_add_co_ci_u32_e64 v8, null, s1, v12, vcc_lo
	v_lshlrev_b64_e32 v[11:12], 3, v[13:14]
	v_lshlrev_b64_e32 v[13:14], 3, v[15:16]
	v_add_nc_u32_e32 v15, s11, v17
	v_lshlrev_b64_e32 v[9:10], 3, v[9:10]
	v_ashrrev_i32_e32 v18, 31, v17
	global_load_b64 v[63:64], v69, s[0:1]
	s_bitcmp0_b32 s4, 0
	v_add_nc_u32_e32 v19, s11, v15
	v_ashrrev_i32_e32 v16, 31, v15
	v_add_co_u32 v9, vcc_lo, s0, v9
	v_lshlrev_b64_e32 v[17:18], 3, v[17:18]
	s_delay_alu instid0(VALU_DEP_4)
	v_add_nc_u32_e32 v23, s11, v19
	s_wait_alu 0xfffd
	v_add_co_ci_u32_e64 v10, null, s1, v10, vcc_lo
	v_add_co_u32 v11, vcc_lo, s0, v11
	v_lshlrev_b64_e32 v[21:22], 3, v[15:16]
	s_wait_alu 0xfffd
	v_add_co_ci_u32_e64 v12, null, s1, v12, vcc_lo
	v_add_co_u32 v13, vcc_lo, s0, v13
	v_ashrrev_i32_e32 v24, 31, v23
	v_add_nc_u32_e32 v25, s11, v23
	s_wait_alu 0xfffd
	v_add_co_ci_u32_e64 v14, null, s1, v14, vcc_lo
	v_add_co_u32 v15, vcc_lo, s0, v17
	s_wait_alu 0xfffd
	v_add_co_ci_u32_e64 v16, null, s1, v18, vcc_lo
	v_add_co_u32 v17, vcc_lo, s0, v21
	s_wait_alu 0xfffd
	v_add_co_ci_u32_e64 v18, null, s1, v22, vcc_lo
	v_lshlrev_b64_e32 v[21:22], 3, v[23:24]
	v_add_nc_u32_e32 v23, s11, v25
	v_ashrrev_i32_e32 v20, 31, v19
	v_ashrrev_i32_e32 v26, 31, v25
	s_clause 0x7
	global_load_b64 v[65:66], v[3:4], off
	global_load_b64 v[70:71], v[5:6], off
	;; [unrolled: 1-line block ×8, first 2 shown]
	v_add_nc_u32_e32 v27, s11, v23
	v_lshlrev_b64_e32 v[19:20], 3, v[19:20]
	v_ashrrev_i32_e32 v24, 31, v23
	v_lshlrev_b64_e32 v[25:26], 3, v[25:26]
	s_delay_alu instid0(VALU_DEP_4)
	v_add_nc_u32_e32 v31, s11, v27
	v_ashrrev_i32_e32 v28, 31, v27
	v_add_co_u32 v19, vcc_lo, s0, v19
	v_lshlrev_b64_e32 v[29:30], 3, v[23:24]
	s_wait_alu 0xfffd
	v_add_co_ci_u32_e64 v20, null, s1, v20, vcc_lo
	v_add_co_u32 v21, vcc_lo, s0, v21
	v_ashrrev_i32_e32 v32, 31, v31
	v_add_nc_u32_e32 v33, s11, v31
	s_wait_alu 0xfffd
	v_add_co_ci_u32_e64 v22, null, s1, v22, vcc_lo
	v_add_co_u32 v23, vcc_lo, s0, v25
	s_wait_alu 0xfffd
	v_add_co_ci_u32_e64 v24, null, s1, v26, vcc_lo
	v_add_co_u32 v25, vcc_lo, s0, v29
	s_wait_alu 0xfffd
	v_add_co_ci_u32_e64 v26, null, s1, v30, vcc_lo
	v_lshlrev_b64_e32 v[29:30], 3, v[31:32]
	v_add_nc_u32_e32 v31, s11, v33
	v_ashrrev_i32_e32 v34, 31, v33
	v_lshlrev_b64_e32 v[27:28], 3, v[27:28]
	s_delay_alu instid0(VALU_DEP_3) | instskip(SKIP_1) | instid1(VALU_DEP_4)
	v_add_nc_u32_e32 v35, s11, v31
	v_ashrrev_i32_e32 v32, 31, v31
	v_lshlrev_b64_e32 v[33:34], 3, v[33:34]
	s_delay_alu instid0(VALU_DEP_4) | instskip(NEXT) | instid1(VALU_DEP_4)
	v_add_co_u32 v27, vcc_lo, s0, v27
	v_add_nc_u32_e32 v39, s11, v35
	s_delay_alu instid0(VALU_DEP_4)
	v_lshlrev_b64_e32 v[37:38], 3, v[31:32]
	s_wait_alu 0xfffd
	v_add_co_ci_u32_e64 v28, null, s1, v28, vcc_lo
	v_add_co_u32 v29, vcc_lo, s0, v29
	v_ashrrev_i32_e32 v40, 31, v39
	v_add_nc_u32_e32 v41, s11, v39
	s_wait_alu 0xfffd
	v_add_co_ci_u32_e64 v30, null, s1, v30, vcc_lo
	v_add_co_u32 v31, vcc_lo, s0, v33
	s_wait_alu 0xfffd
	v_add_co_ci_u32_e64 v32, null, s1, v34, vcc_lo
	v_add_co_u32 v33, vcc_lo, s0, v37
	s_wait_alu 0xfffd
	v_add_co_ci_u32_e64 v34, null, s1, v38, vcc_lo
	v_lshlrev_b64_e32 v[37:38], 3, v[39:40]
	v_add_nc_u32_e32 v39, s11, v41
	v_ashrrev_i32_e32 v36, 31, v35
	v_ashrrev_i32_e32 v42, 31, v41
	s_delay_alu instid0(VALU_DEP_3) | instskip(NEXT) | instid1(VALU_DEP_3)
	v_add_nc_u32_e32 v43, s11, v39
	v_lshlrev_b64_e32 v[35:36], 3, v[35:36]
	v_ashrrev_i32_e32 v40, 31, v39
	s_delay_alu instid0(VALU_DEP_4) | instskip(NEXT) | instid1(VALU_DEP_4)
	v_lshlrev_b64_e32 v[41:42], 3, v[41:42]
	v_add_nc_u32_e32 v47, s11, v43
	v_ashrrev_i32_e32 v44, 31, v43
	v_add_co_u32 v35, vcc_lo, s0, v35
	v_lshlrev_b64_e32 v[45:46], 3, v[39:40]
	s_wait_alu 0xfffd
	v_add_co_ci_u32_e64 v36, null, s1, v36, vcc_lo
	v_add_co_u32 v37, vcc_lo, s0, v37
	v_ashrrev_i32_e32 v48, 31, v47
	v_add_nc_u32_e32 v49, s11, v47
	s_wait_alu 0xfffd
	v_add_co_ci_u32_e64 v38, null, s1, v38, vcc_lo
	v_add_co_u32 v39, vcc_lo, s0, v41
	s_wait_alu 0xfffd
	v_add_co_ci_u32_e64 v40, null, s1, v42, vcc_lo
	v_add_co_u32 v41, vcc_lo, s0, v45
	s_wait_alu 0xfffd
	v_add_co_ci_u32_e64 v42, null, s1, v46, vcc_lo
	v_lshlrev_b64_e32 v[45:46], 3, v[47:48]
	v_add_nc_u32_e32 v47, s11, v49
	v_ashrrev_i32_e32 v50, 31, v49
	v_lshlrev_b64_e32 v[43:44], 3, v[43:44]
	s_delay_alu instid0(VALU_DEP_3) | instskip(SKIP_1) | instid1(VALU_DEP_4)
	v_add_nc_u32_e32 v51, s11, v47
	v_ashrrev_i32_e32 v48, 31, v47
	v_lshlrev_b64_e32 v[49:50], 3, v[49:50]
	s_delay_alu instid0(VALU_DEP_4) | instskip(NEXT) | instid1(VALU_DEP_4)
	v_add_co_u32 v43, vcc_lo, s0, v43
	v_add_nc_u32_e32 v55, s11, v51
	s_delay_alu instid0(VALU_DEP_4)
	v_lshlrev_b64_e32 v[53:54], 3, v[47:48]
	s_wait_alu 0xfffd
	v_add_co_ci_u32_e64 v44, null, s1, v44, vcc_lo
	v_add_co_u32 v45, vcc_lo, s0, v45
	v_ashrrev_i32_e32 v56, 31, v55
	v_add_nc_u32_e32 v57, s11, v55
	s_wait_alu 0xfffd
	v_add_co_ci_u32_e64 v46, null, s1, v46, vcc_lo
	v_add_co_u32 v47, vcc_lo, s0, v49
	s_wait_alu 0xfffd
	v_add_co_ci_u32_e64 v48, null, s1, v50, vcc_lo
	v_add_co_u32 v49, vcc_lo, s0, v53
	s_wait_alu 0xfffd
	v_add_co_ci_u32_e64 v50, null, s1, v54, vcc_lo
	v_lshlrev_b64_e32 v[53:54], 3, v[55:56]
	v_add_nc_u32_e32 v55, s11, v57
	v_ashrrev_i32_e32 v52, 31, v51
	v_ashrrev_i32_e32 v58, 31, v57
	s_delay_alu instid0(VALU_DEP_3) | instskip(NEXT) | instid1(VALU_DEP_3)
	v_add_nc_u32_e32 v59, s11, v55
	v_lshlrev_b64_e32 v[51:52], 3, v[51:52]
	v_ashrrev_i32_e32 v56, 31, v55
	s_delay_alu instid0(VALU_DEP_4) | instskip(NEXT) | instid1(VALU_DEP_4)
	v_lshlrev_b64_e32 v[57:58], 3, v[57:58]
	v_add_nc_u32_e32 v67, s11, v59
	v_ashrrev_i32_e32 v60, 31, v59
	v_add_co_u32 v51, vcc_lo, s0, v51
	v_lshlrev_b64_e32 v[61:62], 3, v[55:56]
	s_wait_alu 0xfffd
	v_add_co_ci_u32_e64 v52, null, s1, v52, vcc_lo
	v_add_co_u32 v53, vcc_lo, s0, v53
	v_ashrrev_i32_e32 v68, 31, v67
	s_wait_alu 0xfffd
	v_add_co_ci_u32_e64 v54, null, s1, v54, vcc_lo
	v_add_co_u32 v55, vcc_lo, s0, v57
	s_wait_alu 0xfffd
	v_add_co_ci_u32_e64 v56, null, s1, v58, vcc_lo
	v_lshlrev_b64_e32 v[59:60], 3, v[59:60]
	v_add_co_u32 v57, vcc_lo, s0, v61
	s_wait_alu 0xfffd
	v_add_co_ci_u32_e64 v58, null, s1, v62, vcc_lo
	v_lshlrev_b64_e32 v[61:62], 3, v[67:68]
	s_delay_alu instid0(VALU_DEP_4) | instskip(SKIP_2) | instid1(VALU_DEP_3)
	v_add_co_u32 v59, vcc_lo, s0, v59
	s_wait_alu 0xfffd
	v_add_co_ci_u32_e64 v60, null, s1, v60, vcc_lo
	v_add_co_u32 v61, vcc_lo, s0, v61
	s_wait_alu 0xfffd
	v_add_co_ci_u32_e64 v62, null, s1, v62, vcc_lo
	s_clause 0x15
	global_load_b64 v[84:85], v[19:20], off
	global_load_b64 v[86:87], v[21:22], off
	;; [unrolled: 1-line block ×22, first 2 shown]
	s_mov_b32 s1, -1
	s_wait_loadcnt 0x1d
	scratch_store_b128 off, v[63:66], off
	s_wait_loadcnt 0x1b
	scratch_store_b128 off, v[70:73], off offset:16
	s_wait_loadcnt 0x19
	scratch_store_b128 off, v[74:77], off offset:32
	;; [unrolled: 2-line block ×14, first 2 shown]
	s_wait_loadcnt 0x0
	scratch_store_b64 off, v[67:68], off offset:240
	s_cbranch_scc1 .LBB30_136
; %bb.4:
	v_cmp_eq_u32_e64 s0, 0, v0
	s_and_saveexec_b32 s1, s0
; %bb.5:
	v_mov_b32_e32 v63, 0
	ds_store_b32 v63, v63 offset:248
; %bb.6:
	s_wait_alu 0xfffe
	s_or_b32 exec_lo, exec_lo, s1
	s_wait_storecnt_dscnt 0x0
	s_barrier_signal -1
	s_barrier_wait -1
	global_inv scope:SCOPE_SE
	scratch_load_b64 v[63:64], v69, off
	s_wait_loadcnt 0x0
	v_cmp_eq_f32_e32 vcc_lo, 0, v63
	v_cmp_eq_f32_e64 s1, 0, v64
	s_and_b32 s1, vcc_lo, s1
	s_wait_alu 0xfffe
	s_and_saveexec_b32 s4, s1
	s_cbranch_execz .LBB30_10
; %bb.7:
	v_mov_b32_e32 v63, 0
	s_mov_b32 s5, 0
	ds_load_b32 v64, v63 offset:248
	s_wait_dscnt 0x0
	v_readfirstlane_b32 s1, v64
	v_add_nc_u32_e32 v64, 1, v0
	s_cmp_eq_u32 s1, 0
	s_delay_alu instid0(VALU_DEP_1)
	v_cmp_gt_i32_e32 vcc_lo, s1, v64
	s_cselect_b32 s8, -1, 0
	s_wait_alu 0xfffe
	s_or_b32 s8, s8, vcc_lo
	s_wait_alu 0xfffe
	s_and_b32 exec_lo, exec_lo, s8
	s_cbranch_execz .LBB30_10
; %bb.8:
	v_mov_b32_e32 v65, s1
.LBB30_9:                               ; =>This Inner Loop Header: Depth=1
	ds_cmpstore_rtn_b32 v65, v63, v64, v65 offset:248
	s_wait_dscnt 0x0
	v_cmp_ne_u32_e32 vcc_lo, 0, v65
	v_cmp_le_i32_e64 s1, v65, v64
	s_and_b32 s1, vcc_lo, s1
	s_wait_alu 0xfffe
	s_and_b32 s1, exec_lo, s1
	s_wait_alu 0xfffe
	s_or_b32 s5, s1, s5
	s_wait_alu 0xfffe
	s_and_not1_b32 exec_lo, exec_lo, s5
	s_cbranch_execnz .LBB30_9
.LBB30_10:
	s_wait_alu 0xfffe
	s_or_b32 exec_lo, exec_lo, s4
	v_mov_b32_e32 v63, 0
	s_barrier_signal -1
	s_barrier_wait -1
	global_inv scope:SCOPE_SE
	ds_load_b32 v64, v63 offset:248
	s_and_saveexec_b32 s1, s0
	s_cbranch_execz .LBB30_12
; %bb.11:
	s_lshl_b64 s[4:5], s[16:17], 2
	s_wait_alu 0xfffe
	s_add_nc_u64 s[4:5], s[6:7], s[4:5]
	s_wait_dscnt 0x0
	global_store_b32 v63, v64, s[4:5]
.LBB30_12:
	s_wait_alu 0xfffe
	s_or_b32 exec_lo, exec_lo, s1
	s_wait_dscnt 0x0
	v_cmp_ne_u32_e32 vcc_lo, 0, v64
	s_mov_b32 s1, 0
	s_cbranch_vccnz .LBB30_136
; %bb.13:
	v_mov_b32_e32 v70, v69
                                        ; implicit-def: $vgpr65
                                        ; implicit-def: $vgpr67
	scratch_load_b64 v[63:64], v70, off
	s_wait_loadcnt 0x0
	v_cmp_ngt_f32_e64 s1, |v63|, |v64|
	s_wait_alu 0xfffe
	s_and_saveexec_b32 s4, s1
	s_wait_alu 0xfffe
	s_xor_b32 s1, exec_lo, s4
	s_cbranch_execz .LBB30_15
; %bb.14:
	v_div_scale_f32 v65, null, v64, v64, v63
	v_div_scale_f32 v68, vcc_lo, v63, v64, v63
	s_delay_alu instid0(VALU_DEP_2) | instskip(NEXT) | instid1(TRANS32_DEP_1)
	v_rcp_f32_e32 v66, v65
	v_fma_f32 v67, -v65, v66, 1.0
	s_delay_alu instid0(VALU_DEP_1) | instskip(NEXT) | instid1(VALU_DEP_1)
	v_fmac_f32_e32 v66, v67, v66
	v_mul_f32_e32 v67, v68, v66
	s_delay_alu instid0(VALU_DEP_1) | instskip(NEXT) | instid1(VALU_DEP_1)
	v_fma_f32 v71, -v65, v67, v68
	v_fmac_f32_e32 v67, v71, v66
	s_delay_alu instid0(VALU_DEP_1) | instskip(SKIP_1) | instid1(VALU_DEP_1)
	v_fma_f32 v65, -v65, v67, v68
	s_wait_alu 0xfffd
	v_div_fmas_f32 v65, v65, v66, v67
	s_delay_alu instid0(VALU_DEP_1) | instskip(NEXT) | instid1(VALU_DEP_1)
	v_div_fixup_f32 v65, v65, v64, v63
	v_fmac_f32_e32 v64, v63, v65
	s_delay_alu instid0(VALU_DEP_1) | instskip(NEXT) | instid1(VALU_DEP_1)
	v_div_scale_f32 v63, null, v64, v64, 1.0
	v_rcp_f32_e32 v66, v63
	s_delay_alu instid0(TRANS32_DEP_1) | instskip(NEXT) | instid1(VALU_DEP_1)
	v_fma_f32 v67, -v63, v66, 1.0
	v_fmac_f32_e32 v66, v67, v66
	v_div_scale_f32 v67, vcc_lo, 1.0, v64, 1.0
	s_delay_alu instid0(VALU_DEP_1) | instskip(NEXT) | instid1(VALU_DEP_1)
	v_mul_f32_e32 v68, v67, v66
	v_fma_f32 v71, -v63, v68, v67
	s_delay_alu instid0(VALU_DEP_1) | instskip(NEXT) | instid1(VALU_DEP_1)
	v_fmac_f32_e32 v68, v71, v66
	v_fma_f32 v63, -v63, v68, v67
	s_wait_alu 0xfffd
	s_delay_alu instid0(VALU_DEP_1) | instskip(NEXT) | instid1(VALU_DEP_1)
	v_div_fmas_f32 v63, v63, v66, v68
	v_div_fixup_f32 v63, v63, v64, 1.0
	s_delay_alu instid0(VALU_DEP_1) | instskip(SKIP_1) | instid1(VALU_DEP_2)
	v_mul_f32_e32 v65, v65, v63
	v_xor_b32_e32 v66, 0x80000000, v63
                                        ; implicit-def: $vgpr63_vgpr64
	v_xor_b32_e32 v67, 0x80000000, v65
.LBB30_15:
	s_wait_alu 0xfffe
	s_and_not1_saveexec_b32 s1, s1
	s_cbranch_execz .LBB30_17
; %bb.16:
	v_div_scale_f32 v65, null, v63, v63, v64
	v_div_scale_f32 v68, vcc_lo, v64, v63, v64
	s_delay_alu instid0(VALU_DEP_2) | instskip(NEXT) | instid1(TRANS32_DEP_1)
	v_rcp_f32_e32 v66, v65
	v_fma_f32 v67, -v65, v66, 1.0
	s_delay_alu instid0(VALU_DEP_1) | instskip(NEXT) | instid1(VALU_DEP_1)
	v_fmac_f32_e32 v66, v67, v66
	v_mul_f32_e32 v67, v68, v66
	s_delay_alu instid0(VALU_DEP_1) | instskip(NEXT) | instid1(VALU_DEP_1)
	v_fma_f32 v71, -v65, v67, v68
	v_fmac_f32_e32 v67, v71, v66
	s_delay_alu instid0(VALU_DEP_1) | instskip(SKIP_1) | instid1(VALU_DEP_1)
	v_fma_f32 v65, -v65, v67, v68
	s_wait_alu 0xfffd
	v_div_fmas_f32 v65, v65, v66, v67
	s_delay_alu instid0(VALU_DEP_1) | instskip(NEXT) | instid1(VALU_DEP_1)
	v_div_fixup_f32 v66, v65, v63, v64
	v_fmac_f32_e32 v63, v64, v66
	s_delay_alu instid0(VALU_DEP_1) | instskip(SKIP_1) | instid1(VALU_DEP_2)
	v_div_scale_f32 v64, null, v63, v63, 1.0
	v_div_scale_f32 v68, vcc_lo, 1.0, v63, 1.0
	v_rcp_f32_e32 v65, v64
	s_delay_alu instid0(TRANS32_DEP_1) | instskip(NEXT) | instid1(VALU_DEP_1)
	v_fma_f32 v67, -v64, v65, 1.0
	v_fmac_f32_e32 v65, v67, v65
	s_delay_alu instid0(VALU_DEP_1) | instskip(NEXT) | instid1(VALU_DEP_1)
	v_mul_f32_e32 v67, v68, v65
	v_fma_f32 v71, -v64, v67, v68
	s_delay_alu instid0(VALU_DEP_1) | instskip(NEXT) | instid1(VALU_DEP_1)
	v_fmac_f32_e32 v67, v71, v65
	v_fma_f32 v64, -v64, v67, v68
	s_wait_alu 0xfffd
	s_delay_alu instid0(VALU_DEP_1) | instskip(NEXT) | instid1(VALU_DEP_1)
	v_div_fmas_f32 v64, v64, v65, v67
	v_div_fixup_f32 v65, v64, v63, 1.0
	s_delay_alu instid0(VALU_DEP_1)
	v_xor_b32_e32 v67, 0x80000000, v65
	v_mul_f32_e64 v66, v66, -v65
.LBB30_17:
	s_wait_alu 0xfffe
	s_or_b32 exec_lo, exec_lo, s1
	scratch_store_b64 v70, v[65:66], off
	scratch_load_b64 v[64:65], off, off offset:8
	v_xor_b32_e32 v68, 0x80000000, v66
	v_add_nc_u32_e32 v63, 0x100, v69
	s_wait_loadcnt 0x0
	ds_store_2addr_b64 v69, v[67:68], v[64:65] offset1:32
	s_wait_storecnt_dscnt 0x0
	s_barrier_signal -1
	s_barrier_wait -1
	global_inv scope:SCOPE_SE
	s_and_saveexec_b32 s1, s0
	s_cbranch_execz .LBB30_19
; %bb.18:
	scratch_load_b64 v[64:65], v70, off
	ds_load_b64 v[66:67], v63
	v_mov_b32_e32 v68, 0
	ds_load_b64 v[71:72], v68 offset:8
	s_wait_loadcnt_dscnt 0x1
	v_mul_f32_e32 v68, v66, v65
	v_mul_f32_e32 v65, v67, v65
	s_delay_alu instid0(VALU_DEP_2) | instskip(NEXT) | instid1(VALU_DEP_2)
	v_fmac_f32_e32 v68, v67, v64
	v_fma_f32 v64, v66, v64, -v65
	s_delay_alu instid0(VALU_DEP_2) | instskip(NEXT) | instid1(VALU_DEP_2)
	v_add_f32_e32 v66, 0, v68
	v_add_f32_e32 v64, 0, v64
	s_wait_dscnt 0x0
	s_delay_alu instid0(VALU_DEP_2) | instskip(NEXT) | instid1(VALU_DEP_2)
	v_mul_f32_e32 v67, v66, v72
	v_mul_f32_e32 v65, v64, v72
	s_delay_alu instid0(VALU_DEP_2) | instskip(NEXT) | instid1(VALU_DEP_2)
	v_fma_f32 v64, v64, v71, -v67
	v_fmac_f32_e32 v65, v66, v71
	scratch_store_b64 off, v[64:65], off offset:8
.LBB30_19:
	s_wait_alu 0xfffe
	s_or_b32 exec_lo, exec_lo, s1
	s_wait_loadcnt 0x0
	s_wait_storecnt 0x0
	s_barrier_signal -1
	s_barrier_wait -1
	global_inv scope:SCOPE_SE
	scratch_load_b64 v[64:65], off, off offset:16
	s_mov_b32 s1, exec_lo
	s_wait_loadcnt 0x0
	ds_store_b64 v63, v[64:65]
	s_wait_dscnt 0x0
	s_barrier_signal -1
	s_barrier_wait -1
	global_inv scope:SCOPE_SE
	v_cmpx_gt_u32_e32 2, v0
	s_cbranch_execz .LBB30_23
; %bb.20:
	scratch_load_b64 v[64:65], v70, off
	ds_load_b64 v[66:67], v63
	s_wait_loadcnt_dscnt 0x0
	v_mul_f32_e32 v68, v67, v65
	v_mul_f32_e32 v71, v66, v65
	s_delay_alu instid0(VALU_DEP_2) | instskip(NEXT) | instid1(VALU_DEP_2)
	v_fma_f32 v65, v66, v64, -v68
	v_fmac_f32_e32 v71, v67, v64
	s_delay_alu instid0(VALU_DEP_1)
	v_dual_add_f32 v65, 0, v65 :: v_dual_add_f32 v64, 0, v71
	s_and_saveexec_b32 s4, s0
	s_cbranch_execz .LBB30_22
; %bb.21:
	scratch_load_b64 v[66:67], off, off offset:8
	v_mov_b32_e32 v68, 0
	ds_load_b64 v[71:72], v68 offset:264
	s_wait_loadcnt_dscnt 0x0
	v_mul_f32_e32 v68, v71, v67
	v_mul_f32_e32 v67, v72, v67
	s_delay_alu instid0(VALU_DEP_2) | instskip(NEXT) | instid1(VALU_DEP_2)
	v_fmac_f32_e32 v68, v72, v66
	v_fma_f32 v66, v71, v66, -v67
	s_delay_alu instid0(VALU_DEP_1)
	v_dual_add_f32 v64, v64, v68 :: v_dual_add_f32 v65, v65, v66
.LBB30_22:
	s_wait_alu 0xfffe
	s_or_b32 exec_lo, exec_lo, s4
	v_mov_b32_e32 v66, 0
	ds_load_b64 v[66:67], v66 offset:16
	s_wait_dscnt 0x0
	v_mul_f32_e32 v71, v64, v67
	v_mul_f32_e32 v68, v65, v67
	s_delay_alu instid0(VALU_DEP_2) | instskip(NEXT) | instid1(VALU_DEP_2)
	v_fma_f32 v67, v65, v66, -v71
	v_fmac_f32_e32 v68, v64, v66
	scratch_store_b64 off, v[67:68], off offset:16
.LBB30_23:
	s_wait_alu 0xfffe
	s_or_b32 exec_lo, exec_lo, s1
	s_wait_loadcnt 0x0
	s_wait_storecnt 0x0
	s_barrier_signal -1
	s_barrier_wait -1
	global_inv scope:SCOPE_SE
	scratch_load_b64 v[65:66], off, off offset:24
	v_add_nc_u32_e32 v64, -1, v0
	s_mov_b32 s0, exec_lo
	s_wait_loadcnt 0x0
	ds_store_b64 v63, v[65:66]
	s_wait_dscnt 0x0
	s_barrier_signal -1
	s_barrier_wait -1
	global_inv scope:SCOPE_SE
	v_cmpx_gt_u32_e32 3, v0
	s_cbranch_execz .LBB30_27
; %bb.24:
	v_dual_mov_b32 v65, 0 :: v_dual_add_nc_u32 v66, -1, v0
	v_dual_mov_b32 v68, v69 :: v_dual_add_nc_u32 v67, 0x100, v69
	v_mov_b32_e32 v71, 0
	s_mov_b32 s1, 0
.LBB30_25:                              ; =>This Inner Loop Header: Depth=1
	scratch_load_b64 v[72:73], v68, off
	ds_load_b64 v[74:75], v67
	v_add_nc_u32_e32 v66, 1, v66
	v_add_nc_u32_e32 v67, 8, v67
	s_delay_alu instid0(VALU_DEP_2)
	v_cmp_lt_u32_e32 vcc_lo, 1, v66
	s_wait_alu 0xfffe
	s_or_b32 s1, vcc_lo, s1
	s_wait_loadcnt_dscnt 0x0
	v_mul_f32_e32 v76, v75, v73
	v_mul_f32_e32 v73, v74, v73
	s_delay_alu instid0(VALU_DEP_2) | instskip(NEXT) | instid1(VALU_DEP_2)
	v_fma_f32 v74, v74, v72, -v76
	v_fmac_f32_e32 v73, v75, v72
	s_delay_alu instid0(VALU_DEP_2) | instskip(NEXT) | instid1(VALU_DEP_2)
	v_dual_add_f32 v71, v71, v74 :: v_dual_add_nc_u32 v68, 8, v68
	v_add_f32_e32 v65, v65, v73
	s_wait_alu 0xfffe
	s_and_not1_b32 exec_lo, exec_lo, s1
	s_cbranch_execnz .LBB30_25
; %bb.26:
	s_or_b32 exec_lo, exec_lo, s1
	v_mov_b32_e32 v66, 0
	ds_load_b64 v[66:67], v66 offset:24
	s_wait_dscnt 0x0
	v_mul_f32_e32 v72, v65, v67
	v_mul_f32_e32 v68, v71, v67
	s_delay_alu instid0(VALU_DEP_2) | instskip(NEXT) | instid1(VALU_DEP_2)
	v_fma_f32 v67, v71, v66, -v72
	v_fmac_f32_e32 v68, v65, v66
	scratch_store_b64 off, v[67:68], off offset:24
.LBB30_27:
	s_wait_alu 0xfffe
	s_or_b32 exec_lo, exec_lo, s0
	s_wait_loadcnt 0x0
	s_wait_storecnt 0x0
	s_barrier_signal -1
	s_barrier_wait -1
	global_inv scope:SCOPE_SE
	scratch_load_b64 v[65:66], off, off offset:32
	s_mov_b32 s0, exec_lo
	s_wait_loadcnt 0x0
	ds_store_b64 v63, v[65:66]
	s_wait_dscnt 0x0
	s_barrier_signal -1
	s_barrier_wait -1
	global_inv scope:SCOPE_SE
	v_cmpx_gt_u32_e32 4, v0
	s_cbranch_execz .LBB30_31
; %bb.28:
	v_dual_mov_b32 v65, 0 :: v_dual_add_nc_u32 v66, -1, v0
	v_dual_mov_b32 v68, v69 :: v_dual_add_nc_u32 v67, 0x100, v69
	v_mov_b32_e32 v71, 0
	s_mov_b32 s1, 0
.LBB30_29:                              ; =>This Inner Loop Header: Depth=1
	scratch_load_b64 v[72:73], v68, off
	ds_load_b64 v[74:75], v67
	v_add_nc_u32_e32 v66, 1, v66
	v_add_nc_u32_e32 v67, 8, v67
	s_delay_alu instid0(VALU_DEP_2)
	v_cmp_lt_u32_e32 vcc_lo, 2, v66
	s_wait_alu 0xfffe
	s_or_b32 s1, vcc_lo, s1
	s_wait_loadcnt_dscnt 0x0
	v_mul_f32_e32 v76, v75, v73
	v_mul_f32_e32 v73, v74, v73
	s_delay_alu instid0(VALU_DEP_2) | instskip(NEXT) | instid1(VALU_DEP_2)
	v_fma_f32 v74, v74, v72, -v76
	v_fmac_f32_e32 v73, v75, v72
	s_delay_alu instid0(VALU_DEP_2) | instskip(NEXT) | instid1(VALU_DEP_2)
	v_dual_add_f32 v71, v71, v74 :: v_dual_add_nc_u32 v68, 8, v68
	v_add_f32_e32 v65, v65, v73
	s_wait_alu 0xfffe
	s_and_not1_b32 exec_lo, exec_lo, s1
	s_cbranch_execnz .LBB30_29
; %bb.30:
	s_or_b32 exec_lo, exec_lo, s1
	v_mov_b32_e32 v66, 0
	ds_load_b64 v[66:67], v66 offset:32
	s_wait_dscnt 0x0
	v_mul_f32_e32 v72, v65, v67
	v_mul_f32_e32 v68, v71, v67
	s_delay_alu instid0(VALU_DEP_2) | instskip(NEXT) | instid1(VALU_DEP_2)
	v_fma_f32 v67, v71, v66, -v72
	v_fmac_f32_e32 v68, v65, v66
	scratch_store_b64 off, v[67:68], off offset:32
.LBB30_31:
	s_wait_alu 0xfffe
	s_or_b32 exec_lo, exec_lo, s0
	s_wait_loadcnt 0x0
	s_wait_storecnt 0x0
	s_barrier_signal -1
	s_barrier_wait -1
	global_inv scope:SCOPE_SE
	scratch_load_b64 v[65:66], off, off offset:40
	;; [unrolled: 55-line block ×19, first 2 shown]
	s_mov_b32 s0, exec_lo
	s_wait_loadcnt 0x0
	ds_store_b64 v63, v[65:66]
	s_wait_dscnt 0x0
	s_barrier_signal -1
	s_barrier_wait -1
	global_inv scope:SCOPE_SE
	v_cmpx_gt_u32_e32 22, v0
	s_cbranch_execz .LBB30_103
; %bb.100:
	v_dual_mov_b32 v65, 0 :: v_dual_add_nc_u32 v66, -1, v0
	v_dual_mov_b32 v68, v69 :: v_dual_add_nc_u32 v67, 0x100, v69
	v_mov_b32_e32 v71, 0
	s_mov_b32 s1, 0
.LBB30_101:                             ; =>This Inner Loop Header: Depth=1
	scratch_load_b64 v[72:73], v68, off
	ds_load_b64 v[74:75], v67
	v_add_nc_u32_e32 v66, 1, v66
	v_add_nc_u32_e32 v67, 8, v67
	s_delay_alu instid0(VALU_DEP_2)
	v_cmp_lt_u32_e32 vcc_lo, 20, v66
	s_wait_alu 0xfffe
	s_or_b32 s1, vcc_lo, s1
	s_wait_loadcnt_dscnt 0x0
	v_mul_f32_e32 v76, v75, v73
	v_mul_f32_e32 v73, v74, v73
	s_delay_alu instid0(VALU_DEP_2) | instskip(NEXT) | instid1(VALU_DEP_2)
	v_fma_f32 v74, v74, v72, -v76
	v_fmac_f32_e32 v73, v75, v72
	s_delay_alu instid0(VALU_DEP_2) | instskip(NEXT) | instid1(VALU_DEP_2)
	v_dual_add_f32 v71, v71, v74 :: v_dual_add_nc_u32 v68, 8, v68
	v_add_f32_e32 v65, v65, v73
	s_wait_alu 0xfffe
	s_and_not1_b32 exec_lo, exec_lo, s1
	s_cbranch_execnz .LBB30_101
; %bb.102:
	s_or_b32 exec_lo, exec_lo, s1
	v_mov_b32_e32 v66, 0
	ds_load_b64 v[66:67], v66 offset:176
	s_wait_dscnt 0x0
	v_mul_f32_e32 v72, v65, v67
	v_mul_f32_e32 v68, v71, v67
	s_delay_alu instid0(VALU_DEP_2) | instskip(NEXT) | instid1(VALU_DEP_2)
	v_fma_f32 v67, v71, v66, -v72
	v_fmac_f32_e32 v68, v65, v66
	scratch_store_b64 off, v[67:68], off offset:176
.LBB30_103:
	s_wait_alu 0xfffe
	s_or_b32 exec_lo, exec_lo, s0
	s_wait_loadcnt 0x0
	s_wait_storecnt 0x0
	s_barrier_signal -1
	s_barrier_wait -1
	global_inv scope:SCOPE_SE
	scratch_load_b64 v[65:66], off, off offset:184
	s_mov_b32 s0, exec_lo
	s_wait_loadcnt 0x0
	ds_store_b64 v63, v[65:66]
	s_wait_dscnt 0x0
	s_barrier_signal -1
	s_barrier_wait -1
	global_inv scope:SCOPE_SE
	v_cmpx_gt_u32_e32 23, v0
	s_cbranch_execz .LBB30_107
; %bb.104:
	v_dual_mov_b32 v65, 0 :: v_dual_add_nc_u32 v66, -1, v0
	v_dual_mov_b32 v68, v69 :: v_dual_add_nc_u32 v67, 0x100, v69
	v_mov_b32_e32 v71, 0
	s_mov_b32 s1, 0
.LBB30_105:                             ; =>This Inner Loop Header: Depth=1
	scratch_load_b64 v[72:73], v68, off
	ds_load_b64 v[74:75], v67
	v_add_nc_u32_e32 v66, 1, v66
	v_add_nc_u32_e32 v67, 8, v67
	s_delay_alu instid0(VALU_DEP_2)
	v_cmp_lt_u32_e32 vcc_lo, 21, v66
	s_wait_alu 0xfffe
	s_or_b32 s1, vcc_lo, s1
	s_wait_loadcnt_dscnt 0x0
	v_mul_f32_e32 v76, v75, v73
	v_mul_f32_e32 v73, v74, v73
	s_delay_alu instid0(VALU_DEP_2) | instskip(NEXT) | instid1(VALU_DEP_2)
	v_fma_f32 v74, v74, v72, -v76
	v_fmac_f32_e32 v73, v75, v72
	s_delay_alu instid0(VALU_DEP_2) | instskip(NEXT) | instid1(VALU_DEP_2)
	v_dual_add_f32 v71, v71, v74 :: v_dual_add_nc_u32 v68, 8, v68
	v_add_f32_e32 v65, v65, v73
	s_wait_alu 0xfffe
	s_and_not1_b32 exec_lo, exec_lo, s1
	s_cbranch_execnz .LBB30_105
; %bb.106:
	s_or_b32 exec_lo, exec_lo, s1
	v_mov_b32_e32 v66, 0
	ds_load_b64 v[66:67], v66 offset:184
	s_wait_dscnt 0x0
	v_mul_f32_e32 v72, v65, v67
	v_mul_f32_e32 v68, v71, v67
	s_delay_alu instid0(VALU_DEP_2) | instskip(NEXT) | instid1(VALU_DEP_2)
	v_fma_f32 v67, v71, v66, -v72
	v_fmac_f32_e32 v68, v65, v66
	scratch_store_b64 off, v[67:68], off offset:184
.LBB30_107:
	s_wait_alu 0xfffe
	s_or_b32 exec_lo, exec_lo, s0
	s_wait_loadcnt 0x0
	s_wait_storecnt 0x0
	s_barrier_signal -1
	s_barrier_wait -1
	global_inv scope:SCOPE_SE
	scratch_load_b64 v[65:66], off, off offset:192
	;; [unrolled: 55-line block ×7, first 2 shown]
	s_mov_b32 s0, exec_lo
	s_wait_loadcnt 0x0
	ds_store_b64 v63, v[65:66]
	s_wait_dscnt 0x0
	s_barrier_signal -1
	s_barrier_wait -1
	global_inv scope:SCOPE_SE
	v_cmpx_gt_u32_e32 29, v0
	s_cbranch_execz .LBB30_131
; %bb.128:
	v_dual_mov_b32 v65, 0 :: v_dual_add_nc_u32 v66, -1, v0
	v_dual_mov_b32 v68, v69 :: v_dual_add_nc_u32 v67, 0x100, v69
	v_mov_b32_e32 v69, 0
	s_mov_b32 s1, 0
.LBB30_129:                             ; =>This Inner Loop Header: Depth=1
	scratch_load_b64 v[71:72], v68, off
	ds_load_b64 v[73:74], v67
	v_add_nc_u32_e32 v68, 8, v68
	v_add_nc_u32_e32 v66, 1, v66
	;; [unrolled: 1-line block ×3, first 2 shown]
	s_delay_alu instid0(VALU_DEP_2)
	v_cmp_lt_u32_e32 vcc_lo, 27, v66
	s_wait_alu 0xfffe
	s_or_b32 s1, vcc_lo, s1
	s_wait_loadcnt_dscnt 0x0
	v_mul_f32_e32 v75, v74, v72
	v_mul_f32_e32 v72, v73, v72
	s_delay_alu instid0(VALU_DEP_2) | instskip(NEXT) | instid1(VALU_DEP_1)
	v_fma_f32 v73, v73, v71, -v75
	v_dual_fmac_f32 v72, v74, v71 :: v_dual_add_f32 v69, v69, v73
	s_delay_alu instid0(VALU_DEP_1)
	v_add_f32_e32 v65, v65, v72
	s_wait_alu 0xfffe
	s_and_not1_b32 exec_lo, exec_lo, s1
	s_cbranch_execnz .LBB30_129
; %bb.130:
	s_or_b32 exec_lo, exec_lo, s1
	v_mov_b32_e32 v66, 0
	ds_load_b64 v[66:67], v66 offset:232
	s_wait_dscnt 0x0
	v_mul_f32_e32 v71, v65, v67
	v_mul_f32_e32 v68, v69, v67
	s_delay_alu instid0(VALU_DEP_2) | instskip(NEXT) | instid1(VALU_DEP_2)
	v_fma_f32 v67, v69, v66, -v71
	v_fmac_f32_e32 v68, v65, v66
	scratch_store_b64 off, v[67:68], off offset:232
.LBB30_131:
	s_wait_alu 0xfffe
	s_or_b32 exec_lo, exec_lo, s0
	s_wait_loadcnt 0x0
	s_wait_storecnt 0x0
	s_barrier_signal -1
	s_barrier_wait -1
	global_inv scope:SCOPE_SE
	scratch_load_b64 v[65:66], off, off offset:240
	s_mov_b32 s0, exec_lo
	s_wait_loadcnt 0x0
	ds_store_b64 v63, v[65:66]
	s_wait_dscnt 0x0
	s_barrier_signal -1
	s_barrier_wait -1
	global_inv scope:SCOPE_SE
	v_cmpx_ne_u32_e32 30, v0
	s_cbranch_execz .LBB30_135
; %bb.132:
	v_dual_mov_b32 v65, 0 :: v_dual_mov_b32 v66, 0
	s_mov_b32 s1, 0
.LBB30_133:                             ; =>This Inner Loop Header: Depth=1
	scratch_load_b64 v[67:68], v70, off
	ds_load_b64 v[71:72], v63
	v_add_nc_u32_e32 v64, 1, v64
	v_add_nc_u32_e32 v63, 8, v63
	;; [unrolled: 1-line block ×3, first 2 shown]
	s_delay_alu instid0(VALU_DEP_3)
	v_cmp_lt_u32_e32 vcc_lo, 28, v64
	s_wait_alu 0xfffe
	s_or_b32 s1, vcc_lo, s1
	s_wait_loadcnt_dscnt 0x0
	v_mul_f32_e32 v69, v72, v68
	v_mul_f32_e32 v68, v71, v68
	s_delay_alu instid0(VALU_DEP_2) | instskip(NEXT) | instid1(VALU_DEP_2)
	v_fma_f32 v69, v71, v67, -v69
	v_fmac_f32_e32 v68, v72, v67
	s_delay_alu instid0(VALU_DEP_1)
	v_dual_add_f32 v66, v66, v69 :: v_dual_add_f32 v65, v65, v68
	s_wait_alu 0xfffe
	s_and_not1_b32 exec_lo, exec_lo, s1
	s_cbranch_execnz .LBB30_133
; %bb.134:
	s_or_b32 exec_lo, exec_lo, s1
	v_mov_b32_e32 v63, 0
	ds_load_b64 v[63:64], v63 offset:240
	s_wait_dscnt 0x0
	v_mul_f32_e32 v68, v65, v64
	v_mul_f32_e32 v67, v66, v64
	s_delay_alu instid0(VALU_DEP_2) | instskip(NEXT) | instid1(VALU_DEP_2)
	v_fma_f32 v66, v66, v63, -v68
	v_fmac_f32_e32 v67, v65, v63
	scratch_store_b64 off, v[66:67], off offset:240
.LBB30_135:
	s_wait_alu 0xfffe
	s_or_b32 exec_lo, exec_lo, s0
	s_mov_b32 s1, -1
	s_wait_loadcnt 0x0
	s_wait_storecnt 0x0
	s_barrier_signal -1
	s_barrier_wait -1
	global_inv scope:SCOPE_SE
.LBB30_136:
	s_wait_alu 0xfffe
	s_and_b32 vcc_lo, exec_lo, s1
	s_wait_alu 0xfffe
	s_cbranch_vccz .LBB30_138
; %bb.137:
	v_mov_b32_e32 v63, 0
	s_lshl_b64 s[0:1], s[16:17], 2
	s_wait_alu 0xfffe
	s_add_nc_u64 s[0:1], s[6:7], s[0:1]
	global_load_b32 v63, v63, s[0:1]
	s_wait_loadcnt 0x0
	v_cmp_ne_u32_e32 vcc_lo, 0, v63
	s_cbranch_vccz .LBB30_139
.LBB30_138:
	s_nop 0
	s_sendmsg sendmsg(MSG_DEALLOC_VGPRS)
	s_endpgm
.LBB30_139:
	v_lshl_add_u32 v65, v0, 3, 0x100
	s_mov_b32 s0, exec_lo
	v_cmpx_eq_u32_e32 30, v0
	s_cbranch_execz .LBB30_141
; %bb.140:
	scratch_load_b64 v[63:64], off, off offset:232
	v_mov_b32_e32 v66, 0
	s_delay_alu instid0(VALU_DEP_1)
	v_mov_b32_e32 v67, v66
	scratch_store_b64 off, v[66:67], off offset:232
	s_wait_loadcnt 0x0
	ds_store_b64 v65, v[63:64]
.LBB30_141:
	s_wait_alu 0xfffe
	s_or_b32 exec_lo, exec_lo, s0
	s_wait_storecnt_dscnt 0x0
	s_barrier_signal -1
	s_barrier_wait -1
	global_inv scope:SCOPE_SE
	s_clause 0x1
	scratch_load_b64 v[66:67], off, off offset:240
	scratch_load_b64 v[68:69], off, off offset:232
	v_mov_b32_e32 v63, 0
	s_mov_b32 s0, exec_lo
	ds_load_b64 v[70:71], v63 offset:496
	s_wait_loadcnt_dscnt 0x100
	v_mul_f32_e32 v64, v71, v67
	s_delay_alu instid0(VALU_DEP_1) | instskip(NEXT) | instid1(VALU_DEP_1)
	v_fma_f32 v64, v70, v66, -v64
	v_dual_mul_f32 v67, v70, v67 :: v_dual_add_f32 v64, 0, v64
	s_wait_loadcnt 0x0
	s_delay_alu instid0(VALU_DEP_1) | instskip(NEXT) | instid1(VALU_DEP_1)
	v_dual_fmac_f32 v67, v71, v66 :: v_dual_sub_f32 v66, v68, v64
	v_add_f32_e32 v67, 0, v67
	s_delay_alu instid0(VALU_DEP_1)
	v_sub_f32_e32 v67, v69, v67
	scratch_store_b64 off, v[66:67], off offset:232
	v_cmpx_lt_u32_e32 28, v0
	s_cbranch_execz .LBB30_143
; %bb.142:
	scratch_load_b64 v[66:67], off, off offset:224
	v_mov_b32_e32 v64, v63
	scratch_store_b64 off, v[63:64], off offset:224
	s_wait_loadcnt 0x0
	ds_store_b64 v65, v[66:67]
.LBB30_143:
	s_wait_alu 0xfffe
	s_or_b32 exec_lo, exec_lo, s0
	s_wait_storecnt_dscnt 0x0
	s_barrier_signal -1
	s_barrier_wait -1
	global_inv scope:SCOPE_SE
	s_clause 0x1
	scratch_load_b128 v[66:69], off, off offset:232
	scratch_load_b64 v[74:75], off, off offset:224
	ds_load_2addr_b64 v[70:73], v63 offset0:61 offset1:62
	s_mov_b32 s0, exec_lo
	s_wait_loadcnt_dscnt 0x100
	v_mul_f32_e32 v64, v70, v67
	s_delay_alu instid0(VALU_DEP_1) | instskip(SKIP_2) | instid1(VALU_DEP_1)
	v_fmac_f32_e32 v64, v71, v66
	v_mul_f32_e32 v63, v71, v67
	v_mul_f32_e32 v67, v72, v69
	v_fmac_f32_e32 v67, v73, v68
	s_delay_alu instid0(VALU_DEP_4) | instskip(NEXT) | instid1(VALU_DEP_4)
	v_dual_add_f32 v64, 0, v64 :: v_dual_mul_f32 v69, v73, v69
	v_fma_f32 v63, v70, v66, -v63
	s_delay_alu instid0(VALU_DEP_2) | instskip(NEXT) | instid1(VALU_DEP_3)
	v_add_f32_e32 v64, v64, v67
	v_fma_f32 v66, v72, v68, -v69
	s_wait_loadcnt 0x0
	s_delay_alu instid0(VALU_DEP_2) | instskip(NEXT) | instid1(VALU_DEP_1)
	v_dual_add_f32 v63, 0, v63 :: v_dual_sub_f32 v64, v75, v64
	v_add_f32_e32 v63, v63, v66
	s_delay_alu instid0(VALU_DEP_1)
	v_sub_f32_e32 v63, v74, v63
	scratch_store_b64 off, v[63:64], off offset:224
	v_cmpx_lt_u32_e32 27, v0
	s_cbranch_execz .LBB30_145
; %bb.144:
	scratch_load_b64 v[63:64], off, off offset:216
	v_mov_b32_e32 v66, 0
	s_delay_alu instid0(VALU_DEP_1)
	v_mov_b32_e32 v67, v66
	scratch_store_b64 off, v[66:67], off offset:216
	s_wait_loadcnt 0x0
	ds_store_b64 v65, v[63:64]
.LBB30_145:
	s_wait_alu 0xfffe
	s_or_b32 exec_lo, exec_lo, s0
	s_wait_storecnt_dscnt 0x0
	s_barrier_signal -1
	s_barrier_wait -1
	global_inv scope:SCOPE_SE
	s_clause 0x2
	scratch_load_b128 v[66:69], off, off offset:224
	scratch_load_b64 v[74:75], off, off offset:240
	scratch_load_b64 v[76:77], off, off offset:216
	v_mov_b32_e32 v63, 0
	ds_load_b128 v[70:73], v63 offset:480
	ds_load_b64 v[78:79], v63 offset:496
	s_mov_b32 s0, exec_lo
	s_wait_loadcnt_dscnt 0x201
	v_mul_f32_e32 v64, v71, v67
	v_dual_mul_f32 v67, v70, v67 :: v_dual_mul_f32 v80, v72, v69
	v_mul_f32_e32 v69, v73, v69
	s_wait_loadcnt_dscnt 0x100
	v_mul_f32_e32 v81, v78, v75
	v_fma_f32 v64, v70, v66, -v64
	v_fmac_f32_e32 v67, v71, v66
	v_mul_f32_e32 v66, v79, v75
	v_fmac_f32_e32 v80, v73, v68
	v_fma_f32 v68, v72, v68, -v69
	s_delay_alu instid0(VALU_DEP_4) | instskip(NEXT) | instid1(VALU_DEP_4)
	v_dual_add_f32 v64, 0, v64 :: v_dual_add_f32 v67, 0, v67
	v_fma_f32 v66, v78, v74, -v66
	s_delay_alu instid0(VALU_DEP_2) | instskip(NEXT) | instid1(VALU_DEP_1)
	v_add_f32_e32 v64, v64, v68
	v_dual_add_f32 v67, v67, v80 :: v_dual_add_f32 v64, v64, v66
	s_wait_loadcnt 0x0
	s_delay_alu instid0(VALU_DEP_1) | instskip(NEXT) | instid1(VALU_DEP_1)
	v_dual_fmac_f32 v81, v79, v74 :: v_dual_sub_f32 v66, v76, v64
	v_add_f32_e32 v67, v67, v81
	s_delay_alu instid0(VALU_DEP_1)
	v_sub_f32_e32 v67, v77, v67
	scratch_store_b64 off, v[66:67], off offset:216
	v_cmpx_lt_u32_e32 26, v0
	s_cbranch_execz .LBB30_147
; %bb.146:
	scratch_load_b64 v[66:67], off, off offset:208
	v_mov_b32_e32 v64, v63
	scratch_store_b64 off, v[63:64], off offset:208
	s_wait_loadcnt 0x0
	ds_store_b64 v65, v[66:67]
.LBB30_147:
	s_wait_alu 0xfffe
	s_or_b32 exec_lo, exec_lo, s0
	s_wait_storecnt_dscnt 0x0
	s_barrier_signal -1
	s_barrier_wait -1
	global_inv scope:SCOPE_SE
	s_clause 0x2
	scratch_load_b128 v[66:69], off, off offset:216
	scratch_load_b128 v[70:73], off, off offset:232
	scratch_load_b64 v[82:83], off, off offset:208
	ds_load_2addr_b64 v[74:77], v63 offset0:59 offset1:60
	ds_load_2addr_b64 v[78:81], v63 offset0:61 offset1:62
	s_mov_b32 s0, exec_lo
	s_wait_loadcnt_dscnt 0x201
	v_mul_f32_e32 v64, v75, v67
	s_wait_loadcnt_dscnt 0x100
	v_dual_mul_f32 v84, v78, v71 :: v_dual_mul_f32 v85, v80, v73
	s_delay_alu instid0(VALU_DEP_2) | instskip(SKIP_2) | instid1(VALU_DEP_4)
	v_fma_f32 v64, v74, v66, -v64
	v_mul_f32_e32 v63, v74, v67
	v_mul_f32_e32 v67, v76, v69
	v_dual_mul_f32 v69, v77, v69 :: v_dual_fmac_f32 v84, v79, v70
	s_delay_alu instid0(VALU_DEP_3) | instskip(NEXT) | instid1(VALU_DEP_3)
	v_dual_add_f32 v64, 0, v64 :: v_dual_fmac_f32 v63, v75, v66
	v_dual_mul_f32 v66, v79, v71 :: v_dual_fmac_f32 v67, v77, v68
	s_delay_alu instid0(VALU_DEP_3) | instskip(SKIP_1) | instid1(VALU_DEP_3)
	v_fma_f32 v68, v76, v68, -v69
	v_fmac_f32_e32 v85, v81, v72
	v_fma_f32 v66, v78, v70, -v66
	s_delay_alu instid0(VALU_DEP_3) | instskip(NEXT) | instid1(VALU_DEP_1)
	v_dual_add_f32 v64, v64, v68 :: v_dual_add_f32 v63, 0, v63
	v_dual_add_f32 v64, v64, v66 :: v_dual_mul_f32 v69, v81, v73
	s_delay_alu instid0(VALU_DEP_2) | instskip(NEXT) | instid1(VALU_DEP_2)
	v_add_f32_e32 v63, v63, v67
	v_fma_f32 v67, v80, v72, -v69
	s_delay_alu instid0(VALU_DEP_1) | instskip(SKIP_1) | instid1(VALU_DEP_1)
	v_dual_add_f32 v63, v63, v84 :: v_dual_add_f32 v64, v64, v67
	s_wait_loadcnt 0x0
	v_dual_add_f32 v66, v63, v85 :: v_dual_sub_f32 v63, v82, v64
	s_delay_alu instid0(VALU_DEP_1)
	v_sub_f32_e32 v64, v83, v66
	scratch_store_b64 off, v[63:64], off offset:208
	v_cmpx_lt_u32_e32 25, v0
	s_cbranch_execz .LBB30_149
; %bb.148:
	scratch_load_b64 v[63:64], off, off offset:200
	v_mov_b32_e32 v66, 0
	s_delay_alu instid0(VALU_DEP_1)
	v_mov_b32_e32 v67, v66
	scratch_store_b64 off, v[66:67], off offset:200
	s_wait_loadcnt 0x0
	ds_store_b64 v65, v[63:64]
.LBB30_149:
	s_wait_alu 0xfffe
	s_or_b32 exec_lo, exec_lo, s0
	s_wait_storecnt_dscnt 0x0
	s_barrier_signal -1
	s_barrier_wait -1
	global_inv scope:SCOPE_SE
	s_clause 0x3
	scratch_load_b128 v[66:69], off, off offset:208
	scratch_load_b128 v[70:73], off, off offset:224
	scratch_load_b64 v[82:83], off, off offset:240
	scratch_load_b64 v[84:85], off, off offset:200
	v_mov_b32_e32 v63, 0
	ds_load_b128 v[74:77], v63 offset:464
	ds_load_b128 v[78:81], v63 offset:480
	ds_load_b64 v[86:87], v63 offset:496
	s_mov_b32 s0, exec_lo
	s_wait_loadcnt_dscnt 0x302
	v_mul_f32_e32 v64, v74, v67
	v_dual_mul_f32 v88, v76, v69 :: v_dual_mul_f32 v67, v75, v67
	s_wait_loadcnt_dscnt 0x100
	v_mul_f32_e32 v91, v86, v83
	v_dual_mul_f32 v89, v78, v71 :: v_dual_mul_f32 v90, v80, v73
	v_dual_fmac_f32 v64, v75, v66 :: v_dual_mul_f32 v69, v77, v69
	v_fma_f32 v67, v74, v66, -v67
	v_fmac_f32_e32 v88, v77, v68
	v_mul_f32_e32 v66, v79, v71
	s_delay_alu instid0(VALU_DEP_4) | instskip(SKIP_3) | instid1(VALU_DEP_4)
	v_add_f32_e32 v64, 0, v64
	v_fma_f32 v68, v76, v68, -v69
	v_add_f32_e32 v67, 0, v67
	v_mul_f32_e32 v69, v81, v73
	v_dual_fmac_f32 v89, v79, v70 :: v_dual_add_f32 v64, v64, v88
	v_dual_fmac_f32 v90, v81, v72 :: v_dual_fmac_f32 v91, v87, v82
	s_delay_alu instid0(VALU_DEP_4) | instskip(SKIP_1) | instid1(VALU_DEP_4)
	v_add_f32_e32 v67, v67, v68
	v_fma_f32 v66, v78, v70, -v66
	v_add_f32_e32 v64, v64, v89
	v_fma_f32 v69, v80, v72, -v69
	s_delay_alu instid0(VALU_DEP_3) | instskip(NEXT) | instid1(VALU_DEP_3)
	v_add_f32_e32 v66, v67, v66
	v_add_f32_e32 v64, v64, v90
	s_delay_alu instid0(VALU_DEP_2) | instskip(NEXT) | instid1(VALU_DEP_2)
	v_add_f32_e32 v66, v66, v69
	v_add_f32_e32 v64, v64, v91
	v_mul_f32_e32 v68, v87, v83
	s_delay_alu instid0(VALU_DEP_1) | instskip(SKIP_1) | instid1(VALU_DEP_1)
	v_fma_f32 v67, v86, v82, -v68
	s_wait_loadcnt 0x0
	v_dual_add_f32 v66, v66, v67 :: v_dual_sub_f32 v67, v85, v64
	s_delay_alu instid0(VALU_DEP_1)
	v_sub_f32_e32 v66, v84, v66
	scratch_store_b64 off, v[66:67], off offset:200
	v_cmpx_lt_u32_e32 24, v0
	s_cbranch_execz .LBB30_151
; %bb.150:
	scratch_load_b64 v[66:67], off, off offset:192
	v_mov_b32_e32 v64, v63
	scratch_store_b64 off, v[63:64], off offset:192
	s_wait_loadcnt 0x0
	ds_store_b64 v65, v[66:67]
.LBB30_151:
	s_wait_alu 0xfffe
	s_or_b32 exec_lo, exec_lo, s0
	s_wait_storecnt_dscnt 0x0
	s_barrier_signal -1
	s_barrier_wait -1
	global_inv scope:SCOPE_SE
	s_clause 0x3
	scratch_load_b128 v[66:69], off, off offset:200
	scratch_load_b128 v[70:73], off, off offset:216
	;; [unrolled: 1-line block ×3, first 2 shown]
	scratch_load_b64 v[90:91], off, off offset:192
	ds_load_2addr_b64 v[78:81], v63 offset0:57 offset1:58
	ds_load_2addr_b64 v[82:85], v63 offset0:59 offset1:60
	;; [unrolled: 1-line block ×3, first 2 shown]
	s_mov_b32 s0, exec_lo
	s_wait_loadcnt_dscnt 0x302
	v_dual_mul_f32 v63, v78, v67 :: v_dual_mul_f32 v64, v80, v69
	v_mul_f32_e32 v67, v79, v67
	s_wait_loadcnt_dscnt 0x201
	v_dual_mul_f32 v69, v81, v69 :: v_dual_mul_f32 v92, v82, v71
	s_delay_alu instid0(VALU_DEP_3) | instskip(NEXT) | instid1(VALU_DEP_3)
	v_dual_mul_f32 v93, v84, v73 :: v_dual_fmac_f32 v64, v81, v68
	v_fma_f32 v67, v78, v66, -v67
	v_fmac_f32_e32 v63, v79, v66
	v_mul_f32_e32 v66, v83, v71
	v_fma_f32 v68, v80, v68, -v69
	v_mul_f32_e32 v69, v85, v73
	v_dual_add_f32 v67, 0, v67 :: v_dual_fmac_f32 v92, v83, v70
	s_delay_alu instid0(VALU_DEP_4) | instskip(SKIP_2) | instid1(VALU_DEP_3)
	v_fma_f32 v66, v82, v70, -v66
	s_wait_loadcnt_dscnt 0x100
	v_dual_mul_f32 v94, v86, v75 :: v_dual_mul_f32 v95, v88, v77
	v_add_f32_e32 v67, v67, v68
	v_fmac_f32_e32 v93, v85, v72
	v_fma_f32 v68, v84, v72, -v69
	s_delay_alu instid0(VALU_DEP_4) | instskip(NEXT) | instid1(VALU_DEP_4)
	v_dual_fmac_f32 v94, v87, v74 :: v_dual_fmac_f32 v95, v89, v76
	v_add_f32_e32 v66, v67, v66
	s_delay_alu instid0(VALU_DEP_1) | instskip(SKIP_1) | instid1(VALU_DEP_1)
	v_dual_add_f32 v66, v66, v68 :: v_dual_add_f32 v63, 0, v63
	v_mul_f32_e32 v67, v89, v77
	v_fma_f32 v67, v88, v76, -v67
	s_delay_alu instid0(VALU_DEP_3) | instskip(SKIP_1) | instid1(VALU_DEP_1)
	v_add_f32_e32 v63, v63, v64
	v_mul_f32_e32 v64, v87, v75
	v_fma_f32 v64, v86, v74, -v64
	s_delay_alu instid0(VALU_DEP_1) | instskip(NEXT) | instid1(VALU_DEP_1)
	v_add_f32_e32 v64, v66, v64
	v_dual_add_f32 v64, v64, v67 :: v_dual_add_f32 v63, v63, v92
	s_delay_alu instid0(VALU_DEP_1) | instskip(NEXT) | instid1(VALU_DEP_1)
	v_add_f32_e32 v63, v63, v93
	v_add_f32_e32 v63, v63, v94
	s_wait_loadcnt 0x0
	s_delay_alu instid0(VALU_DEP_1) | instskip(NEXT) | instid1(VALU_DEP_1)
	v_dual_add_f32 v66, v63, v95 :: v_dual_sub_f32 v63, v90, v64
	v_sub_f32_e32 v64, v91, v66
	scratch_store_b64 off, v[63:64], off offset:192
	v_cmpx_lt_u32_e32 23, v0
	s_cbranch_execz .LBB30_153
; %bb.152:
	scratch_load_b64 v[63:64], off, off offset:184
	v_mov_b32_e32 v66, 0
	s_delay_alu instid0(VALU_DEP_1)
	v_mov_b32_e32 v67, v66
	scratch_store_b64 off, v[66:67], off offset:184
	s_wait_loadcnt 0x0
	ds_store_b64 v65, v[63:64]
.LBB30_153:
	s_wait_alu 0xfffe
	s_or_b32 exec_lo, exec_lo, s0
	s_wait_storecnt_dscnt 0x0
	s_barrier_signal -1
	s_barrier_wait -1
	global_inv scope:SCOPE_SE
	s_clause 0x4
	scratch_load_b128 v[66:69], off, off offset:192
	scratch_load_b128 v[70:73], off, off offset:208
	;; [unrolled: 1-line block ×3, first 2 shown]
	scratch_load_b64 v[90:91], off, off offset:240
	scratch_load_b64 v[92:93], off, off offset:184
	v_mov_b32_e32 v63, 0
	ds_load_b128 v[78:81], v63 offset:448
	ds_load_b128 v[82:85], v63 offset:464
	;; [unrolled: 1-line block ×3, first 2 shown]
	ds_load_b64 v[94:95], v63 offset:496
	s_mov_b32 s0, exec_lo
	s_wait_loadcnt_dscnt 0x403
	v_mul_f32_e32 v64, v78, v67
	s_wait_loadcnt_dscnt 0x302
	v_dual_mul_f32 v96, v80, v69 :: v_dual_mul_f32 v97, v82, v71
	v_dual_mul_f32 v98, v84, v73 :: v_dual_mul_f32 v67, v79, v67
	s_wait_loadcnt_dscnt 0x100
	v_dual_mul_f32 v101, v94, v91 :: v_dual_fmac_f32 v64, v79, v66
	v_mul_f32_e32 v69, v81, v69
	v_dual_mul_f32 v99, v86, v75 :: v_dual_mul_f32 v100, v88, v77
	v_fma_f32 v67, v78, v66, -v67
	v_fmac_f32_e32 v96, v81, v68
	v_add_f32_e32 v64, 0, v64
	v_mul_f32_e32 v66, v83, v71
	v_fma_f32 v68, v80, v68, -v69
	v_add_f32_e32 v67, 0, v67
	v_mul_f32_e32 v69, v85, v73
	v_dual_fmac_f32 v97, v83, v70 :: v_dual_add_f32 v64, v64, v96
	v_dual_fmac_f32 v98, v85, v72 :: v_dual_fmac_f32 v99, v87, v74
	s_delay_alu instid0(VALU_DEP_4) | instskip(SKIP_1) | instid1(VALU_DEP_4)
	v_add_f32_e32 v67, v67, v68
	v_dual_fmac_f32 v100, v89, v76 :: v_dual_fmac_f32 v101, v95, v90
	v_add_f32_e32 v64, v64, v97
	v_fma_f32 v66, v82, v70, -v66
	v_mul_f32_e32 v68, v87, v75
	v_fma_f32 v69, v84, v72, -v69
	s_delay_alu instid0(VALU_DEP_4) | instskip(NEXT) | instid1(VALU_DEP_1)
	v_add_f32_e32 v64, v64, v98
	v_add_f32_e32 v64, v64, v99
	s_delay_alu instid0(VALU_DEP_1) | instskip(NEXT) | instid1(VALU_DEP_1)
	v_add_f32_e32 v64, v64, v100
	v_add_f32_e32 v64, v64, v101
	v_dual_add_f32 v66, v67, v66 :: v_dual_mul_f32 v67, v89, v77
	v_fma_f32 v68, v86, v74, -v68
	s_delay_alu instid0(VALU_DEP_2) | instskip(NEXT) | instid1(VALU_DEP_3)
	v_dual_add_f32 v66, v66, v69 :: v_dual_mul_f32 v69, v95, v91
	v_fma_f32 v67, v88, v76, -v67
	s_delay_alu instid0(VALU_DEP_2) | instskip(NEXT) | instid1(VALU_DEP_3)
	v_add_f32_e32 v66, v66, v68
	v_fma_f32 v68, v94, v90, -v69
	s_wait_loadcnt 0x0
	s_delay_alu instid0(VALU_DEP_2) | instskip(NEXT) | instid1(VALU_DEP_1)
	v_dual_add_f32 v66, v66, v67 :: v_dual_sub_f32 v67, v93, v64
	v_add_f32_e32 v66, v66, v68
	s_delay_alu instid0(VALU_DEP_1)
	v_sub_f32_e32 v66, v92, v66
	scratch_store_b64 off, v[66:67], off offset:184
	v_cmpx_lt_u32_e32 22, v0
	s_cbranch_execz .LBB30_155
; %bb.154:
	scratch_load_b64 v[66:67], off, off offset:176
	v_mov_b32_e32 v64, v63
	scratch_store_b64 off, v[63:64], off offset:176
	s_wait_loadcnt 0x0
	ds_store_b64 v65, v[66:67]
.LBB30_155:
	s_wait_alu 0xfffe
	s_or_b32 exec_lo, exec_lo, s0
	s_wait_storecnt_dscnt 0x0
	s_barrier_signal -1
	s_barrier_wait -1
	global_inv scope:SCOPE_SE
	s_clause 0x4
	scratch_load_b128 v[66:69], off, off offset:184
	scratch_load_b128 v[70:73], off, off offset:200
	;; [unrolled: 1-line block ×4, first 2 shown]
	scratch_load_b64 v[98:99], off, off offset:176
	ds_load_2addr_b64 v[82:85], v63 offset0:55 offset1:56
	ds_load_2addr_b64 v[86:89], v63 offset0:57 offset1:58
	;; [unrolled: 1-line block ×4, first 2 shown]
	s_mov_b32 s0, exec_lo
	s_wait_loadcnt_dscnt 0x403
	v_dual_mul_f32 v63, v82, v67 :: v_dual_mul_f32 v64, v84, v69
	v_mul_f32_e32 v67, v83, v67
	s_wait_loadcnt_dscnt 0x302
	v_dual_mul_f32 v69, v85, v69 :: v_dual_mul_f32 v100, v86, v71
	s_delay_alu instid0(VALU_DEP_3) | instskip(NEXT) | instid1(VALU_DEP_3)
	v_dual_mul_f32 v101, v88, v73 :: v_dual_fmac_f32 v64, v85, v68
	v_fma_f32 v67, v82, v66, -v67
	v_fmac_f32_e32 v63, v83, v66
	v_mul_f32_e32 v66, v87, v71
	v_fma_f32 v68, v84, v68, -v69
	v_mul_f32_e32 v69, v89, v73
	v_dual_add_f32 v67, 0, v67 :: v_dual_fmac_f32 v100, v87, v70
	s_delay_alu instid0(VALU_DEP_4) | instskip(SKIP_2) | instid1(VALU_DEP_3)
	v_fma_f32 v66, v86, v70, -v66
	s_wait_loadcnt_dscnt 0x201
	v_dual_mul_f32 v102, v90, v75 :: v_dual_mul_f32 v103, v92, v77
	v_add_f32_e32 v67, v67, v68
	v_fmac_f32_e32 v101, v89, v72
	v_fma_f32 v68, v88, v72, -v69
	s_wait_loadcnt_dscnt 0x100
	v_dual_mul_f32 v104, v94, v79 :: v_dual_mul_f32 v105, v96, v81
	v_dual_add_f32 v66, v67, v66 :: v_dual_mul_f32 v67, v93, v77
	v_dual_fmac_f32 v102, v91, v74 :: v_dual_fmac_f32 v103, v93, v76
	s_delay_alu instid0(VALU_DEP_3) | instskip(NEXT) | instid1(VALU_DEP_3)
	v_fmac_f32_e32 v104, v95, v78
	v_dual_add_f32 v66, v66, v68 :: v_dual_add_f32 v63, 0, v63
	v_mul_f32_e32 v68, v95, v79
	v_fma_f32 v67, v92, v76, -v67
	v_fmac_f32_e32 v105, v97, v80
	s_delay_alu instid0(VALU_DEP_4) | instskip(SKIP_2) | instid1(VALU_DEP_2)
	v_add_f32_e32 v63, v63, v64
	v_mul_f32_e32 v64, v91, v75
	v_fma_f32 v68, v94, v78, -v68
	v_fma_f32 v64, v90, v74, -v64
	s_delay_alu instid0(VALU_DEP_1) | instskip(SKIP_1) | instid1(VALU_DEP_2)
	v_add_f32_e32 v64, v66, v64
	v_mul_f32_e32 v66, v97, v81
	v_add_f32_e32 v64, v64, v67
	s_delay_alu instid0(VALU_DEP_2) | instskip(NEXT) | instid1(VALU_DEP_2)
	v_fma_f32 v66, v96, v80, -v66
	v_add_f32_e32 v64, v64, v68
	s_delay_alu instid0(VALU_DEP_1) | instskip(NEXT) | instid1(VALU_DEP_1)
	v_dual_add_f32 v63, v63, v100 :: v_dual_add_f32 v64, v64, v66
	v_add_f32_e32 v63, v63, v101
	s_delay_alu instid0(VALU_DEP_1) | instskip(NEXT) | instid1(VALU_DEP_1)
	v_add_f32_e32 v63, v63, v102
	v_add_f32_e32 v63, v63, v103
	s_delay_alu instid0(VALU_DEP_1) | instskip(SKIP_1) | instid1(VALU_DEP_1)
	v_add_f32_e32 v63, v63, v104
	s_wait_loadcnt 0x0
	v_dual_add_f32 v66, v63, v105 :: v_dual_sub_f32 v63, v98, v64
	s_delay_alu instid0(VALU_DEP_1)
	v_sub_f32_e32 v64, v99, v66
	scratch_store_b64 off, v[63:64], off offset:176
	v_cmpx_lt_u32_e32 21, v0
	s_cbranch_execz .LBB30_157
; %bb.156:
	scratch_load_b64 v[63:64], off, off offset:168
	v_mov_b32_e32 v66, 0
	s_delay_alu instid0(VALU_DEP_1)
	v_mov_b32_e32 v67, v66
	scratch_store_b64 off, v[66:67], off offset:168
	s_wait_loadcnt 0x0
	ds_store_b64 v65, v[63:64]
.LBB30_157:
	s_wait_alu 0xfffe
	s_or_b32 exec_lo, exec_lo, s0
	s_wait_storecnt_dscnt 0x0
	s_barrier_signal -1
	s_barrier_wait -1
	global_inv scope:SCOPE_SE
	s_clause 0x5
	scratch_load_b128 v[66:69], off, off offset:176
	scratch_load_b128 v[70:73], off, off offset:192
	;; [unrolled: 1-line block ×4, first 2 shown]
	scratch_load_b64 v[98:99], off, off offset:240
	scratch_load_b64 v[100:101], off, off offset:168
	v_mov_b32_e32 v63, 0
	ds_load_b128 v[82:85], v63 offset:432
	ds_load_b128 v[86:89], v63 offset:448
	;; [unrolled: 1-line block ×4, first 2 shown]
	ds_load_b64 v[102:103], v63 offset:496
	s_mov_b32 s0, exec_lo
	s_wait_loadcnt_dscnt 0x504
	v_mul_f32_e32 v64, v82, v67
	s_wait_loadcnt_dscnt 0x403
	v_dual_mul_f32 v104, v84, v69 :: v_dual_mul_f32 v105, v86, v71
	s_wait_loadcnt_dscnt 0x302
	v_dual_mul_f32 v108, v92, v77 :: v_dual_mul_f32 v67, v83, v67
	s_wait_loadcnt_dscnt 0x100
	v_dual_mul_f32 v111, v102, v99 :: v_dual_fmac_f32 v64, v83, v66
	v_mul_f32_e32 v69, v85, v69
	v_dual_mul_f32 v106, v88, v73 :: v_dual_mul_f32 v107, v90, v75
	v_fma_f32 v67, v82, v66, -v67
	v_fmac_f32_e32 v104, v85, v68
	v_add_f32_e32 v64, 0, v64
	v_mul_f32_e32 v66, v87, v71
	v_fma_f32 v68, v84, v68, -v69
	v_add_f32_e32 v67, 0, v67
	v_mul_f32_e32 v69, v89, v73
	v_dual_fmac_f32 v105, v87, v70 :: v_dual_add_f32 v64, v64, v104
	v_dual_fmac_f32 v106, v89, v72 :: v_dual_fmac_f32 v107, v91, v74
	s_delay_alu instid0(VALU_DEP_4) | instskip(SKIP_1) | instid1(VALU_DEP_4)
	v_add_f32_e32 v67, v67, v68
	v_dual_mul_f32 v109, v94, v79 :: v_dual_mul_f32 v110, v96, v81
	v_add_f32_e32 v64, v64, v105
	v_dual_fmac_f32 v108, v93, v76 :: v_dual_fmac_f32 v111, v103, v98
	s_delay_alu instid0(VALU_DEP_3) | instskip(NEXT) | instid1(VALU_DEP_3)
	v_dual_fmac_f32 v109, v95, v78 :: v_dual_fmac_f32 v110, v97, v80
	v_add_f32_e32 v64, v64, v106
	v_fma_f32 v66, v86, v70, -v66
	v_mul_f32_e32 v68, v91, v75
	v_fma_f32 v69, v88, v72, -v69
	s_delay_alu instid0(VALU_DEP_4) | instskip(NEXT) | instid1(VALU_DEP_1)
	v_add_f32_e32 v64, v64, v107
	v_add_f32_e32 v64, v64, v108
	s_delay_alu instid0(VALU_DEP_1) | instskip(NEXT) | instid1(VALU_DEP_1)
	v_add_f32_e32 v64, v64, v109
	v_add_f32_e32 v64, v64, v110
	s_delay_alu instid0(VALU_DEP_1) | instskip(SKIP_2) | instid1(VALU_DEP_2)
	v_add_f32_e32 v64, v64, v111
	v_dual_add_f32 v66, v67, v66 :: v_dual_mul_f32 v67, v93, v77
	v_fma_f32 v68, v90, v74, -v68
	v_dual_add_f32 v66, v66, v69 :: v_dual_mul_f32 v69, v95, v79
	s_delay_alu instid0(VALU_DEP_3) | instskip(NEXT) | instid1(VALU_DEP_2)
	v_fma_f32 v67, v92, v76, -v67
	v_add_f32_e32 v66, v66, v68
	v_mul_f32_e32 v68, v97, v81
	s_delay_alu instid0(VALU_DEP_4) | instskip(NEXT) | instid1(VALU_DEP_3)
	v_fma_f32 v69, v94, v78, -v69
	v_add_f32_e32 v66, v66, v67
	v_mul_f32_e32 v67, v103, v99
	s_delay_alu instid0(VALU_DEP_4) | instskip(NEXT) | instid1(VALU_DEP_3)
	v_fma_f32 v68, v96, v80, -v68
	v_add_f32_e32 v66, v66, v69
	s_delay_alu instid0(VALU_DEP_3) | instskip(NEXT) | instid1(VALU_DEP_2)
	v_fma_f32 v67, v102, v98, -v67
	v_add_f32_e32 v66, v66, v68
	s_wait_loadcnt 0x0
	s_delay_alu instid0(VALU_DEP_1) | instskip(NEXT) | instid1(VALU_DEP_1)
	v_dual_add_f32 v66, v66, v67 :: v_dual_sub_f32 v67, v101, v64
	v_sub_f32_e32 v66, v100, v66
	scratch_store_b64 off, v[66:67], off offset:168
	v_cmpx_lt_u32_e32 20, v0
	s_cbranch_execz .LBB30_159
; %bb.158:
	scratch_load_b64 v[66:67], off, off offset:160
	v_mov_b32_e32 v64, v63
	scratch_store_b64 off, v[63:64], off offset:160
	s_wait_loadcnt 0x0
	ds_store_b64 v65, v[66:67]
.LBB30_159:
	s_wait_alu 0xfffe
	s_or_b32 exec_lo, exec_lo, s0
	s_wait_storecnt_dscnt 0x0
	s_barrier_signal -1
	s_barrier_wait -1
	global_inv scope:SCOPE_SE
	s_clause 0x5
	scratch_load_b128 v[66:69], off, off offset:168
	scratch_load_b128 v[70:73], off, off offset:184
	;; [unrolled: 1-line block ×5, first 2 shown]
	scratch_load_b64 v[106:107], off, off offset:160
	ds_load_2addr_b64 v[86:89], v63 offset0:53 offset1:54
	ds_load_2addr_b64 v[90:93], v63 offset0:55 offset1:56
	;; [unrolled: 1-line block ×5, first 2 shown]
	s_mov_b32 s0, exec_lo
	s_wait_loadcnt_dscnt 0x504
	v_dual_mul_f32 v63, v86, v67 :: v_dual_mul_f32 v64, v88, v69
	v_mul_f32_e32 v67, v87, v67
	s_wait_loadcnt_dscnt 0x403
	v_dual_mul_f32 v69, v89, v69 :: v_dual_mul_f32 v108, v90, v71
	s_delay_alu instid0(VALU_DEP_3) | instskip(NEXT) | instid1(VALU_DEP_3)
	v_dual_mul_f32 v109, v92, v73 :: v_dual_fmac_f32 v64, v89, v68
	v_fma_f32 v67, v86, v66, -v67
	v_fmac_f32_e32 v63, v87, v66
	v_mul_f32_e32 v66, v91, v71
	v_fma_f32 v68, v88, v68, -v69
	v_mul_f32_e32 v69, v93, v73
	v_dual_add_f32 v67, 0, v67 :: v_dual_fmac_f32 v108, v91, v70
	s_delay_alu instid0(VALU_DEP_4) | instskip(SKIP_2) | instid1(VALU_DEP_3)
	v_fma_f32 v66, v90, v70, -v66
	s_wait_loadcnt_dscnt 0x302
	v_dual_mul_f32 v110, v94, v75 :: v_dual_mul_f32 v111, v96, v77
	v_add_f32_e32 v67, v67, v68
	v_fmac_f32_e32 v109, v93, v72
	v_fma_f32 v68, v92, v72, -v69
	s_wait_loadcnt_dscnt 0x201
	v_dual_mul_f32 v112, v98, v79 :: v_dual_mul_f32 v113, v100, v81
	v_dual_add_f32 v66, v67, v66 :: v_dual_mul_f32 v67, v97, v77
	v_fmac_f32_e32 v110, v95, v74
	s_wait_loadcnt_dscnt 0x100
	v_dual_mul_f32 v114, v102, v83 :: v_dual_mul_f32 v115, v104, v85
	s_delay_alu instid0(VALU_DEP_3) | instskip(SKIP_3) | instid1(VALU_DEP_4)
	v_dual_add_f32 v66, v66, v68 :: v_dual_add_f32 v63, 0, v63
	v_mul_f32_e32 v68, v99, v79
	v_fma_f32 v67, v96, v76, -v67
	v_dual_fmac_f32 v111, v97, v76 :: v_dual_fmac_f32 v112, v99, v78
	v_add_f32_e32 v63, v63, v64
	v_mul_f32_e32 v64, v95, v75
	v_fma_f32 v68, v98, v78, -v68
	v_dual_fmac_f32 v113, v101, v80 :: v_dual_fmac_f32 v114, v103, v82
	s_delay_alu instid0(VALU_DEP_3) | instskip(NEXT) | instid1(VALU_DEP_1)
	v_fma_f32 v64, v94, v74, -v64
	v_add_f32_e32 v64, v66, v64
	v_mul_f32_e32 v66, v101, v81
	s_delay_alu instid0(VALU_DEP_2) | instskip(SKIP_1) | instid1(VALU_DEP_3)
	v_dual_add_f32 v64, v64, v67 :: v_dual_add_f32 v63, v63, v108
	v_mul_f32_e32 v67, v103, v83
	v_fma_f32 v66, v100, v80, -v66
	s_delay_alu instid0(VALU_DEP_3) | instskip(SKIP_3) | instid1(VALU_DEP_4)
	v_add_f32_e32 v64, v64, v68
	v_mul_f32_e32 v68, v105, v85
	v_add_f32_e32 v63, v63, v109
	v_fma_f32 v67, v102, v82, -v67
	v_dual_add_f32 v64, v64, v66 :: v_dual_fmac_f32 v115, v105, v84
	s_delay_alu instid0(VALU_DEP_3) | instskip(SKIP_1) | instid1(VALU_DEP_3)
	v_add_f32_e32 v63, v63, v110
	v_fma_f32 v66, v104, v84, -v68
	v_add_f32_e32 v64, v64, v67
	s_delay_alu instid0(VALU_DEP_1) | instskip(NEXT) | instid1(VALU_DEP_1)
	v_dual_add_f32 v63, v63, v111 :: v_dual_add_f32 v64, v64, v66
	v_add_f32_e32 v63, v63, v112
	s_delay_alu instid0(VALU_DEP_1) | instskip(NEXT) | instid1(VALU_DEP_1)
	v_add_f32_e32 v63, v63, v113
	v_add_f32_e32 v63, v63, v114
	s_wait_loadcnt 0x0
	s_delay_alu instid0(VALU_DEP_1) | instskip(NEXT) | instid1(VALU_DEP_1)
	v_dual_add_f32 v66, v63, v115 :: v_dual_sub_f32 v63, v106, v64
	v_sub_f32_e32 v64, v107, v66
	scratch_store_b64 off, v[63:64], off offset:160
	v_cmpx_lt_u32_e32 19, v0
	s_cbranch_execz .LBB30_161
; %bb.160:
	scratch_load_b64 v[63:64], off, off offset:152
	v_mov_b32_e32 v66, 0
	s_delay_alu instid0(VALU_DEP_1)
	v_mov_b32_e32 v67, v66
	scratch_store_b64 off, v[66:67], off offset:152
	s_wait_loadcnt 0x0
	ds_store_b64 v65, v[63:64]
.LBB30_161:
	s_wait_alu 0xfffe
	s_or_b32 exec_lo, exec_lo, s0
	s_wait_storecnt_dscnt 0x0
	s_barrier_signal -1
	s_barrier_wait -1
	global_inv scope:SCOPE_SE
	s_clause 0x6
	scratch_load_b128 v[66:69], off, off offset:160
	scratch_load_b128 v[70:73], off, off offset:176
	;; [unrolled: 1-line block ×5, first 2 shown]
	scratch_load_b64 v[106:107], off, off offset:240
	scratch_load_b64 v[108:109], off, off offset:152
	v_mov_b32_e32 v63, 0
	ds_load_b128 v[86:89], v63 offset:416
	ds_load_b128 v[90:93], v63 offset:432
	;; [unrolled: 1-line block ×5, first 2 shown]
	ds_load_b64 v[110:111], v63 offset:496
	s_mov_b32 s0, exec_lo
	s_wait_loadcnt_dscnt 0x605
	v_mul_f32_e32 v64, v86, v67
	v_dual_mul_f32 v67, v87, v67 :: v_dual_mul_f32 v112, v88, v69
	s_wait_loadcnt_dscnt 0x302
	v_dual_mul_f32 v113, v90, v71 :: v_dual_mul_f32 v118, v100, v81
	s_wait_loadcnt_dscnt 0x100
	v_dual_mul_f32 v121, v110, v107 :: v_dual_fmac_f32 v64, v87, v66
	v_mul_f32_e32 v69, v89, v69
	v_fma_f32 v67, v86, v66, -v67
	v_mul_f32_e32 v66, v91, v71
	v_fmac_f32_e32 v112, v89, v68
	v_add_f32_e32 v64, 0, v64
	v_fma_f32 v68, v88, v68, -v69
	v_add_f32_e32 v67, 0, v67
	v_mul_f32_e32 v69, v93, v73
	s_delay_alu instid0(VALU_DEP_4) | instskip(SKIP_1) | instid1(VALU_DEP_4)
	v_dual_fmac_f32 v113, v91, v70 :: v_dual_add_f32 v64, v64, v112
	v_fma_f32 v66, v90, v70, -v66
	v_dual_add_f32 v67, v67, v68 :: v_dual_mul_f32 v114, v92, v73
	v_mul_f32_e32 v115, v94, v75
	v_mul_f32_e32 v68, v95, v75
	v_fma_f32 v69, v92, v72, -v69
	v_add_f32_e32 v64, v64, v113
	v_add_f32_e32 v66, v67, v66
	v_dual_fmac_f32 v114, v93, v72 :: v_dual_fmac_f32 v115, v95, v74
	v_mul_f32_e32 v67, v97, v77
	v_fma_f32 v68, v94, v74, -v68
	s_delay_alu instid0(VALU_DEP_4) | instskip(SKIP_4) | instid1(VALU_DEP_3)
	v_dual_add_f32 v66, v66, v69 :: v_dual_mul_f32 v69, v99, v79
	v_dual_mul_f32 v116, v96, v77 :: v_dual_mul_f32 v117, v98, v79
	v_dual_mul_f32 v119, v102, v83 :: v_dual_mul_f32 v120, v104, v85
	v_add_f32_e32 v64, v64, v114
	v_fma_f32 v67, v96, v76, -v67
	v_dual_add_f32 v66, v66, v68 :: v_dual_fmac_f32 v119, v103, v82
	v_dual_fmac_f32 v116, v97, v76 :: v_dual_fmac_f32 v117, v99, v78
	v_mul_f32_e32 v68, v101, v81
	s_delay_alu instid0(VALU_DEP_3)
	v_add_f32_e32 v66, v66, v67
	v_mul_f32_e32 v67, v103, v83
	v_dual_add_f32 v64, v64, v115 :: v_dual_fmac_f32 v121, v111, v106
	v_fma_f32 v69, v98, v78, -v69
	v_fmac_f32_e32 v118, v101, v80
	v_fma_f32 v68, v100, v80, -v68
	s_delay_alu instid0(VALU_DEP_4)
	v_add_f32_e32 v64, v64, v116
	v_fma_f32 v67, v102, v82, -v67
	v_add_f32_e32 v66, v66, v69
	v_mul_f32_e32 v69, v105, v85
	v_fmac_f32_e32 v120, v105, v84
	v_add_f32_e32 v64, v64, v117
	s_delay_alu instid0(VALU_DEP_4) | instskip(SKIP_2) | instid1(VALU_DEP_4)
	v_add_f32_e32 v66, v66, v68
	v_mul_f32_e32 v68, v111, v107
	v_fma_f32 v69, v104, v84, -v69
	v_add_f32_e32 v64, v64, v118
	s_delay_alu instid0(VALU_DEP_4) | instskip(NEXT) | instid1(VALU_DEP_4)
	v_add_f32_e32 v66, v66, v67
	v_fma_f32 v67, v110, v106, -v68
	s_delay_alu instid0(VALU_DEP_3) | instskip(NEXT) | instid1(VALU_DEP_3)
	v_add_f32_e32 v64, v64, v119
	v_add_f32_e32 v66, v66, v69
	s_delay_alu instid0(VALU_DEP_2) | instskip(NEXT) | instid1(VALU_DEP_2)
	v_add_f32_e32 v64, v64, v120
	v_add_f32_e32 v66, v66, v67
	s_delay_alu instid0(VALU_DEP_2) | instskip(SKIP_1) | instid1(VALU_DEP_1)
	v_add_f32_e32 v64, v64, v121
	s_wait_loadcnt 0x0
	v_dual_sub_f32 v66, v108, v66 :: v_dual_sub_f32 v67, v109, v64
	scratch_store_b64 off, v[66:67], off offset:152
	v_cmpx_lt_u32_e32 18, v0
	s_cbranch_execz .LBB30_163
; %bb.162:
	scratch_load_b64 v[66:67], off, off offset:144
	v_mov_b32_e32 v64, v63
	scratch_store_b64 off, v[63:64], off offset:144
	s_wait_loadcnt 0x0
	ds_store_b64 v65, v[66:67]
.LBB30_163:
	s_wait_alu 0xfffe
	s_or_b32 exec_lo, exec_lo, s0
	s_wait_storecnt_dscnt 0x0
	s_barrier_signal -1
	s_barrier_wait -1
	global_inv scope:SCOPE_SE
	s_clause 0x6
	scratch_load_b128 v[66:69], off, off offset:152
	scratch_load_b128 v[70:73], off, off offset:168
	;; [unrolled: 1-line block ×6, first 2 shown]
	scratch_load_b64 v[114:115], off, off offset:144
	ds_load_2addr_b64 v[90:93], v63 offset0:51 offset1:52
	ds_load_2addr_b64 v[94:97], v63 offset0:53 offset1:54
	ds_load_2addr_b64 v[98:101], v63 offset0:55 offset1:56
	ds_load_2addr_b64 v[102:105], v63 offset0:57 offset1:58
	ds_load_2addr_b64 v[106:109], v63 offset0:59 offset1:60
	ds_load_2addr_b64 v[110:113], v63 offset0:61 offset1:62
	s_mov_b32 s0, exec_lo
	s_wait_loadcnt_dscnt 0x605
	v_dual_mul_f32 v63, v90, v67 :: v_dual_mul_f32 v64, v92, v69
	v_mul_f32_e32 v67, v91, v67
	s_wait_loadcnt_dscnt 0x504
	v_dual_mul_f32 v69, v93, v69 :: v_dual_mul_f32 v116, v94, v71
	s_delay_alu instid0(VALU_DEP_3) | instskip(NEXT) | instid1(VALU_DEP_3)
	v_dual_mul_f32 v117, v96, v73 :: v_dual_fmac_f32 v64, v93, v68
	v_fma_f32 v67, v90, v66, -v67
	v_fmac_f32_e32 v63, v91, v66
	v_mul_f32_e32 v66, v95, v71
	v_fma_f32 v68, v92, v68, -v69
	v_mul_f32_e32 v69, v97, v73
	v_dual_add_f32 v67, 0, v67 :: v_dual_fmac_f32 v116, v95, v70
	s_delay_alu instid0(VALU_DEP_4) | instskip(SKIP_2) | instid1(VALU_DEP_3)
	v_fma_f32 v66, v94, v70, -v66
	s_wait_loadcnt_dscnt 0x403
	v_dual_mul_f32 v118, v98, v75 :: v_dual_mul_f32 v119, v100, v77
	v_add_f32_e32 v67, v67, v68
	v_fmac_f32_e32 v117, v97, v72
	v_fma_f32 v68, v96, v72, -v69
	s_wait_loadcnt_dscnt 0x302
	v_dual_mul_f32 v120, v102, v79 :: v_dual_mul_f32 v121, v104, v81
	v_dual_add_f32 v66, v67, v66 :: v_dual_mul_f32 v67, v101, v77
	v_fmac_f32_e32 v118, v99, v74
	s_wait_loadcnt_dscnt 0x201
	v_dual_mul_f32 v122, v106, v83 :: v_dual_mul_f32 v123, v108, v85
	s_delay_alu instid0(VALU_DEP_3) | instskip(SKIP_3) | instid1(VALU_DEP_4)
	v_dual_add_f32 v66, v66, v68 :: v_dual_add_f32 v63, 0, v63
	v_mul_f32_e32 v68, v103, v79
	v_fma_f32 v67, v100, v76, -v67
	v_dual_fmac_f32 v119, v101, v76 :: v_dual_fmac_f32 v120, v103, v78
	v_add_f32_e32 v63, v63, v64
	v_mul_f32_e32 v64, v99, v75
	v_fma_f32 v68, v102, v78, -v68
	v_dual_fmac_f32 v121, v105, v80 :: v_dual_fmac_f32 v122, v107, v82
	s_wait_loadcnt_dscnt 0x100
	v_dual_mul_f32 v124, v110, v87 :: v_dual_mul_f32 v125, v112, v89
	v_fma_f32 v64, v98, v74, -v64
	s_delay_alu instid0(VALU_DEP_2) | instskip(NEXT) | instid1(VALU_DEP_3)
	v_dual_fmac_f32 v123, v109, v84 :: v_dual_fmac_f32 v124, v111, v86
	v_fmac_f32_e32 v125, v113, v88
	s_delay_alu instid0(VALU_DEP_3) | instskip(SKIP_1) | instid1(VALU_DEP_2)
	v_add_f32_e32 v64, v66, v64
	v_mul_f32_e32 v66, v105, v81
	v_dual_add_f32 v64, v64, v67 :: v_dual_add_f32 v63, v63, v116
	v_mul_f32_e32 v67, v107, v83
	s_delay_alu instid0(VALU_DEP_3) | instskip(NEXT) | instid1(VALU_DEP_3)
	v_fma_f32 v66, v104, v80, -v66
	v_add_f32_e32 v64, v64, v68
	v_mul_f32_e32 v68, v109, v85
	v_add_f32_e32 v63, v63, v117
	v_fma_f32 v67, v106, v82, -v67
	s_delay_alu instid0(VALU_DEP_4) | instskip(SKIP_1) | instid1(VALU_DEP_4)
	v_add_f32_e32 v64, v64, v66
	v_mul_f32_e32 v66, v111, v87
	v_add_f32_e32 v63, v63, v118
	v_fma_f32 v68, v108, v84, -v68
	s_delay_alu instid0(VALU_DEP_4) | instskip(NEXT) | instid1(VALU_DEP_3)
	v_dual_add_f32 v64, v64, v67 :: v_dual_mul_f32 v67, v113, v89
	v_add_f32_e32 v63, v63, v119
	v_fma_f32 v66, v110, v86, -v66
	s_delay_alu instid0(VALU_DEP_3) | instskip(NEXT) | instid1(VALU_DEP_4)
	v_add_f32_e32 v64, v64, v68
	v_fma_f32 v67, v112, v88, -v67
	s_delay_alu instid0(VALU_DEP_2) | instskip(NEXT) | instid1(VALU_DEP_1)
	v_dual_add_f32 v63, v63, v120 :: v_dual_add_f32 v64, v64, v66
	v_dual_add_f32 v63, v63, v121 :: v_dual_add_f32 v64, v64, v67
	s_delay_alu instid0(VALU_DEP_1) | instskip(NEXT) | instid1(VALU_DEP_1)
	v_add_f32_e32 v63, v63, v122
	v_add_f32_e32 v63, v63, v123
	s_delay_alu instid0(VALU_DEP_1) | instskip(SKIP_1) | instid1(VALU_DEP_1)
	v_add_f32_e32 v63, v63, v124
	s_wait_loadcnt 0x0
	v_dual_add_f32 v66, v63, v125 :: v_dual_sub_f32 v63, v114, v64
	s_delay_alu instid0(VALU_DEP_1)
	v_sub_f32_e32 v64, v115, v66
	scratch_store_b64 off, v[63:64], off offset:144
	v_cmpx_lt_u32_e32 17, v0
	s_cbranch_execz .LBB30_165
; %bb.164:
	scratch_load_b64 v[63:64], off, off offset:136
	v_mov_b32_e32 v66, 0
	s_delay_alu instid0(VALU_DEP_1)
	v_mov_b32_e32 v67, v66
	scratch_store_b64 off, v[66:67], off offset:136
	s_wait_loadcnt 0x0
	ds_store_b64 v65, v[63:64]
.LBB30_165:
	s_wait_alu 0xfffe
	s_or_b32 exec_lo, exec_lo, s0
	s_wait_storecnt_dscnt 0x0
	s_barrier_signal -1
	s_barrier_wait -1
	global_inv scope:SCOPE_SE
	s_clause 0x7
	scratch_load_b128 v[66:69], off, off offset:144
	scratch_load_b128 v[70:73], off, off offset:160
	;; [unrolled: 1-line block ×6, first 2 shown]
	scratch_load_b64 v[114:115], off, off offset:240
	scratch_load_b64 v[116:117], off, off offset:136
	v_mov_b32_e32 v63, 0
	ds_load_b128 v[90:93], v63 offset:400
	ds_load_b128 v[94:97], v63 offset:416
	ds_load_b128 v[98:101], v63 offset:432
	ds_load_b128 v[102:105], v63 offset:448
	ds_load_b128 v[106:109], v63 offset:464
	ds_load_b128 v[110:113], v63 offset:480
	ds_load_b64 v[118:119], v63 offset:496
	s_mov_b32 s0, exec_lo
	s_wait_loadcnt_dscnt 0x706
	v_mul_f32_e32 v64, v90, v67
	v_dual_mul_f32 v67, v91, v67 :: v_dual_mul_f32 v120, v92, v69
	s_wait_loadcnt_dscnt 0x302
	v_dual_mul_f32 v121, v94, v71 :: v_dual_mul_f32 v128, v108, v85
	v_mul_f32_e32 v69, v93, v69
	s_wait_loadcnt_dscnt 0x100
	v_dual_mul_f32 v131, v118, v115 :: v_dual_fmac_f32 v64, v91, v66
	v_fma_f32 v67, v90, v66, -v67
	v_mul_f32_e32 v66, v95, v71
	v_fmac_f32_e32 v120, v93, v68
	v_fma_f32 v68, v92, v68, -v69
	v_dual_add_f32 v64, 0, v64 :: v_dual_mul_f32 v69, v97, v73
	v_add_f32_e32 v67, 0, v67
	v_fmac_f32_e32 v121, v95, v70
	v_fma_f32 v66, v94, v70, -v66
	s_delay_alu instid0(VALU_DEP_4)
	v_add_f32_e32 v64, v64, v120
	v_fma_f32 v69, v96, v72, -v69
	v_add_f32_e32 v67, v67, v68
	v_mul_f32_e32 v68, v99, v75
	v_dual_mul_f32 v122, v96, v73 :: v_dual_mul_f32 v123, v98, v75
	v_add_f32_e32 v64, v64, v121
	s_delay_alu instid0(VALU_DEP_4) | instskip(NEXT) | instid1(VALU_DEP_4)
	v_dual_add_f32 v66, v67, v66 :: v_dual_mul_f32 v67, v101, v77
	v_fma_f32 v68, v98, v74, -v68
	v_dual_mul_f32 v126, v104, v81 :: v_dual_mul_f32 v127, v106, v83
	s_delay_alu instid0(VALU_DEP_3) | instskip(NEXT) | instid1(VALU_DEP_4)
	v_dual_add_f32 v66, v66, v69 :: v_dual_mul_f32 v69, v103, v79
	v_fma_f32 v67, v100, v76, -v67
	v_dual_mul_f32 v129, v110, v87 :: v_dual_mul_f32 v130, v112, v89
	s_delay_alu instid0(VALU_DEP_3) | instskip(SKIP_1) | instid1(VALU_DEP_3)
	v_dual_add_f32 v66, v66, v68 :: v_dual_fmac_f32 v127, v107, v82
	v_dual_fmac_f32 v122, v97, v72 :: v_dual_fmac_f32 v123, v99, v74
	v_dual_mul_f32 v68, v105, v81 :: v_dual_fmac_f32 v129, v111, v86
	v_fma_f32 v69, v102, v78, -v69
	s_delay_alu instid0(VALU_DEP_4) | instskip(SKIP_3) | instid1(VALU_DEP_4)
	v_dual_add_f32 v66, v66, v67 :: v_dual_fmac_f32 v131, v119, v114
	v_dual_mul_f32 v124, v100, v77 :: v_dual_mul_f32 v125, v102, v79
	v_dual_add_f32 v64, v64, v122 :: v_dual_mul_f32 v67, v107, v83
	v_fma_f32 v68, v104, v80, -v68
	v_add_f32_e32 v66, v66, v69
	s_delay_alu instid0(VALU_DEP_4) | instskip(NEXT) | instid1(VALU_DEP_4)
	v_dual_fmac_f32 v124, v101, v76 :: v_dual_fmac_f32 v125, v103, v78
	v_dual_add_f32 v64, v64, v123 :: v_dual_mul_f32 v69, v109, v85
	v_fma_f32 v67, v106, v82, -v67
	s_delay_alu instid0(VALU_DEP_4)
	v_add_f32_e32 v66, v66, v68
	v_fmac_f32_e32 v126, v105, v80
	v_mul_f32_e32 v68, v111, v87
	v_fma_f32 v69, v108, v84, -v69
	v_fmac_f32_e32 v128, v109, v84
	v_dual_add_f32 v66, v66, v67 :: v_dual_mul_f32 v67, v113, v89
	v_add_f32_e32 v64, v64, v124
	v_fma_f32 v68, v110, v86, -v68
	v_fmac_f32_e32 v130, v113, v88
	s_delay_alu instid0(VALU_DEP_4) | instskip(NEXT) | instid1(VALU_DEP_4)
	v_dual_add_f32 v66, v66, v69 :: v_dual_mul_f32 v69, v119, v115
	v_add_f32_e32 v64, v64, v125
	v_fma_f32 v67, v112, v88, -v67
	s_delay_alu instid0(VALU_DEP_3) | instskip(NEXT) | instid1(VALU_DEP_4)
	v_add_f32_e32 v66, v66, v68
	v_fma_f32 v68, v118, v114, -v69
	s_delay_alu instid0(VALU_DEP_4) | instskip(NEXT) | instid1(VALU_DEP_3)
	v_add_f32_e32 v64, v64, v126
	v_add_f32_e32 v66, v66, v67
	s_delay_alu instid0(VALU_DEP_2) | instskip(NEXT) | instid1(VALU_DEP_2)
	v_add_f32_e32 v64, v64, v127
	v_add_f32_e32 v66, v66, v68
	s_delay_alu instid0(VALU_DEP_2) | instskip(SKIP_1) | instid1(VALU_DEP_2)
	v_add_f32_e32 v64, v64, v128
	s_wait_loadcnt 0x0
	v_sub_f32_e32 v66, v116, v66
	s_delay_alu instid0(VALU_DEP_2) | instskip(NEXT) | instid1(VALU_DEP_1)
	v_add_f32_e32 v64, v64, v129
	v_add_f32_e32 v64, v64, v130
	s_delay_alu instid0(VALU_DEP_1) | instskip(NEXT) | instid1(VALU_DEP_1)
	v_add_f32_e32 v64, v64, v131
	v_sub_f32_e32 v67, v117, v64
	scratch_store_b64 off, v[66:67], off offset:136
	v_cmpx_lt_u32_e32 16, v0
	s_cbranch_execz .LBB30_167
; %bb.166:
	scratch_load_b64 v[66:67], off, off offset:128
	v_mov_b32_e32 v64, v63
	scratch_store_b64 off, v[63:64], off offset:128
	s_wait_loadcnt 0x0
	ds_store_b64 v65, v[66:67]
.LBB30_167:
	s_wait_alu 0xfffe
	s_or_b32 exec_lo, exec_lo, s0
	s_wait_storecnt_dscnt 0x0
	s_barrier_signal -1
	s_barrier_wait -1
	global_inv scope:SCOPE_SE
	s_clause 0x7
	scratch_load_b128 v[66:69], off, off offset:136
	scratch_load_b128 v[70:73], off, off offset:152
	;; [unrolled: 1-line block ×7, first 2 shown]
	scratch_load_b64 v[122:123], off, off offset:128
	ds_load_2addr_b64 v[94:97], v63 offset0:49 offset1:50
	ds_load_2addr_b64 v[98:101], v63 offset0:51 offset1:52
	;; [unrolled: 1-line block ×7, first 2 shown]
	s_mov_b32 s0, exec_lo
	s_wait_loadcnt_dscnt 0x706
	v_dual_mul_f32 v63, v94, v67 :: v_dual_mul_f32 v64, v96, v69
	v_mul_f32_e32 v67, v95, v67
	s_wait_loadcnt_dscnt 0x605
	v_dual_mul_f32 v69, v97, v69 :: v_dual_mul_f32 v124, v98, v71
	s_delay_alu instid0(VALU_DEP_3) | instskip(NEXT) | instid1(VALU_DEP_3)
	v_dual_mul_f32 v125, v100, v73 :: v_dual_fmac_f32 v64, v97, v68
	v_fma_f32 v67, v94, v66, -v67
	v_fmac_f32_e32 v63, v95, v66
	v_mul_f32_e32 v66, v99, v71
	v_fma_f32 v68, v96, v68, -v69
	v_mul_f32_e32 v69, v101, v73
	v_dual_add_f32 v67, 0, v67 :: v_dual_fmac_f32 v124, v99, v70
	s_delay_alu instid0(VALU_DEP_4) | instskip(SKIP_2) | instid1(VALU_DEP_3)
	v_fma_f32 v66, v98, v70, -v66
	s_wait_loadcnt_dscnt 0x504
	v_dual_mul_f32 v126, v102, v75 :: v_dual_mul_f32 v127, v104, v77
	v_add_f32_e32 v67, v67, v68
	v_fmac_f32_e32 v125, v101, v72
	v_fma_f32 v68, v100, v72, -v69
	s_wait_loadcnt_dscnt 0x403
	v_dual_mul_f32 v128, v106, v79 :: v_dual_mul_f32 v129, v108, v81
	v_dual_add_f32 v66, v67, v66 :: v_dual_mul_f32 v67, v105, v77
	v_fmac_f32_e32 v126, v103, v74
	s_wait_loadcnt_dscnt 0x302
	v_dual_mul_f32 v130, v110, v83 :: v_dual_mul_f32 v131, v112, v85
	s_delay_alu instid0(VALU_DEP_3) | instskip(SKIP_3) | instid1(VALU_DEP_4)
	v_dual_add_f32 v66, v66, v68 :: v_dual_add_f32 v63, 0, v63
	v_mul_f32_e32 v68, v107, v79
	v_fma_f32 v67, v104, v76, -v67
	v_dual_fmac_f32 v127, v105, v76 :: v_dual_fmac_f32 v128, v107, v78
	v_add_f32_e32 v63, v63, v64
	v_mul_f32_e32 v64, v103, v75
	v_fma_f32 v68, v106, v78, -v68
	v_dual_fmac_f32 v129, v109, v80 :: v_dual_fmac_f32 v130, v111, v82
	s_wait_loadcnt_dscnt 0x201
	v_dual_mul_f32 v132, v114, v87 :: v_dual_mul_f32 v133, v116, v89
	v_fma_f32 v64, v102, v74, -v64
	s_wait_loadcnt_dscnt 0x100
	v_dual_mul_f32 v134, v118, v91 :: v_dual_mul_f32 v135, v120, v93
	s_delay_alu instid0(VALU_DEP_3) | instskip(NEXT) | instid1(VALU_DEP_3)
	v_dual_fmac_f32 v131, v113, v84 :: v_dual_fmac_f32 v132, v115, v86
	v_add_f32_e32 v64, v66, v64
	v_mul_f32_e32 v66, v109, v81
	s_delay_alu instid0(VALU_DEP_4) | instskip(NEXT) | instid1(VALU_DEP_3)
	v_dual_fmac_f32 v134, v119, v90 :: v_dual_fmac_f32 v135, v121, v92
	v_dual_fmac_f32 v133, v117, v88 :: v_dual_add_f32 v64, v64, v67
	v_add_f32_e32 v63, v63, v124
	v_mul_f32_e32 v67, v111, v83
	v_fma_f32 v66, v108, v80, -v66
	s_delay_alu instid0(VALU_DEP_4) | instskip(SKIP_3) | instid1(VALU_DEP_4)
	v_add_f32_e32 v64, v64, v68
	v_mul_f32_e32 v68, v113, v85
	v_add_f32_e32 v63, v63, v125
	v_fma_f32 v67, v110, v82, -v67
	v_add_f32_e32 v64, v64, v66
	v_mul_f32_e32 v66, v115, v87
	s_delay_alu instid0(VALU_DEP_4) | instskip(SKIP_1) | instid1(VALU_DEP_4)
	v_add_f32_e32 v63, v63, v126
	v_fma_f32 v68, v112, v84, -v68
	v_dual_add_f32 v64, v64, v67 :: v_dual_mul_f32 v67, v117, v89
	s_delay_alu instid0(VALU_DEP_3) | instskip(SKIP_1) | instid1(VALU_DEP_3)
	v_add_f32_e32 v63, v63, v127
	v_fma_f32 v66, v114, v86, -v66
	v_add_f32_e32 v64, v64, v68
	s_delay_alu instid0(VALU_DEP_4) | instskip(NEXT) | instid1(VALU_DEP_4)
	v_fma_f32 v67, v116, v88, -v67
	v_add_f32_e32 v63, v63, v128
	v_mul_f32_e32 v68, v119, v91
	s_delay_alu instid0(VALU_DEP_4) | instskip(SKIP_1) | instid1(VALU_DEP_4)
	v_add_f32_e32 v64, v64, v66
	v_mul_f32_e32 v66, v121, v93
	v_add_f32_e32 v63, v63, v129
	s_delay_alu instid0(VALU_DEP_4) | instskip(NEXT) | instid1(VALU_DEP_4)
	v_fma_f32 v68, v118, v90, -v68
	v_add_f32_e32 v64, v64, v67
	s_delay_alu instid0(VALU_DEP_4) | instskip(NEXT) | instid1(VALU_DEP_2)
	v_fma_f32 v66, v120, v92, -v66
	v_dual_add_f32 v63, v63, v130 :: v_dual_add_f32 v64, v64, v68
	s_delay_alu instid0(VALU_DEP_1) | instskip(NEXT) | instid1(VALU_DEP_1)
	v_dual_add_f32 v63, v63, v131 :: v_dual_add_f32 v64, v64, v66
	v_add_f32_e32 v63, v63, v132
	s_delay_alu instid0(VALU_DEP_1) | instskip(NEXT) | instid1(VALU_DEP_1)
	v_add_f32_e32 v63, v63, v133
	v_add_f32_e32 v63, v63, v134
	s_wait_loadcnt 0x0
	s_delay_alu instid0(VALU_DEP_1) | instskip(NEXT) | instid1(VALU_DEP_1)
	v_dual_add_f32 v66, v63, v135 :: v_dual_sub_f32 v63, v122, v64
	v_sub_f32_e32 v64, v123, v66
	scratch_store_b64 off, v[63:64], off offset:128
	v_cmpx_lt_u32_e32 15, v0
	s_cbranch_execz .LBB30_169
; %bb.168:
	scratch_load_b64 v[63:64], off, off offset:120
	v_mov_b32_e32 v66, 0
	s_delay_alu instid0(VALU_DEP_1)
	v_mov_b32_e32 v67, v66
	scratch_store_b64 off, v[66:67], off offset:120
	s_wait_loadcnt 0x0
	ds_store_b64 v65, v[63:64]
.LBB30_169:
	s_wait_alu 0xfffe
	s_or_b32 exec_lo, exec_lo, s0
	s_wait_storecnt_dscnt 0x0
	s_barrier_signal -1
	s_barrier_wait -1
	global_inv scope:SCOPE_SE
	s_clause 0x8
	scratch_load_b128 v[66:69], off, off offset:128
	scratch_load_b128 v[70:73], off, off offset:144
	;; [unrolled: 1-line block ×7, first 2 shown]
	scratch_load_b64 v[122:123], off, off offset:240
	scratch_load_b64 v[124:125], off, off offset:120
	v_mov_b32_e32 v63, 0
	ds_load_b128 v[94:97], v63 offset:384
	ds_load_b128 v[98:101], v63 offset:400
	;; [unrolled: 1-line block ×7, first 2 shown]
	ds_load_b64 v[126:127], v63 offset:496
	s_mov_b32 s0, exec_lo
	s_wait_loadcnt_dscnt 0x807
	v_mul_f32_e32 v64, v94, v67
	v_dual_mul_f32 v67, v95, v67 :: v_dual_mul_f32 v128, v96, v69
	s_wait_loadcnt_dscnt 0x706
	v_mul_f32_e32 v129, v98, v71
	v_mul_f32_e32 v69, v97, v69
	s_wait_loadcnt_dscnt 0x302
	v_mul_f32_e32 v138, v116, v89
	v_fma_f32 v67, v94, v66, -v67
	s_wait_loadcnt_dscnt 0x100
	v_dual_mul_f32 v141, v126, v123 :: v_dual_fmac_f32 v64, v95, v66
	v_mul_f32_e32 v66, v99, v71
	s_delay_alu instid0(VALU_DEP_3) | instskip(SKIP_1) | instid1(VALU_DEP_4)
	v_dual_fmac_f32 v128, v97, v68 :: v_dual_add_f32 v67, 0, v67
	v_fma_f32 v68, v96, v68, -v69
	v_dual_add_f32 v64, 0, v64 :: v_dual_mul_f32 v69, v101, v73
	v_fmac_f32_e32 v129, v99, v70
	v_fma_f32 v66, v98, v70, -v66
	v_dual_mul_f32 v130, v100, v73 :: v_dual_mul_f32 v131, v102, v75
	s_delay_alu instid0(VALU_DEP_4)
	v_add_f32_e32 v64, v64, v128
	v_add_f32_e32 v67, v67, v68
	v_mul_f32_e32 v68, v103, v75
	v_fma_f32 v69, v100, v72, -v69
	v_dual_mul_f32 v134, v108, v81 :: v_dual_mul_f32 v135, v110, v83
	v_add_f32_e32 v64, v64, v129
	v_dual_add_f32 v66, v67, v66 :: v_dual_mul_f32 v67, v105, v77
	v_fma_f32 v68, v102, v74, -v68
	v_dual_mul_f32 v136, v112, v85 :: v_dual_mul_f32 v137, v114, v87
	s_delay_alu instid0(VALU_DEP_3) | instskip(NEXT) | instid1(VALU_DEP_4)
	v_dual_add_f32 v66, v66, v69 :: v_dual_mul_f32 v69, v107, v79
	v_fma_f32 v67, v104, v76, -v67
	v_dual_mul_f32 v139, v118, v91 :: v_dual_mul_f32 v140, v120, v93
	s_delay_alu instid0(VALU_DEP_3) | instskip(SKIP_3) | instid1(VALU_DEP_4)
	v_dual_add_f32 v66, v66, v68 :: v_dual_fmac_f32 v135, v111, v82
	v_dual_fmac_f32 v130, v101, v72 :: v_dual_fmac_f32 v131, v103, v74
	v_dual_mul_f32 v68, v109, v81 :: v_dual_fmac_f32 v137, v115, v86
	v_fma_f32 v69, v106, v78, -v69
	v_dual_add_f32 v66, v66, v67 :: v_dual_fmac_f32 v139, v119, v90
	s_delay_alu instid0(VALU_DEP_4) | instskip(NEXT) | instid1(VALU_DEP_4)
	v_dual_add_f32 v64, v64, v130 :: v_dual_mul_f32 v67, v111, v83
	v_fma_f32 v68, v108, v80, -v68
	s_delay_alu instid0(VALU_DEP_3) | instskip(SKIP_3) | instid1(VALU_DEP_4)
	v_dual_add_f32 v66, v66, v69 :: v_dual_fmac_f32 v141, v127, v122
	v_dual_mul_f32 v132, v104, v77 :: v_dual_mul_f32 v133, v106, v79
	v_mul_f32_e32 v69, v113, v85
	v_fma_f32 v67, v110, v82, -v67
	v_add_f32_e32 v66, v66, v68
	s_delay_alu instid0(VALU_DEP_4) | instskip(SKIP_4) | instid1(VALU_DEP_4)
	v_dual_fmac_f32 v132, v105, v76 :: v_dual_fmac_f32 v133, v107, v78
	v_add_f32_e32 v64, v64, v131
	v_mul_f32_e32 v68, v115, v87
	v_fma_f32 v69, v112, v84, -v69
	v_dual_add_f32 v66, v66, v67 :: v_dual_mul_f32 v67, v117, v89
	v_add_f32_e32 v64, v64, v132
	s_delay_alu instid0(VALU_DEP_4) | instskip(SKIP_1) | instid1(VALU_DEP_4)
	v_fma_f32 v68, v114, v86, -v68
	v_fmac_f32_e32 v134, v109, v80
	v_dual_add_f32 v66, v66, v69 :: v_dual_mul_f32 v69, v119, v91
	s_delay_alu instid0(VALU_DEP_4) | instskip(SKIP_2) | instid1(VALU_DEP_4)
	v_add_f32_e32 v64, v64, v133
	v_fma_f32 v67, v116, v88, -v67
	v_fmac_f32_e32 v136, v113, v84
	v_add_f32_e32 v66, v66, v68
	v_fmac_f32_e32 v138, v117, v88
	v_mul_f32_e32 v68, v121, v93
	v_fma_f32 v69, v118, v90, -v69
	v_fmac_f32_e32 v140, v121, v92
	v_add_f32_e32 v66, v66, v67
	v_dual_mul_f32 v67, v127, v123 :: v_dual_add_f32 v64, v64, v134
	v_fma_f32 v68, v120, v92, -v68
	s_delay_alu instid0(VALU_DEP_3) | instskip(NEXT) | instid1(VALU_DEP_3)
	v_add_f32_e32 v66, v66, v69
	v_fma_f32 v67, v126, v122, -v67
	s_delay_alu instid0(VALU_DEP_4) | instskip(NEXT) | instid1(VALU_DEP_3)
	v_add_f32_e32 v64, v64, v135
	v_add_f32_e32 v66, v66, v68
	s_delay_alu instid0(VALU_DEP_2) | instskip(NEXT) | instid1(VALU_DEP_2)
	v_add_f32_e32 v64, v64, v136
	v_add_f32_e32 v66, v66, v67
	s_delay_alu instid0(VALU_DEP_2) | instskip(SKIP_1) | instid1(VALU_DEP_2)
	v_add_f32_e32 v64, v64, v137
	s_wait_loadcnt 0x0
	v_sub_f32_e32 v66, v124, v66
	s_delay_alu instid0(VALU_DEP_2) | instskip(NEXT) | instid1(VALU_DEP_1)
	v_add_f32_e32 v64, v64, v138
	v_add_f32_e32 v64, v64, v139
	s_delay_alu instid0(VALU_DEP_1) | instskip(NEXT) | instid1(VALU_DEP_1)
	v_add_f32_e32 v64, v64, v140
	v_add_f32_e32 v64, v64, v141
	s_delay_alu instid0(VALU_DEP_1)
	v_sub_f32_e32 v67, v125, v64
	scratch_store_b64 off, v[66:67], off offset:120
	v_cmpx_lt_u32_e32 14, v0
	s_cbranch_execz .LBB30_171
; %bb.170:
	scratch_load_b64 v[66:67], off, off offset:112
	v_mov_b32_e32 v64, v63
	scratch_store_b64 off, v[63:64], off offset:112
	s_wait_loadcnt 0x0
	ds_store_b64 v65, v[66:67]
.LBB30_171:
	s_wait_alu 0xfffe
	s_or_b32 exec_lo, exec_lo, s0
	s_wait_storecnt_dscnt 0x0
	s_barrier_signal -1
	s_barrier_wait -1
	global_inv scope:SCOPE_SE
	s_clause 0x8
	scratch_load_b128 v[66:69], off, off offset:120
	scratch_load_b128 v[70:73], off, off offset:136
	;; [unrolled: 1-line block ×8, first 2 shown]
	scratch_load_b64 v[130:131], off, off offset:112
	ds_load_2addr_b64 v[98:101], v63 offset0:47 offset1:48
	ds_load_2addr_b64 v[102:105], v63 offset0:49 offset1:50
	;; [unrolled: 1-line block ×8, first 2 shown]
	s_mov_b32 s0, exec_lo
	s_wait_loadcnt_dscnt 0x807
	v_dual_mul_f32 v63, v98, v67 :: v_dual_mul_f32 v64, v100, v69
	v_mul_f32_e32 v67, v99, v67
	s_wait_loadcnt_dscnt 0x706
	v_dual_mul_f32 v69, v101, v69 :: v_dual_mul_f32 v132, v102, v71
	s_delay_alu instid0(VALU_DEP_3) | instskip(NEXT) | instid1(VALU_DEP_3)
	v_dual_mul_f32 v133, v104, v73 :: v_dual_fmac_f32 v64, v101, v68
	v_fma_f32 v67, v98, v66, -v67
	v_fmac_f32_e32 v63, v99, v66
	v_mul_f32_e32 v66, v103, v71
	v_fma_f32 v68, v100, v68, -v69
	v_mul_f32_e32 v69, v105, v73
	v_dual_add_f32 v67, 0, v67 :: v_dual_fmac_f32 v132, v103, v70
	s_delay_alu instid0(VALU_DEP_4) | instskip(SKIP_2) | instid1(VALU_DEP_3)
	v_fma_f32 v66, v102, v70, -v66
	s_wait_loadcnt_dscnt 0x605
	v_dual_mul_f32 v134, v106, v75 :: v_dual_mul_f32 v135, v108, v77
	v_add_f32_e32 v67, v67, v68
	v_fmac_f32_e32 v133, v105, v72
	v_fma_f32 v68, v104, v72, -v69
	s_wait_loadcnt_dscnt 0x504
	v_dual_mul_f32 v136, v110, v79 :: v_dual_mul_f32 v137, v112, v81
	v_dual_add_f32 v66, v67, v66 :: v_dual_mul_f32 v67, v109, v77
	v_fmac_f32_e32 v134, v107, v74
	s_wait_loadcnt_dscnt 0x403
	v_dual_mul_f32 v138, v114, v83 :: v_dual_mul_f32 v139, v116, v85
	s_delay_alu instid0(VALU_DEP_3) | instskip(SKIP_3) | instid1(VALU_DEP_4)
	v_dual_add_f32 v66, v66, v68 :: v_dual_add_f32 v63, 0, v63
	v_mul_f32_e32 v68, v111, v79
	v_fma_f32 v67, v108, v76, -v67
	v_dual_fmac_f32 v135, v109, v76 :: v_dual_fmac_f32 v136, v111, v78
	v_add_f32_e32 v63, v63, v64
	v_mul_f32_e32 v64, v107, v75
	v_fma_f32 v68, v110, v78, -v68
	v_dual_fmac_f32 v137, v113, v80 :: v_dual_fmac_f32 v138, v115, v82
	s_wait_loadcnt_dscnt 0x302
	v_dual_mul_f32 v140, v118, v87 :: v_dual_mul_f32 v141, v120, v89
	v_fma_f32 v64, v106, v74, -v64
	s_wait_loadcnt_dscnt 0x201
	v_dual_mul_f32 v142, v122, v91 :: v_dual_mul_f32 v143, v124, v93
	s_wait_loadcnt_dscnt 0x100
	v_dual_mul_f32 v144, v126, v95 :: v_dual_mul_f32 v145, v128, v97
	v_add_f32_e32 v64, v66, v64
	v_mul_f32_e32 v66, v113, v81
	v_dual_fmac_f32 v142, v123, v90 :: v_dual_fmac_f32 v143, v125, v92
	s_delay_alu instid0(VALU_DEP_4) | instskip(NEXT) | instid1(VALU_DEP_4)
	v_dual_fmac_f32 v144, v127, v94 :: v_dual_fmac_f32 v145, v129, v96
	v_dual_add_f32 v64, v64, v67 :: v_dual_add_f32 v63, v63, v132
	v_mul_f32_e32 v67, v115, v83
	v_fma_f32 v66, v112, v80, -v66
	v_fmac_f32_e32 v139, v117, v84
	s_delay_alu instid0(VALU_DEP_4)
	v_add_f32_e32 v64, v64, v68
	v_mul_f32_e32 v68, v117, v85
	v_add_f32_e32 v63, v63, v133
	v_fma_f32 v67, v114, v82, -v67
	v_fmac_f32_e32 v140, v119, v86
	v_add_f32_e32 v64, v64, v66
	v_mul_f32_e32 v66, v119, v87
	v_add_f32_e32 v63, v63, v134
	v_fma_f32 v68, v116, v84, -v68
	s_delay_alu instid0(VALU_DEP_4) | instskip(SKIP_1) | instid1(VALU_DEP_4)
	v_dual_fmac_f32 v141, v121, v88 :: v_dual_add_f32 v64, v64, v67
	v_mul_f32_e32 v67, v121, v89
	v_add_f32_e32 v63, v63, v135
	v_fma_f32 v66, v118, v86, -v66
	s_delay_alu instid0(VALU_DEP_4) | instskip(NEXT) | instid1(VALU_DEP_4)
	v_add_f32_e32 v64, v64, v68
	v_fma_f32 v67, v120, v88, -v67
	s_delay_alu instid0(VALU_DEP_4) | instskip(SKIP_1) | instid1(VALU_DEP_4)
	v_add_f32_e32 v63, v63, v136
	v_mul_f32_e32 v68, v123, v91
	v_add_f32_e32 v64, v64, v66
	v_mul_f32_e32 v66, v125, v93
	s_delay_alu instid0(VALU_DEP_4) | instskip(NEXT) | instid1(VALU_DEP_4)
	v_add_f32_e32 v63, v63, v137
	v_fma_f32 v68, v122, v90, -v68
	s_delay_alu instid0(VALU_DEP_4) | instskip(SKIP_1) | instid1(VALU_DEP_4)
	v_add_f32_e32 v64, v64, v67
	v_mul_f32_e32 v67, v127, v95
	v_add_f32_e32 v63, v63, v138
	v_fma_f32 v66, v124, v92, -v66
	s_delay_alu instid0(VALU_DEP_4) | instskip(NEXT) | instid1(VALU_DEP_3)
	v_add_f32_e32 v64, v64, v68
	v_dual_mul_f32 v68, v129, v97 :: v_dual_add_f32 v63, v63, v139
	v_fma_f32 v67, v126, v94, -v67
	s_delay_alu instid0(VALU_DEP_3) | instskip(NEXT) | instid1(VALU_DEP_3)
	v_add_f32_e32 v64, v64, v66
	v_fma_f32 v66, v128, v96, -v68
	s_delay_alu instid0(VALU_DEP_2) | instskip(NEXT) | instid1(VALU_DEP_1)
	v_dual_add_f32 v63, v63, v140 :: v_dual_add_f32 v64, v64, v67
	v_dual_add_f32 v63, v63, v141 :: v_dual_add_f32 v64, v64, v66
	s_delay_alu instid0(VALU_DEP_1) | instskip(NEXT) | instid1(VALU_DEP_1)
	v_add_f32_e32 v63, v63, v142
	v_add_f32_e32 v63, v63, v143
	s_delay_alu instid0(VALU_DEP_1) | instskip(SKIP_1) | instid1(VALU_DEP_1)
	v_add_f32_e32 v63, v63, v144
	s_wait_loadcnt 0x0
	v_dual_add_f32 v66, v63, v145 :: v_dual_sub_f32 v63, v130, v64
	s_delay_alu instid0(VALU_DEP_1)
	v_sub_f32_e32 v64, v131, v66
	scratch_store_b64 off, v[63:64], off offset:112
	v_cmpx_lt_u32_e32 13, v0
	s_cbranch_execz .LBB30_173
; %bb.172:
	scratch_load_b64 v[63:64], off, off offset:104
	v_mov_b32_e32 v66, 0
	s_delay_alu instid0(VALU_DEP_1)
	v_mov_b32_e32 v67, v66
	scratch_store_b64 off, v[66:67], off offset:104
	s_wait_loadcnt 0x0
	ds_store_b64 v65, v[63:64]
.LBB30_173:
	s_wait_alu 0xfffe
	s_or_b32 exec_lo, exec_lo, s0
	s_wait_storecnt_dscnt 0x0
	s_barrier_signal -1
	s_barrier_wait -1
	global_inv scope:SCOPE_SE
	s_clause 0x9
	scratch_load_b128 v[66:69], off, off offset:112
	scratch_load_b128 v[70:73], off, off offset:128
	;; [unrolled: 1-line block ×8, first 2 shown]
	scratch_load_b64 v[130:131], off, off offset:240
	scratch_load_b64 v[132:133], off, off offset:104
	v_mov_b32_e32 v63, 0
	ds_load_b128 v[98:101], v63 offset:368
	ds_load_b128 v[102:105], v63 offset:384
	;; [unrolled: 1-line block ×8, first 2 shown]
	ds_load_b64 v[134:135], v63 offset:496
	s_mov_b32 s0, exec_lo
	s_wait_loadcnt_dscnt 0x908
	v_mul_f32_e32 v64, v98, v67
	s_wait_loadcnt_dscnt 0x807
	v_dual_mul_f32 v136, v100, v69 :: v_dual_mul_f32 v137, v102, v71
	v_mul_f32_e32 v67, v99, v67
	s_delay_alu instid0(VALU_DEP_3)
	v_dual_mul_f32 v69, v101, v69 :: v_dual_fmac_f32 v64, v99, v66
	s_wait_loadcnt_dscnt 0x302
	v_mul_f32_e32 v148, v124, v93
	v_dual_mul_f32 v138, v104, v73 :: v_dual_mul_f32 v139, v106, v75
	s_wait_loadcnt_dscnt 0x100
	v_mul_f32_e32 v151, v134, v131
	v_fma_f32 v67, v98, v66, -v67
	v_mul_f32_e32 v66, v103, v71
	v_fmac_f32_e32 v136, v101, v68
	v_fma_f32 v68, v100, v68, -v69
	v_dual_add_f32 v64, 0, v64 :: v_dual_mul_f32 v69, v105, v73
	v_add_f32_e32 v67, 0, v67
	v_fmac_f32_e32 v137, v103, v70
	v_fma_f32 v66, v102, v70, -v66
	s_delay_alu instid0(VALU_DEP_4)
	v_add_f32_e32 v64, v64, v136
	v_fma_f32 v69, v104, v72, -v69
	v_add_f32_e32 v67, v67, v68
	v_mul_f32_e32 v68, v107, v75
	v_dual_mul_f32 v142, v112, v81 :: v_dual_mul_f32 v143, v114, v83
	v_add_f32_e32 v64, v64, v137
	s_delay_alu instid0(VALU_DEP_4) | instskip(NEXT) | instid1(VALU_DEP_4)
	v_dual_add_f32 v66, v67, v66 :: v_dual_mul_f32 v67, v109, v77
	v_fma_f32 v68, v106, v74, -v68
	v_dual_mul_f32 v144, v116, v85 :: v_dual_mul_f32 v145, v118, v87
	s_delay_alu instid0(VALU_DEP_3) | instskip(NEXT) | instid1(VALU_DEP_4)
	v_dual_add_f32 v66, v66, v69 :: v_dual_mul_f32 v69, v111, v79
	v_fma_f32 v67, v108, v76, -v67
	v_dual_mul_f32 v146, v120, v89 :: v_dual_mul_f32 v147, v122, v91
	s_delay_alu instid0(VALU_DEP_3) | instskip(SKIP_3) | instid1(VALU_DEP_4)
	v_dual_add_f32 v66, v66, v68 :: v_dual_fmac_f32 v143, v115, v82
	v_dual_fmac_f32 v138, v105, v72 :: v_dual_fmac_f32 v139, v107, v74
	v_dual_mul_f32 v68, v113, v81 :: v_dual_fmac_f32 v145, v119, v86
	v_fma_f32 v69, v110, v78, -v69
	v_dual_add_f32 v66, v66, v67 :: v_dual_fmac_f32 v147, v123, v90
	v_dual_mul_f32 v149, v126, v95 :: v_dual_mul_f32 v150, v128, v97
	v_dual_add_f32 v64, v64, v138 :: v_dual_mul_f32 v67, v115, v83
	v_fma_f32 v68, v112, v80, -v68
	s_delay_alu instid0(VALU_DEP_3) | instskip(SKIP_3) | instid1(VALU_DEP_4)
	v_dual_add_f32 v66, v66, v69 :: v_dual_fmac_f32 v149, v127, v94
	v_dual_mul_f32 v140, v108, v77 :: v_dual_mul_f32 v141, v110, v79
	v_mul_f32_e32 v69, v117, v85
	v_fma_f32 v67, v114, v82, -v67
	v_add_f32_e32 v66, v66, v68
	s_delay_alu instid0(VALU_DEP_4) | instskip(SKIP_4) | instid1(VALU_DEP_4)
	v_dual_fmac_f32 v140, v109, v76 :: v_dual_fmac_f32 v141, v111, v78
	v_add_f32_e32 v64, v64, v139
	v_mul_f32_e32 v68, v119, v87
	v_fma_f32 v69, v116, v84, -v69
	v_dual_add_f32 v66, v66, v67 :: v_dual_mul_f32 v67, v121, v89
	v_add_f32_e32 v64, v64, v140
	s_delay_alu instid0(VALU_DEP_4) | instskip(SKIP_1) | instid1(VALU_DEP_4)
	v_fma_f32 v68, v118, v86, -v68
	v_fmac_f32_e32 v142, v113, v80
	v_dual_add_f32 v66, v66, v69 :: v_dual_mul_f32 v69, v123, v91
	s_delay_alu instid0(VALU_DEP_4) | instskip(SKIP_1) | instid1(VALU_DEP_3)
	v_dual_add_f32 v64, v64, v141 :: v_dual_fmac_f32 v151, v135, v130
	v_fma_f32 v67, v120, v88, -v67
	v_add_f32_e32 v66, v66, v68
	v_fmac_f32_e32 v144, v117, v84
	v_fmac_f32_e32 v146, v121, v88
	v_mul_f32_e32 v68, v125, v93
	v_fma_f32 v69, v122, v90, -v69
	v_add_f32_e32 v66, v66, v67
	v_dual_mul_f32 v67, v127, v95 :: v_dual_add_f32 v64, v64, v142
	v_fmac_f32_e32 v148, v125, v92
	v_fma_f32 v68, v124, v92, -v68
	s_delay_alu instid0(VALU_DEP_4) | instskip(NEXT) | instid1(VALU_DEP_4)
	v_add_f32_e32 v66, v66, v69
	v_dual_mul_f32 v69, v129, v97 :: v_dual_add_f32 v64, v64, v143
	v_fma_f32 v67, v126, v94, -v67
	v_fmac_f32_e32 v150, v129, v96
	s_delay_alu instid0(VALU_DEP_4) | instskip(SKIP_3) | instid1(VALU_DEP_4)
	v_add_f32_e32 v66, v66, v68
	v_mul_f32_e32 v68, v135, v131
	v_add_f32_e32 v64, v64, v144
	v_fma_f32 v69, v128, v96, -v69
	v_add_f32_e32 v66, v66, v67
	s_delay_alu instid0(VALU_DEP_4) | instskip(NEXT) | instid1(VALU_DEP_4)
	v_fma_f32 v67, v134, v130, -v68
	v_add_f32_e32 v64, v64, v145
	s_delay_alu instid0(VALU_DEP_3) | instskip(NEXT) | instid1(VALU_DEP_2)
	v_add_f32_e32 v66, v66, v69
	v_add_f32_e32 v64, v64, v146
	s_delay_alu instid0(VALU_DEP_2) | instskip(NEXT) | instid1(VALU_DEP_2)
	v_add_f32_e32 v66, v66, v67
	v_add_f32_e32 v64, v64, v147
	s_wait_loadcnt 0x0
	s_delay_alu instid0(VALU_DEP_2) | instskip(NEXT) | instid1(VALU_DEP_2)
	v_sub_f32_e32 v66, v132, v66
	v_add_f32_e32 v64, v64, v148
	s_delay_alu instid0(VALU_DEP_1) | instskip(NEXT) | instid1(VALU_DEP_1)
	v_add_f32_e32 v64, v64, v149
	v_add_f32_e32 v64, v64, v150
	s_delay_alu instid0(VALU_DEP_1) | instskip(NEXT) | instid1(VALU_DEP_1)
	v_add_f32_e32 v64, v64, v151
	v_sub_f32_e32 v67, v133, v64
	scratch_store_b64 off, v[66:67], off offset:104
	v_cmpx_lt_u32_e32 12, v0
	s_cbranch_execz .LBB30_175
; %bb.174:
	scratch_load_b64 v[66:67], off, off offset:96
	v_mov_b32_e32 v64, v63
	scratch_store_b64 off, v[63:64], off offset:96
	s_wait_loadcnt 0x0
	ds_store_b64 v65, v[66:67]
.LBB30_175:
	s_wait_alu 0xfffe
	s_or_b32 exec_lo, exec_lo, s0
	s_wait_storecnt_dscnt 0x0
	s_barrier_signal -1
	s_barrier_wait -1
	global_inv scope:SCOPE_SE
	s_clause 0x9
	scratch_load_b128 v[66:69], off, off offset:104
	scratch_load_b128 v[70:73], off, off offset:120
	;; [unrolled: 1-line block ×9, first 2 shown]
	scratch_load_b64 v[138:139], off, off offset:96
	ds_load_2addr_b64 v[102:105], v63 offset0:45 offset1:46
	ds_load_2addr_b64 v[106:109], v63 offset0:47 offset1:48
	;; [unrolled: 1-line block ×9, first 2 shown]
	s_mov_b32 s0, exec_lo
	s_wait_loadcnt_dscnt 0x908
	v_dual_mul_f32 v63, v102, v67 :: v_dual_mul_f32 v64, v104, v69
	v_mul_f32_e32 v67, v103, v67
	s_wait_loadcnt_dscnt 0x807
	v_dual_mul_f32 v69, v105, v69 :: v_dual_mul_f32 v140, v106, v71
	s_delay_alu instid0(VALU_DEP_3) | instskip(NEXT) | instid1(VALU_DEP_3)
	v_dual_mul_f32 v141, v108, v73 :: v_dual_fmac_f32 v64, v105, v68
	v_fma_f32 v67, v102, v66, -v67
	v_fmac_f32_e32 v63, v103, v66
	v_mul_f32_e32 v66, v107, v71
	v_fma_f32 v68, v104, v68, -v69
	v_mul_f32_e32 v69, v109, v73
	v_dual_add_f32 v67, 0, v67 :: v_dual_fmac_f32 v140, v107, v70
	s_delay_alu instid0(VALU_DEP_4) | instskip(SKIP_2) | instid1(VALU_DEP_3)
	v_fma_f32 v66, v106, v70, -v66
	s_wait_loadcnt_dscnt 0x706
	v_dual_mul_f32 v142, v110, v75 :: v_dual_mul_f32 v143, v112, v77
	v_add_f32_e32 v67, v67, v68
	v_fmac_f32_e32 v141, v109, v72
	v_fma_f32 v68, v108, v72, -v69
	s_wait_loadcnt_dscnt 0x605
	v_dual_mul_f32 v144, v114, v79 :: v_dual_mul_f32 v145, v116, v81
	v_dual_add_f32 v66, v67, v66 :: v_dual_mul_f32 v67, v113, v77
	v_fmac_f32_e32 v142, v111, v74
	s_wait_loadcnt_dscnt 0x504
	v_dual_mul_f32 v146, v118, v83 :: v_dual_mul_f32 v147, v120, v85
	s_delay_alu instid0(VALU_DEP_3) | instskip(SKIP_3) | instid1(VALU_DEP_4)
	v_dual_add_f32 v66, v66, v68 :: v_dual_add_f32 v63, 0, v63
	v_mul_f32_e32 v68, v115, v79
	v_fma_f32 v67, v112, v76, -v67
	v_dual_fmac_f32 v143, v113, v76 :: v_dual_fmac_f32 v144, v115, v78
	v_add_f32_e32 v63, v63, v64
	v_mul_f32_e32 v64, v111, v75
	v_fma_f32 v68, v114, v78, -v68
	v_dual_fmac_f32 v145, v117, v80 :: v_dual_fmac_f32 v146, v119, v82
	s_wait_loadcnt_dscnt 0x403
	v_dual_mul_f32 v148, v122, v87 :: v_dual_mul_f32 v149, v124, v89
	v_fma_f32 v64, v110, v74, -v64
	s_wait_loadcnt_dscnt 0x302
	v_dual_mul_f32 v150, v126, v91 :: v_dual_mul_f32 v151, v128, v93
	s_wait_loadcnt_dscnt 0x201
	v_dual_mul_f32 v152, v130, v95 :: v_dual_mul_f32 v153, v132, v97
	v_add_f32_e32 v64, v66, v64
	v_mul_f32_e32 v66, v117, v81
	v_dual_fmac_f32 v150, v127, v90 :: v_dual_fmac_f32 v151, v129, v92
	s_delay_alu instid0(VALU_DEP_4) | instskip(NEXT) | instid1(VALU_DEP_4)
	v_dual_fmac_f32 v152, v131, v94 :: v_dual_fmac_f32 v153, v133, v96
	v_dual_add_f32 v64, v64, v67 :: v_dual_add_f32 v63, v63, v140
	v_mul_f32_e32 v67, v119, v83
	v_fma_f32 v66, v116, v80, -v66
	v_fmac_f32_e32 v147, v121, v84
	s_delay_alu instid0(VALU_DEP_4)
	v_add_f32_e32 v64, v64, v68
	v_mul_f32_e32 v68, v121, v85
	v_add_f32_e32 v63, v63, v141
	v_fma_f32 v67, v118, v82, -v67
	v_fmac_f32_e32 v148, v123, v86
	v_add_f32_e32 v64, v64, v66
	v_mul_f32_e32 v66, v123, v87
	v_add_f32_e32 v63, v63, v142
	v_fma_f32 v68, v120, v84, -v68
	s_delay_alu instid0(VALU_DEP_4) | instskip(SKIP_1) | instid1(VALU_DEP_4)
	v_dual_fmac_f32 v149, v125, v88 :: v_dual_add_f32 v64, v64, v67
	v_mul_f32_e32 v67, v125, v89
	v_add_f32_e32 v63, v63, v143
	v_fma_f32 v66, v122, v86, -v66
	s_wait_loadcnt_dscnt 0x100
	v_dual_mul_f32 v154, v134, v99 :: v_dual_mul_f32 v155, v136, v101
	v_add_f32_e32 v64, v64, v68
	v_add_f32_e32 v63, v63, v144
	v_fma_f32 v67, v124, v88, -v67
	v_mul_f32_e32 v68, v127, v91
	v_dual_fmac_f32 v154, v135, v98 :: v_dual_fmac_f32 v155, v137, v100
	s_delay_alu instid0(VALU_DEP_4) | instskip(SKIP_1) | instid1(VALU_DEP_4)
	v_dual_add_f32 v64, v64, v66 :: v_dual_add_f32 v63, v63, v145
	v_mul_f32_e32 v66, v129, v93
	v_fma_f32 v68, v126, v90, -v68
	s_delay_alu instid0(VALU_DEP_3) | instskip(SKIP_1) | instid1(VALU_DEP_4)
	v_dual_add_f32 v64, v64, v67 :: v_dual_add_f32 v63, v63, v146
	v_mul_f32_e32 v67, v131, v95
	v_fma_f32 v66, v128, v92, -v66
	s_delay_alu instid0(VALU_DEP_3) | instskip(SKIP_1) | instid1(VALU_DEP_4)
	;; [unrolled: 4-line block ×4, first 2 shown]
	v_dual_add_f32 v64, v64, v67 :: v_dual_add_f32 v63, v63, v149
	v_mul_f32_e32 v67, v137, v101
	v_fma_f32 v66, v134, v98, -v66
	s_delay_alu instid0(VALU_DEP_3) | instskip(NEXT) | instid1(VALU_DEP_3)
	v_dual_add_f32 v64, v64, v68 :: v_dual_add_f32 v63, v63, v150
	v_fma_f32 v67, v136, v100, -v67
	s_delay_alu instid0(VALU_DEP_2) | instskip(NEXT) | instid1(VALU_DEP_1)
	v_dual_add_f32 v64, v64, v66 :: v_dual_add_f32 v63, v63, v151
	v_dual_add_f32 v64, v64, v67 :: v_dual_add_f32 v63, v63, v152
	s_delay_alu instid0(VALU_DEP_1) | instskip(NEXT) | instid1(VALU_DEP_1)
	v_add_f32_e32 v63, v63, v153
	v_add_f32_e32 v63, v63, v154
	s_wait_loadcnt 0x0
	s_delay_alu instid0(VALU_DEP_1) | instskip(NEXT) | instid1(VALU_DEP_1)
	v_dual_add_f32 v66, v63, v155 :: v_dual_sub_f32 v63, v138, v64
	v_sub_f32_e32 v64, v139, v66
	scratch_store_b64 off, v[63:64], off offset:96
	v_cmpx_lt_u32_e32 11, v0
	s_cbranch_execz .LBB30_177
; %bb.176:
	scratch_load_b64 v[63:64], off, off offset:88
	v_mov_b32_e32 v66, 0
	s_delay_alu instid0(VALU_DEP_1)
	v_mov_b32_e32 v67, v66
	scratch_store_b64 off, v[66:67], off offset:88
	s_wait_loadcnt 0x0
	ds_store_b64 v65, v[63:64]
.LBB30_177:
	s_wait_alu 0xfffe
	s_or_b32 exec_lo, exec_lo, s0
	s_wait_storecnt_dscnt 0x0
	s_barrier_signal -1
	s_barrier_wait -1
	global_inv scope:SCOPE_SE
	s_clause 0xa
	scratch_load_b128 v[66:69], off, off offset:96
	scratch_load_b128 v[70:73], off, off offset:112
	;; [unrolled: 1-line block ×9, first 2 shown]
	scratch_load_b64 v[138:139], off, off offset:240
	scratch_load_b64 v[140:141], off, off offset:88
	v_mov_b32_e32 v63, 0
	ds_load_b128 v[102:105], v63 offset:352
	ds_load_b128 v[106:109], v63 offset:368
	;; [unrolled: 1-line block ×9, first 2 shown]
	ds_load_b64 v[142:143], v63 offset:496
	s_mov_b32 s0, exec_lo
	s_wait_loadcnt_dscnt 0xa09
	v_mul_f32_e32 v64, v102, v67
	s_wait_loadcnt_dscnt 0x908
	v_dual_mul_f32 v144, v104, v69 :: v_dual_mul_f32 v145, v106, v71
	v_mul_f32_e32 v67, v103, v67
	s_delay_alu instid0(VALU_DEP_3)
	v_dual_mul_f32 v69, v105, v69 :: v_dual_fmac_f32 v64, v103, v66
	s_wait_loadcnt_dscnt 0x807
	v_dual_mul_f32 v146, v108, v73 :: v_dual_mul_f32 v147, v110, v75
	s_wait_loadcnt_dscnt 0x100
	v_dual_mul_f32 v158, v132, v97 :: v_dual_mul_f32 v161, v142, v139
	v_fma_f32 v67, v102, v66, -v67
	v_mul_f32_e32 v66, v107, v71
	v_fmac_f32_e32 v144, v105, v68
	v_fma_f32 v68, v104, v68, -v69
	v_dual_add_f32 v64, 0, v64 :: v_dual_mul_f32 v69, v109, v73
	v_add_f32_e32 v67, 0, v67
	v_fmac_f32_e32 v145, v107, v70
	v_fma_f32 v66, v106, v70, -v66
	s_delay_alu instid0(VALU_DEP_4)
	v_add_f32_e32 v64, v64, v144
	v_fma_f32 v69, v108, v72, -v69
	v_add_f32_e32 v67, v67, v68
	v_mul_f32_e32 v68, v111, v75
	v_dual_mul_f32 v150, v116, v81 :: v_dual_mul_f32 v151, v118, v83
	v_add_f32_e32 v64, v64, v145
	s_delay_alu instid0(VALU_DEP_4) | instskip(NEXT) | instid1(VALU_DEP_4)
	v_dual_add_f32 v66, v67, v66 :: v_dual_mul_f32 v67, v113, v77
	v_fma_f32 v68, v110, v74, -v68
	v_dual_mul_f32 v152, v120, v85 :: v_dual_mul_f32 v153, v122, v87
	s_delay_alu instid0(VALU_DEP_3) | instskip(NEXT) | instid1(VALU_DEP_4)
	v_dual_add_f32 v66, v66, v69 :: v_dual_mul_f32 v69, v115, v79
	v_fma_f32 v67, v112, v76, -v67
	v_dual_mul_f32 v154, v124, v89 :: v_dual_mul_f32 v155, v126, v91
	s_delay_alu instid0(VALU_DEP_3) | instskip(SKIP_3) | instid1(VALU_DEP_4)
	v_dual_add_f32 v66, v66, v68 :: v_dual_fmac_f32 v151, v119, v82
	v_dual_fmac_f32 v146, v109, v72 :: v_dual_fmac_f32 v147, v111, v74
	v_dual_mul_f32 v68, v117, v81 :: v_dual_fmac_f32 v153, v123, v86
	v_fma_f32 v69, v114, v78, -v69
	v_dual_add_f32 v66, v66, v67 :: v_dual_fmac_f32 v155, v127, v90
	v_dual_mul_f32 v156, v128, v93 :: v_dual_mul_f32 v157, v130, v95
	v_dual_add_f32 v64, v64, v146 :: v_dual_mul_f32 v67, v119, v83
	v_fma_f32 v68, v116, v80, -v68
	s_delay_alu instid0(VALU_DEP_3) | instskip(SKIP_1) | instid1(VALU_DEP_4)
	v_dual_add_f32 v66, v66, v69 :: v_dual_fmac_f32 v157, v131, v94
	v_mul_f32_e32 v69, v121, v85
	v_fma_f32 v67, v118, v82, -v67
	v_dual_mul_f32 v148, v112, v77 :: v_dual_mul_f32 v149, v114, v79
	s_delay_alu instid0(VALU_DEP_4) | instskip(SKIP_2) | instid1(VALU_DEP_4)
	v_add_f32_e32 v66, v66, v68
	v_mul_f32_e32 v68, v123, v87
	v_fma_f32 v69, v120, v84, -v69
	v_dual_fmac_f32 v148, v113, v76 :: v_dual_fmac_f32 v149, v115, v78
	s_delay_alu instid0(VALU_DEP_4) | instskip(SKIP_2) | instid1(VALU_DEP_3)
	v_dual_add_f32 v66, v66, v67 :: v_dual_fmac_f32 v161, v143, v138
	v_dual_add_f32 v64, v64, v147 :: v_dual_mul_f32 v67, v125, v89
	v_fma_f32 v68, v122, v86, -v68
	v_dual_add_f32 v66, v66, v69 :: v_dual_mul_f32 v69, v127, v91
	s_delay_alu instid0(VALU_DEP_3) | instskip(NEXT) | instid1(VALU_DEP_4)
	v_add_f32_e32 v64, v64, v148
	v_fma_f32 v67, v124, v88, -v67
	v_dual_mul_f32 v159, v134, v99 :: v_dual_mul_f32 v160, v136, v101
	s_delay_alu instid0(VALU_DEP_4)
	v_add_f32_e32 v66, v66, v68
	v_mul_f32_e32 v68, v129, v93
	v_fma_f32 v69, v126, v90, -v69
	v_fmac_f32_e32 v150, v117, v80
	v_dual_add_f32 v64, v64, v149 :: v_dual_fmac_f32 v159, v135, v98
	v_add_f32_e32 v66, v66, v67
	v_mul_f32_e32 v67, v131, v95
	v_fma_f32 v68, v128, v92, -v68
	s_delay_alu instid0(VALU_DEP_4)
	v_add_f32_e32 v64, v64, v150
	v_fmac_f32_e32 v152, v121, v84
	v_add_f32_e32 v66, v66, v69
	v_mul_f32_e32 v69, v133, v97
	v_fma_f32 v67, v130, v94, -v67
	v_fmac_f32_e32 v154, v125, v88
	v_fmac_f32_e32 v156, v129, v92
	v_add_f32_e32 v66, v66, v68
	v_fma_f32 v69, v132, v96, -v69
	v_mul_f32_e32 v68, v135, v99
	v_fmac_f32_e32 v158, v133, v96
	v_fmac_f32_e32 v160, v137, v100
	v_dual_add_f32 v66, v66, v67 :: v_dual_mul_f32 v67, v137, v101
	v_add_f32_e32 v64, v64, v151
	v_fma_f32 v68, v134, v98, -v68
	s_delay_alu instid0(VALU_DEP_3) | instskip(NEXT) | instid1(VALU_DEP_3)
	v_dual_add_f32 v66, v66, v69 :: v_dual_mul_f32 v69, v143, v139
	v_add_f32_e32 v64, v64, v152
	v_fma_f32 v67, v136, v100, -v67
	s_delay_alu instid0(VALU_DEP_3) | instskip(NEXT) | instid1(VALU_DEP_4)
	v_add_f32_e32 v66, v66, v68
	v_fma_f32 v68, v142, v138, -v69
	s_delay_alu instid0(VALU_DEP_4) | instskip(NEXT) | instid1(VALU_DEP_3)
	v_add_f32_e32 v64, v64, v153
	v_add_f32_e32 v66, v66, v67
	s_delay_alu instid0(VALU_DEP_2) | instskip(NEXT) | instid1(VALU_DEP_2)
	v_add_f32_e32 v64, v64, v154
	v_add_f32_e32 v66, v66, v68
	s_delay_alu instid0(VALU_DEP_2) | instskip(SKIP_1) | instid1(VALU_DEP_2)
	v_add_f32_e32 v64, v64, v155
	s_wait_loadcnt 0x0
	v_sub_f32_e32 v66, v140, v66
	s_delay_alu instid0(VALU_DEP_2) | instskip(NEXT) | instid1(VALU_DEP_1)
	v_add_f32_e32 v64, v64, v156
	v_add_f32_e32 v64, v64, v157
	s_delay_alu instid0(VALU_DEP_1) | instskip(NEXT) | instid1(VALU_DEP_1)
	v_add_f32_e32 v64, v64, v158
	v_add_f32_e32 v64, v64, v159
	s_delay_alu instid0(VALU_DEP_1) | instskip(NEXT) | instid1(VALU_DEP_1)
	v_add_f32_e32 v64, v64, v160
	v_add_f32_e32 v64, v64, v161
	s_delay_alu instid0(VALU_DEP_1)
	v_sub_f32_e32 v67, v141, v64
	scratch_store_b64 off, v[66:67], off offset:88
	v_cmpx_lt_u32_e32 10, v0
	s_cbranch_execz .LBB30_179
; %bb.178:
	scratch_load_b64 v[66:67], off, off offset:80
	v_mov_b32_e32 v64, v63
	scratch_store_b64 off, v[63:64], off offset:80
	s_wait_loadcnt 0x0
	ds_store_b64 v65, v[66:67]
.LBB30_179:
	s_wait_alu 0xfffe
	s_or_b32 exec_lo, exec_lo, s0
	s_wait_storecnt_dscnt 0x0
	s_barrier_signal -1
	s_barrier_wait -1
	global_inv scope:SCOPE_SE
	s_clause 0xa
	scratch_load_b128 v[66:69], off, off offset:88
	scratch_load_b128 v[70:73], off, off offset:104
	;; [unrolled: 1-line block ×10, first 2 shown]
	scratch_load_b64 v[146:147], off, off offset:80
	ds_load_2addr_b64 v[106:109], v63 offset0:43 offset1:44
	ds_load_2addr_b64 v[110:113], v63 offset0:45 offset1:46
	ds_load_2addr_b64 v[114:117], v63 offset0:47 offset1:48
	ds_load_2addr_b64 v[118:121], v63 offset0:49 offset1:50
	ds_load_2addr_b64 v[122:125], v63 offset0:51 offset1:52
	ds_load_2addr_b64 v[126:129], v63 offset0:53 offset1:54
	ds_load_2addr_b64 v[130:133], v63 offset0:55 offset1:56
	ds_load_2addr_b64 v[134:137], v63 offset0:57 offset1:58
	ds_load_2addr_b64 v[138:141], v63 offset0:59 offset1:60
	ds_load_2addr_b64 v[142:145], v63 offset0:61 offset1:62
	s_mov_b32 s0, exec_lo
	s_wait_loadcnt_dscnt 0xa09
	v_dual_mul_f32 v63, v106, v67 :: v_dual_mul_f32 v64, v108, v69
	v_mul_f32_e32 v67, v107, v67
	s_wait_loadcnt_dscnt 0x908
	v_dual_mul_f32 v69, v109, v69 :: v_dual_mul_f32 v148, v110, v71
	s_delay_alu instid0(VALU_DEP_3) | instskip(NEXT) | instid1(VALU_DEP_3)
	v_dual_mul_f32 v149, v112, v73 :: v_dual_fmac_f32 v64, v109, v68
	v_fma_f32 v67, v106, v66, -v67
	v_fmac_f32_e32 v63, v107, v66
	v_mul_f32_e32 v66, v111, v71
	v_fma_f32 v68, v108, v68, -v69
	v_mul_f32_e32 v69, v113, v73
	v_dual_add_f32 v67, 0, v67 :: v_dual_fmac_f32 v148, v111, v70
	s_delay_alu instid0(VALU_DEP_4) | instskip(SKIP_2) | instid1(VALU_DEP_3)
	v_fma_f32 v66, v110, v70, -v66
	s_wait_loadcnt_dscnt 0x807
	v_dual_mul_f32 v150, v114, v75 :: v_dual_mul_f32 v151, v116, v77
	v_add_f32_e32 v67, v67, v68
	v_fmac_f32_e32 v149, v113, v72
	v_fma_f32 v68, v112, v72, -v69
	s_wait_loadcnt_dscnt 0x706
	v_dual_mul_f32 v152, v118, v79 :: v_dual_mul_f32 v153, v120, v81
	v_dual_add_f32 v66, v67, v66 :: v_dual_mul_f32 v67, v117, v77
	v_fmac_f32_e32 v150, v115, v74
	s_wait_loadcnt_dscnt 0x605
	v_dual_mul_f32 v154, v122, v83 :: v_dual_mul_f32 v155, v124, v85
	s_delay_alu instid0(VALU_DEP_3) | instskip(SKIP_3) | instid1(VALU_DEP_4)
	v_dual_add_f32 v66, v66, v68 :: v_dual_add_f32 v63, 0, v63
	v_mul_f32_e32 v68, v119, v79
	v_fma_f32 v67, v116, v76, -v67
	v_dual_fmac_f32 v151, v117, v76 :: v_dual_fmac_f32 v152, v119, v78
	v_add_f32_e32 v63, v63, v64
	v_mul_f32_e32 v64, v115, v75
	v_fma_f32 v68, v118, v78, -v68
	v_dual_fmac_f32 v153, v121, v80 :: v_dual_fmac_f32 v154, v123, v82
	s_wait_loadcnt_dscnt 0x504
	v_dual_mul_f32 v156, v126, v87 :: v_dual_mul_f32 v157, v128, v89
	v_fma_f32 v64, v114, v74, -v64
	s_wait_loadcnt_dscnt 0x403
	v_dual_mul_f32 v158, v130, v91 :: v_dual_mul_f32 v159, v132, v93
	s_wait_loadcnt_dscnt 0x302
	v_dual_mul_f32 v160, v134, v95 :: v_dual_mul_f32 v161, v136, v97
	v_add_f32_e32 v64, v66, v64
	v_mul_f32_e32 v66, v121, v81
	v_dual_fmac_f32 v158, v131, v90 :: v_dual_fmac_f32 v159, v133, v92
	s_delay_alu instid0(VALU_DEP_4) | instskip(NEXT) | instid1(VALU_DEP_4)
	v_dual_fmac_f32 v160, v135, v94 :: v_dual_fmac_f32 v161, v137, v96
	v_dual_add_f32 v64, v64, v67 :: v_dual_add_f32 v63, v63, v148
	v_mul_f32_e32 v67, v123, v83
	v_fma_f32 v66, v120, v80, -v66
	v_fmac_f32_e32 v155, v125, v84
	s_delay_alu instid0(VALU_DEP_4)
	v_add_f32_e32 v64, v64, v68
	v_mul_f32_e32 v68, v125, v85
	v_add_f32_e32 v63, v63, v149
	v_fma_f32 v67, v122, v82, -v67
	v_fmac_f32_e32 v156, v127, v86
	v_add_f32_e32 v64, v64, v66
	v_mul_f32_e32 v66, v127, v87
	v_add_f32_e32 v63, v63, v150
	v_fma_f32 v68, v124, v84, -v68
	s_delay_alu instid0(VALU_DEP_4) | instskip(SKIP_1) | instid1(VALU_DEP_4)
	v_dual_fmac_f32 v157, v129, v88 :: v_dual_add_f32 v64, v64, v67
	v_mul_f32_e32 v67, v129, v89
	v_add_f32_e32 v63, v63, v151
	v_fma_f32 v66, v126, v86, -v66
	s_wait_loadcnt_dscnt 0x201
	v_dual_mul_f32 v162, v138, v99 :: v_dual_mul_f32 v163, v140, v101
	v_add_f32_e32 v64, v64, v68
	v_add_f32_e32 v63, v63, v152
	v_fma_f32 v67, v128, v88, -v67
	v_mul_f32_e32 v68, v131, v91
	s_wait_loadcnt_dscnt 0x100
	v_dual_mul_f32 v164, v142, v103 :: v_dual_mul_f32 v165, v144, v105
	v_dual_add_f32 v64, v64, v66 :: v_dual_add_f32 v63, v63, v153
	v_mul_f32_e32 v66, v133, v93
	v_fma_f32 v68, v130, v90, -v68
	v_dual_fmac_f32 v162, v139, v98 :: v_dual_fmac_f32 v163, v141, v100
	s_delay_alu instid0(VALU_DEP_4) | instskip(SKIP_3) | instid1(VALU_DEP_4)
	v_dual_add_f32 v64, v64, v67 :: v_dual_add_f32 v63, v63, v154
	v_mul_f32_e32 v67, v135, v95
	v_fma_f32 v66, v132, v92, -v66
	v_fmac_f32_e32 v165, v145, v104
	v_dual_add_f32 v64, v64, v68 :: v_dual_add_f32 v63, v63, v155
	v_mul_f32_e32 v68, v137, v97
	v_fma_f32 v67, v134, v94, -v67
	s_delay_alu instid0(VALU_DEP_3) | instskip(SKIP_1) | instid1(VALU_DEP_4)
	v_dual_add_f32 v64, v64, v66 :: v_dual_add_f32 v63, v63, v156
	v_mul_f32_e32 v66, v139, v99
	v_fma_f32 v68, v136, v96, -v68
	s_delay_alu instid0(VALU_DEP_3) | instskip(SKIP_1) | instid1(VALU_DEP_4)
	;; [unrolled: 4-line block ×4, first 2 shown]
	v_dual_add_f32 v64, v64, v66 :: v_dual_add_f32 v63, v63, v159
	v_mul_f32_e32 v66, v145, v105
	v_fma_f32 v68, v142, v102, -v68
	s_delay_alu instid0(VALU_DEP_3) | instskip(NEXT) | instid1(VALU_DEP_3)
	v_dual_add_f32 v64, v64, v67 :: v_dual_add_f32 v63, v63, v160
	v_fma_f32 v66, v144, v104, -v66
	s_delay_alu instid0(VALU_DEP_2) | instskip(NEXT) | instid1(VALU_DEP_1)
	v_dual_add_f32 v64, v64, v68 :: v_dual_add_f32 v63, v63, v161
	v_add_f32_e32 v64, v64, v66
	s_delay_alu instid0(VALU_DEP_2) | instskip(SKIP_1) | instid1(VALU_DEP_2)
	v_add_f32_e32 v63, v63, v162
	v_fmac_f32_e32 v164, v143, v102
	v_add_f32_e32 v63, v63, v163
	s_delay_alu instid0(VALU_DEP_1) | instskip(SKIP_1) | instid1(VALU_DEP_1)
	v_add_f32_e32 v63, v63, v164
	s_wait_loadcnt 0x0
	v_dual_add_f32 v66, v63, v165 :: v_dual_sub_f32 v63, v146, v64
	s_delay_alu instid0(VALU_DEP_1)
	v_sub_f32_e32 v64, v147, v66
	scratch_store_b64 off, v[63:64], off offset:80
	v_cmpx_lt_u32_e32 9, v0
	s_cbranch_execz .LBB30_181
; %bb.180:
	scratch_load_b64 v[63:64], off, off offset:72
	v_mov_b32_e32 v66, 0
	s_delay_alu instid0(VALU_DEP_1)
	v_mov_b32_e32 v67, v66
	scratch_store_b64 off, v[66:67], off offset:72
	s_wait_loadcnt 0x0
	ds_store_b64 v65, v[63:64]
.LBB30_181:
	s_wait_alu 0xfffe
	s_or_b32 exec_lo, exec_lo, s0
	s_wait_storecnt_dscnt 0x0
	s_barrier_signal -1
	s_barrier_wait -1
	global_inv scope:SCOPE_SE
	s_clause 0xb
	scratch_load_b128 v[66:69], off, off offset:80
	scratch_load_b128 v[70:73], off, off offset:96
	;; [unrolled: 1-line block ×10, first 2 shown]
	scratch_load_b64 v[146:147], off, off offset:240
	scratch_load_b64 v[148:149], off, off offset:72
	v_mov_b32_e32 v63, 0
	ds_load_b128 v[106:109], v63 offset:336
	ds_load_b128 v[110:113], v63 offset:352
	;; [unrolled: 1-line block ×10, first 2 shown]
	ds_load_b64 v[150:151], v63 offset:496
	s_mov_b32 s0, exec_lo
	s_wait_loadcnt_dscnt 0xb0a
	v_mul_f32_e32 v64, v106, v67
	s_wait_loadcnt_dscnt 0xa09
	v_dual_mul_f32 v152, v108, v69 :: v_dual_mul_f32 v153, v110, v71
	v_mul_f32_e32 v69, v109, v69
	v_dual_mul_f32 v67, v107, v67 :: v_dual_mul_f32 v154, v112, v73
	s_wait_loadcnt_dscnt 0x908
	v_dual_mul_f32 v155, v114, v75 :: v_dual_fmac_f32 v64, v107, v66
	s_wait_loadcnt_dscnt 0x302
	v_mul_f32_e32 v168, v140, v101
	v_fma_f32 v67, v106, v66, -v67
	s_wait_loadcnt_dscnt 0x100
	v_mul_f32_e32 v171, v150, v147
	v_mul_f32_e32 v66, v111, v71
	v_fmac_f32_e32 v152, v109, v68
	v_fma_f32 v68, v108, v68, -v69
	v_dual_add_f32 v67, 0, v67 :: v_dual_add_f32 v64, 0, v64
	v_mul_f32_e32 v69, v113, v73
	v_fmac_f32_e32 v153, v111, v70
	v_fma_f32 v66, v110, v70, -v66
	v_dual_mul_f32 v158, v120, v81 :: v_dual_mul_f32 v159, v122, v83
	v_add_f32_e32 v64, v64, v152
	v_add_f32_e32 v67, v67, v68
	v_mul_f32_e32 v68, v115, v75
	v_fma_f32 v69, v112, v72, -v69
	v_dual_mul_f32 v160, v124, v85 :: v_dual_mul_f32 v161, v126, v87
	v_add_f32_e32 v64, v64, v153
	v_dual_add_f32 v66, v67, v66 :: v_dual_mul_f32 v67, v117, v77
	v_fma_f32 v68, v114, v74, -v68
	v_dual_mul_f32 v162, v128, v89 :: v_dual_mul_f32 v163, v130, v91
	s_delay_alu instid0(VALU_DEP_3) | instskip(NEXT) | instid1(VALU_DEP_4)
	v_dual_add_f32 v66, v66, v69 :: v_dual_mul_f32 v69, v119, v79
	v_fma_f32 v67, v116, v76, -v67
	v_dual_fmac_f32 v154, v113, v72 :: v_dual_fmac_f32 v155, v115, v74
	s_delay_alu instid0(VALU_DEP_3) | instskip(SKIP_2) | instid1(VALU_DEP_3)
	v_dual_add_f32 v66, v66, v68 :: v_dual_fmac_f32 v159, v123, v82
	v_dual_mul_f32 v68, v121, v81 :: v_dual_fmac_f32 v161, v127, v86
	v_fma_f32 v69, v118, v78, -v69
	v_dual_add_f32 v66, v66, v67 :: v_dual_fmac_f32 v163, v131, v90
	v_dual_mul_f32 v164, v132, v93 :: v_dual_mul_f32 v165, v134, v95
	v_dual_add_f32 v64, v64, v154 :: v_dual_mul_f32 v67, v123, v83
	v_fma_f32 v68, v120, v80, -v68
	s_delay_alu instid0(VALU_DEP_3) | instskip(SKIP_1) | instid1(VALU_DEP_4)
	v_dual_add_f32 v66, v66, v69 :: v_dual_fmac_f32 v165, v135, v94
	v_mul_f32_e32 v69, v125, v85
	v_fma_f32 v67, v122, v82, -v67
	v_dual_mul_f32 v156, v116, v77 :: v_dual_mul_f32 v157, v118, v79
	s_delay_alu instid0(VALU_DEP_4) | instskip(SKIP_3) | instid1(VALU_DEP_3)
	v_add_f32_e32 v66, v66, v68
	v_dual_mul_f32 v169, v142, v103 :: v_dual_mul_f32 v170, v144, v105
	v_mul_f32_e32 v68, v127, v87
	v_fma_f32 v69, v124, v84, -v69
	v_dual_add_f32 v66, v66, v67 :: v_dual_fmac_f32 v169, v143, v102
	v_dual_fmac_f32 v156, v117, v76 :: v_dual_fmac_f32 v157, v119, v78
	v_dual_add_f32 v64, v64, v155 :: v_dual_mul_f32 v67, v129, v89
	v_fma_f32 v68, v126, v86, -v68
	s_delay_alu instid0(VALU_DEP_4) | instskip(NEXT) | instid1(VALU_DEP_3)
	v_dual_add_f32 v66, v66, v69 :: v_dual_mul_f32 v69, v131, v91
	v_add_f32_e32 v64, v64, v156
	s_delay_alu instid0(VALU_DEP_4) | instskip(SKIP_1) | instid1(VALU_DEP_4)
	v_fma_f32 v67, v128, v88, -v67
	v_dual_mul_f32 v166, v136, v97 :: v_dual_mul_f32 v167, v138, v99
	v_add_f32_e32 v66, v66, v68
	v_mul_f32_e32 v68, v133, v93
	v_fma_f32 v69, v130, v90, -v69
	v_fmac_f32_e32 v158, v121, v80
	v_dual_add_f32 v64, v64, v157 :: v_dual_fmac_f32 v167, v139, v98
	v_add_f32_e32 v66, v66, v67
	v_mul_f32_e32 v67, v135, v95
	v_fma_f32 v68, v132, v92, -v68
	s_delay_alu instid0(VALU_DEP_4)
	v_add_f32_e32 v64, v64, v158
	v_fmac_f32_e32 v160, v125, v84
	v_add_f32_e32 v66, v66, v69
	v_mul_f32_e32 v69, v137, v97
	v_fma_f32 v67, v134, v94, -v67
	v_dual_fmac_f32 v171, v151, v146 :: v_dual_fmac_f32 v162, v129, v88
	s_delay_alu instid0(VALU_DEP_4) | instskip(NEXT) | instid1(VALU_DEP_4)
	v_add_f32_e32 v66, v66, v68
	v_fma_f32 v69, v136, v96, -v69
	v_fmac_f32_e32 v164, v133, v92
	v_mul_f32_e32 v68, v139, v99
	v_fmac_f32_e32 v166, v137, v96
	v_dual_add_f32 v66, v66, v67 :: v_dual_mul_f32 v67, v141, v101
	v_add_f32_e32 v64, v64, v159
	s_delay_alu instid0(VALU_DEP_4) | instskip(SKIP_1) | instid1(VALU_DEP_4)
	v_fma_f32 v68, v138, v98, -v68
	v_fmac_f32_e32 v168, v141, v100
	v_dual_add_f32 v66, v66, v69 :: v_dual_mul_f32 v69, v143, v103
	s_delay_alu instid0(VALU_DEP_4) | instskip(SKIP_2) | instid1(VALU_DEP_4)
	v_add_f32_e32 v64, v64, v160
	v_fma_f32 v67, v140, v100, -v67
	v_fmac_f32_e32 v170, v145, v104
	v_add_f32_e32 v66, v66, v68
	v_mul_f32_e32 v68, v145, v105
	v_add_f32_e32 v64, v64, v161
	v_fma_f32 v69, v142, v102, -v69
	s_delay_alu instid0(VALU_DEP_4) | instskip(NEXT) | instid1(VALU_DEP_3)
	v_add_f32_e32 v66, v66, v67
	v_dual_mul_f32 v67, v151, v147 :: v_dual_add_f32 v64, v64, v162
	v_fma_f32 v68, v144, v104, -v68
	s_delay_alu instid0(VALU_DEP_3) | instskip(NEXT) | instid1(VALU_DEP_3)
	v_add_f32_e32 v66, v66, v69
	v_fma_f32 v67, v150, v146, -v67
	s_delay_alu instid0(VALU_DEP_4) | instskip(NEXT) | instid1(VALU_DEP_3)
	v_add_f32_e32 v64, v64, v163
	v_add_f32_e32 v66, v66, v68
	s_delay_alu instid0(VALU_DEP_2) | instskip(NEXT) | instid1(VALU_DEP_2)
	v_add_f32_e32 v64, v64, v164
	v_add_f32_e32 v66, v66, v67
	s_delay_alu instid0(VALU_DEP_2) | instskip(SKIP_1) | instid1(VALU_DEP_2)
	v_add_f32_e32 v64, v64, v165
	s_wait_loadcnt 0x0
	v_sub_f32_e32 v66, v148, v66
	s_delay_alu instid0(VALU_DEP_2) | instskip(NEXT) | instid1(VALU_DEP_1)
	v_add_f32_e32 v64, v64, v166
	v_add_f32_e32 v64, v64, v167
	s_delay_alu instid0(VALU_DEP_1) | instskip(NEXT) | instid1(VALU_DEP_1)
	v_add_f32_e32 v64, v64, v168
	v_add_f32_e32 v64, v64, v169
	s_delay_alu instid0(VALU_DEP_1) | instskip(NEXT) | instid1(VALU_DEP_1)
	v_add_f32_e32 v64, v64, v170
	v_add_f32_e32 v64, v64, v171
	s_delay_alu instid0(VALU_DEP_1)
	v_sub_f32_e32 v67, v149, v64
	scratch_store_b64 off, v[66:67], off offset:72
	v_cmpx_lt_u32_e32 8, v0
	s_cbranch_execz .LBB30_183
; %bb.182:
	scratch_load_b64 v[66:67], off, off offset:64
	v_mov_b32_e32 v64, v63
	scratch_store_b64 off, v[63:64], off offset:64
	s_wait_loadcnt 0x0
	ds_store_b64 v65, v[66:67]
.LBB30_183:
	s_wait_alu 0xfffe
	s_or_b32 exec_lo, exec_lo, s0
	s_wait_storecnt_dscnt 0x0
	s_barrier_signal -1
	s_barrier_wait -1
	global_inv scope:SCOPE_SE
	s_clause 0xb
	scratch_load_b128 v[66:69], off, off offset:72
	scratch_load_b128 v[70:73], off, off offset:88
	;; [unrolled: 1-line block ×11, first 2 shown]
	scratch_load_b64 v[154:155], off, off offset:64
	ds_load_2addr_b64 v[110:113], v63 offset0:41 offset1:42
	ds_load_2addr_b64 v[114:117], v63 offset0:43 offset1:44
	;; [unrolled: 1-line block ×11, first 2 shown]
	s_mov_b32 s0, exec_lo
	s_wait_loadcnt_dscnt 0xb0a
	v_dual_mul_f32 v63, v110, v67 :: v_dual_mul_f32 v64, v112, v69
	v_mul_f32_e32 v67, v111, v67
	s_wait_loadcnt_dscnt 0xa09
	v_dual_mul_f32 v69, v113, v69 :: v_dual_mul_f32 v156, v114, v71
	s_delay_alu instid0(VALU_DEP_3) | instskip(NEXT) | instid1(VALU_DEP_3)
	v_dual_mul_f32 v157, v116, v73 :: v_dual_fmac_f32 v64, v113, v68
	v_fma_f32 v67, v110, v66, -v67
	v_fmac_f32_e32 v63, v111, v66
	v_mul_f32_e32 v66, v115, v71
	v_fma_f32 v68, v112, v68, -v69
	v_mul_f32_e32 v69, v117, v73
	v_dual_add_f32 v67, 0, v67 :: v_dual_fmac_f32 v156, v115, v70
	s_delay_alu instid0(VALU_DEP_4) | instskip(SKIP_2) | instid1(VALU_DEP_3)
	v_fma_f32 v66, v114, v70, -v66
	s_wait_loadcnt_dscnt 0x908
	v_dual_mul_f32 v158, v118, v75 :: v_dual_mul_f32 v159, v120, v77
	v_add_f32_e32 v67, v67, v68
	v_fmac_f32_e32 v157, v117, v72
	v_fma_f32 v68, v116, v72, -v69
	s_wait_loadcnt_dscnt 0x807
	v_dual_mul_f32 v160, v122, v79 :: v_dual_mul_f32 v161, v124, v81
	v_dual_add_f32 v66, v67, v66 :: v_dual_mul_f32 v67, v121, v77
	v_fmac_f32_e32 v158, v119, v74
	s_wait_loadcnt_dscnt 0x706
	v_dual_mul_f32 v162, v126, v83 :: v_dual_mul_f32 v163, v128, v85
	s_delay_alu instid0(VALU_DEP_3) | instskip(SKIP_3) | instid1(VALU_DEP_4)
	v_dual_add_f32 v66, v66, v68 :: v_dual_add_f32 v63, 0, v63
	v_mul_f32_e32 v68, v123, v79
	v_fma_f32 v67, v120, v76, -v67
	v_dual_fmac_f32 v159, v121, v76 :: v_dual_fmac_f32 v160, v123, v78
	v_add_f32_e32 v63, v63, v64
	v_mul_f32_e32 v64, v119, v75
	v_fma_f32 v68, v122, v78, -v68
	v_dual_fmac_f32 v161, v125, v80 :: v_dual_fmac_f32 v162, v127, v82
	s_wait_loadcnt_dscnt 0x605
	v_dual_mul_f32 v164, v130, v87 :: v_dual_mul_f32 v165, v132, v89
	v_fma_f32 v64, v118, v74, -v64
	s_wait_loadcnt_dscnt 0x504
	v_dual_mul_f32 v166, v134, v91 :: v_dual_mul_f32 v167, v136, v93
	s_wait_loadcnt_dscnt 0x403
	v_dual_mul_f32 v168, v138, v95 :: v_dual_mul_f32 v169, v140, v97
	v_add_f32_e32 v64, v66, v64
	v_mul_f32_e32 v66, v125, v81
	v_dual_fmac_f32 v166, v135, v90 :: v_dual_fmac_f32 v167, v137, v92
	s_delay_alu instid0(VALU_DEP_4) | instskip(NEXT) | instid1(VALU_DEP_4)
	v_dual_fmac_f32 v168, v139, v94 :: v_dual_fmac_f32 v169, v141, v96
	v_dual_add_f32 v64, v64, v67 :: v_dual_add_f32 v63, v63, v156
	v_mul_f32_e32 v67, v127, v83
	v_fma_f32 v66, v124, v80, -v66
	v_fmac_f32_e32 v163, v129, v84
	s_delay_alu instid0(VALU_DEP_4)
	v_add_f32_e32 v64, v64, v68
	v_mul_f32_e32 v68, v129, v85
	v_add_f32_e32 v63, v63, v157
	v_fma_f32 v67, v126, v82, -v67
	v_fmac_f32_e32 v164, v131, v86
	v_add_f32_e32 v64, v64, v66
	v_mul_f32_e32 v66, v131, v87
	v_add_f32_e32 v63, v63, v158
	v_fma_f32 v68, v128, v84, -v68
	s_delay_alu instid0(VALU_DEP_4) | instskip(SKIP_1) | instid1(VALU_DEP_4)
	v_dual_fmac_f32 v165, v133, v88 :: v_dual_add_f32 v64, v64, v67
	v_mul_f32_e32 v67, v133, v89
	v_add_f32_e32 v63, v63, v159
	v_fma_f32 v66, v130, v86, -v66
	s_wait_loadcnt_dscnt 0x302
	v_dual_mul_f32 v170, v142, v99 :: v_dual_mul_f32 v171, v144, v101
	v_add_f32_e32 v64, v64, v68
	v_add_f32_e32 v63, v63, v160
	v_fma_f32 v67, v132, v88, -v67
	v_mul_f32_e32 v68, v135, v91
	s_wait_loadcnt_dscnt 0x201
	v_dual_mul_f32 v172, v146, v103 :: v_dual_mul_f32 v173, v148, v105
	v_dual_add_f32 v64, v64, v66 :: v_dual_add_f32 v63, v63, v161
	v_mul_f32_e32 v66, v137, v93
	v_fma_f32 v68, v134, v90, -v68
	v_dual_fmac_f32 v170, v143, v98 :: v_dual_fmac_f32 v171, v145, v100
	s_delay_alu instid0(VALU_DEP_4)
	v_dual_add_f32 v64, v64, v67 :: v_dual_add_f32 v63, v63, v162
	v_mul_f32_e32 v67, v139, v95
	v_fma_f32 v66, v136, v92, -v66
	s_wait_loadcnt_dscnt 0x100
	v_dual_mul_f32 v174, v150, v107 :: v_dual_mul_f32 v175, v152, v109
	v_dual_add_f32 v63, v63, v163 :: v_dual_add_f32 v64, v64, v68
	v_mul_f32_e32 v68, v141, v97
	v_fma_f32 v67, v138, v94, -v67
	s_delay_alu instid0(VALU_DEP_4) | instskip(NEXT) | instid1(VALU_DEP_4)
	v_dual_fmac_f32 v172, v147, v102 :: v_dual_fmac_f32 v175, v153, v108
	v_dual_add_f32 v63, v63, v164 :: v_dual_add_f32 v64, v64, v66
	v_mul_f32_e32 v66, v143, v99
	v_fma_f32 v68, v140, v96, -v68
	v_fmac_f32_e32 v173, v149, v104
	s_delay_alu instid0(VALU_DEP_4) | instskip(SKIP_2) | instid1(VALU_DEP_3)
	v_dual_add_f32 v63, v63, v165 :: v_dual_add_f32 v64, v64, v67
	v_mul_f32_e32 v67, v145, v101
	v_fma_f32 v66, v142, v98, -v66
	v_dual_add_f32 v63, v63, v166 :: v_dual_add_f32 v64, v64, v68
	v_mul_f32_e32 v68, v147, v103
	s_delay_alu instid0(VALU_DEP_4) | instskip(NEXT) | instid1(VALU_DEP_3)
	v_fma_f32 v67, v144, v100, -v67
	v_dual_add_f32 v63, v63, v167 :: v_dual_add_f32 v64, v64, v66
	v_mul_f32_e32 v66, v149, v105
	s_delay_alu instid0(VALU_DEP_4) | instskip(NEXT) | instid1(VALU_DEP_3)
	;; [unrolled: 4-line block ×4, first 2 shown]
	v_fma_f32 v67, v150, v106, -v67
	v_add_f32_e32 v63, v63, v170
	s_delay_alu instid0(VALU_DEP_4) | instskip(NEXT) | instid1(VALU_DEP_4)
	v_add_f32_e32 v64, v64, v66
	v_fma_f32 v66, v152, v108, -v68
	s_delay_alu instid0(VALU_DEP_3) | instskip(NEXT) | instid1(VALU_DEP_1)
	v_add_f32_e32 v63, v63, v171
	v_dual_add_f32 v64, v64, v67 :: v_dual_add_f32 v63, v63, v172
	s_delay_alu instid0(VALU_DEP_1) | instskip(SKIP_1) | instid1(VALU_DEP_3)
	v_add_f32_e32 v64, v64, v66
	v_fmac_f32_e32 v174, v151, v106
	v_add_f32_e32 v63, v63, v173
	s_delay_alu instid0(VALU_DEP_1) | instskip(SKIP_1) | instid1(VALU_DEP_1)
	v_add_f32_e32 v63, v63, v174
	s_wait_loadcnt 0x0
	v_dual_add_f32 v66, v63, v175 :: v_dual_sub_f32 v63, v154, v64
	s_delay_alu instid0(VALU_DEP_1)
	v_sub_f32_e32 v64, v155, v66
	scratch_store_b64 off, v[63:64], off offset:64
	v_cmpx_lt_u32_e32 7, v0
	s_cbranch_execz .LBB30_185
; %bb.184:
	scratch_load_b64 v[63:64], off, off offset:56
	v_mov_b32_e32 v66, 0
	s_delay_alu instid0(VALU_DEP_1)
	v_mov_b32_e32 v67, v66
	scratch_store_b64 off, v[66:67], off offset:56
	s_wait_loadcnt 0x0
	ds_store_b64 v65, v[63:64]
.LBB30_185:
	s_wait_alu 0xfffe
	s_or_b32 exec_lo, exec_lo, s0
	s_wait_storecnt_dscnt 0x0
	s_barrier_signal -1
	s_barrier_wait -1
	global_inv scope:SCOPE_SE
	s_clause 0xc
	scratch_load_b128 v[66:69], off, off offset:64
	scratch_load_b128 v[70:73], off, off offset:80
	;; [unrolled: 1-line block ×11, first 2 shown]
	scratch_load_b64 v[154:155], off, off offset:240
	scratch_load_b64 v[156:157], off, off offset:56
	v_mov_b32_e32 v63, 0
	ds_load_b128 v[110:113], v63 offset:320
	ds_load_b128 v[114:117], v63 offset:336
	;; [unrolled: 1-line block ×11, first 2 shown]
	ds_load_b64 v[158:159], v63 offset:496
	s_mov_b32 s0, exec_lo
	s_wait_loadcnt_dscnt 0xc0b
	v_mul_f32_e32 v64, v110, v67
	s_wait_loadcnt_dscnt 0xb0a
	v_dual_mul_f32 v160, v112, v69 :: v_dual_mul_f32 v161, v114, v71
	v_mul_f32_e32 v69, v113, v69
	s_wait_loadcnt_dscnt 0xa09
	v_dual_mul_f32 v162, v116, v73 :: v_dual_mul_f32 v163, v118, v75
	v_mul_f32_e32 v67, v111, v67
	v_fmac_f32_e32 v64, v111, v66
	s_wait_loadcnt_dscnt 0x807
	v_dual_mul_f32 v166, v124, v81 :: v_dual_mul_f32 v167, v126, v83
	s_wait_loadcnt_dscnt 0x100
	v_dual_mul_f32 v178, v148, v105 :: v_dual_mul_f32 v181, v158, v155
	v_fma_f32 v67, v110, v66, -v67
	v_mul_f32_e32 v66, v115, v71
	v_fmac_f32_e32 v160, v113, v68
	v_fma_f32 v68, v112, v68, -v69
	v_dual_add_f32 v64, 0, v64 :: v_dual_mul_f32 v69, v117, v73
	v_add_f32_e32 v67, 0, v67
	v_fmac_f32_e32 v161, v115, v70
	v_fma_f32 v66, v114, v70, -v66
	s_delay_alu instid0(VALU_DEP_4)
	v_add_f32_e32 v64, v64, v160
	v_fma_f32 v69, v116, v72, -v69
	v_add_f32_e32 v67, v67, v68
	v_mul_f32_e32 v68, v119, v75
	v_dual_mul_f32 v168, v128, v85 :: v_dual_mul_f32 v169, v130, v87
	v_add_f32_e32 v64, v64, v161
	s_delay_alu instid0(VALU_DEP_4) | instskip(NEXT) | instid1(VALU_DEP_4)
	v_dual_add_f32 v66, v67, v66 :: v_dual_mul_f32 v67, v121, v77
	v_fma_f32 v68, v118, v74, -v68
	v_dual_mul_f32 v170, v132, v89 :: v_dual_mul_f32 v171, v134, v91
	s_delay_alu instid0(VALU_DEP_3) | instskip(NEXT) | instid1(VALU_DEP_4)
	v_dual_add_f32 v66, v66, v69 :: v_dual_mul_f32 v69, v123, v79
	v_fma_f32 v67, v120, v76, -v67
	v_dual_fmac_f32 v162, v117, v72 :: v_dual_fmac_f32 v163, v119, v74
	s_delay_alu instid0(VALU_DEP_3) | instskip(SKIP_2) | instid1(VALU_DEP_3)
	v_dual_add_f32 v66, v66, v68 :: v_dual_fmac_f32 v167, v127, v82
	v_dual_mul_f32 v68, v125, v81 :: v_dual_fmac_f32 v169, v131, v86
	v_fma_f32 v69, v122, v78, -v69
	v_dual_add_f32 v66, v66, v67 :: v_dual_fmac_f32 v171, v135, v90
	v_dual_mul_f32 v172, v136, v93 :: v_dual_mul_f32 v173, v138, v95
	v_dual_add_f32 v64, v64, v162 :: v_dual_mul_f32 v67, v127, v83
	v_fma_f32 v68, v124, v80, -v68
	s_delay_alu instid0(VALU_DEP_3) | instskip(SKIP_1) | instid1(VALU_DEP_4)
	v_dual_add_f32 v66, v66, v69 :: v_dual_fmac_f32 v173, v139, v94
	v_mul_f32_e32 v69, v129, v85
	v_fma_f32 v67, v126, v82, -v67
	v_dual_mul_f32 v164, v120, v77 :: v_dual_mul_f32 v165, v122, v79
	s_delay_alu instid0(VALU_DEP_4) | instskip(SKIP_3) | instid1(VALU_DEP_4)
	v_add_f32_e32 v66, v66, v68
	v_dual_mul_f32 v176, v144, v101 :: v_dual_mul_f32 v177, v146, v103
	v_mul_f32_e32 v68, v131, v87
	v_fma_f32 v69, v128, v84, -v69
	v_add_f32_e32 v66, v66, v67
	v_dual_fmac_f32 v164, v121, v76 :: v_dual_fmac_f32 v165, v123, v78
	v_dual_add_f32 v64, v64, v163 :: v_dual_mul_f32 v67, v133, v89
	v_fma_f32 v68, v130, v86, -v68
	s_delay_alu instid0(VALU_DEP_4) | instskip(NEXT) | instid1(VALU_DEP_3)
	v_dual_fmac_f32 v177, v147, v102 :: v_dual_add_f32 v66, v66, v69
	v_dual_add_f32 v64, v64, v164 :: v_dual_mul_f32 v69, v135, v91
	s_delay_alu instid0(VALU_DEP_4) | instskip(SKIP_1) | instid1(VALU_DEP_4)
	v_fma_f32 v67, v132, v88, -v67
	v_dual_mul_f32 v174, v140, v97 :: v_dual_mul_f32 v175, v142, v99
	v_add_f32_e32 v66, v66, v68
	v_mul_f32_e32 v68, v137, v93
	v_fma_f32 v69, v134, v90, -v69
	v_fmac_f32_e32 v166, v125, v80
	v_dual_add_f32 v64, v64, v165 :: v_dual_fmac_f32 v175, v143, v98
	v_add_f32_e32 v66, v66, v67
	v_mul_f32_e32 v67, v139, v95
	v_fma_f32 v68, v136, v92, -v68
	s_delay_alu instid0(VALU_DEP_4)
	v_dual_add_f32 v64, v64, v166 :: v_dual_mul_f32 v179, v150, v107
	v_mul_f32_e32 v180, v152, v109
	v_add_f32_e32 v66, v66, v69
	v_mul_f32_e32 v69, v141, v97
	v_fma_f32 v67, v138, v94, -v67
	v_dual_fmac_f32 v168, v129, v84 :: v_dual_fmac_f32 v179, v151, v106
	s_delay_alu instid0(VALU_DEP_4) | instskip(NEXT) | instid1(VALU_DEP_4)
	v_add_f32_e32 v66, v66, v68
	v_fma_f32 v69, v140, v96, -v69
	v_dual_fmac_f32 v170, v133, v88 :: v_dual_fmac_f32 v181, v159, v154
	v_fmac_f32_e32 v172, v137, v92
	s_delay_alu instid0(VALU_DEP_4) | instskip(SKIP_3) | instid1(VALU_DEP_4)
	v_dual_add_f32 v66, v66, v67 :: v_dual_mul_f32 v67, v145, v101
	v_add_f32_e32 v64, v64, v167
	v_mul_f32_e32 v68, v143, v99
	v_fmac_f32_e32 v174, v141, v96
	v_dual_add_f32 v66, v66, v69 :: v_dual_mul_f32 v69, v147, v103
	s_delay_alu instid0(VALU_DEP_4) | instskip(NEXT) | instid1(VALU_DEP_4)
	v_add_f32_e32 v64, v64, v168
	v_fma_f32 v68, v142, v98, -v68
	v_fmac_f32_e32 v176, v145, v100
	v_fma_f32 v67, v144, v100, -v67
	v_fma_f32 v69, v146, v102, -v69
	v_add_f32_e32 v64, v64, v169
	v_add_f32_e32 v66, v66, v68
	v_mul_f32_e32 v68, v149, v105
	v_fmac_f32_e32 v178, v149, v104
	v_fmac_f32_e32 v180, v153, v108
	v_add_f32_e32 v64, v64, v170
	v_add_f32_e32 v66, v66, v67
	v_mul_f32_e32 v67, v151, v107
	v_fma_f32 v68, v148, v104, -v68
	s_delay_alu instid0(VALU_DEP_4) | instskip(NEXT) | instid1(VALU_DEP_4)
	v_add_f32_e32 v64, v64, v171
	v_add_f32_e32 v66, v66, v69
	v_mul_f32_e32 v69, v153, v109
	v_fma_f32 v67, v150, v106, -v67
	s_delay_alu instid0(VALU_DEP_4) | instskip(NEXT) | instid1(VALU_DEP_4)
	;; [unrolled: 5-line block ×3, first 2 shown]
	v_add_f32_e32 v64, v64, v173
	v_add_f32_e32 v66, v66, v67
	s_delay_alu instid0(VALU_DEP_4) | instskip(NEXT) | instid1(VALU_DEP_3)
	v_fma_f32 v67, v158, v154, -v68
	v_add_f32_e32 v64, v64, v174
	s_delay_alu instid0(VALU_DEP_3) | instskip(NEXT) | instid1(VALU_DEP_2)
	v_add_f32_e32 v66, v66, v69
	v_add_f32_e32 v64, v64, v175
	s_delay_alu instid0(VALU_DEP_2) | instskip(NEXT) | instid1(VALU_DEP_2)
	v_add_f32_e32 v66, v66, v67
	v_add_f32_e32 v64, v64, v176
	s_wait_loadcnt 0x0
	s_delay_alu instid0(VALU_DEP_2) | instskip(NEXT) | instid1(VALU_DEP_2)
	v_sub_f32_e32 v66, v156, v66
	v_add_f32_e32 v64, v64, v177
	s_delay_alu instid0(VALU_DEP_1) | instskip(NEXT) | instid1(VALU_DEP_1)
	v_add_f32_e32 v64, v64, v178
	v_add_f32_e32 v64, v64, v179
	s_delay_alu instid0(VALU_DEP_1) | instskip(NEXT) | instid1(VALU_DEP_1)
	v_add_f32_e32 v64, v64, v180
	v_add_f32_e32 v64, v64, v181
	s_delay_alu instid0(VALU_DEP_1)
	v_sub_f32_e32 v67, v157, v64
	scratch_store_b64 off, v[66:67], off offset:56
	v_cmpx_lt_u32_e32 6, v0
	s_cbranch_execz .LBB30_187
; %bb.186:
	scratch_load_b64 v[66:67], off, off offset:48
	v_mov_b32_e32 v64, v63
	scratch_store_b64 off, v[63:64], off offset:48
	s_wait_loadcnt 0x0
	ds_store_b64 v65, v[66:67]
.LBB30_187:
	s_wait_alu 0xfffe
	s_or_b32 exec_lo, exec_lo, s0
	s_wait_storecnt_dscnt 0x0
	s_barrier_signal -1
	s_barrier_wait -1
	global_inv scope:SCOPE_SE
	s_clause 0xc
	scratch_load_b128 v[66:69], off, off offset:56
	scratch_load_b128 v[70:73], off, off offset:72
	;; [unrolled: 1-line block ×12, first 2 shown]
	scratch_load_b64 v[162:163], off, off offset:48
	ds_load_2addr_b64 v[114:117], v63 offset0:39 offset1:40
	ds_load_2addr_b64 v[118:121], v63 offset0:41 offset1:42
	ds_load_2addr_b64 v[122:125], v63 offset0:43 offset1:44
	ds_load_2addr_b64 v[126:129], v63 offset0:45 offset1:46
	ds_load_2addr_b64 v[130:133], v63 offset0:47 offset1:48
	ds_load_2addr_b64 v[134:137], v63 offset0:49 offset1:50
	ds_load_2addr_b64 v[138:141], v63 offset0:51 offset1:52
	ds_load_2addr_b64 v[142:145], v63 offset0:53 offset1:54
	ds_load_2addr_b64 v[146:149], v63 offset0:55 offset1:56
	ds_load_2addr_b64 v[150:153], v63 offset0:57 offset1:58
	ds_load_2addr_b64 v[154:157], v63 offset0:59 offset1:60
	ds_load_2addr_b64 v[158:161], v63 offset0:61 offset1:62
	s_mov_b32 s0, exec_lo
	s_wait_loadcnt_dscnt 0xc0b
	v_dual_mul_f32 v63, v114, v67 :: v_dual_mul_f32 v64, v116, v69
	v_mul_f32_e32 v67, v115, v67
	s_wait_loadcnt_dscnt 0xb0a
	v_dual_mul_f32 v69, v117, v69 :: v_dual_mul_f32 v164, v118, v71
	s_delay_alu instid0(VALU_DEP_3) | instskip(NEXT) | instid1(VALU_DEP_3)
	v_dual_mul_f32 v165, v120, v73 :: v_dual_fmac_f32 v64, v117, v68
	v_fma_f32 v67, v114, v66, -v67
	v_fmac_f32_e32 v63, v115, v66
	v_mul_f32_e32 v66, v119, v71
	v_fma_f32 v68, v116, v68, -v69
	v_mul_f32_e32 v69, v121, v73
	v_dual_add_f32 v67, 0, v67 :: v_dual_fmac_f32 v164, v119, v70
	s_delay_alu instid0(VALU_DEP_4) | instskip(SKIP_2) | instid1(VALU_DEP_3)
	v_fma_f32 v66, v118, v70, -v66
	s_wait_loadcnt_dscnt 0xa09
	v_dual_mul_f32 v166, v122, v75 :: v_dual_mul_f32 v167, v124, v77
	v_add_f32_e32 v67, v67, v68
	v_fmac_f32_e32 v165, v121, v72
	v_fma_f32 v68, v120, v72, -v69
	s_wait_loadcnt_dscnt 0x908
	v_dual_mul_f32 v168, v126, v79 :: v_dual_mul_f32 v169, v128, v81
	v_dual_add_f32 v66, v67, v66 :: v_dual_mul_f32 v67, v125, v77
	v_fmac_f32_e32 v166, v123, v74
	s_wait_loadcnt_dscnt 0x807
	v_dual_mul_f32 v170, v130, v83 :: v_dual_mul_f32 v171, v132, v85
	s_delay_alu instid0(VALU_DEP_3) | instskip(SKIP_3) | instid1(VALU_DEP_4)
	v_dual_add_f32 v66, v66, v68 :: v_dual_add_f32 v63, 0, v63
	v_mul_f32_e32 v68, v127, v79
	v_fma_f32 v67, v124, v76, -v67
	v_dual_fmac_f32 v167, v125, v76 :: v_dual_fmac_f32 v168, v127, v78
	v_add_f32_e32 v63, v63, v64
	v_mul_f32_e32 v64, v123, v75
	v_fma_f32 v68, v126, v78, -v68
	v_dual_fmac_f32 v169, v129, v80 :: v_dual_fmac_f32 v170, v131, v82
	s_wait_loadcnt_dscnt 0x706
	v_dual_mul_f32 v172, v134, v87 :: v_dual_mul_f32 v173, v136, v89
	v_fma_f32 v64, v122, v74, -v64
	s_wait_loadcnt_dscnt 0x605
	v_dual_mul_f32 v174, v138, v91 :: v_dual_mul_f32 v175, v140, v93
	s_wait_loadcnt_dscnt 0x504
	v_dual_mul_f32 v176, v142, v95 :: v_dual_mul_f32 v177, v144, v97
	v_add_f32_e32 v64, v66, v64
	v_mul_f32_e32 v66, v129, v81
	v_dual_fmac_f32 v174, v139, v90 :: v_dual_fmac_f32 v175, v141, v92
	s_delay_alu instid0(VALU_DEP_4) | instskip(NEXT) | instid1(VALU_DEP_4)
	v_dual_fmac_f32 v176, v143, v94 :: v_dual_fmac_f32 v177, v145, v96
	v_dual_add_f32 v64, v64, v67 :: v_dual_add_f32 v63, v63, v164
	v_mul_f32_e32 v67, v131, v83
	v_fma_f32 v66, v128, v80, -v66
	v_fmac_f32_e32 v171, v133, v84
	s_delay_alu instid0(VALU_DEP_4)
	v_add_f32_e32 v64, v64, v68
	v_mul_f32_e32 v68, v133, v85
	v_add_f32_e32 v63, v63, v165
	v_fma_f32 v67, v130, v82, -v67
	v_fmac_f32_e32 v172, v135, v86
	v_add_f32_e32 v64, v64, v66
	v_mul_f32_e32 v66, v135, v87
	v_add_f32_e32 v63, v63, v166
	v_fma_f32 v68, v132, v84, -v68
	s_delay_alu instid0(VALU_DEP_4) | instskip(SKIP_1) | instid1(VALU_DEP_4)
	v_dual_fmac_f32 v173, v137, v88 :: v_dual_add_f32 v64, v64, v67
	v_mul_f32_e32 v67, v137, v89
	v_add_f32_e32 v63, v63, v167
	v_fma_f32 v66, v134, v86, -v66
	s_wait_loadcnt_dscnt 0x403
	v_dual_mul_f32 v178, v146, v99 :: v_dual_mul_f32 v179, v148, v101
	v_add_f32_e32 v64, v64, v68
	v_add_f32_e32 v63, v63, v168
	v_fma_f32 v67, v136, v88, -v67
	v_mul_f32_e32 v68, v139, v91
	s_wait_loadcnt_dscnt 0x302
	v_dual_mul_f32 v180, v150, v103 :: v_dual_mul_f32 v181, v152, v105
	v_dual_add_f32 v64, v64, v66 :: v_dual_add_f32 v63, v63, v169
	v_mul_f32_e32 v66, v141, v93
	v_fma_f32 v68, v138, v90, -v68
	v_dual_fmac_f32 v178, v147, v98 :: v_dual_fmac_f32 v179, v149, v100
	s_delay_alu instid0(VALU_DEP_4)
	v_dual_add_f32 v64, v64, v67 :: v_dual_add_f32 v63, v63, v170
	v_mul_f32_e32 v67, v143, v95
	v_fma_f32 v66, v140, v92, -v66
	s_wait_loadcnt_dscnt 0x201
	v_dual_mul_f32 v182, v154, v107 :: v_dual_mul_f32 v183, v156, v109
	v_dual_add_f32 v63, v63, v171 :: v_dual_add_f32 v64, v64, v68
	v_mul_f32_e32 v68, v145, v97
	v_fma_f32 v67, v142, v94, -v67
	s_delay_alu instid0(VALU_DEP_4) | instskip(NEXT) | instid1(VALU_DEP_4)
	v_dual_fmac_f32 v180, v151, v102 :: v_dual_fmac_f32 v183, v157, v108
	v_dual_add_f32 v63, v63, v172 :: v_dual_add_f32 v64, v64, v66
	v_mul_f32_e32 v66, v147, v99
	v_fma_f32 v68, v144, v96, -v68
	v_fmac_f32_e32 v181, v153, v104
	s_delay_alu instid0(VALU_DEP_4)
	v_dual_add_f32 v63, v63, v173 :: v_dual_add_f32 v64, v64, v67
	v_mul_f32_e32 v67, v149, v101
	v_fma_f32 v66, v146, v98, -v66
	s_wait_loadcnt_dscnt 0x100
	v_dual_mul_f32 v184, v158, v111 :: v_dual_mul_f32 v185, v160, v113
	v_dual_add_f32 v63, v63, v174 :: v_dual_add_f32 v64, v64, v68
	v_mul_f32_e32 v68, v151, v103
	v_fma_f32 v67, v148, v100, -v67
	v_fmac_f32_e32 v182, v155, v106
	s_delay_alu instid0(VALU_DEP_4) | instskip(SKIP_3) | instid1(VALU_DEP_4)
	v_dual_add_f32 v63, v63, v175 :: v_dual_add_f32 v64, v64, v66
	v_mul_f32_e32 v66, v153, v105
	v_fma_f32 v68, v150, v102, -v68
	v_fmac_f32_e32 v185, v161, v112
	v_dual_add_f32 v63, v63, v176 :: v_dual_add_f32 v64, v64, v67
	v_mul_f32_e32 v67, v155, v107
	v_fma_f32 v66, v152, v104, -v66
	s_delay_alu instid0(VALU_DEP_3) | instskip(SKIP_1) | instid1(VALU_DEP_4)
	v_dual_add_f32 v63, v63, v177 :: v_dual_add_f32 v64, v64, v68
	v_mul_f32_e32 v68, v157, v109
	v_fma_f32 v67, v154, v106, -v67
	s_delay_alu instid0(VALU_DEP_3) | instskip(NEXT) | instid1(VALU_DEP_4)
	v_add_f32_e32 v63, v63, v178
	v_add_f32_e32 v64, v64, v66
	v_mul_f32_e32 v66, v159, v111
	v_fma_f32 v68, v156, v108, -v68
	s_delay_alu instid0(VALU_DEP_4) | instskip(NEXT) | instid1(VALU_DEP_4)
	v_add_f32_e32 v63, v63, v179
	v_dual_add_f32 v64, v64, v67 :: v_dual_mul_f32 v67, v161, v113
	s_delay_alu instid0(VALU_DEP_4) | instskip(NEXT) | instid1(VALU_DEP_3)
	v_fma_f32 v66, v158, v110, -v66
	v_add_f32_e32 v63, v63, v180
	s_delay_alu instid0(VALU_DEP_3) | instskip(NEXT) | instid1(VALU_DEP_4)
	v_add_f32_e32 v64, v64, v68
	v_fma_f32 v67, v160, v112, -v67
	s_delay_alu instid0(VALU_DEP_2) | instskip(NEXT) | instid1(VALU_DEP_1)
	v_dual_add_f32 v63, v63, v181 :: v_dual_add_f32 v64, v64, v66
	v_dual_add_f32 v63, v63, v182 :: v_dual_add_f32 v64, v64, v67
	v_fmac_f32_e32 v184, v159, v110
	s_delay_alu instid0(VALU_DEP_2) | instskip(NEXT) | instid1(VALU_DEP_1)
	v_add_f32_e32 v63, v63, v183
	v_add_f32_e32 v63, v63, v184
	s_wait_loadcnt 0x0
	s_delay_alu instid0(VALU_DEP_1) | instskip(NEXT) | instid1(VALU_DEP_1)
	v_dual_add_f32 v66, v63, v185 :: v_dual_sub_f32 v63, v162, v64
	v_sub_f32_e32 v64, v163, v66
	scratch_store_b64 off, v[63:64], off offset:48
	v_cmpx_lt_u32_e32 5, v0
	s_cbranch_execz .LBB30_189
; %bb.188:
	scratch_load_b64 v[63:64], off, off offset:40
	v_mov_b32_e32 v66, 0
	s_delay_alu instid0(VALU_DEP_1)
	v_mov_b32_e32 v67, v66
	scratch_store_b64 off, v[66:67], off offset:40
	s_wait_loadcnt 0x0
	ds_store_b64 v65, v[63:64]
.LBB30_189:
	s_wait_alu 0xfffe
	s_or_b32 exec_lo, exec_lo, s0
	s_wait_storecnt_dscnt 0x0
	s_barrier_signal -1
	s_barrier_wait -1
	global_inv scope:SCOPE_SE
	s_clause 0xd
	scratch_load_b128 v[66:69], off, off offset:48
	scratch_load_b128 v[70:73], off, off offset:64
	scratch_load_b128 v[74:77], off, off offset:80
	scratch_load_b128 v[78:81], off, off offset:96
	scratch_load_b128 v[82:85], off, off offset:112
	scratch_load_b128 v[86:89], off, off offset:128
	scratch_load_b128 v[90:93], off, off offset:144
	scratch_load_b128 v[94:97], off, off offset:160
	scratch_load_b128 v[98:101], off, off offset:176
	scratch_load_b128 v[102:105], off, off offset:192
	scratch_load_b128 v[106:109], off, off offset:208
	scratch_load_b128 v[110:113], off, off offset:224
	scratch_load_b64 v[162:163], off, off offset:240
	scratch_load_b64 v[164:165], off, off offset:40
	v_mov_b32_e32 v63, 0
	ds_load_b128 v[114:117], v63 offset:304
	ds_load_b128 v[118:121], v63 offset:320
	;; [unrolled: 1-line block ×12, first 2 shown]
	ds_load_b64 v[166:167], v63 offset:496
	s_mov_b32 s0, exec_lo
	s_wait_loadcnt_dscnt 0xd0c
	v_mul_f32_e32 v64, v114, v67
	s_wait_loadcnt_dscnt 0xc0b
	v_dual_mul_f32 v168, v116, v69 :: v_dual_mul_f32 v169, v118, v71
	v_mul_f32_e32 v69, v117, v69
	s_wait_loadcnt_dscnt 0xb0a
	v_dual_mul_f32 v170, v120, v73 :: v_dual_mul_f32 v171, v122, v75
	s_wait_loadcnt_dscnt 0xa09
	v_dual_mul_f32 v67, v115, v67 :: v_dual_mul_f32 v174, v128, v81
	s_wait_loadcnt_dscnt 0x908
	v_dual_mul_f32 v175, v130, v83 :: v_dual_fmac_f32 v64, v115, v66
	s_wait_loadcnt_dscnt 0x302
	v_mul_f32_e32 v188, v156, v109
	v_fma_f32 v67, v114, v66, -v67
	s_wait_loadcnt_dscnt 0x100
	v_mul_f32_e32 v191, v166, v163
	v_mul_f32_e32 v66, v119, v71
	v_fmac_f32_e32 v168, v117, v68
	v_fma_f32 v68, v116, v68, -v69
	v_dual_add_f32 v67, 0, v67 :: v_dual_add_f32 v64, 0, v64
	v_mul_f32_e32 v69, v121, v73
	v_fmac_f32_e32 v169, v119, v70
	v_fma_f32 v66, v118, v70, -v66
	v_dual_mul_f32 v176, v132, v85 :: v_dual_mul_f32 v177, v134, v87
	v_add_f32_e32 v64, v64, v168
	v_add_f32_e32 v67, v67, v68
	v_mul_f32_e32 v68, v123, v75
	v_fma_f32 v69, v120, v72, -v69
	v_dual_mul_f32 v178, v136, v89 :: v_dual_mul_f32 v179, v138, v91
	v_add_f32_e32 v64, v64, v169
	v_dual_add_f32 v66, v67, v66 :: v_dual_mul_f32 v67, v125, v77
	v_fma_f32 v68, v122, v74, -v68
	v_dual_fmac_f32 v170, v121, v72 :: v_dual_fmac_f32 v171, v123, v74
	s_delay_alu instid0(VALU_DEP_3) | instskip(NEXT) | instid1(VALU_DEP_4)
	v_dual_add_f32 v66, v66, v69 :: v_dual_mul_f32 v69, v127, v79
	v_fma_f32 v67, v124, v76, -v67
	v_dual_fmac_f32 v175, v131, v82 :: v_dual_mul_f32 v180, v140, v93
	v_mul_f32_e32 v181, v142, v95
	s_delay_alu instid0(VALU_DEP_4) | instskip(SKIP_3) | instid1(VALU_DEP_4)
	v_add_f32_e32 v66, v66, v68
	v_dual_mul_f32 v68, v129, v81 :: v_dual_fmac_f32 v177, v135, v86
	v_fma_f32 v69, v126, v78, -v69
	v_add_f32_e32 v64, v64, v170
	v_dual_add_f32 v66, v66, v67 :: v_dual_fmac_f32 v179, v139, v90
	v_mul_f32_e32 v67, v131, v83
	v_fma_f32 v68, v128, v80, -v68
	s_delay_alu instid0(VALU_DEP_3) | instskip(SKIP_1) | instid1(VALU_DEP_4)
	v_dual_fmac_f32 v181, v143, v94 :: v_dual_add_f32 v66, v66, v69
	v_mul_f32_e32 v69, v133, v85
	v_fma_f32 v67, v130, v82, -v67
	v_dual_mul_f32 v172, v124, v77 :: v_dual_mul_f32 v173, v126, v79
	s_delay_alu instid0(VALU_DEP_4) | instskip(SKIP_3) | instid1(VALU_DEP_4)
	v_add_f32_e32 v66, v66, v68
	v_dual_mul_f32 v184, v148, v101 :: v_dual_mul_f32 v185, v150, v103
	v_mul_f32_e32 v68, v135, v87
	v_fma_f32 v69, v132, v84, -v69
	v_add_f32_e32 v66, v66, v67
	v_dual_fmac_f32 v172, v125, v76 :: v_dual_fmac_f32 v173, v127, v78
	v_dual_add_f32 v64, v64, v171 :: v_dual_mul_f32 v67, v137, v89
	v_fma_f32 v68, v134, v86, -v68
	s_delay_alu instid0(VALU_DEP_4) | instskip(NEXT) | instid1(VALU_DEP_3)
	v_dual_fmac_f32 v185, v151, v102 :: v_dual_add_f32 v66, v66, v69
	v_dual_add_f32 v64, v64, v172 :: v_dual_mul_f32 v69, v139, v91
	s_delay_alu instid0(VALU_DEP_4) | instskip(SKIP_1) | instid1(VALU_DEP_4)
	v_fma_f32 v67, v136, v88, -v67
	v_fmac_f32_e32 v174, v129, v80
	v_add_f32_e32 v66, v66, v68
	v_mul_f32_e32 v68, v141, v93
	v_fma_f32 v69, v138, v90, -v69
	v_dual_mul_f32 v182, v144, v97 :: v_dual_mul_f32 v183, v146, v99
	s_delay_alu instid0(VALU_DEP_4) | instskip(SKIP_2) | instid1(VALU_DEP_4)
	v_add_f32_e32 v66, v66, v67
	v_mul_f32_e32 v67, v143, v95
	v_fma_f32 v68, v140, v92, -v68
	v_dual_add_f32 v64, v64, v173 :: v_dual_fmac_f32 v183, v147, v98
	s_delay_alu instid0(VALU_DEP_4) | instskip(SKIP_2) | instid1(VALU_DEP_4)
	v_add_f32_e32 v66, v66, v69
	v_mul_f32_e32 v69, v145, v97
	v_fma_f32 v67, v142, v94, -v67
	v_add_f32_e32 v64, v64, v174
	v_fmac_f32_e32 v176, v133, v84
	v_add_f32_e32 v66, v66, v68
	v_mul_f32_e32 v68, v147, v99
	v_fma_f32 v69, v144, v96, -v69
	v_dual_mul_f32 v186, v152, v105 :: v_dual_mul_f32 v187, v154, v107
	s_delay_alu instid0(VALU_DEP_4) | instskip(NEXT) | instid1(VALU_DEP_4)
	v_dual_add_f32 v66, v66, v67 :: v_dual_mul_f32 v67, v149, v101
	v_fma_f32 v68, v146, v98, -v68
	s_delay_alu instid0(VALU_DEP_3) | instskip(NEXT) | instid1(VALU_DEP_3)
	v_dual_add_f32 v64, v64, v175 :: v_dual_fmac_f32 v187, v155, v106
	v_dual_add_f32 v66, v66, v69 :: v_dual_mul_f32 v69, v151, v103
	s_delay_alu instid0(VALU_DEP_4) | instskip(NEXT) | instid1(VALU_DEP_3)
	v_fma_f32 v67, v148, v100, -v67
	v_dual_add_f32 v64, v64, v176 :: v_dual_mul_f32 v189, v158, v111
	v_mul_f32_e32 v190, v160, v113
	s_delay_alu instid0(VALU_DEP_4) | instskip(SKIP_3) | instid1(VALU_DEP_4)
	v_add_f32_e32 v66, v66, v68
	v_mul_f32_e32 v68, v153, v105
	v_fma_f32 v69, v150, v102, -v69
	v_dual_fmac_f32 v178, v137, v88 :: v_dual_fmac_f32 v189, v159, v110
	v_add_f32_e32 v66, v66, v67
	v_mul_f32_e32 v67, v155, v107
	v_fma_f32 v68, v152, v104, -v68
	v_fmac_f32_e32 v180, v141, v92
	v_fmac_f32_e32 v182, v145, v96
	v_add_f32_e32 v66, v66, v69
	v_fma_f32 v67, v154, v106, -v67
	v_dual_fmac_f32 v191, v167, v162 :: v_dual_fmac_f32 v184, v149, v100
	v_fmac_f32_e32 v186, v153, v104
	s_delay_alu instid0(VALU_DEP_4) | instskip(SKIP_3) | instid1(VALU_DEP_4)
	v_dual_add_f32 v66, v66, v68 :: v_dual_mul_f32 v69, v157, v109
	v_mul_f32_e32 v68, v159, v111
	v_fmac_f32_e32 v188, v157, v108
	v_fmac_f32_e32 v190, v161, v112
	v_dual_add_f32 v66, v66, v67 :: v_dual_mul_f32 v67, v161, v113
	v_add_f32_e32 v64, v64, v177
	v_fma_f32 v69, v156, v108, -v69
	v_fma_f32 v68, v158, v110, -v68
	s_delay_alu instid0(VALU_DEP_4) | instskip(NEXT) | instid1(VALU_DEP_4)
	v_fma_f32 v67, v160, v112, -v67
	v_add_f32_e32 v64, v64, v178
	s_delay_alu instid0(VALU_DEP_4) | instskip(NEXT) | instid1(VALU_DEP_2)
	v_dual_add_f32 v66, v66, v69 :: v_dual_mul_f32 v69, v167, v163
	v_add_f32_e32 v64, v64, v179
	s_delay_alu instid0(VALU_DEP_2) | instskip(NEXT) | instid1(VALU_DEP_3)
	v_add_f32_e32 v66, v66, v68
	v_fma_f32 v68, v166, v162, -v69
	s_delay_alu instid0(VALU_DEP_3) | instskip(NEXT) | instid1(VALU_DEP_3)
	v_add_f32_e32 v64, v64, v180
	v_add_f32_e32 v66, v66, v67
	s_delay_alu instid0(VALU_DEP_2) | instskip(NEXT) | instid1(VALU_DEP_2)
	v_add_f32_e32 v64, v64, v181
	v_add_f32_e32 v66, v66, v68
	s_delay_alu instid0(VALU_DEP_2) | instskip(SKIP_1) | instid1(VALU_DEP_2)
	v_add_f32_e32 v64, v64, v182
	s_wait_loadcnt 0x0
	v_sub_f32_e32 v66, v164, v66
	s_delay_alu instid0(VALU_DEP_2) | instskip(NEXT) | instid1(VALU_DEP_1)
	v_add_f32_e32 v64, v64, v183
	v_add_f32_e32 v64, v64, v184
	s_delay_alu instid0(VALU_DEP_1) | instskip(NEXT) | instid1(VALU_DEP_1)
	v_add_f32_e32 v64, v64, v185
	v_add_f32_e32 v64, v64, v186
	s_delay_alu instid0(VALU_DEP_1) | instskip(NEXT) | instid1(VALU_DEP_1)
	;; [unrolled: 3-line block ×4, first 2 shown]
	v_add_f32_e32 v64, v64, v191
	v_sub_f32_e32 v67, v165, v64
	scratch_store_b64 off, v[66:67], off offset:40
	v_cmpx_lt_u32_e32 4, v0
	s_cbranch_execz .LBB30_191
; %bb.190:
	scratch_load_b64 v[66:67], off, off offset:32
	v_mov_b32_e32 v64, v63
	scratch_store_b64 off, v[63:64], off offset:32
	s_wait_loadcnt 0x0
	ds_store_b64 v65, v[66:67]
.LBB30_191:
	s_wait_alu 0xfffe
	s_or_b32 exec_lo, exec_lo, s0
	s_wait_storecnt_dscnt 0x0
	s_barrier_signal -1
	s_barrier_wait -1
	global_inv scope:SCOPE_SE
	s_clause 0xd
	scratch_load_b128 v[66:69], off, off offset:40
	scratch_load_b128 v[70:73], off, off offset:56
	;; [unrolled: 1-line block ×13, first 2 shown]
	scratch_load_b64 v[170:171], off, off offset:32
	ds_load_2addr_b64 v[118:121], v63 offset0:37 offset1:38
	ds_load_2addr_b64 v[122:125], v63 offset0:39 offset1:40
	;; [unrolled: 1-line block ×13, first 2 shown]
	s_mov_b32 s0, exec_lo
	s_wait_loadcnt_dscnt 0xd0c
	v_dual_mul_f32 v63, v118, v67 :: v_dual_mul_f32 v64, v120, v69
	v_mul_f32_e32 v67, v119, v67
	s_wait_loadcnt_dscnt 0xc0b
	v_dual_mul_f32 v69, v121, v69 :: v_dual_mul_f32 v172, v122, v71
	s_delay_alu instid0(VALU_DEP_3) | instskip(NEXT) | instid1(VALU_DEP_3)
	v_dual_mul_f32 v173, v124, v73 :: v_dual_fmac_f32 v64, v121, v68
	v_fma_f32 v67, v118, v66, -v67
	v_fmac_f32_e32 v63, v119, v66
	v_mul_f32_e32 v66, v123, v71
	v_fma_f32 v68, v120, v68, -v69
	v_mul_f32_e32 v69, v125, v73
	v_dual_add_f32 v67, 0, v67 :: v_dual_fmac_f32 v172, v123, v70
	s_delay_alu instid0(VALU_DEP_4) | instskip(SKIP_2) | instid1(VALU_DEP_3)
	v_fma_f32 v66, v122, v70, -v66
	s_wait_loadcnt_dscnt 0xb0a
	v_dual_mul_f32 v174, v126, v75 :: v_dual_mul_f32 v175, v128, v77
	v_add_f32_e32 v67, v67, v68
	v_fmac_f32_e32 v173, v125, v72
	v_fma_f32 v68, v124, v72, -v69
	s_wait_loadcnt_dscnt 0xa09
	v_dual_mul_f32 v176, v130, v79 :: v_dual_mul_f32 v177, v132, v81
	v_dual_add_f32 v66, v67, v66 :: v_dual_mul_f32 v67, v129, v77
	v_fmac_f32_e32 v174, v127, v74
	s_wait_loadcnt_dscnt 0x908
	v_dual_mul_f32 v178, v134, v83 :: v_dual_mul_f32 v179, v136, v85
	s_delay_alu instid0(VALU_DEP_3) | instskip(SKIP_3) | instid1(VALU_DEP_4)
	v_dual_add_f32 v66, v66, v68 :: v_dual_add_f32 v63, 0, v63
	v_mul_f32_e32 v68, v131, v79
	v_fma_f32 v67, v128, v76, -v67
	v_dual_fmac_f32 v175, v129, v76 :: v_dual_fmac_f32 v176, v131, v78
	v_add_f32_e32 v63, v63, v64
	v_mul_f32_e32 v64, v127, v75
	v_fma_f32 v68, v130, v78, -v68
	v_dual_fmac_f32 v177, v133, v80 :: v_dual_fmac_f32 v178, v135, v82
	s_wait_loadcnt_dscnt 0x807
	v_dual_mul_f32 v180, v138, v87 :: v_dual_mul_f32 v181, v140, v89
	v_fma_f32 v64, v126, v74, -v64
	s_wait_loadcnt_dscnt 0x706
	v_dual_mul_f32 v182, v142, v91 :: v_dual_mul_f32 v183, v144, v93
	s_wait_loadcnt_dscnt 0x605
	v_dual_mul_f32 v184, v146, v95 :: v_dual_mul_f32 v185, v148, v97
	v_add_f32_e32 v64, v66, v64
	v_mul_f32_e32 v66, v133, v81
	v_dual_fmac_f32 v182, v143, v90 :: v_dual_fmac_f32 v183, v145, v92
	s_delay_alu instid0(VALU_DEP_4) | instskip(NEXT) | instid1(VALU_DEP_4)
	v_dual_fmac_f32 v184, v147, v94 :: v_dual_fmac_f32 v185, v149, v96
	v_dual_add_f32 v64, v64, v67 :: v_dual_add_f32 v63, v63, v172
	v_mul_f32_e32 v67, v135, v83
	v_fma_f32 v66, v132, v80, -v66
	v_fmac_f32_e32 v179, v137, v84
	s_delay_alu instid0(VALU_DEP_4)
	v_add_f32_e32 v64, v64, v68
	v_mul_f32_e32 v68, v137, v85
	v_add_f32_e32 v63, v63, v173
	v_fma_f32 v67, v134, v82, -v67
	v_fmac_f32_e32 v180, v139, v86
	v_add_f32_e32 v64, v64, v66
	v_mul_f32_e32 v66, v139, v87
	v_add_f32_e32 v63, v63, v174
	v_fma_f32 v68, v136, v84, -v68
	s_delay_alu instid0(VALU_DEP_4) | instskip(SKIP_1) | instid1(VALU_DEP_4)
	v_dual_fmac_f32 v181, v141, v88 :: v_dual_add_f32 v64, v64, v67
	v_mul_f32_e32 v67, v141, v89
	v_add_f32_e32 v63, v63, v175
	v_fma_f32 v66, v138, v86, -v66
	s_wait_loadcnt_dscnt 0x504
	v_dual_mul_f32 v186, v150, v99 :: v_dual_mul_f32 v187, v152, v101
	v_add_f32_e32 v64, v64, v68
	v_add_f32_e32 v63, v63, v176
	v_fma_f32 v67, v140, v88, -v67
	v_mul_f32_e32 v68, v143, v91
	v_dual_fmac_f32 v186, v151, v98 :: v_dual_fmac_f32 v187, v153, v100
	s_delay_alu instid0(VALU_DEP_4) | instskip(SKIP_1) | instid1(VALU_DEP_4)
	v_dual_add_f32 v64, v64, v66 :: v_dual_add_f32 v63, v63, v177
	v_mul_f32_e32 v66, v145, v93
	v_fma_f32 v68, v142, v90, -v68
	s_wait_loadcnt_dscnt 0x403
	v_dual_mul_f32 v188, v154, v103 :: v_dual_mul_f32 v189, v156, v105
	v_dual_add_f32 v64, v64, v67 :: v_dual_add_f32 v63, v63, v178
	v_mul_f32_e32 v67, v147, v95
	v_fma_f32 v66, v144, v92, -v66
	s_wait_loadcnt_dscnt 0x302
	v_dual_mul_f32 v190, v158, v107 :: v_dual_mul_f32 v191, v160, v109
	v_dual_add_f32 v63, v63, v179 :: v_dual_add_f32 v64, v64, v68
	v_mul_f32_e32 v68, v149, v97
	v_fma_f32 v67, v146, v94, -v67
	s_delay_alu instid0(VALU_DEP_4) | instskip(NEXT) | instid1(VALU_DEP_4)
	v_dual_fmac_f32 v188, v155, v102 :: v_dual_fmac_f32 v191, v161, v108
	v_dual_add_f32 v63, v63, v180 :: v_dual_add_f32 v64, v64, v66
	v_mul_f32_e32 v66, v151, v99
	v_fma_f32 v68, v148, v96, -v68
	v_fmac_f32_e32 v189, v157, v104
	s_delay_alu instid0(VALU_DEP_4) | instskip(SKIP_3) | instid1(VALU_DEP_4)
	v_dual_add_f32 v63, v63, v181 :: v_dual_add_f32 v64, v64, v67
	v_mul_f32_e32 v67, v153, v101
	v_fma_f32 v66, v150, v98, -v66
	v_fmac_f32_e32 v190, v159, v106
	v_dual_add_f32 v63, v63, v182 :: v_dual_add_f32 v64, v64, v68
	s_delay_alu instid0(VALU_DEP_4)
	v_fma_f32 v67, v152, v100, -v67
	v_mul_f32_e32 v68, v155, v103
	s_wait_loadcnt_dscnt 0x201
	v_dual_mul_f32 v192, v162, v111 :: v_dual_mul_f32 v193, v164, v113
	v_dual_add_f32 v63, v63, v183 :: v_dual_add_f32 v64, v64, v66
	v_mul_f32_e32 v66, v157, v105
	v_fma_f32 v68, v154, v102, -v68
	s_wait_loadcnt_dscnt 0x100
	v_dual_mul_f32 v194, v166, v115 :: v_dual_mul_f32 v195, v168, v117
	v_dual_add_f32 v63, v63, v184 :: v_dual_add_f32 v64, v64, v67
	v_mul_f32_e32 v67, v159, v107
	v_fma_f32 v66, v156, v104, -v66
	s_delay_alu instid0(VALU_DEP_4) | instskip(NEXT) | instid1(VALU_DEP_4)
	v_dual_fmac_f32 v192, v163, v110 :: v_dual_fmac_f32 v195, v169, v116
	v_dual_add_f32 v63, v63, v185 :: v_dual_add_f32 v64, v64, v68
	v_mul_f32_e32 v68, v161, v109
	v_fma_f32 v67, v158, v106, -v67
	v_fmac_f32_e32 v193, v165, v112
	s_delay_alu instid0(VALU_DEP_4)
	v_add_f32_e32 v63, v63, v186
	v_add_f32_e32 v64, v64, v66
	v_mul_f32_e32 v66, v163, v111
	v_fma_f32 v68, v160, v108, -v68
	v_fmac_f32_e32 v194, v167, v114
	v_add_f32_e32 v63, v63, v187
	v_dual_add_f32 v64, v64, v67 :: v_dual_mul_f32 v67, v165, v113
	v_fma_f32 v66, v162, v110, -v66
	s_delay_alu instid0(VALU_DEP_3) | instskip(NEXT) | instid1(VALU_DEP_3)
	v_add_f32_e32 v63, v63, v188
	v_add_f32_e32 v64, v64, v68
	v_mul_f32_e32 v68, v167, v115
	v_fma_f32 v67, v164, v112, -v67
	s_delay_alu instid0(VALU_DEP_3) | instskip(SKIP_1) | instid1(VALU_DEP_4)
	v_dual_add_f32 v63, v63, v189 :: v_dual_add_f32 v64, v64, v66
	v_mul_f32_e32 v66, v169, v117
	v_fma_f32 v68, v166, v114, -v68
	s_delay_alu instid0(VALU_DEP_3) | instskip(NEXT) | instid1(VALU_DEP_3)
	v_add_f32_e32 v63, v63, v190
	v_fma_f32 v66, v168, v116, -v66
	s_delay_alu instid0(VALU_DEP_2) | instskip(NEXT) | instid1(VALU_DEP_1)
	v_add_f32_e32 v63, v63, v191
	v_dual_add_f32 v63, v63, v192 :: v_dual_add_f32 v64, v64, v67
	s_delay_alu instid0(VALU_DEP_1) | instskip(NEXT) | instid1(VALU_DEP_1)
	v_dual_add_f32 v63, v63, v193 :: v_dual_add_f32 v64, v64, v68
	v_add_f32_e32 v63, v63, v194
	s_delay_alu instid0(VALU_DEP_2) | instskip(SKIP_1) | instid1(VALU_DEP_1)
	v_add_f32_e32 v64, v64, v66
	s_wait_loadcnt 0x0
	v_dual_add_f32 v66, v63, v195 :: v_dual_sub_f32 v63, v170, v64
	s_delay_alu instid0(VALU_DEP_1)
	v_sub_f32_e32 v64, v171, v66
	scratch_store_b64 off, v[63:64], off offset:32
	v_cmpx_lt_u32_e32 3, v0
	s_cbranch_execz .LBB30_193
; %bb.192:
	scratch_load_b64 v[63:64], off, off offset:24
	v_mov_b32_e32 v66, 0
	s_delay_alu instid0(VALU_DEP_1)
	v_mov_b32_e32 v67, v66
	scratch_store_b64 off, v[66:67], off offset:24
	s_wait_loadcnt 0x0
	ds_store_b64 v65, v[63:64]
.LBB30_193:
	s_wait_alu 0xfffe
	s_or_b32 exec_lo, exec_lo, s0
	s_wait_storecnt_dscnt 0x0
	s_barrier_signal -1
	s_barrier_wait -1
	global_inv scope:SCOPE_SE
	s_clause 0xe
	scratch_load_b128 v[66:69], off, off offset:32
	scratch_load_b128 v[70:73], off, off offset:48
	;; [unrolled: 1-line block ×13, first 2 shown]
	scratch_load_b64 v[170:171], off, off offset:240
	scratch_load_b64 v[172:173], off, off offset:24
	v_mov_b32_e32 v63, 0
	ds_load_b128 v[118:121], v63 offset:288
	ds_load_b128 v[122:125], v63 offset:304
	;; [unrolled: 1-line block ×13, first 2 shown]
	ds_load_b64 v[174:175], v63 offset:496
	s_mov_b32 s0, exec_lo
	s_wait_loadcnt_dscnt 0xe0d
	v_mul_f32_e32 v64, v118, v67
	s_wait_loadcnt_dscnt 0xd0c
	v_dual_mul_f32 v176, v120, v69 :: v_dual_mul_f32 v177, v122, v71
	v_mul_f32_e32 v69, v121, v69
	s_wait_loadcnt_dscnt 0xc0b
	v_dual_mul_f32 v178, v124, v73 :: v_dual_mul_f32 v179, v126, v75
	s_wait_loadcnt_dscnt 0xa09
	v_dual_mul_f32 v182, v132, v81 :: v_dual_mul_f32 v183, v134, v83
	v_mul_f32_e32 v67, v119, v67
	v_fmac_f32_e32 v64, v119, v66
	s_wait_loadcnt_dscnt 0x908
	v_dual_mul_f32 v184, v136, v85 :: v_dual_mul_f32 v185, v138, v87
	s_wait_loadcnt_dscnt 0x100
	v_dual_mul_f32 v198, v164, v113 :: v_dual_mul_f32 v201, v174, v171
	v_fma_f32 v67, v118, v66, -v67
	v_mul_f32_e32 v66, v123, v71
	v_fmac_f32_e32 v176, v121, v68
	v_fma_f32 v68, v120, v68, -v69
	v_dual_add_f32 v64, 0, v64 :: v_dual_mul_f32 v69, v125, v73
	v_add_f32_e32 v67, 0, v67
	v_fmac_f32_e32 v177, v123, v70
	v_fma_f32 v66, v122, v70, -v66
	s_delay_alu instid0(VALU_DEP_4)
	v_add_f32_e32 v64, v64, v176
	v_fma_f32 v69, v124, v72, -v69
	v_add_f32_e32 v67, v67, v68
	v_mul_f32_e32 v68, v127, v75
	v_dual_mul_f32 v186, v140, v89 :: v_dual_mul_f32 v187, v142, v91
	v_add_f32_e32 v64, v64, v177
	s_delay_alu instid0(VALU_DEP_4) | instskip(NEXT) | instid1(VALU_DEP_4)
	v_dual_add_f32 v66, v67, v66 :: v_dual_mul_f32 v67, v129, v77
	v_fma_f32 v68, v126, v74, -v68
	v_dual_fmac_f32 v178, v125, v72 :: v_dual_fmac_f32 v179, v127, v74
	s_delay_alu instid0(VALU_DEP_3) | instskip(NEXT) | instid1(VALU_DEP_4)
	v_dual_add_f32 v66, v66, v69 :: v_dual_mul_f32 v69, v131, v79
	v_fma_f32 v67, v128, v76, -v67
	v_dual_fmac_f32 v183, v135, v82 :: v_dual_mul_f32 v188, v144, v93
	v_mul_f32_e32 v189, v146, v95
	s_delay_alu instid0(VALU_DEP_4) | instskip(SKIP_3) | instid1(VALU_DEP_4)
	v_add_f32_e32 v66, v66, v68
	v_dual_mul_f32 v68, v133, v81 :: v_dual_fmac_f32 v185, v139, v86
	v_fma_f32 v69, v130, v78, -v69
	v_add_f32_e32 v64, v64, v178
	v_dual_add_f32 v66, v66, v67 :: v_dual_fmac_f32 v187, v143, v90
	v_mul_f32_e32 v67, v135, v83
	v_fma_f32 v68, v132, v80, -v68
	s_delay_alu instid0(VALU_DEP_3) | instskip(SKIP_1) | instid1(VALU_DEP_4)
	v_dual_fmac_f32 v189, v147, v94 :: v_dual_add_f32 v66, v66, v69
	v_mul_f32_e32 v69, v137, v85
	v_fma_f32 v67, v134, v82, -v67
	v_dual_mul_f32 v180, v128, v77 :: v_dual_mul_f32 v181, v130, v79
	s_delay_alu instid0(VALU_DEP_4) | instskip(SKIP_3) | instid1(VALU_DEP_4)
	v_add_f32_e32 v66, v66, v68
	v_dual_mul_f32 v192, v152, v101 :: v_dual_mul_f32 v193, v154, v103
	v_mul_f32_e32 v68, v139, v87
	v_fma_f32 v69, v136, v84, -v69
	v_add_f32_e32 v66, v66, v67
	v_dual_fmac_f32 v180, v129, v76 :: v_dual_fmac_f32 v181, v131, v78
	v_dual_add_f32 v64, v64, v179 :: v_dual_mul_f32 v67, v141, v89
	v_fma_f32 v68, v138, v86, -v68
	s_delay_alu instid0(VALU_DEP_4) | instskip(NEXT) | instid1(VALU_DEP_3)
	v_dual_fmac_f32 v193, v155, v102 :: v_dual_add_f32 v66, v66, v69
	v_dual_add_f32 v64, v64, v180 :: v_dual_mul_f32 v69, v143, v91
	s_delay_alu instid0(VALU_DEP_4) | instskip(SKIP_1) | instid1(VALU_DEP_4)
	v_fma_f32 v67, v140, v88, -v67
	v_fmac_f32_e32 v182, v133, v80
	v_add_f32_e32 v66, v66, v68
	v_mul_f32_e32 v68, v145, v93
	v_fma_f32 v69, v142, v90, -v69
	v_dual_fmac_f32 v201, v175, v170 :: v_dual_mul_f32 v190, v148, v97
	v_mul_f32_e32 v191, v150, v99
	v_add_f32_e32 v66, v66, v67
	v_mul_f32_e32 v67, v147, v95
	v_fma_f32 v68, v144, v92, -v68
	s_delay_alu instid0(VALU_DEP_4) | instskip(NEXT) | instid1(VALU_DEP_4)
	v_dual_add_f32 v64, v64, v181 :: v_dual_fmac_f32 v191, v151, v98
	v_add_f32_e32 v66, v66, v69
	v_mul_f32_e32 v69, v149, v97
	v_fma_f32 v67, v146, v94, -v67
	s_delay_alu instid0(VALU_DEP_4)
	v_add_f32_e32 v64, v64, v182
	v_fmac_f32_e32 v184, v137, v84
	v_add_f32_e32 v66, v66, v68
	v_mul_f32_e32 v68, v151, v99
	v_fma_f32 v69, v148, v96, -v69
	v_dual_mul_f32 v194, v156, v105 :: v_dual_mul_f32 v195, v158, v107
	s_delay_alu instid0(VALU_DEP_4) | instskip(NEXT) | instid1(VALU_DEP_4)
	v_dual_add_f32 v66, v66, v67 :: v_dual_mul_f32 v67, v153, v101
	v_fma_f32 v68, v150, v98, -v68
	s_delay_alu instid0(VALU_DEP_3) | instskip(NEXT) | instid1(VALU_DEP_3)
	v_dual_add_f32 v64, v64, v183 :: v_dual_fmac_f32 v195, v159, v106
	v_dual_add_f32 v66, v66, v69 :: v_dual_mul_f32 v69, v155, v103
	s_delay_alu instid0(VALU_DEP_4) | instskip(NEXT) | instid1(VALU_DEP_3)
	v_fma_f32 v67, v152, v100, -v67
	v_add_f32_e32 v64, v64, v184
	v_dual_mul_f32 v196, v160, v109 :: v_dual_mul_f32 v197, v162, v111
	s_delay_alu instid0(VALU_DEP_4) | instskip(SKIP_3) | instid1(VALU_DEP_4)
	v_add_f32_e32 v66, v66, v68
	v_mul_f32_e32 v68, v157, v105
	v_fma_f32 v69, v154, v102, -v69
	v_dual_mul_f32 v199, v166, v115 :: v_dual_mul_f32 v200, v168, v117
	v_add_f32_e32 v66, v66, v67
	v_mul_f32_e32 v67, v159, v107
	v_fma_f32 v68, v156, v104, -v68
	v_dual_fmac_f32 v186, v141, v88 :: v_dual_fmac_f32 v197, v163, v110
	s_delay_alu instid0(VALU_DEP_4) | instskip(NEXT) | instid1(VALU_DEP_4)
	v_add_f32_e32 v66, v66, v69
	v_fma_f32 v67, v158, v106, -v67
	v_dual_fmac_f32 v199, v167, v114 :: v_dual_fmac_f32 v188, v145, v92
	v_fmac_f32_e32 v190, v149, v96
	s_delay_alu instid0(VALU_DEP_4) | instskip(SKIP_3) | instid1(VALU_DEP_4)
	v_add_f32_e32 v66, v66, v68
	v_fmac_f32_e32 v192, v153, v100
	v_fmac_f32_e32 v194, v157, v104
	v_dual_mul_f32 v69, v161, v109 :: v_dual_mul_f32 v68, v163, v111
	v_dual_add_f32 v66, v66, v67 :: v_dual_mul_f32 v67, v165, v113
	v_add_f32_e32 v64, v64, v185
	v_fmac_f32_e32 v196, v161, v108
	s_delay_alu instid0(VALU_DEP_4)
	v_fma_f32 v69, v160, v108, -v69
	v_fma_f32 v68, v162, v110, -v68
	v_fmac_f32_e32 v198, v165, v112
	v_add_f32_e32 v64, v64, v186
	v_fma_f32 v67, v164, v112, -v67
	v_dual_add_f32 v66, v66, v69 :: v_dual_mul_f32 v69, v167, v115
	v_fmac_f32_e32 v200, v169, v116
	s_delay_alu instid0(VALU_DEP_4) | instskip(NEXT) | instid1(VALU_DEP_3)
	v_add_f32_e32 v64, v64, v187
	v_add_f32_e32 v66, v66, v68
	v_mul_f32_e32 v68, v169, v117
	v_fma_f32 v69, v166, v114, -v69
	s_delay_alu instid0(VALU_DEP_4) | instskip(NEXT) | instid1(VALU_DEP_4)
	v_add_f32_e32 v64, v64, v188
	v_add_f32_e32 v66, v66, v67
	v_mul_f32_e32 v67, v175, v171
	v_fma_f32 v68, v168, v116, -v68
	s_delay_alu instid0(VALU_DEP_4) | instskip(NEXT) | instid1(VALU_DEP_4)
	v_add_f32_e32 v64, v64, v189
	v_add_f32_e32 v66, v66, v69
	s_delay_alu instid0(VALU_DEP_4) | instskip(NEXT) | instid1(VALU_DEP_3)
	v_fma_f32 v67, v174, v170, -v67
	v_add_f32_e32 v64, v64, v190
	s_delay_alu instid0(VALU_DEP_3) | instskip(NEXT) | instid1(VALU_DEP_2)
	v_add_f32_e32 v66, v66, v68
	v_add_f32_e32 v64, v64, v191
	s_delay_alu instid0(VALU_DEP_2) | instskip(NEXT) | instid1(VALU_DEP_2)
	v_add_f32_e32 v66, v66, v67
	v_add_f32_e32 v64, v64, v192
	s_wait_loadcnt 0x0
	s_delay_alu instid0(VALU_DEP_2) | instskip(NEXT) | instid1(VALU_DEP_2)
	v_sub_f32_e32 v66, v172, v66
	v_add_f32_e32 v64, v64, v193
	s_delay_alu instid0(VALU_DEP_1) | instskip(NEXT) | instid1(VALU_DEP_1)
	v_add_f32_e32 v64, v64, v194
	v_add_f32_e32 v64, v64, v195
	s_delay_alu instid0(VALU_DEP_1) | instskip(NEXT) | instid1(VALU_DEP_1)
	v_add_f32_e32 v64, v64, v196
	;; [unrolled: 3-line block ×4, first 2 shown]
	v_add_f32_e32 v64, v64, v201
	s_delay_alu instid0(VALU_DEP_1)
	v_sub_f32_e32 v67, v173, v64
	scratch_store_b64 off, v[66:67], off offset:24
	v_cmpx_lt_u32_e32 2, v0
	s_cbranch_execz .LBB30_195
; %bb.194:
	scratch_load_b64 v[66:67], off, off offset:16
	v_mov_b32_e32 v64, v63
	scratch_store_b64 off, v[63:64], off offset:16
	s_wait_loadcnt 0x0
	ds_store_b64 v65, v[66:67]
.LBB30_195:
	s_wait_alu 0xfffe
	s_or_b32 exec_lo, exec_lo, s0
	s_wait_storecnt_dscnt 0x0
	s_barrier_signal -1
	s_barrier_wait -1
	global_inv scope:SCOPE_SE
	s_clause 0xe
	scratch_load_b128 v[66:69], off, off offset:24
	scratch_load_b128 v[70:73], off, off offset:40
	;; [unrolled: 1-line block ×14, first 2 shown]
	scratch_load_b64 v[178:179], off, off offset:16
	ds_load_2addr_b64 v[122:125], v63 offset0:35 offset1:36
	ds_load_2addr_b64 v[126:129], v63 offset0:37 offset1:38
	;; [unrolled: 1-line block ×14, first 2 shown]
	s_mov_b32 s0, exec_lo
	s_wait_loadcnt_dscnt 0xe0d
	v_dual_mul_f32 v63, v122, v67 :: v_dual_mul_f32 v64, v124, v69
	v_mul_f32_e32 v67, v123, v67
	s_wait_loadcnt_dscnt 0xd0c
	v_dual_mul_f32 v69, v125, v69 :: v_dual_mul_f32 v180, v126, v71
	s_delay_alu instid0(VALU_DEP_3) | instskip(NEXT) | instid1(VALU_DEP_3)
	v_dual_mul_f32 v181, v128, v73 :: v_dual_fmac_f32 v64, v125, v68
	v_fma_f32 v67, v122, v66, -v67
	v_fmac_f32_e32 v63, v123, v66
	v_mul_f32_e32 v66, v127, v71
	v_fma_f32 v68, v124, v68, -v69
	v_mul_f32_e32 v69, v129, v73
	v_dual_add_f32 v67, 0, v67 :: v_dual_fmac_f32 v180, v127, v70
	s_delay_alu instid0(VALU_DEP_4) | instskip(SKIP_2) | instid1(VALU_DEP_3)
	v_fma_f32 v66, v126, v70, -v66
	s_wait_loadcnt_dscnt 0xc0b
	v_dual_mul_f32 v182, v130, v75 :: v_dual_mul_f32 v183, v132, v77
	v_add_f32_e32 v67, v67, v68
	v_fmac_f32_e32 v181, v129, v72
	v_fma_f32 v68, v128, v72, -v69
	s_wait_loadcnt_dscnt 0xb0a
	v_dual_mul_f32 v184, v134, v79 :: v_dual_mul_f32 v185, v136, v81
	v_dual_add_f32 v66, v67, v66 :: v_dual_mul_f32 v67, v133, v77
	v_fmac_f32_e32 v182, v131, v74
	s_wait_loadcnt_dscnt 0xa09
	v_dual_mul_f32 v186, v138, v83 :: v_dual_mul_f32 v187, v140, v85
	s_delay_alu instid0(VALU_DEP_3) | instskip(SKIP_3) | instid1(VALU_DEP_4)
	v_dual_add_f32 v66, v66, v68 :: v_dual_add_f32 v63, 0, v63
	v_mul_f32_e32 v68, v135, v79
	v_fma_f32 v67, v132, v76, -v67
	v_dual_fmac_f32 v183, v133, v76 :: v_dual_fmac_f32 v184, v135, v78
	v_add_f32_e32 v63, v63, v64
	v_mul_f32_e32 v64, v131, v75
	v_fma_f32 v68, v134, v78, -v68
	v_dual_fmac_f32 v185, v137, v80 :: v_dual_fmac_f32 v186, v139, v82
	s_wait_loadcnt_dscnt 0x908
	v_dual_mul_f32 v188, v142, v87 :: v_dual_mul_f32 v189, v144, v89
	v_fma_f32 v64, v130, v74, -v64
	s_wait_loadcnt_dscnt 0x807
	v_dual_mul_f32 v190, v146, v91 :: v_dual_mul_f32 v191, v148, v93
	s_wait_loadcnt_dscnt 0x706
	v_dual_mul_f32 v192, v150, v95 :: v_dual_mul_f32 v193, v152, v97
	v_add_f32_e32 v64, v66, v64
	v_mul_f32_e32 v66, v137, v81
	v_dual_fmac_f32 v190, v147, v90 :: v_dual_fmac_f32 v191, v149, v92
	s_delay_alu instid0(VALU_DEP_4) | instskip(NEXT) | instid1(VALU_DEP_4)
	v_dual_fmac_f32 v192, v151, v94 :: v_dual_fmac_f32 v193, v153, v96
	v_dual_add_f32 v64, v64, v67 :: v_dual_add_f32 v63, v63, v180
	v_mul_f32_e32 v67, v139, v83
	v_fma_f32 v66, v136, v80, -v66
	v_fmac_f32_e32 v187, v141, v84
	s_delay_alu instid0(VALU_DEP_4)
	v_add_f32_e32 v64, v64, v68
	v_mul_f32_e32 v68, v141, v85
	v_add_f32_e32 v63, v63, v181
	v_fma_f32 v67, v138, v82, -v67
	v_fmac_f32_e32 v188, v143, v86
	v_add_f32_e32 v64, v64, v66
	v_mul_f32_e32 v66, v143, v87
	v_add_f32_e32 v63, v63, v182
	v_fma_f32 v68, v140, v84, -v68
	s_delay_alu instid0(VALU_DEP_4) | instskip(SKIP_1) | instid1(VALU_DEP_4)
	v_dual_fmac_f32 v189, v145, v88 :: v_dual_add_f32 v64, v64, v67
	v_mul_f32_e32 v67, v145, v89
	v_add_f32_e32 v63, v63, v183
	v_fma_f32 v66, v142, v86, -v66
	s_wait_loadcnt_dscnt 0x605
	v_dual_mul_f32 v194, v154, v99 :: v_dual_mul_f32 v195, v156, v101
	v_add_f32_e32 v64, v64, v68
	v_add_f32_e32 v63, v63, v184
	v_fma_f32 v67, v144, v88, -v67
	v_mul_f32_e32 v68, v147, v91
	s_wait_loadcnt_dscnt 0x504
	v_dual_mul_f32 v196, v158, v103 :: v_dual_mul_f32 v197, v160, v105
	v_dual_add_f32 v64, v64, v66 :: v_dual_add_f32 v63, v63, v185
	v_mul_f32_e32 v66, v149, v93
	v_fma_f32 v68, v146, v90, -v68
	v_dual_fmac_f32 v194, v155, v98 :: v_dual_fmac_f32 v195, v157, v100
	s_delay_alu instid0(VALU_DEP_4)
	v_dual_add_f32 v64, v64, v67 :: v_dual_add_f32 v63, v63, v186
	v_mul_f32_e32 v67, v151, v95
	v_fma_f32 v66, v148, v92, -v66
	s_wait_loadcnt_dscnt 0x403
	v_dual_mul_f32 v198, v162, v107 :: v_dual_mul_f32 v199, v164, v109
	v_dual_add_f32 v63, v63, v187 :: v_dual_add_f32 v64, v64, v68
	v_mul_f32_e32 v68, v153, v97
	v_fma_f32 v67, v150, v94, -v67
	s_delay_alu instid0(VALU_DEP_4) | instskip(NEXT) | instid1(VALU_DEP_4)
	v_dual_fmac_f32 v196, v159, v102 :: v_dual_fmac_f32 v199, v165, v108
	v_dual_add_f32 v63, v63, v188 :: v_dual_add_f32 v64, v64, v66
	v_mul_f32_e32 v66, v155, v99
	v_fma_f32 v68, v152, v96, -v68
	v_fmac_f32_e32 v197, v161, v104
	s_delay_alu instid0(VALU_DEP_4)
	v_dual_add_f32 v63, v63, v189 :: v_dual_add_f32 v64, v64, v67
	v_mul_f32_e32 v67, v157, v101
	v_fma_f32 v66, v154, v98, -v66
	s_wait_loadcnt_dscnt 0x302
	v_dual_mul_f32 v200, v166, v111 :: v_dual_mul_f32 v201, v168, v113
	v_dual_add_f32 v63, v63, v190 :: v_dual_add_f32 v64, v64, v68
	v_mul_f32_e32 v68, v159, v103
	v_fma_f32 v67, v156, v100, -v67
	v_fmac_f32_e32 v198, v163, v106
	s_delay_alu instid0(VALU_DEP_4)
	v_dual_add_f32 v63, v63, v191 :: v_dual_add_f32 v64, v64, v66
	v_mul_f32_e32 v66, v161, v105
	v_fma_f32 v68, v158, v102, -v68
	s_wait_loadcnt_dscnt 0x201
	v_dual_mul_f32 v202, v170, v115 :: v_dual_mul_f32 v203, v172, v117
	;; [unrolled: 10-line block ×3, first 2 shown]
	v_add_f32_e32 v63, v63, v194
	v_add_f32_e32 v64, v64, v66
	v_mul_f32_e32 v66, v167, v111
	v_fma_f32 v68, v164, v108, -v68
	v_dual_fmac_f32 v200, v167, v110 :: v_dual_fmac_f32 v203, v173, v116
	v_add_f32_e32 v63, v63, v195
	v_dual_add_f32 v64, v64, v67 :: v_dual_mul_f32 v67, v169, v113
	v_fma_f32 v66, v166, v110, -v66
	v_fmac_f32_e32 v205, v177, v120
	s_delay_alu instid0(VALU_DEP_4) | instskip(NEXT) | instid1(VALU_DEP_4)
	v_add_f32_e32 v63, v63, v196
	v_add_f32_e32 v64, v64, v68
	v_mul_f32_e32 v68, v171, v115
	v_fma_f32 v67, v168, v112, -v67
	v_fmac_f32_e32 v204, v175, v118
	s_delay_alu instid0(VALU_DEP_4) | instskip(SKIP_2) | instid1(VALU_DEP_3)
	v_dual_add_f32 v63, v63, v197 :: v_dual_add_f32 v64, v64, v66
	v_mul_f32_e32 v66, v173, v117
	v_fma_f32 v68, v170, v114, -v68
	v_add_f32_e32 v63, v63, v198
	s_delay_alu instid0(VALU_DEP_3) | instskip(NEXT) | instid1(VALU_DEP_2)
	v_fma_f32 v66, v172, v116, -v66
	v_add_f32_e32 v63, v63, v199
	s_delay_alu instid0(VALU_DEP_1) | instskip(NEXT) | instid1(VALU_DEP_1)
	v_dual_add_f32 v63, v63, v200 :: v_dual_add_f32 v64, v64, v67
	v_add_f32_e32 v63, v63, v201
	s_delay_alu instid0(VALU_DEP_2) | instskip(SKIP_1) | instid1(VALU_DEP_2)
	v_dual_mul_f32 v67, v175, v119 :: v_dual_add_f32 v64, v64, v68
	v_mul_f32_e32 v68, v177, v121
	v_fma_f32 v67, v174, v118, -v67
	s_delay_alu instid0(VALU_DEP_3) | instskip(NEXT) | instid1(VALU_DEP_3)
	v_add_f32_e32 v64, v64, v66
	v_fma_f32 v66, v176, v120, -v68
	s_delay_alu instid0(VALU_DEP_2) | instskip(NEXT) | instid1(VALU_DEP_1)
	v_add_f32_e32 v64, v64, v67
	v_add_f32_e32 v64, v64, v66
	v_fmac_f32_e32 v202, v171, v114
	s_delay_alu instid0(VALU_DEP_1) | instskip(NEXT) | instid1(VALU_DEP_1)
	v_add_f32_e32 v63, v63, v202
	v_add_f32_e32 v63, v63, v203
	s_delay_alu instid0(VALU_DEP_1) | instskip(SKIP_1) | instid1(VALU_DEP_1)
	v_add_f32_e32 v63, v63, v204
	s_wait_loadcnt 0x0
	v_dual_add_f32 v66, v63, v205 :: v_dual_sub_f32 v63, v178, v64
	s_delay_alu instid0(VALU_DEP_1)
	v_sub_f32_e32 v64, v179, v66
	scratch_store_b64 off, v[63:64], off offset:16
	v_cmpx_lt_u32_e32 1, v0
	s_cbranch_execz .LBB30_197
; %bb.196:
	scratch_load_b64 v[63:64], off, off offset:8
	v_mov_b32_e32 v66, 0
	s_delay_alu instid0(VALU_DEP_1)
	v_mov_b32_e32 v67, v66
	scratch_store_b64 off, v[66:67], off offset:8
	s_wait_loadcnt 0x0
	ds_store_b64 v65, v[63:64]
.LBB30_197:
	s_wait_alu 0xfffe
	s_or_b32 exec_lo, exec_lo, s0
	s_wait_storecnt_dscnt 0x0
	s_barrier_signal -1
	s_barrier_wait -1
	global_inv scope:SCOPE_SE
	s_clause 0xf
	scratch_load_b128 v[66:69], off, off offset:16
	scratch_load_b128 v[70:73], off, off offset:32
	scratch_load_b128 v[74:77], off, off offset:48
	scratch_load_b128 v[78:81], off, off offset:64
	scratch_load_b128 v[82:85], off, off offset:80
	scratch_load_b128 v[86:89], off, off offset:96
	scratch_load_b128 v[90:93], off, off offset:112
	scratch_load_b128 v[94:97], off, off offset:128
	scratch_load_b128 v[98:101], off, off offset:144
	scratch_load_b128 v[102:105], off, off offset:160
	scratch_load_b128 v[106:109], off, off offset:176
	scratch_load_b128 v[110:113], off, off offset:192
	scratch_load_b128 v[114:117], off, off offset:208
	scratch_load_b128 v[118:121], off, off offset:224
	scratch_load_b64 v[178:179], off, off offset:240
	scratch_load_b64 v[180:181], off, off offset:8
	v_mov_b32_e32 v63, 0
	ds_load_b128 v[122:125], v63 offset:272
	ds_load_b128 v[126:129], v63 offset:288
	ds_load_b128 v[130:133], v63 offset:304
	ds_load_b128 v[134:137], v63 offset:320
	ds_load_b128 v[138:141], v63 offset:336
	ds_load_b128 v[142:145], v63 offset:352
	ds_load_b128 v[146:149], v63 offset:368
	ds_load_b128 v[150:153], v63 offset:384
	ds_load_b128 v[154:157], v63 offset:400
	ds_load_b128 v[158:161], v63 offset:416
	ds_load_b128 v[162:165], v63 offset:432
	ds_load_b128 v[166:169], v63 offset:448
	ds_load_b128 v[170:173], v63 offset:464
	ds_load_b128 v[174:177], v63 offset:480
	ds_load_b64 v[182:183], v63 offset:496
	s_mov_b32 s0, exec_lo
	s_wait_loadcnt_dscnt 0xf0e
	v_mul_f32_e32 v64, v122, v67
	s_wait_loadcnt_dscnt 0xe0d
	v_dual_mul_f32 v184, v124, v69 :: v_dual_mul_f32 v185, v126, v71
	v_mul_f32_e32 v69, v125, v69
	s_wait_loadcnt_dscnt 0xd0c
	v_dual_mul_f32 v186, v128, v73 :: v_dual_mul_f32 v187, v130, v75
	s_wait_loadcnt_dscnt 0xb0a
	v_dual_mul_f32 v190, v136, v81 :: v_dual_mul_f32 v191, v138, v83
	v_dual_mul_f32 v67, v123, v67 :: v_dual_mul_f32 v192, v140, v85
	s_wait_loadcnt_dscnt 0xa09
	v_dual_mul_f32 v193, v142, v87 :: v_dual_fmac_f32 v64, v123, v66
	s_wait_loadcnt_dscnt 0x302
	v_mul_f32_e32 v208, v172, v117
	v_fma_f32 v67, v122, v66, -v67
	s_wait_loadcnt_dscnt 0x100
	v_mul_f32_e32 v211, v182, v179
	v_mul_f32_e32 v66, v127, v71
	v_fmac_f32_e32 v184, v125, v68
	v_fma_f32 v68, v124, v68, -v69
	v_dual_add_f32 v67, 0, v67 :: v_dual_add_f32 v64, 0, v64
	v_mul_f32_e32 v69, v129, v73
	v_fmac_f32_e32 v185, v127, v70
	v_fma_f32 v66, v126, v70, -v66
	v_dual_mul_f32 v194, v144, v89 :: v_dual_mul_f32 v195, v146, v91
	v_add_f32_e32 v64, v64, v184
	v_add_f32_e32 v67, v67, v68
	v_mul_f32_e32 v68, v131, v75
	v_fma_f32 v69, v128, v72, -v69
	v_dual_fmac_f32 v186, v129, v72 :: v_dual_fmac_f32 v187, v131, v74
	v_add_f32_e32 v64, v64, v185
	v_dual_add_f32 v66, v67, v66 :: v_dual_mul_f32 v67, v133, v77
	v_fma_f32 v68, v130, v74, -v68
	v_dual_mul_f32 v196, v148, v93 :: v_dual_mul_f32 v197, v150, v95
	s_delay_alu instid0(VALU_DEP_3) | instskip(NEXT) | instid1(VALU_DEP_4)
	v_dual_add_f32 v66, v66, v69 :: v_dual_mul_f32 v69, v135, v79
	v_fma_f32 v67, v132, v76, -v67
	v_fmac_f32_e32 v191, v139, v82
	v_add_f32_e32 v64, v64, v186
	s_delay_alu instid0(VALU_DEP_4) | instskip(SKIP_2) | instid1(VALU_DEP_3)
	v_add_f32_e32 v66, v66, v68
	v_dual_mul_f32 v68, v137, v81 :: v_dual_fmac_f32 v193, v143, v86
	v_fma_f32 v69, v134, v78, -v69
	v_dual_fmac_f32 v195, v147, v90 :: v_dual_add_f32 v66, v66, v67
	v_mul_f32_e32 v67, v139, v83
	s_delay_alu instid0(VALU_DEP_4)
	v_fma_f32 v68, v136, v80, -v68
	v_dual_fmac_f32 v197, v151, v94 :: v_dual_mul_f32 v188, v132, v77
	v_mul_f32_e32 v189, v134, v79
	v_add_f32_e32 v66, v66, v69
	v_mul_f32_e32 v69, v141, v85
	v_fma_f32 v67, v138, v82, -v67
	v_dual_mul_f32 v200, v156, v101 :: v_dual_mul_f32 v201, v158, v103
	s_delay_alu instid0(VALU_DEP_4) | instskip(SKIP_3) | instid1(VALU_DEP_4)
	v_add_f32_e32 v66, v66, v68
	v_mul_f32_e32 v68, v143, v87
	v_fma_f32 v69, v140, v84, -v69
	v_dual_fmac_f32 v188, v133, v76 :: v_dual_fmac_f32 v189, v135, v78
	v_dual_add_f32 v66, v66, v67 :: v_dual_fmac_f32 v201, v159, v102
	v_dual_add_f32 v64, v64, v187 :: v_dual_mul_f32 v67, v145, v89
	v_fma_f32 v68, v142, v86, -v68
	s_delay_alu instid0(VALU_DEP_3) | instskip(NEXT) | instid1(VALU_DEP_3)
	v_dual_add_f32 v66, v66, v69 :: v_dual_mul_f32 v69, v147, v91
	v_add_f32_e32 v64, v64, v188
	s_delay_alu instid0(VALU_DEP_4) | instskip(SKIP_1) | instid1(VALU_DEP_4)
	v_fma_f32 v67, v144, v88, -v67
	v_fmac_f32_e32 v190, v137, v80
	v_add_f32_e32 v66, v66, v68
	v_mul_f32_e32 v68, v149, v93
	v_fma_f32 v69, v146, v90, -v69
	v_dual_mul_f32 v198, v152, v97 :: v_dual_mul_f32 v199, v154, v99
	s_delay_alu instid0(VALU_DEP_4) | instskip(SKIP_3) | instid1(VALU_DEP_4)
	v_add_f32_e32 v66, v66, v67
	v_mul_f32_e32 v67, v151, v95
	v_fma_f32 v68, v148, v92, -v68
	v_dual_fmac_f32 v211, v183, v178 :: v_dual_add_f32 v64, v64, v189
	v_dual_fmac_f32 v199, v155, v98 :: v_dual_add_f32 v66, v66, v69
	v_mul_f32_e32 v69, v153, v97
	v_fma_f32 v67, v150, v94, -v67
	s_delay_alu instid0(VALU_DEP_4)
	v_add_f32_e32 v64, v64, v190
	v_fmac_f32_e32 v192, v141, v84
	v_add_f32_e32 v66, v66, v68
	v_mul_f32_e32 v68, v155, v99
	v_fma_f32 v69, v152, v96, -v69
	v_dual_mul_f32 v202, v160, v105 :: v_dual_mul_f32 v203, v162, v107
	s_delay_alu instid0(VALU_DEP_4) | instskip(NEXT) | instid1(VALU_DEP_4)
	v_dual_add_f32 v66, v66, v67 :: v_dual_mul_f32 v67, v157, v101
	v_fma_f32 v68, v154, v98, -v68
	s_delay_alu instid0(VALU_DEP_3) | instskip(NEXT) | instid1(VALU_DEP_3)
	v_dual_add_f32 v64, v64, v191 :: v_dual_fmac_f32 v203, v163, v106
	v_dual_add_f32 v66, v66, v69 :: v_dual_mul_f32 v69, v159, v103
	s_delay_alu instid0(VALU_DEP_4) | instskip(NEXT) | instid1(VALU_DEP_3)
	v_fma_f32 v67, v156, v100, -v67
	v_add_f32_e32 v64, v64, v192
	v_dual_mul_f32 v204, v164, v109 :: v_dual_mul_f32 v205, v166, v111
	s_delay_alu instid0(VALU_DEP_4) | instskip(SKIP_3) | instid1(VALU_DEP_4)
	v_add_f32_e32 v66, v66, v68
	v_mul_f32_e32 v68, v161, v105
	v_fma_f32 v69, v158, v102, -v69
	v_dual_mul_f32 v206, v168, v113 :: v_dual_mul_f32 v207, v170, v115
	v_add_f32_e32 v66, v66, v67
	v_mul_f32_e32 v67, v163, v107
	v_fma_f32 v68, v160, v104, -v68
	v_dual_fmac_f32 v194, v145, v88 :: v_dual_fmac_f32 v205, v167, v110
	s_delay_alu instid0(VALU_DEP_4) | instskip(NEXT) | instid1(VALU_DEP_4)
	v_add_f32_e32 v66, v66, v69
	v_fma_f32 v67, v162, v106, -v67
	v_dual_mul_f32 v209, v174, v119 :: v_dual_mul_f32 v210, v176, v121
	s_delay_alu instid0(VALU_DEP_3) | instskip(NEXT) | instid1(VALU_DEP_2)
	v_dual_fmac_f32 v207, v171, v114 :: v_dual_add_f32 v66, v66, v68
	v_dual_fmac_f32 v196, v149, v92 :: v_dual_fmac_f32 v209, v175, v118
	v_fmac_f32_e32 v198, v153, v96
	v_fmac_f32_e32 v200, v157, v100
	s_delay_alu instid0(VALU_DEP_4) | instskip(SKIP_4) | instid1(VALU_DEP_4)
	v_dual_add_f32 v66, v66, v67 :: v_dual_mul_f32 v67, v169, v113
	v_add_f32_e32 v64, v64, v193
	v_fmac_f32_e32 v202, v161, v104
	v_dual_mul_f32 v69, v165, v109 :: v_dual_mul_f32 v68, v167, v111
	v_fmac_f32_e32 v204, v165, v108
	v_add_f32_e32 v64, v64, v194
	v_fmac_f32_e32 v206, v169, v112
	s_delay_alu instid0(VALU_DEP_4)
	v_fma_f32 v69, v164, v108, -v69
	v_fma_f32 v68, v166, v110, -v68
	v_fma_f32 v67, v168, v112, -v67
	v_add_f32_e32 v64, v64, v195
	v_fmac_f32_e32 v208, v173, v116
	v_dual_add_f32 v66, v66, v69 :: v_dual_mul_f32 v69, v171, v115
	v_fmac_f32_e32 v210, v177, v120
	s_delay_alu instid0(VALU_DEP_4) | instskip(NEXT) | instid1(VALU_DEP_3)
	v_add_f32_e32 v64, v64, v196
	v_add_f32_e32 v66, v66, v68
	v_mul_f32_e32 v68, v173, v117
	v_fma_f32 v69, v170, v114, -v69
	s_delay_alu instid0(VALU_DEP_4) | instskip(NEXT) | instid1(VALU_DEP_4)
	v_add_f32_e32 v64, v64, v197
	v_add_f32_e32 v66, v66, v67
	v_mul_f32_e32 v67, v175, v119
	v_fma_f32 v68, v172, v116, -v68
	s_delay_alu instid0(VALU_DEP_4) | instskip(NEXT) | instid1(VALU_DEP_4)
	;; [unrolled: 5-line block ×4, first 2 shown]
	v_add_f32_e32 v64, v64, v200
	v_add_f32_e32 v66, v66, v67
	s_delay_alu instid0(VALU_DEP_4) | instskip(NEXT) | instid1(VALU_DEP_3)
	v_fma_f32 v67, v182, v178, -v68
	v_add_f32_e32 v64, v64, v201
	s_delay_alu instid0(VALU_DEP_3) | instskip(NEXT) | instid1(VALU_DEP_2)
	v_add_f32_e32 v66, v66, v69
	v_add_f32_e32 v64, v64, v202
	s_delay_alu instid0(VALU_DEP_2) | instskip(NEXT) | instid1(VALU_DEP_2)
	v_add_f32_e32 v66, v66, v67
	v_add_f32_e32 v64, v64, v203
	s_wait_loadcnt 0x0
	s_delay_alu instid0(VALU_DEP_2) | instskip(NEXT) | instid1(VALU_DEP_2)
	v_sub_f32_e32 v66, v180, v66
	v_add_f32_e32 v64, v64, v204
	s_delay_alu instid0(VALU_DEP_1) | instskip(NEXT) | instid1(VALU_DEP_1)
	v_add_f32_e32 v64, v64, v205
	v_add_f32_e32 v64, v64, v206
	s_delay_alu instid0(VALU_DEP_1) | instskip(NEXT) | instid1(VALU_DEP_1)
	v_add_f32_e32 v64, v64, v207
	;; [unrolled: 3-line block ×4, first 2 shown]
	v_sub_f32_e32 v67, v181, v64
	scratch_store_b64 off, v[66:67], off offset:8
	v_cmpx_ne_u32_e32 0, v0
	s_cbranch_execz .LBB30_199
; %bb.198:
	scratch_load_b64 v[66:67], off, off
	v_mov_b32_e32 v64, v63
	scratch_store_b64 off, v[63:64], off
	s_wait_loadcnt 0x0
	ds_store_b64 v65, v[66:67]
.LBB30_199:
	s_wait_alu 0xfffe
	s_or_b32 exec_lo, exec_lo, s0
	s_wait_storecnt_dscnt 0x0
	s_barrier_signal -1
	s_barrier_wait -1
	global_inv scope:SCOPE_SE
	s_clause 0xf
	scratch_load_b128 v[64:67], off, off offset:8
	scratch_load_b128 v[68:71], off, off offset:24
	;; [unrolled: 1-line block ×15, first 2 shown]
	scratch_load_b64 v[184:185], off, off
	ds_load_2addr_b64 v[124:127], v63 offset0:33 offset1:34
	ds_load_2addr_b64 v[128:131], v63 offset0:35 offset1:36
	;; [unrolled: 1-line block ×15, first 2 shown]
	s_and_b32 vcc_lo, exec_lo, s18
	s_wait_loadcnt_dscnt 0xf0e
	v_dual_mul_f32 v0, v124, v65 :: v_dual_mul_f32 v63, v126, v67
	s_wait_loadcnt_dscnt 0xe0d
	v_dual_mul_f32 v67, v127, v67 :: v_dual_mul_f32 v186, v128, v69
	s_delay_alu instid0(VALU_DEP_2) | instskip(SKIP_2) | instid1(VALU_DEP_4)
	v_dual_mul_f32 v187, v130, v71 :: v_dual_fmac_f32 v0, v125, v64
	v_mul_f32_e32 v65, v125, v65
	v_fmac_f32_e32 v63, v127, v66
	v_fma_f32 v66, v126, v66, -v67
	s_wait_loadcnt_dscnt 0xd0c
	v_dual_mul_f32 v188, v132, v73 :: v_dual_mul_f32 v189, v134, v75
	v_add_f32_e32 v0, 0, v0
	v_fma_f32 v65, v124, v64, -v65
	v_mul_f32_e32 v64, v129, v69
	v_dual_fmac_f32 v186, v129, v68 :: v_dual_fmac_f32 v187, v131, v70
	s_delay_alu instid0(VALU_DEP_3) | instskip(NEXT) | instid1(VALU_DEP_3)
	v_dual_fmac_f32 v188, v133, v72 :: v_dual_add_f32 v65, 0, v65
	v_fma_f32 v64, v128, v68, -v64
	v_dual_add_f32 v0, v0, v63 :: v_dual_mul_f32 v63, v133, v73
	s_wait_loadcnt_dscnt 0xc0b
	v_dual_mul_f32 v190, v136, v77 :: v_dual_mul_f32 v191, v138, v79
	v_add_f32_e32 v65, v65, v66
	s_delay_alu instid0(VALU_DEP_3) | instskip(SKIP_1) | instid1(VALU_DEP_3)
	v_dual_mul_f32 v67, v131, v71 :: v_dual_add_f32 v0, v0, v186
	v_fma_f32 v63, v132, v72, -v63
	v_dual_fmac_f32 v189, v135, v74 :: v_dual_add_f32 v64, v65, v64
	s_delay_alu instid0(VALU_DEP_3) | instskip(SKIP_3) | instid1(VALU_DEP_4)
	v_fma_f32 v66, v130, v70, -v67
	v_mul_f32_e32 v65, v135, v75
	v_add_f32_e32 v0, v0, v187
	v_dual_fmac_f32 v190, v137, v76 :: v_dual_fmac_f32 v191, v139, v78
	v_add_f32_e32 v64, v64, v66
	v_mul_f32_e32 v66, v137, v77
	v_fma_f32 v65, v134, v74, -v65
	s_wait_loadcnt_dscnt 0xb0a
	v_dual_mul_f32 v192, v140, v81 :: v_dual_mul_f32 v193, v142, v83
	v_add_f32_e32 v63, v64, v63
	v_add_f32_e32 v0, v0, v188
	v_mul_f32_e32 v64, v139, v79
	v_fma_f32 v66, v136, v76, -v66
	v_dual_fmac_f32 v192, v141, v80 :: v_dual_fmac_f32 v193, v143, v82
	v_add_f32_e32 v63, v63, v65
	v_add_f32_e32 v0, v0, v189
	v_mul_f32_e32 v65, v141, v81
	v_fma_f32 v64, v138, v78, -v64
	s_wait_loadcnt_dscnt 0xa09
	v_dual_mul_f32 v194, v144, v85 :: v_dual_mul_f32 v195, v146, v87
	v_add_f32_e32 v63, v63, v66
	v_add_f32_e32 v0, v0, v190
	v_mul_f32_e32 v66, v143, v83
	v_fma_f32 v65, v140, v80, -v65
	s_wait_loadcnt_dscnt 0x908
	v_dual_mul_f32 v196, v148, v89 :: v_dual_mul_f32 v197, v150, v91
	v_dual_add_f32 v63, v63, v64 :: v_dual_add_f32 v0, v0, v191
	v_mul_f32_e32 v64, v145, v85
	v_fma_f32 v66, v142, v82, -v66
	v_dual_fmac_f32 v194, v145, v84 :: v_dual_fmac_f32 v195, v147, v86
	s_delay_alu instid0(VALU_DEP_4) | instskip(SKIP_3) | instid1(VALU_DEP_4)
	v_dual_add_f32 v63, v63, v65 :: v_dual_add_f32 v0, v0, v192
	v_mul_f32_e32 v65, v147, v87
	v_fma_f32 v64, v144, v84, -v64
	v_fmac_f32_e32 v197, v151, v90
	v_dual_add_f32 v63, v63, v66 :: v_dual_add_f32 v0, v0, v193
	v_mul_f32_e32 v66, v149, v89
	v_fma_f32 v65, v146, v86, -v65
	s_wait_loadcnt_dscnt 0x807
	v_dual_mul_f32 v198, v152, v93 :: v_dual_mul_f32 v199, v154, v95
	v_dual_add_f32 v63, v63, v64 :: v_dual_add_f32 v0, v0, v194
	v_mul_f32_e32 v64, v151, v91
	v_fma_f32 v66, v148, v88, -v66
	s_delay_alu instid0(VALU_DEP_4) | instskip(NEXT) | instid1(VALU_DEP_4)
	v_fmac_f32_e32 v199, v155, v94
	v_dual_add_f32 v63, v63, v65 :: v_dual_fmac_f32 v196, v149, v88
	v_mul_f32_e32 v65, v153, v93
	v_fma_f32 v64, v150, v90, -v64
	s_wait_loadcnt_dscnt 0x706
	v_dual_mul_f32 v200, v156, v97 :: v_dual_mul_f32 v201, v158, v99
	v_dual_add_f32 v63, v63, v66 :: v_dual_add_f32 v0, v0, v195
	v_mul_f32_e32 v66, v155, v95
	v_fma_f32 v65, v152, v92, -v65
	s_wait_loadcnt_dscnt 0x605
	v_dual_mul_f32 v202, v160, v101 :: v_dual_mul_f32 v203, v162, v103
	v_add_f32_e32 v63, v63, v64
	v_add_f32_e32 v0, v0, v196
	v_fmac_f32_e32 v198, v153, v92
	v_fma_f32 v66, v154, v94, -v66
	v_dual_fmac_f32 v200, v157, v96 :: v_dual_fmac_f32 v201, v159, v98
	v_add_f32_e32 v63, v63, v65
	v_mul_f32_e32 v64, v157, v97
	v_dual_add_f32 v0, v0, v197 :: v_dual_mul_f32 v65, v159, v99
	v_fmac_f32_e32 v203, v163, v102
	s_delay_alu instid0(VALU_DEP_4) | instskip(NEXT) | instid1(VALU_DEP_4)
	v_add_f32_e32 v63, v63, v66
	v_fma_f32 v64, v156, v96, -v64
	s_delay_alu instid0(VALU_DEP_4)
	v_add_f32_e32 v0, v0, v198
	v_mul_f32_e32 v66, v161, v101
	v_fma_f32 v65, v158, v98, -v65
	s_wait_loadcnt_dscnt 0x504
	v_dual_mul_f32 v204, v164, v105 :: v_dual_mul_f32 v205, v166, v107
	v_dual_add_f32 v63, v63, v64 :: v_dual_add_f32 v0, v0, v199
	v_mul_f32_e32 v64, v163, v103
	v_fma_f32 v66, v160, v100, -v66
	s_delay_alu instid0(VALU_DEP_4) | instskip(NEXT) | instid1(VALU_DEP_4)
	v_dual_fmac_f32 v202, v161, v100 :: v_dual_fmac_f32 v205, v167, v106
	v_dual_add_f32 v63, v63, v65 :: v_dual_add_f32 v0, v0, v200
	v_mul_f32_e32 v65, v165, v105
	v_fma_f32 v64, v162, v102, -v64
	s_wait_loadcnt_dscnt 0x403
	v_dual_mul_f32 v206, v168, v109 :: v_dual_mul_f32 v207, v170, v111
	v_dual_add_f32 v63, v63, v66 :: v_dual_add_f32 v0, v0, v201
	v_mul_f32_e32 v66, v167, v107
	v_fma_f32 v65, v164, v104, -v65
	v_fmac_f32_e32 v204, v165, v104
	s_delay_alu instid0(VALU_DEP_4) | instskip(SKIP_2) | instid1(VALU_DEP_3)
	v_dual_add_f32 v63, v63, v64 :: v_dual_add_f32 v0, v0, v202
	v_dual_mul_f32 v64, v169, v109 :: v_dual_fmac_f32 v207, v171, v110
	v_fma_f32 v66, v166, v106, -v66
	v_dual_add_f32 v63, v63, v65 :: v_dual_add_f32 v0, v0, v203
	v_mul_f32_e32 v65, v171, v111
	s_delay_alu instid0(VALU_DEP_4) | instskip(SKIP_4) | instid1(VALU_DEP_3)
	v_fma_f32 v64, v168, v108, -v64
	s_wait_loadcnt_dscnt 0x302
	v_dual_mul_f32 v208, v172, v113 :: v_dual_mul_f32 v209, v174, v115
	v_dual_add_f32 v63, v63, v66 :: v_dual_mul_f32 v66, v173, v113
	v_fma_f32 v65, v170, v110, -v65
	v_dual_fmac_f32 v206, v169, v108 :: v_dual_fmac_f32 v209, v175, v114
	s_delay_alu instid0(VALU_DEP_3)
	v_add_f32_e32 v63, v63, v64
	v_add_f32_e32 v0, v0, v204
	v_mul_f32_e32 v64, v175, v115
	v_fma_f32 v66, v172, v112, -v66
	s_wait_loadcnt_dscnt 0x201
	v_dual_mul_f32 v210, v176, v117 :: v_dual_mul_f32 v211, v178, v119
	v_add_f32_e32 v63, v63, v65
	v_add_f32_e32 v0, v0, v205
	v_mul_f32_e32 v65, v177, v117
	v_fma_f32 v64, v174, v114, -v64
	v_dual_fmac_f32 v208, v173, v112 :: v_dual_fmac_f32 v211, v179, v118
	v_add_f32_e32 v63, v63, v66
	v_add_f32_e32 v0, v0, v206
	v_fma_f32 v65, v176, v116, -v65
	v_mul_f32_e32 v66, v179, v119
	s_wait_loadcnt_dscnt 0x100
	v_dual_mul_f32 v212, v180, v121 :: v_dual_mul_f32 v213, v182, v123
	v_dual_add_f32 v63, v63, v64 :: v_dual_add_f32 v0, v0, v207
	v_mul_f32_e32 v64, v181, v121
	v_fma_f32 v66, v178, v118, -v66
	s_delay_alu instid0(VALU_DEP_4) | instskip(NEXT) | instid1(VALU_DEP_4)
	v_fmac_f32_e32 v213, v183, v122
	v_dual_add_f32 v63, v63, v65 :: v_dual_add_f32 v0, v0, v208
	v_dual_mul_f32 v65, v183, v123 :: v_dual_fmac_f32 v210, v177, v116
	v_fma_f32 v64, v180, v120, -v64
	s_delay_alu instid0(VALU_DEP_3) | instskip(NEXT) | instid1(VALU_DEP_3)
	v_dual_add_f32 v63, v63, v66 :: v_dual_add_f32 v0, v0, v209
	v_fma_f32 v65, v182, v122, -v65
	s_delay_alu instid0(VALU_DEP_2) | instskip(NEXT) | instid1(VALU_DEP_1)
	v_dual_add_f32 v63, v63, v64 :: v_dual_add_f32 v0, v0, v210
	v_dual_fmac_f32 v212, v181, v120 :: v_dual_add_f32 v63, v63, v65
	s_delay_alu instid0(VALU_DEP_2) | instskip(SKIP_1) | instid1(VALU_DEP_2)
	v_add_f32_e32 v0, v0, v211
	s_wait_loadcnt 0x0
	v_sub_f32_e32 v63, v184, v63
	s_delay_alu instid0(VALU_DEP_2) | instskip(NEXT) | instid1(VALU_DEP_1)
	v_add_f32_e32 v0, v0, v212
	v_add_f32_e32 v0, v0, v213
	s_delay_alu instid0(VALU_DEP_1)
	v_sub_f32_e32 v64, v185, v0
	scratch_store_b64 off, v[63:64], off
	s_wait_alu 0xfffe
	s_cbranch_vccz .LBB30_260
; %bb.200:
	v_mov_b32_e32 v0, 0
	global_load_b32 v63, v0, s[2:3] offset:116
	s_wait_loadcnt 0x0
	v_cmp_ne_u32_e32 vcc_lo, 30, v63
	s_cbranch_vccz .LBB30_202
; %bb.201:
	v_lshlrev_b32_e32 v63, 3, v63
	s_delay_alu instid0(VALU_DEP_1)
	v_mov_b32_e32 v67, v63
	scratch_load_b64 v[63:64], v67, off offset:-8
	scratch_load_b64 v[65:66], off, off offset:232
	s_wait_loadcnt 0x1
	scratch_store_b64 off, v[63:64], off offset:232
	s_wait_loadcnt 0x0
	scratch_store_b64 v67, v[65:66], off offset:-8
.LBB30_202:
	global_load_b32 v0, v0, s[2:3] offset:112
	s_wait_loadcnt 0x0
	v_cmp_eq_u32_e32 vcc_lo, 29, v0
	s_cbranch_vccnz .LBB30_204
; %bb.203:
	v_lshlrev_b32_e32 v0, 3, v0
	scratch_load_b64 v[63:64], v0, off offset:-8
	scratch_load_b64 v[65:66], off, off offset:224
	s_wait_loadcnt 0x1
	scratch_store_b64 off, v[63:64], off offset:224
	s_wait_loadcnt 0x0
	scratch_store_b64 v0, v[65:66], off offset:-8
.LBB30_204:
	v_mov_b32_e32 v0, 0
	global_load_b32 v63, v0, s[2:3] offset:108
	s_wait_loadcnt 0x0
	v_cmp_eq_u32_e32 vcc_lo, 28, v63
	s_cbranch_vccnz .LBB30_206
; %bb.205:
	v_lshlrev_b32_e32 v63, 3, v63
	s_delay_alu instid0(VALU_DEP_1)
	v_mov_b32_e32 v67, v63
	scratch_load_b64 v[63:64], v67, off offset:-8
	scratch_load_b64 v[65:66], off, off offset:216
	s_wait_loadcnt 0x1
	scratch_store_b64 off, v[63:64], off offset:216
	s_wait_loadcnt 0x0
	scratch_store_b64 v67, v[65:66], off offset:-8
.LBB30_206:
	global_load_b32 v0, v0, s[2:3] offset:104
	s_wait_loadcnt 0x0
	v_cmp_eq_u32_e32 vcc_lo, 27, v0
	s_cbranch_vccnz .LBB30_208
; %bb.207:
	v_lshlrev_b32_e32 v0, 3, v0
	scratch_load_b64 v[63:64], v0, off offset:-8
	scratch_load_b64 v[65:66], off, off offset:208
	s_wait_loadcnt 0x1
	scratch_store_b64 off, v[63:64], off offset:208
	s_wait_loadcnt 0x0
	scratch_store_b64 v0, v[65:66], off offset:-8
.LBB30_208:
	v_mov_b32_e32 v0, 0
	global_load_b32 v63, v0, s[2:3] offset:100
	s_wait_loadcnt 0x0
	v_cmp_eq_u32_e32 vcc_lo, 26, v63
	s_cbranch_vccnz .LBB30_210
; %bb.209:
	v_lshlrev_b32_e32 v63, 3, v63
	s_delay_alu instid0(VALU_DEP_1)
	v_mov_b32_e32 v67, v63
	scratch_load_b64 v[63:64], v67, off offset:-8
	scratch_load_b64 v[65:66], off, off offset:200
	s_wait_loadcnt 0x1
	scratch_store_b64 off, v[63:64], off offset:200
	s_wait_loadcnt 0x0
	scratch_store_b64 v67, v[65:66], off offset:-8
.LBB30_210:
	;; [unrolled: 29-line block ×14, first 2 shown]
	global_load_b32 v0, v0, s[2:3]
	s_wait_loadcnt 0x0
	v_cmp_eq_u32_e32 vcc_lo, 1, v0
	s_cbranch_vccnz .LBB30_260
; %bb.259:
	v_lshlrev_b32_e32 v0, 3, v0
	scratch_load_b64 v[63:64], v0, off offset:-8
	scratch_load_b64 v[65:66], off, off
	s_wait_loadcnt 0x1
	scratch_store_b64 off, v[63:64], off
	s_wait_loadcnt 0x0
	scratch_store_b64 v0, v[65:66], off offset:-8
.LBB30_260:
	s_clause 0xf
	scratch_load_b128 v[63:66], off, off
	scratch_load_b128 v[67:70], off, off offset:16
	scratch_load_b128 v[71:74], off, off offset:32
	;; [unrolled: 1-line block ×14, first 2 shown]
	scratch_load_b64 v[123:124], off, off offset:240
	s_wait_loadcnt 0xf
	s_clause 0x1
	global_store_b64 v[1:2], v[63:64], off
	global_store_b64 v[3:4], v[65:66], off
	s_wait_loadcnt 0xe
	s_clause 0x1
	global_store_b64 v[5:6], v[67:68], off
	global_store_b64 v[7:8], v[69:70], off
	;; [unrolled: 4-line block ×15, first 2 shown]
	s_wait_loadcnt 0x0
	global_store_b64 v[61:62], v[123:124], off
	s_nop 0
	s_sendmsg sendmsg(MSG_DEALLOC_VGPRS)
	s_endpgm
	.section	.rodata,"a",@progbits
	.p2align	6, 0x0
	.amdhsa_kernel _ZN9rocsolver6v33100L18getri_kernel_smallILi31E19rocblas_complex_numIfEPS3_EEvT1_iilPiilS6_bb
		.amdhsa_group_segment_fixed_size 504
		.amdhsa_private_segment_fixed_size 256
		.amdhsa_kernarg_size 60
		.amdhsa_user_sgpr_count 2
		.amdhsa_user_sgpr_dispatch_ptr 0
		.amdhsa_user_sgpr_queue_ptr 0
		.amdhsa_user_sgpr_kernarg_segment_ptr 1
		.amdhsa_user_sgpr_dispatch_id 0
		.amdhsa_user_sgpr_private_segment_size 0
		.amdhsa_wavefront_size32 1
		.amdhsa_uses_dynamic_stack 0
		.amdhsa_enable_private_segment 1
		.amdhsa_system_sgpr_workgroup_id_x 1
		.amdhsa_system_sgpr_workgroup_id_y 0
		.amdhsa_system_sgpr_workgroup_id_z 0
		.amdhsa_system_sgpr_workgroup_info 0
		.amdhsa_system_vgpr_workitem_id 0
		.amdhsa_next_free_vgpr 214
		.amdhsa_next_free_sgpr 19
		.amdhsa_reserve_vcc 1
		.amdhsa_float_round_mode_32 0
		.amdhsa_float_round_mode_16_64 0
		.amdhsa_float_denorm_mode_32 3
		.amdhsa_float_denorm_mode_16_64 3
		.amdhsa_fp16_overflow 0
		.amdhsa_workgroup_processor_mode 1
		.amdhsa_memory_ordered 1
		.amdhsa_forward_progress 1
		.amdhsa_inst_pref_size 255
		.amdhsa_round_robin_scheduling 0
		.amdhsa_exception_fp_ieee_invalid_op 0
		.amdhsa_exception_fp_denorm_src 0
		.amdhsa_exception_fp_ieee_div_zero 0
		.amdhsa_exception_fp_ieee_overflow 0
		.amdhsa_exception_fp_ieee_underflow 0
		.amdhsa_exception_fp_ieee_inexact 0
		.amdhsa_exception_int_div_zero 0
	.end_amdhsa_kernel
	.section	.text._ZN9rocsolver6v33100L18getri_kernel_smallILi31E19rocblas_complex_numIfEPS3_EEvT1_iilPiilS6_bb,"axG",@progbits,_ZN9rocsolver6v33100L18getri_kernel_smallILi31E19rocblas_complex_numIfEPS3_EEvT1_iilPiilS6_bb,comdat
.Lfunc_end30:
	.size	_ZN9rocsolver6v33100L18getri_kernel_smallILi31E19rocblas_complex_numIfEPS3_EEvT1_iilPiilS6_bb, .Lfunc_end30-_ZN9rocsolver6v33100L18getri_kernel_smallILi31E19rocblas_complex_numIfEPS3_EEvT1_iilPiilS6_bb
                                        ; -- End function
	.set _ZN9rocsolver6v33100L18getri_kernel_smallILi31E19rocblas_complex_numIfEPS3_EEvT1_iilPiilS6_bb.num_vgpr, 214
	.set _ZN9rocsolver6v33100L18getri_kernel_smallILi31E19rocblas_complex_numIfEPS3_EEvT1_iilPiilS6_bb.num_agpr, 0
	.set _ZN9rocsolver6v33100L18getri_kernel_smallILi31E19rocblas_complex_numIfEPS3_EEvT1_iilPiilS6_bb.numbered_sgpr, 19
	.set _ZN9rocsolver6v33100L18getri_kernel_smallILi31E19rocblas_complex_numIfEPS3_EEvT1_iilPiilS6_bb.num_named_barrier, 0
	.set _ZN9rocsolver6v33100L18getri_kernel_smallILi31E19rocblas_complex_numIfEPS3_EEvT1_iilPiilS6_bb.private_seg_size, 256
	.set _ZN9rocsolver6v33100L18getri_kernel_smallILi31E19rocblas_complex_numIfEPS3_EEvT1_iilPiilS6_bb.uses_vcc, 1
	.set _ZN9rocsolver6v33100L18getri_kernel_smallILi31E19rocblas_complex_numIfEPS3_EEvT1_iilPiilS6_bb.uses_flat_scratch, 1
	.set _ZN9rocsolver6v33100L18getri_kernel_smallILi31E19rocblas_complex_numIfEPS3_EEvT1_iilPiilS6_bb.has_dyn_sized_stack, 0
	.set _ZN9rocsolver6v33100L18getri_kernel_smallILi31E19rocblas_complex_numIfEPS3_EEvT1_iilPiilS6_bb.has_recursion, 0
	.set _ZN9rocsolver6v33100L18getri_kernel_smallILi31E19rocblas_complex_numIfEPS3_EEvT1_iilPiilS6_bb.has_indirect_call, 0
	.section	.AMDGPU.csdata,"",@progbits
; Kernel info:
; codeLenInByte = 38728
; TotalNumSgprs: 21
; NumVgprs: 214
; ScratchSize: 256
; MemoryBound: 0
; FloatMode: 240
; IeeeMode: 1
; LDSByteSize: 504 bytes/workgroup (compile time only)
; SGPRBlocks: 0
; VGPRBlocks: 26
; NumSGPRsForWavesPerEU: 21
; NumVGPRsForWavesPerEU: 214
; Occupancy: 7
; WaveLimiterHint : 1
; COMPUTE_PGM_RSRC2:SCRATCH_EN: 1
; COMPUTE_PGM_RSRC2:USER_SGPR: 2
; COMPUTE_PGM_RSRC2:TRAP_HANDLER: 0
; COMPUTE_PGM_RSRC2:TGID_X_EN: 1
; COMPUTE_PGM_RSRC2:TGID_Y_EN: 0
; COMPUTE_PGM_RSRC2:TGID_Z_EN: 0
; COMPUTE_PGM_RSRC2:TIDIG_COMP_CNT: 0
	.section	.text._ZN9rocsolver6v33100L18getri_kernel_smallILi32E19rocblas_complex_numIfEPS3_EEvT1_iilPiilS6_bb,"axG",@progbits,_ZN9rocsolver6v33100L18getri_kernel_smallILi32E19rocblas_complex_numIfEPS3_EEvT1_iilPiilS6_bb,comdat
	.globl	_ZN9rocsolver6v33100L18getri_kernel_smallILi32E19rocblas_complex_numIfEPS3_EEvT1_iilPiilS6_bb ; -- Begin function _ZN9rocsolver6v33100L18getri_kernel_smallILi32E19rocblas_complex_numIfEPS3_EEvT1_iilPiilS6_bb
	.p2align	8
	.type	_ZN9rocsolver6v33100L18getri_kernel_smallILi32E19rocblas_complex_numIfEPS3_EEvT1_iilPiilS6_bb,@function
_ZN9rocsolver6v33100L18getri_kernel_smallILi32E19rocblas_complex_numIfEPS3_EEvT1_iilPiilS6_bb: ; @_ZN9rocsolver6v33100L18getri_kernel_smallILi32E19rocblas_complex_numIfEPS3_EEvT1_iilPiilS6_bb
; %bb.0:
	s_mov_b32 s2, exec_lo
	v_cmpx_gt_u32_e32 32, v0
	s_cbranch_execz .LBB31_142
; %bb.1:
	s_clause 0x2
	s_load_b32 s2, s[0:1], 0x38
	s_load_b128 s[12:15], s[0:1], 0x10
	s_load_b128 s[4:7], s[0:1], 0x28
	s_mov_b32 s16, ttmp9
	s_wait_kmcnt 0x0
	s_bitcmp1_b32 s2, 8
	s_cselect_b32 s18, -1, 0
	s_bfe_u32 s2, s2, 0x10008
	s_ashr_i32 s17, ttmp9, 31
	s_cmp_eq_u32 s2, 0
                                        ; implicit-def: $sgpr2_sgpr3
	s_cbranch_scc1 .LBB31_3
; %bb.2:
	s_load_b32 s2, s[0:1], 0x20
	s_mul_u64 s[4:5], s[4:5], s[16:17]
	s_delay_alu instid0(SALU_CYCLE_1) | instskip(NEXT) | instid1(SALU_CYCLE_1)
	s_lshl_b64 s[4:5], s[4:5], 2
	s_add_nc_u64 s[4:5], s[14:15], s[4:5]
	s_wait_kmcnt 0x0
	s_ashr_i32 s3, s2, 31
	s_delay_alu instid0(SALU_CYCLE_1) | instskip(NEXT) | instid1(SALU_CYCLE_1)
	s_lshl_b64 s[2:3], s[2:3], 2
	s_add_nc_u64 s[2:3], s[4:5], s[2:3]
.LBB31_3:
	s_clause 0x1
	s_load_b128 s[8:11], s[0:1], 0x0
	s_load_b32 s4, s[0:1], 0x38
	s_mul_u64 s[0:1], s[12:13], s[16:17]
	v_lshlrev_b32_e32 v71, 3, v0
	s_lshl_b64 s[0:1], s[0:1], 3
	s_wait_kmcnt 0x0
	v_add3_u32 v3, s11, s11, v0
	s_ashr_i32 s13, s10, 31
	s_mov_b32 s12, s10
	s_add_nc_u64 s[0:1], s[8:9], s[0:1]
	s_lshl_b64 s[12:13], s[12:13], 3
	v_add_nc_u32_e32 v5, s11, v3
	v_ashrrev_i32_e32 v4, 31, v3
	s_add_nc_u64 s[0:1], s[0:1], s[12:13]
	s_ashr_i32 s9, s11, 31
	v_add_co_u32 v1, s5, s0, v71
	v_add_nc_u32_e32 v9, s11, v5
	v_ashrrev_i32_e32 v6, 31, v5
	s_mov_b32 s8, s11
	v_lshlrev_b64_e32 v[7:8], 3, v[3:4]
	v_add_co_ci_u32_e64 v2, null, s1, 0, s5
	v_add_nc_u32_e32 v13, s11, v9
	s_lshl_b64 s[8:9], s[8:9], 3
	v_lshlrev_b64_e32 v[11:12], 3, v[5:6]
	v_add_co_u32 v3, vcc_lo, v1, s8
	s_delay_alu instid0(VALU_DEP_3)
	v_ashrrev_i32_e32 v14, 31, v13
	v_add_nc_u32_e32 v15, s11, v13
	v_add_co_ci_u32_e64 v4, null, s9, v2, vcc_lo
	v_add_co_u32 v5, vcc_lo, s0, v7
	s_wait_alu 0xfffd
	v_add_co_ci_u32_e64 v6, null, s1, v8, vcc_lo
	v_add_co_u32 v7, vcc_lo, s0, v11
	s_wait_alu 0xfffd
	v_add_co_ci_u32_e64 v8, null, s1, v12, vcc_lo
	v_lshlrev_b64_e32 v[11:12], 3, v[13:14]
	v_add_nc_u32_e32 v13, s11, v15
	v_ashrrev_i32_e32 v10, 31, v9
	v_ashrrev_i32_e32 v16, 31, v15
	global_load_b64 v[65:66], v71, s[0:1]
	s_bitcmp0_b32 s4, 0
	v_add_nc_u32_e32 v17, s11, v13
	v_lshlrev_b64_e32 v[9:10], 3, v[9:10]
	v_ashrrev_i32_e32 v14, 31, v13
	v_lshlrev_b64_e32 v[15:16], 3, v[15:16]
	s_delay_alu instid0(VALU_DEP_4)
	v_ashrrev_i32_e32 v18, 31, v17
	v_add_nc_u32_e32 v23, s11, v17
	v_add_co_u32 v9, vcc_lo, s0, v9
	v_lshlrev_b64_e32 v[19:20], 3, v[13:14]
	s_wait_alu 0xfffd
	v_add_co_ci_u32_e64 v10, null, s1, v10, vcc_lo
	v_add_co_u32 v11, vcc_lo, s0, v11
	v_lshlrev_b64_e32 v[21:22], 3, v[17:18]
	s_wait_alu 0xfffd
	v_add_co_ci_u32_e64 v12, null, s1, v12, vcc_lo
	v_add_co_u32 v13, vcc_lo, s0, v15
	s_wait_alu 0xfffd
	v_add_co_ci_u32_e64 v14, null, s1, v16, vcc_lo
	v_add_co_u32 v15, vcc_lo, s0, v19
	v_ashrrev_i32_e32 v24, 31, v23
	v_add_nc_u32_e32 v19, s11, v23
	s_wait_alu 0xfffd
	v_add_co_ci_u32_e64 v16, null, s1, v20, vcc_lo
	v_add_co_u32 v17, vcc_lo, s0, v21
	s_wait_alu 0xfffd
	v_add_co_ci_u32_e64 v18, null, s1, v22, vcc_lo
	v_lshlrev_b64_e32 v[21:22], 3, v[23:24]
	v_add_nc_u32_e32 v23, s11, v19
	v_ashrrev_i32_e32 v20, 31, v19
	s_clause 0x7
	global_load_b64 v[67:68], v[3:4], off
	global_load_b64 v[72:73], v[5:6], off
	;; [unrolled: 1-line block ×8, first 2 shown]
	v_add_nc_u32_e32 v27, s11, v23
	v_lshlrev_b64_e32 v[25:26], 3, v[19:20]
	v_add_co_u32 v19, vcc_lo, s0, v21
	s_wait_alu 0xfffd
	v_add_co_ci_u32_e64 v20, null, s1, v22, vcc_lo
	v_add_nc_u32_e32 v29, s11, v27
	v_ashrrev_i32_e32 v28, 31, v27
	v_add_co_u32 v21, vcc_lo, s0, v25
	s_wait_alu 0xfffd
	v_add_co_ci_u32_e64 v22, null, s1, v26, vcc_lo
	v_ashrrev_i32_e32 v30, 31, v29
	v_lshlrev_b64_e32 v[25:26], 3, v[27:28]
	v_ashrrev_i32_e32 v24, 31, v23
	s_delay_alu instid0(VALU_DEP_3) | instskip(SKIP_1) | instid1(VALU_DEP_3)
	v_lshlrev_b64_e32 v[27:28], 3, v[29:30]
	v_add_nc_u32_e32 v29, s11, v29
	v_lshlrev_b64_e32 v[23:24], 3, v[23:24]
	s_delay_alu instid0(VALU_DEP_2) | instskip(SKIP_1) | instid1(VALU_DEP_3)
	v_add_nc_u32_e32 v31, s11, v29
	v_ashrrev_i32_e32 v30, 31, v29
	v_add_co_u32 v23, vcc_lo, s0, v23
	s_wait_alu 0xfffd
	s_delay_alu instid0(VALU_DEP_4) | instskip(SKIP_4) | instid1(VALU_DEP_4)
	v_add_co_ci_u32_e64 v24, null, s1, v24, vcc_lo
	v_add_nc_u32_e32 v33, s11, v31
	v_ashrrev_i32_e32 v32, 31, v31
	v_lshlrev_b64_e32 v[29:30], 3, v[29:30]
	v_add_co_u32 v25, vcc_lo, s0, v25
	v_ashrrev_i32_e32 v34, 31, v33
	s_delay_alu instid0(VALU_DEP_4)
	v_lshlrev_b64_e32 v[31:32], 3, v[31:32]
	v_add_nc_u32_e32 v36, s11, v33
	s_wait_alu 0xfffd
	v_add_co_ci_u32_e64 v26, null, s1, v26, vcc_lo
	v_add_co_u32 v27, vcc_lo, s0, v27
	v_lshlrev_b64_e32 v[34:35], 3, v[33:34]
	s_wait_alu 0xfffd
	v_add_co_ci_u32_e64 v28, null, s1, v28, vcc_lo
	v_add_co_u32 v29, vcc_lo, s0, v29
	v_ashrrev_i32_e32 v37, 31, v36
	v_add_nc_u32_e32 v38, s11, v36
	s_wait_alu 0xfffd
	v_add_co_ci_u32_e64 v30, null, s1, v30, vcc_lo
	v_add_co_u32 v31, vcc_lo, s0, v31
	s_wait_alu 0xfffd
	v_add_co_ci_u32_e64 v32, null, s1, v32, vcc_lo
	v_add_co_u32 v33, vcc_lo, s0, v34
	s_wait_alu 0xfffd
	v_add_co_ci_u32_e64 v34, null, s1, v35, vcc_lo
	v_lshlrev_b64_e32 v[35:36], 3, v[36:37]
	v_add_nc_u32_e32 v37, s11, v38
	v_ashrrev_i32_e32 v39, 31, v38
	s_clause 0x7
	global_load_b64 v[86:87], v[19:20], off
	global_load_b64 v[88:89], v[21:22], off
	;; [unrolled: 1-line block ×8, first 2 shown]
	v_add_nc_u32_e32 v41, s11, v37
	v_lshlrev_b64_e32 v[39:40], 3, v[38:39]
	v_ashrrev_i32_e32 v38, 31, v37
	v_add_co_u32 v35, vcc_lo, s0, v35
	s_delay_alu instid0(VALU_DEP_4)
	v_add_nc_u32_e32 v45, s11, v41
	s_wait_alu 0xfffd
	v_add_co_ci_u32_e64 v36, null, s1, v36, vcc_lo
	v_lshlrev_b64_e32 v[43:44], 3, v[37:38]
	v_add_co_u32 v37, vcc_lo, s0, v39
	v_ashrrev_i32_e32 v46, 31, v45
	v_add_nc_u32_e32 v47, s11, v45
	s_wait_alu 0xfffd
	v_add_co_ci_u32_e64 v38, null, s1, v40, vcc_lo
	v_add_co_u32 v39, vcc_lo, s0, v43
	s_wait_alu 0xfffd
	v_add_co_ci_u32_e64 v40, null, s1, v44, vcc_lo
	v_lshlrev_b64_e32 v[43:44], 3, v[45:46]
	v_add_nc_u32_e32 v45, s11, v47
	v_ashrrev_i32_e32 v42, 31, v41
	v_ashrrev_i32_e32 v48, 31, v47
	s_delay_alu instid0(VALU_DEP_3) | instskip(NEXT) | instid1(VALU_DEP_3)
	v_add_nc_u32_e32 v49, s11, v45
	v_lshlrev_b64_e32 v[41:42], 3, v[41:42]
	v_ashrrev_i32_e32 v46, 31, v45
	s_delay_alu instid0(VALU_DEP_4) | instskip(NEXT) | instid1(VALU_DEP_4)
	v_lshlrev_b64_e32 v[47:48], 3, v[47:48]
	v_add_nc_u32_e32 v53, s11, v49
	v_ashrrev_i32_e32 v50, 31, v49
	v_add_co_u32 v41, vcc_lo, s0, v41
	v_lshlrev_b64_e32 v[51:52], 3, v[45:46]
	s_wait_alu 0xfffd
	v_add_co_ci_u32_e64 v42, null, s1, v42, vcc_lo
	v_add_co_u32 v43, vcc_lo, s0, v43
	v_ashrrev_i32_e32 v54, 31, v53
	v_add_nc_u32_e32 v55, s11, v53
	s_wait_alu 0xfffd
	v_add_co_ci_u32_e64 v44, null, s1, v44, vcc_lo
	v_add_co_u32 v45, vcc_lo, s0, v47
	s_wait_alu 0xfffd
	v_add_co_ci_u32_e64 v46, null, s1, v48, vcc_lo
	v_add_co_u32 v47, vcc_lo, s0, v51
	s_wait_alu 0xfffd
	v_add_co_ci_u32_e64 v48, null, s1, v52, vcc_lo
	v_lshlrev_b64_e32 v[51:52], 3, v[53:54]
	v_add_nc_u32_e32 v53, s11, v55
	v_ashrrev_i32_e32 v56, 31, v55
	v_lshlrev_b64_e32 v[49:50], 3, v[49:50]
	s_clause 0x3
	global_load_b64 v[102:103], v[35:36], off
	global_load_b64 v[104:105], v[37:38], off
	;; [unrolled: 1-line block ×4, first 2 shown]
	v_ashrrev_i32_e32 v54, 31, v53
	v_add_nc_u32_e32 v57, s11, v53
	v_lshlrev_b64_e32 v[55:56], 3, v[55:56]
	v_add_co_u32 v49, vcc_lo, s0, v49
	s_delay_alu instid0(VALU_DEP_4) | instskip(NEXT) | instid1(VALU_DEP_4)
	v_lshlrev_b64_e32 v[59:60], 3, v[53:54]
	v_add_nc_u32_e32 v61, s11, v57
	s_wait_alu 0xfffd
	v_add_co_ci_u32_e64 v50, null, s1, v50, vcc_lo
	v_add_co_u32 v51, vcc_lo, s0, v51
	s_wait_alu 0xfffd
	v_add_co_ci_u32_e64 v52, null, s1, v52, vcc_lo
	v_add_co_u32 v53, vcc_lo, s0, v55
	s_wait_alu 0xfffd
	v_add_co_ci_u32_e64 v54, null, s1, v56, vcc_lo
	v_add_co_u32 v55, vcc_lo, s0, v59
	v_add_nc_u32_e32 v59, s11, v61
	v_ashrrev_i32_e32 v58, 31, v57
	v_ashrrev_i32_e32 v62, 31, v61
	s_wait_alu 0xfffd
	v_add_co_ci_u32_e64 v56, null, s1, v60, vcc_lo
	v_add_nc_u32_e32 v63, s11, v59
	v_ashrrev_i32_e32 v60, 31, v59
	v_lshlrev_b64_e32 v[57:58], 3, v[57:58]
	v_lshlrev_b64_e32 v[61:62], 3, v[61:62]
	s_clause 0x3
	global_load_b64 v[110:111], v[43:44], off
	global_load_b64 v[112:113], v[45:46], off
	;; [unrolled: 1-line block ×4, first 2 shown]
	v_ashrrev_i32_e32 v64, 31, v63
	v_lshlrev_b64_e32 v[69:70], 3, v[59:60]
	v_add_co_u32 v57, vcc_lo, s0, v57
	s_delay_alu instid0(VALU_DEP_3)
	v_lshlrev_b64_e32 v[63:64], 3, v[63:64]
	s_wait_alu 0xfffd
	v_add_co_ci_u32_e64 v58, null, s1, v58, vcc_lo
	v_add_co_u32 v59, vcc_lo, s0, v61
	s_wait_alu 0xfffd
	v_add_co_ci_u32_e64 v60, null, s1, v62, vcc_lo
	v_add_co_u32 v61, vcc_lo, s0, v69
	;; [unrolled: 3-line block ×3, first 2 shown]
	s_wait_alu 0xfffd
	v_add_co_ci_u32_e64 v64, null, s1, v64, vcc_lo
	s_clause 0x6
	global_load_b64 v[118:119], v[51:52], off
	global_load_b64 v[120:121], v[53:54], off
	;; [unrolled: 1-line block ×7, first 2 shown]
	s_mov_b32 s1, -1
	s_wait_loadcnt 0x1e
	scratch_store_b128 off, v[65:68], off
	s_wait_loadcnt 0x1c
	scratch_store_b128 off, v[72:75], off offset:16
	s_wait_loadcnt 0x1a
	scratch_store_b128 off, v[76:79], off offset:32
	;; [unrolled: 2-line block ×15, first 2 shown]
	s_cbranch_scc1 .LBB31_140
; %bb.4:
	v_cmp_eq_u32_e64 s0, 0, v0
	s_and_saveexec_b32 s1, s0
; %bb.5:
	v_mov_b32_e32 v65, 0
	ds_store_b32 v65, v65 offset:512
; %bb.6:
	s_wait_alu 0xfffe
	s_or_b32 exec_lo, exec_lo, s1
	s_wait_storecnt_dscnt 0x0
	s_barrier_signal -1
	s_barrier_wait -1
	global_inv scope:SCOPE_SE
	scratch_load_b64 v[65:66], v71, off
	s_wait_loadcnt 0x0
	v_cmp_eq_f32_e32 vcc_lo, 0, v65
	v_cmp_eq_f32_e64 s1, 0, v66
	s_and_b32 s1, vcc_lo, s1
	s_wait_alu 0xfffe
	s_and_saveexec_b32 s4, s1
	s_cbranch_execz .LBB31_10
; %bb.7:
	v_mov_b32_e32 v65, 0
	s_mov_b32 s5, 0
	ds_load_b32 v66, v65 offset:512
	s_wait_dscnt 0x0
	v_readfirstlane_b32 s1, v66
	v_add_nc_u32_e32 v66, 1, v0
	s_cmp_eq_u32 s1, 0
	s_delay_alu instid0(VALU_DEP_1)
	v_cmp_gt_i32_e32 vcc_lo, s1, v66
	s_cselect_b32 s8, -1, 0
	s_wait_alu 0xfffe
	s_or_b32 s8, s8, vcc_lo
	s_wait_alu 0xfffe
	s_and_b32 exec_lo, exec_lo, s8
	s_cbranch_execz .LBB31_10
; %bb.8:
	v_mov_b32_e32 v67, s1
.LBB31_9:                               ; =>This Inner Loop Header: Depth=1
	ds_cmpstore_rtn_b32 v67, v65, v66, v67 offset:512
	s_wait_dscnt 0x0
	v_cmp_ne_u32_e32 vcc_lo, 0, v67
	v_cmp_le_i32_e64 s1, v67, v66
	s_and_b32 s1, vcc_lo, s1
	s_wait_alu 0xfffe
	s_and_b32 s1, exec_lo, s1
	s_wait_alu 0xfffe
	s_or_b32 s5, s1, s5
	s_wait_alu 0xfffe
	s_and_not1_b32 exec_lo, exec_lo, s5
	s_cbranch_execnz .LBB31_9
.LBB31_10:
	s_wait_alu 0xfffe
	s_or_b32 exec_lo, exec_lo, s4
	v_mov_b32_e32 v65, 0
	s_barrier_signal -1
	s_barrier_wait -1
	global_inv scope:SCOPE_SE
	ds_load_b32 v66, v65 offset:512
	s_and_saveexec_b32 s1, s0
	s_cbranch_execz .LBB31_12
; %bb.11:
	s_lshl_b64 s[4:5], s[16:17], 2
	s_wait_alu 0xfffe
	s_add_nc_u64 s[4:5], s[6:7], s[4:5]
	s_wait_dscnt 0x0
	global_store_b32 v65, v66, s[4:5]
.LBB31_12:
	s_wait_alu 0xfffe
	s_or_b32 exec_lo, exec_lo, s1
	s_wait_dscnt 0x0
	v_cmp_ne_u32_e32 vcc_lo, 0, v66
	s_mov_b32 s1, 0
	s_cbranch_vccnz .LBB31_140
; %bb.13:
	v_mov_b32_e32 v72, v71
                                        ; implicit-def: $vgpr67
                                        ; implicit-def: $vgpr69
	scratch_load_b64 v[65:66], v72, off
	s_wait_loadcnt 0x0
	v_cmp_ngt_f32_e64 s1, |v65|, |v66|
	s_wait_alu 0xfffe
	s_and_saveexec_b32 s4, s1
	s_wait_alu 0xfffe
	s_xor_b32 s1, exec_lo, s4
	s_cbranch_execz .LBB31_15
; %bb.14:
	v_div_scale_f32 v67, null, v66, v66, v65
	v_div_scale_f32 v70, vcc_lo, v65, v66, v65
	s_delay_alu instid0(VALU_DEP_2) | instskip(NEXT) | instid1(TRANS32_DEP_1)
	v_rcp_f32_e32 v68, v67
	v_fma_f32 v69, -v67, v68, 1.0
	s_delay_alu instid0(VALU_DEP_1) | instskip(NEXT) | instid1(VALU_DEP_1)
	v_fmac_f32_e32 v68, v69, v68
	v_mul_f32_e32 v69, v70, v68
	s_delay_alu instid0(VALU_DEP_1) | instskip(NEXT) | instid1(VALU_DEP_1)
	v_fma_f32 v73, -v67, v69, v70
	v_fmac_f32_e32 v69, v73, v68
	s_delay_alu instid0(VALU_DEP_1) | instskip(SKIP_1) | instid1(VALU_DEP_1)
	v_fma_f32 v67, -v67, v69, v70
	s_wait_alu 0xfffd
	v_div_fmas_f32 v67, v67, v68, v69
	s_delay_alu instid0(VALU_DEP_1) | instskip(NEXT) | instid1(VALU_DEP_1)
	v_div_fixup_f32 v67, v67, v66, v65
	v_fmac_f32_e32 v66, v65, v67
	s_delay_alu instid0(VALU_DEP_1) | instskip(NEXT) | instid1(VALU_DEP_1)
	v_div_scale_f32 v65, null, v66, v66, 1.0
	v_rcp_f32_e32 v68, v65
	s_delay_alu instid0(TRANS32_DEP_1) | instskip(NEXT) | instid1(VALU_DEP_1)
	v_fma_f32 v69, -v65, v68, 1.0
	v_fmac_f32_e32 v68, v69, v68
	v_div_scale_f32 v69, vcc_lo, 1.0, v66, 1.0
	s_delay_alu instid0(VALU_DEP_1) | instskip(NEXT) | instid1(VALU_DEP_1)
	v_mul_f32_e32 v70, v69, v68
	v_fma_f32 v73, -v65, v70, v69
	s_delay_alu instid0(VALU_DEP_1) | instskip(NEXT) | instid1(VALU_DEP_1)
	v_fmac_f32_e32 v70, v73, v68
	v_fma_f32 v65, -v65, v70, v69
	s_wait_alu 0xfffd
	s_delay_alu instid0(VALU_DEP_1) | instskip(NEXT) | instid1(VALU_DEP_1)
	v_div_fmas_f32 v65, v65, v68, v70
	v_div_fixup_f32 v65, v65, v66, 1.0
	s_delay_alu instid0(VALU_DEP_1) | instskip(SKIP_1) | instid1(VALU_DEP_2)
	v_mul_f32_e32 v67, v67, v65
	v_xor_b32_e32 v68, 0x80000000, v65
                                        ; implicit-def: $vgpr65_vgpr66
	v_xor_b32_e32 v69, 0x80000000, v67
.LBB31_15:
	s_wait_alu 0xfffe
	s_and_not1_saveexec_b32 s1, s1
	s_cbranch_execz .LBB31_17
; %bb.16:
	v_div_scale_f32 v67, null, v65, v65, v66
	v_div_scale_f32 v70, vcc_lo, v66, v65, v66
	s_delay_alu instid0(VALU_DEP_2) | instskip(NEXT) | instid1(TRANS32_DEP_1)
	v_rcp_f32_e32 v68, v67
	v_fma_f32 v69, -v67, v68, 1.0
	s_delay_alu instid0(VALU_DEP_1) | instskip(NEXT) | instid1(VALU_DEP_1)
	v_fmac_f32_e32 v68, v69, v68
	v_mul_f32_e32 v69, v70, v68
	s_delay_alu instid0(VALU_DEP_1) | instskip(NEXT) | instid1(VALU_DEP_1)
	v_fma_f32 v73, -v67, v69, v70
	v_fmac_f32_e32 v69, v73, v68
	s_delay_alu instid0(VALU_DEP_1) | instskip(SKIP_1) | instid1(VALU_DEP_1)
	v_fma_f32 v67, -v67, v69, v70
	s_wait_alu 0xfffd
	v_div_fmas_f32 v67, v67, v68, v69
	s_delay_alu instid0(VALU_DEP_1) | instskip(NEXT) | instid1(VALU_DEP_1)
	v_div_fixup_f32 v68, v67, v65, v66
	v_fmac_f32_e32 v65, v66, v68
	s_delay_alu instid0(VALU_DEP_1) | instskip(SKIP_1) | instid1(VALU_DEP_2)
	v_div_scale_f32 v66, null, v65, v65, 1.0
	v_div_scale_f32 v70, vcc_lo, 1.0, v65, 1.0
	v_rcp_f32_e32 v67, v66
	s_delay_alu instid0(TRANS32_DEP_1) | instskip(NEXT) | instid1(VALU_DEP_1)
	v_fma_f32 v69, -v66, v67, 1.0
	v_fmac_f32_e32 v67, v69, v67
	s_delay_alu instid0(VALU_DEP_1) | instskip(NEXT) | instid1(VALU_DEP_1)
	v_mul_f32_e32 v69, v70, v67
	v_fma_f32 v73, -v66, v69, v70
	s_delay_alu instid0(VALU_DEP_1) | instskip(NEXT) | instid1(VALU_DEP_1)
	v_fmac_f32_e32 v69, v73, v67
	v_fma_f32 v66, -v66, v69, v70
	s_wait_alu 0xfffd
	s_delay_alu instid0(VALU_DEP_1) | instskip(NEXT) | instid1(VALU_DEP_1)
	v_div_fmas_f32 v66, v66, v67, v69
	v_div_fixup_f32 v67, v66, v65, 1.0
	s_delay_alu instid0(VALU_DEP_1)
	v_xor_b32_e32 v69, 0x80000000, v67
	v_mul_f32_e64 v68, v68, -v67
.LBB31_17:
	s_wait_alu 0xfffe
	s_or_b32 exec_lo, exec_lo, s1
	scratch_store_b64 v72, v[67:68], off
	scratch_load_b64 v[66:67], off, off offset:8
	v_xor_b32_e32 v70, 0x80000000, v68
	v_add_nc_u32_e32 v65, 0x100, v71
	s_wait_loadcnt 0x0
	ds_store_2addr_b64 v71, v[69:70], v[66:67] offset1:32
	s_wait_storecnt_dscnt 0x0
	s_barrier_signal -1
	s_barrier_wait -1
	global_inv scope:SCOPE_SE
	s_and_saveexec_b32 s1, s0
	s_cbranch_execz .LBB31_19
; %bb.18:
	scratch_load_b64 v[66:67], v72, off
	ds_load_b64 v[68:69], v65
	v_mov_b32_e32 v70, 0
	ds_load_b64 v[73:74], v70 offset:8
	s_wait_loadcnt_dscnt 0x1
	v_mul_f32_e32 v70, v68, v67
	v_mul_f32_e32 v67, v69, v67
	s_delay_alu instid0(VALU_DEP_2) | instskip(NEXT) | instid1(VALU_DEP_2)
	v_fmac_f32_e32 v70, v69, v66
	v_fma_f32 v66, v68, v66, -v67
	s_delay_alu instid0(VALU_DEP_2) | instskip(NEXT) | instid1(VALU_DEP_2)
	v_add_f32_e32 v68, 0, v70
	v_add_f32_e32 v66, 0, v66
	s_wait_dscnt 0x0
	s_delay_alu instid0(VALU_DEP_2) | instskip(NEXT) | instid1(VALU_DEP_2)
	v_mul_f32_e32 v69, v68, v74
	v_mul_f32_e32 v67, v66, v74
	s_delay_alu instid0(VALU_DEP_2) | instskip(NEXT) | instid1(VALU_DEP_2)
	v_fma_f32 v66, v66, v73, -v69
	v_fmac_f32_e32 v67, v68, v73
	scratch_store_b64 off, v[66:67], off offset:8
.LBB31_19:
	s_wait_alu 0xfffe
	s_or_b32 exec_lo, exec_lo, s1
	s_wait_loadcnt 0x0
	s_wait_storecnt 0x0
	s_barrier_signal -1
	s_barrier_wait -1
	global_inv scope:SCOPE_SE
	scratch_load_b64 v[66:67], off, off offset:16
	s_mov_b32 s1, exec_lo
	s_wait_loadcnt 0x0
	ds_store_b64 v65, v[66:67]
	s_wait_dscnt 0x0
	s_barrier_signal -1
	s_barrier_wait -1
	global_inv scope:SCOPE_SE
	v_cmpx_gt_u32_e32 2, v0
	s_cbranch_execz .LBB31_23
; %bb.20:
	scratch_load_b64 v[66:67], v72, off
	ds_load_b64 v[68:69], v65
	s_wait_loadcnt_dscnt 0x0
	v_mul_f32_e32 v70, v69, v67
	v_mul_f32_e32 v73, v68, v67
	s_delay_alu instid0(VALU_DEP_2) | instskip(NEXT) | instid1(VALU_DEP_2)
	v_fma_f32 v67, v68, v66, -v70
	v_fmac_f32_e32 v73, v69, v66
	s_delay_alu instid0(VALU_DEP_1)
	v_dual_add_f32 v67, 0, v67 :: v_dual_add_f32 v66, 0, v73
	s_and_saveexec_b32 s4, s0
	s_cbranch_execz .LBB31_22
; %bb.21:
	scratch_load_b64 v[68:69], off, off offset:8
	v_mov_b32_e32 v70, 0
	ds_load_b64 v[73:74], v70 offset:264
	s_wait_loadcnt_dscnt 0x0
	v_mul_f32_e32 v70, v73, v69
	v_mul_f32_e32 v69, v74, v69
	s_delay_alu instid0(VALU_DEP_2) | instskip(NEXT) | instid1(VALU_DEP_2)
	v_fmac_f32_e32 v70, v74, v68
	v_fma_f32 v68, v73, v68, -v69
	s_delay_alu instid0(VALU_DEP_1)
	v_dual_add_f32 v66, v66, v70 :: v_dual_add_f32 v67, v67, v68
.LBB31_22:
	s_wait_alu 0xfffe
	s_or_b32 exec_lo, exec_lo, s4
	v_mov_b32_e32 v68, 0
	ds_load_b64 v[68:69], v68 offset:16
	s_wait_dscnt 0x0
	v_mul_f32_e32 v73, v66, v69
	v_mul_f32_e32 v70, v67, v69
	s_delay_alu instid0(VALU_DEP_2) | instskip(NEXT) | instid1(VALU_DEP_2)
	v_fma_f32 v69, v67, v68, -v73
	v_fmac_f32_e32 v70, v66, v68
	scratch_store_b64 off, v[69:70], off offset:16
.LBB31_23:
	s_wait_alu 0xfffe
	s_or_b32 exec_lo, exec_lo, s1
	s_wait_loadcnt 0x0
	s_wait_storecnt 0x0
	s_barrier_signal -1
	s_barrier_wait -1
	global_inv scope:SCOPE_SE
	scratch_load_b64 v[67:68], off, off offset:24
	v_add_nc_u32_e32 v66, -1, v0
	s_mov_b32 s0, exec_lo
	s_wait_loadcnt 0x0
	ds_store_b64 v65, v[67:68]
	s_wait_dscnt 0x0
	s_barrier_signal -1
	s_barrier_wait -1
	global_inv scope:SCOPE_SE
	v_cmpx_gt_u32_e32 3, v0
	s_cbranch_execz .LBB31_27
; %bb.24:
	v_dual_mov_b32 v67, 0 :: v_dual_add_nc_u32 v68, -1, v0
	v_dual_mov_b32 v70, v71 :: v_dual_add_nc_u32 v69, 0x100, v71
	v_mov_b32_e32 v73, 0
	s_mov_b32 s1, 0
.LBB31_25:                              ; =>This Inner Loop Header: Depth=1
	scratch_load_b64 v[74:75], v70, off
	ds_load_b64 v[76:77], v69
	v_add_nc_u32_e32 v68, 1, v68
	v_add_nc_u32_e32 v69, 8, v69
	s_delay_alu instid0(VALU_DEP_2)
	v_cmp_lt_u32_e32 vcc_lo, 1, v68
	s_wait_alu 0xfffe
	s_or_b32 s1, vcc_lo, s1
	s_wait_loadcnt_dscnt 0x0
	v_mul_f32_e32 v78, v77, v75
	v_mul_f32_e32 v75, v76, v75
	s_delay_alu instid0(VALU_DEP_2) | instskip(NEXT) | instid1(VALU_DEP_2)
	v_fma_f32 v76, v76, v74, -v78
	v_fmac_f32_e32 v75, v77, v74
	s_delay_alu instid0(VALU_DEP_2) | instskip(NEXT) | instid1(VALU_DEP_2)
	v_dual_add_f32 v73, v73, v76 :: v_dual_add_nc_u32 v70, 8, v70
	v_add_f32_e32 v67, v67, v75
	s_wait_alu 0xfffe
	s_and_not1_b32 exec_lo, exec_lo, s1
	s_cbranch_execnz .LBB31_25
; %bb.26:
	s_or_b32 exec_lo, exec_lo, s1
	v_mov_b32_e32 v68, 0
	ds_load_b64 v[68:69], v68 offset:24
	s_wait_dscnt 0x0
	v_mul_f32_e32 v74, v67, v69
	v_mul_f32_e32 v70, v73, v69
	s_delay_alu instid0(VALU_DEP_2) | instskip(NEXT) | instid1(VALU_DEP_2)
	v_fma_f32 v69, v73, v68, -v74
	v_fmac_f32_e32 v70, v67, v68
	scratch_store_b64 off, v[69:70], off offset:24
.LBB31_27:
	s_wait_alu 0xfffe
	s_or_b32 exec_lo, exec_lo, s0
	s_wait_loadcnt 0x0
	s_wait_storecnt 0x0
	s_barrier_signal -1
	s_barrier_wait -1
	global_inv scope:SCOPE_SE
	scratch_load_b64 v[67:68], off, off offset:32
	s_mov_b32 s0, exec_lo
	s_wait_loadcnt 0x0
	ds_store_b64 v65, v[67:68]
	s_wait_dscnt 0x0
	s_barrier_signal -1
	s_barrier_wait -1
	global_inv scope:SCOPE_SE
	v_cmpx_gt_u32_e32 4, v0
	s_cbranch_execz .LBB31_31
; %bb.28:
	v_dual_mov_b32 v67, 0 :: v_dual_add_nc_u32 v68, -1, v0
	v_dual_mov_b32 v70, v71 :: v_dual_add_nc_u32 v69, 0x100, v71
	v_mov_b32_e32 v73, 0
	s_mov_b32 s1, 0
.LBB31_29:                              ; =>This Inner Loop Header: Depth=1
	scratch_load_b64 v[74:75], v70, off
	ds_load_b64 v[76:77], v69
	v_add_nc_u32_e32 v68, 1, v68
	v_add_nc_u32_e32 v69, 8, v69
	s_delay_alu instid0(VALU_DEP_2)
	v_cmp_lt_u32_e32 vcc_lo, 2, v68
	s_wait_alu 0xfffe
	s_or_b32 s1, vcc_lo, s1
	s_wait_loadcnt_dscnt 0x0
	v_mul_f32_e32 v78, v77, v75
	v_mul_f32_e32 v75, v76, v75
	s_delay_alu instid0(VALU_DEP_2) | instskip(NEXT) | instid1(VALU_DEP_2)
	v_fma_f32 v76, v76, v74, -v78
	v_fmac_f32_e32 v75, v77, v74
	s_delay_alu instid0(VALU_DEP_2) | instskip(NEXT) | instid1(VALU_DEP_2)
	v_dual_add_f32 v73, v73, v76 :: v_dual_add_nc_u32 v70, 8, v70
	v_add_f32_e32 v67, v67, v75
	s_wait_alu 0xfffe
	s_and_not1_b32 exec_lo, exec_lo, s1
	s_cbranch_execnz .LBB31_29
; %bb.30:
	s_or_b32 exec_lo, exec_lo, s1
	v_mov_b32_e32 v68, 0
	ds_load_b64 v[68:69], v68 offset:32
	s_wait_dscnt 0x0
	v_mul_f32_e32 v74, v67, v69
	v_mul_f32_e32 v70, v73, v69
	s_delay_alu instid0(VALU_DEP_2) | instskip(NEXT) | instid1(VALU_DEP_2)
	v_fma_f32 v69, v73, v68, -v74
	v_fmac_f32_e32 v70, v67, v68
	scratch_store_b64 off, v[69:70], off offset:32
.LBB31_31:
	s_wait_alu 0xfffe
	s_or_b32 exec_lo, exec_lo, s0
	s_wait_loadcnt 0x0
	s_wait_storecnt 0x0
	s_barrier_signal -1
	s_barrier_wait -1
	global_inv scope:SCOPE_SE
	scratch_load_b64 v[67:68], off, off offset:40
	;; [unrolled: 55-line block ×19, first 2 shown]
	s_mov_b32 s0, exec_lo
	s_wait_loadcnt 0x0
	ds_store_b64 v65, v[67:68]
	s_wait_dscnt 0x0
	s_barrier_signal -1
	s_barrier_wait -1
	global_inv scope:SCOPE_SE
	v_cmpx_gt_u32_e32 22, v0
	s_cbranch_execz .LBB31_103
; %bb.100:
	v_dual_mov_b32 v67, 0 :: v_dual_add_nc_u32 v68, -1, v0
	v_dual_mov_b32 v70, v71 :: v_dual_add_nc_u32 v69, 0x100, v71
	v_mov_b32_e32 v73, 0
	s_mov_b32 s1, 0
.LBB31_101:                             ; =>This Inner Loop Header: Depth=1
	scratch_load_b64 v[74:75], v70, off
	ds_load_b64 v[76:77], v69
	v_add_nc_u32_e32 v68, 1, v68
	v_add_nc_u32_e32 v69, 8, v69
	s_delay_alu instid0(VALU_DEP_2)
	v_cmp_lt_u32_e32 vcc_lo, 20, v68
	s_wait_alu 0xfffe
	s_or_b32 s1, vcc_lo, s1
	s_wait_loadcnt_dscnt 0x0
	v_mul_f32_e32 v78, v77, v75
	v_mul_f32_e32 v75, v76, v75
	s_delay_alu instid0(VALU_DEP_2) | instskip(NEXT) | instid1(VALU_DEP_2)
	v_fma_f32 v76, v76, v74, -v78
	v_fmac_f32_e32 v75, v77, v74
	s_delay_alu instid0(VALU_DEP_2) | instskip(NEXT) | instid1(VALU_DEP_2)
	v_dual_add_f32 v73, v73, v76 :: v_dual_add_nc_u32 v70, 8, v70
	v_add_f32_e32 v67, v67, v75
	s_wait_alu 0xfffe
	s_and_not1_b32 exec_lo, exec_lo, s1
	s_cbranch_execnz .LBB31_101
; %bb.102:
	s_or_b32 exec_lo, exec_lo, s1
	v_mov_b32_e32 v68, 0
	ds_load_b64 v[68:69], v68 offset:176
	s_wait_dscnt 0x0
	v_mul_f32_e32 v74, v67, v69
	v_mul_f32_e32 v70, v73, v69
	s_delay_alu instid0(VALU_DEP_2) | instskip(NEXT) | instid1(VALU_DEP_2)
	v_fma_f32 v69, v73, v68, -v74
	v_fmac_f32_e32 v70, v67, v68
	scratch_store_b64 off, v[69:70], off offset:176
.LBB31_103:
	s_wait_alu 0xfffe
	s_or_b32 exec_lo, exec_lo, s0
	s_wait_loadcnt 0x0
	s_wait_storecnt 0x0
	s_barrier_signal -1
	s_barrier_wait -1
	global_inv scope:SCOPE_SE
	scratch_load_b64 v[67:68], off, off offset:184
	s_mov_b32 s0, exec_lo
	s_wait_loadcnt 0x0
	ds_store_b64 v65, v[67:68]
	s_wait_dscnt 0x0
	s_barrier_signal -1
	s_barrier_wait -1
	global_inv scope:SCOPE_SE
	v_cmpx_gt_u32_e32 23, v0
	s_cbranch_execz .LBB31_107
; %bb.104:
	v_dual_mov_b32 v67, 0 :: v_dual_add_nc_u32 v68, -1, v0
	v_dual_mov_b32 v70, v71 :: v_dual_add_nc_u32 v69, 0x100, v71
	v_mov_b32_e32 v73, 0
	s_mov_b32 s1, 0
.LBB31_105:                             ; =>This Inner Loop Header: Depth=1
	scratch_load_b64 v[74:75], v70, off
	ds_load_b64 v[76:77], v69
	v_add_nc_u32_e32 v68, 1, v68
	v_add_nc_u32_e32 v69, 8, v69
	s_delay_alu instid0(VALU_DEP_2)
	v_cmp_lt_u32_e32 vcc_lo, 21, v68
	s_wait_alu 0xfffe
	s_or_b32 s1, vcc_lo, s1
	s_wait_loadcnt_dscnt 0x0
	v_mul_f32_e32 v78, v77, v75
	v_mul_f32_e32 v75, v76, v75
	s_delay_alu instid0(VALU_DEP_2) | instskip(NEXT) | instid1(VALU_DEP_2)
	v_fma_f32 v76, v76, v74, -v78
	v_fmac_f32_e32 v75, v77, v74
	s_delay_alu instid0(VALU_DEP_2) | instskip(NEXT) | instid1(VALU_DEP_2)
	v_dual_add_f32 v73, v73, v76 :: v_dual_add_nc_u32 v70, 8, v70
	v_add_f32_e32 v67, v67, v75
	s_wait_alu 0xfffe
	s_and_not1_b32 exec_lo, exec_lo, s1
	s_cbranch_execnz .LBB31_105
; %bb.106:
	s_or_b32 exec_lo, exec_lo, s1
	v_mov_b32_e32 v68, 0
	ds_load_b64 v[68:69], v68 offset:184
	s_wait_dscnt 0x0
	v_mul_f32_e32 v74, v67, v69
	v_mul_f32_e32 v70, v73, v69
	s_delay_alu instid0(VALU_DEP_2) | instskip(NEXT) | instid1(VALU_DEP_2)
	v_fma_f32 v69, v73, v68, -v74
	v_fmac_f32_e32 v70, v67, v68
	scratch_store_b64 off, v[69:70], off offset:184
.LBB31_107:
	s_wait_alu 0xfffe
	s_or_b32 exec_lo, exec_lo, s0
	s_wait_loadcnt 0x0
	s_wait_storecnt 0x0
	s_barrier_signal -1
	s_barrier_wait -1
	global_inv scope:SCOPE_SE
	scratch_load_b64 v[67:68], off, off offset:192
	;; [unrolled: 55-line block ×8, first 2 shown]
	s_mov_b32 s0, exec_lo
	s_wait_loadcnt 0x0
	ds_store_b64 v65, v[67:68]
	s_wait_dscnt 0x0
	s_barrier_signal -1
	s_barrier_wait -1
	global_inv scope:SCOPE_SE
	v_cmpx_gt_u32_e32 30, v0
	s_cbranch_execz .LBB31_135
; %bb.132:
	v_dual_mov_b32 v67, 0 :: v_dual_add_nc_u32 v68, -1, v0
	v_dual_mov_b32 v70, v71 :: v_dual_add_nc_u32 v69, 0x100, v71
	v_mov_b32_e32 v71, 0
	s_mov_b32 s1, 0
.LBB31_133:                             ; =>This Inner Loop Header: Depth=1
	scratch_load_b64 v[73:74], v70, off
	ds_load_b64 v[75:76], v69
	v_add_nc_u32_e32 v70, 8, v70
	v_add_nc_u32_e32 v68, 1, v68
	v_add_nc_u32_e32 v69, 8, v69
	s_delay_alu instid0(VALU_DEP_2)
	v_cmp_lt_u32_e32 vcc_lo, 28, v68
	s_wait_alu 0xfffe
	s_or_b32 s1, vcc_lo, s1
	s_wait_loadcnt_dscnt 0x0
	v_mul_f32_e32 v77, v76, v74
	v_mul_f32_e32 v74, v75, v74
	s_delay_alu instid0(VALU_DEP_2) | instskip(NEXT) | instid1(VALU_DEP_1)
	v_fma_f32 v75, v75, v73, -v77
	v_dual_fmac_f32 v74, v76, v73 :: v_dual_add_f32 v71, v71, v75
	s_delay_alu instid0(VALU_DEP_1)
	v_add_f32_e32 v67, v67, v74
	s_wait_alu 0xfffe
	s_and_not1_b32 exec_lo, exec_lo, s1
	s_cbranch_execnz .LBB31_133
; %bb.134:
	s_or_b32 exec_lo, exec_lo, s1
	v_mov_b32_e32 v68, 0
	ds_load_b64 v[68:69], v68 offset:240
	s_wait_dscnt 0x0
	v_mul_f32_e32 v73, v67, v69
	v_mul_f32_e32 v70, v71, v69
	s_delay_alu instid0(VALU_DEP_2) | instskip(NEXT) | instid1(VALU_DEP_2)
	v_fma_f32 v69, v71, v68, -v73
	v_fmac_f32_e32 v70, v67, v68
	scratch_store_b64 off, v[69:70], off offset:240
.LBB31_135:
	s_wait_alu 0xfffe
	s_or_b32 exec_lo, exec_lo, s0
	s_wait_loadcnt 0x0
	s_wait_storecnt 0x0
	s_barrier_signal -1
	s_barrier_wait -1
	global_inv scope:SCOPE_SE
	scratch_load_b64 v[67:68], off, off offset:248
	s_mov_b32 s0, exec_lo
	s_wait_loadcnt 0x0
	ds_store_b64 v65, v[67:68]
	s_wait_dscnt 0x0
	s_barrier_signal -1
	s_barrier_wait -1
	global_inv scope:SCOPE_SE
	v_cmpx_ne_u32_e32 31, v0
	s_cbranch_execz .LBB31_139
; %bb.136:
	v_dual_mov_b32 v67, 0 :: v_dual_mov_b32 v68, 0
	s_mov_b32 s1, 0
.LBB31_137:                             ; =>This Inner Loop Header: Depth=1
	scratch_load_b64 v[69:70], v72, off
	ds_load_b64 v[73:74], v65
	v_add_nc_u32_e32 v66, 1, v66
	v_add_nc_u32_e32 v65, 8, v65
	;; [unrolled: 1-line block ×3, first 2 shown]
	s_delay_alu instid0(VALU_DEP_3)
	v_cmp_lt_u32_e32 vcc_lo, 29, v66
	s_wait_alu 0xfffe
	s_or_b32 s1, vcc_lo, s1
	s_wait_loadcnt_dscnt 0x0
	v_mul_f32_e32 v71, v74, v70
	v_mul_f32_e32 v70, v73, v70
	s_delay_alu instid0(VALU_DEP_2) | instskip(NEXT) | instid1(VALU_DEP_2)
	v_fma_f32 v71, v73, v69, -v71
	v_fmac_f32_e32 v70, v74, v69
	s_delay_alu instid0(VALU_DEP_1)
	v_dual_add_f32 v68, v68, v71 :: v_dual_add_f32 v67, v67, v70
	s_wait_alu 0xfffe
	s_and_not1_b32 exec_lo, exec_lo, s1
	s_cbranch_execnz .LBB31_137
; %bb.138:
	s_or_b32 exec_lo, exec_lo, s1
	v_mov_b32_e32 v65, 0
	ds_load_b64 v[65:66], v65 offset:248
	s_wait_dscnt 0x0
	v_mul_f32_e32 v70, v67, v66
	v_mul_f32_e32 v69, v68, v66
	s_delay_alu instid0(VALU_DEP_2) | instskip(NEXT) | instid1(VALU_DEP_2)
	v_fma_f32 v68, v68, v65, -v70
	v_fmac_f32_e32 v69, v67, v65
	scratch_store_b64 off, v[68:69], off offset:248
.LBB31_139:
	s_wait_alu 0xfffe
	s_or_b32 exec_lo, exec_lo, s0
	s_mov_b32 s1, -1
	s_wait_loadcnt 0x0
	s_wait_storecnt 0x0
	s_barrier_signal -1
	s_barrier_wait -1
	global_inv scope:SCOPE_SE
.LBB31_140:
	s_wait_alu 0xfffe
	s_and_b32 vcc_lo, exec_lo, s1
	s_wait_alu 0xfffe
	s_cbranch_vccz .LBB31_142
; %bb.141:
	v_mov_b32_e32 v65, 0
	s_lshl_b64 s[0:1], s[16:17], 2
	s_wait_alu 0xfffe
	s_add_nc_u64 s[0:1], s[6:7], s[0:1]
	global_load_b32 v65, v65, s[0:1]
	s_wait_loadcnt 0x0
	v_cmp_ne_u32_e32 vcc_lo, 0, v65
	s_cbranch_vccz .LBB31_143
.LBB31_142:
	s_nop 0
	s_sendmsg sendmsg(MSG_DEALLOC_VGPRS)
	s_endpgm
.LBB31_143:
	v_lshl_add_u32 v67, v0, 3, 0x100
	s_mov_b32 s0, exec_lo
	v_cmpx_eq_u32_e32 31, v0
	s_cbranch_execz .LBB31_145
; %bb.144:
	scratch_load_b64 v[65:66], off, off offset:240
	v_mov_b32_e32 v68, 0
	s_delay_alu instid0(VALU_DEP_1)
	v_mov_b32_e32 v69, v68
	scratch_store_b64 off, v[68:69], off offset:240
	s_wait_loadcnt 0x0
	ds_store_b64 v67, v[65:66]
.LBB31_145:
	s_wait_alu 0xfffe
	s_or_b32 exec_lo, exec_lo, s0
	s_wait_storecnt_dscnt 0x0
	s_barrier_signal -1
	s_barrier_wait -1
	global_inv scope:SCOPE_SE
	s_clause 0x1
	scratch_load_b64 v[68:69], off, off offset:248
	scratch_load_b64 v[70:71], off, off offset:240
	v_mov_b32_e32 v65, 0
	s_mov_b32 s0, exec_lo
	ds_load_b64 v[72:73], v65 offset:504
	s_wait_loadcnt_dscnt 0x100
	v_mul_f32_e32 v66, v73, v69
	s_delay_alu instid0(VALU_DEP_1) | instskip(NEXT) | instid1(VALU_DEP_1)
	v_fma_f32 v66, v72, v68, -v66
	v_dual_mul_f32 v69, v72, v69 :: v_dual_add_f32 v66, 0, v66
	s_wait_loadcnt 0x0
	s_delay_alu instid0(VALU_DEP_1) | instskip(NEXT) | instid1(VALU_DEP_1)
	v_dual_fmac_f32 v69, v73, v68 :: v_dual_sub_f32 v68, v70, v66
	v_add_f32_e32 v69, 0, v69
	s_delay_alu instid0(VALU_DEP_1)
	v_sub_f32_e32 v69, v71, v69
	scratch_store_b64 off, v[68:69], off offset:240
	v_cmpx_lt_u32_e32 29, v0
	s_cbranch_execz .LBB31_147
; %bb.146:
	scratch_load_b64 v[68:69], off, off offset:232
	v_mov_b32_e32 v66, v65
	scratch_store_b64 off, v[65:66], off offset:232
	s_wait_loadcnt 0x0
	ds_store_b64 v67, v[68:69]
.LBB31_147:
	s_wait_alu 0xfffe
	s_or_b32 exec_lo, exec_lo, s0
	s_wait_storecnt_dscnt 0x0
	s_barrier_signal -1
	s_barrier_wait -1
	global_inv scope:SCOPE_SE
	s_clause 0x1
	scratch_load_b128 v[68:71], off, off offset:240
	scratch_load_b64 v[76:77], off, off offset:232
	ds_load_b128 v[72:75], v65 offset:496
	s_mov_b32 s0, exec_lo
	s_wait_loadcnt_dscnt 0x100
	v_mul_f32_e32 v66, v72, v69
	s_delay_alu instid0(VALU_DEP_1) | instskip(SKIP_2) | instid1(VALU_DEP_1)
	v_fmac_f32_e32 v66, v73, v68
	v_mul_f32_e32 v65, v73, v69
	v_mul_f32_e32 v69, v74, v71
	v_fmac_f32_e32 v69, v75, v70
	s_delay_alu instid0(VALU_DEP_4) | instskip(NEXT) | instid1(VALU_DEP_4)
	v_dual_add_f32 v66, 0, v66 :: v_dual_mul_f32 v71, v75, v71
	v_fma_f32 v65, v72, v68, -v65
	s_delay_alu instid0(VALU_DEP_2) | instskip(NEXT) | instid1(VALU_DEP_3)
	v_add_f32_e32 v66, v66, v69
	v_fma_f32 v68, v74, v70, -v71
	s_wait_loadcnt 0x0
	s_delay_alu instid0(VALU_DEP_2) | instskip(NEXT) | instid1(VALU_DEP_1)
	v_dual_add_f32 v65, 0, v65 :: v_dual_sub_f32 v66, v77, v66
	v_add_f32_e32 v65, v65, v68
	s_delay_alu instid0(VALU_DEP_1)
	v_sub_f32_e32 v65, v76, v65
	scratch_store_b64 off, v[65:66], off offset:232
	v_cmpx_lt_u32_e32 28, v0
	s_cbranch_execz .LBB31_149
; %bb.148:
	scratch_load_b64 v[65:66], off, off offset:224
	v_mov_b32_e32 v68, 0
	s_delay_alu instid0(VALU_DEP_1)
	v_mov_b32_e32 v69, v68
	scratch_store_b64 off, v[68:69], off offset:224
	s_wait_loadcnt 0x0
	ds_store_b64 v67, v[65:66]
.LBB31_149:
	s_wait_alu 0xfffe
	s_or_b32 exec_lo, exec_lo, s0
	s_wait_storecnt_dscnt 0x0
	s_barrier_signal -1
	s_barrier_wait -1
	global_inv scope:SCOPE_SE
	s_clause 0x2
	scratch_load_b128 v[68:71], off, off offset:232
	scratch_load_b64 v[76:77], off, off offset:248
	scratch_load_b64 v[78:79], off, off offset:224
	v_mov_b32_e32 v65, 0
	ds_load_2addr_b64 v[72:75], v65 offset0:61 offset1:62
	ds_load_b64 v[80:81], v65 offset:504
	s_mov_b32 s0, exec_lo
	s_wait_loadcnt_dscnt 0x201
	v_mul_f32_e32 v66, v73, v69
	v_dual_mul_f32 v69, v72, v69 :: v_dual_mul_f32 v82, v74, v71
	v_mul_f32_e32 v71, v75, v71
	s_wait_loadcnt_dscnt 0x100
	v_mul_f32_e32 v83, v80, v77
	v_fma_f32 v66, v72, v68, -v66
	v_fmac_f32_e32 v69, v73, v68
	v_mul_f32_e32 v68, v81, v77
	v_fmac_f32_e32 v82, v75, v70
	v_fma_f32 v70, v74, v70, -v71
	s_delay_alu instid0(VALU_DEP_4) | instskip(NEXT) | instid1(VALU_DEP_4)
	v_dual_add_f32 v66, 0, v66 :: v_dual_add_f32 v69, 0, v69
	v_fma_f32 v68, v80, v76, -v68
	s_delay_alu instid0(VALU_DEP_2) | instskip(NEXT) | instid1(VALU_DEP_1)
	v_add_f32_e32 v66, v66, v70
	v_dual_add_f32 v69, v69, v82 :: v_dual_add_f32 v66, v66, v68
	s_wait_loadcnt 0x0
	s_delay_alu instid0(VALU_DEP_1) | instskip(NEXT) | instid1(VALU_DEP_1)
	v_dual_fmac_f32 v83, v81, v76 :: v_dual_sub_f32 v68, v78, v66
	v_add_f32_e32 v69, v69, v83
	s_delay_alu instid0(VALU_DEP_1)
	v_sub_f32_e32 v69, v79, v69
	scratch_store_b64 off, v[68:69], off offset:224
	v_cmpx_lt_u32_e32 27, v0
	s_cbranch_execz .LBB31_151
; %bb.150:
	scratch_load_b64 v[68:69], off, off offset:216
	v_mov_b32_e32 v66, v65
	scratch_store_b64 off, v[65:66], off offset:216
	s_wait_loadcnt 0x0
	ds_store_b64 v67, v[68:69]
.LBB31_151:
	s_wait_alu 0xfffe
	s_or_b32 exec_lo, exec_lo, s0
	s_wait_storecnt_dscnt 0x0
	s_barrier_signal -1
	s_barrier_wait -1
	global_inv scope:SCOPE_SE
	s_clause 0x2
	scratch_load_b128 v[68:71], off, off offset:224
	scratch_load_b128 v[72:75], off, off offset:240
	scratch_load_b64 v[84:85], off, off offset:216
	ds_load_b128 v[76:79], v65 offset:480
	ds_load_b128 v[80:83], v65 offset:496
	s_mov_b32 s0, exec_lo
	s_wait_loadcnt_dscnt 0x201
	v_mul_f32_e32 v66, v77, v69
	s_wait_loadcnt_dscnt 0x100
	v_dual_mul_f32 v86, v80, v73 :: v_dual_mul_f32 v87, v82, v75
	s_delay_alu instid0(VALU_DEP_2) | instskip(SKIP_2) | instid1(VALU_DEP_4)
	v_fma_f32 v66, v76, v68, -v66
	v_mul_f32_e32 v65, v76, v69
	v_mul_f32_e32 v69, v78, v71
	v_dual_mul_f32 v71, v79, v71 :: v_dual_fmac_f32 v86, v81, v72
	s_delay_alu instid0(VALU_DEP_3) | instskip(NEXT) | instid1(VALU_DEP_3)
	v_dual_add_f32 v66, 0, v66 :: v_dual_fmac_f32 v65, v77, v68
	v_dual_mul_f32 v68, v81, v73 :: v_dual_fmac_f32 v69, v79, v70
	s_delay_alu instid0(VALU_DEP_3) | instskip(SKIP_1) | instid1(VALU_DEP_3)
	v_fma_f32 v70, v78, v70, -v71
	v_fmac_f32_e32 v87, v83, v74
	v_fma_f32 v68, v80, v72, -v68
	s_delay_alu instid0(VALU_DEP_3) | instskip(NEXT) | instid1(VALU_DEP_1)
	v_dual_add_f32 v66, v66, v70 :: v_dual_add_f32 v65, 0, v65
	v_dual_add_f32 v66, v66, v68 :: v_dual_mul_f32 v71, v83, v75
	s_delay_alu instid0(VALU_DEP_2) | instskip(NEXT) | instid1(VALU_DEP_2)
	v_add_f32_e32 v65, v65, v69
	v_fma_f32 v69, v82, v74, -v71
	s_delay_alu instid0(VALU_DEP_1) | instskip(SKIP_1) | instid1(VALU_DEP_1)
	v_dual_add_f32 v65, v65, v86 :: v_dual_add_f32 v66, v66, v69
	s_wait_loadcnt 0x0
	v_dual_add_f32 v68, v65, v87 :: v_dual_sub_f32 v65, v84, v66
	s_delay_alu instid0(VALU_DEP_1)
	v_sub_f32_e32 v66, v85, v68
	scratch_store_b64 off, v[65:66], off offset:216
	v_cmpx_lt_u32_e32 26, v0
	s_cbranch_execz .LBB31_153
; %bb.152:
	scratch_load_b64 v[65:66], off, off offset:208
	v_mov_b32_e32 v68, 0
	s_delay_alu instid0(VALU_DEP_1)
	v_mov_b32_e32 v69, v68
	scratch_store_b64 off, v[68:69], off offset:208
	s_wait_loadcnt 0x0
	ds_store_b64 v67, v[65:66]
.LBB31_153:
	s_wait_alu 0xfffe
	s_or_b32 exec_lo, exec_lo, s0
	s_wait_storecnt_dscnt 0x0
	s_barrier_signal -1
	s_barrier_wait -1
	global_inv scope:SCOPE_SE
	s_clause 0x3
	scratch_load_b128 v[68:71], off, off offset:216
	scratch_load_b128 v[72:75], off, off offset:232
	scratch_load_b64 v[84:85], off, off offset:248
	scratch_load_b64 v[86:87], off, off offset:208
	v_mov_b32_e32 v65, 0
	ds_load_2addr_b64 v[76:79], v65 offset0:59 offset1:60
	ds_load_2addr_b64 v[80:83], v65 offset0:61 offset1:62
	ds_load_b64 v[88:89], v65 offset:504
	s_mov_b32 s0, exec_lo
	s_wait_loadcnt_dscnt 0x302
	v_mul_f32_e32 v66, v76, v69
	v_dual_mul_f32 v90, v78, v71 :: v_dual_mul_f32 v69, v77, v69
	s_wait_loadcnt_dscnt 0x100
	v_mul_f32_e32 v93, v88, v85
	v_dual_mul_f32 v91, v80, v73 :: v_dual_mul_f32 v92, v82, v75
	v_dual_fmac_f32 v66, v77, v68 :: v_dual_mul_f32 v71, v79, v71
	v_fma_f32 v69, v76, v68, -v69
	v_fmac_f32_e32 v90, v79, v70
	v_mul_f32_e32 v68, v81, v73
	s_delay_alu instid0(VALU_DEP_4) | instskip(SKIP_3) | instid1(VALU_DEP_4)
	v_add_f32_e32 v66, 0, v66
	v_fma_f32 v70, v78, v70, -v71
	v_add_f32_e32 v69, 0, v69
	v_mul_f32_e32 v71, v83, v75
	v_dual_fmac_f32 v91, v81, v72 :: v_dual_add_f32 v66, v66, v90
	v_dual_fmac_f32 v92, v83, v74 :: v_dual_fmac_f32 v93, v89, v84
	s_delay_alu instid0(VALU_DEP_4) | instskip(SKIP_1) | instid1(VALU_DEP_4)
	v_add_f32_e32 v69, v69, v70
	v_fma_f32 v68, v80, v72, -v68
	v_add_f32_e32 v66, v66, v91
	v_fma_f32 v71, v82, v74, -v71
	s_delay_alu instid0(VALU_DEP_3) | instskip(NEXT) | instid1(VALU_DEP_3)
	v_add_f32_e32 v68, v69, v68
	v_add_f32_e32 v66, v66, v92
	s_delay_alu instid0(VALU_DEP_2) | instskip(NEXT) | instid1(VALU_DEP_2)
	v_add_f32_e32 v68, v68, v71
	v_add_f32_e32 v66, v66, v93
	v_mul_f32_e32 v70, v89, v85
	s_delay_alu instid0(VALU_DEP_1) | instskip(SKIP_1) | instid1(VALU_DEP_1)
	v_fma_f32 v69, v88, v84, -v70
	s_wait_loadcnt 0x0
	v_dual_add_f32 v68, v68, v69 :: v_dual_sub_f32 v69, v87, v66
	s_delay_alu instid0(VALU_DEP_1)
	v_sub_f32_e32 v68, v86, v68
	scratch_store_b64 off, v[68:69], off offset:208
	v_cmpx_lt_u32_e32 25, v0
	s_cbranch_execz .LBB31_155
; %bb.154:
	scratch_load_b64 v[68:69], off, off offset:200
	v_mov_b32_e32 v66, v65
	scratch_store_b64 off, v[65:66], off offset:200
	s_wait_loadcnt 0x0
	ds_store_b64 v67, v[68:69]
.LBB31_155:
	s_wait_alu 0xfffe
	s_or_b32 exec_lo, exec_lo, s0
	s_wait_storecnt_dscnt 0x0
	s_barrier_signal -1
	s_barrier_wait -1
	global_inv scope:SCOPE_SE
	s_clause 0x3
	scratch_load_b128 v[68:71], off, off offset:208
	scratch_load_b128 v[72:75], off, off offset:224
	;; [unrolled: 1-line block ×3, first 2 shown]
	scratch_load_b64 v[92:93], off, off offset:200
	ds_load_b128 v[80:83], v65 offset:464
	ds_load_b128 v[84:87], v65 offset:480
	;; [unrolled: 1-line block ×3, first 2 shown]
	s_mov_b32 s0, exec_lo
	s_wait_loadcnt_dscnt 0x302
	v_dual_mul_f32 v65, v80, v69 :: v_dual_mul_f32 v66, v82, v71
	v_mul_f32_e32 v69, v81, v69
	s_wait_loadcnt_dscnt 0x201
	v_dual_mul_f32 v71, v83, v71 :: v_dual_mul_f32 v94, v84, v73
	s_delay_alu instid0(VALU_DEP_3) | instskip(NEXT) | instid1(VALU_DEP_3)
	v_dual_mul_f32 v95, v86, v75 :: v_dual_fmac_f32 v66, v83, v70
	v_fma_f32 v69, v80, v68, -v69
	v_fmac_f32_e32 v65, v81, v68
	v_mul_f32_e32 v68, v85, v73
	v_fma_f32 v70, v82, v70, -v71
	v_mul_f32_e32 v71, v87, v75
	v_dual_add_f32 v69, 0, v69 :: v_dual_fmac_f32 v94, v85, v72
	s_delay_alu instid0(VALU_DEP_4) | instskip(SKIP_2) | instid1(VALU_DEP_3)
	v_fma_f32 v68, v84, v72, -v68
	s_wait_loadcnt_dscnt 0x100
	v_dual_mul_f32 v96, v88, v77 :: v_dual_mul_f32 v97, v90, v79
	v_add_f32_e32 v69, v69, v70
	v_fmac_f32_e32 v95, v87, v74
	v_fma_f32 v70, v86, v74, -v71
	s_delay_alu instid0(VALU_DEP_4) | instskip(NEXT) | instid1(VALU_DEP_4)
	v_dual_fmac_f32 v96, v89, v76 :: v_dual_fmac_f32 v97, v91, v78
	v_add_f32_e32 v68, v69, v68
	s_delay_alu instid0(VALU_DEP_1) | instskip(SKIP_1) | instid1(VALU_DEP_1)
	v_dual_add_f32 v68, v68, v70 :: v_dual_add_f32 v65, 0, v65
	v_mul_f32_e32 v69, v91, v79
	v_fma_f32 v69, v90, v78, -v69
	s_delay_alu instid0(VALU_DEP_3) | instskip(SKIP_1) | instid1(VALU_DEP_1)
	v_add_f32_e32 v65, v65, v66
	v_mul_f32_e32 v66, v89, v77
	v_fma_f32 v66, v88, v76, -v66
	s_delay_alu instid0(VALU_DEP_1) | instskip(NEXT) | instid1(VALU_DEP_1)
	v_add_f32_e32 v66, v68, v66
	v_dual_add_f32 v66, v66, v69 :: v_dual_add_f32 v65, v65, v94
	s_delay_alu instid0(VALU_DEP_1) | instskip(NEXT) | instid1(VALU_DEP_1)
	v_add_f32_e32 v65, v65, v95
	v_add_f32_e32 v65, v65, v96
	s_wait_loadcnt 0x0
	s_delay_alu instid0(VALU_DEP_1) | instskip(NEXT) | instid1(VALU_DEP_1)
	v_dual_add_f32 v68, v65, v97 :: v_dual_sub_f32 v65, v92, v66
	v_sub_f32_e32 v66, v93, v68
	scratch_store_b64 off, v[65:66], off offset:200
	v_cmpx_lt_u32_e32 24, v0
	s_cbranch_execz .LBB31_157
; %bb.156:
	scratch_load_b64 v[65:66], off, off offset:192
	v_mov_b32_e32 v68, 0
	s_delay_alu instid0(VALU_DEP_1)
	v_mov_b32_e32 v69, v68
	scratch_store_b64 off, v[68:69], off offset:192
	s_wait_loadcnt 0x0
	ds_store_b64 v67, v[65:66]
.LBB31_157:
	s_wait_alu 0xfffe
	s_or_b32 exec_lo, exec_lo, s0
	s_wait_storecnt_dscnt 0x0
	s_barrier_signal -1
	s_barrier_wait -1
	global_inv scope:SCOPE_SE
	s_clause 0x4
	scratch_load_b128 v[68:71], off, off offset:200
	scratch_load_b128 v[72:75], off, off offset:216
	;; [unrolled: 1-line block ×3, first 2 shown]
	scratch_load_b64 v[92:93], off, off offset:248
	scratch_load_b64 v[94:95], off, off offset:192
	v_mov_b32_e32 v65, 0
	ds_load_2addr_b64 v[80:83], v65 offset0:57 offset1:58
	ds_load_2addr_b64 v[84:87], v65 offset0:59 offset1:60
	;; [unrolled: 1-line block ×3, first 2 shown]
	ds_load_b64 v[96:97], v65 offset:504
	s_mov_b32 s0, exec_lo
	s_wait_loadcnt_dscnt 0x403
	v_mul_f32_e32 v66, v80, v69
	s_wait_loadcnt_dscnt 0x302
	v_dual_mul_f32 v98, v82, v71 :: v_dual_mul_f32 v99, v84, v73
	v_dual_mul_f32 v100, v86, v75 :: v_dual_mul_f32 v69, v81, v69
	s_wait_loadcnt_dscnt 0x100
	v_dual_mul_f32 v103, v96, v93 :: v_dual_fmac_f32 v66, v81, v68
	v_mul_f32_e32 v71, v83, v71
	v_dual_mul_f32 v101, v88, v77 :: v_dual_mul_f32 v102, v90, v79
	v_fma_f32 v69, v80, v68, -v69
	v_fmac_f32_e32 v98, v83, v70
	v_add_f32_e32 v66, 0, v66
	v_mul_f32_e32 v68, v85, v73
	v_fma_f32 v70, v82, v70, -v71
	v_add_f32_e32 v69, 0, v69
	v_mul_f32_e32 v71, v87, v75
	v_dual_fmac_f32 v99, v85, v72 :: v_dual_add_f32 v66, v66, v98
	v_dual_fmac_f32 v100, v87, v74 :: v_dual_fmac_f32 v101, v89, v76
	s_delay_alu instid0(VALU_DEP_4) | instskip(SKIP_1) | instid1(VALU_DEP_4)
	v_add_f32_e32 v69, v69, v70
	v_dual_fmac_f32 v102, v91, v78 :: v_dual_fmac_f32 v103, v97, v92
	v_add_f32_e32 v66, v66, v99
	v_fma_f32 v68, v84, v72, -v68
	v_mul_f32_e32 v70, v89, v77
	v_fma_f32 v71, v86, v74, -v71
	s_delay_alu instid0(VALU_DEP_4) | instskip(NEXT) | instid1(VALU_DEP_1)
	v_add_f32_e32 v66, v66, v100
	v_add_f32_e32 v66, v66, v101
	s_delay_alu instid0(VALU_DEP_1) | instskip(NEXT) | instid1(VALU_DEP_1)
	v_add_f32_e32 v66, v66, v102
	v_add_f32_e32 v66, v66, v103
	v_dual_add_f32 v68, v69, v68 :: v_dual_mul_f32 v69, v91, v79
	v_fma_f32 v70, v88, v76, -v70
	s_delay_alu instid0(VALU_DEP_2) | instskip(NEXT) | instid1(VALU_DEP_3)
	v_dual_add_f32 v68, v68, v71 :: v_dual_mul_f32 v71, v97, v93
	v_fma_f32 v69, v90, v78, -v69
	s_delay_alu instid0(VALU_DEP_2) | instskip(NEXT) | instid1(VALU_DEP_3)
	v_add_f32_e32 v68, v68, v70
	v_fma_f32 v70, v96, v92, -v71
	s_wait_loadcnt 0x0
	s_delay_alu instid0(VALU_DEP_2) | instskip(NEXT) | instid1(VALU_DEP_1)
	v_dual_add_f32 v68, v68, v69 :: v_dual_sub_f32 v69, v95, v66
	v_add_f32_e32 v68, v68, v70
	s_delay_alu instid0(VALU_DEP_1)
	v_sub_f32_e32 v68, v94, v68
	scratch_store_b64 off, v[68:69], off offset:192
	v_cmpx_lt_u32_e32 23, v0
	s_cbranch_execz .LBB31_159
; %bb.158:
	scratch_load_b64 v[68:69], off, off offset:184
	v_mov_b32_e32 v66, v65
	scratch_store_b64 off, v[65:66], off offset:184
	s_wait_loadcnt 0x0
	ds_store_b64 v67, v[68:69]
.LBB31_159:
	s_wait_alu 0xfffe
	s_or_b32 exec_lo, exec_lo, s0
	s_wait_storecnt_dscnt 0x0
	s_barrier_signal -1
	s_barrier_wait -1
	global_inv scope:SCOPE_SE
	s_clause 0x4
	scratch_load_b128 v[68:71], off, off offset:192
	scratch_load_b128 v[72:75], off, off offset:208
	;; [unrolled: 1-line block ×4, first 2 shown]
	scratch_load_b64 v[100:101], off, off offset:184
	ds_load_b128 v[84:87], v65 offset:448
	ds_load_b128 v[88:91], v65 offset:464
	;; [unrolled: 1-line block ×4, first 2 shown]
	s_mov_b32 s0, exec_lo
	s_wait_loadcnt_dscnt 0x403
	v_dual_mul_f32 v65, v84, v69 :: v_dual_mul_f32 v66, v86, v71
	v_mul_f32_e32 v69, v85, v69
	s_wait_loadcnt_dscnt 0x302
	v_dual_mul_f32 v71, v87, v71 :: v_dual_mul_f32 v102, v88, v73
	s_delay_alu instid0(VALU_DEP_3) | instskip(NEXT) | instid1(VALU_DEP_3)
	v_dual_mul_f32 v103, v90, v75 :: v_dual_fmac_f32 v66, v87, v70
	v_fma_f32 v69, v84, v68, -v69
	v_fmac_f32_e32 v65, v85, v68
	v_mul_f32_e32 v68, v89, v73
	v_fma_f32 v70, v86, v70, -v71
	v_mul_f32_e32 v71, v91, v75
	v_dual_add_f32 v69, 0, v69 :: v_dual_fmac_f32 v102, v89, v72
	s_delay_alu instid0(VALU_DEP_4) | instskip(SKIP_2) | instid1(VALU_DEP_3)
	v_fma_f32 v68, v88, v72, -v68
	s_wait_loadcnt_dscnt 0x201
	v_dual_mul_f32 v104, v92, v77 :: v_dual_mul_f32 v105, v94, v79
	v_add_f32_e32 v69, v69, v70
	v_fmac_f32_e32 v103, v91, v74
	v_fma_f32 v70, v90, v74, -v71
	s_wait_loadcnt_dscnt 0x100
	v_dual_mul_f32 v106, v96, v81 :: v_dual_mul_f32 v107, v98, v83
	v_dual_add_f32 v68, v69, v68 :: v_dual_mul_f32 v69, v95, v79
	v_dual_fmac_f32 v104, v93, v76 :: v_dual_fmac_f32 v105, v95, v78
	s_delay_alu instid0(VALU_DEP_3) | instskip(NEXT) | instid1(VALU_DEP_3)
	v_fmac_f32_e32 v106, v97, v80
	v_dual_add_f32 v68, v68, v70 :: v_dual_add_f32 v65, 0, v65
	v_mul_f32_e32 v70, v97, v81
	v_fma_f32 v69, v94, v78, -v69
	v_fmac_f32_e32 v107, v99, v82
	s_delay_alu instid0(VALU_DEP_4) | instskip(SKIP_2) | instid1(VALU_DEP_2)
	v_add_f32_e32 v65, v65, v66
	v_mul_f32_e32 v66, v93, v77
	v_fma_f32 v70, v96, v80, -v70
	v_fma_f32 v66, v92, v76, -v66
	s_delay_alu instid0(VALU_DEP_1) | instskip(SKIP_1) | instid1(VALU_DEP_2)
	v_add_f32_e32 v66, v68, v66
	v_mul_f32_e32 v68, v99, v83
	v_add_f32_e32 v66, v66, v69
	s_delay_alu instid0(VALU_DEP_2) | instskip(NEXT) | instid1(VALU_DEP_2)
	v_fma_f32 v68, v98, v82, -v68
	v_add_f32_e32 v66, v66, v70
	s_delay_alu instid0(VALU_DEP_1) | instskip(NEXT) | instid1(VALU_DEP_1)
	v_dual_add_f32 v65, v65, v102 :: v_dual_add_f32 v66, v66, v68
	v_add_f32_e32 v65, v65, v103
	s_delay_alu instid0(VALU_DEP_1) | instskip(NEXT) | instid1(VALU_DEP_1)
	v_add_f32_e32 v65, v65, v104
	v_add_f32_e32 v65, v65, v105
	s_delay_alu instid0(VALU_DEP_1) | instskip(SKIP_1) | instid1(VALU_DEP_1)
	v_add_f32_e32 v65, v65, v106
	s_wait_loadcnt 0x0
	v_dual_add_f32 v68, v65, v107 :: v_dual_sub_f32 v65, v100, v66
	s_delay_alu instid0(VALU_DEP_1)
	v_sub_f32_e32 v66, v101, v68
	scratch_store_b64 off, v[65:66], off offset:184
	v_cmpx_lt_u32_e32 22, v0
	s_cbranch_execz .LBB31_161
; %bb.160:
	scratch_load_b64 v[65:66], off, off offset:176
	v_mov_b32_e32 v68, 0
	s_delay_alu instid0(VALU_DEP_1)
	v_mov_b32_e32 v69, v68
	scratch_store_b64 off, v[68:69], off offset:176
	s_wait_loadcnt 0x0
	ds_store_b64 v67, v[65:66]
.LBB31_161:
	s_wait_alu 0xfffe
	s_or_b32 exec_lo, exec_lo, s0
	s_wait_storecnt_dscnt 0x0
	s_barrier_signal -1
	s_barrier_wait -1
	global_inv scope:SCOPE_SE
	s_clause 0x5
	scratch_load_b128 v[68:71], off, off offset:184
	scratch_load_b128 v[72:75], off, off offset:200
	;; [unrolled: 1-line block ×4, first 2 shown]
	scratch_load_b64 v[100:101], off, off offset:248
	scratch_load_b64 v[102:103], off, off offset:176
	v_mov_b32_e32 v65, 0
	ds_load_2addr_b64 v[84:87], v65 offset0:55 offset1:56
	ds_load_2addr_b64 v[88:91], v65 offset0:57 offset1:58
	;; [unrolled: 1-line block ×4, first 2 shown]
	ds_load_b64 v[104:105], v65 offset:504
	s_mov_b32 s0, exec_lo
	s_wait_loadcnt_dscnt 0x504
	v_mul_f32_e32 v66, v84, v69
	s_wait_loadcnt_dscnt 0x403
	v_dual_mul_f32 v106, v86, v71 :: v_dual_mul_f32 v107, v88, v73
	s_wait_loadcnt_dscnt 0x302
	v_dual_mul_f32 v110, v94, v79 :: v_dual_mul_f32 v69, v85, v69
	s_wait_loadcnt_dscnt 0x100
	v_dual_mul_f32 v113, v104, v101 :: v_dual_fmac_f32 v66, v85, v68
	v_mul_f32_e32 v71, v87, v71
	v_dual_mul_f32 v108, v90, v75 :: v_dual_mul_f32 v109, v92, v77
	v_fma_f32 v69, v84, v68, -v69
	v_fmac_f32_e32 v106, v87, v70
	v_add_f32_e32 v66, 0, v66
	v_mul_f32_e32 v68, v89, v73
	v_fma_f32 v70, v86, v70, -v71
	v_add_f32_e32 v69, 0, v69
	v_mul_f32_e32 v71, v91, v75
	v_dual_fmac_f32 v107, v89, v72 :: v_dual_add_f32 v66, v66, v106
	v_dual_fmac_f32 v108, v91, v74 :: v_dual_fmac_f32 v109, v93, v76
	s_delay_alu instid0(VALU_DEP_4) | instskip(SKIP_1) | instid1(VALU_DEP_4)
	v_add_f32_e32 v69, v69, v70
	v_dual_mul_f32 v111, v96, v81 :: v_dual_mul_f32 v112, v98, v83
	v_add_f32_e32 v66, v66, v107
	v_dual_fmac_f32 v110, v95, v78 :: v_dual_fmac_f32 v113, v105, v100
	s_delay_alu instid0(VALU_DEP_3) | instskip(NEXT) | instid1(VALU_DEP_3)
	v_dual_fmac_f32 v111, v97, v80 :: v_dual_fmac_f32 v112, v99, v82
	v_add_f32_e32 v66, v66, v108
	v_fma_f32 v68, v88, v72, -v68
	v_mul_f32_e32 v70, v93, v77
	v_fma_f32 v71, v90, v74, -v71
	s_delay_alu instid0(VALU_DEP_4) | instskip(NEXT) | instid1(VALU_DEP_1)
	v_add_f32_e32 v66, v66, v109
	v_add_f32_e32 v66, v66, v110
	s_delay_alu instid0(VALU_DEP_1) | instskip(NEXT) | instid1(VALU_DEP_1)
	v_add_f32_e32 v66, v66, v111
	v_add_f32_e32 v66, v66, v112
	s_delay_alu instid0(VALU_DEP_1) | instskip(SKIP_2) | instid1(VALU_DEP_2)
	v_add_f32_e32 v66, v66, v113
	v_dual_add_f32 v68, v69, v68 :: v_dual_mul_f32 v69, v95, v79
	v_fma_f32 v70, v92, v76, -v70
	v_dual_add_f32 v68, v68, v71 :: v_dual_mul_f32 v71, v97, v81
	s_delay_alu instid0(VALU_DEP_3) | instskip(NEXT) | instid1(VALU_DEP_2)
	v_fma_f32 v69, v94, v78, -v69
	v_add_f32_e32 v68, v68, v70
	v_mul_f32_e32 v70, v99, v83
	s_delay_alu instid0(VALU_DEP_4) | instskip(NEXT) | instid1(VALU_DEP_3)
	v_fma_f32 v71, v96, v80, -v71
	v_add_f32_e32 v68, v68, v69
	v_mul_f32_e32 v69, v105, v101
	s_delay_alu instid0(VALU_DEP_4) | instskip(NEXT) | instid1(VALU_DEP_3)
	v_fma_f32 v70, v98, v82, -v70
	v_add_f32_e32 v68, v68, v71
	s_delay_alu instid0(VALU_DEP_3) | instskip(NEXT) | instid1(VALU_DEP_2)
	v_fma_f32 v69, v104, v100, -v69
	v_add_f32_e32 v68, v68, v70
	s_wait_loadcnt 0x0
	s_delay_alu instid0(VALU_DEP_1) | instskip(NEXT) | instid1(VALU_DEP_1)
	v_dual_add_f32 v68, v68, v69 :: v_dual_sub_f32 v69, v103, v66
	v_sub_f32_e32 v68, v102, v68
	scratch_store_b64 off, v[68:69], off offset:176
	v_cmpx_lt_u32_e32 21, v0
	s_cbranch_execz .LBB31_163
; %bb.162:
	scratch_load_b64 v[68:69], off, off offset:168
	v_mov_b32_e32 v66, v65
	scratch_store_b64 off, v[65:66], off offset:168
	s_wait_loadcnt 0x0
	ds_store_b64 v67, v[68:69]
.LBB31_163:
	s_wait_alu 0xfffe
	s_or_b32 exec_lo, exec_lo, s0
	s_wait_storecnt_dscnt 0x0
	s_barrier_signal -1
	s_barrier_wait -1
	global_inv scope:SCOPE_SE
	s_clause 0x5
	scratch_load_b128 v[68:71], off, off offset:176
	scratch_load_b128 v[72:75], off, off offset:192
	;; [unrolled: 1-line block ×5, first 2 shown]
	scratch_load_b64 v[108:109], off, off offset:168
	ds_load_b128 v[88:91], v65 offset:432
	ds_load_b128 v[92:95], v65 offset:448
	;; [unrolled: 1-line block ×5, first 2 shown]
	s_mov_b32 s0, exec_lo
	s_wait_loadcnt_dscnt 0x504
	v_dual_mul_f32 v65, v88, v69 :: v_dual_mul_f32 v66, v90, v71
	v_mul_f32_e32 v69, v89, v69
	s_wait_loadcnt_dscnt 0x403
	v_dual_mul_f32 v71, v91, v71 :: v_dual_mul_f32 v110, v92, v73
	s_delay_alu instid0(VALU_DEP_3) | instskip(NEXT) | instid1(VALU_DEP_3)
	v_dual_mul_f32 v111, v94, v75 :: v_dual_fmac_f32 v66, v91, v70
	v_fma_f32 v69, v88, v68, -v69
	v_fmac_f32_e32 v65, v89, v68
	v_mul_f32_e32 v68, v93, v73
	v_fma_f32 v70, v90, v70, -v71
	v_mul_f32_e32 v71, v95, v75
	v_dual_add_f32 v69, 0, v69 :: v_dual_fmac_f32 v110, v93, v72
	s_delay_alu instid0(VALU_DEP_4) | instskip(SKIP_2) | instid1(VALU_DEP_3)
	v_fma_f32 v68, v92, v72, -v68
	s_wait_loadcnt_dscnt 0x302
	v_dual_mul_f32 v112, v96, v77 :: v_dual_mul_f32 v113, v98, v79
	v_add_f32_e32 v69, v69, v70
	v_fmac_f32_e32 v111, v95, v74
	v_fma_f32 v70, v94, v74, -v71
	s_wait_loadcnt_dscnt 0x201
	v_dual_mul_f32 v114, v100, v81 :: v_dual_mul_f32 v115, v102, v83
	v_dual_add_f32 v68, v69, v68 :: v_dual_mul_f32 v69, v99, v79
	v_fmac_f32_e32 v112, v97, v76
	s_wait_loadcnt_dscnt 0x100
	v_dual_mul_f32 v116, v104, v85 :: v_dual_mul_f32 v117, v106, v87
	s_delay_alu instid0(VALU_DEP_3) | instskip(SKIP_3) | instid1(VALU_DEP_4)
	v_dual_add_f32 v68, v68, v70 :: v_dual_add_f32 v65, 0, v65
	v_mul_f32_e32 v70, v101, v81
	v_fma_f32 v69, v98, v78, -v69
	v_dual_fmac_f32 v113, v99, v78 :: v_dual_fmac_f32 v114, v101, v80
	v_add_f32_e32 v65, v65, v66
	v_mul_f32_e32 v66, v97, v77
	v_fma_f32 v70, v100, v80, -v70
	v_dual_fmac_f32 v115, v103, v82 :: v_dual_fmac_f32 v116, v105, v84
	s_delay_alu instid0(VALU_DEP_3) | instskip(NEXT) | instid1(VALU_DEP_1)
	v_fma_f32 v66, v96, v76, -v66
	v_add_f32_e32 v66, v68, v66
	v_mul_f32_e32 v68, v103, v83
	s_delay_alu instid0(VALU_DEP_2) | instskip(SKIP_1) | instid1(VALU_DEP_3)
	v_dual_add_f32 v66, v66, v69 :: v_dual_add_f32 v65, v65, v110
	v_mul_f32_e32 v69, v105, v85
	v_fma_f32 v68, v102, v82, -v68
	s_delay_alu instid0(VALU_DEP_3) | instskip(SKIP_3) | instid1(VALU_DEP_4)
	v_add_f32_e32 v66, v66, v70
	v_mul_f32_e32 v70, v107, v87
	v_add_f32_e32 v65, v65, v111
	v_fma_f32 v69, v104, v84, -v69
	v_dual_add_f32 v66, v66, v68 :: v_dual_fmac_f32 v117, v107, v86
	s_delay_alu instid0(VALU_DEP_3) | instskip(SKIP_1) | instid1(VALU_DEP_3)
	v_add_f32_e32 v65, v65, v112
	v_fma_f32 v68, v106, v86, -v70
	v_add_f32_e32 v66, v66, v69
	s_delay_alu instid0(VALU_DEP_1) | instskip(NEXT) | instid1(VALU_DEP_1)
	v_dual_add_f32 v65, v65, v113 :: v_dual_add_f32 v66, v66, v68
	v_add_f32_e32 v65, v65, v114
	s_delay_alu instid0(VALU_DEP_1) | instskip(NEXT) | instid1(VALU_DEP_1)
	v_add_f32_e32 v65, v65, v115
	v_add_f32_e32 v65, v65, v116
	s_wait_loadcnt 0x0
	s_delay_alu instid0(VALU_DEP_1) | instskip(NEXT) | instid1(VALU_DEP_1)
	v_dual_add_f32 v68, v65, v117 :: v_dual_sub_f32 v65, v108, v66
	v_sub_f32_e32 v66, v109, v68
	scratch_store_b64 off, v[65:66], off offset:168
	v_cmpx_lt_u32_e32 20, v0
	s_cbranch_execz .LBB31_165
; %bb.164:
	scratch_load_b64 v[65:66], off, off offset:160
	v_mov_b32_e32 v68, 0
	s_delay_alu instid0(VALU_DEP_1)
	v_mov_b32_e32 v69, v68
	scratch_store_b64 off, v[68:69], off offset:160
	s_wait_loadcnt 0x0
	ds_store_b64 v67, v[65:66]
.LBB31_165:
	s_wait_alu 0xfffe
	s_or_b32 exec_lo, exec_lo, s0
	s_wait_storecnt_dscnt 0x0
	s_barrier_signal -1
	s_barrier_wait -1
	global_inv scope:SCOPE_SE
	s_clause 0x6
	scratch_load_b128 v[68:71], off, off offset:168
	scratch_load_b128 v[72:75], off, off offset:184
	;; [unrolled: 1-line block ×5, first 2 shown]
	scratch_load_b64 v[108:109], off, off offset:248
	scratch_load_b64 v[110:111], off, off offset:160
	v_mov_b32_e32 v65, 0
	ds_load_2addr_b64 v[88:91], v65 offset0:53 offset1:54
	ds_load_2addr_b64 v[92:95], v65 offset0:55 offset1:56
	ds_load_2addr_b64 v[96:99], v65 offset0:57 offset1:58
	ds_load_2addr_b64 v[100:103], v65 offset0:59 offset1:60
	ds_load_2addr_b64 v[104:107], v65 offset0:61 offset1:62
	ds_load_b64 v[112:113], v65 offset:504
	s_mov_b32 s0, exec_lo
	s_wait_loadcnt_dscnt 0x605
	v_mul_f32_e32 v66, v88, v69
	v_dual_mul_f32 v69, v89, v69 :: v_dual_mul_f32 v114, v90, v71
	s_wait_loadcnt_dscnt 0x302
	v_dual_mul_f32 v115, v92, v73 :: v_dual_mul_f32 v120, v102, v83
	s_wait_loadcnt_dscnt 0x100
	v_dual_mul_f32 v123, v112, v109 :: v_dual_fmac_f32 v66, v89, v68
	v_mul_f32_e32 v71, v91, v71
	v_fma_f32 v69, v88, v68, -v69
	v_mul_f32_e32 v68, v93, v73
	v_fmac_f32_e32 v114, v91, v70
	v_add_f32_e32 v66, 0, v66
	v_fma_f32 v70, v90, v70, -v71
	v_add_f32_e32 v69, 0, v69
	v_mul_f32_e32 v71, v95, v75
	s_delay_alu instid0(VALU_DEP_4) | instskip(SKIP_1) | instid1(VALU_DEP_4)
	v_dual_fmac_f32 v115, v93, v72 :: v_dual_add_f32 v66, v66, v114
	v_fma_f32 v68, v92, v72, -v68
	v_dual_add_f32 v69, v69, v70 :: v_dual_mul_f32 v116, v94, v75
	v_mul_f32_e32 v117, v96, v77
	v_mul_f32_e32 v70, v97, v77
	v_fma_f32 v71, v94, v74, -v71
	v_add_f32_e32 v66, v66, v115
	v_add_f32_e32 v68, v69, v68
	v_dual_fmac_f32 v116, v95, v74 :: v_dual_fmac_f32 v117, v97, v76
	v_mul_f32_e32 v69, v99, v79
	v_fma_f32 v70, v96, v76, -v70
	s_delay_alu instid0(VALU_DEP_4) | instskip(SKIP_4) | instid1(VALU_DEP_3)
	v_dual_add_f32 v68, v68, v71 :: v_dual_mul_f32 v71, v101, v81
	v_dual_mul_f32 v118, v98, v79 :: v_dual_mul_f32 v119, v100, v81
	v_dual_mul_f32 v121, v104, v85 :: v_dual_mul_f32 v122, v106, v87
	v_add_f32_e32 v66, v66, v116
	v_fma_f32 v69, v98, v78, -v69
	v_dual_add_f32 v68, v68, v70 :: v_dual_fmac_f32 v121, v105, v84
	v_dual_fmac_f32 v118, v99, v78 :: v_dual_fmac_f32 v119, v101, v80
	v_mul_f32_e32 v70, v103, v83
	s_delay_alu instid0(VALU_DEP_3)
	v_add_f32_e32 v68, v68, v69
	v_mul_f32_e32 v69, v105, v85
	v_dual_add_f32 v66, v66, v117 :: v_dual_fmac_f32 v123, v113, v108
	v_fma_f32 v71, v100, v80, -v71
	v_fmac_f32_e32 v120, v103, v82
	v_fma_f32 v70, v102, v82, -v70
	s_delay_alu instid0(VALU_DEP_4)
	v_add_f32_e32 v66, v66, v118
	v_fma_f32 v69, v104, v84, -v69
	v_add_f32_e32 v68, v68, v71
	v_mul_f32_e32 v71, v107, v87
	v_fmac_f32_e32 v122, v107, v86
	v_add_f32_e32 v66, v66, v119
	s_delay_alu instid0(VALU_DEP_4) | instskip(SKIP_2) | instid1(VALU_DEP_4)
	v_add_f32_e32 v68, v68, v70
	v_mul_f32_e32 v70, v113, v109
	v_fma_f32 v71, v106, v86, -v71
	v_add_f32_e32 v66, v66, v120
	s_delay_alu instid0(VALU_DEP_4) | instskip(NEXT) | instid1(VALU_DEP_4)
	v_add_f32_e32 v68, v68, v69
	v_fma_f32 v69, v112, v108, -v70
	s_delay_alu instid0(VALU_DEP_3) | instskip(NEXT) | instid1(VALU_DEP_3)
	v_add_f32_e32 v66, v66, v121
	v_add_f32_e32 v68, v68, v71
	s_delay_alu instid0(VALU_DEP_2) | instskip(NEXT) | instid1(VALU_DEP_2)
	v_add_f32_e32 v66, v66, v122
	v_add_f32_e32 v68, v68, v69
	s_delay_alu instid0(VALU_DEP_2) | instskip(SKIP_1) | instid1(VALU_DEP_1)
	v_add_f32_e32 v66, v66, v123
	s_wait_loadcnt 0x0
	v_dual_sub_f32 v68, v110, v68 :: v_dual_sub_f32 v69, v111, v66
	scratch_store_b64 off, v[68:69], off offset:160
	v_cmpx_lt_u32_e32 19, v0
	s_cbranch_execz .LBB31_167
; %bb.166:
	scratch_load_b64 v[68:69], off, off offset:152
	v_mov_b32_e32 v66, v65
	scratch_store_b64 off, v[65:66], off offset:152
	s_wait_loadcnt 0x0
	ds_store_b64 v67, v[68:69]
.LBB31_167:
	s_wait_alu 0xfffe
	s_or_b32 exec_lo, exec_lo, s0
	s_wait_storecnt_dscnt 0x0
	s_barrier_signal -1
	s_barrier_wait -1
	global_inv scope:SCOPE_SE
	s_clause 0x6
	scratch_load_b128 v[68:71], off, off offset:160
	scratch_load_b128 v[72:75], off, off offset:176
	;; [unrolled: 1-line block ×6, first 2 shown]
	scratch_load_b64 v[116:117], off, off offset:152
	ds_load_b128 v[92:95], v65 offset:416
	ds_load_b128 v[96:99], v65 offset:432
	;; [unrolled: 1-line block ×6, first 2 shown]
	s_mov_b32 s0, exec_lo
	s_wait_loadcnt_dscnt 0x605
	v_dual_mul_f32 v65, v92, v69 :: v_dual_mul_f32 v66, v94, v71
	v_mul_f32_e32 v69, v93, v69
	s_wait_loadcnt_dscnt 0x504
	v_dual_mul_f32 v71, v95, v71 :: v_dual_mul_f32 v118, v96, v73
	s_delay_alu instid0(VALU_DEP_3) | instskip(NEXT) | instid1(VALU_DEP_3)
	v_dual_mul_f32 v119, v98, v75 :: v_dual_fmac_f32 v66, v95, v70
	v_fma_f32 v69, v92, v68, -v69
	v_fmac_f32_e32 v65, v93, v68
	v_mul_f32_e32 v68, v97, v73
	v_fma_f32 v70, v94, v70, -v71
	v_mul_f32_e32 v71, v99, v75
	v_dual_add_f32 v69, 0, v69 :: v_dual_fmac_f32 v118, v97, v72
	s_delay_alu instid0(VALU_DEP_4) | instskip(SKIP_2) | instid1(VALU_DEP_3)
	v_fma_f32 v68, v96, v72, -v68
	s_wait_loadcnt_dscnt 0x403
	v_dual_mul_f32 v120, v100, v77 :: v_dual_mul_f32 v121, v102, v79
	v_add_f32_e32 v69, v69, v70
	v_fmac_f32_e32 v119, v99, v74
	v_fma_f32 v70, v98, v74, -v71
	s_wait_loadcnt_dscnt 0x302
	v_dual_mul_f32 v122, v104, v81 :: v_dual_mul_f32 v123, v106, v83
	v_dual_add_f32 v68, v69, v68 :: v_dual_mul_f32 v69, v103, v79
	v_fmac_f32_e32 v120, v101, v76
	s_wait_loadcnt_dscnt 0x201
	v_dual_mul_f32 v124, v108, v85 :: v_dual_mul_f32 v125, v110, v87
	s_delay_alu instid0(VALU_DEP_3) | instskip(SKIP_3) | instid1(VALU_DEP_4)
	v_dual_add_f32 v68, v68, v70 :: v_dual_add_f32 v65, 0, v65
	v_mul_f32_e32 v70, v105, v81
	v_fma_f32 v69, v102, v78, -v69
	v_dual_fmac_f32 v121, v103, v78 :: v_dual_fmac_f32 v122, v105, v80
	v_add_f32_e32 v65, v65, v66
	v_mul_f32_e32 v66, v101, v77
	v_fma_f32 v70, v104, v80, -v70
	v_dual_fmac_f32 v123, v107, v82 :: v_dual_fmac_f32 v124, v109, v84
	s_wait_loadcnt_dscnt 0x100
	v_dual_mul_f32 v126, v112, v89 :: v_dual_mul_f32 v127, v114, v91
	v_fma_f32 v66, v100, v76, -v66
	s_delay_alu instid0(VALU_DEP_2) | instskip(NEXT) | instid1(VALU_DEP_3)
	v_dual_fmac_f32 v125, v111, v86 :: v_dual_fmac_f32 v126, v113, v88
	v_fmac_f32_e32 v127, v115, v90
	s_delay_alu instid0(VALU_DEP_3) | instskip(SKIP_1) | instid1(VALU_DEP_2)
	v_add_f32_e32 v66, v68, v66
	v_mul_f32_e32 v68, v107, v83
	v_dual_add_f32 v66, v66, v69 :: v_dual_add_f32 v65, v65, v118
	v_mul_f32_e32 v69, v109, v85
	s_delay_alu instid0(VALU_DEP_3) | instskip(NEXT) | instid1(VALU_DEP_3)
	v_fma_f32 v68, v106, v82, -v68
	v_add_f32_e32 v66, v66, v70
	v_mul_f32_e32 v70, v111, v87
	v_add_f32_e32 v65, v65, v119
	v_fma_f32 v69, v108, v84, -v69
	s_delay_alu instid0(VALU_DEP_4) | instskip(SKIP_1) | instid1(VALU_DEP_4)
	v_add_f32_e32 v66, v66, v68
	v_mul_f32_e32 v68, v113, v89
	v_add_f32_e32 v65, v65, v120
	v_fma_f32 v70, v110, v86, -v70
	s_delay_alu instid0(VALU_DEP_4) | instskip(NEXT) | instid1(VALU_DEP_3)
	v_dual_add_f32 v66, v66, v69 :: v_dual_mul_f32 v69, v115, v91
	v_add_f32_e32 v65, v65, v121
	v_fma_f32 v68, v112, v88, -v68
	s_delay_alu instid0(VALU_DEP_3) | instskip(NEXT) | instid1(VALU_DEP_4)
	v_add_f32_e32 v66, v66, v70
	v_fma_f32 v69, v114, v90, -v69
	s_delay_alu instid0(VALU_DEP_2) | instskip(NEXT) | instid1(VALU_DEP_1)
	v_dual_add_f32 v65, v65, v122 :: v_dual_add_f32 v66, v66, v68
	v_dual_add_f32 v65, v65, v123 :: v_dual_add_f32 v66, v66, v69
	s_delay_alu instid0(VALU_DEP_1) | instskip(NEXT) | instid1(VALU_DEP_1)
	v_add_f32_e32 v65, v65, v124
	v_add_f32_e32 v65, v65, v125
	s_delay_alu instid0(VALU_DEP_1) | instskip(SKIP_1) | instid1(VALU_DEP_1)
	v_add_f32_e32 v65, v65, v126
	s_wait_loadcnt 0x0
	v_dual_add_f32 v68, v65, v127 :: v_dual_sub_f32 v65, v116, v66
	s_delay_alu instid0(VALU_DEP_1)
	v_sub_f32_e32 v66, v117, v68
	scratch_store_b64 off, v[65:66], off offset:152
	v_cmpx_lt_u32_e32 18, v0
	s_cbranch_execz .LBB31_169
; %bb.168:
	scratch_load_b64 v[65:66], off, off offset:144
	v_mov_b32_e32 v68, 0
	s_delay_alu instid0(VALU_DEP_1)
	v_mov_b32_e32 v69, v68
	scratch_store_b64 off, v[68:69], off offset:144
	s_wait_loadcnt 0x0
	ds_store_b64 v67, v[65:66]
.LBB31_169:
	s_wait_alu 0xfffe
	s_or_b32 exec_lo, exec_lo, s0
	s_wait_storecnt_dscnt 0x0
	s_barrier_signal -1
	s_barrier_wait -1
	global_inv scope:SCOPE_SE
	s_clause 0x7
	scratch_load_b128 v[68:71], off, off offset:152
	scratch_load_b128 v[72:75], off, off offset:168
	;; [unrolled: 1-line block ×6, first 2 shown]
	scratch_load_b64 v[116:117], off, off offset:248
	scratch_load_b64 v[118:119], off, off offset:144
	v_mov_b32_e32 v65, 0
	ds_load_2addr_b64 v[92:95], v65 offset0:51 offset1:52
	ds_load_2addr_b64 v[96:99], v65 offset0:53 offset1:54
	;; [unrolled: 1-line block ×6, first 2 shown]
	ds_load_b64 v[120:121], v65 offset:504
	s_mov_b32 s0, exec_lo
	s_wait_loadcnt_dscnt 0x706
	v_mul_f32_e32 v66, v92, v69
	v_dual_mul_f32 v69, v93, v69 :: v_dual_mul_f32 v122, v94, v71
	s_wait_loadcnt_dscnt 0x302
	v_dual_mul_f32 v123, v96, v73 :: v_dual_mul_f32 v130, v110, v87
	v_mul_f32_e32 v71, v95, v71
	s_wait_loadcnt_dscnt 0x100
	v_dual_mul_f32 v133, v120, v117 :: v_dual_fmac_f32 v66, v93, v68
	v_fma_f32 v69, v92, v68, -v69
	v_mul_f32_e32 v68, v97, v73
	v_fmac_f32_e32 v122, v95, v70
	v_fma_f32 v70, v94, v70, -v71
	v_dual_add_f32 v66, 0, v66 :: v_dual_mul_f32 v71, v99, v75
	v_add_f32_e32 v69, 0, v69
	v_fmac_f32_e32 v123, v97, v72
	v_fma_f32 v68, v96, v72, -v68
	s_delay_alu instid0(VALU_DEP_4)
	v_add_f32_e32 v66, v66, v122
	v_fma_f32 v71, v98, v74, -v71
	v_add_f32_e32 v69, v69, v70
	v_mul_f32_e32 v70, v101, v77
	v_dual_mul_f32 v124, v98, v75 :: v_dual_mul_f32 v125, v100, v77
	v_add_f32_e32 v66, v66, v123
	s_delay_alu instid0(VALU_DEP_4) | instskip(NEXT) | instid1(VALU_DEP_4)
	v_dual_add_f32 v68, v69, v68 :: v_dual_mul_f32 v69, v103, v79
	v_fma_f32 v70, v100, v76, -v70
	v_dual_mul_f32 v128, v106, v83 :: v_dual_mul_f32 v129, v108, v85
	s_delay_alu instid0(VALU_DEP_3) | instskip(NEXT) | instid1(VALU_DEP_4)
	v_dual_add_f32 v68, v68, v71 :: v_dual_mul_f32 v71, v105, v81
	v_fma_f32 v69, v102, v78, -v69
	v_dual_mul_f32 v131, v112, v89 :: v_dual_mul_f32 v132, v114, v91
	s_delay_alu instid0(VALU_DEP_3) | instskip(SKIP_1) | instid1(VALU_DEP_3)
	v_dual_add_f32 v68, v68, v70 :: v_dual_fmac_f32 v129, v109, v84
	v_dual_fmac_f32 v124, v99, v74 :: v_dual_fmac_f32 v125, v101, v76
	v_dual_mul_f32 v70, v107, v83 :: v_dual_fmac_f32 v131, v113, v88
	v_fma_f32 v71, v104, v80, -v71
	s_delay_alu instid0(VALU_DEP_4) | instskip(SKIP_3) | instid1(VALU_DEP_4)
	v_dual_add_f32 v68, v68, v69 :: v_dual_fmac_f32 v133, v121, v116
	v_dual_mul_f32 v126, v102, v79 :: v_dual_mul_f32 v127, v104, v81
	v_dual_add_f32 v66, v66, v124 :: v_dual_mul_f32 v69, v109, v85
	v_fma_f32 v70, v106, v82, -v70
	v_add_f32_e32 v68, v68, v71
	s_delay_alu instid0(VALU_DEP_4) | instskip(NEXT) | instid1(VALU_DEP_4)
	v_dual_fmac_f32 v126, v103, v78 :: v_dual_fmac_f32 v127, v105, v80
	v_dual_add_f32 v66, v66, v125 :: v_dual_mul_f32 v71, v111, v87
	v_fma_f32 v69, v108, v84, -v69
	s_delay_alu instid0(VALU_DEP_4)
	v_add_f32_e32 v68, v68, v70
	v_fmac_f32_e32 v128, v107, v82
	v_mul_f32_e32 v70, v113, v89
	v_fma_f32 v71, v110, v86, -v71
	v_fmac_f32_e32 v130, v111, v86
	v_dual_add_f32 v68, v68, v69 :: v_dual_mul_f32 v69, v115, v91
	v_add_f32_e32 v66, v66, v126
	v_fma_f32 v70, v112, v88, -v70
	v_fmac_f32_e32 v132, v115, v90
	s_delay_alu instid0(VALU_DEP_4) | instskip(NEXT) | instid1(VALU_DEP_4)
	v_dual_add_f32 v68, v68, v71 :: v_dual_mul_f32 v71, v121, v117
	v_add_f32_e32 v66, v66, v127
	v_fma_f32 v69, v114, v90, -v69
	s_delay_alu instid0(VALU_DEP_3) | instskip(NEXT) | instid1(VALU_DEP_4)
	v_add_f32_e32 v68, v68, v70
	v_fma_f32 v70, v120, v116, -v71
	s_delay_alu instid0(VALU_DEP_4) | instskip(NEXT) | instid1(VALU_DEP_3)
	v_add_f32_e32 v66, v66, v128
	v_add_f32_e32 v68, v68, v69
	s_delay_alu instid0(VALU_DEP_2) | instskip(NEXT) | instid1(VALU_DEP_2)
	v_add_f32_e32 v66, v66, v129
	v_add_f32_e32 v68, v68, v70
	s_delay_alu instid0(VALU_DEP_2) | instskip(SKIP_1) | instid1(VALU_DEP_2)
	v_add_f32_e32 v66, v66, v130
	s_wait_loadcnt 0x0
	v_sub_f32_e32 v68, v118, v68
	s_delay_alu instid0(VALU_DEP_2) | instskip(NEXT) | instid1(VALU_DEP_1)
	v_add_f32_e32 v66, v66, v131
	v_add_f32_e32 v66, v66, v132
	s_delay_alu instid0(VALU_DEP_1) | instskip(NEXT) | instid1(VALU_DEP_1)
	v_add_f32_e32 v66, v66, v133
	v_sub_f32_e32 v69, v119, v66
	scratch_store_b64 off, v[68:69], off offset:144
	v_cmpx_lt_u32_e32 17, v0
	s_cbranch_execz .LBB31_171
; %bb.170:
	scratch_load_b64 v[68:69], off, off offset:136
	v_mov_b32_e32 v66, v65
	scratch_store_b64 off, v[65:66], off offset:136
	s_wait_loadcnt 0x0
	ds_store_b64 v67, v[68:69]
.LBB31_171:
	s_wait_alu 0xfffe
	s_or_b32 exec_lo, exec_lo, s0
	s_wait_storecnt_dscnt 0x0
	s_barrier_signal -1
	s_barrier_wait -1
	global_inv scope:SCOPE_SE
	s_clause 0x7
	scratch_load_b128 v[68:71], off, off offset:144
	scratch_load_b128 v[72:75], off, off offset:160
	scratch_load_b128 v[76:79], off, off offset:176
	scratch_load_b128 v[80:83], off, off offset:192
	scratch_load_b128 v[84:87], off, off offset:208
	scratch_load_b128 v[88:91], off, off offset:224
	scratch_load_b128 v[92:95], off, off offset:240
	scratch_load_b64 v[124:125], off, off offset:136
	ds_load_b128 v[96:99], v65 offset:400
	ds_load_b128 v[100:103], v65 offset:416
	;; [unrolled: 1-line block ×7, first 2 shown]
	s_mov_b32 s0, exec_lo
	s_wait_loadcnt_dscnt 0x706
	v_dual_mul_f32 v65, v96, v69 :: v_dual_mul_f32 v66, v98, v71
	v_mul_f32_e32 v69, v97, v69
	s_wait_loadcnt_dscnt 0x605
	v_dual_mul_f32 v71, v99, v71 :: v_dual_mul_f32 v126, v100, v73
	s_delay_alu instid0(VALU_DEP_3) | instskip(NEXT) | instid1(VALU_DEP_3)
	v_dual_mul_f32 v127, v102, v75 :: v_dual_fmac_f32 v66, v99, v70
	v_fma_f32 v69, v96, v68, -v69
	v_fmac_f32_e32 v65, v97, v68
	v_mul_f32_e32 v68, v101, v73
	v_fma_f32 v70, v98, v70, -v71
	v_mul_f32_e32 v71, v103, v75
	v_dual_add_f32 v69, 0, v69 :: v_dual_fmac_f32 v126, v101, v72
	s_delay_alu instid0(VALU_DEP_4) | instskip(SKIP_2) | instid1(VALU_DEP_3)
	v_fma_f32 v68, v100, v72, -v68
	s_wait_loadcnt_dscnt 0x504
	v_dual_mul_f32 v128, v104, v77 :: v_dual_mul_f32 v129, v106, v79
	v_add_f32_e32 v69, v69, v70
	v_fmac_f32_e32 v127, v103, v74
	v_fma_f32 v70, v102, v74, -v71
	s_wait_loadcnt_dscnt 0x403
	v_dual_mul_f32 v130, v108, v81 :: v_dual_mul_f32 v131, v110, v83
	v_dual_add_f32 v68, v69, v68 :: v_dual_mul_f32 v69, v107, v79
	v_fmac_f32_e32 v128, v105, v76
	s_wait_loadcnt_dscnt 0x302
	v_dual_mul_f32 v132, v112, v85 :: v_dual_mul_f32 v133, v114, v87
	s_delay_alu instid0(VALU_DEP_3) | instskip(SKIP_3) | instid1(VALU_DEP_4)
	v_dual_add_f32 v68, v68, v70 :: v_dual_add_f32 v65, 0, v65
	v_mul_f32_e32 v70, v109, v81
	v_fma_f32 v69, v106, v78, -v69
	v_dual_fmac_f32 v129, v107, v78 :: v_dual_fmac_f32 v130, v109, v80
	v_add_f32_e32 v65, v65, v66
	v_mul_f32_e32 v66, v105, v77
	v_fma_f32 v70, v108, v80, -v70
	v_dual_fmac_f32 v131, v111, v82 :: v_dual_fmac_f32 v132, v113, v84
	s_wait_loadcnt_dscnt 0x201
	v_dual_mul_f32 v134, v116, v89 :: v_dual_mul_f32 v135, v118, v91
	v_fma_f32 v66, v104, v76, -v66
	s_wait_loadcnt_dscnt 0x100
	v_dual_mul_f32 v136, v120, v93 :: v_dual_mul_f32 v137, v122, v95
	s_delay_alu instid0(VALU_DEP_3) | instskip(NEXT) | instid1(VALU_DEP_3)
	v_dual_fmac_f32 v133, v115, v86 :: v_dual_fmac_f32 v134, v117, v88
	v_add_f32_e32 v66, v68, v66
	v_mul_f32_e32 v68, v111, v83
	s_delay_alu instid0(VALU_DEP_4) | instskip(NEXT) | instid1(VALU_DEP_3)
	v_dual_fmac_f32 v136, v121, v92 :: v_dual_fmac_f32 v137, v123, v94
	v_dual_fmac_f32 v135, v119, v90 :: v_dual_add_f32 v66, v66, v69
	v_add_f32_e32 v65, v65, v126
	v_mul_f32_e32 v69, v113, v85
	v_fma_f32 v68, v110, v82, -v68
	s_delay_alu instid0(VALU_DEP_4) | instskip(SKIP_3) | instid1(VALU_DEP_4)
	v_add_f32_e32 v66, v66, v70
	v_mul_f32_e32 v70, v115, v87
	v_add_f32_e32 v65, v65, v127
	v_fma_f32 v69, v112, v84, -v69
	v_add_f32_e32 v66, v66, v68
	v_mul_f32_e32 v68, v117, v89
	s_delay_alu instid0(VALU_DEP_4) | instskip(SKIP_1) | instid1(VALU_DEP_4)
	v_add_f32_e32 v65, v65, v128
	v_fma_f32 v70, v114, v86, -v70
	v_dual_add_f32 v66, v66, v69 :: v_dual_mul_f32 v69, v119, v91
	s_delay_alu instid0(VALU_DEP_3) | instskip(SKIP_1) | instid1(VALU_DEP_3)
	v_add_f32_e32 v65, v65, v129
	v_fma_f32 v68, v116, v88, -v68
	v_add_f32_e32 v66, v66, v70
	s_delay_alu instid0(VALU_DEP_4) | instskip(NEXT) | instid1(VALU_DEP_4)
	v_fma_f32 v69, v118, v90, -v69
	v_add_f32_e32 v65, v65, v130
	v_mul_f32_e32 v70, v121, v93
	s_delay_alu instid0(VALU_DEP_4) | instskip(SKIP_1) | instid1(VALU_DEP_4)
	v_add_f32_e32 v66, v66, v68
	v_mul_f32_e32 v68, v123, v95
	v_add_f32_e32 v65, v65, v131
	s_delay_alu instid0(VALU_DEP_4) | instskip(NEXT) | instid1(VALU_DEP_4)
	v_fma_f32 v70, v120, v92, -v70
	v_add_f32_e32 v66, v66, v69
	s_delay_alu instid0(VALU_DEP_4) | instskip(NEXT) | instid1(VALU_DEP_2)
	v_fma_f32 v68, v122, v94, -v68
	v_dual_add_f32 v65, v65, v132 :: v_dual_add_f32 v66, v66, v70
	s_delay_alu instid0(VALU_DEP_1) | instskip(NEXT) | instid1(VALU_DEP_1)
	v_dual_add_f32 v65, v65, v133 :: v_dual_add_f32 v66, v66, v68
	v_add_f32_e32 v65, v65, v134
	s_delay_alu instid0(VALU_DEP_1) | instskip(NEXT) | instid1(VALU_DEP_1)
	v_add_f32_e32 v65, v65, v135
	v_add_f32_e32 v65, v65, v136
	s_wait_loadcnt 0x0
	s_delay_alu instid0(VALU_DEP_1) | instskip(NEXT) | instid1(VALU_DEP_1)
	v_dual_add_f32 v68, v65, v137 :: v_dual_sub_f32 v65, v124, v66
	v_sub_f32_e32 v66, v125, v68
	scratch_store_b64 off, v[65:66], off offset:136
	v_cmpx_lt_u32_e32 16, v0
	s_cbranch_execz .LBB31_173
; %bb.172:
	scratch_load_b64 v[65:66], off, off offset:128
	v_mov_b32_e32 v68, 0
	s_delay_alu instid0(VALU_DEP_1)
	v_mov_b32_e32 v69, v68
	scratch_store_b64 off, v[68:69], off offset:128
	s_wait_loadcnt 0x0
	ds_store_b64 v67, v[65:66]
.LBB31_173:
	s_wait_alu 0xfffe
	s_or_b32 exec_lo, exec_lo, s0
	s_wait_storecnt_dscnt 0x0
	s_barrier_signal -1
	s_barrier_wait -1
	global_inv scope:SCOPE_SE
	s_clause 0x8
	scratch_load_b128 v[68:71], off, off offset:136
	scratch_load_b128 v[72:75], off, off offset:152
	;; [unrolled: 1-line block ×7, first 2 shown]
	scratch_load_b64 v[124:125], off, off offset:248
	scratch_load_b64 v[126:127], off, off offset:128
	v_mov_b32_e32 v65, 0
	ds_load_2addr_b64 v[96:99], v65 offset0:49 offset1:50
	ds_load_2addr_b64 v[100:103], v65 offset0:51 offset1:52
	;; [unrolled: 1-line block ×7, first 2 shown]
	ds_load_b64 v[128:129], v65 offset:504
	s_mov_b32 s0, exec_lo
	s_wait_loadcnt_dscnt 0x807
	v_mul_f32_e32 v66, v96, v69
	v_dual_mul_f32 v69, v97, v69 :: v_dual_mul_f32 v130, v98, v71
	s_wait_loadcnt_dscnt 0x706
	v_mul_f32_e32 v131, v100, v73
	v_mul_f32_e32 v71, v99, v71
	s_wait_loadcnt_dscnt 0x302
	v_mul_f32_e32 v140, v118, v91
	v_fma_f32 v69, v96, v68, -v69
	s_wait_loadcnt_dscnt 0x100
	v_dual_mul_f32 v143, v128, v125 :: v_dual_fmac_f32 v66, v97, v68
	v_mul_f32_e32 v68, v101, v73
	s_delay_alu instid0(VALU_DEP_3) | instskip(SKIP_1) | instid1(VALU_DEP_4)
	v_dual_fmac_f32 v130, v99, v70 :: v_dual_add_f32 v69, 0, v69
	v_fma_f32 v70, v98, v70, -v71
	v_dual_add_f32 v66, 0, v66 :: v_dual_mul_f32 v71, v103, v75
	v_fmac_f32_e32 v131, v101, v72
	v_fma_f32 v68, v100, v72, -v68
	v_dual_mul_f32 v132, v102, v75 :: v_dual_mul_f32 v133, v104, v77
	s_delay_alu instid0(VALU_DEP_4)
	v_add_f32_e32 v66, v66, v130
	v_add_f32_e32 v69, v69, v70
	v_mul_f32_e32 v70, v105, v77
	v_fma_f32 v71, v102, v74, -v71
	v_dual_mul_f32 v136, v110, v83 :: v_dual_mul_f32 v137, v112, v85
	v_add_f32_e32 v66, v66, v131
	v_dual_add_f32 v68, v69, v68 :: v_dual_mul_f32 v69, v107, v79
	v_fma_f32 v70, v104, v76, -v70
	v_dual_mul_f32 v138, v114, v87 :: v_dual_mul_f32 v139, v116, v89
	s_delay_alu instid0(VALU_DEP_3) | instskip(NEXT) | instid1(VALU_DEP_4)
	v_dual_add_f32 v68, v68, v71 :: v_dual_mul_f32 v71, v109, v81
	v_fma_f32 v69, v106, v78, -v69
	v_dual_mul_f32 v141, v120, v93 :: v_dual_mul_f32 v142, v122, v95
	s_delay_alu instid0(VALU_DEP_3) | instskip(SKIP_3) | instid1(VALU_DEP_4)
	v_dual_add_f32 v68, v68, v70 :: v_dual_fmac_f32 v137, v113, v84
	v_dual_fmac_f32 v132, v103, v74 :: v_dual_fmac_f32 v133, v105, v76
	v_dual_mul_f32 v70, v111, v83 :: v_dual_fmac_f32 v139, v117, v88
	v_fma_f32 v71, v108, v80, -v71
	v_dual_add_f32 v68, v68, v69 :: v_dual_fmac_f32 v141, v121, v92
	s_delay_alu instid0(VALU_DEP_4) | instskip(NEXT) | instid1(VALU_DEP_4)
	v_dual_add_f32 v66, v66, v132 :: v_dual_mul_f32 v69, v113, v85
	v_fma_f32 v70, v110, v82, -v70
	s_delay_alu instid0(VALU_DEP_3) | instskip(SKIP_3) | instid1(VALU_DEP_4)
	v_dual_add_f32 v68, v68, v71 :: v_dual_fmac_f32 v143, v129, v124
	v_dual_mul_f32 v134, v106, v79 :: v_dual_mul_f32 v135, v108, v81
	v_mul_f32_e32 v71, v115, v87
	v_fma_f32 v69, v112, v84, -v69
	v_add_f32_e32 v68, v68, v70
	s_delay_alu instid0(VALU_DEP_4) | instskip(SKIP_4) | instid1(VALU_DEP_4)
	v_dual_fmac_f32 v134, v107, v78 :: v_dual_fmac_f32 v135, v109, v80
	v_add_f32_e32 v66, v66, v133
	v_mul_f32_e32 v70, v117, v89
	v_fma_f32 v71, v114, v86, -v71
	v_dual_add_f32 v68, v68, v69 :: v_dual_mul_f32 v69, v119, v91
	v_add_f32_e32 v66, v66, v134
	s_delay_alu instid0(VALU_DEP_4) | instskip(SKIP_1) | instid1(VALU_DEP_4)
	v_fma_f32 v70, v116, v88, -v70
	v_fmac_f32_e32 v136, v111, v82
	v_dual_add_f32 v68, v68, v71 :: v_dual_mul_f32 v71, v121, v93
	s_delay_alu instid0(VALU_DEP_4) | instskip(SKIP_2) | instid1(VALU_DEP_4)
	v_add_f32_e32 v66, v66, v135
	v_fma_f32 v69, v118, v90, -v69
	v_fmac_f32_e32 v138, v115, v86
	v_add_f32_e32 v68, v68, v70
	v_fmac_f32_e32 v140, v119, v90
	v_mul_f32_e32 v70, v123, v95
	v_fma_f32 v71, v120, v92, -v71
	v_fmac_f32_e32 v142, v123, v94
	v_add_f32_e32 v68, v68, v69
	v_dual_mul_f32 v69, v129, v125 :: v_dual_add_f32 v66, v66, v136
	v_fma_f32 v70, v122, v94, -v70
	s_delay_alu instid0(VALU_DEP_3) | instskip(NEXT) | instid1(VALU_DEP_3)
	v_add_f32_e32 v68, v68, v71
	v_fma_f32 v69, v128, v124, -v69
	s_delay_alu instid0(VALU_DEP_4) | instskip(NEXT) | instid1(VALU_DEP_3)
	v_add_f32_e32 v66, v66, v137
	v_add_f32_e32 v68, v68, v70
	s_delay_alu instid0(VALU_DEP_2) | instskip(NEXT) | instid1(VALU_DEP_2)
	v_add_f32_e32 v66, v66, v138
	v_add_f32_e32 v68, v68, v69
	s_delay_alu instid0(VALU_DEP_2) | instskip(SKIP_1) | instid1(VALU_DEP_2)
	v_add_f32_e32 v66, v66, v139
	s_wait_loadcnt 0x0
	v_sub_f32_e32 v68, v126, v68
	s_delay_alu instid0(VALU_DEP_2) | instskip(NEXT) | instid1(VALU_DEP_1)
	v_add_f32_e32 v66, v66, v140
	v_add_f32_e32 v66, v66, v141
	s_delay_alu instid0(VALU_DEP_1) | instskip(NEXT) | instid1(VALU_DEP_1)
	v_add_f32_e32 v66, v66, v142
	v_add_f32_e32 v66, v66, v143
	s_delay_alu instid0(VALU_DEP_1)
	v_sub_f32_e32 v69, v127, v66
	scratch_store_b64 off, v[68:69], off offset:128
	v_cmpx_lt_u32_e32 15, v0
	s_cbranch_execz .LBB31_175
; %bb.174:
	scratch_load_b64 v[68:69], off, off offset:120
	v_mov_b32_e32 v66, v65
	scratch_store_b64 off, v[65:66], off offset:120
	s_wait_loadcnt 0x0
	ds_store_b64 v67, v[68:69]
.LBB31_175:
	s_wait_alu 0xfffe
	s_or_b32 exec_lo, exec_lo, s0
	s_wait_storecnt_dscnt 0x0
	s_barrier_signal -1
	s_barrier_wait -1
	global_inv scope:SCOPE_SE
	s_clause 0x8
	scratch_load_b128 v[68:71], off, off offset:128
	scratch_load_b128 v[72:75], off, off offset:144
	scratch_load_b128 v[76:79], off, off offset:160
	scratch_load_b128 v[80:83], off, off offset:176
	scratch_load_b128 v[84:87], off, off offset:192
	scratch_load_b128 v[88:91], off, off offset:208
	scratch_load_b128 v[92:95], off, off offset:224
	scratch_load_b128 v[96:99], off, off offset:240
	scratch_load_b64 v[132:133], off, off offset:120
	ds_load_b128 v[100:103], v65 offset:384
	ds_load_b128 v[104:107], v65 offset:400
	;; [unrolled: 1-line block ×8, first 2 shown]
	s_mov_b32 s0, exec_lo
	s_wait_loadcnt_dscnt 0x807
	v_dual_mul_f32 v65, v100, v69 :: v_dual_mul_f32 v66, v102, v71
	v_mul_f32_e32 v69, v101, v69
	s_wait_loadcnt_dscnt 0x706
	v_dual_mul_f32 v71, v103, v71 :: v_dual_mul_f32 v134, v104, v73
	s_delay_alu instid0(VALU_DEP_3) | instskip(NEXT) | instid1(VALU_DEP_3)
	v_dual_mul_f32 v135, v106, v75 :: v_dual_fmac_f32 v66, v103, v70
	v_fma_f32 v69, v100, v68, -v69
	v_fmac_f32_e32 v65, v101, v68
	v_mul_f32_e32 v68, v105, v73
	v_fma_f32 v70, v102, v70, -v71
	v_mul_f32_e32 v71, v107, v75
	v_dual_add_f32 v69, 0, v69 :: v_dual_fmac_f32 v134, v105, v72
	s_delay_alu instid0(VALU_DEP_4) | instskip(SKIP_2) | instid1(VALU_DEP_3)
	v_fma_f32 v68, v104, v72, -v68
	s_wait_loadcnt_dscnt 0x605
	v_dual_mul_f32 v136, v108, v77 :: v_dual_mul_f32 v137, v110, v79
	v_add_f32_e32 v69, v69, v70
	v_fmac_f32_e32 v135, v107, v74
	v_fma_f32 v70, v106, v74, -v71
	s_wait_loadcnt_dscnt 0x504
	v_dual_mul_f32 v138, v112, v81 :: v_dual_mul_f32 v139, v114, v83
	v_dual_add_f32 v68, v69, v68 :: v_dual_mul_f32 v69, v111, v79
	v_fmac_f32_e32 v136, v109, v76
	s_wait_loadcnt_dscnt 0x403
	v_dual_mul_f32 v140, v116, v85 :: v_dual_mul_f32 v141, v118, v87
	s_delay_alu instid0(VALU_DEP_3) | instskip(SKIP_3) | instid1(VALU_DEP_4)
	v_dual_add_f32 v68, v68, v70 :: v_dual_add_f32 v65, 0, v65
	v_mul_f32_e32 v70, v113, v81
	v_fma_f32 v69, v110, v78, -v69
	v_dual_fmac_f32 v137, v111, v78 :: v_dual_fmac_f32 v138, v113, v80
	v_add_f32_e32 v65, v65, v66
	v_mul_f32_e32 v66, v109, v77
	v_fma_f32 v70, v112, v80, -v70
	v_dual_fmac_f32 v139, v115, v82 :: v_dual_fmac_f32 v140, v117, v84
	s_wait_loadcnt_dscnt 0x302
	v_dual_mul_f32 v142, v120, v89 :: v_dual_mul_f32 v143, v122, v91
	v_fma_f32 v66, v108, v76, -v66
	s_wait_loadcnt_dscnt 0x201
	v_dual_mul_f32 v144, v124, v93 :: v_dual_mul_f32 v145, v126, v95
	s_wait_loadcnt_dscnt 0x100
	v_dual_mul_f32 v146, v128, v97 :: v_dual_mul_f32 v147, v130, v99
	v_add_f32_e32 v66, v68, v66
	v_mul_f32_e32 v68, v115, v83
	v_dual_fmac_f32 v144, v125, v92 :: v_dual_fmac_f32 v145, v127, v94
	s_delay_alu instid0(VALU_DEP_4) | instskip(NEXT) | instid1(VALU_DEP_4)
	v_dual_fmac_f32 v146, v129, v96 :: v_dual_fmac_f32 v147, v131, v98
	v_dual_add_f32 v66, v66, v69 :: v_dual_add_f32 v65, v65, v134
	v_mul_f32_e32 v69, v117, v85
	v_fma_f32 v68, v114, v82, -v68
	v_fmac_f32_e32 v141, v119, v86
	s_delay_alu instid0(VALU_DEP_4)
	v_add_f32_e32 v66, v66, v70
	v_mul_f32_e32 v70, v119, v87
	v_add_f32_e32 v65, v65, v135
	v_fma_f32 v69, v116, v84, -v69
	v_fmac_f32_e32 v142, v121, v88
	v_add_f32_e32 v66, v66, v68
	v_mul_f32_e32 v68, v121, v89
	v_add_f32_e32 v65, v65, v136
	v_fma_f32 v70, v118, v86, -v70
	s_delay_alu instid0(VALU_DEP_4) | instskip(SKIP_1) | instid1(VALU_DEP_4)
	v_dual_fmac_f32 v143, v123, v90 :: v_dual_add_f32 v66, v66, v69
	v_mul_f32_e32 v69, v123, v91
	v_add_f32_e32 v65, v65, v137
	v_fma_f32 v68, v120, v88, -v68
	s_delay_alu instid0(VALU_DEP_4) | instskip(NEXT) | instid1(VALU_DEP_4)
	v_add_f32_e32 v66, v66, v70
	v_fma_f32 v69, v122, v90, -v69
	s_delay_alu instid0(VALU_DEP_4) | instskip(SKIP_1) | instid1(VALU_DEP_4)
	v_add_f32_e32 v65, v65, v138
	v_mul_f32_e32 v70, v125, v93
	v_add_f32_e32 v66, v66, v68
	v_mul_f32_e32 v68, v127, v95
	s_delay_alu instid0(VALU_DEP_4) | instskip(NEXT) | instid1(VALU_DEP_4)
	v_add_f32_e32 v65, v65, v139
	v_fma_f32 v70, v124, v92, -v70
	s_delay_alu instid0(VALU_DEP_4) | instskip(SKIP_1) | instid1(VALU_DEP_4)
	v_add_f32_e32 v66, v66, v69
	v_mul_f32_e32 v69, v129, v97
	v_add_f32_e32 v65, v65, v140
	v_fma_f32 v68, v126, v94, -v68
	s_delay_alu instid0(VALU_DEP_4) | instskip(NEXT) | instid1(VALU_DEP_3)
	v_add_f32_e32 v66, v66, v70
	v_dual_mul_f32 v70, v131, v99 :: v_dual_add_f32 v65, v65, v141
	v_fma_f32 v69, v128, v96, -v69
	s_delay_alu instid0(VALU_DEP_3) | instskip(NEXT) | instid1(VALU_DEP_3)
	v_add_f32_e32 v66, v66, v68
	v_fma_f32 v68, v130, v98, -v70
	s_delay_alu instid0(VALU_DEP_2) | instskip(NEXT) | instid1(VALU_DEP_1)
	v_dual_add_f32 v65, v65, v142 :: v_dual_add_f32 v66, v66, v69
	v_dual_add_f32 v65, v65, v143 :: v_dual_add_f32 v66, v66, v68
	s_delay_alu instid0(VALU_DEP_1) | instskip(NEXT) | instid1(VALU_DEP_1)
	v_add_f32_e32 v65, v65, v144
	v_add_f32_e32 v65, v65, v145
	s_delay_alu instid0(VALU_DEP_1) | instskip(SKIP_1) | instid1(VALU_DEP_1)
	v_add_f32_e32 v65, v65, v146
	s_wait_loadcnt 0x0
	v_dual_add_f32 v68, v65, v147 :: v_dual_sub_f32 v65, v132, v66
	s_delay_alu instid0(VALU_DEP_1)
	v_sub_f32_e32 v66, v133, v68
	scratch_store_b64 off, v[65:66], off offset:120
	v_cmpx_lt_u32_e32 14, v0
	s_cbranch_execz .LBB31_177
; %bb.176:
	scratch_load_b64 v[65:66], off, off offset:112
	v_mov_b32_e32 v68, 0
	s_delay_alu instid0(VALU_DEP_1)
	v_mov_b32_e32 v69, v68
	scratch_store_b64 off, v[68:69], off offset:112
	s_wait_loadcnt 0x0
	ds_store_b64 v67, v[65:66]
.LBB31_177:
	s_wait_alu 0xfffe
	s_or_b32 exec_lo, exec_lo, s0
	s_wait_storecnt_dscnt 0x0
	s_barrier_signal -1
	s_barrier_wait -1
	global_inv scope:SCOPE_SE
	s_clause 0x9
	scratch_load_b128 v[68:71], off, off offset:120
	scratch_load_b128 v[72:75], off, off offset:136
	;; [unrolled: 1-line block ×8, first 2 shown]
	scratch_load_b64 v[132:133], off, off offset:248
	scratch_load_b64 v[134:135], off, off offset:112
	v_mov_b32_e32 v65, 0
	ds_load_2addr_b64 v[100:103], v65 offset0:47 offset1:48
	ds_load_2addr_b64 v[104:107], v65 offset0:49 offset1:50
	;; [unrolled: 1-line block ×8, first 2 shown]
	ds_load_b64 v[136:137], v65 offset:504
	s_mov_b32 s0, exec_lo
	s_wait_loadcnt_dscnt 0x908
	v_mul_f32_e32 v66, v100, v69
	s_wait_loadcnt_dscnt 0x807
	v_dual_mul_f32 v138, v102, v71 :: v_dual_mul_f32 v139, v104, v73
	v_mul_f32_e32 v69, v101, v69
	s_delay_alu instid0(VALU_DEP_3)
	v_dual_mul_f32 v71, v103, v71 :: v_dual_fmac_f32 v66, v101, v68
	s_wait_loadcnt_dscnt 0x302
	v_mul_f32_e32 v150, v126, v95
	v_dual_mul_f32 v140, v106, v75 :: v_dual_mul_f32 v141, v108, v77
	s_wait_loadcnt_dscnt 0x100
	v_mul_f32_e32 v153, v136, v133
	v_fma_f32 v69, v100, v68, -v69
	v_mul_f32_e32 v68, v105, v73
	v_fmac_f32_e32 v138, v103, v70
	v_fma_f32 v70, v102, v70, -v71
	v_dual_add_f32 v66, 0, v66 :: v_dual_mul_f32 v71, v107, v75
	v_add_f32_e32 v69, 0, v69
	v_fmac_f32_e32 v139, v105, v72
	v_fma_f32 v68, v104, v72, -v68
	s_delay_alu instid0(VALU_DEP_4)
	v_add_f32_e32 v66, v66, v138
	v_fma_f32 v71, v106, v74, -v71
	v_add_f32_e32 v69, v69, v70
	v_mul_f32_e32 v70, v109, v77
	v_dual_mul_f32 v144, v114, v83 :: v_dual_mul_f32 v145, v116, v85
	v_add_f32_e32 v66, v66, v139
	s_delay_alu instid0(VALU_DEP_4) | instskip(NEXT) | instid1(VALU_DEP_4)
	v_dual_add_f32 v68, v69, v68 :: v_dual_mul_f32 v69, v111, v79
	v_fma_f32 v70, v108, v76, -v70
	v_dual_mul_f32 v146, v118, v87 :: v_dual_mul_f32 v147, v120, v89
	s_delay_alu instid0(VALU_DEP_3) | instskip(NEXT) | instid1(VALU_DEP_4)
	v_dual_add_f32 v68, v68, v71 :: v_dual_mul_f32 v71, v113, v81
	v_fma_f32 v69, v110, v78, -v69
	v_dual_mul_f32 v148, v122, v91 :: v_dual_mul_f32 v149, v124, v93
	s_delay_alu instid0(VALU_DEP_3) | instskip(SKIP_3) | instid1(VALU_DEP_4)
	v_dual_add_f32 v68, v68, v70 :: v_dual_fmac_f32 v145, v117, v84
	v_dual_fmac_f32 v140, v107, v74 :: v_dual_fmac_f32 v141, v109, v76
	v_dual_mul_f32 v70, v115, v83 :: v_dual_fmac_f32 v147, v121, v88
	v_fma_f32 v71, v112, v80, -v71
	v_dual_add_f32 v68, v68, v69 :: v_dual_fmac_f32 v149, v125, v92
	v_dual_mul_f32 v151, v128, v97 :: v_dual_mul_f32 v152, v130, v99
	v_dual_add_f32 v66, v66, v140 :: v_dual_mul_f32 v69, v117, v85
	v_fma_f32 v70, v114, v82, -v70
	s_delay_alu instid0(VALU_DEP_3) | instskip(SKIP_3) | instid1(VALU_DEP_4)
	v_dual_add_f32 v68, v68, v71 :: v_dual_fmac_f32 v151, v129, v96
	v_dual_mul_f32 v142, v110, v79 :: v_dual_mul_f32 v143, v112, v81
	v_mul_f32_e32 v71, v119, v87
	v_fma_f32 v69, v116, v84, -v69
	v_add_f32_e32 v68, v68, v70
	s_delay_alu instid0(VALU_DEP_4) | instskip(SKIP_4) | instid1(VALU_DEP_4)
	v_dual_fmac_f32 v142, v111, v78 :: v_dual_fmac_f32 v143, v113, v80
	v_add_f32_e32 v66, v66, v141
	v_mul_f32_e32 v70, v121, v89
	v_fma_f32 v71, v118, v86, -v71
	v_dual_add_f32 v68, v68, v69 :: v_dual_mul_f32 v69, v123, v91
	v_add_f32_e32 v66, v66, v142
	s_delay_alu instid0(VALU_DEP_4) | instskip(SKIP_1) | instid1(VALU_DEP_4)
	v_fma_f32 v70, v120, v88, -v70
	v_fmac_f32_e32 v144, v115, v82
	v_dual_add_f32 v68, v68, v71 :: v_dual_mul_f32 v71, v125, v93
	s_delay_alu instid0(VALU_DEP_4) | instskip(SKIP_1) | instid1(VALU_DEP_3)
	v_dual_add_f32 v66, v66, v143 :: v_dual_fmac_f32 v153, v137, v132
	v_fma_f32 v69, v122, v90, -v69
	v_add_f32_e32 v68, v68, v70
	v_fmac_f32_e32 v146, v119, v86
	v_fmac_f32_e32 v148, v123, v90
	v_mul_f32_e32 v70, v127, v95
	v_fma_f32 v71, v124, v92, -v71
	v_add_f32_e32 v68, v68, v69
	v_dual_mul_f32 v69, v129, v97 :: v_dual_add_f32 v66, v66, v144
	v_fmac_f32_e32 v150, v127, v94
	v_fma_f32 v70, v126, v94, -v70
	s_delay_alu instid0(VALU_DEP_4) | instskip(NEXT) | instid1(VALU_DEP_4)
	v_add_f32_e32 v68, v68, v71
	v_dual_mul_f32 v71, v131, v99 :: v_dual_add_f32 v66, v66, v145
	v_fma_f32 v69, v128, v96, -v69
	v_fmac_f32_e32 v152, v131, v98
	s_delay_alu instid0(VALU_DEP_4) | instskip(SKIP_3) | instid1(VALU_DEP_4)
	v_add_f32_e32 v68, v68, v70
	v_mul_f32_e32 v70, v137, v133
	v_add_f32_e32 v66, v66, v146
	v_fma_f32 v71, v130, v98, -v71
	v_add_f32_e32 v68, v68, v69
	s_delay_alu instid0(VALU_DEP_4) | instskip(NEXT) | instid1(VALU_DEP_4)
	v_fma_f32 v69, v136, v132, -v70
	v_add_f32_e32 v66, v66, v147
	s_delay_alu instid0(VALU_DEP_3) | instskip(NEXT) | instid1(VALU_DEP_2)
	v_add_f32_e32 v68, v68, v71
	v_add_f32_e32 v66, v66, v148
	s_delay_alu instid0(VALU_DEP_2) | instskip(NEXT) | instid1(VALU_DEP_2)
	v_add_f32_e32 v68, v68, v69
	v_add_f32_e32 v66, v66, v149
	s_wait_loadcnt 0x0
	s_delay_alu instid0(VALU_DEP_2) | instskip(NEXT) | instid1(VALU_DEP_2)
	v_sub_f32_e32 v68, v134, v68
	v_add_f32_e32 v66, v66, v150
	s_delay_alu instid0(VALU_DEP_1) | instskip(NEXT) | instid1(VALU_DEP_1)
	v_add_f32_e32 v66, v66, v151
	v_add_f32_e32 v66, v66, v152
	s_delay_alu instid0(VALU_DEP_1) | instskip(NEXT) | instid1(VALU_DEP_1)
	v_add_f32_e32 v66, v66, v153
	v_sub_f32_e32 v69, v135, v66
	scratch_store_b64 off, v[68:69], off offset:112
	v_cmpx_lt_u32_e32 13, v0
	s_cbranch_execz .LBB31_179
; %bb.178:
	scratch_load_b64 v[68:69], off, off offset:104
	v_mov_b32_e32 v66, v65
	scratch_store_b64 off, v[65:66], off offset:104
	s_wait_loadcnt 0x0
	ds_store_b64 v67, v[68:69]
.LBB31_179:
	s_wait_alu 0xfffe
	s_or_b32 exec_lo, exec_lo, s0
	s_wait_storecnt_dscnt 0x0
	s_barrier_signal -1
	s_barrier_wait -1
	global_inv scope:SCOPE_SE
	s_clause 0x9
	scratch_load_b128 v[68:71], off, off offset:112
	scratch_load_b128 v[72:75], off, off offset:128
	;; [unrolled: 1-line block ×9, first 2 shown]
	scratch_load_b64 v[140:141], off, off offset:104
	ds_load_b128 v[104:107], v65 offset:368
	ds_load_b128 v[108:111], v65 offset:384
	;; [unrolled: 1-line block ×9, first 2 shown]
	s_mov_b32 s0, exec_lo
	s_wait_loadcnt_dscnt 0x908
	v_dual_mul_f32 v65, v104, v69 :: v_dual_mul_f32 v66, v106, v71
	v_mul_f32_e32 v69, v105, v69
	s_wait_loadcnt_dscnt 0x807
	v_dual_mul_f32 v71, v107, v71 :: v_dual_mul_f32 v142, v108, v73
	s_delay_alu instid0(VALU_DEP_3) | instskip(NEXT) | instid1(VALU_DEP_3)
	v_dual_mul_f32 v143, v110, v75 :: v_dual_fmac_f32 v66, v107, v70
	v_fma_f32 v69, v104, v68, -v69
	v_fmac_f32_e32 v65, v105, v68
	v_mul_f32_e32 v68, v109, v73
	v_fma_f32 v70, v106, v70, -v71
	v_mul_f32_e32 v71, v111, v75
	v_dual_add_f32 v69, 0, v69 :: v_dual_fmac_f32 v142, v109, v72
	s_delay_alu instid0(VALU_DEP_4) | instskip(SKIP_2) | instid1(VALU_DEP_3)
	v_fma_f32 v68, v108, v72, -v68
	s_wait_loadcnt_dscnt 0x706
	v_dual_mul_f32 v144, v112, v77 :: v_dual_mul_f32 v145, v114, v79
	v_add_f32_e32 v69, v69, v70
	v_fmac_f32_e32 v143, v111, v74
	v_fma_f32 v70, v110, v74, -v71
	s_wait_loadcnt_dscnt 0x605
	v_dual_mul_f32 v146, v116, v81 :: v_dual_mul_f32 v147, v118, v83
	v_dual_add_f32 v68, v69, v68 :: v_dual_mul_f32 v69, v115, v79
	v_fmac_f32_e32 v144, v113, v76
	s_wait_loadcnt_dscnt 0x504
	v_dual_mul_f32 v148, v120, v85 :: v_dual_mul_f32 v149, v122, v87
	s_delay_alu instid0(VALU_DEP_3) | instskip(SKIP_3) | instid1(VALU_DEP_4)
	v_dual_add_f32 v68, v68, v70 :: v_dual_add_f32 v65, 0, v65
	v_mul_f32_e32 v70, v117, v81
	v_fma_f32 v69, v114, v78, -v69
	v_dual_fmac_f32 v145, v115, v78 :: v_dual_fmac_f32 v146, v117, v80
	v_add_f32_e32 v65, v65, v66
	v_mul_f32_e32 v66, v113, v77
	v_fma_f32 v70, v116, v80, -v70
	v_dual_fmac_f32 v147, v119, v82 :: v_dual_fmac_f32 v148, v121, v84
	s_wait_loadcnt_dscnt 0x403
	v_dual_mul_f32 v150, v124, v89 :: v_dual_mul_f32 v151, v126, v91
	v_fma_f32 v66, v112, v76, -v66
	s_wait_loadcnt_dscnt 0x302
	v_dual_mul_f32 v152, v128, v93 :: v_dual_mul_f32 v153, v130, v95
	s_wait_loadcnt_dscnt 0x201
	v_dual_mul_f32 v154, v132, v97 :: v_dual_mul_f32 v155, v134, v99
	v_add_f32_e32 v66, v68, v66
	v_mul_f32_e32 v68, v119, v83
	v_dual_fmac_f32 v152, v129, v92 :: v_dual_fmac_f32 v153, v131, v94
	s_delay_alu instid0(VALU_DEP_4) | instskip(NEXT) | instid1(VALU_DEP_4)
	v_dual_fmac_f32 v154, v133, v96 :: v_dual_fmac_f32 v155, v135, v98
	v_dual_add_f32 v66, v66, v69 :: v_dual_add_f32 v65, v65, v142
	v_mul_f32_e32 v69, v121, v85
	v_fma_f32 v68, v118, v82, -v68
	v_fmac_f32_e32 v149, v123, v86
	s_delay_alu instid0(VALU_DEP_4)
	v_add_f32_e32 v66, v66, v70
	v_mul_f32_e32 v70, v123, v87
	v_add_f32_e32 v65, v65, v143
	v_fma_f32 v69, v120, v84, -v69
	v_fmac_f32_e32 v150, v125, v88
	v_add_f32_e32 v66, v66, v68
	v_mul_f32_e32 v68, v125, v89
	v_add_f32_e32 v65, v65, v144
	v_fma_f32 v70, v122, v86, -v70
	s_delay_alu instid0(VALU_DEP_4) | instskip(SKIP_1) | instid1(VALU_DEP_4)
	v_dual_fmac_f32 v151, v127, v90 :: v_dual_add_f32 v66, v66, v69
	v_mul_f32_e32 v69, v127, v91
	v_add_f32_e32 v65, v65, v145
	v_fma_f32 v68, v124, v88, -v68
	s_wait_loadcnt_dscnt 0x100
	v_dual_mul_f32 v156, v136, v101 :: v_dual_mul_f32 v157, v138, v103
	v_add_f32_e32 v66, v66, v70
	v_add_f32_e32 v65, v65, v146
	v_fma_f32 v69, v126, v90, -v69
	v_mul_f32_e32 v70, v129, v93
	v_dual_fmac_f32 v156, v137, v100 :: v_dual_fmac_f32 v157, v139, v102
	s_delay_alu instid0(VALU_DEP_4) | instskip(SKIP_1) | instid1(VALU_DEP_4)
	v_dual_add_f32 v66, v66, v68 :: v_dual_add_f32 v65, v65, v147
	v_mul_f32_e32 v68, v131, v95
	v_fma_f32 v70, v128, v92, -v70
	s_delay_alu instid0(VALU_DEP_3) | instskip(SKIP_1) | instid1(VALU_DEP_4)
	v_dual_add_f32 v66, v66, v69 :: v_dual_add_f32 v65, v65, v148
	v_mul_f32_e32 v69, v133, v97
	v_fma_f32 v68, v130, v94, -v68
	s_delay_alu instid0(VALU_DEP_3) | instskip(SKIP_1) | instid1(VALU_DEP_4)
	v_dual_add_f32 v66, v66, v70 :: v_dual_add_f32 v65, v65, v149
	v_mul_f32_e32 v70, v135, v99
	v_fma_f32 v69, v132, v96, -v69
	s_delay_alu instid0(VALU_DEP_3) | instskip(SKIP_1) | instid1(VALU_DEP_4)
	v_dual_add_f32 v66, v66, v68 :: v_dual_add_f32 v65, v65, v150
	v_mul_f32_e32 v68, v137, v101
	v_fma_f32 v70, v134, v98, -v70
	s_delay_alu instid0(VALU_DEP_3) | instskip(SKIP_1) | instid1(VALU_DEP_4)
	v_dual_add_f32 v66, v66, v69 :: v_dual_add_f32 v65, v65, v151
	v_mul_f32_e32 v69, v139, v103
	v_fma_f32 v68, v136, v100, -v68
	s_delay_alu instid0(VALU_DEP_3) | instskip(NEXT) | instid1(VALU_DEP_3)
	v_dual_add_f32 v66, v66, v70 :: v_dual_add_f32 v65, v65, v152
	v_fma_f32 v69, v138, v102, -v69
	s_delay_alu instid0(VALU_DEP_2) | instskip(NEXT) | instid1(VALU_DEP_1)
	v_dual_add_f32 v66, v66, v68 :: v_dual_add_f32 v65, v65, v153
	v_dual_add_f32 v66, v66, v69 :: v_dual_add_f32 v65, v65, v154
	s_delay_alu instid0(VALU_DEP_1) | instskip(NEXT) | instid1(VALU_DEP_1)
	v_add_f32_e32 v65, v65, v155
	v_add_f32_e32 v65, v65, v156
	s_wait_loadcnt 0x0
	s_delay_alu instid0(VALU_DEP_1) | instskip(NEXT) | instid1(VALU_DEP_1)
	v_dual_add_f32 v68, v65, v157 :: v_dual_sub_f32 v65, v140, v66
	v_sub_f32_e32 v66, v141, v68
	scratch_store_b64 off, v[65:66], off offset:104
	v_cmpx_lt_u32_e32 12, v0
	s_cbranch_execz .LBB31_181
; %bb.180:
	scratch_load_b64 v[65:66], off, off offset:96
	v_mov_b32_e32 v68, 0
	s_delay_alu instid0(VALU_DEP_1)
	v_mov_b32_e32 v69, v68
	scratch_store_b64 off, v[68:69], off offset:96
	s_wait_loadcnt 0x0
	ds_store_b64 v67, v[65:66]
.LBB31_181:
	s_wait_alu 0xfffe
	s_or_b32 exec_lo, exec_lo, s0
	s_wait_storecnt_dscnt 0x0
	s_barrier_signal -1
	s_barrier_wait -1
	global_inv scope:SCOPE_SE
	s_clause 0xa
	scratch_load_b128 v[68:71], off, off offset:104
	scratch_load_b128 v[72:75], off, off offset:120
	;; [unrolled: 1-line block ×9, first 2 shown]
	scratch_load_b64 v[140:141], off, off offset:248
	scratch_load_b64 v[142:143], off, off offset:96
	v_mov_b32_e32 v65, 0
	ds_load_2addr_b64 v[104:107], v65 offset0:45 offset1:46
	ds_load_2addr_b64 v[108:111], v65 offset0:47 offset1:48
	;; [unrolled: 1-line block ×9, first 2 shown]
	ds_load_b64 v[144:145], v65 offset:504
	s_mov_b32 s0, exec_lo
	s_wait_loadcnt_dscnt 0xa09
	v_mul_f32_e32 v66, v104, v69
	s_wait_loadcnt_dscnt 0x908
	v_dual_mul_f32 v146, v106, v71 :: v_dual_mul_f32 v147, v108, v73
	v_mul_f32_e32 v69, v105, v69
	s_delay_alu instid0(VALU_DEP_3)
	v_dual_mul_f32 v71, v107, v71 :: v_dual_fmac_f32 v66, v105, v68
	s_wait_loadcnt_dscnt 0x807
	v_dual_mul_f32 v148, v110, v75 :: v_dual_mul_f32 v149, v112, v77
	s_wait_loadcnt_dscnt 0x100
	v_dual_mul_f32 v160, v134, v99 :: v_dual_mul_f32 v163, v144, v141
	v_fma_f32 v69, v104, v68, -v69
	v_mul_f32_e32 v68, v109, v73
	v_fmac_f32_e32 v146, v107, v70
	v_fma_f32 v70, v106, v70, -v71
	v_dual_add_f32 v66, 0, v66 :: v_dual_mul_f32 v71, v111, v75
	v_add_f32_e32 v69, 0, v69
	v_fmac_f32_e32 v147, v109, v72
	v_fma_f32 v68, v108, v72, -v68
	s_delay_alu instid0(VALU_DEP_4)
	v_add_f32_e32 v66, v66, v146
	v_fma_f32 v71, v110, v74, -v71
	v_add_f32_e32 v69, v69, v70
	v_mul_f32_e32 v70, v113, v77
	v_dual_mul_f32 v152, v118, v83 :: v_dual_mul_f32 v153, v120, v85
	v_add_f32_e32 v66, v66, v147
	s_delay_alu instid0(VALU_DEP_4) | instskip(NEXT) | instid1(VALU_DEP_4)
	v_dual_add_f32 v68, v69, v68 :: v_dual_mul_f32 v69, v115, v79
	v_fma_f32 v70, v112, v76, -v70
	v_dual_mul_f32 v154, v122, v87 :: v_dual_mul_f32 v155, v124, v89
	s_delay_alu instid0(VALU_DEP_3) | instskip(NEXT) | instid1(VALU_DEP_4)
	v_dual_add_f32 v68, v68, v71 :: v_dual_mul_f32 v71, v117, v81
	v_fma_f32 v69, v114, v78, -v69
	v_dual_mul_f32 v156, v126, v91 :: v_dual_mul_f32 v157, v128, v93
	s_delay_alu instid0(VALU_DEP_3) | instskip(SKIP_3) | instid1(VALU_DEP_4)
	v_dual_add_f32 v68, v68, v70 :: v_dual_fmac_f32 v153, v121, v84
	v_dual_fmac_f32 v148, v111, v74 :: v_dual_fmac_f32 v149, v113, v76
	v_dual_mul_f32 v70, v119, v83 :: v_dual_fmac_f32 v155, v125, v88
	v_fma_f32 v71, v116, v80, -v71
	v_dual_add_f32 v68, v68, v69 :: v_dual_fmac_f32 v157, v129, v92
	v_dual_mul_f32 v158, v130, v95 :: v_dual_mul_f32 v159, v132, v97
	v_dual_add_f32 v66, v66, v148 :: v_dual_mul_f32 v69, v121, v85
	v_fma_f32 v70, v118, v82, -v70
	s_delay_alu instid0(VALU_DEP_3) | instskip(SKIP_1) | instid1(VALU_DEP_4)
	v_dual_add_f32 v68, v68, v71 :: v_dual_fmac_f32 v159, v133, v96
	v_mul_f32_e32 v71, v123, v87
	v_fma_f32 v69, v120, v84, -v69
	v_dual_mul_f32 v150, v114, v79 :: v_dual_mul_f32 v151, v116, v81
	s_delay_alu instid0(VALU_DEP_4) | instskip(SKIP_2) | instid1(VALU_DEP_4)
	v_add_f32_e32 v68, v68, v70
	v_mul_f32_e32 v70, v125, v89
	v_fma_f32 v71, v122, v86, -v71
	v_dual_fmac_f32 v150, v115, v78 :: v_dual_fmac_f32 v151, v117, v80
	s_delay_alu instid0(VALU_DEP_4) | instskip(SKIP_2) | instid1(VALU_DEP_3)
	v_dual_add_f32 v68, v68, v69 :: v_dual_fmac_f32 v163, v145, v140
	v_dual_add_f32 v66, v66, v149 :: v_dual_mul_f32 v69, v127, v91
	v_fma_f32 v70, v124, v88, -v70
	v_dual_add_f32 v68, v68, v71 :: v_dual_mul_f32 v71, v129, v93
	s_delay_alu instid0(VALU_DEP_3) | instskip(NEXT) | instid1(VALU_DEP_4)
	v_add_f32_e32 v66, v66, v150
	v_fma_f32 v69, v126, v90, -v69
	v_dual_mul_f32 v161, v136, v101 :: v_dual_mul_f32 v162, v138, v103
	s_delay_alu instid0(VALU_DEP_4)
	v_add_f32_e32 v68, v68, v70
	v_mul_f32_e32 v70, v131, v95
	v_fma_f32 v71, v128, v92, -v71
	v_fmac_f32_e32 v152, v119, v82
	v_dual_add_f32 v66, v66, v151 :: v_dual_fmac_f32 v161, v137, v100
	v_add_f32_e32 v68, v68, v69
	v_mul_f32_e32 v69, v133, v97
	v_fma_f32 v70, v130, v94, -v70
	s_delay_alu instid0(VALU_DEP_4)
	v_add_f32_e32 v66, v66, v152
	v_fmac_f32_e32 v154, v123, v86
	v_add_f32_e32 v68, v68, v71
	v_mul_f32_e32 v71, v135, v99
	v_fma_f32 v69, v132, v96, -v69
	v_fmac_f32_e32 v156, v127, v90
	v_fmac_f32_e32 v158, v131, v94
	v_add_f32_e32 v68, v68, v70
	v_fma_f32 v71, v134, v98, -v71
	v_mul_f32_e32 v70, v137, v101
	v_fmac_f32_e32 v160, v135, v98
	v_fmac_f32_e32 v162, v139, v102
	v_dual_add_f32 v68, v68, v69 :: v_dual_mul_f32 v69, v139, v103
	v_add_f32_e32 v66, v66, v153
	v_fma_f32 v70, v136, v100, -v70
	s_delay_alu instid0(VALU_DEP_3) | instskip(NEXT) | instid1(VALU_DEP_3)
	v_dual_add_f32 v68, v68, v71 :: v_dual_mul_f32 v71, v145, v141
	v_add_f32_e32 v66, v66, v154
	v_fma_f32 v69, v138, v102, -v69
	s_delay_alu instid0(VALU_DEP_3) | instskip(NEXT) | instid1(VALU_DEP_4)
	v_add_f32_e32 v68, v68, v70
	v_fma_f32 v70, v144, v140, -v71
	s_delay_alu instid0(VALU_DEP_4) | instskip(NEXT) | instid1(VALU_DEP_3)
	v_add_f32_e32 v66, v66, v155
	v_add_f32_e32 v68, v68, v69
	s_delay_alu instid0(VALU_DEP_2) | instskip(NEXT) | instid1(VALU_DEP_2)
	v_add_f32_e32 v66, v66, v156
	v_add_f32_e32 v68, v68, v70
	s_delay_alu instid0(VALU_DEP_2) | instskip(SKIP_1) | instid1(VALU_DEP_2)
	v_add_f32_e32 v66, v66, v157
	s_wait_loadcnt 0x0
	v_sub_f32_e32 v68, v142, v68
	s_delay_alu instid0(VALU_DEP_2) | instskip(NEXT) | instid1(VALU_DEP_1)
	v_add_f32_e32 v66, v66, v158
	v_add_f32_e32 v66, v66, v159
	s_delay_alu instid0(VALU_DEP_1) | instskip(NEXT) | instid1(VALU_DEP_1)
	v_add_f32_e32 v66, v66, v160
	v_add_f32_e32 v66, v66, v161
	s_delay_alu instid0(VALU_DEP_1) | instskip(NEXT) | instid1(VALU_DEP_1)
	v_add_f32_e32 v66, v66, v162
	v_add_f32_e32 v66, v66, v163
	s_delay_alu instid0(VALU_DEP_1)
	v_sub_f32_e32 v69, v143, v66
	scratch_store_b64 off, v[68:69], off offset:96
	v_cmpx_lt_u32_e32 11, v0
	s_cbranch_execz .LBB31_183
; %bb.182:
	scratch_load_b64 v[68:69], off, off offset:88
	v_mov_b32_e32 v66, v65
	scratch_store_b64 off, v[65:66], off offset:88
	s_wait_loadcnt 0x0
	ds_store_b64 v67, v[68:69]
.LBB31_183:
	s_wait_alu 0xfffe
	s_or_b32 exec_lo, exec_lo, s0
	s_wait_storecnt_dscnt 0x0
	s_barrier_signal -1
	s_barrier_wait -1
	global_inv scope:SCOPE_SE
	s_clause 0xa
	scratch_load_b128 v[68:71], off, off offset:96
	scratch_load_b128 v[72:75], off, off offset:112
	scratch_load_b128 v[76:79], off, off offset:128
	scratch_load_b128 v[80:83], off, off offset:144
	scratch_load_b128 v[84:87], off, off offset:160
	scratch_load_b128 v[88:91], off, off offset:176
	scratch_load_b128 v[92:95], off, off offset:192
	scratch_load_b128 v[96:99], off, off offset:208
	scratch_load_b128 v[100:103], off, off offset:224
	scratch_load_b128 v[104:107], off, off offset:240
	scratch_load_b64 v[148:149], off, off offset:88
	ds_load_b128 v[108:111], v65 offset:352
	ds_load_b128 v[112:115], v65 offset:368
	;; [unrolled: 1-line block ×10, first 2 shown]
	s_mov_b32 s0, exec_lo
	s_wait_loadcnt_dscnt 0xa09
	v_dual_mul_f32 v65, v108, v69 :: v_dual_mul_f32 v66, v110, v71
	v_mul_f32_e32 v69, v109, v69
	s_wait_loadcnt_dscnt 0x908
	v_dual_mul_f32 v71, v111, v71 :: v_dual_mul_f32 v150, v112, v73
	s_delay_alu instid0(VALU_DEP_3) | instskip(NEXT) | instid1(VALU_DEP_3)
	v_dual_mul_f32 v151, v114, v75 :: v_dual_fmac_f32 v66, v111, v70
	v_fma_f32 v69, v108, v68, -v69
	v_fmac_f32_e32 v65, v109, v68
	v_mul_f32_e32 v68, v113, v73
	v_fma_f32 v70, v110, v70, -v71
	v_mul_f32_e32 v71, v115, v75
	v_dual_add_f32 v69, 0, v69 :: v_dual_fmac_f32 v150, v113, v72
	s_delay_alu instid0(VALU_DEP_4) | instskip(SKIP_2) | instid1(VALU_DEP_3)
	v_fma_f32 v68, v112, v72, -v68
	s_wait_loadcnt_dscnt 0x807
	v_dual_mul_f32 v152, v116, v77 :: v_dual_mul_f32 v153, v118, v79
	v_add_f32_e32 v69, v69, v70
	v_fmac_f32_e32 v151, v115, v74
	v_fma_f32 v70, v114, v74, -v71
	s_wait_loadcnt_dscnt 0x706
	v_dual_mul_f32 v154, v120, v81 :: v_dual_mul_f32 v155, v122, v83
	v_dual_add_f32 v68, v69, v68 :: v_dual_mul_f32 v69, v119, v79
	v_fmac_f32_e32 v152, v117, v76
	s_wait_loadcnt_dscnt 0x605
	v_dual_mul_f32 v156, v124, v85 :: v_dual_mul_f32 v157, v126, v87
	s_delay_alu instid0(VALU_DEP_3) | instskip(SKIP_3) | instid1(VALU_DEP_4)
	v_dual_add_f32 v68, v68, v70 :: v_dual_add_f32 v65, 0, v65
	v_mul_f32_e32 v70, v121, v81
	v_fma_f32 v69, v118, v78, -v69
	v_dual_fmac_f32 v153, v119, v78 :: v_dual_fmac_f32 v154, v121, v80
	v_add_f32_e32 v65, v65, v66
	v_mul_f32_e32 v66, v117, v77
	v_fma_f32 v70, v120, v80, -v70
	v_dual_fmac_f32 v155, v123, v82 :: v_dual_fmac_f32 v156, v125, v84
	s_wait_loadcnt_dscnt 0x504
	v_dual_mul_f32 v158, v128, v89 :: v_dual_mul_f32 v159, v130, v91
	v_fma_f32 v66, v116, v76, -v66
	s_wait_loadcnt_dscnt 0x403
	v_dual_mul_f32 v160, v132, v93 :: v_dual_mul_f32 v161, v134, v95
	s_wait_loadcnt_dscnt 0x302
	v_dual_mul_f32 v162, v136, v97 :: v_dual_mul_f32 v163, v138, v99
	v_add_f32_e32 v66, v68, v66
	v_mul_f32_e32 v68, v123, v83
	v_dual_fmac_f32 v160, v133, v92 :: v_dual_fmac_f32 v161, v135, v94
	s_delay_alu instid0(VALU_DEP_4) | instskip(NEXT) | instid1(VALU_DEP_4)
	v_dual_fmac_f32 v162, v137, v96 :: v_dual_fmac_f32 v163, v139, v98
	v_dual_add_f32 v66, v66, v69 :: v_dual_add_f32 v65, v65, v150
	v_mul_f32_e32 v69, v125, v85
	v_fma_f32 v68, v122, v82, -v68
	v_fmac_f32_e32 v157, v127, v86
	s_delay_alu instid0(VALU_DEP_4)
	v_add_f32_e32 v66, v66, v70
	v_mul_f32_e32 v70, v127, v87
	v_add_f32_e32 v65, v65, v151
	v_fma_f32 v69, v124, v84, -v69
	v_fmac_f32_e32 v158, v129, v88
	v_add_f32_e32 v66, v66, v68
	v_mul_f32_e32 v68, v129, v89
	v_add_f32_e32 v65, v65, v152
	v_fma_f32 v70, v126, v86, -v70
	s_delay_alu instid0(VALU_DEP_4) | instskip(SKIP_1) | instid1(VALU_DEP_4)
	v_dual_fmac_f32 v159, v131, v90 :: v_dual_add_f32 v66, v66, v69
	v_mul_f32_e32 v69, v131, v91
	v_add_f32_e32 v65, v65, v153
	v_fma_f32 v68, v128, v88, -v68
	s_wait_loadcnt_dscnt 0x201
	v_dual_mul_f32 v164, v140, v101 :: v_dual_mul_f32 v165, v142, v103
	v_add_f32_e32 v66, v66, v70
	v_add_f32_e32 v65, v65, v154
	v_fma_f32 v69, v130, v90, -v69
	v_mul_f32_e32 v70, v133, v93
	s_wait_loadcnt_dscnt 0x100
	v_dual_mul_f32 v166, v144, v105 :: v_dual_mul_f32 v167, v146, v107
	v_dual_add_f32 v66, v66, v68 :: v_dual_add_f32 v65, v65, v155
	v_mul_f32_e32 v68, v135, v95
	v_fma_f32 v70, v132, v92, -v70
	v_dual_fmac_f32 v164, v141, v100 :: v_dual_fmac_f32 v165, v143, v102
	s_delay_alu instid0(VALU_DEP_4) | instskip(SKIP_3) | instid1(VALU_DEP_4)
	v_dual_add_f32 v66, v66, v69 :: v_dual_add_f32 v65, v65, v156
	v_mul_f32_e32 v69, v137, v97
	v_fma_f32 v68, v134, v94, -v68
	v_fmac_f32_e32 v167, v147, v106
	v_dual_add_f32 v66, v66, v70 :: v_dual_add_f32 v65, v65, v157
	v_mul_f32_e32 v70, v139, v99
	v_fma_f32 v69, v136, v96, -v69
	s_delay_alu instid0(VALU_DEP_3) | instskip(SKIP_1) | instid1(VALU_DEP_4)
	v_dual_add_f32 v66, v66, v68 :: v_dual_add_f32 v65, v65, v158
	v_mul_f32_e32 v68, v141, v101
	v_fma_f32 v70, v138, v98, -v70
	s_delay_alu instid0(VALU_DEP_3) | instskip(SKIP_1) | instid1(VALU_DEP_4)
	;; [unrolled: 4-line block ×4, first 2 shown]
	v_dual_add_f32 v66, v66, v68 :: v_dual_add_f32 v65, v65, v161
	v_mul_f32_e32 v68, v147, v107
	v_fma_f32 v70, v144, v104, -v70
	s_delay_alu instid0(VALU_DEP_3) | instskip(NEXT) | instid1(VALU_DEP_3)
	v_dual_add_f32 v66, v66, v69 :: v_dual_add_f32 v65, v65, v162
	v_fma_f32 v68, v146, v106, -v68
	s_delay_alu instid0(VALU_DEP_2) | instskip(NEXT) | instid1(VALU_DEP_1)
	v_dual_add_f32 v66, v66, v70 :: v_dual_add_f32 v65, v65, v163
	v_add_f32_e32 v66, v66, v68
	s_delay_alu instid0(VALU_DEP_2) | instskip(SKIP_1) | instid1(VALU_DEP_2)
	v_add_f32_e32 v65, v65, v164
	v_fmac_f32_e32 v166, v145, v104
	v_add_f32_e32 v65, v65, v165
	s_delay_alu instid0(VALU_DEP_1) | instskip(SKIP_1) | instid1(VALU_DEP_1)
	v_add_f32_e32 v65, v65, v166
	s_wait_loadcnt 0x0
	v_dual_add_f32 v68, v65, v167 :: v_dual_sub_f32 v65, v148, v66
	s_delay_alu instid0(VALU_DEP_1)
	v_sub_f32_e32 v66, v149, v68
	scratch_store_b64 off, v[65:66], off offset:88
	v_cmpx_lt_u32_e32 10, v0
	s_cbranch_execz .LBB31_185
; %bb.184:
	scratch_load_b64 v[65:66], off, off offset:80
	v_mov_b32_e32 v68, 0
	s_delay_alu instid0(VALU_DEP_1)
	v_mov_b32_e32 v69, v68
	scratch_store_b64 off, v[68:69], off offset:80
	s_wait_loadcnt 0x0
	ds_store_b64 v67, v[65:66]
.LBB31_185:
	s_wait_alu 0xfffe
	s_or_b32 exec_lo, exec_lo, s0
	s_wait_storecnt_dscnt 0x0
	s_barrier_signal -1
	s_barrier_wait -1
	global_inv scope:SCOPE_SE
	s_clause 0xb
	scratch_load_b128 v[68:71], off, off offset:88
	scratch_load_b128 v[72:75], off, off offset:104
	;; [unrolled: 1-line block ×10, first 2 shown]
	scratch_load_b64 v[148:149], off, off offset:248
	scratch_load_b64 v[150:151], off, off offset:80
	v_mov_b32_e32 v65, 0
	ds_load_2addr_b64 v[108:111], v65 offset0:43 offset1:44
	ds_load_2addr_b64 v[112:115], v65 offset0:45 offset1:46
	;; [unrolled: 1-line block ×10, first 2 shown]
	ds_load_b64 v[152:153], v65 offset:504
	s_mov_b32 s0, exec_lo
	s_wait_loadcnt_dscnt 0xb0a
	v_mul_f32_e32 v66, v108, v69
	s_wait_loadcnt_dscnt 0xa09
	v_dual_mul_f32 v154, v110, v71 :: v_dual_mul_f32 v155, v112, v73
	v_mul_f32_e32 v71, v111, v71
	v_dual_mul_f32 v69, v109, v69 :: v_dual_mul_f32 v156, v114, v75
	s_wait_loadcnt_dscnt 0x908
	v_dual_mul_f32 v157, v116, v77 :: v_dual_fmac_f32 v66, v109, v68
	s_wait_loadcnt_dscnt 0x302
	v_mul_f32_e32 v170, v142, v103
	v_fma_f32 v69, v108, v68, -v69
	s_wait_loadcnt_dscnt 0x100
	v_mul_f32_e32 v173, v152, v149
	v_mul_f32_e32 v68, v113, v73
	v_fmac_f32_e32 v154, v111, v70
	v_fma_f32 v70, v110, v70, -v71
	v_dual_add_f32 v69, 0, v69 :: v_dual_add_f32 v66, 0, v66
	v_mul_f32_e32 v71, v115, v75
	v_fmac_f32_e32 v155, v113, v72
	v_fma_f32 v68, v112, v72, -v68
	v_dual_mul_f32 v160, v122, v83 :: v_dual_mul_f32 v161, v124, v85
	v_add_f32_e32 v66, v66, v154
	v_add_f32_e32 v69, v69, v70
	v_mul_f32_e32 v70, v117, v77
	v_fma_f32 v71, v114, v74, -v71
	v_dual_mul_f32 v162, v126, v87 :: v_dual_mul_f32 v163, v128, v89
	v_add_f32_e32 v66, v66, v155
	v_dual_add_f32 v68, v69, v68 :: v_dual_mul_f32 v69, v119, v79
	v_fma_f32 v70, v116, v76, -v70
	v_dual_mul_f32 v164, v130, v91 :: v_dual_mul_f32 v165, v132, v93
	s_delay_alu instid0(VALU_DEP_3) | instskip(NEXT) | instid1(VALU_DEP_4)
	v_dual_add_f32 v68, v68, v71 :: v_dual_mul_f32 v71, v121, v81
	v_fma_f32 v69, v118, v78, -v69
	v_dual_fmac_f32 v156, v115, v74 :: v_dual_fmac_f32 v157, v117, v76
	s_delay_alu instid0(VALU_DEP_3) | instskip(SKIP_2) | instid1(VALU_DEP_3)
	v_dual_add_f32 v68, v68, v70 :: v_dual_fmac_f32 v161, v125, v84
	v_dual_mul_f32 v70, v123, v83 :: v_dual_fmac_f32 v163, v129, v88
	v_fma_f32 v71, v120, v80, -v71
	v_dual_add_f32 v68, v68, v69 :: v_dual_fmac_f32 v165, v133, v92
	v_dual_mul_f32 v166, v134, v95 :: v_dual_mul_f32 v167, v136, v97
	v_dual_add_f32 v66, v66, v156 :: v_dual_mul_f32 v69, v125, v85
	v_fma_f32 v70, v122, v82, -v70
	s_delay_alu instid0(VALU_DEP_3) | instskip(SKIP_1) | instid1(VALU_DEP_4)
	v_dual_add_f32 v68, v68, v71 :: v_dual_fmac_f32 v167, v137, v96
	v_mul_f32_e32 v71, v127, v87
	v_fma_f32 v69, v124, v84, -v69
	v_dual_mul_f32 v158, v118, v79 :: v_dual_mul_f32 v159, v120, v81
	s_delay_alu instid0(VALU_DEP_4) | instskip(SKIP_3) | instid1(VALU_DEP_3)
	v_add_f32_e32 v68, v68, v70
	v_dual_mul_f32 v171, v144, v105 :: v_dual_mul_f32 v172, v146, v107
	v_mul_f32_e32 v70, v129, v89
	v_fma_f32 v71, v126, v86, -v71
	v_dual_add_f32 v68, v68, v69 :: v_dual_fmac_f32 v171, v145, v104
	v_dual_fmac_f32 v158, v119, v78 :: v_dual_fmac_f32 v159, v121, v80
	v_dual_add_f32 v66, v66, v157 :: v_dual_mul_f32 v69, v131, v91
	v_fma_f32 v70, v128, v88, -v70
	s_delay_alu instid0(VALU_DEP_4) | instskip(NEXT) | instid1(VALU_DEP_3)
	v_dual_add_f32 v68, v68, v71 :: v_dual_mul_f32 v71, v133, v93
	v_add_f32_e32 v66, v66, v158
	s_delay_alu instid0(VALU_DEP_4) | instskip(SKIP_1) | instid1(VALU_DEP_4)
	v_fma_f32 v69, v130, v90, -v69
	v_dual_mul_f32 v168, v138, v99 :: v_dual_mul_f32 v169, v140, v101
	v_add_f32_e32 v68, v68, v70
	v_mul_f32_e32 v70, v135, v95
	v_fma_f32 v71, v132, v92, -v71
	v_fmac_f32_e32 v160, v123, v82
	v_dual_add_f32 v66, v66, v159 :: v_dual_fmac_f32 v169, v141, v100
	v_add_f32_e32 v68, v68, v69
	v_mul_f32_e32 v69, v137, v97
	v_fma_f32 v70, v134, v94, -v70
	s_delay_alu instid0(VALU_DEP_4)
	v_add_f32_e32 v66, v66, v160
	v_fmac_f32_e32 v162, v127, v86
	v_add_f32_e32 v68, v68, v71
	v_mul_f32_e32 v71, v139, v99
	v_fma_f32 v69, v136, v96, -v69
	v_dual_fmac_f32 v173, v153, v148 :: v_dual_fmac_f32 v164, v131, v90
	s_delay_alu instid0(VALU_DEP_4) | instskip(NEXT) | instid1(VALU_DEP_4)
	v_add_f32_e32 v68, v68, v70
	v_fma_f32 v71, v138, v98, -v71
	v_fmac_f32_e32 v166, v135, v94
	v_mul_f32_e32 v70, v141, v101
	v_fmac_f32_e32 v168, v139, v98
	v_dual_add_f32 v68, v68, v69 :: v_dual_mul_f32 v69, v143, v103
	v_add_f32_e32 v66, v66, v161
	s_delay_alu instid0(VALU_DEP_4) | instskip(SKIP_1) | instid1(VALU_DEP_4)
	v_fma_f32 v70, v140, v100, -v70
	v_fmac_f32_e32 v170, v143, v102
	v_dual_add_f32 v68, v68, v71 :: v_dual_mul_f32 v71, v145, v105
	s_delay_alu instid0(VALU_DEP_4) | instskip(SKIP_2) | instid1(VALU_DEP_4)
	v_add_f32_e32 v66, v66, v162
	v_fma_f32 v69, v142, v102, -v69
	v_fmac_f32_e32 v172, v147, v106
	v_add_f32_e32 v68, v68, v70
	v_mul_f32_e32 v70, v147, v107
	v_add_f32_e32 v66, v66, v163
	v_fma_f32 v71, v144, v104, -v71
	s_delay_alu instid0(VALU_DEP_4) | instskip(NEXT) | instid1(VALU_DEP_3)
	v_add_f32_e32 v68, v68, v69
	v_dual_mul_f32 v69, v153, v149 :: v_dual_add_f32 v66, v66, v164
	v_fma_f32 v70, v146, v106, -v70
	s_delay_alu instid0(VALU_DEP_3) | instskip(NEXT) | instid1(VALU_DEP_3)
	v_add_f32_e32 v68, v68, v71
	v_fma_f32 v69, v152, v148, -v69
	s_delay_alu instid0(VALU_DEP_4) | instskip(NEXT) | instid1(VALU_DEP_3)
	v_add_f32_e32 v66, v66, v165
	v_add_f32_e32 v68, v68, v70
	s_delay_alu instid0(VALU_DEP_2) | instskip(NEXT) | instid1(VALU_DEP_2)
	v_add_f32_e32 v66, v66, v166
	v_add_f32_e32 v68, v68, v69
	s_delay_alu instid0(VALU_DEP_2) | instskip(SKIP_1) | instid1(VALU_DEP_2)
	v_add_f32_e32 v66, v66, v167
	s_wait_loadcnt 0x0
	v_sub_f32_e32 v68, v150, v68
	s_delay_alu instid0(VALU_DEP_2) | instskip(NEXT) | instid1(VALU_DEP_1)
	v_add_f32_e32 v66, v66, v168
	v_add_f32_e32 v66, v66, v169
	s_delay_alu instid0(VALU_DEP_1) | instskip(NEXT) | instid1(VALU_DEP_1)
	v_add_f32_e32 v66, v66, v170
	v_add_f32_e32 v66, v66, v171
	s_delay_alu instid0(VALU_DEP_1) | instskip(NEXT) | instid1(VALU_DEP_1)
	v_add_f32_e32 v66, v66, v172
	v_add_f32_e32 v66, v66, v173
	s_delay_alu instid0(VALU_DEP_1)
	v_sub_f32_e32 v69, v151, v66
	scratch_store_b64 off, v[68:69], off offset:80
	v_cmpx_lt_u32_e32 9, v0
	s_cbranch_execz .LBB31_187
; %bb.186:
	scratch_load_b64 v[68:69], off, off offset:72
	v_mov_b32_e32 v66, v65
	scratch_store_b64 off, v[65:66], off offset:72
	s_wait_loadcnt 0x0
	ds_store_b64 v67, v[68:69]
.LBB31_187:
	s_wait_alu 0xfffe
	s_or_b32 exec_lo, exec_lo, s0
	s_wait_storecnt_dscnt 0x0
	s_barrier_signal -1
	s_barrier_wait -1
	global_inv scope:SCOPE_SE
	s_clause 0xb
	scratch_load_b128 v[68:71], off, off offset:80
	scratch_load_b128 v[72:75], off, off offset:96
	;; [unrolled: 1-line block ×11, first 2 shown]
	scratch_load_b64 v[156:157], off, off offset:72
	ds_load_b128 v[112:115], v65 offset:336
	ds_load_b128 v[116:119], v65 offset:352
	;; [unrolled: 1-line block ×11, first 2 shown]
	s_mov_b32 s0, exec_lo
	s_wait_loadcnt_dscnt 0xb0a
	v_dual_mul_f32 v65, v112, v69 :: v_dual_mul_f32 v66, v114, v71
	v_mul_f32_e32 v69, v113, v69
	s_wait_loadcnt_dscnt 0xa09
	v_dual_mul_f32 v71, v115, v71 :: v_dual_mul_f32 v158, v116, v73
	s_delay_alu instid0(VALU_DEP_3) | instskip(NEXT) | instid1(VALU_DEP_3)
	v_dual_mul_f32 v159, v118, v75 :: v_dual_fmac_f32 v66, v115, v70
	v_fma_f32 v69, v112, v68, -v69
	v_fmac_f32_e32 v65, v113, v68
	v_mul_f32_e32 v68, v117, v73
	v_fma_f32 v70, v114, v70, -v71
	v_mul_f32_e32 v71, v119, v75
	v_dual_add_f32 v69, 0, v69 :: v_dual_fmac_f32 v158, v117, v72
	s_delay_alu instid0(VALU_DEP_4) | instskip(SKIP_2) | instid1(VALU_DEP_3)
	v_fma_f32 v68, v116, v72, -v68
	s_wait_loadcnt_dscnt 0x908
	v_dual_mul_f32 v160, v120, v77 :: v_dual_mul_f32 v161, v122, v79
	v_add_f32_e32 v69, v69, v70
	v_fmac_f32_e32 v159, v119, v74
	v_fma_f32 v70, v118, v74, -v71
	s_wait_loadcnt_dscnt 0x807
	v_dual_mul_f32 v162, v124, v81 :: v_dual_mul_f32 v163, v126, v83
	v_dual_add_f32 v68, v69, v68 :: v_dual_mul_f32 v69, v123, v79
	v_fmac_f32_e32 v160, v121, v76
	s_wait_loadcnt_dscnt 0x706
	v_dual_mul_f32 v164, v128, v85 :: v_dual_mul_f32 v165, v130, v87
	s_delay_alu instid0(VALU_DEP_3) | instskip(SKIP_3) | instid1(VALU_DEP_4)
	v_dual_add_f32 v68, v68, v70 :: v_dual_add_f32 v65, 0, v65
	v_mul_f32_e32 v70, v125, v81
	v_fma_f32 v69, v122, v78, -v69
	v_dual_fmac_f32 v161, v123, v78 :: v_dual_fmac_f32 v162, v125, v80
	v_add_f32_e32 v65, v65, v66
	v_mul_f32_e32 v66, v121, v77
	v_fma_f32 v70, v124, v80, -v70
	v_dual_fmac_f32 v163, v127, v82 :: v_dual_fmac_f32 v164, v129, v84
	s_wait_loadcnt_dscnt 0x605
	v_dual_mul_f32 v166, v132, v89 :: v_dual_mul_f32 v167, v134, v91
	v_fma_f32 v66, v120, v76, -v66
	s_wait_loadcnt_dscnt 0x504
	v_dual_mul_f32 v168, v136, v93 :: v_dual_mul_f32 v169, v138, v95
	s_wait_loadcnt_dscnt 0x403
	v_dual_mul_f32 v170, v140, v97 :: v_dual_mul_f32 v171, v142, v99
	v_add_f32_e32 v66, v68, v66
	v_mul_f32_e32 v68, v127, v83
	v_dual_fmac_f32 v168, v137, v92 :: v_dual_fmac_f32 v169, v139, v94
	s_delay_alu instid0(VALU_DEP_4) | instskip(NEXT) | instid1(VALU_DEP_4)
	v_dual_fmac_f32 v170, v141, v96 :: v_dual_fmac_f32 v171, v143, v98
	v_dual_add_f32 v66, v66, v69 :: v_dual_add_f32 v65, v65, v158
	v_mul_f32_e32 v69, v129, v85
	v_fma_f32 v68, v126, v82, -v68
	v_fmac_f32_e32 v165, v131, v86
	s_delay_alu instid0(VALU_DEP_4)
	v_add_f32_e32 v66, v66, v70
	v_mul_f32_e32 v70, v131, v87
	v_add_f32_e32 v65, v65, v159
	v_fma_f32 v69, v128, v84, -v69
	v_fmac_f32_e32 v166, v133, v88
	v_add_f32_e32 v66, v66, v68
	v_mul_f32_e32 v68, v133, v89
	v_add_f32_e32 v65, v65, v160
	v_fma_f32 v70, v130, v86, -v70
	s_delay_alu instid0(VALU_DEP_4) | instskip(SKIP_1) | instid1(VALU_DEP_4)
	v_dual_fmac_f32 v167, v135, v90 :: v_dual_add_f32 v66, v66, v69
	v_mul_f32_e32 v69, v135, v91
	v_add_f32_e32 v65, v65, v161
	v_fma_f32 v68, v132, v88, -v68
	s_wait_loadcnt_dscnt 0x302
	v_dual_mul_f32 v172, v144, v101 :: v_dual_mul_f32 v173, v146, v103
	v_add_f32_e32 v66, v66, v70
	v_add_f32_e32 v65, v65, v162
	v_fma_f32 v69, v134, v90, -v69
	v_mul_f32_e32 v70, v137, v93
	s_wait_loadcnt_dscnt 0x201
	v_dual_mul_f32 v174, v148, v105 :: v_dual_mul_f32 v175, v150, v107
	v_dual_add_f32 v66, v66, v68 :: v_dual_add_f32 v65, v65, v163
	v_mul_f32_e32 v68, v139, v95
	v_fma_f32 v70, v136, v92, -v70
	v_dual_fmac_f32 v172, v145, v100 :: v_dual_fmac_f32 v173, v147, v102
	s_delay_alu instid0(VALU_DEP_4)
	v_dual_add_f32 v66, v66, v69 :: v_dual_add_f32 v65, v65, v164
	v_mul_f32_e32 v69, v141, v97
	v_fma_f32 v68, v138, v94, -v68
	s_wait_loadcnt_dscnt 0x100
	v_dual_mul_f32 v176, v152, v109 :: v_dual_mul_f32 v177, v154, v111
	v_dual_add_f32 v65, v65, v165 :: v_dual_add_f32 v66, v66, v70
	v_mul_f32_e32 v70, v143, v99
	v_fma_f32 v69, v140, v96, -v69
	s_delay_alu instid0(VALU_DEP_4) | instskip(NEXT) | instid1(VALU_DEP_4)
	v_dual_fmac_f32 v174, v149, v104 :: v_dual_fmac_f32 v177, v155, v110
	v_dual_add_f32 v65, v65, v166 :: v_dual_add_f32 v66, v66, v68
	v_mul_f32_e32 v68, v145, v101
	v_fma_f32 v70, v142, v98, -v70
	v_fmac_f32_e32 v175, v151, v106
	s_delay_alu instid0(VALU_DEP_4) | instskip(SKIP_2) | instid1(VALU_DEP_3)
	v_dual_add_f32 v65, v65, v167 :: v_dual_add_f32 v66, v66, v69
	v_mul_f32_e32 v69, v147, v103
	v_fma_f32 v68, v144, v100, -v68
	v_dual_add_f32 v65, v65, v168 :: v_dual_add_f32 v66, v66, v70
	v_mul_f32_e32 v70, v149, v105
	s_delay_alu instid0(VALU_DEP_4) | instskip(NEXT) | instid1(VALU_DEP_3)
	v_fma_f32 v69, v146, v102, -v69
	v_dual_add_f32 v65, v65, v169 :: v_dual_add_f32 v66, v66, v68
	v_mul_f32_e32 v68, v151, v107
	s_delay_alu instid0(VALU_DEP_4) | instskip(NEXT) | instid1(VALU_DEP_3)
	v_fma_f32 v70, v148, v104, -v70
	v_dual_add_f32 v65, v65, v170 :: v_dual_add_f32 v66, v66, v69
	v_mul_f32_e32 v69, v153, v109
	s_delay_alu instid0(VALU_DEP_4) | instskip(NEXT) | instid1(VALU_DEP_3)
	v_fma_f32 v68, v150, v106, -v68
	v_dual_add_f32 v65, v65, v171 :: v_dual_add_f32 v66, v66, v70
	v_mul_f32_e32 v70, v155, v111
	s_delay_alu instid0(VALU_DEP_4) | instskip(NEXT) | instid1(VALU_DEP_3)
	v_fma_f32 v69, v152, v108, -v69
	v_add_f32_e32 v65, v65, v172
	s_delay_alu instid0(VALU_DEP_4) | instskip(NEXT) | instid1(VALU_DEP_4)
	v_add_f32_e32 v66, v66, v68
	v_fma_f32 v68, v154, v110, -v70
	s_delay_alu instid0(VALU_DEP_3) | instskip(NEXT) | instid1(VALU_DEP_1)
	v_add_f32_e32 v65, v65, v173
	v_dual_add_f32 v66, v66, v69 :: v_dual_add_f32 v65, v65, v174
	s_delay_alu instid0(VALU_DEP_1) | instskip(SKIP_1) | instid1(VALU_DEP_3)
	v_add_f32_e32 v66, v66, v68
	v_fmac_f32_e32 v176, v153, v108
	v_add_f32_e32 v65, v65, v175
	s_delay_alu instid0(VALU_DEP_1) | instskip(SKIP_1) | instid1(VALU_DEP_1)
	v_add_f32_e32 v65, v65, v176
	s_wait_loadcnt 0x0
	v_dual_add_f32 v68, v65, v177 :: v_dual_sub_f32 v65, v156, v66
	s_delay_alu instid0(VALU_DEP_1)
	v_sub_f32_e32 v66, v157, v68
	scratch_store_b64 off, v[65:66], off offset:72
	v_cmpx_lt_u32_e32 8, v0
	s_cbranch_execz .LBB31_189
; %bb.188:
	scratch_load_b64 v[65:66], off, off offset:64
	v_mov_b32_e32 v68, 0
	s_delay_alu instid0(VALU_DEP_1)
	v_mov_b32_e32 v69, v68
	scratch_store_b64 off, v[68:69], off offset:64
	s_wait_loadcnt 0x0
	ds_store_b64 v67, v[65:66]
.LBB31_189:
	s_wait_alu 0xfffe
	s_or_b32 exec_lo, exec_lo, s0
	s_wait_storecnt_dscnt 0x0
	s_barrier_signal -1
	s_barrier_wait -1
	global_inv scope:SCOPE_SE
	s_clause 0xc
	scratch_load_b128 v[68:71], off, off offset:72
	scratch_load_b128 v[72:75], off, off offset:88
	scratch_load_b128 v[76:79], off, off offset:104
	scratch_load_b128 v[80:83], off, off offset:120
	scratch_load_b128 v[84:87], off, off offset:136
	scratch_load_b128 v[88:91], off, off offset:152
	scratch_load_b128 v[92:95], off, off offset:168
	scratch_load_b128 v[96:99], off, off offset:184
	scratch_load_b128 v[100:103], off, off offset:200
	scratch_load_b128 v[104:107], off, off offset:216
	scratch_load_b128 v[108:111], off, off offset:232
	scratch_load_b64 v[156:157], off, off offset:248
	scratch_load_b64 v[158:159], off, off offset:64
	v_mov_b32_e32 v65, 0
	ds_load_2addr_b64 v[112:115], v65 offset0:41 offset1:42
	ds_load_2addr_b64 v[116:119], v65 offset0:43 offset1:44
	;; [unrolled: 1-line block ×11, first 2 shown]
	ds_load_b64 v[160:161], v65 offset:504
	s_mov_b32 s0, exec_lo
	s_wait_loadcnt_dscnt 0xc0b
	v_mul_f32_e32 v66, v112, v69
	s_wait_loadcnt_dscnt 0xb0a
	v_dual_mul_f32 v162, v114, v71 :: v_dual_mul_f32 v163, v116, v73
	v_mul_f32_e32 v71, v115, v71
	s_wait_loadcnt_dscnt 0xa09
	v_dual_mul_f32 v164, v118, v75 :: v_dual_mul_f32 v165, v120, v77
	v_mul_f32_e32 v69, v113, v69
	v_fmac_f32_e32 v66, v113, v68
	s_wait_loadcnt_dscnt 0x807
	v_dual_mul_f32 v168, v126, v83 :: v_dual_mul_f32 v169, v128, v85
	s_wait_loadcnt_dscnt 0x100
	v_dual_mul_f32 v180, v150, v107 :: v_dual_mul_f32 v183, v160, v157
	v_fma_f32 v69, v112, v68, -v69
	v_mul_f32_e32 v68, v117, v73
	v_fmac_f32_e32 v162, v115, v70
	v_fma_f32 v70, v114, v70, -v71
	v_dual_add_f32 v66, 0, v66 :: v_dual_mul_f32 v71, v119, v75
	v_add_f32_e32 v69, 0, v69
	v_fmac_f32_e32 v163, v117, v72
	v_fma_f32 v68, v116, v72, -v68
	s_delay_alu instid0(VALU_DEP_4)
	v_add_f32_e32 v66, v66, v162
	v_fma_f32 v71, v118, v74, -v71
	v_add_f32_e32 v69, v69, v70
	v_mul_f32_e32 v70, v121, v77
	v_dual_mul_f32 v170, v130, v87 :: v_dual_mul_f32 v171, v132, v89
	v_add_f32_e32 v66, v66, v163
	s_delay_alu instid0(VALU_DEP_4) | instskip(NEXT) | instid1(VALU_DEP_4)
	v_dual_add_f32 v68, v69, v68 :: v_dual_mul_f32 v69, v123, v79
	v_fma_f32 v70, v120, v76, -v70
	v_dual_mul_f32 v172, v134, v91 :: v_dual_mul_f32 v173, v136, v93
	s_delay_alu instid0(VALU_DEP_3) | instskip(NEXT) | instid1(VALU_DEP_4)
	v_dual_add_f32 v68, v68, v71 :: v_dual_mul_f32 v71, v125, v81
	v_fma_f32 v69, v122, v78, -v69
	v_dual_fmac_f32 v164, v119, v74 :: v_dual_fmac_f32 v165, v121, v76
	s_delay_alu instid0(VALU_DEP_3) | instskip(SKIP_2) | instid1(VALU_DEP_3)
	v_dual_add_f32 v68, v68, v70 :: v_dual_fmac_f32 v169, v129, v84
	v_dual_mul_f32 v70, v127, v83 :: v_dual_fmac_f32 v171, v133, v88
	v_fma_f32 v71, v124, v80, -v71
	v_dual_add_f32 v68, v68, v69 :: v_dual_fmac_f32 v173, v137, v92
	v_dual_mul_f32 v174, v138, v95 :: v_dual_mul_f32 v175, v140, v97
	v_dual_add_f32 v66, v66, v164 :: v_dual_mul_f32 v69, v129, v85
	v_fma_f32 v70, v126, v82, -v70
	s_delay_alu instid0(VALU_DEP_3) | instskip(SKIP_1) | instid1(VALU_DEP_4)
	v_dual_add_f32 v68, v68, v71 :: v_dual_fmac_f32 v175, v141, v96
	v_mul_f32_e32 v71, v131, v87
	v_fma_f32 v69, v128, v84, -v69
	v_dual_mul_f32 v166, v122, v79 :: v_dual_mul_f32 v167, v124, v81
	s_delay_alu instid0(VALU_DEP_4) | instskip(SKIP_3) | instid1(VALU_DEP_4)
	v_add_f32_e32 v68, v68, v70
	v_dual_mul_f32 v178, v146, v103 :: v_dual_mul_f32 v179, v148, v105
	v_mul_f32_e32 v70, v133, v89
	v_fma_f32 v71, v130, v86, -v71
	v_add_f32_e32 v68, v68, v69
	v_dual_fmac_f32 v166, v123, v78 :: v_dual_fmac_f32 v167, v125, v80
	v_dual_add_f32 v66, v66, v165 :: v_dual_mul_f32 v69, v135, v91
	v_fma_f32 v70, v132, v88, -v70
	s_delay_alu instid0(VALU_DEP_4) | instskip(NEXT) | instid1(VALU_DEP_3)
	v_dual_fmac_f32 v179, v149, v104 :: v_dual_add_f32 v68, v68, v71
	v_dual_add_f32 v66, v66, v166 :: v_dual_mul_f32 v71, v137, v93
	s_delay_alu instid0(VALU_DEP_4) | instskip(SKIP_1) | instid1(VALU_DEP_4)
	v_fma_f32 v69, v134, v90, -v69
	v_dual_mul_f32 v176, v142, v99 :: v_dual_mul_f32 v177, v144, v101
	v_add_f32_e32 v68, v68, v70
	v_mul_f32_e32 v70, v139, v95
	v_fma_f32 v71, v136, v92, -v71
	v_fmac_f32_e32 v168, v127, v82
	v_dual_add_f32 v66, v66, v167 :: v_dual_fmac_f32 v177, v145, v100
	v_add_f32_e32 v68, v68, v69
	v_mul_f32_e32 v69, v141, v97
	v_fma_f32 v70, v138, v94, -v70
	s_delay_alu instid0(VALU_DEP_4)
	v_dual_add_f32 v66, v66, v168 :: v_dual_mul_f32 v181, v152, v109
	v_mul_f32_e32 v182, v154, v111
	v_add_f32_e32 v68, v68, v71
	v_mul_f32_e32 v71, v143, v99
	v_fma_f32 v69, v140, v96, -v69
	v_dual_fmac_f32 v170, v131, v86 :: v_dual_fmac_f32 v181, v153, v108
	s_delay_alu instid0(VALU_DEP_4) | instskip(NEXT) | instid1(VALU_DEP_4)
	v_add_f32_e32 v68, v68, v70
	v_fma_f32 v71, v142, v98, -v71
	v_dual_fmac_f32 v172, v135, v90 :: v_dual_fmac_f32 v183, v161, v156
	v_fmac_f32_e32 v174, v139, v94
	s_delay_alu instid0(VALU_DEP_4) | instskip(SKIP_3) | instid1(VALU_DEP_4)
	v_dual_add_f32 v68, v68, v69 :: v_dual_mul_f32 v69, v147, v103
	v_add_f32_e32 v66, v66, v169
	v_mul_f32_e32 v70, v145, v101
	v_fmac_f32_e32 v176, v143, v98
	v_dual_add_f32 v68, v68, v71 :: v_dual_mul_f32 v71, v149, v105
	s_delay_alu instid0(VALU_DEP_4) | instskip(NEXT) | instid1(VALU_DEP_4)
	v_add_f32_e32 v66, v66, v170
	v_fma_f32 v70, v144, v100, -v70
	v_fmac_f32_e32 v178, v147, v102
	v_fma_f32 v69, v146, v102, -v69
	v_fma_f32 v71, v148, v104, -v71
	v_add_f32_e32 v66, v66, v171
	v_add_f32_e32 v68, v68, v70
	v_mul_f32_e32 v70, v151, v107
	v_fmac_f32_e32 v180, v151, v106
	v_fmac_f32_e32 v182, v155, v110
	v_add_f32_e32 v66, v66, v172
	v_add_f32_e32 v68, v68, v69
	v_mul_f32_e32 v69, v153, v109
	v_fma_f32 v70, v150, v106, -v70
	s_delay_alu instid0(VALU_DEP_4) | instskip(NEXT) | instid1(VALU_DEP_4)
	v_add_f32_e32 v66, v66, v173
	v_add_f32_e32 v68, v68, v71
	v_mul_f32_e32 v71, v155, v111
	v_fma_f32 v69, v152, v108, -v69
	s_delay_alu instid0(VALU_DEP_4) | instskip(NEXT) | instid1(VALU_DEP_4)
	;; [unrolled: 5-line block ×3, first 2 shown]
	v_add_f32_e32 v66, v66, v175
	v_add_f32_e32 v68, v68, v69
	s_delay_alu instid0(VALU_DEP_4) | instskip(NEXT) | instid1(VALU_DEP_3)
	v_fma_f32 v69, v160, v156, -v70
	v_add_f32_e32 v66, v66, v176
	s_delay_alu instid0(VALU_DEP_3) | instskip(NEXT) | instid1(VALU_DEP_2)
	v_add_f32_e32 v68, v68, v71
	v_add_f32_e32 v66, v66, v177
	s_delay_alu instid0(VALU_DEP_2) | instskip(NEXT) | instid1(VALU_DEP_2)
	v_add_f32_e32 v68, v68, v69
	v_add_f32_e32 v66, v66, v178
	s_wait_loadcnt 0x0
	s_delay_alu instid0(VALU_DEP_2) | instskip(NEXT) | instid1(VALU_DEP_2)
	v_sub_f32_e32 v68, v158, v68
	v_add_f32_e32 v66, v66, v179
	s_delay_alu instid0(VALU_DEP_1) | instskip(NEXT) | instid1(VALU_DEP_1)
	v_add_f32_e32 v66, v66, v180
	v_add_f32_e32 v66, v66, v181
	s_delay_alu instid0(VALU_DEP_1) | instskip(NEXT) | instid1(VALU_DEP_1)
	v_add_f32_e32 v66, v66, v182
	v_add_f32_e32 v66, v66, v183
	s_delay_alu instid0(VALU_DEP_1)
	v_sub_f32_e32 v69, v159, v66
	scratch_store_b64 off, v[68:69], off offset:64
	v_cmpx_lt_u32_e32 7, v0
	s_cbranch_execz .LBB31_191
; %bb.190:
	scratch_load_b64 v[68:69], off, off offset:56
	v_mov_b32_e32 v66, v65
	scratch_store_b64 off, v[65:66], off offset:56
	s_wait_loadcnt 0x0
	ds_store_b64 v67, v[68:69]
.LBB31_191:
	s_wait_alu 0xfffe
	s_or_b32 exec_lo, exec_lo, s0
	s_wait_storecnt_dscnt 0x0
	s_barrier_signal -1
	s_barrier_wait -1
	global_inv scope:SCOPE_SE
	s_clause 0xc
	scratch_load_b128 v[68:71], off, off offset:64
	scratch_load_b128 v[72:75], off, off offset:80
	;; [unrolled: 1-line block ×12, first 2 shown]
	scratch_load_b64 v[164:165], off, off offset:56
	ds_load_b128 v[116:119], v65 offset:320
	ds_load_b128 v[120:123], v65 offset:336
	;; [unrolled: 1-line block ×12, first 2 shown]
	s_mov_b32 s0, exec_lo
	s_wait_loadcnt_dscnt 0xc0b
	v_dual_mul_f32 v65, v116, v69 :: v_dual_mul_f32 v66, v118, v71
	v_mul_f32_e32 v69, v117, v69
	s_wait_loadcnt_dscnt 0xb0a
	v_dual_mul_f32 v71, v119, v71 :: v_dual_mul_f32 v166, v120, v73
	s_delay_alu instid0(VALU_DEP_3) | instskip(NEXT) | instid1(VALU_DEP_3)
	v_dual_mul_f32 v167, v122, v75 :: v_dual_fmac_f32 v66, v119, v70
	v_fma_f32 v69, v116, v68, -v69
	v_fmac_f32_e32 v65, v117, v68
	v_mul_f32_e32 v68, v121, v73
	v_fma_f32 v70, v118, v70, -v71
	v_mul_f32_e32 v71, v123, v75
	v_dual_add_f32 v69, 0, v69 :: v_dual_fmac_f32 v166, v121, v72
	s_delay_alu instid0(VALU_DEP_4) | instskip(SKIP_2) | instid1(VALU_DEP_3)
	v_fma_f32 v68, v120, v72, -v68
	s_wait_loadcnt_dscnt 0xa09
	v_dual_mul_f32 v168, v124, v77 :: v_dual_mul_f32 v169, v126, v79
	v_add_f32_e32 v69, v69, v70
	v_fmac_f32_e32 v167, v123, v74
	v_fma_f32 v70, v122, v74, -v71
	s_wait_loadcnt_dscnt 0x908
	v_dual_mul_f32 v170, v128, v81 :: v_dual_mul_f32 v171, v130, v83
	v_dual_add_f32 v68, v69, v68 :: v_dual_mul_f32 v69, v127, v79
	v_fmac_f32_e32 v168, v125, v76
	s_wait_loadcnt_dscnt 0x807
	v_dual_mul_f32 v172, v132, v85 :: v_dual_mul_f32 v173, v134, v87
	s_delay_alu instid0(VALU_DEP_3) | instskip(SKIP_3) | instid1(VALU_DEP_4)
	v_dual_add_f32 v68, v68, v70 :: v_dual_add_f32 v65, 0, v65
	v_mul_f32_e32 v70, v129, v81
	v_fma_f32 v69, v126, v78, -v69
	v_dual_fmac_f32 v169, v127, v78 :: v_dual_fmac_f32 v170, v129, v80
	v_add_f32_e32 v65, v65, v66
	v_mul_f32_e32 v66, v125, v77
	v_fma_f32 v70, v128, v80, -v70
	v_dual_fmac_f32 v171, v131, v82 :: v_dual_fmac_f32 v172, v133, v84
	s_wait_loadcnt_dscnt 0x706
	v_dual_mul_f32 v174, v136, v89 :: v_dual_mul_f32 v175, v138, v91
	v_fma_f32 v66, v124, v76, -v66
	s_wait_loadcnt_dscnt 0x605
	v_dual_mul_f32 v176, v140, v93 :: v_dual_mul_f32 v177, v142, v95
	s_wait_loadcnt_dscnt 0x504
	v_dual_mul_f32 v178, v144, v97 :: v_dual_mul_f32 v179, v146, v99
	v_add_f32_e32 v66, v68, v66
	v_mul_f32_e32 v68, v131, v83
	v_dual_fmac_f32 v176, v141, v92 :: v_dual_fmac_f32 v177, v143, v94
	s_delay_alu instid0(VALU_DEP_4) | instskip(NEXT) | instid1(VALU_DEP_4)
	v_dual_fmac_f32 v178, v145, v96 :: v_dual_fmac_f32 v179, v147, v98
	v_dual_add_f32 v66, v66, v69 :: v_dual_add_f32 v65, v65, v166
	v_mul_f32_e32 v69, v133, v85
	v_fma_f32 v68, v130, v82, -v68
	v_fmac_f32_e32 v173, v135, v86
	s_delay_alu instid0(VALU_DEP_4)
	v_add_f32_e32 v66, v66, v70
	v_mul_f32_e32 v70, v135, v87
	v_add_f32_e32 v65, v65, v167
	v_fma_f32 v69, v132, v84, -v69
	v_fmac_f32_e32 v174, v137, v88
	v_add_f32_e32 v66, v66, v68
	v_mul_f32_e32 v68, v137, v89
	v_add_f32_e32 v65, v65, v168
	v_fma_f32 v70, v134, v86, -v70
	s_delay_alu instid0(VALU_DEP_4) | instskip(SKIP_1) | instid1(VALU_DEP_4)
	v_dual_fmac_f32 v175, v139, v90 :: v_dual_add_f32 v66, v66, v69
	v_mul_f32_e32 v69, v139, v91
	v_add_f32_e32 v65, v65, v169
	v_fma_f32 v68, v136, v88, -v68
	s_wait_loadcnt_dscnt 0x403
	v_dual_mul_f32 v180, v148, v101 :: v_dual_mul_f32 v181, v150, v103
	v_add_f32_e32 v66, v66, v70
	v_add_f32_e32 v65, v65, v170
	v_fma_f32 v69, v138, v90, -v69
	v_mul_f32_e32 v70, v141, v93
	s_wait_loadcnt_dscnt 0x302
	v_dual_mul_f32 v182, v152, v105 :: v_dual_mul_f32 v183, v154, v107
	v_dual_add_f32 v66, v66, v68 :: v_dual_add_f32 v65, v65, v171
	v_mul_f32_e32 v68, v143, v95
	v_fma_f32 v70, v140, v92, -v70
	v_dual_fmac_f32 v180, v149, v100 :: v_dual_fmac_f32 v181, v151, v102
	s_delay_alu instid0(VALU_DEP_4)
	v_dual_add_f32 v66, v66, v69 :: v_dual_add_f32 v65, v65, v172
	v_mul_f32_e32 v69, v145, v97
	v_fma_f32 v68, v142, v94, -v68
	s_wait_loadcnt_dscnt 0x201
	v_dual_mul_f32 v184, v156, v109 :: v_dual_mul_f32 v185, v158, v111
	v_dual_add_f32 v65, v65, v173 :: v_dual_add_f32 v66, v66, v70
	v_mul_f32_e32 v70, v147, v99
	v_fma_f32 v69, v144, v96, -v69
	s_delay_alu instid0(VALU_DEP_4) | instskip(NEXT) | instid1(VALU_DEP_4)
	v_dual_fmac_f32 v182, v153, v104 :: v_dual_fmac_f32 v185, v159, v110
	v_dual_add_f32 v65, v65, v174 :: v_dual_add_f32 v66, v66, v68
	v_mul_f32_e32 v68, v149, v101
	v_fma_f32 v70, v146, v98, -v70
	v_fmac_f32_e32 v183, v155, v106
	s_delay_alu instid0(VALU_DEP_4)
	v_dual_add_f32 v65, v65, v175 :: v_dual_add_f32 v66, v66, v69
	v_mul_f32_e32 v69, v151, v103
	v_fma_f32 v68, v148, v100, -v68
	s_wait_loadcnt_dscnt 0x100
	v_dual_mul_f32 v186, v160, v113 :: v_dual_mul_f32 v187, v162, v115
	v_dual_add_f32 v65, v65, v176 :: v_dual_add_f32 v66, v66, v70
	v_mul_f32_e32 v70, v153, v105
	v_fma_f32 v69, v150, v102, -v69
	v_fmac_f32_e32 v184, v157, v108
	s_delay_alu instid0(VALU_DEP_4) | instskip(SKIP_3) | instid1(VALU_DEP_4)
	v_dual_add_f32 v65, v65, v177 :: v_dual_add_f32 v66, v66, v68
	v_mul_f32_e32 v68, v155, v107
	v_fma_f32 v70, v152, v104, -v70
	v_fmac_f32_e32 v187, v163, v114
	v_dual_add_f32 v65, v65, v178 :: v_dual_add_f32 v66, v66, v69
	v_mul_f32_e32 v69, v157, v109
	v_fma_f32 v68, v154, v106, -v68
	s_delay_alu instid0(VALU_DEP_3) | instskip(SKIP_1) | instid1(VALU_DEP_4)
	v_dual_add_f32 v65, v65, v179 :: v_dual_add_f32 v66, v66, v70
	v_mul_f32_e32 v70, v159, v111
	v_fma_f32 v69, v156, v108, -v69
	s_delay_alu instid0(VALU_DEP_3) | instskip(NEXT) | instid1(VALU_DEP_4)
	v_add_f32_e32 v65, v65, v180
	v_add_f32_e32 v66, v66, v68
	v_mul_f32_e32 v68, v161, v113
	v_fma_f32 v70, v158, v110, -v70
	s_delay_alu instid0(VALU_DEP_4) | instskip(NEXT) | instid1(VALU_DEP_4)
	v_add_f32_e32 v65, v65, v181
	v_dual_add_f32 v66, v66, v69 :: v_dual_mul_f32 v69, v163, v115
	s_delay_alu instid0(VALU_DEP_4) | instskip(NEXT) | instid1(VALU_DEP_3)
	v_fma_f32 v68, v160, v112, -v68
	v_add_f32_e32 v65, v65, v182
	s_delay_alu instid0(VALU_DEP_3) | instskip(NEXT) | instid1(VALU_DEP_4)
	v_add_f32_e32 v66, v66, v70
	v_fma_f32 v69, v162, v114, -v69
	s_delay_alu instid0(VALU_DEP_2) | instskip(NEXT) | instid1(VALU_DEP_1)
	v_dual_add_f32 v65, v65, v183 :: v_dual_add_f32 v66, v66, v68
	v_dual_add_f32 v65, v65, v184 :: v_dual_add_f32 v66, v66, v69
	v_fmac_f32_e32 v186, v161, v112
	s_delay_alu instid0(VALU_DEP_2) | instskip(NEXT) | instid1(VALU_DEP_1)
	v_add_f32_e32 v65, v65, v185
	v_add_f32_e32 v65, v65, v186
	s_wait_loadcnt 0x0
	s_delay_alu instid0(VALU_DEP_1) | instskip(NEXT) | instid1(VALU_DEP_1)
	v_dual_add_f32 v68, v65, v187 :: v_dual_sub_f32 v65, v164, v66
	v_sub_f32_e32 v66, v165, v68
	scratch_store_b64 off, v[65:66], off offset:56
	v_cmpx_lt_u32_e32 6, v0
	s_cbranch_execz .LBB31_193
; %bb.192:
	scratch_load_b64 v[65:66], off, off offset:48
	v_mov_b32_e32 v68, 0
	s_delay_alu instid0(VALU_DEP_1)
	v_mov_b32_e32 v69, v68
	scratch_store_b64 off, v[68:69], off offset:48
	s_wait_loadcnt 0x0
	ds_store_b64 v67, v[65:66]
.LBB31_193:
	s_wait_alu 0xfffe
	s_or_b32 exec_lo, exec_lo, s0
	s_wait_storecnt_dscnt 0x0
	s_barrier_signal -1
	s_barrier_wait -1
	global_inv scope:SCOPE_SE
	s_clause 0xd
	scratch_load_b128 v[68:71], off, off offset:56
	scratch_load_b128 v[72:75], off, off offset:72
	;; [unrolled: 1-line block ×12, first 2 shown]
	scratch_load_b64 v[164:165], off, off offset:248
	scratch_load_b64 v[166:167], off, off offset:48
	v_mov_b32_e32 v65, 0
	ds_load_2addr_b64 v[116:119], v65 offset0:39 offset1:40
	ds_load_2addr_b64 v[120:123], v65 offset0:41 offset1:42
	;; [unrolled: 1-line block ×12, first 2 shown]
	ds_load_b64 v[168:169], v65 offset:504
	s_mov_b32 s0, exec_lo
	s_wait_loadcnt_dscnt 0xd0c
	v_mul_f32_e32 v66, v116, v69
	s_wait_loadcnt_dscnt 0xc0b
	v_dual_mul_f32 v170, v118, v71 :: v_dual_mul_f32 v171, v120, v73
	v_mul_f32_e32 v71, v119, v71
	s_wait_loadcnt_dscnt 0xb0a
	v_dual_mul_f32 v172, v122, v75 :: v_dual_mul_f32 v173, v124, v77
	s_wait_loadcnt_dscnt 0xa09
	v_dual_mul_f32 v69, v117, v69 :: v_dual_mul_f32 v176, v130, v83
	s_wait_loadcnt_dscnt 0x908
	v_dual_mul_f32 v177, v132, v85 :: v_dual_fmac_f32 v66, v117, v68
	s_wait_loadcnt_dscnt 0x302
	v_mul_f32_e32 v190, v158, v111
	v_fma_f32 v69, v116, v68, -v69
	s_wait_loadcnt_dscnt 0x100
	v_mul_f32_e32 v193, v168, v165
	v_mul_f32_e32 v68, v121, v73
	v_fmac_f32_e32 v170, v119, v70
	v_fma_f32 v70, v118, v70, -v71
	v_dual_add_f32 v69, 0, v69 :: v_dual_add_f32 v66, 0, v66
	v_mul_f32_e32 v71, v123, v75
	v_fmac_f32_e32 v171, v121, v72
	v_fma_f32 v68, v120, v72, -v68
	v_dual_mul_f32 v178, v134, v87 :: v_dual_mul_f32 v179, v136, v89
	v_add_f32_e32 v66, v66, v170
	v_add_f32_e32 v69, v69, v70
	v_mul_f32_e32 v70, v125, v77
	v_fma_f32 v71, v122, v74, -v71
	v_dual_mul_f32 v180, v138, v91 :: v_dual_mul_f32 v181, v140, v93
	v_add_f32_e32 v66, v66, v171
	v_dual_add_f32 v68, v69, v68 :: v_dual_mul_f32 v69, v127, v79
	v_fma_f32 v70, v124, v76, -v70
	v_dual_fmac_f32 v172, v123, v74 :: v_dual_fmac_f32 v173, v125, v76
	s_delay_alu instid0(VALU_DEP_3) | instskip(NEXT) | instid1(VALU_DEP_4)
	v_dual_add_f32 v68, v68, v71 :: v_dual_mul_f32 v71, v129, v81
	v_fma_f32 v69, v126, v78, -v69
	v_dual_fmac_f32 v177, v133, v84 :: v_dual_mul_f32 v182, v142, v95
	v_mul_f32_e32 v183, v144, v97
	s_delay_alu instid0(VALU_DEP_4) | instskip(SKIP_3) | instid1(VALU_DEP_4)
	v_add_f32_e32 v68, v68, v70
	v_dual_mul_f32 v70, v131, v83 :: v_dual_fmac_f32 v179, v137, v88
	v_fma_f32 v71, v128, v80, -v71
	v_add_f32_e32 v66, v66, v172
	v_dual_add_f32 v68, v68, v69 :: v_dual_fmac_f32 v181, v141, v92
	v_mul_f32_e32 v69, v133, v85
	v_fma_f32 v70, v130, v82, -v70
	s_delay_alu instid0(VALU_DEP_3) | instskip(SKIP_1) | instid1(VALU_DEP_4)
	v_dual_fmac_f32 v183, v145, v96 :: v_dual_add_f32 v68, v68, v71
	v_mul_f32_e32 v71, v135, v87
	v_fma_f32 v69, v132, v84, -v69
	v_dual_mul_f32 v174, v126, v79 :: v_dual_mul_f32 v175, v128, v81
	s_delay_alu instid0(VALU_DEP_4) | instskip(SKIP_3) | instid1(VALU_DEP_4)
	v_add_f32_e32 v68, v68, v70
	v_dual_mul_f32 v186, v150, v103 :: v_dual_mul_f32 v187, v152, v105
	v_mul_f32_e32 v70, v137, v89
	v_fma_f32 v71, v134, v86, -v71
	v_add_f32_e32 v68, v68, v69
	v_dual_fmac_f32 v174, v127, v78 :: v_dual_fmac_f32 v175, v129, v80
	v_dual_add_f32 v66, v66, v173 :: v_dual_mul_f32 v69, v139, v91
	v_fma_f32 v70, v136, v88, -v70
	s_delay_alu instid0(VALU_DEP_4) | instskip(NEXT) | instid1(VALU_DEP_3)
	v_dual_fmac_f32 v187, v153, v104 :: v_dual_add_f32 v68, v68, v71
	v_dual_add_f32 v66, v66, v174 :: v_dual_mul_f32 v71, v141, v93
	s_delay_alu instid0(VALU_DEP_4) | instskip(SKIP_1) | instid1(VALU_DEP_4)
	v_fma_f32 v69, v138, v90, -v69
	v_fmac_f32_e32 v176, v131, v82
	v_add_f32_e32 v68, v68, v70
	v_mul_f32_e32 v70, v143, v95
	v_fma_f32 v71, v140, v92, -v71
	v_dual_mul_f32 v184, v146, v99 :: v_dual_mul_f32 v185, v148, v101
	s_delay_alu instid0(VALU_DEP_4) | instskip(SKIP_2) | instid1(VALU_DEP_4)
	v_add_f32_e32 v68, v68, v69
	v_mul_f32_e32 v69, v145, v97
	v_fma_f32 v70, v142, v94, -v70
	v_dual_add_f32 v66, v66, v175 :: v_dual_fmac_f32 v185, v149, v100
	s_delay_alu instid0(VALU_DEP_4) | instskip(SKIP_2) | instid1(VALU_DEP_4)
	v_add_f32_e32 v68, v68, v71
	v_mul_f32_e32 v71, v147, v99
	v_fma_f32 v69, v144, v96, -v69
	v_add_f32_e32 v66, v66, v176
	v_fmac_f32_e32 v178, v135, v86
	v_add_f32_e32 v68, v68, v70
	v_mul_f32_e32 v70, v149, v101
	v_fma_f32 v71, v146, v98, -v71
	v_dual_mul_f32 v188, v154, v107 :: v_dual_mul_f32 v189, v156, v109
	s_delay_alu instid0(VALU_DEP_4) | instskip(NEXT) | instid1(VALU_DEP_4)
	v_dual_add_f32 v68, v68, v69 :: v_dual_mul_f32 v69, v151, v103
	v_fma_f32 v70, v148, v100, -v70
	s_delay_alu instid0(VALU_DEP_3) | instskip(NEXT) | instid1(VALU_DEP_3)
	v_dual_add_f32 v66, v66, v177 :: v_dual_fmac_f32 v189, v157, v108
	v_dual_add_f32 v68, v68, v71 :: v_dual_mul_f32 v71, v153, v105
	s_delay_alu instid0(VALU_DEP_4) | instskip(NEXT) | instid1(VALU_DEP_3)
	v_fma_f32 v69, v150, v102, -v69
	v_dual_add_f32 v66, v66, v178 :: v_dual_mul_f32 v191, v160, v113
	v_mul_f32_e32 v192, v162, v115
	s_delay_alu instid0(VALU_DEP_4) | instskip(SKIP_3) | instid1(VALU_DEP_4)
	v_add_f32_e32 v68, v68, v70
	v_mul_f32_e32 v70, v155, v107
	v_fma_f32 v71, v152, v104, -v71
	v_dual_fmac_f32 v180, v139, v90 :: v_dual_fmac_f32 v191, v161, v112
	v_add_f32_e32 v68, v68, v69
	v_mul_f32_e32 v69, v157, v109
	v_fma_f32 v70, v154, v106, -v70
	v_fmac_f32_e32 v182, v143, v94
	v_fmac_f32_e32 v184, v147, v98
	v_add_f32_e32 v68, v68, v71
	v_fma_f32 v69, v156, v108, -v69
	v_dual_fmac_f32 v193, v169, v164 :: v_dual_fmac_f32 v186, v151, v102
	v_fmac_f32_e32 v188, v155, v106
	s_delay_alu instid0(VALU_DEP_4) | instskip(SKIP_3) | instid1(VALU_DEP_4)
	v_dual_add_f32 v68, v68, v70 :: v_dual_mul_f32 v71, v159, v111
	v_mul_f32_e32 v70, v161, v113
	v_fmac_f32_e32 v190, v159, v110
	v_fmac_f32_e32 v192, v163, v114
	v_dual_add_f32 v68, v68, v69 :: v_dual_mul_f32 v69, v163, v115
	v_add_f32_e32 v66, v66, v179
	v_fma_f32 v71, v158, v110, -v71
	v_fma_f32 v70, v160, v112, -v70
	s_delay_alu instid0(VALU_DEP_4) | instskip(NEXT) | instid1(VALU_DEP_4)
	v_fma_f32 v69, v162, v114, -v69
	v_add_f32_e32 v66, v66, v180
	s_delay_alu instid0(VALU_DEP_4) | instskip(NEXT) | instid1(VALU_DEP_2)
	v_dual_add_f32 v68, v68, v71 :: v_dual_mul_f32 v71, v169, v165
	v_add_f32_e32 v66, v66, v181
	s_delay_alu instid0(VALU_DEP_2) | instskip(NEXT) | instid1(VALU_DEP_3)
	v_add_f32_e32 v68, v68, v70
	v_fma_f32 v70, v168, v164, -v71
	s_delay_alu instid0(VALU_DEP_3) | instskip(NEXT) | instid1(VALU_DEP_3)
	v_add_f32_e32 v66, v66, v182
	v_add_f32_e32 v68, v68, v69
	s_delay_alu instid0(VALU_DEP_2) | instskip(NEXT) | instid1(VALU_DEP_2)
	v_add_f32_e32 v66, v66, v183
	v_add_f32_e32 v68, v68, v70
	s_delay_alu instid0(VALU_DEP_2) | instskip(SKIP_1) | instid1(VALU_DEP_2)
	v_add_f32_e32 v66, v66, v184
	s_wait_loadcnt 0x0
	v_sub_f32_e32 v68, v166, v68
	s_delay_alu instid0(VALU_DEP_2) | instskip(NEXT) | instid1(VALU_DEP_1)
	v_add_f32_e32 v66, v66, v185
	v_add_f32_e32 v66, v66, v186
	s_delay_alu instid0(VALU_DEP_1) | instskip(NEXT) | instid1(VALU_DEP_1)
	v_add_f32_e32 v66, v66, v187
	v_add_f32_e32 v66, v66, v188
	s_delay_alu instid0(VALU_DEP_1) | instskip(NEXT) | instid1(VALU_DEP_1)
	;; [unrolled: 3-line block ×4, first 2 shown]
	v_add_f32_e32 v66, v66, v193
	v_sub_f32_e32 v69, v167, v66
	scratch_store_b64 off, v[68:69], off offset:48
	v_cmpx_lt_u32_e32 5, v0
	s_cbranch_execz .LBB31_195
; %bb.194:
	scratch_load_b64 v[68:69], off, off offset:40
	v_mov_b32_e32 v66, v65
	scratch_store_b64 off, v[65:66], off offset:40
	s_wait_loadcnt 0x0
	ds_store_b64 v67, v[68:69]
.LBB31_195:
	s_wait_alu 0xfffe
	s_or_b32 exec_lo, exec_lo, s0
	s_wait_storecnt_dscnt 0x0
	s_barrier_signal -1
	s_barrier_wait -1
	global_inv scope:SCOPE_SE
	s_clause 0xd
	scratch_load_b128 v[68:71], off, off offset:48
	scratch_load_b128 v[72:75], off, off offset:64
	;; [unrolled: 1-line block ×13, first 2 shown]
	scratch_load_b64 v[172:173], off, off offset:40
	ds_load_b128 v[120:123], v65 offset:304
	ds_load_b128 v[124:127], v65 offset:320
	;; [unrolled: 1-line block ×13, first 2 shown]
	s_mov_b32 s0, exec_lo
	s_wait_loadcnt_dscnt 0xd0c
	v_dual_mul_f32 v65, v120, v69 :: v_dual_mul_f32 v66, v122, v71
	v_mul_f32_e32 v69, v121, v69
	s_wait_loadcnt_dscnt 0xc0b
	v_dual_mul_f32 v71, v123, v71 :: v_dual_mul_f32 v174, v124, v73
	s_delay_alu instid0(VALU_DEP_3) | instskip(NEXT) | instid1(VALU_DEP_3)
	v_dual_mul_f32 v175, v126, v75 :: v_dual_fmac_f32 v66, v123, v70
	v_fma_f32 v69, v120, v68, -v69
	v_fmac_f32_e32 v65, v121, v68
	v_mul_f32_e32 v68, v125, v73
	v_fma_f32 v70, v122, v70, -v71
	v_mul_f32_e32 v71, v127, v75
	v_dual_add_f32 v69, 0, v69 :: v_dual_fmac_f32 v174, v125, v72
	s_delay_alu instid0(VALU_DEP_4) | instskip(SKIP_2) | instid1(VALU_DEP_3)
	v_fma_f32 v68, v124, v72, -v68
	s_wait_loadcnt_dscnt 0xb0a
	v_dual_mul_f32 v176, v128, v77 :: v_dual_mul_f32 v177, v130, v79
	v_add_f32_e32 v69, v69, v70
	v_fmac_f32_e32 v175, v127, v74
	v_fma_f32 v70, v126, v74, -v71
	s_wait_loadcnt_dscnt 0xa09
	v_dual_mul_f32 v178, v132, v81 :: v_dual_mul_f32 v179, v134, v83
	v_dual_add_f32 v68, v69, v68 :: v_dual_mul_f32 v69, v131, v79
	v_fmac_f32_e32 v176, v129, v76
	s_wait_loadcnt_dscnt 0x908
	v_dual_mul_f32 v180, v136, v85 :: v_dual_mul_f32 v181, v138, v87
	s_delay_alu instid0(VALU_DEP_3) | instskip(SKIP_3) | instid1(VALU_DEP_4)
	v_dual_add_f32 v68, v68, v70 :: v_dual_add_f32 v65, 0, v65
	v_mul_f32_e32 v70, v133, v81
	v_fma_f32 v69, v130, v78, -v69
	v_dual_fmac_f32 v177, v131, v78 :: v_dual_fmac_f32 v178, v133, v80
	v_add_f32_e32 v65, v65, v66
	v_mul_f32_e32 v66, v129, v77
	v_fma_f32 v70, v132, v80, -v70
	v_dual_fmac_f32 v179, v135, v82 :: v_dual_fmac_f32 v180, v137, v84
	s_wait_loadcnt_dscnt 0x807
	v_dual_mul_f32 v182, v140, v89 :: v_dual_mul_f32 v183, v142, v91
	v_fma_f32 v66, v128, v76, -v66
	s_wait_loadcnt_dscnt 0x706
	v_dual_mul_f32 v184, v144, v93 :: v_dual_mul_f32 v185, v146, v95
	s_wait_loadcnt_dscnt 0x605
	v_dual_mul_f32 v186, v148, v97 :: v_dual_mul_f32 v187, v150, v99
	v_add_f32_e32 v66, v68, v66
	v_mul_f32_e32 v68, v135, v83
	v_dual_fmac_f32 v184, v145, v92 :: v_dual_fmac_f32 v185, v147, v94
	s_delay_alu instid0(VALU_DEP_4) | instskip(NEXT) | instid1(VALU_DEP_4)
	v_dual_fmac_f32 v186, v149, v96 :: v_dual_fmac_f32 v187, v151, v98
	v_dual_add_f32 v66, v66, v69 :: v_dual_add_f32 v65, v65, v174
	v_mul_f32_e32 v69, v137, v85
	v_fma_f32 v68, v134, v82, -v68
	v_fmac_f32_e32 v181, v139, v86
	s_delay_alu instid0(VALU_DEP_4)
	v_add_f32_e32 v66, v66, v70
	v_mul_f32_e32 v70, v139, v87
	v_add_f32_e32 v65, v65, v175
	v_fma_f32 v69, v136, v84, -v69
	v_fmac_f32_e32 v182, v141, v88
	v_add_f32_e32 v66, v66, v68
	v_mul_f32_e32 v68, v141, v89
	v_add_f32_e32 v65, v65, v176
	v_fma_f32 v70, v138, v86, -v70
	s_delay_alu instid0(VALU_DEP_4) | instskip(SKIP_1) | instid1(VALU_DEP_4)
	v_dual_fmac_f32 v183, v143, v90 :: v_dual_add_f32 v66, v66, v69
	v_mul_f32_e32 v69, v143, v91
	v_add_f32_e32 v65, v65, v177
	v_fma_f32 v68, v140, v88, -v68
	s_wait_loadcnt_dscnt 0x504
	v_dual_mul_f32 v188, v152, v101 :: v_dual_mul_f32 v189, v154, v103
	v_add_f32_e32 v66, v66, v70
	v_add_f32_e32 v65, v65, v178
	v_fma_f32 v69, v142, v90, -v69
	v_mul_f32_e32 v70, v145, v93
	v_dual_fmac_f32 v188, v153, v100 :: v_dual_fmac_f32 v189, v155, v102
	s_delay_alu instid0(VALU_DEP_4) | instskip(SKIP_1) | instid1(VALU_DEP_4)
	v_dual_add_f32 v66, v66, v68 :: v_dual_add_f32 v65, v65, v179
	v_mul_f32_e32 v68, v147, v95
	v_fma_f32 v70, v144, v92, -v70
	s_wait_loadcnt_dscnt 0x403
	v_dual_mul_f32 v190, v156, v105 :: v_dual_mul_f32 v191, v158, v107
	v_dual_add_f32 v66, v66, v69 :: v_dual_add_f32 v65, v65, v180
	v_mul_f32_e32 v69, v149, v97
	v_fma_f32 v68, v146, v94, -v68
	s_wait_loadcnt_dscnt 0x302
	v_dual_mul_f32 v192, v160, v109 :: v_dual_mul_f32 v193, v162, v111
	v_dual_add_f32 v65, v65, v181 :: v_dual_add_f32 v66, v66, v70
	v_mul_f32_e32 v70, v151, v99
	v_fma_f32 v69, v148, v96, -v69
	s_delay_alu instid0(VALU_DEP_4) | instskip(NEXT) | instid1(VALU_DEP_4)
	v_dual_fmac_f32 v190, v157, v104 :: v_dual_fmac_f32 v193, v163, v110
	v_dual_add_f32 v65, v65, v182 :: v_dual_add_f32 v66, v66, v68
	v_mul_f32_e32 v68, v153, v101
	v_fma_f32 v70, v150, v98, -v70
	v_fmac_f32_e32 v191, v159, v106
	s_delay_alu instid0(VALU_DEP_4) | instskip(SKIP_3) | instid1(VALU_DEP_4)
	v_dual_add_f32 v65, v65, v183 :: v_dual_add_f32 v66, v66, v69
	v_mul_f32_e32 v69, v155, v103
	v_fma_f32 v68, v152, v100, -v68
	v_fmac_f32_e32 v192, v161, v108
	v_dual_add_f32 v65, v65, v184 :: v_dual_add_f32 v66, v66, v70
	s_delay_alu instid0(VALU_DEP_4)
	v_fma_f32 v69, v154, v102, -v69
	v_mul_f32_e32 v70, v157, v105
	s_wait_loadcnt_dscnt 0x201
	v_dual_mul_f32 v194, v164, v113 :: v_dual_mul_f32 v195, v166, v115
	v_dual_add_f32 v65, v65, v185 :: v_dual_add_f32 v66, v66, v68
	v_mul_f32_e32 v68, v159, v107
	v_fma_f32 v70, v156, v104, -v70
	s_wait_loadcnt_dscnt 0x100
	v_dual_mul_f32 v196, v168, v117 :: v_dual_mul_f32 v197, v170, v119
	v_dual_add_f32 v65, v65, v186 :: v_dual_add_f32 v66, v66, v69
	v_mul_f32_e32 v69, v161, v109
	v_fma_f32 v68, v158, v106, -v68
	s_delay_alu instid0(VALU_DEP_4) | instskip(NEXT) | instid1(VALU_DEP_4)
	v_dual_fmac_f32 v194, v165, v112 :: v_dual_fmac_f32 v197, v171, v118
	v_dual_add_f32 v65, v65, v187 :: v_dual_add_f32 v66, v66, v70
	v_mul_f32_e32 v70, v163, v111
	v_fma_f32 v69, v160, v108, -v69
	v_fmac_f32_e32 v195, v167, v114
	s_delay_alu instid0(VALU_DEP_4)
	v_add_f32_e32 v65, v65, v188
	v_add_f32_e32 v66, v66, v68
	v_mul_f32_e32 v68, v165, v113
	v_fma_f32 v70, v162, v110, -v70
	v_fmac_f32_e32 v196, v169, v116
	v_add_f32_e32 v65, v65, v189
	v_dual_add_f32 v66, v66, v69 :: v_dual_mul_f32 v69, v167, v115
	v_fma_f32 v68, v164, v112, -v68
	s_delay_alu instid0(VALU_DEP_3) | instskip(NEXT) | instid1(VALU_DEP_3)
	v_add_f32_e32 v65, v65, v190
	v_add_f32_e32 v66, v66, v70
	v_mul_f32_e32 v70, v169, v117
	v_fma_f32 v69, v166, v114, -v69
	s_delay_alu instid0(VALU_DEP_3) | instskip(SKIP_1) | instid1(VALU_DEP_4)
	v_dual_add_f32 v65, v65, v191 :: v_dual_add_f32 v66, v66, v68
	v_mul_f32_e32 v68, v171, v119
	v_fma_f32 v70, v168, v116, -v70
	s_delay_alu instid0(VALU_DEP_3) | instskip(NEXT) | instid1(VALU_DEP_3)
	v_add_f32_e32 v65, v65, v192
	v_fma_f32 v68, v170, v118, -v68
	s_delay_alu instid0(VALU_DEP_2) | instskip(NEXT) | instid1(VALU_DEP_1)
	v_add_f32_e32 v65, v65, v193
	v_dual_add_f32 v65, v65, v194 :: v_dual_add_f32 v66, v66, v69
	s_delay_alu instid0(VALU_DEP_1) | instskip(NEXT) | instid1(VALU_DEP_1)
	v_dual_add_f32 v65, v65, v195 :: v_dual_add_f32 v66, v66, v70
	v_add_f32_e32 v65, v65, v196
	s_delay_alu instid0(VALU_DEP_2) | instskip(SKIP_1) | instid1(VALU_DEP_1)
	v_add_f32_e32 v66, v66, v68
	s_wait_loadcnt 0x0
	v_dual_add_f32 v68, v65, v197 :: v_dual_sub_f32 v65, v172, v66
	s_delay_alu instid0(VALU_DEP_1)
	v_sub_f32_e32 v66, v173, v68
	scratch_store_b64 off, v[65:66], off offset:40
	v_cmpx_lt_u32_e32 4, v0
	s_cbranch_execz .LBB31_197
; %bb.196:
	scratch_load_b64 v[65:66], off, off offset:32
	v_mov_b32_e32 v68, 0
	s_delay_alu instid0(VALU_DEP_1)
	v_mov_b32_e32 v69, v68
	scratch_store_b64 off, v[68:69], off offset:32
	s_wait_loadcnt 0x0
	ds_store_b64 v67, v[65:66]
.LBB31_197:
	s_wait_alu 0xfffe
	s_or_b32 exec_lo, exec_lo, s0
	s_wait_storecnt_dscnt 0x0
	s_barrier_signal -1
	s_barrier_wait -1
	global_inv scope:SCOPE_SE
	s_clause 0xe
	scratch_load_b128 v[68:71], off, off offset:40
	scratch_load_b128 v[72:75], off, off offset:56
	;; [unrolled: 1-line block ×13, first 2 shown]
	scratch_load_b64 v[172:173], off, off offset:248
	scratch_load_b64 v[174:175], off, off offset:32
	v_mov_b32_e32 v65, 0
	ds_load_2addr_b64 v[120:123], v65 offset0:37 offset1:38
	ds_load_2addr_b64 v[124:127], v65 offset0:39 offset1:40
	ds_load_2addr_b64 v[128:131], v65 offset0:41 offset1:42
	ds_load_2addr_b64 v[132:135], v65 offset0:43 offset1:44
	ds_load_2addr_b64 v[136:139], v65 offset0:45 offset1:46
	ds_load_2addr_b64 v[140:143], v65 offset0:47 offset1:48
	ds_load_2addr_b64 v[144:147], v65 offset0:49 offset1:50
	ds_load_2addr_b64 v[148:151], v65 offset0:51 offset1:52
	ds_load_2addr_b64 v[152:155], v65 offset0:53 offset1:54
	ds_load_2addr_b64 v[156:159], v65 offset0:55 offset1:56
	ds_load_2addr_b64 v[160:163], v65 offset0:57 offset1:58
	ds_load_2addr_b64 v[164:167], v65 offset0:59 offset1:60
	ds_load_2addr_b64 v[168:171], v65 offset0:61 offset1:62
	ds_load_b64 v[176:177], v65 offset:504
	s_mov_b32 s0, exec_lo
	s_wait_loadcnt_dscnt 0xe0d
	v_mul_f32_e32 v66, v120, v69
	s_wait_loadcnt_dscnt 0xd0c
	v_dual_mul_f32 v178, v122, v71 :: v_dual_mul_f32 v179, v124, v73
	v_mul_f32_e32 v71, v123, v71
	s_wait_loadcnt_dscnt 0xc0b
	v_dual_mul_f32 v180, v126, v75 :: v_dual_mul_f32 v181, v128, v77
	s_wait_loadcnt_dscnt 0xa09
	v_dual_mul_f32 v184, v134, v83 :: v_dual_mul_f32 v185, v136, v85
	v_mul_f32_e32 v69, v121, v69
	v_fmac_f32_e32 v66, v121, v68
	s_wait_loadcnt_dscnt 0x908
	v_dual_mul_f32 v186, v138, v87 :: v_dual_mul_f32 v187, v140, v89
	s_wait_loadcnt_dscnt 0x100
	v_dual_mul_f32 v200, v166, v115 :: v_dual_mul_f32 v203, v176, v173
	v_fma_f32 v69, v120, v68, -v69
	v_mul_f32_e32 v68, v125, v73
	v_fmac_f32_e32 v178, v123, v70
	v_fma_f32 v70, v122, v70, -v71
	v_dual_add_f32 v66, 0, v66 :: v_dual_mul_f32 v71, v127, v75
	v_add_f32_e32 v69, 0, v69
	v_fmac_f32_e32 v179, v125, v72
	v_fma_f32 v68, v124, v72, -v68
	s_delay_alu instid0(VALU_DEP_4)
	v_add_f32_e32 v66, v66, v178
	v_fma_f32 v71, v126, v74, -v71
	v_add_f32_e32 v69, v69, v70
	v_mul_f32_e32 v70, v129, v77
	v_dual_mul_f32 v188, v142, v91 :: v_dual_mul_f32 v189, v144, v93
	v_add_f32_e32 v66, v66, v179
	s_delay_alu instid0(VALU_DEP_4) | instskip(NEXT) | instid1(VALU_DEP_4)
	v_dual_add_f32 v68, v69, v68 :: v_dual_mul_f32 v69, v131, v79
	v_fma_f32 v70, v128, v76, -v70
	v_dual_fmac_f32 v180, v127, v74 :: v_dual_fmac_f32 v181, v129, v76
	s_delay_alu instid0(VALU_DEP_3) | instskip(NEXT) | instid1(VALU_DEP_4)
	v_dual_add_f32 v68, v68, v71 :: v_dual_mul_f32 v71, v133, v81
	v_fma_f32 v69, v130, v78, -v69
	v_dual_fmac_f32 v185, v137, v84 :: v_dual_mul_f32 v190, v146, v95
	v_mul_f32_e32 v191, v148, v97
	s_delay_alu instid0(VALU_DEP_4) | instskip(SKIP_3) | instid1(VALU_DEP_4)
	v_add_f32_e32 v68, v68, v70
	v_dual_mul_f32 v70, v135, v83 :: v_dual_fmac_f32 v187, v141, v88
	v_fma_f32 v71, v132, v80, -v71
	v_add_f32_e32 v66, v66, v180
	v_dual_add_f32 v68, v68, v69 :: v_dual_fmac_f32 v189, v145, v92
	v_mul_f32_e32 v69, v137, v85
	v_fma_f32 v70, v134, v82, -v70
	s_delay_alu instid0(VALU_DEP_3) | instskip(SKIP_1) | instid1(VALU_DEP_4)
	v_dual_fmac_f32 v191, v149, v96 :: v_dual_add_f32 v68, v68, v71
	v_mul_f32_e32 v71, v139, v87
	v_fma_f32 v69, v136, v84, -v69
	v_dual_mul_f32 v182, v130, v79 :: v_dual_mul_f32 v183, v132, v81
	s_delay_alu instid0(VALU_DEP_4) | instskip(SKIP_3) | instid1(VALU_DEP_4)
	v_add_f32_e32 v68, v68, v70
	v_dual_mul_f32 v194, v154, v103 :: v_dual_mul_f32 v195, v156, v105
	v_mul_f32_e32 v70, v141, v89
	v_fma_f32 v71, v138, v86, -v71
	v_add_f32_e32 v68, v68, v69
	v_dual_fmac_f32 v182, v131, v78 :: v_dual_fmac_f32 v183, v133, v80
	v_dual_add_f32 v66, v66, v181 :: v_dual_mul_f32 v69, v143, v91
	v_fma_f32 v70, v140, v88, -v70
	s_delay_alu instid0(VALU_DEP_4) | instskip(NEXT) | instid1(VALU_DEP_3)
	v_dual_fmac_f32 v195, v157, v104 :: v_dual_add_f32 v68, v68, v71
	v_dual_add_f32 v66, v66, v182 :: v_dual_mul_f32 v71, v145, v93
	s_delay_alu instid0(VALU_DEP_4) | instskip(SKIP_1) | instid1(VALU_DEP_4)
	v_fma_f32 v69, v142, v90, -v69
	v_fmac_f32_e32 v184, v135, v82
	v_add_f32_e32 v68, v68, v70
	v_mul_f32_e32 v70, v147, v95
	v_fma_f32 v71, v144, v92, -v71
	v_dual_fmac_f32 v203, v177, v172 :: v_dual_mul_f32 v192, v150, v99
	v_mul_f32_e32 v193, v152, v101
	v_add_f32_e32 v68, v68, v69
	v_mul_f32_e32 v69, v149, v97
	v_fma_f32 v70, v146, v94, -v70
	s_delay_alu instid0(VALU_DEP_4) | instskip(NEXT) | instid1(VALU_DEP_4)
	v_dual_add_f32 v66, v66, v183 :: v_dual_fmac_f32 v193, v153, v100
	v_add_f32_e32 v68, v68, v71
	v_mul_f32_e32 v71, v151, v99
	v_fma_f32 v69, v148, v96, -v69
	s_delay_alu instid0(VALU_DEP_4)
	v_add_f32_e32 v66, v66, v184
	v_fmac_f32_e32 v186, v139, v86
	v_add_f32_e32 v68, v68, v70
	v_mul_f32_e32 v70, v153, v101
	v_fma_f32 v71, v150, v98, -v71
	v_dual_mul_f32 v196, v158, v107 :: v_dual_mul_f32 v197, v160, v109
	s_delay_alu instid0(VALU_DEP_4) | instskip(NEXT) | instid1(VALU_DEP_4)
	v_dual_add_f32 v68, v68, v69 :: v_dual_mul_f32 v69, v155, v103
	v_fma_f32 v70, v152, v100, -v70
	s_delay_alu instid0(VALU_DEP_3) | instskip(NEXT) | instid1(VALU_DEP_3)
	v_dual_add_f32 v66, v66, v185 :: v_dual_fmac_f32 v197, v161, v108
	v_dual_add_f32 v68, v68, v71 :: v_dual_mul_f32 v71, v157, v105
	s_delay_alu instid0(VALU_DEP_4) | instskip(NEXT) | instid1(VALU_DEP_3)
	v_fma_f32 v69, v154, v102, -v69
	v_add_f32_e32 v66, v66, v186
	v_dual_mul_f32 v198, v162, v111 :: v_dual_mul_f32 v199, v164, v113
	s_delay_alu instid0(VALU_DEP_4) | instskip(SKIP_3) | instid1(VALU_DEP_4)
	v_add_f32_e32 v68, v68, v70
	v_mul_f32_e32 v70, v159, v107
	v_fma_f32 v71, v156, v104, -v71
	v_dual_mul_f32 v201, v168, v117 :: v_dual_mul_f32 v202, v170, v119
	v_add_f32_e32 v68, v68, v69
	v_mul_f32_e32 v69, v161, v109
	v_fma_f32 v70, v158, v106, -v70
	v_dual_fmac_f32 v188, v143, v90 :: v_dual_fmac_f32 v199, v165, v112
	s_delay_alu instid0(VALU_DEP_4) | instskip(NEXT) | instid1(VALU_DEP_4)
	v_add_f32_e32 v68, v68, v71
	v_fma_f32 v69, v160, v108, -v69
	v_dual_fmac_f32 v201, v169, v116 :: v_dual_fmac_f32 v190, v147, v94
	v_fmac_f32_e32 v192, v151, v98
	s_delay_alu instid0(VALU_DEP_4) | instskip(SKIP_3) | instid1(VALU_DEP_4)
	v_add_f32_e32 v68, v68, v70
	v_fmac_f32_e32 v194, v155, v102
	v_fmac_f32_e32 v196, v159, v106
	v_dual_mul_f32 v71, v163, v111 :: v_dual_mul_f32 v70, v165, v113
	v_dual_add_f32 v68, v68, v69 :: v_dual_mul_f32 v69, v167, v115
	v_add_f32_e32 v66, v66, v187
	v_fmac_f32_e32 v198, v163, v110
	s_delay_alu instid0(VALU_DEP_4)
	v_fma_f32 v71, v162, v110, -v71
	v_fma_f32 v70, v164, v112, -v70
	v_fmac_f32_e32 v200, v167, v114
	v_add_f32_e32 v66, v66, v188
	v_fma_f32 v69, v166, v114, -v69
	v_dual_add_f32 v68, v68, v71 :: v_dual_mul_f32 v71, v169, v117
	v_fmac_f32_e32 v202, v171, v118
	s_delay_alu instid0(VALU_DEP_4) | instskip(NEXT) | instid1(VALU_DEP_3)
	v_add_f32_e32 v66, v66, v189
	v_add_f32_e32 v68, v68, v70
	v_mul_f32_e32 v70, v171, v119
	v_fma_f32 v71, v168, v116, -v71
	s_delay_alu instid0(VALU_DEP_4) | instskip(NEXT) | instid1(VALU_DEP_4)
	v_add_f32_e32 v66, v66, v190
	v_add_f32_e32 v68, v68, v69
	v_mul_f32_e32 v69, v177, v173
	v_fma_f32 v70, v170, v118, -v70
	s_delay_alu instid0(VALU_DEP_4) | instskip(NEXT) | instid1(VALU_DEP_4)
	v_add_f32_e32 v66, v66, v191
	v_add_f32_e32 v68, v68, v71
	s_delay_alu instid0(VALU_DEP_4) | instskip(NEXT) | instid1(VALU_DEP_3)
	v_fma_f32 v69, v176, v172, -v69
	v_add_f32_e32 v66, v66, v192
	s_delay_alu instid0(VALU_DEP_3) | instskip(NEXT) | instid1(VALU_DEP_2)
	v_add_f32_e32 v68, v68, v70
	v_add_f32_e32 v66, v66, v193
	s_delay_alu instid0(VALU_DEP_2) | instskip(NEXT) | instid1(VALU_DEP_2)
	v_add_f32_e32 v68, v68, v69
	v_add_f32_e32 v66, v66, v194
	s_wait_loadcnt 0x0
	s_delay_alu instid0(VALU_DEP_2) | instskip(NEXT) | instid1(VALU_DEP_2)
	v_sub_f32_e32 v68, v174, v68
	v_add_f32_e32 v66, v66, v195
	s_delay_alu instid0(VALU_DEP_1) | instskip(NEXT) | instid1(VALU_DEP_1)
	v_add_f32_e32 v66, v66, v196
	v_add_f32_e32 v66, v66, v197
	s_delay_alu instid0(VALU_DEP_1) | instskip(NEXT) | instid1(VALU_DEP_1)
	v_add_f32_e32 v66, v66, v198
	;; [unrolled: 3-line block ×4, first 2 shown]
	v_add_f32_e32 v66, v66, v203
	s_delay_alu instid0(VALU_DEP_1)
	v_sub_f32_e32 v69, v175, v66
	scratch_store_b64 off, v[68:69], off offset:32
	v_cmpx_lt_u32_e32 3, v0
	s_cbranch_execz .LBB31_199
; %bb.198:
	scratch_load_b64 v[68:69], off, off offset:24
	v_mov_b32_e32 v66, v65
	scratch_store_b64 off, v[65:66], off offset:24
	s_wait_loadcnt 0x0
	ds_store_b64 v67, v[68:69]
.LBB31_199:
	s_wait_alu 0xfffe
	s_or_b32 exec_lo, exec_lo, s0
	s_wait_storecnt_dscnt 0x0
	s_barrier_signal -1
	s_barrier_wait -1
	global_inv scope:SCOPE_SE
	s_clause 0xe
	scratch_load_b128 v[68:71], off, off offset:32
	scratch_load_b128 v[72:75], off, off offset:48
	;; [unrolled: 1-line block ×14, first 2 shown]
	scratch_load_b64 v[180:181], off, off offset:24
	ds_load_b128 v[124:127], v65 offset:288
	ds_load_b128 v[128:131], v65 offset:304
	;; [unrolled: 1-line block ×14, first 2 shown]
	s_mov_b32 s0, exec_lo
	s_wait_loadcnt_dscnt 0xe0d
	v_dual_mul_f32 v65, v124, v69 :: v_dual_mul_f32 v66, v126, v71
	v_mul_f32_e32 v69, v125, v69
	s_wait_loadcnt_dscnt 0xd0c
	v_dual_mul_f32 v71, v127, v71 :: v_dual_mul_f32 v182, v128, v73
	s_delay_alu instid0(VALU_DEP_3) | instskip(NEXT) | instid1(VALU_DEP_3)
	v_dual_mul_f32 v183, v130, v75 :: v_dual_fmac_f32 v66, v127, v70
	v_fma_f32 v69, v124, v68, -v69
	v_fmac_f32_e32 v65, v125, v68
	v_mul_f32_e32 v68, v129, v73
	v_fma_f32 v70, v126, v70, -v71
	v_mul_f32_e32 v71, v131, v75
	v_dual_add_f32 v69, 0, v69 :: v_dual_fmac_f32 v182, v129, v72
	s_delay_alu instid0(VALU_DEP_4) | instskip(SKIP_2) | instid1(VALU_DEP_3)
	v_fma_f32 v68, v128, v72, -v68
	s_wait_loadcnt_dscnt 0xc0b
	v_dual_mul_f32 v184, v132, v77 :: v_dual_mul_f32 v185, v134, v79
	v_add_f32_e32 v69, v69, v70
	v_fmac_f32_e32 v183, v131, v74
	v_fma_f32 v70, v130, v74, -v71
	s_wait_loadcnt_dscnt 0xb0a
	v_dual_mul_f32 v186, v136, v81 :: v_dual_mul_f32 v187, v138, v83
	v_dual_add_f32 v68, v69, v68 :: v_dual_mul_f32 v69, v135, v79
	v_fmac_f32_e32 v184, v133, v76
	s_wait_loadcnt_dscnt 0xa09
	v_dual_mul_f32 v188, v140, v85 :: v_dual_mul_f32 v189, v142, v87
	s_delay_alu instid0(VALU_DEP_3) | instskip(SKIP_3) | instid1(VALU_DEP_4)
	v_dual_add_f32 v68, v68, v70 :: v_dual_add_f32 v65, 0, v65
	v_mul_f32_e32 v70, v137, v81
	v_fma_f32 v69, v134, v78, -v69
	v_dual_fmac_f32 v185, v135, v78 :: v_dual_fmac_f32 v186, v137, v80
	v_add_f32_e32 v65, v65, v66
	v_mul_f32_e32 v66, v133, v77
	v_fma_f32 v70, v136, v80, -v70
	v_dual_fmac_f32 v187, v139, v82 :: v_dual_fmac_f32 v188, v141, v84
	s_wait_loadcnt_dscnt 0x908
	v_dual_mul_f32 v190, v144, v89 :: v_dual_mul_f32 v191, v146, v91
	v_fma_f32 v66, v132, v76, -v66
	s_wait_loadcnt_dscnt 0x807
	v_dual_mul_f32 v192, v148, v93 :: v_dual_mul_f32 v193, v150, v95
	s_wait_loadcnt_dscnt 0x706
	v_dual_mul_f32 v194, v152, v97 :: v_dual_mul_f32 v195, v154, v99
	v_add_f32_e32 v66, v68, v66
	v_mul_f32_e32 v68, v139, v83
	v_dual_fmac_f32 v192, v149, v92 :: v_dual_fmac_f32 v193, v151, v94
	s_delay_alu instid0(VALU_DEP_4) | instskip(NEXT) | instid1(VALU_DEP_4)
	v_dual_fmac_f32 v194, v153, v96 :: v_dual_fmac_f32 v195, v155, v98
	v_dual_add_f32 v66, v66, v69 :: v_dual_add_f32 v65, v65, v182
	v_mul_f32_e32 v69, v141, v85
	v_fma_f32 v68, v138, v82, -v68
	v_fmac_f32_e32 v189, v143, v86
	s_delay_alu instid0(VALU_DEP_4)
	v_add_f32_e32 v66, v66, v70
	v_mul_f32_e32 v70, v143, v87
	v_add_f32_e32 v65, v65, v183
	v_fma_f32 v69, v140, v84, -v69
	v_fmac_f32_e32 v190, v145, v88
	v_add_f32_e32 v66, v66, v68
	v_mul_f32_e32 v68, v145, v89
	v_add_f32_e32 v65, v65, v184
	v_fma_f32 v70, v142, v86, -v70
	s_delay_alu instid0(VALU_DEP_4) | instskip(SKIP_1) | instid1(VALU_DEP_4)
	v_dual_fmac_f32 v191, v147, v90 :: v_dual_add_f32 v66, v66, v69
	v_mul_f32_e32 v69, v147, v91
	v_add_f32_e32 v65, v65, v185
	v_fma_f32 v68, v144, v88, -v68
	s_wait_loadcnt_dscnt 0x605
	v_dual_mul_f32 v196, v156, v101 :: v_dual_mul_f32 v197, v158, v103
	v_add_f32_e32 v66, v66, v70
	v_add_f32_e32 v65, v65, v186
	v_fma_f32 v69, v146, v90, -v69
	v_mul_f32_e32 v70, v149, v93
	s_wait_loadcnt_dscnt 0x504
	v_dual_mul_f32 v198, v160, v105 :: v_dual_mul_f32 v199, v162, v107
	v_dual_add_f32 v66, v66, v68 :: v_dual_add_f32 v65, v65, v187
	v_mul_f32_e32 v68, v151, v95
	v_fma_f32 v70, v148, v92, -v70
	v_dual_fmac_f32 v196, v157, v100 :: v_dual_fmac_f32 v197, v159, v102
	s_delay_alu instid0(VALU_DEP_4)
	v_dual_add_f32 v66, v66, v69 :: v_dual_add_f32 v65, v65, v188
	v_mul_f32_e32 v69, v153, v97
	v_fma_f32 v68, v150, v94, -v68
	s_wait_loadcnt_dscnt 0x403
	v_dual_mul_f32 v200, v164, v109 :: v_dual_mul_f32 v201, v166, v111
	v_dual_add_f32 v65, v65, v189 :: v_dual_add_f32 v66, v66, v70
	v_mul_f32_e32 v70, v155, v99
	v_fma_f32 v69, v152, v96, -v69
	s_delay_alu instid0(VALU_DEP_4) | instskip(NEXT) | instid1(VALU_DEP_4)
	v_dual_fmac_f32 v198, v161, v104 :: v_dual_fmac_f32 v201, v167, v110
	v_dual_add_f32 v65, v65, v190 :: v_dual_add_f32 v66, v66, v68
	v_mul_f32_e32 v68, v157, v101
	v_fma_f32 v70, v154, v98, -v70
	v_fmac_f32_e32 v199, v163, v106
	s_delay_alu instid0(VALU_DEP_4)
	v_dual_add_f32 v65, v65, v191 :: v_dual_add_f32 v66, v66, v69
	v_mul_f32_e32 v69, v159, v103
	v_fma_f32 v68, v156, v100, -v68
	s_wait_loadcnt_dscnt 0x302
	v_dual_mul_f32 v202, v168, v113 :: v_dual_mul_f32 v203, v170, v115
	v_dual_add_f32 v65, v65, v192 :: v_dual_add_f32 v66, v66, v70
	v_mul_f32_e32 v70, v161, v105
	v_fma_f32 v69, v158, v102, -v69
	v_fmac_f32_e32 v200, v165, v108
	s_delay_alu instid0(VALU_DEP_4)
	v_dual_add_f32 v65, v65, v193 :: v_dual_add_f32 v66, v66, v68
	v_mul_f32_e32 v68, v163, v107
	v_fma_f32 v70, v160, v104, -v70
	s_wait_loadcnt_dscnt 0x201
	v_dual_mul_f32 v204, v172, v117 :: v_dual_mul_f32 v205, v174, v119
	v_dual_add_f32 v65, v65, v194 :: v_dual_add_f32 v66, v66, v69
	v_mul_f32_e32 v69, v165, v109
	v_fma_f32 v68, v162, v106, -v68
	v_fmac_f32_e32 v203, v171, v114
	s_delay_alu instid0(VALU_DEP_4)
	v_dual_add_f32 v65, v65, v195 :: v_dual_add_f32 v66, v66, v70
	v_mul_f32_e32 v70, v167, v111
	v_fma_f32 v69, v164, v108, -v69
	s_wait_loadcnt_dscnt 0x100
	v_dual_mul_f32 v206, v176, v121 :: v_dual_mul_f32 v207, v178, v123
	v_add_f32_e32 v65, v65, v196
	v_add_f32_e32 v66, v66, v68
	v_mul_f32_e32 v68, v169, v113
	v_fma_f32 v70, v166, v110, -v70
	v_dual_fmac_f32 v202, v169, v112 :: v_dual_fmac_f32 v205, v175, v118
	v_add_f32_e32 v65, v65, v197
	v_dual_add_f32 v66, v66, v69 :: v_dual_mul_f32 v69, v171, v115
	v_fma_f32 v68, v168, v112, -v68
	v_fmac_f32_e32 v207, v179, v122
	s_delay_alu instid0(VALU_DEP_4) | instskip(NEXT) | instid1(VALU_DEP_4)
	v_add_f32_e32 v65, v65, v198
	v_add_f32_e32 v66, v66, v70
	v_mul_f32_e32 v70, v173, v117
	v_fma_f32 v69, v170, v114, -v69
	v_fmac_f32_e32 v206, v177, v120
	s_delay_alu instid0(VALU_DEP_4) | instskip(SKIP_2) | instid1(VALU_DEP_3)
	v_dual_add_f32 v65, v65, v199 :: v_dual_add_f32 v66, v66, v68
	v_mul_f32_e32 v68, v175, v119
	v_fma_f32 v70, v172, v116, -v70
	v_add_f32_e32 v65, v65, v200
	s_delay_alu instid0(VALU_DEP_3) | instskip(NEXT) | instid1(VALU_DEP_2)
	v_fma_f32 v68, v174, v118, -v68
	v_add_f32_e32 v65, v65, v201
	s_delay_alu instid0(VALU_DEP_1) | instskip(NEXT) | instid1(VALU_DEP_1)
	v_dual_add_f32 v65, v65, v202 :: v_dual_add_f32 v66, v66, v69
	v_add_f32_e32 v65, v65, v203
	s_delay_alu instid0(VALU_DEP_2) | instskip(SKIP_1) | instid1(VALU_DEP_2)
	v_dual_mul_f32 v69, v177, v121 :: v_dual_add_f32 v66, v66, v70
	v_mul_f32_e32 v70, v179, v123
	v_fma_f32 v69, v176, v120, -v69
	s_delay_alu instid0(VALU_DEP_3) | instskip(NEXT) | instid1(VALU_DEP_3)
	v_add_f32_e32 v66, v66, v68
	v_fma_f32 v68, v178, v122, -v70
	s_delay_alu instid0(VALU_DEP_2) | instskip(NEXT) | instid1(VALU_DEP_1)
	v_add_f32_e32 v66, v66, v69
	v_add_f32_e32 v66, v66, v68
	v_fmac_f32_e32 v204, v173, v116
	s_delay_alu instid0(VALU_DEP_1) | instskip(NEXT) | instid1(VALU_DEP_1)
	v_add_f32_e32 v65, v65, v204
	v_add_f32_e32 v65, v65, v205
	s_delay_alu instid0(VALU_DEP_1) | instskip(SKIP_1) | instid1(VALU_DEP_1)
	v_add_f32_e32 v65, v65, v206
	s_wait_loadcnt 0x0
	v_dual_add_f32 v68, v65, v207 :: v_dual_sub_f32 v65, v180, v66
	s_delay_alu instid0(VALU_DEP_1)
	v_sub_f32_e32 v66, v181, v68
	scratch_store_b64 off, v[65:66], off offset:24
	v_cmpx_lt_u32_e32 2, v0
	s_cbranch_execz .LBB31_201
; %bb.200:
	scratch_load_b64 v[65:66], off, off offset:16
	v_mov_b32_e32 v68, 0
	s_delay_alu instid0(VALU_DEP_1)
	v_mov_b32_e32 v69, v68
	scratch_store_b64 off, v[68:69], off offset:16
	s_wait_loadcnt 0x0
	ds_store_b64 v67, v[65:66]
.LBB31_201:
	s_wait_alu 0xfffe
	s_or_b32 exec_lo, exec_lo, s0
	s_wait_storecnt_dscnt 0x0
	s_barrier_signal -1
	s_barrier_wait -1
	global_inv scope:SCOPE_SE
	s_clause 0xf
	scratch_load_b128 v[68:71], off, off offset:24
	scratch_load_b128 v[72:75], off, off offset:40
	;; [unrolled: 1-line block ×14, first 2 shown]
	scratch_load_b64 v[180:181], off, off offset:248
	scratch_load_b64 v[182:183], off, off offset:16
	v_mov_b32_e32 v65, 0
	ds_load_2addr_b64 v[124:127], v65 offset0:35 offset1:36
	ds_load_2addr_b64 v[128:131], v65 offset0:37 offset1:38
	;; [unrolled: 1-line block ×14, first 2 shown]
	ds_load_b64 v[184:185], v65 offset:504
	s_mov_b32 s0, exec_lo
	s_wait_loadcnt_dscnt 0xf0e
	v_mul_f32_e32 v66, v124, v69
	s_wait_loadcnt_dscnt 0xe0d
	v_dual_mul_f32 v186, v126, v71 :: v_dual_mul_f32 v187, v128, v73
	v_mul_f32_e32 v71, v127, v71
	s_wait_loadcnt_dscnt 0xd0c
	v_dual_mul_f32 v188, v130, v75 :: v_dual_mul_f32 v189, v132, v77
	s_wait_loadcnt_dscnt 0xb0a
	v_dual_mul_f32 v192, v138, v83 :: v_dual_mul_f32 v193, v140, v85
	v_dual_mul_f32 v69, v125, v69 :: v_dual_mul_f32 v194, v142, v87
	s_wait_loadcnt_dscnt 0xa09
	v_dual_mul_f32 v195, v144, v89 :: v_dual_fmac_f32 v66, v125, v68
	s_wait_loadcnt_dscnt 0x302
	v_mul_f32_e32 v210, v174, v119
	v_fma_f32 v69, v124, v68, -v69
	s_wait_loadcnt_dscnt 0x100
	v_mul_f32_e32 v213, v184, v181
	v_mul_f32_e32 v68, v129, v73
	v_fmac_f32_e32 v186, v127, v70
	v_fma_f32 v70, v126, v70, -v71
	v_dual_add_f32 v69, 0, v69 :: v_dual_add_f32 v66, 0, v66
	v_mul_f32_e32 v71, v131, v75
	v_fmac_f32_e32 v187, v129, v72
	v_fma_f32 v68, v128, v72, -v68
	v_dual_mul_f32 v196, v146, v91 :: v_dual_mul_f32 v197, v148, v93
	v_add_f32_e32 v66, v66, v186
	v_add_f32_e32 v69, v69, v70
	v_mul_f32_e32 v70, v133, v77
	v_fma_f32 v71, v130, v74, -v71
	v_dual_fmac_f32 v188, v131, v74 :: v_dual_fmac_f32 v189, v133, v76
	v_add_f32_e32 v66, v66, v187
	v_dual_add_f32 v68, v69, v68 :: v_dual_mul_f32 v69, v135, v79
	v_fma_f32 v70, v132, v76, -v70
	v_dual_mul_f32 v198, v150, v95 :: v_dual_mul_f32 v199, v152, v97
	s_delay_alu instid0(VALU_DEP_3) | instskip(NEXT) | instid1(VALU_DEP_4)
	v_dual_add_f32 v68, v68, v71 :: v_dual_mul_f32 v71, v137, v81
	v_fma_f32 v69, v134, v78, -v69
	v_fmac_f32_e32 v193, v141, v84
	v_add_f32_e32 v66, v66, v188
	s_delay_alu instid0(VALU_DEP_4) | instskip(SKIP_2) | instid1(VALU_DEP_3)
	v_add_f32_e32 v68, v68, v70
	v_dual_mul_f32 v70, v139, v83 :: v_dual_fmac_f32 v195, v145, v88
	v_fma_f32 v71, v136, v80, -v71
	v_dual_fmac_f32 v197, v149, v92 :: v_dual_add_f32 v68, v68, v69
	v_mul_f32_e32 v69, v141, v85
	s_delay_alu instid0(VALU_DEP_4)
	v_fma_f32 v70, v138, v82, -v70
	v_dual_fmac_f32 v199, v153, v96 :: v_dual_mul_f32 v190, v134, v79
	v_mul_f32_e32 v191, v136, v81
	v_add_f32_e32 v68, v68, v71
	v_mul_f32_e32 v71, v143, v87
	v_fma_f32 v69, v140, v84, -v69
	v_dual_mul_f32 v202, v158, v103 :: v_dual_mul_f32 v203, v160, v105
	s_delay_alu instid0(VALU_DEP_4) | instskip(SKIP_3) | instid1(VALU_DEP_4)
	v_add_f32_e32 v68, v68, v70
	v_mul_f32_e32 v70, v145, v89
	v_fma_f32 v71, v142, v86, -v71
	v_dual_fmac_f32 v190, v135, v78 :: v_dual_fmac_f32 v191, v137, v80
	v_dual_add_f32 v68, v68, v69 :: v_dual_fmac_f32 v203, v161, v104
	v_dual_add_f32 v66, v66, v189 :: v_dual_mul_f32 v69, v147, v91
	v_fma_f32 v70, v144, v88, -v70
	s_delay_alu instid0(VALU_DEP_3) | instskip(NEXT) | instid1(VALU_DEP_3)
	v_dual_add_f32 v68, v68, v71 :: v_dual_mul_f32 v71, v149, v93
	v_add_f32_e32 v66, v66, v190
	s_delay_alu instid0(VALU_DEP_4) | instskip(SKIP_1) | instid1(VALU_DEP_4)
	v_fma_f32 v69, v146, v90, -v69
	v_fmac_f32_e32 v192, v139, v82
	v_add_f32_e32 v68, v68, v70
	v_mul_f32_e32 v70, v151, v95
	v_fma_f32 v71, v148, v92, -v71
	v_dual_mul_f32 v200, v154, v99 :: v_dual_mul_f32 v201, v156, v101
	s_delay_alu instid0(VALU_DEP_4) | instskip(SKIP_3) | instid1(VALU_DEP_4)
	v_add_f32_e32 v68, v68, v69
	v_mul_f32_e32 v69, v153, v97
	v_fma_f32 v70, v150, v94, -v70
	v_dual_fmac_f32 v213, v185, v180 :: v_dual_add_f32 v66, v66, v191
	v_dual_fmac_f32 v201, v157, v100 :: v_dual_add_f32 v68, v68, v71
	v_mul_f32_e32 v71, v155, v99
	v_fma_f32 v69, v152, v96, -v69
	s_delay_alu instid0(VALU_DEP_4)
	v_add_f32_e32 v66, v66, v192
	v_fmac_f32_e32 v194, v143, v86
	v_add_f32_e32 v68, v68, v70
	v_mul_f32_e32 v70, v157, v101
	v_fma_f32 v71, v154, v98, -v71
	v_dual_mul_f32 v204, v162, v107 :: v_dual_mul_f32 v205, v164, v109
	s_delay_alu instid0(VALU_DEP_4) | instskip(NEXT) | instid1(VALU_DEP_4)
	v_dual_add_f32 v68, v68, v69 :: v_dual_mul_f32 v69, v159, v103
	v_fma_f32 v70, v156, v100, -v70
	s_delay_alu instid0(VALU_DEP_3) | instskip(NEXT) | instid1(VALU_DEP_3)
	v_dual_add_f32 v66, v66, v193 :: v_dual_fmac_f32 v205, v165, v108
	v_dual_add_f32 v68, v68, v71 :: v_dual_mul_f32 v71, v161, v105
	s_delay_alu instid0(VALU_DEP_4) | instskip(NEXT) | instid1(VALU_DEP_3)
	v_fma_f32 v69, v158, v102, -v69
	v_add_f32_e32 v66, v66, v194
	v_dual_mul_f32 v206, v166, v111 :: v_dual_mul_f32 v207, v168, v113
	s_delay_alu instid0(VALU_DEP_4) | instskip(SKIP_3) | instid1(VALU_DEP_4)
	v_add_f32_e32 v68, v68, v70
	v_mul_f32_e32 v70, v163, v107
	v_fma_f32 v71, v160, v104, -v71
	v_dual_mul_f32 v208, v170, v115 :: v_dual_mul_f32 v209, v172, v117
	v_add_f32_e32 v68, v68, v69
	v_mul_f32_e32 v69, v165, v109
	v_fma_f32 v70, v162, v106, -v70
	v_dual_fmac_f32 v196, v147, v90 :: v_dual_fmac_f32 v207, v169, v112
	s_delay_alu instid0(VALU_DEP_4) | instskip(NEXT) | instid1(VALU_DEP_4)
	v_add_f32_e32 v68, v68, v71
	v_fma_f32 v69, v164, v108, -v69
	v_dual_mul_f32 v211, v176, v121 :: v_dual_mul_f32 v212, v178, v123
	s_delay_alu instid0(VALU_DEP_3) | instskip(NEXT) | instid1(VALU_DEP_2)
	v_dual_fmac_f32 v209, v173, v116 :: v_dual_add_f32 v68, v68, v70
	v_dual_fmac_f32 v198, v151, v94 :: v_dual_fmac_f32 v211, v177, v120
	v_fmac_f32_e32 v200, v155, v98
	v_fmac_f32_e32 v202, v159, v102
	s_delay_alu instid0(VALU_DEP_4) | instskip(SKIP_4) | instid1(VALU_DEP_4)
	v_dual_add_f32 v68, v68, v69 :: v_dual_mul_f32 v69, v171, v115
	v_add_f32_e32 v66, v66, v195
	v_fmac_f32_e32 v204, v163, v106
	v_dual_mul_f32 v71, v167, v111 :: v_dual_mul_f32 v70, v169, v113
	v_fmac_f32_e32 v206, v167, v110
	v_add_f32_e32 v66, v66, v196
	v_fmac_f32_e32 v208, v171, v114
	s_delay_alu instid0(VALU_DEP_4)
	v_fma_f32 v71, v166, v110, -v71
	v_fma_f32 v70, v168, v112, -v70
	;; [unrolled: 1-line block ×3, first 2 shown]
	v_add_f32_e32 v66, v66, v197
	v_fmac_f32_e32 v210, v175, v118
	v_dual_add_f32 v68, v68, v71 :: v_dual_mul_f32 v71, v173, v117
	v_fmac_f32_e32 v212, v179, v122
	s_delay_alu instid0(VALU_DEP_4) | instskip(NEXT) | instid1(VALU_DEP_3)
	v_add_f32_e32 v66, v66, v198
	v_add_f32_e32 v68, v68, v70
	v_mul_f32_e32 v70, v175, v119
	v_fma_f32 v71, v172, v116, -v71
	s_delay_alu instid0(VALU_DEP_4) | instskip(NEXT) | instid1(VALU_DEP_4)
	v_add_f32_e32 v66, v66, v199
	v_add_f32_e32 v68, v68, v69
	v_mul_f32_e32 v69, v177, v121
	v_fma_f32 v70, v174, v118, -v70
	s_delay_alu instid0(VALU_DEP_4) | instskip(NEXT) | instid1(VALU_DEP_4)
	;; [unrolled: 5-line block ×4, first 2 shown]
	v_add_f32_e32 v66, v66, v202
	v_add_f32_e32 v68, v68, v69
	s_delay_alu instid0(VALU_DEP_4) | instskip(NEXT) | instid1(VALU_DEP_3)
	v_fma_f32 v69, v184, v180, -v70
	v_add_f32_e32 v66, v66, v203
	s_delay_alu instid0(VALU_DEP_3) | instskip(NEXT) | instid1(VALU_DEP_2)
	v_add_f32_e32 v68, v68, v71
	v_add_f32_e32 v66, v66, v204
	s_delay_alu instid0(VALU_DEP_2) | instskip(NEXT) | instid1(VALU_DEP_2)
	v_add_f32_e32 v68, v68, v69
	v_add_f32_e32 v66, v66, v205
	s_wait_loadcnt 0x0
	s_delay_alu instid0(VALU_DEP_2) | instskip(NEXT) | instid1(VALU_DEP_2)
	v_sub_f32_e32 v68, v182, v68
	v_add_f32_e32 v66, v66, v206
	s_delay_alu instid0(VALU_DEP_1) | instskip(NEXT) | instid1(VALU_DEP_1)
	v_add_f32_e32 v66, v66, v207
	v_add_f32_e32 v66, v66, v208
	s_delay_alu instid0(VALU_DEP_1) | instskip(NEXT) | instid1(VALU_DEP_1)
	v_add_f32_e32 v66, v66, v209
	v_add_f32_e32 v66, v66, v210
	s_delay_alu instid0(VALU_DEP_1) | instskip(NEXT) | instid1(VALU_DEP_1)
	v_add_f32_e32 v66, v66, v211
	v_add_f32_e32 v66, v66, v212
	s_delay_alu instid0(VALU_DEP_1) | instskip(NEXT) | instid1(VALU_DEP_1)
	v_add_f32_e32 v66, v66, v213
	v_sub_f32_e32 v69, v183, v66
	scratch_store_b64 off, v[68:69], off offset:16
	v_cmpx_lt_u32_e32 1, v0
	s_cbranch_execz .LBB31_203
; %bb.202:
	scratch_load_b64 v[68:69], off, off offset:8
	v_mov_b32_e32 v66, v65
	scratch_store_b64 off, v[65:66], off offset:8
	s_wait_loadcnt 0x0
	ds_store_b64 v67, v[68:69]
.LBB31_203:
	s_wait_alu 0xfffe
	s_or_b32 exec_lo, exec_lo, s0
	s_wait_storecnt_dscnt 0x0
	s_barrier_signal -1
	s_barrier_wait -1
	global_inv scope:SCOPE_SE
	s_clause 0xf
	scratch_load_b128 v[68:71], off, off offset:16
	scratch_load_b128 v[72:75], off, off offset:32
	scratch_load_b128 v[76:79], off, off offset:48
	scratch_load_b128 v[80:83], off, off offset:64
	scratch_load_b128 v[84:87], off, off offset:80
	scratch_load_b128 v[88:91], off, off offset:96
	scratch_load_b128 v[92:95], off, off offset:112
	scratch_load_b128 v[96:99], off, off offset:128
	scratch_load_b128 v[100:103], off, off offset:144
	scratch_load_b128 v[104:107], off, off offset:160
	scratch_load_b128 v[108:111], off, off offset:176
	scratch_load_b128 v[112:115], off, off offset:192
	scratch_load_b128 v[116:119], off, off offset:208
	scratch_load_b128 v[120:123], off, off offset:224
	scratch_load_b128 v[124:127], off, off offset:240
	scratch_load_b64 v[188:189], off, off offset:8
	ds_load_b128 v[128:131], v65 offset:272
	ds_load_b128 v[132:135], v65 offset:288
	;; [unrolled: 1-line block ×15, first 2 shown]
	s_mov_b32 s0, exec_lo
	s_wait_loadcnt_dscnt 0xf0e
	v_dual_mul_f32 v65, v128, v69 :: v_dual_mul_f32 v66, v130, v71
	v_mul_f32_e32 v69, v129, v69
	s_wait_loadcnt_dscnt 0xe0d
	v_dual_mul_f32 v71, v131, v71 :: v_dual_mul_f32 v190, v132, v73
	s_delay_alu instid0(VALU_DEP_3) | instskip(NEXT) | instid1(VALU_DEP_3)
	v_dual_mul_f32 v191, v134, v75 :: v_dual_fmac_f32 v66, v131, v70
	v_fma_f32 v69, v128, v68, -v69
	v_fmac_f32_e32 v65, v129, v68
	v_mul_f32_e32 v68, v133, v73
	v_fma_f32 v70, v130, v70, -v71
	v_mul_f32_e32 v71, v135, v75
	v_dual_add_f32 v69, 0, v69 :: v_dual_fmac_f32 v190, v133, v72
	s_delay_alu instid0(VALU_DEP_4) | instskip(SKIP_2) | instid1(VALU_DEP_3)
	v_fma_f32 v68, v132, v72, -v68
	s_wait_loadcnt_dscnt 0xd0c
	v_dual_mul_f32 v192, v136, v77 :: v_dual_mul_f32 v193, v138, v79
	v_add_f32_e32 v69, v69, v70
	v_fmac_f32_e32 v191, v135, v74
	v_fma_f32 v70, v134, v74, -v71
	s_wait_loadcnt_dscnt 0xc0b
	v_dual_mul_f32 v194, v140, v81 :: v_dual_mul_f32 v195, v142, v83
	v_dual_add_f32 v68, v69, v68 :: v_dual_mul_f32 v69, v139, v79
	v_fmac_f32_e32 v192, v137, v76
	s_wait_loadcnt_dscnt 0xb0a
	v_dual_mul_f32 v196, v144, v85 :: v_dual_mul_f32 v197, v146, v87
	s_delay_alu instid0(VALU_DEP_3) | instskip(SKIP_3) | instid1(VALU_DEP_4)
	v_dual_add_f32 v68, v68, v70 :: v_dual_add_f32 v65, 0, v65
	v_mul_f32_e32 v70, v141, v81
	v_fma_f32 v69, v138, v78, -v69
	v_dual_fmac_f32 v193, v139, v78 :: v_dual_fmac_f32 v194, v141, v80
	v_add_f32_e32 v65, v65, v66
	v_mul_f32_e32 v66, v137, v77
	v_fma_f32 v70, v140, v80, -v70
	v_dual_fmac_f32 v195, v143, v82 :: v_dual_fmac_f32 v196, v145, v84
	s_wait_loadcnt_dscnt 0xa09
	v_dual_mul_f32 v198, v148, v89 :: v_dual_mul_f32 v199, v150, v91
	v_fma_f32 v66, v136, v76, -v66
	s_wait_loadcnt_dscnt 0x908
	v_dual_mul_f32 v200, v152, v93 :: v_dual_mul_f32 v201, v154, v95
	s_wait_loadcnt_dscnt 0x807
	v_dual_mul_f32 v202, v156, v97 :: v_dual_mul_f32 v203, v158, v99
	v_add_f32_e32 v66, v68, v66
	v_mul_f32_e32 v68, v143, v83
	v_dual_fmac_f32 v200, v153, v92 :: v_dual_fmac_f32 v201, v155, v94
	s_delay_alu instid0(VALU_DEP_4) | instskip(NEXT) | instid1(VALU_DEP_4)
	v_dual_fmac_f32 v202, v157, v96 :: v_dual_fmac_f32 v203, v159, v98
	v_dual_add_f32 v66, v66, v69 :: v_dual_add_f32 v65, v65, v190
	v_mul_f32_e32 v69, v145, v85
	v_fma_f32 v68, v142, v82, -v68
	v_fmac_f32_e32 v197, v147, v86
	s_delay_alu instid0(VALU_DEP_4)
	v_add_f32_e32 v66, v66, v70
	v_mul_f32_e32 v70, v147, v87
	v_add_f32_e32 v65, v65, v191
	v_fma_f32 v69, v144, v84, -v69
	v_fmac_f32_e32 v198, v149, v88
	v_add_f32_e32 v66, v66, v68
	v_mul_f32_e32 v68, v149, v89
	v_add_f32_e32 v65, v65, v192
	v_fma_f32 v70, v146, v86, -v70
	s_delay_alu instid0(VALU_DEP_4) | instskip(SKIP_1) | instid1(VALU_DEP_4)
	v_dual_fmac_f32 v199, v151, v90 :: v_dual_add_f32 v66, v66, v69
	v_mul_f32_e32 v69, v151, v91
	v_add_f32_e32 v65, v65, v193
	v_fma_f32 v68, v148, v88, -v68
	s_wait_loadcnt_dscnt 0x706
	v_dual_mul_f32 v204, v160, v101 :: v_dual_mul_f32 v205, v162, v103
	v_add_f32_e32 v66, v66, v70
	v_add_f32_e32 v65, v65, v194
	v_fma_f32 v69, v150, v90, -v69
	v_mul_f32_e32 v70, v153, v93
	s_wait_loadcnt_dscnt 0x605
	v_dual_mul_f32 v206, v164, v105 :: v_dual_mul_f32 v207, v166, v107
	v_dual_add_f32 v66, v66, v68 :: v_dual_add_f32 v65, v65, v195
	v_mul_f32_e32 v68, v155, v95
	v_fma_f32 v70, v152, v92, -v70
	v_dual_fmac_f32 v204, v161, v100 :: v_dual_fmac_f32 v205, v163, v102
	s_delay_alu instid0(VALU_DEP_4)
	v_dual_add_f32 v66, v66, v69 :: v_dual_add_f32 v65, v65, v196
	v_mul_f32_e32 v69, v157, v97
	v_fma_f32 v68, v154, v94, -v68
	s_wait_loadcnt_dscnt 0x504
	v_dual_mul_f32 v208, v168, v109 :: v_dual_mul_f32 v209, v170, v111
	v_dual_add_f32 v65, v65, v197 :: v_dual_add_f32 v66, v66, v70
	v_mul_f32_e32 v70, v159, v99
	v_fma_f32 v69, v156, v96, -v69
	s_delay_alu instid0(VALU_DEP_4) | instskip(NEXT) | instid1(VALU_DEP_4)
	v_dual_fmac_f32 v206, v165, v104 :: v_dual_fmac_f32 v209, v171, v110
	v_dual_add_f32 v65, v65, v198 :: v_dual_add_f32 v66, v66, v68
	v_mul_f32_e32 v68, v161, v101
	v_fma_f32 v70, v158, v98, -v70
	v_fmac_f32_e32 v207, v167, v106
	s_delay_alu instid0(VALU_DEP_4)
	v_dual_add_f32 v65, v65, v199 :: v_dual_add_f32 v66, v66, v69
	v_mul_f32_e32 v69, v163, v103
	v_fma_f32 v68, v160, v100, -v68
	s_wait_loadcnt_dscnt 0x403
	v_dual_mul_f32 v210, v172, v113 :: v_dual_mul_f32 v211, v174, v115
	v_dual_add_f32 v65, v65, v200 :: v_dual_add_f32 v66, v66, v70
	v_mul_f32_e32 v70, v165, v105
	v_fma_f32 v69, v162, v102, -v69
	v_fmac_f32_e32 v208, v169, v108
	s_delay_alu instid0(VALU_DEP_4)
	v_dual_add_f32 v65, v65, v201 :: v_dual_add_f32 v66, v66, v68
	v_mul_f32_e32 v68, v167, v107
	v_fma_f32 v70, v164, v104, -v70
	s_wait_loadcnt_dscnt 0x302
	v_dual_mul_f32 v212, v176, v117 :: v_dual_mul_f32 v213, v178, v119
	;; [unrolled: 10-line block ×3, first 2 shown]
	v_add_f32_e32 v65, v65, v204
	v_add_f32_e32 v66, v66, v68
	v_mul_f32_e32 v68, v173, v113
	v_fma_f32 v70, v170, v110, -v70
	v_dual_fmac_f32 v210, v173, v112 :: v_dual_fmac_f32 v213, v179, v118
	v_add_f32_e32 v65, v65, v205
	v_dual_add_f32 v66, v66, v69 :: v_dual_mul_f32 v69, v175, v115
	v_fma_f32 v68, v172, v112, -v68
	v_fmac_f32_e32 v215, v183, v122
	s_delay_alu instid0(VALU_DEP_4) | instskip(NEXT) | instid1(VALU_DEP_4)
	v_add_f32_e32 v65, v65, v206
	v_add_f32_e32 v66, v66, v70
	v_mul_f32_e32 v70, v177, v117
	v_fma_f32 v69, v174, v114, -v69
	s_wait_loadcnt_dscnt 0x100
	v_dual_mul_f32 v216, v184, v125 :: v_dual_mul_f32 v217, v186, v127
	v_dual_add_f32 v65, v65, v207 :: v_dual_add_f32 v66, v66, v68
	v_mul_f32_e32 v68, v179, v119
	v_fma_f32 v70, v176, v116, -v70
	v_fmac_f32_e32 v212, v177, v116
	s_delay_alu instid0(VALU_DEP_4) | instskip(SKIP_3) | instid1(VALU_DEP_4)
	v_add_f32_e32 v65, v65, v208
	v_dual_fmac_f32 v214, v181, v120 :: v_dual_fmac_f32 v217, v187, v126
	v_fma_f32 v68, v178, v118, -v68
	v_fmac_f32_e32 v216, v185, v124
	v_add_f32_e32 v65, v65, v209
	s_delay_alu instid0(VALU_DEP_1) | instskip(NEXT) | instid1(VALU_DEP_1)
	v_dual_add_f32 v65, v65, v210 :: v_dual_add_f32 v66, v66, v69
	v_add_f32_e32 v65, v65, v211
	s_delay_alu instid0(VALU_DEP_2) | instskip(SKIP_1) | instid1(VALU_DEP_2)
	v_dual_mul_f32 v69, v181, v121 :: v_dual_add_f32 v66, v66, v70
	v_mul_f32_e32 v70, v183, v123
	v_fma_f32 v69, v180, v120, -v69
	s_delay_alu instid0(VALU_DEP_3) | instskip(SKIP_1) | instid1(VALU_DEP_4)
	v_add_f32_e32 v66, v66, v68
	v_mul_f32_e32 v68, v185, v125
	v_fma_f32 v70, v182, v122, -v70
	s_delay_alu instid0(VALU_DEP_3) | instskip(SKIP_1) | instid1(VALU_DEP_4)
	v_dual_add_f32 v66, v66, v69 :: v_dual_mul_f32 v69, v187, v127
	v_add_f32_e32 v65, v65, v212
	v_fma_f32 v68, v184, v124, -v68
	s_delay_alu instid0(VALU_DEP_3) | instskip(NEXT) | instid1(VALU_DEP_3)
	v_fma_f32 v69, v186, v126, -v69
	v_add_f32_e32 v65, v65, v213
	s_delay_alu instid0(VALU_DEP_1) | instskip(NEXT) | instid1(VALU_DEP_1)
	v_add_f32_e32 v65, v65, v214
	v_dual_add_f32 v66, v66, v70 :: v_dual_add_f32 v65, v65, v215
	s_delay_alu instid0(VALU_DEP_1) | instskip(NEXT) | instid1(VALU_DEP_1)
	v_add_f32_e32 v66, v66, v68
	v_dual_add_f32 v65, v65, v216 :: v_dual_add_f32 v66, v66, v69
	s_wait_loadcnt 0x0
	s_delay_alu instid0(VALU_DEP_1) | instskip(NEXT) | instid1(VALU_DEP_1)
	v_dual_add_f32 v68, v65, v217 :: v_dual_sub_f32 v65, v188, v66
	v_sub_f32_e32 v66, v189, v68
	scratch_store_b64 off, v[65:66], off offset:8
	v_cmpx_ne_u32_e32 0, v0
	s_cbranch_execz .LBB31_205
; %bb.204:
	scratch_load_b64 v[65:66], off, off
	v_mov_b32_e32 v68, 0
	s_delay_alu instid0(VALU_DEP_1)
	v_mov_b32_e32 v69, v68
	scratch_store_b64 off, v[68:69], off
	s_wait_loadcnt 0x0
	ds_store_b64 v67, v[65:66]
.LBB31_205:
	s_wait_alu 0xfffe
	s_or_b32 exec_lo, exec_lo, s0
	s_wait_storecnt_dscnt 0x0
	s_barrier_signal -1
	s_barrier_wait -1
	global_inv scope:SCOPE_SE
	s_clause 0x10
	scratch_load_b128 v[65:68], off, off offset:8
	scratch_load_b128 v[69:72], off, off offset:24
	scratch_load_b128 v[73:76], off, off offset:40
	scratch_load_b128 v[77:80], off, off offset:56
	scratch_load_b128 v[81:84], off, off offset:72
	scratch_load_b128 v[85:88], off, off offset:88
	scratch_load_b128 v[89:92], off, off offset:104
	scratch_load_b128 v[93:96], off, off offset:120
	scratch_load_b128 v[97:100], off, off offset:136
	scratch_load_b128 v[101:104], off, off offset:152
	scratch_load_b128 v[105:108], off, off offset:168
	scratch_load_b128 v[109:112], off, off offset:184
	scratch_load_b128 v[113:116], off, off offset:200
	scratch_load_b128 v[117:120], off, off offset:216
	scratch_load_b128 v[121:124], off, off offset:232
	scratch_load_b64 v[185:186], off, off offset:248
	scratch_load_b64 v[187:188], off, off
	v_mov_b32_e32 v0, 0
	ds_load_2addr_b64 v[125:128], v0 offset0:33 offset1:34
	ds_load_2addr_b64 v[129:132], v0 offset0:35 offset1:36
	;; [unrolled: 1-line block ×15, first 2 shown]
	ds_load_b64 v[189:190], v0 offset:504
	s_and_b32 vcc_lo, exec_lo, s18
	s_wait_loadcnt_dscnt 0x100f
	v_dual_mul_f32 v191, v125, v66 :: v_dual_mul_f32 v192, v127, v68
	s_wait_loadcnt_dscnt 0xf0e
	v_dual_mul_f32 v193, v129, v70 :: v_dual_mul_f32 v68, v128, v68
	s_wait_loadcnt_dscnt 0xe0d
	v_dual_mul_f32 v194, v131, v72 :: v_dual_mul_f32 v195, v133, v74
	v_dual_fmac_f32 v191, v126, v65 :: v_dual_fmac_f32 v192, v128, v67
	s_delay_alu instid0(VALU_DEP_3) | instskip(SKIP_1) | instid1(VALU_DEP_4)
	v_fmac_f32_e32 v193, v130, v69
	v_fma_f32 v67, v127, v67, -v68
	v_dual_fmac_f32 v194, v132, v71 :: v_dual_fmac_f32 v195, v134, v73
	s_delay_alu instid0(VALU_DEP_4)
	v_add_f32_e32 v68, 0, v191
	v_mul_f32_e32 v66, v126, v66
	s_wait_loadcnt_dscnt 0xd0c
	v_dual_mul_f32 v196, v135, v76 :: v_dual_mul_f32 v197, v137, v78
	s_wait_loadcnt_dscnt 0xc0b
	v_dual_mul_f32 v198, v139, v80 :: v_dual_mul_f32 v199, v141, v82
	v_fma_f32 v66, v125, v65, -v66
	v_dual_mul_f32 v65, v130, v70 :: v_dual_mul_f32 v70, v132, v72
	v_dual_fmac_f32 v196, v136, v75 :: v_dual_fmac_f32 v197, v138, v77
	s_delay_alu instid0(VALU_DEP_3) | instskip(NEXT) | instid1(VALU_DEP_3)
	v_add_f32_e32 v66, 0, v66
	v_fma_f32 v65, v129, v69, -v65
	s_delay_alu instid0(VALU_DEP_4) | instskip(SKIP_1) | instid1(VALU_DEP_4)
	v_fma_f32 v69, v131, v71, -v70
	v_dual_fmac_f32 v198, v140, v79 :: v_dual_fmac_f32 v199, v142, v81
	v_add_f32_e32 v66, v66, v67
	s_wait_loadcnt_dscnt 0xb0a
	v_dual_mul_f32 v200, v143, v84 :: v_dual_mul_f32 v201, v145, v86
	s_wait_loadcnt_dscnt 0xa09
	v_dual_mul_f32 v202, v147, v88 :: v_dual_mul_f32 v203, v149, v90
	v_add_f32_e32 v65, v66, v65
	v_add_f32_e32 v67, v68, v192
	v_dual_fmac_f32 v200, v144, v83 :: v_dual_fmac_f32 v201, v146, v85
	s_wait_loadcnt_dscnt 0x908
	v_dual_mul_f32 v204, v151, v92 :: v_dual_mul_f32 v205, v153, v94
	s_delay_alu instid0(VALU_DEP_3)
	v_dual_add_f32 v66, v67, v193 :: v_dual_mul_f32 v67, v136, v76
	v_add_f32_e32 v65, v65, v69
	v_dual_mul_f32 v69, v138, v78 :: v_dual_mul_f32 v206, v155, v96
	s_wait_loadcnt_dscnt 0x807
	v_mul_f32_e32 v207, v157, v98
	v_fma_f32 v67, v135, v75, -v67
	v_mul_f32_e32 v68, v134, v74
	v_fma_f32 v69, v137, v77, -v69
	v_dual_fmac_f32 v205, v154, v93 :: v_dual_fmac_f32 v206, v156, v95
	s_wait_loadcnt_dscnt 0x706
	v_dual_mul_f32 v208, v159, v100 :: v_dual_mul_f32 v209, v161, v102
	v_fma_f32 v68, v133, v73, -v68
	v_add_f32_e32 v66, v66, v194
	s_delay_alu instid0(VALU_DEP_3) | instskip(SKIP_4) | instid1(VALU_DEP_3)
	v_dual_fmac_f32 v207, v158, v97 :: v_dual_fmac_f32 v208, v160, v99
	s_wait_loadcnt_dscnt 0x605
	v_dual_mul_f32 v210, v163, v104 :: v_dual_mul_f32 v211, v165, v106
	v_add_f32_e32 v65, v65, v68
	v_dual_mul_f32 v68, v140, v80 :: v_dual_fmac_f32 v209, v162, v101
	v_fmac_f32_e32 v210, v164, v103
	s_wait_loadcnt_dscnt 0x504
	v_dual_mul_f32 v212, v167, v108 :: v_dual_mul_f32 v213, v169, v110
	v_add_f32_e32 v65, v65, v67
	v_add_f32_e32 v66, v66, v195
	v_mul_f32_e32 v67, v142, v82
	v_fma_f32 v68, v139, v79, -v68
	s_wait_loadcnt_dscnt 0x403
	v_dual_mul_f32 v214, v171, v112 :: v_dual_mul_f32 v215, v173, v114
	v_add_f32_e32 v65, v65, v69
	v_fma_f32 v67, v141, v81, -v67
	v_mul_f32_e32 v69, v144, v84
	s_delay_alu instid0(VALU_DEP_4) | instskip(NEXT) | instid1(VALU_DEP_4)
	v_dual_fmac_f32 v211, v166, v105 :: v_dual_fmac_f32 v214, v172, v111
	v_add_f32_e32 v65, v65, v68
	v_add_f32_e32 v66, v66, v196
	v_mul_f32_e32 v68, v146, v86
	v_fma_f32 v69, v143, v83, -v69
	v_fmac_f32_e32 v202, v148, v87
	s_delay_alu instid0(VALU_DEP_4) | instskip(SKIP_3) | instid1(VALU_DEP_4)
	v_dual_add_f32 v65, v65, v67 :: v_dual_add_f32 v66, v66, v197
	v_mul_f32_e32 v67, v148, v88
	v_fma_f32 v68, v145, v85, -v68
	v_fmac_f32_e32 v203, v150, v89
	v_dual_add_f32 v65, v65, v69 :: v_dual_add_f32 v66, v66, v198
	s_delay_alu instid0(VALU_DEP_4) | instskip(SKIP_1) | instid1(VALU_DEP_3)
	v_fma_f32 v67, v147, v87, -v67
	v_dual_mul_f32 v69, v150, v90 :: v_dual_fmac_f32 v204, v152, v91
	v_dual_add_f32 v65, v65, v68 :: v_dual_add_f32 v66, v66, v199
	v_mul_f32_e32 v68, v152, v92
	s_delay_alu instid0(VALU_DEP_3) | instskip(SKIP_1) | instid1(VALU_DEP_4)
	v_fma_f32 v69, v149, v89, -v69
	v_fmac_f32_e32 v213, v170, v109
	v_dual_add_f32 v65, v65, v67 :: v_dual_add_f32 v66, v66, v200
	v_mul_f32_e32 v67, v154, v94
	v_fma_f32 v68, v151, v91, -v68
	s_wait_loadcnt_dscnt 0x302
	v_dual_mul_f32 v216, v175, v116 :: v_dual_mul_f32 v217, v177, v118
	v_add_f32_e32 v66, v66, v201
	v_add_f32_e32 v65, v65, v69
	v_mul_f32_e32 v69, v156, v96
	v_fma_f32 v67, v153, v93, -v67
	s_wait_loadcnt_dscnt 0x201
	v_dual_mul_f32 v218, v179, v120 :: v_dual_mul_f32 v219, v181, v122
	v_dual_add_f32 v66, v66, v202 :: v_dual_add_f32 v65, v65, v68
	v_mul_f32_e32 v68, v158, v98
	v_fma_f32 v69, v155, v95, -v69
	s_delay_alu instid0(VALU_DEP_4) | instskip(NEXT) | instid1(VALU_DEP_4)
	v_dual_fmac_f32 v215, v174, v113 :: v_dual_fmac_f32 v218, v180, v119
	v_add_f32_e32 v66, v66, v203
	v_add_f32_e32 v65, v65, v67
	v_mul_f32_e32 v67, v160, v100
	v_fma_f32 v68, v157, v97, -v68
	v_fmac_f32_e32 v212, v168, v107
	v_add_f32_e32 v66, v66, v204
	s_wait_loadcnt_dscnt 0x100
	v_dual_mul_f32 v220, v183, v124 :: v_dual_mul_f32 v221, v189, v186
	v_fma_f32 v67, v159, v99, -v67
	v_fmac_f32_e32 v217, v178, v117
	v_add_f32_e32 v66, v66, v205
	v_add_f32_e32 v65, v65, v69
	v_mul_f32_e32 v69, v162, v102
	v_fmac_f32_e32 v219, v182, v121
	v_fmac_f32_e32 v221, v190, v185
	s_delay_alu instid0(VALU_DEP_4) | instskip(SKIP_3) | instid1(VALU_DEP_4)
	v_dual_add_f32 v66, v66, v206 :: v_dual_add_f32 v65, v65, v68
	v_mul_f32_e32 v68, v164, v104
	v_fma_f32 v69, v161, v101, -v69
	v_fmac_f32_e32 v216, v176, v115
	v_add_f32_e32 v66, v66, v207
	v_add_f32_e32 v65, v65, v67
	v_mul_f32_e32 v67, v166, v106
	v_fma_f32 v68, v163, v103, -v68
	v_fmac_f32_e32 v220, v184, v123
	v_add_f32_e32 v66, v66, v208
	s_delay_alu instid0(VALU_DEP_4) | instskip(NEXT) | instid1(VALU_DEP_2)
	v_fma_f32 v67, v165, v105, -v67
	v_add_f32_e32 v66, v66, v209
	v_add_f32_e32 v65, v65, v69
	s_delay_alu instid0(VALU_DEP_2) | instskip(NEXT) | instid1(VALU_DEP_2)
	v_dual_mul_f32 v69, v168, v108 :: v_dual_add_f32 v66, v66, v210
	v_dual_add_f32 v65, v65, v68 :: v_dual_mul_f32 v68, v170, v110
	s_delay_alu instid0(VALU_DEP_2) | instskip(NEXT) | instid1(VALU_DEP_3)
	v_fma_f32 v69, v167, v107, -v69
	v_add_f32_e32 v66, v66, v211
	s_delay_alu instid0(VALU_DEP_3) | instskip(SKIP_2) | instid1(VALU_DEP_3)
	v_add_f32_e32 v65, v65, v67
	v_mul_f32_e32 v67, v172, v112
	v_fma_f32 v68, v169, v109, -v68
	v_dual_add_f32 v66, v66, v212 :: v_dual_add_f32 v65, v65, v69
	v_mul_f32_e32 v69, v174, v114
	s_delay_alu instid0(VALU_DEP_4) | instskip(NEXT) | instid1(VALU_DEP_3)
	v_fma_f32 v67, v171, v111, -v67
	v_add_f32_e32 v65, v65, v68
	v_mul_f32_e32 v68, v176, v116
	v_add_f32_e32 v66, v66, v213
	v_fma_f32 v69, v173, v113, -v69
	s_delay_alu instid0(VALU_DEP_3) | instskip(NEXT) | instid1(VALU_DEP_3)
	v_fma_f32 v68, v175, v115, -v68
	v_add_f32_e32 v66, v66, v214
	s_delay_alu instid0(VALU_DEP_1) | instskip(SKIP_2) | instid1(VALU_DEP_2)
	v_add_f32_e32 v66, v66, v215
	v_add_f32_e32 v65, v65, v67
	v_mul_f32_e32 v67, v178, v118
	v_dual_add_f32 v66, v66, v216 :: v_dual_add_f32 v65, v65, v69
	v_mul_f32_e32 v69, v180, v120
	s_delay_alu instid0(VALU_DEP_3) | instskip(NEXT) | instid1(VALU_DEP_3)
	v_fma_f32 v67, v177, v117, -v67
	v_dual_add_f32 v66, v66, v217 :: v_dual_add_f32 v65, v65, v68
	v_mul_f32_e32 v68, v182, v122
	s_delay_alu instid0(VALU_DEP_4) | instskip(NEXT) | instid1(VALU_DEP_3)
	v_fma_f32 v69, v179, v119, -v69
	v_dual_add_f32 v66, v66, v218 :: v_dual_add_f32 v65, v65, v67
	v_mul_f32_e32 v67, v184, v124
	s_delay_alu instid0(VALU_DEP_4) | instskip(NEXT) | instid1(VALU_DEP_3)
	;; [unrolled: 4-line block ×3, first 2 shown]
	v_fma_f32 v67, v183, v123, -v67
	v_add_f32_e32 v66, v66, v220
	s_delay_alu instid0(VALU_DEP_4) | instskip(NEXT) | instid1(VALU_DEP_4)
	v_add_f32_e32 v65, v65, v68
	v_fma_f32 v68, v189, v185, -v69
	s_delay_alu instid0(VALU_DEP_2) | instskip(SKIP_1) | instid1(VALU_DEP_1)
	v_dual_add_f32 v66, v66, v221 :: v_dual_add_f32 v65, v65, v67
	s_wait_loadcnt 0x0
	v_dual_sub_f32 v66, v188, v66 :: v_dual_add_f32 v65, v65, v68
	s_delay_alu instid0(VALU_DEP_1)
	v_sub_f32_e32 v65, v187, v65
	scratch_store_b64 off, v[65:66], off
	s_wait_alu 0xfffe
	s_cbranch_vccz .LBB31_268
; %bb.206:
	global_load_b32 v0, v0, s[2:3] offset:120
	s_wait_loadcnt 0x0
	v_cmp_ne_u32_e32 vcc_lo, 31, v0
	s_cbranch_vccz .LBB31_208
; %bb.207:
	v_lshlrev_b32_e32 v0, 3, v0
	scratch_load_b64 v[65:66], v0, off offset:-8
	scratch_load_b64 v[67:68], off, off offset:240
	s_wait_loadcnt 0x1
	scratch_store_b64 off, v[65:66], off offset:240
	s_wait_loadcnt 0x0
	scratch_store_b64 v0, v[67:68], off offset:-8
.LBB31_208:
	v_mov_b32_e32 v0, 0
	global_load_b32 v65, v0, s[2:3] offset:116
	s_wait_loadcnt 0x0
	v_cmp_eq_u32_e32 vcc_lo, 30, v65
	s_cbranch_vccnz .LBB31_210
; %bb.209:
	v_lshlrev_b32_e32 v65, 3, v65
	s_delay_alu instid0(VALU_DEP_1)
	v_mov_b32_e32 v69, v65
	scratch_load_b64 v[65:66], v69, off offset:-8
	scratch_load_b64 v[67:68], off, off offset:232
	s_wait_loadcnt 0x1
	scratch_store_b64 off, v[65:66], off offset:232
	s_wait_loadcnt 0x0
	scratch_store_b64 v69, v[67:68], off offset:-8
.LBB31_210:
	global_load_b32 v0, v0, s[2:3] offset:112
	s_wait_loadcnt 0x0
	v_cmp_eq_u32_e32 vcc_lo, 29, v0
	s_cbranch_vccnz .LBB31_212
; %bb.211:
	v_lshlrev_b32_e32 v0, 3, v0
	scratch_load_b64 v[65:66], v0, off offset:-8
	scratch_load_b64 v[67:68], off, off offset:224
	s_wait_loadcnt 0x1
	scratch_store_b64 off, v[65:66], off offset:224
	s_wait_loadcnt 0x0
	scratch_store_b64 v0, v[67:68], off offset:-8
.LBB31_212:
	v_mov_b32_e32 v0, 0
	global_load_b32 v65, v0, s[2:3] offset:108
	s_wait_loadcnt 0x0
	v_cmp_eq_u32_e32 vcc_lo, 28, v65
	s_cbranch_vccnz .LBB31_214
; %bb.213:
	v_lshlrev_b32_e32 v65, 3, v65
	s_delay_alu instid0(VALU_DEP_1)
	v_mov_b32_e32 v69, v65
	scratch_load_b64 v[65:66], v69, off offset:-8
	scratch_load_b64 v[67:68], off, off offset:216
	s_wait_loadcnt 0x1
	scratch_store_b64 off, v[65:66], off offset:216
	s_wait_loadcnt 0x0
	scratch_store_b64 v69, v[67:68], off offset:-8
.LBB31_214:
	global_load_b32 v0, v0, s[2:3] offset:104
	s_wait_loadcnt 0x0
	v_cmp_eq_u32_e32 vcc_lo, 27, v0
	s_cbranch_vccnz .LBB31_216
; %bb.215:
	v_lshlrev_b32_e32 v0, 3, v0
	scratch_load_b64 v[65:66], v0, off offset:-8
	scratch_load_b64 v[67:68], off, off offset:208
	s_wait_loadcnt 0x1
	scratch_store_b64 off, v[65:66], off offset:208
	s_wait_loadcnt 0x0
	scratch_store_b64 v0, v[67:68], off offset:-8
.LBB31_216:
	;; [unrolled: 29-line block ×14, first 2 shown]
	v_mov_b32_e32 v0, 0
	global_load_b32 v65, v0, s[2:3] offset:4
	s_wait_loadcnt 0x0
	v_cmp_eq_u32_e32 vcc_lo, 2, v65
	s_cbranch_vccnz .LBB31_266
; %bb.265:
	v_lshlrev_b32_e32 v65, 3, v65
	s_delay_alu instid0(VALU_DEP_1)
	v_mov_b32_e32 v69, v65
	scratch_load_b64 v[65:66], v69, off offset:-8
	scratch_load_b64 v[67:68], off, off offset:8
	s_wait_loadcnt 0x1
	scratch_store_b64 off, v[65:66], off offset:8
	s_wait_loadcnt 0x0
	scratch_store_b64 v69, v[67:68], off offset:-8
.LBB31_266:
	global_load_b32 v0, v0, s[2:3]
	s_wait_loadcnt 0x0
	v_cmp_eq_u32_e32 vcc_lo, 1, v0
	s_cbranch_vccnz .LBB31_268
; %bb.267:
	v_lshlrev_b32_e32 v0, 3, v0
	scratch_load_b64 v[65:66], v0, off offset:-8
	scratch_load_b64 v[67:68], off, off
	s_wait_loadcnt 0x1
	scratch_store_b64 off, v[65:66], off
	s_wait_loadcnt 0x0
	scratch_store_b64 v0, v[67:68], off offset:-8
.LBB31_268:
	s_clause 0xf
	scratch_load_b128 v[65:68], off, off
	scratch_load_b128 v[69:72], off, off offset:16
	scratch_load_b128 v[73:76], off, off offset:32
	;; [unrolled: 1-line block ×15, first 2 shown]
	s_wait_loadcnt 0xf
	s_clause 0x1
	global_store_b64 v[1:2], v[65:66], off
	global_store_b64 v[3:4], v[67:68], off
	s_wait_loadcnt 0xe
	s_clause 0x1
	global_store_b64 v[5:6], v[69:70], off
	global_store_b64 v[7:8], v[71:72], off
	s_wait_loadcnt 0xd
	s_clause 0x1
	global_store_b64 v[9:10], v[73:74], off
	global_store_b64 v[11:12], v[75:76], off
	s_wait_loadcnt 0xc
	s_clause 0x1
	global_store_b64 v[13:14], v[77:78], off
	global_store_b64 v[15:16], v[79:80], off
	s_wait_loadcnt 0xb
	s_clause 0x1
	global_store_b64 v[17:18], v[81:82], off
	global_store_b64 v[19:20], v[83:84], off
	s_wait_loadcnt 0xa
	s_clause 0x1
	global_store_b64 v[21:22], v[85:86], off
	global_store_b64 v[23:24], v[87:88], off
	s_wait_loadcnt 0x9
	s_clause 0x1
	global_store_b64 v[25:26], v[89:90], off
	global_store_b64 v[27:28], v[91:92], off
	s_wait_loadcnt 0x8
	s_clause 0x1
	global_store_b64 v[29:30], v[93:94], off
	global_store_b64 v[31:32], v[95:96], off
	s_wait_loadcnt 0x7
	s_clause 0x1
	global_store_b64 v[33:34], v[97:98], off
	global_store_b64 v[35:36], v[99:100], off
	s_wait_loadcnt 0x6
	s_clause 0x1
	global_store_b64 v[37:38], v[101:102], off
	global_store_b64 v[39:40], v[103:104], off
	s_wait_loadcnt 0x5
	s_clause 0x1
	global_store_b64 v[41:42], v[105:106], off
	global_store_b64 v[43:44], v[107:108], off
	s_wait_loadcnt 0x4
	s_clause 0x1
	global_store_b64 v[45:46], v[109:110], off
	global_store_b64 v[47:48], v[111:112], off
	s_wait_loadcnt 0x3
	s_clause 0x1
	global_store_b64 v[49:50], v[113:114], off
	global_store_b64 v[51:52], v[115:116], off
	s_wait_loadcnt 0x2
	s_clause 0x1
	global_store_b64 v[53:54], v[117:118], off
	global_store_b64 v[55:56], v[119:120], off
	s_wait_loadcnt 0x1
	s_clause 0x1
	global_store_b64 v[57:58], v[121:122], off
	global_store_b64 v[59:60], v[123:124], off
	s_wait_loadcnt 0x0
	s_clause 0x1
	global_store_b64 v[61:62], v[125:126], off
	global_store_b64 v[63:64], v[127:128], off
	s_nop 0
	s_sendmsg sendmsg(MSG_DEALLOC_VGPRS)
	s_endpgm
	.section	.rodata,"a",@progbits
	.p2align	6, 0x0
	.amdhsa_kernel _ZN9rocsolver6v33100L18getri_kernel_smallILi32E19rocblas_complex_numIfEPS3_EEvT1_iilPiilS6_bb
		.amdhsa_group_segment_fixed_size 516
		.amdhsa_private_segment_fixed_size 272
		.amdhsa_kernarg_size 60
		.amdhsa_user_sgpr_count 2
		.amdhsa_user_sgpr_dispatch_ptr 0
		.amdhsa_user_sgpr_queue_ptr 0
		.amdhsa_user_sgpr_kernarg_segment_ptr 1
		.amdhsa_user_sgpr_dispatch_id 0
		.amdhsa_user_sgpr_private_segment_size 0
		.amdhsa_wavefront_size32 1
		.amdhsa_uses_dynamic_stack 0
		.amdhsa_enable_private_segment 1
		.amdhsa_system_sgpr_workgroup_id_x 1
		.amdhsa_system_sgpr_workgroup_id_y 0
		.amdhsa_system_sgpr_workgroup_id_z 0
		.amdhsa_system_sgpr_workgroup_info 0
		.amdhsa_system_vgpr_workitem_id 0
		.amdhsa_next_free_vgpr 222
		.amdhsa_next_free_sgpr 19
		.amdhsa_reserve_vcc 1
		.amdhsa_float_round_mode_32 0
		.amdhsa_float_round_mode_16_64 0
		.amdhsa_float_denorm_mode_32 3
		.amdhsa_float_denorm_mode_16_64 3
		.amdhsa_fp16_overflow 0
		.amdhsa_workgroup_processor_mode 1
		.amdhsa_memory_ordered 1
		.amdhsa_forward_progress 1
		.amdhsa_inst_pref_size 255
		.amdhsa_round_robin_scheduling 0
		.amdhsa_exception_fp_ieee_invalid_op 0
		.amdhsa_exception_fp_denorm_src 0
		.amdhsa_exception_fp_ieee_div_zero 0
		.amdhsa_exception_fp_ieee_overflow 0
		.amdhsa_exception_fp_ieee_underflow 0
		.amdhsa_exception_fp_ieee_inexact 0
		.amdhsa_exception_int_div_zero 0
	.end_amdhsa_kernel
	.section	.text._ZN9rocsolver6v33100L18getri_kernel_smallILi32E19rocblas_complex_numIfEPS3_EEvT1_iilPiilS6_bb,"axG",@progbits,_ZN9rocsolver6v33100L18getri_kernel_smallILi32E19rocblas_complex_numIfEPS3_EEvT1_iilPiilS6_bb,comdat
.Lfunc_end31:
	.size	_ZN9rocsolver6v33100L18getri_kernel_smallILi32E19rocblas_complex_numIfEPS3_EEvT1_iilPiilS6_bb, .Lfunc_end31-_ZN9rocsolver6v33100L18getri_kernel_smallILi32E19rocblas_complex_numIfEPS3_EEvT1_iilPiilS6_bb
                                        ; -- End function
	.set _ZN9rocsolver6v33100L18getri_kernel_smallILi32E19rocblas_complex_numIfEPS3_EEvT1_iilPiilS6_bb.num_vgpr, 222
	.set _ZN9rocsolver6v33100L18getri_kernel_smallILi32E19rocblas_complex_numIfEPS3_EEvT1_iilPiilS6_bb.num_agpr, 0
	.set _ZN9rocsolver6v33100L18getri_kernel_smallILi32E19rocblas_complex_numIfEPS3_EEvT1_iilPiilS6_bb.numbered_sgpr, 19
	.set _ZN9rocsolver6v33100L18getri_kernel_smallILi32E19rocblas_complex_numIfEPS3_EEvT1_iilPiilS6_bb.num_named_barrier, 0
	.set _ZN9rocsolver6v33100L18getri_kernel_smallILi32E19rocblas_complex_numIfEPS3_EEvT1_iilPiilS6_bb.private_seg_size, 272
	.set _ZN9rocsolver6v33100L18getri_kernel_smallILi32E19rocblas_complex_numIfEPS3_EEvT1_iilPiilS6_bb.uses_vcc, 1
	.set _ZN9rocsolver6v33100L18getri_kernel_smallILi32E19rocblas_complex_numIfEPS3_EEvT1_iilPiilS6_bb.uses_flat_scratch, 1
	.set _ZN9rocsolver6v33100L18getri_kernel_smallILi32E19rocblas_complex_numIfEPS3_EEvT1_iilPiilS6_bb.has_dyn_sized_stack, 0
	.set _ZN9rocsolver6v33100L18getri_kernel_smallILi32E19rocblas_complex_numIfEPS3_EEvT1_iilPiilS6_bb.has_recursion, 0
	.set _ZN9rocsolver6v33100L18getri_kernel_smallILi32E19rocblas_complex_numIfEPS3_EEvT1_iilPiilS6_bb.has_indirect_call, 0
	.section	.AMDGPU.csdata,"",@progbits
; Kernel info:
; codeLenInByte = 40656
; TotalNumSgprs: 21
; NumVgprs: 222
; ScratchSize: 272
; MemoryBound: 0
; FloatMode: 240
; IeeeMode: 1
; LDSByteSize: 516 bytes/workgroup (compile time only)
; SGPRBlocks: 0
; VGPRBlocks: 27
; NumSGPRsForWavesPerEU: 21
; NumVGPRsForWavesPerEU: 222
; Occupancy: 6
; WaveLimiterHint : 1
; COMPUTE_PGM_RSRC2:SCRATCH_EN: 1
; COMPUTE_PGM_RSRC2:USER_SGPR: 2
; COMPUTE_PGM_RSRC2:TRAP_HANDLER: 0
; COMPUTE_PGM_RSRC2:TGID_X_EN: 1
; COMPUTE_PGM_RSRC2:TGID_Y_EN: 0
; COMPUTE_PGM_RSRC2:TGID_Z_EN: 0
; COMPUTE_PGM_RSRC2:TIDIG_COMP_CNT: 0
	.section	.text._ZN9rocsolver6v33100L18getri_kernel_smallILi33E19rocblas_complex_numIfEPS3_EEvT1_iilPiilS6_bb,"axG",@progbits,_ZN9rocsolver6v33100L18getri_kernel_smallILi33E19rocblas_complex_numIfEPS3_EEvT1_iilPiilS6_bb,comdat
	.globl	_ZN9rocsolver6v33100L18getri_kernel_smallILi33E19rocblas_complex_numIfEPS3_EEvT1_iilPiilS6_bb ; -- Begin function _ZN9rocsolver6v33100L18getri_kernel_smallILi33E19rocblas_complex_numIfEPS3_EEvT1_iilPiilS6_bb
	.p2align	8
	.type	_ZN9rocsolver6v33100L18getri_kernel_smallILi33E19rocblas_complex_numIfEPS3_EEvT1_iilPiilS6_bb,@function
_ZN9rocsolver6v33100L18getri_kernel_smallILi33E19rocblas_complex_numIfEPS3_EEvT1_iilPiilS6_bb: ; @_ZN9rocsolver6v33100L18getri_kernel_smallILi33E19rocblas_complex_numIfEPS3_EEvT1_iilPiilS6_bb
; %bb.0:
	s_mov_b32 s2, exec_lo
	v_cmpx_gt_u32_e32 33, v0
	s_cbranch_execz .LBB32_146
; %bb.1:
	s_clause 0x2
	s_load_b32 s2, s[0:1], 0x38
	s_load_b128 s[12:15], s[0:1], 0x10
	s_load_b128 s[4:7], s[0:1], 0x28
	s_mov_b32 s16, ttmp9
	s_wait_kmcnt 0x0
	s_bitcmp1_b32 s2, 8
	s_cselect_b32 s18, -1, 0
	s_bfe_u32 s2, s2, 0x10008
	s_ashr_i32 s17, ttmp9, 31
	s_cmp_eq_u32 s2, 0
                                        ; implicit-def: $sgpr2_sgpr3
	s_cbranch_scc1 .LBB32_3
; %bb.2:
	s_load_b32 s2, s[0:1], 0x20
	s_mul_u64 s[4:5], s[4:5], s[16:17]
	s_delay_alu instid0(SALU_CYCLE_1) | instskip(NEXT) | instid1(SALU_CYCLE_1)
	s_lshl_b64 s[4:5], s[4:5], 2
	s_add_nc_u64 s[4:5], s[14:15], s[4:5]
	s_wait_kmcnt 0x0
	s_ashr_i32 s3, s2, 31
	s_delay_alu instid0(SALU_CYCLE_1) | instskip(NEXT) | instid1(SALU_CYCLE_1)
	s_lshl_b64 s[2:3], s[2:3], 2
	s_add_nc_u64 s[2:3], s[4:5], s[2:3]
.LBB32_3:
	s_clause 0x1
	s_load_b128 s[8:11], s[0:1], 0x0
	s_load_b32 s4, s[0:1], 0x38
	s_mul_u64 s[0:1], s[12:13], s[16:17]
	v_lshlrev_b32_e32 v73, 3, v0
	s_lshl_b64 s[0:1], s[0:1], 3
	s_wait_kmcnt 0x0
	v_add3_u32 v3, s11, s11, v0
	s_ashr_i32 s13, s10, 31
	s_mov_b32 s12, s10
	s_add_nc_u64 s[0:1], s[8:9], s[0:1]
	s_lshl_b64 s[12:13], s[12:13], 3
	v_add_nc_u32_e32 v9, s11, v3
	v_ashrrev_i32_e32 v4, 31, v3
	s_add_nc_u64 s[0:1], s[0:1], s[12:13]
	s_ashr_i32 s9, s11, 31
	v_add_co_u32 v5, s5, s0, v73
	v_add_nc_u32_e32 v11, s11, v9
	s_mov_b32 s8, s11
	v_lshlrev_b64_e32 v[3:4], 3, v[3:4]
	v_add_co_ci_u32_e64 v6, null, s1, 0, s5
	s_delay_alu instid0(VALU_DEP_3)
	v_add_nc_u32_e32 v15, s11, v11
	v_ashrrev_i32_e32 v10, 31, v9
	s_lshl_b64 s[8:9], s[8:9], 3
	v_ashrrev_i32_e32 v12, 31, v11
	v_add_co_u32 v7, vcc_lo, v5, s8
	v_add_nc_u32_e32 v17, s11, v15
	v_ashrrev_i32_e32 v16, 31, v15
	v_add_co_ci_u32_e64 v8, null, s9, v6, vcc_lo
	v_lshlrev_b64_e32 v[13:14], 3, v[9:10]
	s_delay_alu instid0(VALU_DEP_4)
	v_add_nc_u32_e32 v19, s11, v17
	v_add_co_u32 v9, vcc_lo, s0, v3
	v_ashrrev_i32_e32 v18, 31, v17
	s_wait_alu 0xfffd
	v_add_co_ci_u32_e64 v10, null, s1, v4, vcc_lo
	v_add_nc_u32_e32 v21, s11, v19
	v_lshlrev_b64_e32 v[3:4], 3, v[11:12]
	v_ashrrev_i32_e32 v20, 31, v19
	v_lshlrev_b64_e32 v[15:16], 3, v[15:16]
	v_add_co_u32 v11, vcc_lo, s0, v13
	v_add_nc_u32_e32 v23, s11, v21
	v_ashrrev_i32_e32 v22, 31, v21
	v_lshlrev_b64_e32 v[17:18], 3, v[17:18]
	s_wait_alu 0xfffd
	v_add_co_ci_u32_e64 v12, null, s1, v14, vcc_lo
	v_add_nc_u32_e32 v26, s11, v23
	v_ashrrev_i32_e32 v24, 31, v23
	v_add_co_u32 v13, vcc_lo, s0, v3
	v_lshlrev_b64_e32 v[19:20], 3, v[19:20]
	s_wait_alu 0xfffd
	v_add_co_ci_u32_e64 v14, null, s1, v4, vcc_lo
	v_add_co_u32 v15, vcc_lo, s0, v15
	v_lshlrev_b64_e32 v[21:22], 3, v[21:22]
	v_add_nc_u32_e32 v28, s11, v26
	s_wait_alu 0xfffd
	v_add_co_ci_u32_e64 v16, null, s1, v16, vcc_lo
	v_add_co_u32 v17, vcc_lo, s0, v17
	v_lshlrev_b64_e32 v[24:25], 3, v[23:24]
	s_wait_alu 0xfffd
	v_add_co_ci_u32_e64 v18, null, s1, v18, vcc_lo
	v_add_co_u32 v19, vcc_lo, s0, v19
	v_ashrrev_i32_e32 v27, 31, v26
	v_ashrrev_i32_e32 v29, 31, v28
	v_add_nc_u32_e32 v30, s11, v28
	s_wait_alu 0xfffd
	v_add_co_ci_u32_e64 v20, null, s1, v20, vcc_lo
	v_add_co_u32 v21, vcc_lo, s0, v21
	s_wait_alu 0xfffd
	v_add_co_ci_u32_e64 v22, null, s1, v22, vcc_lo
	v_add_co_u32 v23, vcc_lo, s0, v24
	s_wait_alu 0xfffd
	v_add_co_ci_u32_e64 v24, null, s1, v25, vcc_lo
	v_lshlrev_b64_e32 v[25:26], 3, v[26:27]
	v_lshlrev_b64_e32 v[27:28], 3, v[28:29]
	v_add_nc_u32_e32 v29, s11, v30
	v_ashrrev_i32_e32 v31, 31, v30
	s_clause 0x4
	global_load_b64 v[1:2], v73, s[0:1]
	global_load_b64 v[3:4], v[7:8], off
	global_load_b64 v[74:75], v[9:10], off
	;; [unrolled: 1-line block ×4, first 2 shown]
	v_add_co_u32 v25, vcc_lo, s0, v25
	v_add_nc_u32_e32 v33, s11, v29
	v_lshlrev_b64_e32 v[31:32], 3, v[30:31]
	v_ashrrev_i32_e32 v30, 31, v29
	s_wait_alu 0xfffd
	v_add_co_ci_u32_e64 v26, null, s1, v26, vcc_lo
	v_add_nc_u32_e32 v37, s11, v33
	v_add_co_u32 v27, vcc_lo, s0, v27
	v_lshlrev_b64_e32 v[35:36], 3, v[29:30]
	s_wait_alu 0xfffd
	v_add_co_ci_u32_e64 v28, null, s1, v28, vcc_lo
	v_ashrrev_i32_e32 v38, 31, v37
	v_add_nc_u32_e32 v39, s11, v37
	v_add_co_u32 v29, vcc_lo, s0, v31
	s_wait_alu 0xfffd
	v_add_co_ci_u32_e64 v30, null, s1, v32, vcc_lo
	v_add_co_u32 v31, vcc_lo, s0, v35
	s_wait_alu 0xfffd
	v_add_co_ci_u32_e64 v32, null, s1, v36, vcc_lo
	v_lshlrev_b64_e32 v[35:36], 3, v[37:38]
	v_add_nc_u32_e32 v37, s11, v39
	v_ashrrev_i32_e32 v34, 31, v33
	v_ashrrev_i32_e32 v40, 31, v39
	s_clause 0x3
	global_load_b64 v[80:81], v[15:16], off
	global_load_b64 v[82:83], v[17:18], off
	global_load_b64 v[84:85], v[19:20], off
	global_load_b64 v[86:87], v[21:22], off
	s_bitcmp0_b32 s4, 0
	v_add_nc_u32_e32 v41, s11, v37
	v_lshlrev_b64_e32 v[33:34], 3, v[33:34]
	v_ashrrev_i32_e32 v38, 31, v37
	v_lshlrev_b64_e32 v[39:40], 3, v[39:40]
	s_delay_alu instid0(VALU_DEP_4)
	v_add_nc_u32_e32 v45, s11, v41
	v_ashrrev_i32_e32 v42, 31, v41
	v_add_co_u32 v33, vcc_lo, s0, v33
	v_lshlrev_b64_e32 v[43:44], 3, v[37:38]
	s_wait_alu 0xfffd
	v_add_co_ci_u32_e64 v34, null, s1, v34, vcc_lo
	v_add_co_u32 v35, vcc_lo, s0, v35
	v_ashrrev_i32_e32 v46, 31, v45
	v_add_nc_u32_e32 v47, s11, v45
	s_wait_alu 0xfffd
	v_add_co_ci_u32_e64 v36, null, s1, v36, vcc_lo
	v_add_co_u32 v37, vcc_lo, s0, v39
	s_wait_alu 0xfffd
	v_add_co_ci_u32_e64 v38, null, s1, v40, vcc_lo
	v_add_co_u32 v39, vcc_lo, s0, v43
	s_wait_alu 0xfffd
	v_add_co_ci_u32_e64 v40, null, s1, v44, vcc_lo
	v_lshlrev_b64_e32 v[43:44], 3, v[45:46]
	v_add_nc_u32_e32 v45, s11, v47
	v_ashrrev_i32_e32 v48, 31, v47
	v_lshlrev_b64_e32 v[41:42], 3, v[41:42]
	s_delay_alu instid0(VALU_DEP_3) | instskip(SKIP_1) | instid1(VALU_DEP_4)
	v_add_nc_u32_e32 v49, s11, v45
	v_ashrrev_i32_e32 v46, 31, v45
	v_lshlrev_b64_e32 v[47:48], 3, v[47:48]
	s_delay_alu instid0(VALU_DEP_4) | instskip(NEXT) | instid1(VALU_DEP_4)
	v_add_co_u32 v41, vcc_lo, s0, v41
	v_add_nc_u32_e32 v53, s11, v49
	s_delay_alu instid0(VALU_DEP_4)
	v_lshlrev_b64_e32 v[51:52], 3, v[45:46]
	s_wait_alu 0xfffd
	v_add_co_ci_u32_e64 v42, null, s1, v42, vcc_lo
	v_add_co_u32 v43, vcc_lo, s0, v43
	v_ashrrev_i32_e32 v54, 31, v53
	v_add_nc_u32_e32 v55, s11, v53
	s_wait_alu 0xfffd
	v_add_co_ci_u32_e64 v44, null, s1, v44, vcc_lo
	v_add_co_u32 v45, vcc_lo, s0, v47
	s_wait_alu 0xfffd
	v_add_co_ci_u32_e64 v46, null, s1, v48, vcc_lo
	v_add_co_u32 v47, vcc_lo, s0, v51
	s_wait_alu 0xfffd
	v_add_co_ci_u32_e64 v48, null, s1, v52, vcc_lo
	v_lshlrev_b64_e32 v[51:52], 3, v[53:54]
	v_add_nc_u32_e32 v53, s11, v55
	v_ashrrev_i32_e32 v50, 31, v49
	v_ashrrev_i32_e32 v56, 31, v55
	s_delay_alu instid0(VALU_DEP_3) | instskip(NEXT) | instid1(VALU_DEP_3)
	v_add_nc_u32_e32 v57, s11, v53
	v_lshlrev_b64_e32 v[49:50], 3, v[49:50]
	v_ashrrev_i32_e32 v54, 31, v53
	s_delay_alu instid0(VALU_DEP_4) | instskip(NEXT) | instid1(VALU_DEP_4)
	v_lshlrev_b64_e32 v[55:56], 3, v[55:56]
	v_add_nc_u32_e32 v61, s11, v57
	v_ashrrev_i32_e32 v58, 31, v57
	v_add_co_u32 v49, vcc_lo, s0, v49
	v_lshlrev_b64_e32 v[59:60], 3, v[53:54]
	s_wait_alu 0xfffd
	v_add_co_ci_u32_e64 v50, null, s1, v50, vcc_lo
	v_add_co_u32 v51, vcc_lo, s0, v51
	v_ashrrev_i32_e32 v62, 31, v61
	v_add_nc_u32_e32 v63, s11, v61
	s_wait_alu 0xfffd
	v_add_co_ci_u32_e64 v52, null, s1, v52, vcc_lo
	v_add_co_u32 v53, vcc_lo, s0, v55
	s_wait_alu 0xfffd
	v_add_co_ci_u32_e64 v54, null, s1, v56, vcc_lo
	v_add_co_u32 v55, vcc_lo, s0, v59
	s_wait_alu 0xfffd
	v_add_co_ci_u32_e64 v56, null, s1, v60, vcc_lo
	v_lshlrev_b64_e32 v[59:60], 3, v[61:62]
	v_add_nc_u32_e32 v61, s11, v63
	v_ashrrev_i32_e32 v64, 31, v63
	v_lshlrev_b64_e32 v[57:58], 3, v[57:58]
	s_delay_alu instid0(VALU_DEP_3) | instskip(SKIP_1) | instid1(VALU_DEP_4)
	v_add_nc_u32_e32 v65, s11, v61
	v_ashrrev_i32_e32 v62, 31, v61
	v_lshlrev_b64_e32 v[63:64], 3, v[63:64]
	s_delay_alu instid0(VALU_DEP_4) | instskip(NEXT) | instid1(VALU_DEP_4)
	v_add_co_u32 v57, vcc_lo, s0, v57
	v_add_nc_u32_e32 v69, s11, v65
	s_delay_alu instid0(VALU_DEP_4)
	v_lshlrev_b64_e32 v[67:68], 3, v[61:62]
	v_ashrrev_i32_e32 v66, 31, v65
	s_wait_alu 0xfffd
	v_add_co_ci_u32_e64 v58, null, s1, v58, vcc_lo
	v_add_nc_u32_e32 v71, s11, v69
	v_add_co_u32 v59, vcc_lo, s0, v59
	v_ashrrev_i32_e32 v70, 31, v69
	s_wait_alu 0xfffd
	v_add_co_ci_u32_e64 v60, null, s1, v60, vcc_lo
	v_add_co_u32 v61, vcc_lo, s0, v63
	v_ashrrev_i32_e32 v72, 31, v71
	s_wait_alu 0xfffd
	v_add_co_ci_u32_e64 v62, null, s1, v64, vcc_lo
	v_lshlrev_b64_e32 v[65:66], 3, v[65:66]
	v_add_co_u32 v63, vcc_lo, s0, v67
	s_wait_alu 0xfffd
	v_add_co_ci_u32_e64 v64, null, s1, v68, vcc_lo
	v_lshlrev_b64_e32 v[67:68], 3, v[69:70]
	v_lshlrev_b64_e32 v[69:70], 3, v[71:72]
	v_add_co_u32 v65, vcc_lo, s0, v65
	s_wait_alu 0xfffd
	v_add_co_ci_u32_e64 v66, null, s1, v66, vcc_lo
	s_delay_alu instid0(VALU_DEP_4)
	v_add_co_u32 v67, vcc_lo, s0, v67
	s_wait_alu 0xfffd
	v_add_co_ci_u32_e64 v68, null, s1, v68, vcc_lo
	v_add_co_u32 v69, vcc_lo, s0, v69
	s_wait_alu 0xfffd
	v_add_co_ci_u32_e64 v70, null, s1, v70, vcc_lo
	s_clause 0x17
	global_load_b64 v[88:89], v[23:24], off
	global_load_b64 v[90:91], v[25:26], off
	;; [unrolled: 1-line block ×24, first 2 shown]
	s_mov_b32 s1, -1
	s_wait_loadcnt 0x1f
	scratch_store_b128 off, v[1:4], off
	s_wait_loadcnt 0x1d
	scratch_store_b128 off, v[74:77], off offset:16
	s_wait_loadcnt 0x1b
	scratch_store_b128 off, v[78:81], off offset:32
	;; [unrolled: 2-line block ×15, first 2 shown]
	s_wait_loadcnt 0x0
	scratch_store_b64 off, v[71:72], off offset:256
	s_cbranch_scc1 .LBB32_144
; %bb.4:
	v_cmp_eq_u32_e64 s0, 0, v0
	s_and_saveexec_b32 s1, s0
; %bb.5:
	v_mov_b32_e32 v1, 0
	ds_store_b32 v1, v1 offset:264
; %bb.6:
	s_wait_alu 0xfffe
	s_or_b32 exec_lo, exec_lo, s1
	s_wait_storecnt_dscnt 0x0
	s_barrier_signal -1
	s_barrier_wait -1
	global_inv scope:SCOPE_SE
	scratch_load_b64 v[1:2], v73, off
	s_wait_loadcnt 0x0
	v_cmp_eq_f32_e32 vcc_lo, 0, v1
	v_cmp_eq_f32_e64 s1, 0, v2
	s_and_b32 s1, vcc_lo, s1
	s_wait_alu 0xfffe
	s_and_saveexec_b32 s4, s1
	s_cbranch_execz .LBB32_10
; %bb.7:
	v_mov_b32_e32 v1, 0
	s_mov_b32 s5, 0
	ds_load_b32 v2, v1 offset:264
	s_wait_dscnt 0x0
	v_readfirstlane_b32 s1, v2
	v_add_nc_u32_e32 v2, 1, v0
	s_cmp_eq_u32 s1, 0
	s_delay_alu instid0(VALU_DEP_1)
	v_cmp_gt_i32_e32 vcc_lo, s1, v2
	s_cselect_b32 s8, -1, 0
	s_wait_alu 0xfffe
	s_or_b32 s8, s8, vcc_lo
	s_wait_alu 0xfffe
	s_and_b32 exec_lo, exec_lo, s8
	s_cbranch_execz .LBB32_10
; %bb.8:
	v_mov_b32_e32 v3, s1
.LBB32_9:                               ; =>This Inner Loop Header: Depth=1
	ds_cmpstore_rtn_b32 v3, v1, v2, v3 offset:264
	s_wait_dscnt 0x0
	v_cmp_ne_u32_e32 vcc_lo, 0, v3
	v_cmp_le_i32_e64 s1, v3, v2
	s_and_b32 s1, vcc_lo, s1
	s_wait_alu 0xfffe
	s_and_b32 s1, exec_lo, s1
	s_wait_alu 0xfffe
	s_or_b32 s5, s1, s5
	s_wait_alu 0xfffe
	s_and_not1_b32 exec_lo, exec_lo, s5
	s_cbranch_execnz .LBB32_9
.LBB32_10:
	s_wait_alu 0xfffe
	s_or_b32 exec_lo, exec_lo, s4
	v_mov_b32_e32 v1, 0
	s_barrier_signal -1
	s_barrier_wait -1
	global_inv scope:SCOPE_SE
	ds_load_b32 v2, v1 offset:264
	s_and_saveexec_b32 s1, s0
	s_cbranch_execz .LBB32_12
; %bb.11:
	s_lshl_b64 s[4:5], s[16:17], 2
	s_wait_alu 0xfffe
	s_add_nc_u64 s[4:5], s[6:7], s[4:5]
	s_wait_dscnt 0x0
	global_store_b32 v1, v2, s[4:5]
.LBB32_12:
	s_wait_alu 0xfffe
	s_or_b32 exec_lo, exec_lo, s1
	s_wait_dscnt 0x0
	v_cmp_ne_u32_e32 vcc_lo, 0, v2
	s_mov_b32 s1, 0
	s_cbranch_vccnz .LBB32_144
; %bb.13:
	v_mov_b32_e32 v74, v73
                                        ; implicit-def: $vgpr3
                                        ; implicit-def: $vgpr71
	scratch_load_b64 v[1:2], v74, off
	s_wait_loadcnt 0x0
	v_cmp_ngt_f32_e64 s1, |v1|, |v2|
	s_wait_alu 0xfffe
	s_and_saveexec_b32 s4, s1
	s_wait_alu 0xfffe
	s_xor_b32 s1, exec_lo, s4
	s_cbranch_execz .LBB32_15
; %bb.14:
	v_div_scale_f32 v3, null, v2, v2, v1
	v_div_scale_f32 v72, vcc_lo, v1, v2, v1
	s_delay_alu instid0(VALU_DEP_2) | instskip(NEXT) | instid1(TRANS32_DEP_1)
	v_rcp_f32_e32 v4, v3
	v_fma_f32 v71, -v3, v4, 1.0
	s_delay_alu instid0(VALU_DEP_1) | instskip(NEXT) | instid1(VALU_DEP_1)
	v_fmac_f32_e32 v4, v71, v4
	v_mul_f32_e32 v71, v72, v4
	s_delay_alu instid0(VALU_DEP_1) | instskip(NEXT) | instid1(VALU_DEP_1)
	v_fma_f32 v75, -v3, v71, v72
	v_fmac_f32_e32 v71, v75, v4
	s_delay_alu instid0(VALU_DEP_1) | instskip(SKIP_1) | instid1(VALU_DEP_1)
	v_fma_f32 v3, -v3, v71, v72
	s_wait_alu 0xfffd
	v_div_fmas_f32 v3, v3, v4, v71
	s_delay_alu instid0(VALU_DEP_1) | instskip(NEXT) | instid1(VALU_DEP_1)
	v_div_fixup_f32 v3, v3, v2, v1
	v_fmac_f32_e32 v2, v1, v3
	s_delay_alu instid0(VALU_DEP_1) | instskip(NEXT) | instid1(VALU_DEP_1)
	v_div_scale_f32 v1, null, v2, v2, 1.0
	v_rcp_f32_e32 v4, v1
	s_delay_alu instid0(TRANS32_DEP_1) | instskip(NEXT) | instid1(VALU_DEP_1)
	v_fma_f32 v71, -v1, v4, 1.0
	v_fmac_f32_e32 v4, v71, v4
	v_div_scale_f32 v71, vcc_lo, 1.0, v2, 1.0
	s_delay_alu instid0(VALU_DEP_1) | instskip(NEXT) | instid1(VALU_DEP_1)
	v_mul_f32_e32 v72, v71, v4
	v_fma_f32 v75, -v1, v72, v71
	s_delay_alu instid0(VALU_DEP_1) | instskip(NEXT) | instid1(VALU_DEP_1)
	v_fmac_f32_e32 v72, v75, v4
	v_fma_f32 v1, -v1, v72, v71
	s_wait_alu 0xfffd
	s_delay_alu instid0(VALU_DEP_1) | instskip(NEXT) | instid1(VALU_DEP_1)
	v_div_fmas_f32 v1, v1, v4, v72
	v_div_fixup_f32 v1, v1, v2, 1.0
	s_delay_alu instid0(VALU_DEP_1) | instskip(SKIP_1) | instid1(VALU_DEP_2)
	v_mul_f32_e32 v3, v3, v1
	v_xor_b32_e32 v4, 0x80000000, v1
                                        ; implicit-def: $vgpr1_vgpr2
	v_xor_b32_e32 v71, 0x80000000, v3
.LBB32_15:
	s_wait_alu 0xfffe
	s_and_not1_saveexec_b32 s1, s1
	s_cbranch_execz .LBB32_17
; %bb.16:
	v_div_scale_f32 v3, null, v1, v1, v2
	v_div_scale_f32 v72, vcc_lo, v2, v1, v2
	s_delay_alu instid0(VALU_DEP_2) | instskip(NEXT) | instid1(TRANS32_DEP_1)
	v_rcp_f32_e32 v4, v3
	v_fma_f32 v71, -v3, v4, 1.0
	s_delay_alu instid0(VALU_DEP_1) | instskip(NEXT) | instid1(VALU_DEP_1)
	v_fmac_f32_e32 v4, v71, v4
	v_mul_f32_e32 v71, v72, v4
	s_delay_alu instid0(VALU_DEP_1) | instskip(NEXT) | instid1(VALU_DEP_1)
	v_fma_f32 v75, -v3, v71, v72
	v_fmac_f32_e32 v71, v75, v4
	s_delay_alu instid0(VALU_DEP_1) | instskip(SKIP_1) | instid1(VALU_DEP_1)
	v_fma_f32 v3, -v3, v71, v72
	s_wait_alu 0xfffd
	v_div_fmas_f32 v3, v3, v4, v71
	s_delay_alu instid0(VALU_DEP_1) | instskip(NEXT) | instid1(VALU_DEP_1)
	v_div_fixup_f32 v4, v3, v1, v2
	v_fmac_f32_e32 v1, v2, v4
	s_delay_alu instid0(VALU_DEP_1) | instskip(SKIP_1) | instid1(VALU_DEP_2)
	v_div_scale_f32 v2, null, v1, v1, 1.0
	v_div_scale_f32 v72, vcc_lo, 1.0, v1, 1.0
	v_rcp_f32_e32 v3, v2
	s_delay_alu instid0(TRANS32_DEP_1) | instskip(NEXT) | instid1(VALU_DEP_1)
	v_fma_f32 v71, -v2, v3, 1.0
	v_fmac_f32_e32 v3, v71, v3
	s_delay_alu instid0(VALU_DEP_1) | instskip(NEXT) | instid1(VALU_DEP_1)
	v_mul_f32_e32 v71, v72, v3
	v_fma_f32 v75, -v2, v71, v72
	s_delay_alu instid0(VALU_DEP_1) | instskip(NEXT) | instid1(VALU_DEP_1)
	v_fmac_f32_e32 v71, v75, v3
	v_fma_f32 v2, -v2, v71, v72
	s_wait_alu 0xfffd
	s_delay_alu instid0(VALU_DEP_1) | instskip(NEXT) | instid1(VALU_DEP_1)
	v_div_fmas_f32 v2, v2, v3, v71
	v_div_fixup_f32 v3, v2, v1, 1.0
	s_delay_alu instid0(VALU_DEP_1)
	v_xor_b32_e32 v71, 0x80000000, v3
	v_mul_f32_e64 v4, v4, -v3
.LBB32_17:
	s_wait_alu 0xfffe
	s_or_b32 exec_lo, exec_lo, s1
	scratch_store_b64 v74, v[3:4], off
	scratch_load_b64 v[2:3], off, off offset:8
	v_xor_b32_e32 v72, 0x80000000, v4
	v_add_nc_u32_e32 v1, 0x110, v73
	s_wait_loadcnt 0x0
	ds_store_2addr_b64 v73, v[71:72], v[2:3] offset1:34
	s_wait_storecnt_dscnt 0x0
	s_barrier_signal -1
	s_barrier_wait -1
	global_inv scope:SCOPE_SE
	s_and_saveexec_b32 s1, s0
	s_cbranch_execz .LBB32_19
; %bb.18:
	scratch_load_b64 v[2:3], v74, off
	ds_load_b64 v[71:72], v1
	v_mov_b32_e32 v4, 0
	ds_load_b64 v[75:76], v4 offset:8
	s_wait_loadcnt_dscnt 0x1
	v_mul_f32_e32 v4, v71, v3
	v_mul_f32_e32 v3, v72, v3
	s_delay_alu instid0(VALU_DEP_2) | instskip(NEXT) | instid1(VALU_DEP_2)
	v_fmac_f32_e32 v4, v72, v2
	v_fma_f32 v2, v71, v2, -v3
	s_delay_alu instid0(VALU_DEP_2) | instskip(SKIP_1) | instid1(VALU_DEP_1)
	v_add_f32_e32 v4, 0, v4
	s_wait_dscnt 0x0
	v_dual_add_f32 v2, 0, v2 :: v_dual_mul_f32 v71, v4, v76
	s_delay_alu instid0(VALU_DEP_1) | instskip(NEXT) | instid1(VALU_DEP_2)
	v_mul_f32_e32 v3, v2, v76
	v_fma_f32 v2, v2, v75, -v71
	s_delay_alu instid0(VALU_DEP_2)
	v_fmac_f32_e32 v3, v4, v75
	scratch_store_b64 off, v[2:3], off offset:8
.LBB32_19:
	s_wait_alu 0xfffe
	s_or_b32 exec_lo, exec_lo, s1
	s_wait_loadcnt 0x0
	s_wait_storecnt 0x0
	s_barrier_signal -1
	s_barrier_wait -1
	global_inv scope:SCOPE_SE
	scratch_load_b64 v[2:3], off, off offset:16
	s_mov_b32 s1, exec_lo
	s_wait_loadcnt 0x0
	ds_store_b64 v1, v[2:3]
	s_wait_dscnt 0x0
	s_barrier_signal -1
	s_barrier_wait -1
	global_inv scope:SCOPE_SE
	v_cmpx_gt_u32_e32 2, v0
	s_cbranch_execz .LBB32_23
; %bb.20:
	scratch_load_b64 v[2:3], v74, off
	ds_load_b64 v[71:72], v1
	s_wait_loadcnt_dscnt 0x0
	v_mul_f32_e32 v4, v72, v3
	v_mul_f32_e32 v75, v71, v3
	s_delay_alu instid0(VALU_DEP_2) | instskip(NEXT) | instid1(VALU_DEP_2)
	v_fma_f32 v3, v71, v2, -v4
	v_fmac_f32_e32 v75, v72, v2
	s_delay_alu instid0(VALU_DEP_2) | instskip(NEXT) | instid1(VALU_DEP_2)
	v_add_f32_e32 v3, 0, v3
	v_add_f32_e32 v2, 0, v75
	s_and_saveexec_b32 s4, s0
	s_cbranch_execz .LBB32_22
; %bb.21:
	scratch_load_b64 v[71:72], off, off offset:8
	v_mov_b32_e32 v4, 0
	ds_load_b64 v[75:76], v4 offset:280
	s_wait_loadcnt_dscnt 0x0
	v_mul_f32_e32 v4, v75, v72
	v_mul_f32_e32 v72, v76, v72
	s_delay_alu instid0(VALU_DEP_2) | instskip(NEXT) | instid1(VALU_DEP_2)
	v_fmac_f32_e32 v4, v76, v71
	v_fma_f32 v71, v75, v71, -v72
	s_delay_alu instid0(VALU_DEP_1)
	v_dual_add_f32 v2, v2, v4 :: v_dual_add_f32 v3, v3, v71
.LBB32_22:
	s_wait_alu 0xfffe
	s_or_b32 exec_lo, exec_lo, s4
	v_mov_b32_e32 v4, 0
	ds_load_b64 v[71:72], v4 offset:16
	s_wait_dscnt 0x0
	v_mul_f32_e32 v75, v2, v72
	v_mul_f32_e32 v4, v3, v72
	s_delay_alu instid0(VALU_DEP_2) | instskip(NEXT) | instid1(VALU_DEP_2)
	v_fma_f32 v3, v3, v71, -v75
	v_fmac_f32_e32 v4, v2, v71
	scratch_store_b64 off, v[3:4], off offset:16
.LBB32_23:
	s_wait_alu 0xfffe
	s_or_b32 exec_lo, exec_lo, s1
	s_wait_loadcnt 0x0
	s_wait_storecnt 0x0
	s_barrier_signal -1
	s_barrier_wait -1
	global_inv scope:SCOPE_SE
	scratch_load_b64 v[3:4], off, off offset:24
	v_add_nc_u32_e32 v2, -1, v0
	s_mov_b32 s0, exec_lo
	s_wait_loadcnt 0x0
	ds_store_b64 v1, v[3:4]
	s_wait_dscnt 0x0
	s_barrier_signal -1
	s_barrier_wait -1
	global_inv scope:SCOPE_SE
	v_cmpx_gt_u32_e32 3, v0
	s_cbranch_execz .LBB32_27
; %bb.24:
	v_dual_mov_b32 v3, 0 :: v_dual_add_nc_u32 v4, -1, v0
	v_dual_mov_b32 v72, v73 :: v_dual_add_nc_u32 v71, 0x110, v73
	v_mov_b32_e32 v75, 0
	s_mov_b32 s1, 0
.LBB32_25:                              ; =>This Inner Loop Header: Depth=1
	scratch_load_b64 v[76:77], v72, off
	ds_load_b64 v[78:79], v71
	v_add_nc_u32_e32 v4, 1, v4
	v_add_nc_u32_e32 v71, 8, v71
	s_delay_alu instid0(VALU_DEP_2)
	v_cmp_lt_u32_e32 vcc_lo, 1, v4
	s_wait_alu 0xfffe
	s_or_b32 s1, vcc_lo, s1
	s_wait_loadcnt_dscnt 0x0
	v_mul_f32_e32 v80, v79, v77
	v_mul_f32_e32 v77, v78, v77
	s_delay_alu instid0(VALU_DEP_2) | instskip(NEXT) | instid1(VALU_DEP_2)
	v_fma_f32 v78, v78, v76, -v80
	v_fmac_f32_e32 v77, v79, v76
	s_delay_alu instid0(VALU_DEP_2) | instskip(NEXT) | instid1(VALU_DEP_2)
	v_dual_add_f32 v75, v75, v78 :: v_dual_add_nc_u32 v72, 8, v72
	v_add_f32_e32 v3, v3, v77
	s_wait_alu 0xfffe
	s_and_not1_b32 exec_lo, exec_lo, s1
	s_cbranch_execnz .LBB32_25
; %bb.26:
	s_or_b32 exec_lo, exec_lo, s1
	v_mov_b32_e32 v4, 0
	ds_load_b64 v[71:72], v4 offset:24
	s_wait_dscnt 0x0
	v_mul_f32_e32 v4, v3, v72
	v_mul_f32_e32 v76, v75, v72
	s_delay_alu instid0(VALU_DEP_2) | instskip(NEXT) | instid1(VALU_DEP_2)
	v_fma_f32 v75, v75, v71, -v4
	v_fmac_f32_e32 v76, v3, v71
	scratch_store_b64 off, v[75:76], off offset:24
.LBB32_27:
	s_wait_alu 0xfffe
	s_or_b32 exec_lo, exec_lo, s0
	s_wait_loadcnt 0x0
	s_wait_storecnt 0x0
	s_barrier_signal -1
	s_barrier_wait -1
	global_inv scope:SCOPE_SE
	scratch_load_b64 v[3:4], off, off offset:32
	s_mov_b32 s0, exec_lo
	s_wait_loadcnt 0x0
	ds_store_b64 v1, v[3:4]
	s_wait_dscnt 0x0
	s_barrier_signal -1
	s_barrier_wait -1
	global_inv scope:SCOPE_SE
	v_cmpx_gt_u32_e32 4, v0
	s_cbranch_execz .LBB32_31
; %bb.28:
	v_dual_mov_b32 v3, 0 :: v_dual_add_nc_u32 v4, -1, v0
	v_dual_mov_b32 v72, v73 :: v_dual_add_nc_u32 v71, 0x110, v73
	v_mov_b32_e32 v75, 0
	s_mov_b32 s1, 0
.LBB32_29:                              ; =>This Inner Loop Header: Depth=1
	scratch_load_b64 v[76:77], v72, off
	ds_load_b64 v[78:79], v71
	v_add_nc_u32_e32 v4, 1, v4
	v_add_nc_u32_e32 v71, 8, v71
	s_delay_alu instid0(VALU_DEP_2)
	v_cmp_lt_u32_e32 vcc_lo, 2, v4
	s_wait_alu 0xfffe
	s_or_b32 s1, vcc_lo, s1
	s_wait_loadcnt_dscnt 0x0
	v_mul_f32_e32 v80, v79, v77
	v_mul_f32_e32 v77, v78, v77
	s_delay_alu instid0(VALU_DEP_2) | instskip(NEXT) | instid1(VALU_DEP_2)
	v_fma_f32 v78, v78, v76, -v80
	v_fmac_f32_e32 v77, v79, v76
	s_delay_alu instid0(VALU_DEP_2) | instskip(NEXT) | instid1(VALU_DEP_2)
	v_dual_add_f32 v75, v75, v78 :: v_dual_add_nc_u32 v72, 8, v72
	v_add_f32_e32 v3, v3, v77
	s_wait_alu 0xfffe
	s_and_not1_b32 exec_lo, exec_lo, s1
	s_cbranch_execnz .LBB32_29
; %bb.30:
	s_or_b32 exec_lo, exec_lo, s1
	v_mov_b32_e32 v4, 0
	ds_load_b64 v[71:72], v4 offset:32
	s_wait_dscnt 0x0
	v_mul_f32_e32 v4, v3, v72
	v_mul_f32_e32 v76, v75, v72
	s_delay_alu instid0(VALU_DEP_2) | instskip(NEXT) | instid1(VALU_DEP_2)
	v_fma_f32 v75, v75, v71, -v4
	v_fmac_f32_e32 v76, v3, v71
	scratch_store_b64 off, v[75:76], off offset:32
.LBB32_31:
	s_wait_alu 0xfffe
	s_or_b32 exec_lo, exec_lo, s0
	s_wait_loadcnt 0x0
	s_wait_storecnt 0x0
	s_barrier_signal -1
	s_barrier_wait -1
	global_inv scope:SCOPE_SE
	scratch_load_b64 v[3:4], off, off offset:40
	;; [unrolled: 55-line block ×19, first 2 shown]
	s_mov_b32 s0, exec_lo
	s_wait_loadcnt 0x0
	ds_store_b64 v1, v[3:4]
	s_wait_dscnt 0x0
	s_barrier_signal -1
	s_barrier_wait -1
	global_inv scope:SCOPE_SE
	v_cmpx_gt_u32_e32 22, v0
	s_cbranch_execz .LBB32_103
; %bb.100:
	v_dual_mov_b32 v3, 0 :: v_dual_add_nc_u32 v4, -1, v0
	v_dual_mov_b32 v72, v73 :: v_dual_add_nc_u32 v71, 0x110, v73
	v_mov_b32_e32 v75, 0
	s_mov_b32 s1, 0
.LBB32_101:                             ; =>This Inner Loop Header: Depth=1
	scratch_load_b64 v[76:77], v72, off
	ds_load_b64 v[78:79], v71
	v_add_nc_u32_e32 v4, 1, v4
	v_add_nc_u32_e32 v71, 8, v71
	s_delay_alu instid0(VALU_DEP_2)
	v_cmp_lt_u32_e32 vcc_lo, 20, v4
	s_wait_alu 0xfffe
	s_or_b32 s1, vcc_lo, s1
	s_wait_loadcnt_dscnt 0x0
	v_mul_f32_e32 v80, v79, v77
	v_mul_f32_e32 v77, v78, v77
	s_delay_alu instid0(VALU_DEP_2) | instskip(NEXT) | instid1(VALU_DEP_2)
	v_fma_f32 v78, v78, v76, -v80
	v_fmac_f32_e32 v77, v79, v76
	s_delay_alu instid0(VALU_DEP_2) | instskip(NEXT) | instid1(VALU_DEP_2)
	v_dual_add_f32 v75, v75, v78 :: v_dual_add_nc_u32 v72, 8, v72
	v_add_f32_e32 v3, v3, v77
	s_wait_alu 0xfffe
	s_and_not1_b32 exec_lo, exec_lo, s1
	s_cbranch_execnz .LBB32_101
; %bb.102:
	s_or_b32 exec_lo, exec_lo, s1
	v_mov_b32_e32 v4, 0
	ds_load_b64 v[71:72], v4 offset:176
	s_wait_dscnt 0x0
	v_mul_f32_e32 v4, v3, v72
	v_mul_f32_e32 v76, v75, v72
	s_delay_alu instid0(VALU_DEP_2) | instskip(NEXT) | instid1(VALU_DEP_2)
	v_fma_f32 v75, v75, v71, -v4
	v_fmac_f32_e32 v76, v3, v71
	scratch_store_b64 off, v[75:76], off offset:176
.LBB32_103:
	s_wait_alu 0xfffe
	s_or_b32 exec_lo, exec_lo, s0
	s_wait_loadcnt 0x0
	s_wait_storecnt 0x0
	s_barrier_signal -1
	s_barrier_wait -1
	global_inv scope:SCOPE_SE
	scratch_load_b64 v[3:4], off, off offset:184
	s_mov_b32 s0, exec_lo
	s_wait_loadcnt 0x0
	ds_store_b64 v1, v[3:4]
	s_wait_dscnt 0x0
	s_barrier_signal -1
	s_barrier_wait -1
	global_inv scope:SCOPE_SE
	v_cmpx_gt_u32_e32 23, v0
	s_cbranch_execz .LBB32_107
; %bb.104:
	v_dual_mov_b32 v3, 0 :: v_dual_add_nc_u32 v4, -1, v0
	v_dual_mov_b32 v72, v73 :: v_dual_add_nc_u32 v71, 0x110, v73
	v_mov_b32_e32 v75, 0
	s_mov_b32 s1, 0
.LBB32_105:                             ; =>This Inner Loop Header: Depth=1
	scratch_load_b64 v[76:77], v72, off
	ds_load_b64 v[78:79], v71
	v_add_nc_u32_e32 v4, 1, v4
	v_add_nc_u32_e32 v71, 8, v71
	s_delay_alu instid0(VALU_DEP_2)
	v_cmp_lt_u32_e32 vcc_lo, 21, v4
	s_wait_alu 0xfffe
	s_or_b32 s1, vcc_lo, s1
	s_wait_loadcnt_dscnt 0x0
	v_mul_f32_e32 v80, v79, v77
	v_mul_f32_e32 v77, v78, v77
	s_delay_alu instid0(VALU_DEP_2) | instskip(NEXT) | instid1(VALU_DEP_2)
	v_fma_f32 v78, v78, v76, -v80
	v_fmac_f32_e32 v77, v79, v76
	s_delay_alu instid0(VALU_DEP_2) | instskip(NEXT) | instid1(VALU_DEP_2)
	v_dual_add_f32 v75, v75, v78 :: v_dual_add_nc_u32 v72, 8, v72
	v_add_f32_e32 v3, v3, v77
	s_wait_alu 0xfffe
	s_and_not1_b32 exec_lo, exec_lo, s1
	s_cbranch_execnz .LBB32_105
; %bb.106:
	s_or_b32 exec_lo, exec_lo, s1
	v_mov_b32_e32 v4, 0
	ds_load_b64 v[71:72], v4 offset:184
	s_wait_dscnt 0x0
	v_mul_f32_e32 v4, v3, v72
	v_mul_f32_e32 v76, v75, v72
	s_delay_alu instid0(VALU_DEP_2) | instskip(NEXT) | instid1(VALU_DEP_2)
	v_fma_f32 v75, v75, v71, -v4
	v_fmac_f32_e32 v76, v3, v71
	scratch_store_b64 off, v[75:76], off offset:184
.LBB32_107:
	s_wait_alu 0xfffe
	s_or_b32 exec_lo, exec_lo, s0
	s_wait_loadcnt 0x0
	s_wait_storecnt 0x0
	s_barrier_signal -1
	s_barrier_wait -1
	global_inv scope:SCOPE_SE
	scratch_load_b64 v[3:4], off, off offset:192
	;; [unrolled: 55-line block ×9, first 2 shown]
	s_mov_b32 s0, exec_lo
	s_wait_loadcnt 0x0
	ds_store_b64 v1, v[3:4]
	s_wait_dscnt 0x0
	s_barrier_signal -1
	s_barrier_wait -1
	global_inv scope:SCOPE_SE
	v_cmpx_gt_u32_e32 31, v0
	s_cbranch_execz .LBB32_139
; %bb.136:
	v_dual_mov_b32 v3, 0 :: v_dual_add_nc_u32 v4, -1, v0
	v_dual_mov_b32 v72, v73 :: v_dual_add_nc_u32 v71, 0x110, v73
	v_mov_b32_e32 v73, 0
	s_mov_b32 s1, 0
.LBB32_137:                             ; =>This Inner Loop Header: Depth=1
	scratch_load_b64 v[75:76], v72, off
	ds_load_b64 v[77:78], v71
	v_add_nc_u32_e32 v72, 8, v72
	v_add_nc_u32_e32 v71, 8, v71
	s_wait_loadcnt_dscnt 0x0
	v_mul_f32_e32 v79, v78, v76
	v_mul_f32_e32 v76, v77, v76
	s_delay_alu instid0(VALU_DEP_2) | instskip(SKIP_1) | instid1(VALU_DEP_2)
	v_fma_f32 v77, v77, v75, -v79
	v_add_nc_u32_e32 v4, 1, v4
	v_dual_fmac_f32 v76, v78, v75 :: v_dual_add_f32 v73, v73, v77
	s_delay_alu instid0(VALU_DEP_2) | instskip(NEXT) | instid1(VALU_DEP_2)
	v_cmp_lt_u32_e32 vcc_lo, 29, v4
	v_add_f32_e32 v3, v3, v76
	s_wait_alu 0xfffe
	s_or_b32 s1, vcc_lo, s1
	s_wait_alu 0xfffe
	s_and_not1_b32 exec_lo, exec_lo, s1
	s_cbranch_execnz .LBB32_137
; %bb.138:
	s_or_b32 exec_lo, exec_lo, s1
	v_mov_b32_e32 v4, 0
	ds_load_b64 v[71:72], v4 offset:248
	s_wait_dscnt 0x0
	v_mul_f32_e32 v4, v3, v72
	v_mul_f32_e32 v76, v73, v72
	s_delay_alu instid0(VALU_DEP_2) | instskip(NEXT) | instid1(VALU_DEP_2)
	v_fma_f32 v75, v73, v71, -v4
	v_fmac_f32_e32 v76, v3, v71
	scratch_store_b64 off, v[75:76], off offset:248
.LBB32_139:
	s_wait_alu 0xfffe
	s_or_b32 exec_lo, exec_lo, s0
	s_wait_loadcnt 0x0
	s_wait_storecnt 0x0
	s_barrier_signal -1
	s_barrier_wait -1
	global_inv scope:SCOPE_SE
	scratch_load_b64 v[3:4], off, off offset:256
	s_mov_b32 s0, exec_lo
	s_wait_loadcnt 0x0
	ds_store_b64 v1, v[3:4]
	s_wait_dscnt 0x0
	s_barrier_signal -1
	s_barrier_wait -1
	global_inv scope:SCOPE_SE
	v_cmpx_ne_u32_e32 32, v0
	s_cbranch_execz .LBB32_143
; %bb.140:
	v_dual_mov_b32 v3, 0 :: v_dual_mov_b32 v4, 0
	s_mov_b32 s1, 0
.LBB32_141:                             ; =>This Inner Loop Header: Depth=1
	scratch_load_b64 v[71:72], v74, off
	ds_load_b64 v[75:76], v1
	v_add_nc_u32_e32 v2, 1, v2
	v_add_nc_u32_e32 v1, 8, v1
	s_delay_alu instid0(VALU_DEP_2)
	v_cmp_lt_u32_e32 vcc_lo, 30, v2
	s_wait_alu 0xfffe
	s_or_b32 s1, vcc_lo, s1
	s_wait_loadcnt_dscnt 0x0
	v_mul_f32_e32 v73, v76, v72
	v_mul_f32_e32 v72, v75, v72
	s_delay_alu instid0(VALU_DEP_2) | instskip(NEXT) | instid1(VALU_DEP_2)
	v_fma_f32 v73, v75, v71, -v73
	v_fmac_f32_e32 v72, v76, v71
	v_add_nc_u32_e32 v74, 8, v74
	s_delay_alu instid0(VALU_DEP_2)
	v_dual_add_f32 v4, v4, v73 :: v_dual_add_f32 v3, v3, v72
	s_wait_alu 0xfffe
	s_and_not1_b32 exec_lo, exec_lo, s1
	s_cbranch_execnz .LBB32_141
; %bb.142:
	s_or_b32 exec_lo, exec_lo, s1
	v_mov_b32_e32 v1, 0
	ds_load_b64 v[1:2], v1 offset:256
	s_wait_dscnt 0x0
	v_mul_f32_e32 v71, v3, v2
	v_mul_f32_e32 v72, v4, v2
	s_delay_alu instid0(VALU_DEP_2) | instskip(NEXT) | instid1(VALU_DEP_2)
	v_fma_f32 v71, v4, v1, -v71
	v_fmac_f32_e32 v72, v3, v1
	scratch_store_b64 off, v[71:72], off offset:256
.LBB32_143:
	s_wait_alu 0xfffe
	s_or_b32 exec_lo, exec_lo, s0
	s_mov_b32 s1, -1
	s_wait_loadcnt 0x0
	s_wait_storecnt 0x0
	s_barrier_signal -1
	s_barrier_wait -1
	global_inv scope:SCOPE_SE
.LBB32_144:
	s_wait_alu 0xfffe
	s_and_b32 vcc_lo, exec_lo, s1
	s_wait_alu 0xfffe
	s_cbranch_vccz .LBB32_146
; %bb.145:
	v_mov_b32_e32 v1, 0
	s_lshl_b64 s[0:1], s[16:17], 2
	s_wait_alu 0xfffe
	s_add_nc_u64 s[0:1], s[6:7], s[0:1]
	global_load_b32 v1, v1, s[0:1]
	s_wait_loadcnt 0x0
	v_cmp_ne_u32_e32 vcc_lo, 0, v1
	s_cbranch_vccz .LBB32_147
.LBB32_146:
	s_nop 0
	s_sendmsg sendmsg(MSG_DEALLOC_VGPRS)
	s_endpgm
.LBB32_147:
	v_lshl_add_u32 v3, v0, 3, 0x110
	s_mov_b32 s0, exec_lo
	v_cmpx_eq_u32_e32 32, v0
	s_cbranch_execz .LBB32_149
; %bb.148:
	scratch_load_b64 v[1:2], off, off offset:248
	v_mov_b32_e32 v71, 0
	s_delay_alu instid0(VALU_DEP_1)
	v_mov_b32_e32 v72, v71
	scratch_store_b64 off, v[71:72], off offset:248
	s_wait_loadcnt 0x0
	ds_store_b64 v3, v[1:2]
.LBB32_149:
	s_wait_alu 0xfffe
	s_or_b32 exec_lo, exec_lo, s0
	s_wait_storecnt_dscnt 0x0
	s_barrier_signal -1
	s_barrier_wait -1
	global_inv scope:SCOPE_SE
	s_clause 0x1
	scratch_load_b64 v[71:72], off, off offset:256
	scratch_load_b64 v[73:74], off, off offset:248
	v_mov_b32_e32 v1, 0
	s_mov_b32 s0, exec_lo
	ds_load_b64 v[75:76], v1 offset:528
	s_wait_loadcnt_dscnt 0x100
	v_mul_f32_e32 v2, v76, v72
	s_delay_alu instid0(VALU_DEP_1) | instskip(NEXT) | instid1(VALU_DEP_1)
	v_fma_f32 v2, v75, v71, -v2
	v_add_f32_e32 v2, 0, v2
	v_mul_f32_e32 v4, v75, v72
	s_wait_loadcnt 0x0
	s_delay_alu instid0(VALU_DEP_1) | instskip(NEXT) | instid1(VALU_DEP_1)
	v_dual_fmac_f32 v4, v76, v71 :: v_dual_sub_f32 v71, v73, v2
	v_add_f32_e32 v4, 0, v4
	s_delay_alu instid0(VALU_DEP_1)
	v_sub_f32_e32 v72, v74, v4
	scratch_store_b64 off, v[71:72], off offset:248
	v_cmpx_lt_u32_e32 30, v0
	s_cbranch_execz .LBB32_151
; %bb.150:
	scratch_load_b64 v[71:72], off, off offset:240
	v_mov_b32_e32 v2, v1
	scratch_store_b64 off, v[1:2], off offset:240
	s_wait_loadcnt 0x0
	ds_store_b64 v3, v[71:72]
.LBB32_151:
	s_wait_alu 0xfffe
	s_or_b32 exec_lo, exec_lo, s0
	s_wait_storecnt_dscnt 0x0
	s_barrier_signal -1
	s_barrier_wait -1
	global_inv scope:SCOPE_SE
	s_clause 0x1
	scratch_load_b128 v[71:74], off, off offset:248
	scratch_load_b64 v[79:80], off, off offset:240
	ds_load_2addr_b64 v[75:78], v1 offset0:65 offset1:66
	s_mov_b32 s0, exec_lo
	s_wait_loadcnt_dscnt 0x100
	v_dual_mul_f32 v1, v76, v72 :: v_dual_mul_f32 v4, v77, v74
	s_delay_alu instid0(VALU_DEP_1) | instskip(SKIP_1) | instid1(VALU_DEP_3)
	v_fma_f32 v1, v75, v71, -v1
	v_mul_f32_e32 v2, v75, v72
	v_fmac_f32_e32 v4, v78, v73
	s_delay_alu instid0(VALU_DEP_3) | instskip(NEXT) | instid1(VALU_DEP_3)
	v_dual_add_f32 v1, 0, v1 :: v_dual_mul_f32 v72, v78, v74
	v_fmac_f32_e32 v2, v76, v71
	s_delay_alu instid0(VALU_DEP_2) | instskip(NEXT) | instid1(VALU_DEP_1)
	v_fma_f32 v71, v77, v73, -v72
	v_add_f32_e32 v1, v1, v71
	s_wait_loadcnt 0x0
	s_delay_alu instid0(VALU_DEP_1) | instskip(NEXT) | instid1(VALU_DEP_1)
	v_dual_sub_f32 v1, v79, v1 :: v_dual_add_f32 v2, 0, v2
	v_add_f32_e32 v2, v2, v4
	s_delay_alu instid0(VALU_DEP_1)
	v_sub_f32_e32 v2, v80, v2
	scratch_store_b64 off, v[1:2], off offset:240
	v_cmpx_lt_u32_e32 29, v0
	s_cbranch_execz .LBB32_153
; %bb.152:
	scratch_load_b64 v[1:2], off, off offset:232
	v_mov_b32_e32 v71, 0
	s_delay_alu instid0(VALU_DEP_1)
	v_mov_b32_e32 v72, v71
	scratch_store_b64 off, v[71:72], off offset:232
	s_wait_loadcnt 0x0
	ds_store_b64 v3, v[1:2]
.LBB32_153:
	s_wait_alu 0xfffe
	s_or_b32 exec_lo, exec_lo, s0
	s_wait_storecnt_dscnt 0x0
	s_barrier_signal -1
	s_barrier_wait -1
	global_inv scope:SCOPE_SE
	s_clause 0x2
	scratch_load_b128 v[71:74], off, off offset:240
	scratch_load_b64 v[79:80], off, off offset:256
	scratch_load_b64 v[81:82], off, off offset:232
	v_mov_b32_e32 v1, 0
	ds_load_b128 v[75:78], v1 offset:512
	ds_load_b64 v[83:84], v1 offset:528
	s_mov_b32 s0, exec_lo
	s_wait_loadcnt_dscnt 0x201
	v_mul_f32_e32 v2, v76, v72
	s_wait_loadcnt_dscnt 0x100
	v_mul_f32_e32 v85, v83, v80
	v_mul_f32_e32 v4, v75, v72
	;; [unrolled: 1-line block ×4, first 2 shown]
	v_fma_f32 v2, v75, v71, -v2
	v_fmac_f32_e32 v85, v84, v79
	v_fmac_f32_e32 v4, v76, v71
	v_dual_mul_f32 v71, v84, v80 :: v_dual_fmac_f32 v72, v78, v73
	v_fma_f32 v73, v77, v73, -v74
	v_add_f32_e32 v2, 0, v2
	s_delay_alu instid0(VALU_DEP_3) | instskip(NEXT) | instid1(VALU_DEP_2)
	v_fma_f32 v71, v83, v79, -v71
	v_add_f32_e32 v2, v2, v73
	s_delay_alu instid0(VALU_DEP_1) | instskip(SKIP_1) | instid1(VALU_DEP_1)
	v_add_f32_e32 v2, v2, v71
	s_wait_loadcnt 0x0
	v_dual_sub_f32 v71, v81, v2 :: v_dual_add_f32 v4, 0, v4
	s_delay_alu instid0(VALU_DEP_1) | instskip(NEXT) | instid1(VALU_DEP_1)
	v_add_f32_e32 v4, v4, v72
	v_add_f32_e32 v4, v4, v85
	s_delay_alu instid0(VALU_DEP_1)
	v_sub_f32_e32 v72, v82, v4
	scratch_store_b64 off, v[71:72], off offset:232
	v_cmpx_lt_u32_e32 28, v0
	s_cbranch_execz .LBB32_155
; %bb.154:
	scratch_load_b64 v[71:72], off, off offset:224
	v_mov_b32_e32 v2, v1
	scratch_store_b64 off, v[1:2], off offset:224
	s_wait_loadcnt 0x0
	ds_store_b64 v3, v[71:72]
.LBB32_155:
	s_wait_alu 0xfffe
	s_or_b32 exec_lo, exec_lo, s0
	s_wait_storecnt_dscnt 0x0
	s_barrier_signal -1
	s_barrier_wait -1
	global_inv scope:SCOPE_SE
	s_clause 0x2
	scratch_load_b128 v[71:74], off, off offset:232
	scratch_load_b128 v[75:78], off, off offset:248
	scratch_load_b64 v[87:88], off, off offset:224
	ds_load_2addr_b64 v[79:82], v1 offset0:63 offset1:64
	ds_load_2addr_b64 v[83:86], v1 offset0:65 offset1:66
	s_mov_b32 s0, exec_lo
	s_wait_loadcnt_dscnt 0x201
	v_dual_mul_f32 v1, v79, v72 :: v_dual_mul_f32 v4, v81, v74
	s_wait_loadcnt_dscnt 0x100
	v_dual_mul_f32 v2, v80, v72 :: v_dual_mul_f32 v89, v85, v78
	s_delay_alu instid0(VALU_DEP_2) | instskip(SKIP_1) | instid1(VALU_DEP_3)
	v_dual_mul_f32 v72, v83, v76 :: v_dual_fmac_f32 v1, v80, v71
	v_mul_f32_e32 v74, v82, v74
	v_fma_f32 v2, v79, v71, -v2
	v_mul_f32_e32 v71, v84, v76
	s_delay_alu instid0(VALU_DEP_4)
	v_dual_fmac_f32 v72, v84, v75 :: v_dual_fmac_f32 v89, v86, v77
	v_fmac_f32_e32 v4, v82, v73
	v_fma_f32 v73, v81, v73, -v74
	v_dual_add_f32 v2, 0, v2 :: v_dual_add_f32 v1, 0, v1
	v_mul_f32_e32 v74, v86, v78
	v_fma_f32 v71, v83, v75, -v71
	s_delay_alu instid0(VALU_DEP_3) | instskip(NEXT) | instid1(VALU_DEP_3)
	v_dual_add_f32 v2, v2, v73 :: v_dual_add_f32 v1, v1, v4
	v_fma_f32 v4, v85, v77, -v74
	s_delay_alu instid0(VALU_DEP_2) | instskip(NEXT) | instid1(VALU_DEP_1)
	v_dual_add_f32 v2, v2, v71 :: v_dual_add_f32 v1, v1, v72
	v_add_f32_e32 v2, v2, v4
	s_wait_loadcnt 0x0
	s_delay_alu instid0(VALU_DEP_1) | instskip(NEXT) | instid1(VALU_DEP_1)
	v_dual_add_f32 v4, v1, v89 :: v_dual_sub_f32 v1, v87, v2
	v_sub_f32_e32 v2, v88, v4
	scratch_store_b64 off, v[1:2], off offset:224
	v_cmpx_lt_u32_e32 27, v0
	s_cbranch_execz .LBB32_157
; %bb.156:
	scratch_load_b64 v[1:2], off, off offset:216
	v_mov_b32_e32 v71, 0
	s_delay_alu instid0(VALU_DEP_1)
	v_mov_b32_e32 v72, v71
	scratch_store_b64 off, v[71:72], off offset:216
	s_wait_loadcnt 0x0
	ds_store_b64 v3, v[1:2]
.LBB32_157:
	s_wait_alu 0xfffe
	s_or_b32 exec_lo, exec_lo, s0
	s_wait_storecnt_dscnt 0x0
	s_barrier_signal -1
	s_barrier_wait -1
	global_inv scope:SCOPE_SE
	s_clause 0x3
	scratch_load_b128 v[71:74], off, off offset:224
	scratch_load_b128 v[75:78], off, off offset:240
	scratch_load_b64 v[87:88], off, off offset:256
	scratch_load_b64 v[89:90], off, off offset:216
	v_mov_b32_e32 v1, 0
	ds_load_b128 v[79:82], v1 offset:496
	ds_load_b128 v[83:86], v1 offset:512
	ds_load_b64 v[91:92], v1 offset:528
	s_mov_b32 s0, exec_lo
	s_wait_loadcnt_dscnt 0x302
	v_mul_f32_e32 v2, v79, v72
	v_mul_f32_e32 v72, v80, v72
	s_wait_loadcnt_dscnt 0x201
	v_dual_mul_f32 v4, v81, v74 :: v_dual_mul_f32 v93, v83, v76
	v_mul_f32_e32 v74, v82, v74
	s_wait_loadcnt_dscnt 0x100
	v_dual_mul_f32 v94, v85, v78 :: v_dual_mul_f32 v95, v91, v88
	v_fma_f32 v72, v79, v71, -v72
	v_fmac_f32_e32 v2, v80, v71
	v_dual_mul_f32 v71, v84, v76 :: v_dual_fmac_f32 v4, v82, v73
	v_fmac_f32_e32 v93, v84, v75
	v_fma_f32 v73, v81, v73, -v74
	v_dual_add_f32 v72, 0, v72 :: v_dual_fmac_f32 v95, v92, v87
	s_delay_alu instid0(VALU_DEP_4) | instskip(SKIP_2) | instid1(VALU_DEP_4)
	v_fma_f32 v71, v83, v75, -v71
	v_mul_f32_e32 v74, v86, v78
	v_fmac_f32_e32 v94, v86, v77
	v_add_f32_e32 v72, v72, v73
	v_add_f32_e32 v2, 0, v2
	s_delay_alu instid0(VALU_DEP_4) | instskip(NEXT) | instid1(VALU_DEP_2)
	v_fma_f32 v73, v85, v77, -v74
	v_dual_add_f32 v71, v72, v71 :: v_dual_add_f32 v2, v2, v4
	s_delay_alu instid0(VALU_DEP_1) | instskip(NEXT) | instid1(VALU_DEP_2)
	v_dual_mul_f32 v4, v92, v88 :: v_dual_add_f32 v71, v71, v73
	v_add_f32_e32 v2, v2, v93
	s_delay_alu instid0(VALU_DEP_2) | instskip(NEXT) | instid1(VALU_DEP_2)
	v_fma_f32 v4, v91, v87, -v4
	v_add_f32_e32 v2, v2, v94
	s_delay_alu instid0(VALU_DEP_2) | instskip(SKIP_1) | instid1(VALU_DEP_1)
	v_add_f32_e32 v4, v71, v4
	s_wait_loadcnt 0x0
	v_dual_add_f32 v2, v2, v95 :: v_dual_sub_f32 v71, v89, v4
	s_delay_alu instid0(VALU_DEP_1)
	v_sub_f32_e32 v72, v90, v2
	scratch_store_b64 off, v[71:72], off offset:216
	v_cmpx_lt_u32_e32 26, v0
	s_cbranch_execz .LBB32_159
; %bb.158:
	scratch_load_b64 v[71:72], off, off offset:208
	v_mov_b32_e32 v2, v1
	scratch_store_b64 off, v[1:2], off offset:208
	s_wait_loadcnt 0x0
	ds_store_b64 v3, v[71:72]
.LBB32_159:
	s_wait_alu 0xfffe
	s_or_b32 exec_lo, exec_lo, s0
	s_wait_storecnt_dscnt 0x0
	s_barrier_signal -1
	s_barrier_wait -1
	global_inv scope:SCOPE_SE
	s_clause 0x3
	scratch_load_b128 v[71:74], off, off offset:216
	scratch_load_b128 v[75:78], off, off offset:232
	;; [unrolled: 1-line block ×3, first 2 shown]
	scratch_load_b64 v[95:96], off, off offset:208
	ds_load_2addr_b64 v[83:86], v1 offset0:61 offset1:62
	ds_load_2addr_b64 v[87:90], v1 offset0:63 offset1:64
	;; [unrolled: 1-line block ×3, first 2 shown]
	s_mov_b32 s0, exec_lo
	s_wait_loadcnt_dscnt 0x302
	v_dual_mul_f32 v1, v83, v72 :: v_dual_mul_f32 v2, v85, v74
	s_wait_loadcnt_dscnt 0x100
	v_dual_mul_f32 v72, v84, v72 :: v_dual_mul_f32 v99, v93, v82
	s_delay_alu instid0(VALU_DEP_2) | instskip(SKIP_1) | instid1(VALU_DEP_3)
	v_dual_mul_f32 v98, v91, v80 :: v_dual_fmac_f32 v1, v84, v71
	v_mul_f32_e32 v74, v86, v74
	v_fma_f32 v72, v83, v71, -v72
	v_mul_f32_e32 v71, v88, v76
	v_dual_mul_f32 v4, v87, v76 :: v_dual_mul_f32 v97, v89, v78
	s_delay_alu instid0(VALU_DEP_3) | instskip(NEXT) | instid1(VALU_DEP_3)
	v_dual_add_f32 v1, 0, v1 :: v_dual_add_f32 v72, 0, v72
	v_fma_f32 v71, v87, v75, -v71
	v_fmac_f32_e32 v2, v86, v73
	v_fma_f32 v73, v85, v73, -v74
	v_dual_fmac_f32 v98, v92, v79 :: v_dual_fmac_f32 v97, v90, v77
	s_delay_alu instid0(VALU_DEP_2) | instskip(NEXT) | instid1(VALU_DEP_1)
	v_add_f32_e32 v72, v72, v73
	v_add_f32_e32 v71, v72, v71
	v_dual_fmac_f32 v4, v88, v75 :: v_dual_add_f32 v1, v1, v2
	v_mul_f32_e32 v74, v90, v78
	v_mul_f32_e32 v2, v92, v80
	s_delay_alu instid0(VALU_DEP_3) | instskip(NEXT) | instid1(VALU_DEP_3)
	v_add_f32_e32 v1, v1, v4
	v_fma_f32 v73, v89, v77, -v74
	v_mul_f32_e32 v4, v94, v82
	s_delay_alu instid0(VALU_DEP_4) | instskip(NEXT) | instid1(VALU_DEP_4)
	v_fma_f32 v2, v91, v79, -v2
	v_add_f32_e32 v1, v1, v97
	s_delay_alu instid0(VALU_DEP_4) | instskip(SKIP_2) | instid1(VALU_DEP_4)
	v_add_f32_e32 v71, v71, v73
	v_fmac_f32_e32 v99, v94, v81
	v_fma_f32 v4, v93, v81, -v4
	v_add_f32_e32 v1, v1, v98
	s_delay_alu instid0(VALU_DEP_4) | instskip(NEXT) | instid1(VALU_DEP_1)
	v_add_f32_e32 v2, v71, v2
	v_add_f32_e32 v2, v2, v4
	s_wait_loadcnt 0x0
	s_delay_alu instid0(VALU_DEP_1) | instskip(NEXT) | instid1(VALU_DEP_1)
	v_dual_add_f32 v4, v1, v99 :: v_dual_sub_f32 v1, v95, v2
	v_sub_f32_e32 v2, v96, v4
	scratch_store_b64 off, v[1:2], off offset:208
	v_cmpx_lt_u32_e32 25, v0
	s_cbranch_execz .LBB32_161
; %bb.160:
	scratch_load_b64 v[1:2], off, off offset:200
	v_mov_b32_e32 v71, 0
	s_delay_alu instid0(VALU_DEP_1)
	v_mov_b32_e32 v72, v71
	scratch_store_b64 off, v[71:72], off offset:200
	s_wait_loadcnt 0x0
	ds_store_b64 v3, v[1:2]
.LBB32_161:
	s_wait_alu 0xfffe
	s_or_b32 exec_lo, exec_lo, s0
	s_wait_storecnt_dscnt 0x0
	s_barrier_signal -1
	s_barrier_wait -1
	global_inv scope:SCOPE_SE
	s_clause 0x4
	scratch_load_b128 v[71:74], off, off offset:208
	scratch_load_b128 v[75:78], off, off offset:224
	;; [unrolled: 1-line block ×3, first 2 shown]
	scratch_load_b64 v[95:96], off, off offset:256
	scratch_load_b64 v[97:98], off, off offset:200
	v_mov_b32_e32 v1, 0
	ds_load_b128 v[83:86], v1 offset:480
	ds_load_b128 v[87:90], v1 offset:496
	;; [unrolled: 1-line block ×3, first 2 shown]
	ds_load_b64 v[99:100], v1 offset:528
	s_mov_b32 s0, exec_lo
	s_wait_loadcnt_dscnt 0x403
	v_mul_f32_e32 v2, v83, v72
	v_mul_f32_e32 v72, v84, v72
	s_wait_loadcnt_dscnt 0x302
	v_dual_mul_f32 v4, v85, v74 :: v_dual_mul_f32 v101, v87, v76
	v_mul_f32_e32 v74, v86, v74
	s_wait_loadcnt_dscnt 0x201
	v_dual_mul_f32 v102, v89, v78 :: v_dual_mul_f32 v103, v91, v80
	v_fma_f32 v72, v83, v71, -v72
	v_fmac_f32_e32 v2, v84, v71
	v_dual_mul_f32 v71, v88, v76 :: v_dual_fmac_f32 v4, v86, v73
	v_fmac_f32_e32 v101, v88, v75
	v_fma_f32 v73, v85, v73, -v74
	v_dual_add_f32 v72, 0, v72 :: v_dual_fmac_f32 v103, v92, v79
	s_delay_alu instid0(VALU_DEP_4) | instskip(SKIP_2) | instid1(VALU_DEP_3)
	v_fma_f32 v71, v87, v75, -v71
	s_wait_loadcnt_dscnt 0x100
	v_dual_mul_f32 v104, v93, v82 :: v_dual_mul_f32 v105, v99, v96
	v_add_f32_e32 v72, v72, v73
	v_add_f32_e32 v2, 0, v2
	v_mul_f32_e32 v74, v90, v78
	s_delay_alu instid0(VALU_DEP_4) | instskip(NEXT) | instid1(VALU_DEP_3)
	v_dual_fmac_f32 v102, v90, v77 :: v_dual_fmac_f32 v105, v100, v95
	v_dual_add_f32 v71, v72, v71 :: v_dual_add_f32 v2, v2, v4
	v_mul_f32_e32 v4, v92, v80
	s_delay_alu instid0(VALU_DEP_4)
	v_fma_f32 v73, v89, v77, -v74
	v_mul_f32_e32 v72, v94, v82
	v_fmac_f32_e32 v104, v94, v81
	v_add_f32_e32 v2, v2, v101
	v_fma_f32 v4, v91, v79, -v4
	v_add_f32_e32 v71, v71, v73
	v_mul_f32_e32 v73, v100, v96
	v_fma_f32 v72, v93, v81, -v72
	v_add_f32_e32 v2, v2, v102
	s_delay_alu instid0(VALU_DEP_4) | instskip(NEXT) | instid1(VALU_DEP_4)
	v_add_f32_e32 v4, v71, v4
	v_fma_f32 v71, v99, v95, -v73
	s_delay_alu instid0(VALU_DEP_3) | instskip(NEXT) | instid1(VALU_DEP_3)
	v_add_f32_e32 v2, v2, v103
	v_add_f32_e32 v4, v4, v72
	s_delay_alu instid0(VALU_DEP_2) | instskip(NEXT) | instid1(VALU_DEP_2)
	v_add_f32_e32 v2, v2, v104
	v_add_f32_e32 v4, v4, v71
	s_wait_loadcnt 0x0
	s_delay_alu instid0(VALU_DEP_1) | instskip(NEXT) | instid1(VALU_DEP_1)
	v_dual_add_f32 v2, v2, v105 :: v_dual_sub_f32 v71, v97, v4
	v_sub_f32_e32 v72, v98, v2
	scratch_store_b64 off, v[71:72], off offset:200
	v_cmpx_lt_u32_e32 24, v0
	s_cbranch_execz .LBB32_163
; %bb.162:
	scratch_load_b64 v[71:72], off, off offset:192
	v_mov_b32_e32 v2, v1
	scratch_store_b64 off, v[1:2], off offset:192
	s_wait_loadcnt 0x0
	ds_store_b64 v3, v[71:72]
.LBB32_163:
	s_wait_alu 0xfffe
	s_or_b32 exec_lo, exec_lo, s0
	s_wait_storecnt_dscnt 0x0
	s_barrier_signal -1
	s_barrier_wait -1
	global_inv scope:SCOPE_SE
	s_clause 0x4
	scratch_load_b128 v[71:74], off, off offset:200
	scratch_load_b128 v[75:78], off, off offset:216
	scratch_load_b128 v[79:82], off, off offset:232
	scratch_load_b128 v[83:86], off, off offset:248
	scratch_load_b64 v[103:104], off, off offset:192
	ds_load_2addr_b64 v[87:90], v1 offset0:59 offset1:60
	ds_load_2addr_b64 v[91:94], v1 offset0:61 offset1:62
	;; [unrolled: 1-line block ×4, first 2 shown]
	s_mov_b32 s0, exec_lo
	s_wait_loadcnt_dscnt 0x403
	v_dual_mul_f32 v1, v87, v72 :: v_dual_mul_f32 v2, v89, v74
	s_wait_loadcnt_dscnt 0x100
	v_dual_mul_f32 v72, v88, v72 :: v_dual_mul_f32 v109, v101, v86
	s_delay_alu instid0(VALU_DEP_2) | instskip(SKIP_1) | instid1(VALU_DEP_3)
	v_dual_mul_f32 v108, v99, v84 :: v_dual_fmac_f32 v1, v88, v71
	v_mul_f32_e32 v74, v90, v74
	v_fma_f32 v72, v87, v71, -v72
	v_mul_f32_e32 v71, v92, v76
	v_dual_mul_f32 v106, v95, v80 :: v_dual_mul_f32 v107, v97, v82
	v_dual_mul_f32 v4, v91, v76 :: v_dual_mul_f32 v105, v93, v78
	s_delay_alu instid0(VALU_DEP_4) | instskip(NEXT) | instid1(VALU_DEP_4)
	v_dual_add_f32 v72, 0, v72 :: v_dual_add_f32 v1, 0, v1
	v_fma_f32 v71, v91, v75, -v71
	v_fmac_f32_e32 v2, v90, v73
	v_fma_f32 v73, v89, v73, -v74
	v_dual_fmac_f32 v106, v96, v79 :: v_dual_fmac_f32 v105, v94, v77
	v_fmac_f32_e32 v107, v98, v81
	v_fmac_f32_e32 v109, v102, v85
	s_delay_alu instid0(VALU_DEP_4) | instskip(SKIP_1) | instid1(VALU_DEP_2)
	v_add_f32_e32 v72, v72, v73
	v_fmac_f32_e32 v108, v100, v83
	v_add_f32_e32 v71, v72, v71
	v_dual_fmac_f32 v4, v92, v75 :: v_dual_add_f32 v1, v1, v2
	v_mul_f32_e32 v74, v94, v78
	v_mul_f32_e32 v2, v96, v80
	v_mul_f32_e32 v72, v100, v84
	s_delay_alu instid0(VALU_DEP_4) | instskip(NEXT) | instid1(VALU_DEP_4)
	v_add_f32_e32 v1, v1, v4
	v_fma_f32 v73, v93, v77, -v74
	v_mul_f32_e32 v4, v98, v82
	v_fma_f32 v2, v95, v79, -v2
	v_fma_f32 v72, v99, v83, -v72
	v_add_f32_e32 v1, v1, v105
	v_add_f32_e32 v71, v71, v73
	v_fma_f32 v4, v97, v81, -v4
	s_delay_alu instid0(VALU_DEP_3) | instskip(NEXT) | instid1(VALU_DEP_3)
	v_add_f32_e32 v1, v1, v106
	v_add_f32_e32 v2, v71, v2
	v_mul_f32_e32 v71, v102, v86
	s_delay_alu instid0(VALU_DEP_2) | instskip(NEXT) | instid1(VALU_DEP_2)
	v_dual_add_f32 v1, v1, v107 :: v_dual_add_f32 v2, v2, v4
	v_fma_f32 v4, v101, v85, -v71
	s_delay_alu instid0(VALU_DEP_2) | instskip(NEXT) | instid1(VALU_DEP_3)
	v_add_f32_e32 v1, v1, v108
	v_add_f32_e32 v2, v2, v72
	s_delay_alu instid0(VALU_DEP_1) | instskip(SKIP_1) | instid1(VALU_DEP_1)
	v_add_f32_e32 v2, v2, v4
	s_wait_loadcnt 0x0
	v_dual_add_f32 v4, v1, v109 :: v_dual_sub_f32 v1, v103, v2
	s_delay_alu instid0(VALU_DEP_1)
	v_sub_f32_e32 v2, v104, v4
	scratch_store_b64 off, v[1:2], off offset:192
	v_cmpx_lt_u32_e32 23, v0
	s_cbranch_execz .LBB32_165
; %bb.164:
	scratch_load_b64 v[1:2], off, off offset:184
	v_mov_b32_e32 v71, 0
	s_delay_alu instid0(VALU_DEP_1)
	v_mov_b32_e32 v72, v71
	scratch_store_b64 off, v[71:72], off offset:184
	s_wait_loadcnt 0x0
	ds_store_b64 v3, v[1:2]
.LBB32_165:
	s_wait_alu 0xfffe
	s_or_b32 exec_lo, exec_lo, s0
	s_wait_storecnt_dscnt 0x0
	s_barrier_signal -1
	s_barrier_wait -1
	global_inv scope:SCOPE_SE
	s_clause 0x5
	scratch_load_b128 v[71:74], off, off offset:192
	scratch_load_b128 v[75:78], off, off offset:208
	;; [unrolled: 1-line block ×4, first 2 shown]
	scratch_load_b64 v[103:104], off, off offset:256
	scratch_load_b64 v[105:106], off, off offset:184
	v_mov_b32_e32 v1, 0
	ds_load_b128 v[87:90], v1 offset:464
	ds_load_b128 v[91:94], v1 offset:480
	;; [unrolled: 1-line block ×4, first 2 shown]
	ds_load_b64 v[107:108], v1 offset:528
	s_mov_b32 s0, exec_lo
	s_wait_loadcnt_dscnt 0x504
	v_mul_f32_e32 v2, v87, v72
	v_mul_f32_e32 v72, v88, v72
	s_wait_loadcnt_dscnt 0x403
	v_dual_mul_f32 v4, v89, v74 :: v_dual_mul_f32 v109, v91, v76
	v_mul_f32_e32 v74, v90, v74
	s_wait_loadcnt_dscnt 0x302
	v_dual_mul_f32 v110, v93, v78 :: v_dual_mul_f32 v111, v95, v80
	v_fma_f32 v72, v87, v71, -v72
	v_fmac_f32_e32 v2, v88, v71
	v_dual_mul_f32 v71, v92, v76 :: v_dual_fmac_f32 v4, v90, v73
	v_fmac_f32_e32 v109, v92, v75
	v_fma_f32 v73, v89, v73, -v74
	v_dual_add_f32 v72, 0, v72 :: v_dual_fmac_f32 v111, v96, v79
	s_delay_alu instid0(VALU_DEP_4) | instskip(SKIP_2) | instid1(VALU_DEP_3)
	v_fma_f32 v71, v91, v75, -v71
	s_wait_loadcnt_dscnt 0x201
	v_dual_mul_f32 v112, v97, v82 :: v_dual_mul_f32 v113, v99, v84
	v_add_f32_e32 v72, v72, v73
	v_add_f32_e32 v2, 0, v2
	v_mul_f32_e32 v74, v94, v78
	s_wait_loadcnt_dscnt 0x100
	v_dual_mul_f32 v114, v101, v86 :: v_dual_mul_f32 v115, v107, v104
	s_delay_alu instid0(VALU_DEP_3) | instskip(SKIP_2) | instid1(VALU_DEP_4)
	v_dual_add_f32 v71, v72, v71 :: v_dual_add_f32 v2, v2, v4
	v_fmac_f32_e32 v113, v100, v83
	v_mul_f32_e32 v4, v96, v80
	v_dual_fmac_f32 v110, v94, v77 :: v_dual_fmac_f32 v115, v108, v103
	v_fma_f32 v73, v93, v77, -v74
	v_add_f32_e32 v2, v2, v109
	v_mul_f32_e32 v72, v98, v82
	v_fma_f32 v4, v95, v79, -v4
	v_fmac_f32_e32 v112, v98, v81
	s_delay_alu instid0(VALU_DEP_4) | instskip(SKIP_3) | instid1(VALU_DEP_4)
	v_dual_add_f32 v71, v71, v73 :: v_dual_add_f32 v2, v2, v110
	v_mul_f32_e32 v73, v100, v84
	v_fma_f32 v72, v97, v81, -v72
	v_fmac_f32_e32 v114, v102, v85
	v_add_f32_e32 v4, v71, v4
	v_add_f32_e32 v2, v2, v111
	v_mul_f32_e32 v71, v102, v86
	v_fma_f32 v73, v99, v83, -v73
	s_delay_alu instid0(VALU_DEP_4) | instskip(NEXT) | instid1(VALU_DEP_4)
	v_add_f32_e32 v4, v4, v72
	v_add_f32_e32 v2, v2, v112
	v_mul_f32_e32 v72, v108, v104
	v_fma_f32 v71, v101, v85, -v71
	s_delay_alu instid0(VALU_DEP_4) | instskip(NEXT) | instid1(VALU_DEP_4)
	v_add_f32_e32 v4, v4, v73
	v_add_f32_e32 v2, v2, v113
	s_delay_alu instid0(VALU_DEP_4) | instskip(NEXT) | instid1(VALU_DEP_3)
	v_fma_f32 v72, v107, v103, -v72
	v_add_f32_e32 v4, v4, v71
	s_delay_alu instid0(VALU_DEP_3) | instskip(NEXT) | instid1(VALU_DEP_2)
	v_add_f32_e32 v2, v2, v114
	v_add_f32_e32 v4, v4, v72
	s_wait_loadcnt 0x0
	s_delay_alu instid0(VALU_DEP_1) | instskip(NEXT) | instid1(VALU_DEP_1)
	v_dual_add_f32 v2, v2, v115 :: v_dual_sub_f32 v71, v105, v4
	v_sub_f32_e32 v72, v106, v2
	scratch_store_b64 off, v[71:72], off offset:184
	v_cmpx_lt_u32_e32 22, v0
	s_cbranch_execz .LBB32_167
; %bb.166:
	scratch_load_b64 v[71:72], off, off offset:176
	v_mov_b32_e32 v2, v1
	scratch_store_b64 off, v[1:2], off offset:176
	s_wait_loadcnt 0x0
	ds_store_b64 v3, v[71:72]
.LBB32_167:
	s_wait_alu 0xfffe
	s_or_b32 exec_lo, exec_lo, s0
	s_wait_storecnt_dscnt 0x0
	s_barrier_signal -1
	s_barrier_wait -1
	global_inv scope:SCOPE_SE
	s_clause 0x5
	scratch_load_b128 v[71:74], off, off offset:184
	scratch_load_b128 v[75:78], off, off offset:200
	;; [unrolled: 1-line block ×5, first 2 shown]
	scratch_load_b64 v[111:112], off, off offset:176
	ds_load_2addr_b64 v[91:94], v1 offset0:57 offset1:58
	ds_load_2addr_b64 v[95:98], v1 offset0:59 offset1:60
	ds_load_2addr_b64 v[99:102], v1 offset0:61 offset1:62
	ds_load_2addr_b64 v[103:106], v1 offset0:63 offset1:64
	ds_load_2addr_b64 v[107:110], v1 offset0:65 offset1:66
	s_mov_b32 s0, exec_lo
	s_wait_loadcnt_dscnt 0x504
	v_dual_mul_f32 v1, v91, v72 :: v_dual_mul_f32 v2, v93, v74
	v_mul_f32_e32 v72, v92, v72
	v_mul_f32_e32 v74, v94, v74
	s_wait_loadcnt_dscnt 0x100
	s_delay_alu instid0(VALU_DEP_3)
	v_dual_mul_f32 v118, v107, v88 :: v_dual_fmac_f32 v1, v92, v71
	v_mul_f32_e32 v119, v109, v90
	v_fma_f32 v72, v91, v71, -v72
	v_mul_f32_e32 v71, v96, v76
	v_dual_mul_f32 v114, v99, v80 :: v_dual_mul_f32 v115, v101, v82
	v_dual_mul_f32 v4, v95, v76 :: v_dual_mul_f32 v113, v97, v78
	s_delay_alu instid0(VALU_DEP_4) | instskip(NEXT) | instid1(VALU_DEP_4)
	v_dual_add_f32 v72, 0, v72 :: v_dual_add_f32 v1, 0, v1
	v_fma_f32 v71, v95, v75, -v71
	v_fmac_f32_e32 v2, v94, v73
	v_fma_f32 v73, v93, v73, -v74
	v_dual_fmac_f32 v114, v100, v79 :: v_dual_fmac_f32 v113, v98, v77
	v_dual_mul_f32 v116, v103, v84 :: v_dual_mul_f32 v117, v105, v86
	s_delay_alu instid0(VALU_DEP_3) | instskip(SKIP_1) | instid1(VALU_DEP_3)
	v_add_f32_e32 v72, v72, v73
	v_dual_fmac_f32 v115, v102, v81 :: v_dual_fmac_f32 v118, v108, v87
	v_dual_fmac_f32 v116, v104, v83 :: v_dual_fmac_f32 v117, v106, v85
	s_delay_alu instid0(VALU_DEP_3) | instskip(SKIP_4) | instid1(VALU_DEP_4)
	v_add_f32_e32 v71, v72, v71
	v_dual_fmac_f32 v4, v96, v75 :: v_dual_add_f32 v1, v1, v2
	v_mul_f32_e32 v74, v98, v78
	v_mul_f32_e32 v2, v100, v80
	v_dual_mul_f32 v72, v104, v84 :: v_dual_fmac_f32 v119, v110, v89
	v_add_f32_e32 v1, v1, v4
	s_delay_alu instid0(VALU_DEP_4)
	v_fma_f32 v73, v97, v77, -v74
	v_mul_f32_e32 v4, v102, v82
	v_fma_f32 v2, v99, v79, -v2
	v_fma_f32 v72, v103, v83, -v72
	v_add_f32_e32 v1, v1, v113
	v_add_f32_e32 v71, v71, v73
	v_fma_f32 v4, v101, v81, -v4
	s_delay_alu instid0(VALU_DEP_3) | instskip(NEXT) | instid1(VALU_DEP_3)
	v_add_f32_e32 v1, v1, v114
	v_add_f32_e32 v2, v71, v2
	v_mul_f32_e32 v71, v106, v86
	s_delay_alu instid0(VALU_DEP_3) | instskip(NEXT) | instid1(VALU_DEP_2)
	v_add_f32_e32 v1, v1, v115
	v_fma_f32 v71, v105, v85, -v71
	s_delay_alu instid0(VALU_DEP_2) | instskip(SKIP_1) | instid1(VALU_DEP_2)
	v_add_f32_e32 v1, v1, v116
	v_add_f32_e32 v2, v2, v4
	v_dual_mul_f32 v4, v108, v88 :: v_dual_add_f32 v1, v1, v117
	s_delay_alu instid0(VALU_DEP_2) | instskip(SKIP_1) | instid1(VALU_DEP_3)
	v_add_f32_e32 v2, v2, v72
	v_mul_f32_e32 v72, v110, v90
	v_fma_f32 v4, v107, v87, -v4
	s_delay_alu instid0(VALU_DEP_3) | instskip(NEXT) | instid1(VALU_DEP_3)
	v_dual_add_f32 v1, v1, v118 :: v_dual_add_f32 v2, v2, v71
	v_fma_f32 v71, v109, v89, -v72
	s_delay_alu instid0(VALU_DEP_2) | instskip(NEXT) | instid1(VALU_DEP_1)
	v_add_f32_e32 v2, v2, v4
	v_add_f32_e32 v2, v2, v71
	s_wait_loadcnt 0x0
	s_delay_alu instid0(VALU_DEP_1) | instskip(NEXT) | instid1(VALU_DEP_1)
	v_dual_add_f32 v4, v1, v119 :: v_dual_sub_f32 v1, v111, v2
	v_sub_f32_e32 v2, v112, v4
	scratch_store_b64 off, v[1:2], off offset:176
	v_cmpx_lt_u32_e32 21, v0
	s_cbranch_execz .LBB32_169
; %bb.168:
	scratch_load_b64 v[1:2], off, off offset:168
	v_mov_b32_e32 v71, 0
	s_delay_alu instid0(VALU_DEP_1)
	v_mov_b32_e32 v72, v71
	scratch_store_b64 off, v[71:72], off offset:168
	s_wait_loadcnt 0x0
	ds_store_b64 v3, v[1:2]
.LBB32_169:
	s_wait_alu 0xfffe
	s_or_b32 exec_lo, exec_lo, s0
	s_wait_storecnt_dscnt 0x0
	s_barrier_signal -1
	s_barrier_wait -1
	global_inv scope:SCOPE_SE
	s_clause 0x6
	scratch_load_b128 v[71:74], off, off offset:176
	scratch_load_b128 v[75:78], off, off offset:192
	;; [unrolled: 1-line block ×5, first 2 shown]
	scratch_load_b64 v[111:112], off, off offset:256
	scratch_load_b64 v[113:114], off, off offset:168
	v_mov_b32_e32 v1, 0
	ds_load_b128 v[91:94], v1 offset:448
	ds_load_b128 v[95:98], v1 offset:464
	;; [unrolled: 1-line block ×5, first 2 shown]
	ds_load_b64 v[115:116], v1 offset:528
	s_mov_b32 s0, exec_lo
	s_wait_loadcnt_dscnt 0x605
	v_mul_f32_e32 v2, v91, v72
	v_mul_f32_e32 v72, v92, v72
	s_wait_loadcnt_dscnt 0x504
	v_dual_mul_f32 v4, v93, v74 :: v_dual_mul_f32 v117, v95, v76
	v_mul_f32_e32 v74, v94, v74
	s_wait_loadcnt_dscnt 0x403
	v_dual_mul_f32 v118, v97, v78 :: v_dual_mul_f32 v119, v99, v80
	v_fma_f32 v72, v91, v71, -v72
	v_fmac_f32_e32 v2, v92, v71
	v_dual_mul_f32 v71, v96, v76 :: v_dual_fmac_f32 v4, v94, v73
	v_fmac_f32_e32 v117, v96, v75
	v_fma_f32 v73, v93, v73, -v74
	v_dual_add_f32 v72, 0, v72 :: v_dual_fmac_f32 v119, v100, v79
	v_mul_f32_e32 v74, v98, v78
	v_fma_f32 v71, v95, v75, -v71
	s_wait_loadcnt_dscnt 0x302
	v_dual_mul_f32 v120, v101, v82 :: v_dual_mul_f32 v121, v103, v84
	v_add_f32_e32 v72, v72, v73
	v_add_f32_e32 v2, 0, v2
	v_fma_f32 v73, v97, v77, -v74
	s_wait_loadcnt_dscnt 0x100
	v_dual_mul_f32 v124, v109, v90 :: v_dual_mul_f32 v125, v115, v112
	s_delay_alu instid0(VALU_DEP_3) | instskip(SKIP_2) | instid1(VALU_DEP_4)
	v_dual_add_f32 v71, v72, v71 :: v_dual_add_f32 v2, v2, v4
	v_fmac_f32_e32 v121, v104, v83
	v_mul_f32_e32 v4, v100, v80
	v_dual_mul_f32 v72, v102, v82 :: v_dual_fmac_f32 v125, v116, v111
	s_delay_alu instid0(VALU_DEP_4) | instskip(SKIP_1) | instid1(VALU_DEP_4)
	v_add_f32_e32 v71, v71, v73
	v_mul_f32_e32 v73, v104, v84
	v_fma_f32 v4, v99, v79, -v4
	s_delay_alu instid0(VALU_DEP_4) | instskip(SKIP_2) | instid1(VALU_DEP_4)
	v_fma_f32 v72, v101, v81, -v72
	v_add_f32_e32 v2, v2, v117
	v_dual_mul_f32 v122, v105, v86 :: v_dual_mul_f32 v123, v107, v88
	v_dual_add_f32 v4, v71, v4 :: v_dual_mul_f32 v71, v106, v86
	v_fma_f32 v73, v103, v83, -v73
	s_delay_alu instid0(VALU_DEP_3) | instskip(NEXT) | instid1(VALU_DEP_3)
	v_dual_fmac_f32 v118, v98, v77 :: v_dual_fmac_f32 v123, v108, v87
	v_add_f32_e32 v4, v4, v72
	v_mul_f32_e32 v72, v108, v88
	v_fma_f32 v71, v105, v85, -v71
	v_fmac_f32_e32 v120, v102, v81
	v_fmac_f32_e32 v122, v106, v85
	v_dual_add_f32 v4, v4, v73 :: v_dual_mul_f32 v73, v110, v90
	v_fma_f32 v72, v107, v87, -v72
	v_fmac_f32_e32 v124, v110, v89
	s_delay_alu instid0(VALU_DEP_3) | instskip(SKIP_2) | instid1(VALU_DEP_3)
	v_add_f32_e32 v4, v4, v71
	v_mul_f32_e32 v71, v116, v112
	v_fma_f32 v73, v109, v89, -v73
	v_add_f32_e32 v4, v4, v72
	s_delay_alu instid0(VALU_DEP_3) | instskip(NEXT) | instid1(VALU_DEP_2)
	v_fma_f32 v71, v115, v111, -v71
	v_add_f32_e32 v4, v4, v73
	s_delay_alu instid0(VALU_DEP_1) | instskip(SKIP_1) | instid1(VALU_DEP_1)
	v_add_f32_e32 v4, v4, v71
	s_wait_loadcnt 0x0
	v_dual_add_f32 v2, v2, v118 :: v_dual_sub_f32 v71, v113, v4
	s_delay_alu instid0(VALU_DEP_1) | instskip(NEXT) | instid1(VALU_DEP_1)
	v_add_f32_e32 v2, v2, v119
	v_add_f32_e32 v2, v2, v120
	s_delay_alu instid0(VALU_DEP_1) | instskip(NEXT) | instid1(VALU_DEP_1)
	v_add_f32_e32 v2, v2, v121
	v_add_f32_e32 v2, v2, v122
	;; [unrolled: 3-line block ×3, first 2 shown]
	s_delay_alu instid0(VALU_DEP_1) | instskip(NEXT) | instid1(VALU_DEP_1)
	v_add_f32_e32 v2, v2, v125
	v_sub_f32_e32 v72, v114, v2
	scratch_store_b64 off, v[71:72], off offset:168
	v_cmpx_lt_u32_e32 20, v0
	s_cbranch_execz .LBB32_171
; %bb.170:
	scratch_load_b64 v[71:72], off, off offset:160
	v_mov_b32_e32 v2, v1
	scratch_store_b64 off, v[1:2], off offset:160
	s_wait_loadcnt 0x0
	ds_store_b64 v3, v[71:72]
.LBB32_171:
	s_wait_alu 0xfffe
	s_or_b32 exec_lo, exec_lo, s0
	s_wait_storecnt_dscnt 0x0
	s_barrier_signal -1
	s_barrier_wait -1
	global_inv scope:SCOPE_SE
	s_clause 0x6
	scratch_load_b128 v[71:74], off, off offset:168
	scratch_load_b128 v[75:78], off, off offset:184
	;; [unrolled: 1-line block ×6, first 2 shown]
	scratch_load_b64 v[119:120], off, off offset:160
	ds_load_2addr_b64 v[95:98], v1 offset0:55 offset1:56
	ds_load_2addr_b64 v[99:102], v1 offset0:57 offset1:58
	;; [unrolled: 1-line block ×6, first 2 shown]
	s_mov_b32 s0, exec_lo
	s_wait_loadcnt_dscnt 0x605
	v_dual_mul_f32 v1, v95, v72 :: v_dual_mul_f32 v2, v97, v74
	v_mul_f32_e32 v72, v96, v72
	v_mul_f32_e32 v74, v98, v74
	s_wait_loadcnt_dscnt 0x403
	v_dual_mul_f32 v122, v103, v80 :: v_dual_mul_f32 v123, v105, v82
	s_wait_loadcnt_dscnt 0x100
	v_dual_mul_f32 v128, v115, v92 :: v_dual_fmac_f32 v1, v96, v71
	v_mul_f32_e32 v129, v117, v94
	v_fma_f32 v72, v95, v71, -v72
	v_mul_f32_e32 v71, v100, v76
	v_dual_mul_f32 v4, v99, v76 :: v_dual_mul_f32 v121, v101, v78
	s_delay_alu instid0(VALU_DEP_3) | instskip(NEXT) | instid1(VALU_DEP_3)
	v_dual_add_f32 v1, 0, v1 :: v_dual_add_f32 v72, 0, v72
	v_fma_f32 v71, v99, v75, -v71
	v_fmac_f32_e32 v2, v98, v73
	v_fma_f32 v73, v97, v73, -v74
	v_dual_fmac_f32 v122, v104, v79 :: v_dual_fmac_f32 v121, v102, v77
	v_dual_mul_f32 v124, v107, v84 :: v_dual_mul_f32 v125, v109, v86
	s_delay_alu instid0(VALU_DEP_3) | instskip(SKIP_2) | instid1(VALU_DEP_4)
	v_add_f32_e32 v72, v72, v73
	v_dual_fmac_f32 v123, v106, v81 :: v_dual_mul_f32 v126, v111, v88
	v_mul_f32_e32 v127, v113, v90
	v_fmac_f32_e32 v125, v110, v85
	s_delay_alu instid0(VALU_DEP_4) | instskip(SKIP_4) | instid1(VALU_DEP_4)
	v_add_f32_e32 v71, v72, v71
	v_dual_fmac_f32 v4, v100, v75 :: v_dual_add_f32 v1, v1, v2
	v_mul_f32_e32 v74, v102, v78
	v_mul_f32_e32 v2, v104, v80
	;; [unrolled: 1-line block ×3, first 2 shown]
	v_dual_fmac_f32 v124, v108, v83 :: v_dual_add_f32 v1, v1, v4
	s_delay_alu instid0(VALU_DEP_4)
	v_fma_f32 v73, v101, v77, -v74
	v_mul_f32_e32 v4, v106, v82
	v_fma_f32 v2, v103, v79, -v2
	v_fma_f32 v72, v107, v83, -v72
	v_add_f32_e32 v1, v1, v121
	v_add_f32_e32 v71, v71, v73
	v_fma_f32 v4, v105, v81, -v4
	v_dual_fmac_f32 v126, v112, v87 :: v_dual_fmac_f32 v127, v114, v89
	s_delay_alu instid0(VALU_DEP_4) | instskip(NEXT) | instid1(VALU_DEP_4)
	v_add_f32_e32 v1, v1, v122
	v_add_f32_e32 v2, v71, v2
	v_dual_mul_f32 v71, v110, v86 :: v_dual_fmac_f32 v128, v116, v91
	v_fmac_f32_e32 v129, v118, v93
	s_delay_alu instid0(VALU_DEP_4) | instskip(NEXT) | instid1(VALU_DEP_3)
	v_add_f32_e32 v1, v1, v123
	v_fma_f32 v71, v109, v85, -v71
	s_delay_alu instid0(VALU_DEP_2) | instskip(SKIP_1) | instid1(VALU_DEP_2)
	v_add_f32_e32 v1, v1, v124
	v_add_f32_e32 v2, v2, v4
	v_dual_mul_f32 v4, v112, v88 :: v_dual_add_f32 v1, v1, v125
	s_delay_alu instid0(VALU_DEP_2) | instskip(SKIP_1) | instid1(VALU_DEP_3)
	v_add_f32_e32 v2, v2, v72
	v_mul_f32_e32 v72, v114, v90
	v_fma_f32 v4, v111, v87, -v4
	s_delay_alu instid0(VALU_DEP_3) | instskip(SKIP_1) | instid1(VALU_DEP_4)
	v_dual_add_f32 v1, v1, v126 :: v_dual_add_f32 v2, v2, v71
	v_mul_f32_e32 v71, v116, v92
	v_fma_f32 v72, v113, v89, -v72
	s_delay_alu instid0(VALU_DEP_3) | instskip(SKIP_1) | instid1(VALU_DEP_4)
	v_dual_add_f32 v1, v1, v127 :: v_dual_add_f32 v2, v2, v4
	v_mul_f32_e32 v4, v118, v94
	v_fma_f32 v71, v115, v91, -v71
	s_delay_alu instid0(VALU_DEP_3) | instskip(NEXT) | instid1(VALU_DEP_4)
	v_add_f32_e32 v1, v1, v128
	v_add_f32_e32 v2, v2, v72
	s_delay_alu instid0(VALU_DEP_4) | instskip(NEXT) | instid1(VALU_DEP_2)
	v_fma_f32 v4, v117, v93, -v4
	v_add_f32_e32 v2, v2, v71
	s_delay_alu instid0(VALU_DEP_1) | instskip(SKIP_1) | instid1(VALU_DEP_1)
	v_add_f32_e32 v2, v2, v4
	s_wait_loadcnt 0x0
	v_dual_add_f32 v4, v1, v129 :: v_dual_sub_f32 v1, v119, v2
	s_delay_alu instid0(VALU_DEP_1)
	v_sub_f32_e32 v2, v120, v4
	scratch_store_b64 off, v[1:2], off offset:160
	v_cmpx_lt_u32_e32 19, v0
	s_cbranch_execz .LBB32_173
; %bb.172:
	scratch_load_b64 v[1:2], off, off offset:152
	v_mov_b32_e32 v71, 0
	s_delay_alu instid0(VALU_DEP_1)
	v_mov_b32_e32 v72, v71
	scratch_store_b64 off, v[71:72], off offset:152
	s_wait_loadcnt 0x0
	ds_store_b64 v3, v[1:2]
.LBB32_173:
	s_wait_alu 0xfffe
	s_or_b32 exec_lo, exec_lo, s0
	s_wait_storecnt_dscnt 0x0
	s_barrier_signal -1
	s_barrier_wait -1
	global_inv scope:SCOPE_SE
	s_clause 0x7
	scratch_load_b128 v[71:74], off, off offset:160
	scratch_load_b128 v[75:78], off, off offset:176
	;; [unrolled: 1-line block ×6, first 2 shown]
	scratch_load_b64 v[119:120], off, off offset:256
	scratch_load_b64 v[121:122], off, off offset:152
	v_mov_b32_e32 v1, 0
	ds_load_b128 v[95:98], v1 offset:432
	ds_load_b128 v[99:102], v1 offset:448
	;; [unrolled: 1-line block ×6, first 2 shown]
	ds_load_b64 v[123:124], v1 offset:528
	s_mov_b32 s0, exec_lo
	s_wait_loadcnt_dscnt 0x706
	v_mul_f32_e32 v2, v95, v72
	v_mul_f32_e32 v72, v96, v72
	s_wait_loadcnt_dscnt 0x605
	v_dual_mul_f32 v4, v97, v74 :: v_dual_mul_f32 v125, v99, v76
	v_mul_f32_e32 v74, v98, v74
	s_wait_loadcnt_dscnt 0x504
	v_dual_mul_f32 v126, v101, v78 :: v_dual_mul_f32 v127, v103, v80
	v_fma_f32 v72, v95, v71, -v72
	v_fmac_f32_e32 v2, v96, v71
	v_dual_mul_f32 v71, v100, v76 :: v_dual_fmac_f32 v4, v98, v73
	v_fmac_f32_e32 v125, v100, v75
	v_fma_f32 v73, v97, v73, -v74
	v_dual_add_f32 v72, 0, v72 :: v_dual_fmac_f32 v127, v104, v79
	v_mul_f32_e32 v74, v102, v78
	v_fma_f32 v71, v99, v75, -v71
	s_wait_loadcnt_dscnt 0x403
	v_dual_mul_f32 v128, v105, v82 :: v_dual_mul_f32 v129, v107, v84
	v_add_f32_e32 v72, v72, v73
	v_add_f32_e32 v2, 0, v2
	v_fma_f32 v73, v101, v77, -v74
	s_wait_loadcnt_dscnt 0x201
	v_dual_mul_f32 v132, v113, v90 :: v_dual_mul_f32 v133, v115, v92
	s_delay_alu instid0(VALU_DEP_3) | instskip(SKIP_2) | instid1(VALU_DEP_4)
	v_dual_add_f32 v71, v72, v71 :: v_dual_add_f32 v2, v2, v4
	v_fmac_f32_e32 v129, v108, v83
	v_mul_f32_e32 v4, v104, v80
	v_dual_mul_f32 v72, v106, v82 :: v_dual_fmac_f32 v133, v116, v91
	s_delay_alu instid0(VALU_DEP_4) | instskip(SKIP_1) | instid1(VALU_DEP_4)
	v_add_f32_e32 v71, v71, v73
	v_mul_f32_e32 v73, v108, v84
	v_fma_f32 v4, v103, v79, -v4
	s_delay_alu instid0(VALU_DEP_4) | instskip(SKIP_2) | instid1(VALU_DEP_4)
	v_fma_f32 v72, v105, v81, -v72
	v_add_f32_e32 v2, v2, v125
	v_dual_mul_f32 v130, v109, v86 :: v_dual_mul_f32 v131, v111, v88
	v_dual_add_f32 v4, v71, v4 :: v_dual_mul_f32 v71, v110, v86
	v_fma_f32 v73, v107, v83, -v73
	s_delay_alu instid0(VALU_DEP_3) | instskip(NEXT) | instid1(VALU_DEP_3)
	v_dual_fmac_f32 v126, v102, v77 :: v_dual_fmac_f32 v131, v112, v87
	v_add_f32_e32 v4, v4, v72
	v_mul_f32_e32 v72, v112, v88
	v_fma_f32 v71, v109, v85, -v71
	s_wait_loadcnt_dscnt 0x100
	v_dual_mul_f32 v134, v117, v94 :: v_dual_mul_f32 v135, v123, v120
	v_dual_add_f32 v4, v4, v73 :: v_dual_mul_f32 v73, v114, v90
	v_fma_f32 v72, v111, v87, -v72
	s_delay_alu instid0(VALU_DEP_3) | instskip(NEXT) | instid1(VALU_DEP_3)
	v_dual_fmac_f32 v128, v106, v81 :: v_dual_fmac_f32 v135, v124, v119
	v_add_f32_e32 v4, v4, v71
	v_mul_f32_e32 v71, v116, v92
	v_fma_f32 v73, v113, v89, -v73
	v_add_f32_e32 v2, v2, v126
	v_fmac_f32_e32 v130, v110, v85
	v_add_f32_e32 v4, v4, v72
	v_mul_f32_e32 v72, v118, v94
	v_fma_f32 v71, v115, v91, -v71
	v_fmac_f32_e32 v132, v114, v89
	v_fmac_f32_e32 v134, v118, v93
	v_add_f32_e32 v4, v4, v73
	v_mul_f32_e32 v73, v124, v120
	v_fma_f32 v72, v117, v93, -v72
	s_delay_alu instid0(VALU_DEP_3) | instskip(NEXT) | instid1(VALU_DEP_3)
	v_add_f32_e32 v4, v4, v71
	v_fma_f32 v71, v123, v119, -v73
	s_delay_alu instid0(VALU_DEP_2) | instskip(NEXT) | instid1(VALU_DEP_1)
	v_add_f32_e32 v4, v4, v72
	v_add_f32_e32 v4, v4, v71
	s_wait_loadcnt 0x0
	s_delay_alu instid0(VALU_DEP_1) | instskip(NEXT) | instid1(VALU_DEP_1)
	v_dual_add_f32 v2, v2, v127 :: v_dual_sub_f32 v71, v121, v4
	v_add_f32_e32 v2, v2, v128
	s_delay_alu instid0(VALU_DEP_1) | instskip(NEXT) | instid1(VALU_DEP_1)
	v_add_f32_e32 v2, v2, v129
	v_add_f32_e32 v2, v2, v130
	s_delay_alu instid0(VALU_DEP_1) | instskip(NEXT) | instid1(VALU_DEP_1)
	v_add_f32_e32 v2, v2, v131
	;; [unrolled: 3-line block ×4, first 2 shown]
	v_sub_f32_e32 v72, v122, v2
	scratch_store_b64 off, v[71:72], off offset:152
	v_cmpx_lt_u32_e32 18, v0
	s_cbranch_execz .LBB32_175
; %bb.174:
	scratch_load_b64 v[71:72], off, off offset:144
	v_mov_b32_e32 v2, v1
	scratch_store_b64 off, v[1:2], off offset:144
	s_wait_loadcnt 0x0
	ds_store_b64 v3, v[71:72]
.LBB32_175:
	s_wait_alu 0xfffe
	s_or_b32 exec_lo, exec_lo, s0
	s_wait_storecnt_dscnt 0x0
	s_barrier_signal -1
	s_barrier_wait -1
	global_inv scope:SCOPE_SE
	s_clause 0x7
	scratch_load_b128 v[71:74], off, off offset:152
	scratch_load_b128 v[75:78], off, off offset:168
	;; [unrolled: 1-line block ×7, first 2 shown]
	scratch_load_b64 v[127:128], off, off offset:144
	ds_load_2addr_b64 v[99:102], v1 offset0:53 offset1:54
	ds_load_2addr_b64 v[103:106], v1 offset0:55 offset1:56
	;; [unrolled: 1-line block ×7, first 2 shown]
	s_mov_b32 s0, exec_lo
	s_wait_loadcnt_dscnt 0x706
	v_dual_mul_f32 v1, v99, v72 :: v_dual_mul_f32 v2, v101, v74
	v_mul_f32_e32 v72, v100, v72
	v_mul_f32_e32 v74, v102, v74
	s_wait_loadcnt_dscnt 0x504
	v_dual_mul_f32 v130, v107, v80 :: v_dual_mul_f32 v131, v109, v82
	s_wait_loadcnt_dscnt 0x100
	v_dual_mul_f32 v138, v123, v96 :: v_dual_fmac_f32 v1, v100, v71
	v_mul_f32_e32 v139, v125, v98
	v_fma_f32 v72, v99, v71, -v72
	v_mul_f32_e32 v71, v104, v76
	v_dual_mul_f32 v4, v103, v76 :: v_dual_mul_f32 v129, v105, v78
	s_delay_alu instid0(VALU_DEP_3) | instskip(NEXT) | instid1(VALU_DEP_3)
	v_dual_add_f32 v1, 0, v1 :: v_dual_add_f32 v72, 0, v72
	v_fma_f32 v71, v103, v75, -v71
	v_fmac_f32_e32 v2, v102, v73
	v_fma_f32 v73, v101, v73, -v74
	v_dual_fmac_f32 v130, v108, v79 :: v_dual_fmac_f32 v129, v106, v77
	v_dual_mul_f32 v132, v111, v84 :: v_dual_mul_f32 v133, v113, v86
	s_delay_alu instid0(VALU_DEP_3) | instskip(SKIP_2) | instid1(VALU_DEP_4)
	v_add_f32_e32 v72, v72, v73
	v_dual_fmac_f32 v131, v110, v81 :: v_dual_mul_f32 v134, v115, v88
	v_mul_f32_e32 v135, v117, v90
	v_fmac_f32_e32 v133, v114, v85
	s_delay_alu instid0(VALU_DEP_4) | instskip(SKIP_4) | instid1(VALU_DEP_4)
	v_add_f32_e32 v71, v72, v71
	v_dual_fmac_f32 v4, v104, v75 :: v_dual_add_f32 v1, v1, v2
	v_mul_f32_e32 v74, v106, v78
	v_mul_f32_e32 v2, v108, v80
	;; [unrolled: 1-line block ×3, first 2 shown]
	v_dual_fmac_f32 v132, v112, v83 :: v_dual_add_f32 v1, v1, v4
	s_delay_alu instid0(VALU_DEP_4)
	v_fma_f32 v73, v105, v77, -v74
	v_mul_f32_e32 v4, v110, v82
	v_fma_f32 v2, v107, v79, -v2
	v_fma_f32 v72, v111, v83, -v72
	v_add_f32_e32 v1, v1, v129
	v_add_f32_e32 v71, v71, v73
	v_fma_f32 v4, v109, v81, -v4
	v_fmac_f32_e32 v134, v116, v87
	v_dual_mul_f32 v136, v119, v92 :: v_dual_mul_f32 v137, v121, v94
	v_add_f32_e32 v1, v1, v130
	v_add_f32_e32 v2, v71, v2
	v_mul_f32_e32 v71, v114, v86
	s_delay_alu instid0(VALU_DEP_4) | instskip(SKIP_2) | instid1(VALU_DEP_4)
	v_dual_fmac_f32 v135, v118, v89 :: v_dual_fmac_f32 v136, v120, v91
	v_fmac_f32_e32 v137, v122, v93
	v_add_f32_e32 v1, v1, v131
	v_fma_f32 v71, v113, v85, -v71
	v_dual_fmac_f32 v138, v124, v95 :: v_dual_fmac_f32 v139, v126, v97
	s_delay_alu instid0(VALU_DEP_3) | instskip(SKIP_1) | instid1(VALU_DEP_2)
	v_add_f32_e32 v1, v1, v132
	v_add_f32_e32 v2, v2, v4
	v_dual_mul_f32 v4, v116, v88 :: v_dual_add_f32 v1, v1, v133
	s_delay_alu instid0(VALU_DEP_2) | instskip(SKIP_1) | instid1(VALU_DEP_3)
	v_add_f32_e32 v2, v2, v72
	v_mul_f32_e32 v72, v118, v90
	v_fma_f32 v4, v115, v87, -v4
	s_delay_alu instid0(VALU_DEP_3) | instskip(SKIP_1) | instid1(VALU_DEP_4)
	v_dual_add_f32 v1, v1, v134 :: v_dual_add_f32 v2, v2, v71
	v_mul_f32_e32 v71, v120, v92
	v_fma_f32 v72, v117, v89, -v72
	s_delay_alu instid0(VALU_DEP_3) | instskip(SKIP_1) | instid1(VALU_DEP_4)
	v_dual_add_f32 v1, v1, v135 :: v_dual_add_f32 v2, v2, v4
	v_mul_f32_e32 v4, v122, v94
	v_fma_f32 v71, v119, v91, -v71
	s_delay_alu instid0(VALU_DEP_3) | instskip(NEXT) | instid1(VALU_DEP_4)
	v_add_f32_e32 v1, v1, v136
	v_add_f32_e32 v2, v2, v72
	v_mul_f32_e32 v72, v124, v96
	v_fma_f32 v4, v121, v93, -v4
	s_delay_alu instid0(VALU_DEP_3) | instskip(SKIP_1) | instid1(VALU_DEP_4)
	v_dual_add_f32 v1, v1, v137 :: v_dual_add_f32 v2, v2, v71
	v_mul_f32_e32 v71, v126, v98
	v_fma_f32 v72, v123, v95, -v72
	s_delay_alu instid0(VALU_DEP_3) | instskip(NEXT) | instid1(VALU_DEP_3)
	v_dual_add_f32 v1, v1, v138 :: v_dual_add_f32 v2, v2, v4
	v_fma_f32 v4, v125, v97, -v71
	s_delay_alu instid0(VALU_DEP_2) | instskip(NEXT) | instid1(VALU_DEP_1)
	v_add_f32_e32 v2, v2, v72
	v_add_f32_e32 v2, v2, v4
	s_wait_loadcnt 0x0
	s_delay_alu instid0(VALU_DEP_1) | instskip(NEXT) | instid1(VALU_DEP_1)
	v_dual_add_f32 v4, v1, v139 :: v_dual_sub_f32 v1, v127, v2
	v_sub_f32_e32 v2, v128, v4
	scratch_store_b64 off, v[1:2], off offset:144
	v_cmpx_lt_u32_e32 17, v0
	s_cbranch_execz .LBB32_177
; %bb.176:
	scratch_load_b64 v[1:2], off, off offset:136
	v_mov_b32_e32 v71, 0
	s_delay_alu instid0(VALU_DEP_1)
	v_mov_b32_e32 v72, v71
	scratch_store_b64 off, v[71:72], off offset:136
	s_wait_loadcnt 0x0
	ds_store_b64 v3, v[1:2]
.LBB32_177:
	s_wait_alu 0xfffe
	s_or_b32 exec_lo, exec_lo, s0
	s_wait_storecnt_dscnt 0x0
	s_barrier_signal -1
	s_barrier_wait -1
	global_inv scope:SCOPE_SE
	s_clause 0x8
	scratch_load_b128 v[71:74], off, off offset:144
	scratch_load_b128 v[75:78], off, off offset:160
	;; [unrolled: 1-line block ×7, first 2 shown]
	scratch_load_b64 v[127:128], off, off offset:256
	scratch_load_b64 v[129:130], off, off offset:136
	v_mov_b32_e32 v1, 0
	ds_load_b128 v[99:102], v1 offset:416
	ds_load_b128 v[103:106], v1 offset:432
	;; [unrolled: 1-line block ×7, first 2 shown]
	ds_load_b64 v[131:132], v1 offset:528
	s_mov_b32 s0, exec_lo
	s_wait_loadcnt_dscnt 0x807
	v_mul_f32_e32 v2, v99, v72
	v_mul_f32_e32 v72, v100, v72
	s_wait_loadcnt_dscnt 0x706
	v_dual_mul_f32 v4, v101, v74 :: v_dual_mul_f32 v133, v103, v76
	v_mul_f32_e32 v74, v102, v74
	s_wait_loadcnt_dscnt 0x605
	v_dual_mul_f32 v134, v105, v78 :: v_dual_mul_f32 v135, v107, v80
	v_fma_f32 v72, v99, v71, -v72
	v_fmac_f32_e32 v2, v100, v71
	v_dual_mul_f32 v71, v104, v76 :: v_dual_fmac_f32 v4, v102, v73
	v_fmac_f32_e32 v133, v104, v75
	v_fma_f32 v73, v101, v73, -v74
	v_dual_add_f32 v72, 0, v72 :: v_dual_fmac_f32 v135, v108, v79
	v_mul_f32_e32 v74, v106, v78
	v_fma_f32 v71, v103, v75, -v71
	s_wait_loadcnt_dscnt 0x504
	v_dual_mul_f32 v136, v109, v82 :: v_dual_mul_f32 v137, v111, v84
	v_add_f32_e32 v72, v72, v73
	v_add_f32_e32 v2, 0, v2
	v_fma_f32 v73, v105, v77, -v74
	s_wait_loadcnt_dscnt 0x302
	v_dual_mul_f32 v140, v117, v90 :: v_dual_mul_f32 v141, v119, v92
	s_delay_alu instid0(VALU_DEP_3) | instskip(SKIP_2) | instid1(VALU_DEP_4)
	v_dual_add_f32 v71, v72, v71 :: v_dual_add_f32 v2, v2, v4
	v_fmac_f32_e32 v137, v112, v83
	v_mul_f32_e32 v4, v108, v80
	v_dual_mul_f32 v72, v110, v82 :: v_dual_fmac_f32 v141, v120, v91
	s_wait_loadcnt_dscnt 0x201
	v_dual_add_f32 v71, v71, v73 :: v_dual_mul_f32 v144, v125, v98
	s_wait_loadcnt_dscnt 0x100
	v_mul_f32_e32 v145, v131, v128
	v_fma_f32 v4, v107, v79, -v4
	v_mul_f32_e32 v73, v112, v84
	v_fma_f32 v72, v109, v81, -v72
	s_delay_alu instid0(VALU_DEP_4) | instskip(NEXT) | instid1(VALU_DEP_4)
	v_dual_add_f32 v2, v2, v133 :: v_dual_fmac_f32 v145, v132, v127
	v_dual_add_f32 v4, v71, v4 :: v_dual_mul_f32 v71, v114, v86
	s_delay_alu instid0(VALU_DEP_4) | instskip(SKIP_1) | instid1(VALU_DEP_3)
	v_fma_f32 v73, v111, v83, -v73
	v_dual_mul_f32 v138, v113, v86 :: v_dual_mul_f32 v139, v115, v88
	v_add_f32_e32 v4, v4, v72
	v_mul_f32_e32 v72, v116, v88
	v_fma_f32 v71, v113, v85, -v71
	s_delay_alu instid0(VALU_DEP_4) | instskip(NEXT) | instid1(VALU_DEP_4)
	v_dual_fmac_f32 v134, v106, v77 :: v_dual_fmac_f32 v139, v116, v87
	v_dual_add_f32 v4, v4, v73 :: v_dual_mul_f32 v73, v118, v90
	s_delay_alu instid0(VALU_DEP_4) | instskip(SKIP_1) | instid1(VALU_DEP_3)
	v_fma_f32 v72, v115, v87, -v72
	v_dual_mul_f32 v142, v121, v94 :: v_dual_mul_f32 v143, v123, v96
	v_add_f32_e32 v4, v4, v71
	v_mul_f32_e32 v71, v120, v92
	v_fma_f32 v73, v117, v89, -v73
	v_add_f32_e32 v2, v2, v134
	v_dual_fmac_f32 v136, v110, v81 :: v_dual_fmac_f32 v143, v124, v95
	v_add_f32_e32 v4, v4, v72
	v_mul_f32_e32 v72, v122, v94
	v_fma_f32 v71, v119, v91, -v71
	v_fmac_f32_e32 v138, v114, v85
	v_fmac_f32_e32 v140, v118, v89
	v_add_f32_e32 v4, v4, v73
	v_mul_f32_e32 v73, v124, v96
	v_fma_f32 v72, v121, v93, -v72
	v_fmac_f32_e32 v142, v122, v93
	v_fmac_f32_e32 v144, v126, v97
	v_dual_add_f32 v4, v4, v71 :: v_dual_mul_f32 v71, v126, v98
	v_fma_f32 v73, v123, v95, -v73
	s_delay_alu instid0(VALU_DEP_2) | instskip(SKIP_1) | instid1(VALU_DEP_4)
	v_add_f32_e32 v4, v4, v72
	v_mul_f32_e32 v72, v132, v128
	v_fma_f32 v71, v125, v97, -v71
	s_delay_alu instid0(VALU_DEP_3) | instskip(NEXT) | instid1(VALU_DEP_3)
	v_add_f32_e32 v4, v4, v73
	v_fma_f32 v72, v131, v127, -v72
	s_delay_alu instid0(VALU_DEP_2) | instskip(NEXT) | instid1(VALU_DEP_1)
	v_add_f32_e32 v4, v4, v71
	v_add_f32_e32 v4, v4, v72
	s_wait_loadcnt 0x0
	s_delay_alu instid0(VALU_DEP_1) | instskip(NEXT) | instid1(VALU_DEP_1)
	v_dual_add_f32 v2, v2, v135 :: v_dual_sub_f32 v71, v129, v4
	v_add_f32_e32 v2, v2, v136
	s_delay_alu instid0(VALU_DEP_1) | instskip(NEXT) | instid1(VALU_DEP_1)
	v_add_f32_e32 v2, v2, v137
	v_add_f32_e32 v2, v2, v138
	s_delay_alu instid0(VALU_DEP_1) | instskip(NEXT) | instid1(VALU_DEP_1)
	v_add_f32_e32 v2, v2, v139
	;; [unrolled: 3-line block ×5, first 2 shown]
	v_sub_f32_e32 v72, v130, v2
	scratch_store_b64 off, v[71:72], off offset:136
	v_cmpx_lt_u32_e32 16, v0
	s_cbranch_execz .LBB32_179
; %bb.178:
	scratch_load_b64 v[71:72], off, off offset:128
	v_mov_b32_e32 v2, v1
	scratch_store_b64 off, v[1:2], off offset:128
	s_wait_loadcnt 0x0
	ds_store_b64 v3, v[71:72]
.LBB32_179:
	s_wait_alu 0xfffe
	s_or_b32 exec_lo, exec_lo, s0
	s_wait_storecnt_dscnt 0x0
	s_barrier_signal -1
	s_barrier_wait -1
	global_inv scope:SCOPE_SE
	s_clause 0x8
	scratch_load_b128 v[71:74], off, off offset:136
	scratch_load_b128 v[75:78], off, off offset:152
	;; [unrolled: 1-line block ×8, first 2 shown]
	scratch_load_b64 v[135:136], off, off offset:128
	ds_load_2addr_b64 v[103:106], v1 offset0:51 offset1:52
	ds_load_2addr_b64 v[107:110], v1 offset0:53 offset1:54
	;; [unrolled: 1-line block ×8, first 2 shown]
	s_mov_b32 s0, exec_lo
	s_wait_loadcnt_dscnt 0x807
	v_dual_mul_f32 v1, v103, v72 :: v_dual_mul_f32 v2, v105, v74
	v_mul_f32_e32 v72, v104, v72
	v_mul_f32_e32 v74, v106, v74
	s_wait_loadcnt_dscnt 0x605
	v_dual_mul_f32 v138, v111, v80 :: v_dual_mul_f32 v139, v113, v82
	s_wait_loadcnt_dscnt 0x100
	v_dual_fmac_f32 v1, v104, v71 :: v_dual_mul_f32 v148, v131, v100
	v_mul_f32_e32 v149, v133, v102
	v_fma_f32 v72, v103, v71, -v72
	v_mul_f32_e32 v71, v108, v76
	v_dual_mul_f32 v4, v107, v76 :: v_dual_mul_f32 v137, v109, v78
	s_delay_alu instid0(VALU_DEP_3) | instskip(NEXT) | instid1(VALU_DEP_3)
	v_dual_add_f32 v1, 0, v1 :: v_dual_add_f32 v72, 0, v72
	v_fma_f32 v71, v107, v75, -v71
	v_fmac_f32_e32 v2, v106, v73
	v_fma_f32 v73, v105, v73, -v74
	v_dual_fmac_f32 v138, v112, v79 :: v_dual_fmac_f32 v137, v110, v77
	v_dual_mul_f32 v140, v115, v84 :: v_dual_mul_f32 v141, v117, v86
	s_delay_alu instid0(VALU_DEP_3) | instskip(SKIP_2) | instid1(VALU_DEP_4)
	v_add_f32_e32 v72, v72, v73
	v_dual_fmac_f32 v139, v114, v81 :: v_dual_mul_f32 v142, v119, v88
	v_mul_f32_e32 v143, v121, v90
	v_fmac_f32_e32 v141, v118, v85
	s_delay_alu instid0(VALU_DEP_4) | instskip(SKIP_4) | instid1(VALU_DEP_4)
	v_add_f32_e32 v71, v72, v71
	v_dual_fmac_f32 v4, v108, v75 :: v_dual_add_f32 v1, v1, v2
	v_mul_f32_e32 v74, v110, v78
	v_mul_f32_e32 v2, v112, v80
	v_mul_f32_e32 v72, v116, v84
	v_dual_fmac_f32 v140, v116, v83 :: v_dual_add_f32 v1, v1, v4
	s_delay_alu instid0(VALU_DEP_4)
	v_fma_f32 v73, v109, v77, -v74
	v_mul_f32_e32 v4, v114, v82
	v_fma_f32 v2, v111, v79, -v2
	v_fma_f32 v72, v115, v83, -v72
	v_add_f32_e32 v1, v1, v137
	v_add_f32_e32 v71, v71, v73
	v_fma_f32 v4, v113, v81, -v4
	v_fmac_f32_e32 v142, v120, v87
	v_dual_mul_f32 v144, v123, v92 :: v_dual_mul_f32 v145, v125, v94
	v_add_f32_e32 v1, v1, v138
	v_add_f32_e32 v2, v71, v2
	v_mul_f32_e32 v71, v118, v86
	s_delay_alu instid0(VALU_DEP_4) | instskip(SKIP_2) | instid1(VALU_DEP_4)
	v_dual_fmac_f32 v143, v122, v89 :: v_dual_fmac_f32 v144, v124, v91
	v_fmac_f32_e32 v145, v126, v93
	v_add_f32_e32 v1, v1, v139
	v_fma_f32 v71, v117, v85, -v71
	v_dual_mul_f32 v146, v127, v96 :: v_dual_mul_f32 v147, v129, v98
	s_delay_alu instid0(VALU_DEP_3) | instskip(SKIP_2) | instid1(VALU_DEP_4)
	v_dual_fmac_f32 v148, v132, v99 :: v_dual_add_f32 v1, v1, v140
	v_add_f32_e32 v2, v2, v4
	v_mul_f32_e32 v4, v120, v88
	v_dual_fmac_f32 v146, v128, v95 :: v_dual_fmac_f32 v147, v130, v97
	s_delay_alu instid0(VALU_DEP_3) | instskip(SKIP_1) | instid1(VALU_DEP_4)
	v_dual_add_f32 v1, v1, v141 :: v_dual_add_f32 v2, v2, v72
	v_mul_f32_e32 v72, v122, v90
	v_fma_f32 v4, v119, v87, -v4
	v_fmac_f32_e32 v149, v134, v101
	s_delay_alu instid0(VALU_DEP_4) | instskip(SKIP_2) | instid1(VALU_DEP_3)
	v_dual_add_f32 v1, v1, v142 :: v_dual_add_f32 v2, v2, v71
	v_mul_f32_e32 v71, v124, v92
	v_fma_f32 v72, v121, v89, -v72
	v_dual_add_f32 v1, v1, v143 :: v_dual_add_f32 v2, v2, v4
	v_mul_f32_e32 v4, v126, v94
	s_delay_alu instid0(VALU_DEP_4) | instskip(NEXT) | instid1(VALU_DEP_3)
	v_fma_f32 v71, v123, v91, -v71
	v_add_f32_e32 v1, v1, v144
	s_delay_alu instid0(VALU_DEP_4) | instskip(SKIP_2) | instid1(VALU_DEP_3)
	v_add_f32_e32 v2, v2, v72
	v_mul_f32_e32 v72, v128, v96
	v_fma_f32 v4, v125, v93, -v4
	v_dual_add_f32 v1, v1, v145 :: v_dual_add_f32 v2, v2, v71
	v_mul_f32_e32 v71, v130, v98
	s_delay_alu instid0(VALU_DEP_4) | instskip(NEXT) | instid1(VALU_DEP_3)
	v_fma_f32 v72, v127, v95, -v72
	v_dual_add_f32 v1, v1, v146 :: v_dual_add_f32 v2, v2, v4
	v_mul_f32_e32 v4, v132, v100
	s_delay_alu instid0(VALU_DEP_4) | instskip(NEXT) | instid1(VALU_DEP_3)
	;; [unrolled: 4-line block ×3, first 2 shown]
	v_fma_f32 v4, v131, v99, -v4
	v_dual_add_f32 v1, v1, v148 :: v_dual_add_f32 v2, v2, v71
	s_delay_alu instid0(VALU_DEP_3) | instskip(NEXT) | instid1(VALU_DEP_2)
	v_fma_f32 v71, v133, v101, -v72
	v_add_f32_e32 v2, v2, v4
	s_delay_alu instid0(VALU_DEP_3) | instskip(NEXT) | instid1(VALU_DEP_2)
	v_add_f32_e32 v4, v1, v149
	v_add_f32_e32 v2, v2, v71
	s_wait_loadcnt 0x0
	s_delay_alu instid0(VALU_DEP_1)
	v_dual_sub_f32 v1, v135, v2 :: v_dual_sub_f32 v2, v136, v4
	scratch_store_b64 off, v[1:2], off offset:128
	v_cmpx_lt_u32_e32 15, v0
	s_cbranch_execz .LBB32_181
; %bb.180:
	scratch_load_b64 v[1:2], off, off offset:120
	v_mov_b32_e32 v71, 0
	s_delay_alu instid0(VALU_DEP_1)
	v_mov_b32_e32 v72, v71
	scratch_store_b64 off, v[71:72], off offset:120
	s_wait_loadcnt 0x0
	ds_store_b64 v3, v[1:2]
.LBB32_181:
	s_wait_alu 0xfffe
	s_or_b32 exec_lo, exec_lo, s0
	s_wait_storecnt_dscnt 0x0
	s_barrier_signal -1
	s_barrier_wait -1
	global_inv scope:SCOPE_SE
	s_clause 0x9
	scratch_load_b128 v[71:74], off, off offset:128
	scratch_load_b128 v[75:78], off, off offset:144
	;; [unrolled: 1-line block ×8, first 2 shown]
	scratch_load_b64 v[135:136], off, off offset:256
	scratch_load_b64 v[137:138], off, off offset:120
	v_mov_b32_e32 v1, 0
	ds_load_b128 v[103:106], v1 offset:400
	ds_load_b128 v[107:110], v1 offset:416
	;; [unrolled: 1-line block ×8, first 2 shown]
	ds_load_b64 v[139:140], v1 offset:528
	s_mov_b32 s0, exec_lo
	s_wait_loadcnt_dscnt 0x908
	v_mul_f32_e32 v2, v103, v72
	v_mul_f32_e32 v72, v104, v72
	s_wait_loadcnt_dscnt 0x807
	v_dual_mul_f32 v4, v105, v74 :: v_dual_mul_f32 v141, v107, v76
	v_mul_f32_e32 v74, v106, v74
	s_wait_loadcnt_dscnt 0x706
	v_dual_mul_f32 v142, v109, v78 :: v_dual_mul_f32 v143, v111, v80
	v_fma_f32 v72, v103, v71, -v72
	v_fmac_f32_e32 v2, v104, v71
	v_dual_mul_f32 v71, v108, v76 :: v_dual_fmac_f32 v4, v106, v73
	v_fmac_f32_e32 v141, v108, v75
	v_fma_f32 v73, v105, v73, -v74
	v_dual_add_f32 v72, 0, v72 :: v_dual_fmac_f32 v143, v112, v79
	v_mul_f32_e32 v74, v110, v78
	v_fma_f32 v71, v107, v75, -v71
	s_wait_loadcnt_dscnt 0x605
	v_dual_mul_f32 v144, v113, v82 :: v_dual_mul_f32 v145, v115, v84
	v_add_f32_e32 v72, v72, v73
	v_add_f32_e32 v2, 0, v2
	v_fma_f32 v73, v109, v77, -v74
	s_wait_loadcnt_dscnt 0x403
	v_dual_mul_f32 v148, v121, v90 :: v_dual_mul_f32 v149, v123, v92
	s_delay_alu instid0(VALU_DEP_3) | instskip(SKIP_2) | instid1(VALU_DEP_4)
	v_dual_add_f32 v71, v72, v71 :: v_dual_add_f32 v2, v2, v4
	v_fmac_f32_e32 v145, v116, v83
	v_mul_f32_e32 v4, v112, v80
	v_dual_mul_f32 v72, v114, v82 :: v_dual_fmac_f32 v149, v124, v91
	s_delay_alu instid0(VALU_DEP_4) | instskip(SKIP_1) | instid1(VALU_DEP_4)
	v_add_f32_e32 v71, v71, v73
	v_mul_f32_e32 v73, v116, v84
	v_fma_f32 v4, v111, v79, -v4
	s_delay_alu instid0(VALU_DEP_4) | instskip(SKIP_2) | instid1(VALU_DEP_4)
	v_fma_f32 v72, v113, v81, -v72
	v_add_f32_e32 v2, v2, v141
	v_dual_mul_f32 v146, v117, v86 :: v_dual_mul_f32 v147, v119, v88
	v_dual_add_f32 v4, v71, v4 :: v_dual_mul_f32 v71, v118, v86
	v_fma_f32 v73, v115, v83, -v73
	s_delay_alu instid0(VALU_DEP_3) | instskip(NEXT) | instid1(VALU_DEP_3)
	v_dual_fmac_f32 v142, v110, v77 :: v_dual_fmac_f32 v147, v120, v87
	v_add_f32_e32 v4, v4, v72
	v_mul_f32_e32 v72, v120, v88
	v_fma_f32 v71, v117, v85, -v71
	s_wait_loadcnt_dscnt 0x302
	v_dual_mul_f32 v150, v125, v94 :: v_dual_mul_f32 v151, v127, v96
	v_dual_add_f32 v4, v4, v73 :: v_dual_mul_f32 v73, v122, v90
	v_fma_f32 v72, v119, v87, -v72
	s_delay_alu instid0(VALU_DEP_3) | instskip(NEXT) | instid1(VALU_DEP_3)
	v_dual_fmac_f32 v144, v114, v81 :: v_dual_fmac_f32 v151, v128, v95
	v_add_f32_e32 v4, v4, v71
	v_mul_f32_e32 v71, v124, v92
	v_fma_f32 v73, v121, v89, -v73
	v_add_f32_e32 v2, v2, v142
	s_wait_loadcnt_dscnt 0x201
	v_dual_mul_f32 v152, v129, v98 :: v_dual_mul_f32 v153, v131, v100
	v_add_f32_e32 v4, v4, v72
	v_mul_f32_e32 v72, v126, v94
	v_fma_f32 v71, v123, v91, -v71
	s_wait_loadcnt_dscnt 0x100
	v_dual_mul_f32 v154, v133, v102 :: v_dual_mul_f32 v155, v139, v136
	v_add_f32_e32 v4, v4, v73
	v_mul_f32_e32 v73, v128, v96
	v_fma_f32 v72, v125, v93, -v72
	v_add_f32_e32 v2, v2, v143
	v_dual_fmac_f32 v146, v118, v85 :: v_dual_fmac_f32 v155, v140, v135
	v_dual_add_f32 v4, v4, v71 :: v_dual_mul_f32 v71, v130, v98
	v_fma_f32 v73, v127, v95, -v73
	v_dual_fmac_f32 v153, v132, v99 :: v_dual_fmac_f32 v148, v122, v89
	s_delay_alu instid0(VALU_DEP_3)
	v_add_f32_e32 v4, v4, v72
	v_mul_f32_e32 v72, v132, v100
	v_fma_f32 v71, v129, v97, -v71
	v_fmac_f32_e32 v150, v126, v93
	v_fmac_f32_e32 v152, v130, v97
	v_dual_add_f32 v4, v4, v73 :: v_dual_mul_f32 v73, v134, v102
	v_fma_f32 v72, v131, v99, -v72
	v_fmac_f32_e32 v154, v134, v101
	s_delay_alu instid0(VALU_DEP_3) | instskip(SKIP_3) | instid1(VALU_DEP_4)
	v_add_f32_e32 v4, v4, v71
	v_mul_f32_e32 v71, v140, v136
	v_fma_f32 v73, v133, v101, -v73
	v_add_f32_e32 v2, v2, v144
	v_add_f32_e32 v4, v4, v72
	s_delay_alu instid0(VALU_DEP_4) | instskip(NEXT) | instid1(VALU_DEP_2)
	v_fma_f32 v71, v139, v135, -v71
	v_add_f32_e32 v4, v4, v73
	s_delay_alu instid0(VALU_DEP_1) | instskip(SKIP_1) | instid1(VALU_DEP_1)
	v_add_f32_e32 v4, v4, v71
	s_wait_loadcnt 0x0
	v_dual_add_f32 v2, v2, v145 :: v_dual_sub_f32 v71, v137, v4
	s_delay_alu instid0(VALU_DEP_1) | instskip(NEXT) | instid1(VALU_DEP_1)
	v_add_f32_e32 v2, v2, v146
	v_add_f32_e32 v2, v2, v147
	s_delay_alu instid0(VALU_DEP_1) | instskip(NEXT) | instid1(VALU_DEP_1)
	v_add_f32_e32 v2, v2, v148
	v_add_f32_e32 v2, v2, v149
	;; [unrolled: 3-line block ×5, first 2 shown]
	s_delay_alu instid0(VALU_DEP_1)
	v_sub_f32_e32 v72, v138, v2
	scratch_store_b64 off, v[71:72], off offset:120
	v_cmpx_lt_u32_e32 14, v0
	s_cbranch_execz .LBB32_183
; %bb.182:
	scratch_load_b64 v[71:72], off, off offset:112
	v_mov_b32_e32 v2, v1
	scratch_store_b64 off, v[1:2], off offset:112
	s_wait_loadcnt 0x0
	ds_store_b64 v3, v[71:72]
.LBB32_183:
	s_wait_alu 0xfffe
	s_or_b32 exec_lo, exec_lo, s0
	s_wait_storecnt_dscnt 0x0
	s_barrier_signal -1
	s_barrier_wait -1
	global_inv scope:SCOPE_SE
	s_clause 0x9
	scratch_load_b128 v[71:74], off, off offset:120
	scratch_load_b128 v[75:78], off, off offset:136
	;; [unrolled: 1-line block ×9, first 2 shown]
	scratch_load_b64 v[143:144], off, off offset:112
	ds_load_2addr_b64 v[107:110], v1 offset0:49 offset1:50
	ds_load_2addr_b64 v[111:114], v1 offset0:51 offset1:52
	;; [unrolled: 1-line block ×9, first 2 shown]
	s_mov_b32 s0, exec_lo
	s_wait_loadcnt_dscnt 0x908
	v_dual_mul_f32 v1, v107, v72 :: v_dual_mul_f32 v2, v109, v74
	v_mul_f32_e32 v72, v108, v72
	v_mul_f32_e32 v74, v110, v74
	s_wait_loadcnt_dscnt 0x706
	v_dual_mul_f32 v146, v115, v80 :: v_dual_mul_f32 v147, v117, v82
	v_dual_fmac_f32 v1, v108, v71 :: v_dual_mul_f32 v4, v111, v76
	s_wait_loadcnt_dscnt 0x100
	v_dual_mul_f32 v145, v113, v78 :: v_dual_mul_f32 v158, v139, v104
	v_mul_f32_e32 v159, v141, v106
	v_fma_f32 v72, v107, v71, -v72
	v_mul_f32_e32 v71, v112, v76
	v_dual_add_f32 v1, 0, v1 :: v_dual_fmac_f32 v146, v116, v79
	v_dual_mul_f32 v148, v119, v84 :: v_dual_mul_f32 v149, v121, v86
	s_delay_alu instid0(VALU_DEP_4) | instskip(NEXT) | instid1(VALU_DEP_4)
	v_add_f32_e32 v72, 0, v72
	v_fma_f32 v71, v111, v75, -v71
	v_fmac_f32_e32 v2, v110, v73
	v_fma_f32 v73, v109, v73, -v74
	v_fmac_f32_e32 v145, v114, v77
	v_dual_fmac_f32 v147, v118, v81 :: v_dual_mul_f32 v150, v123, v88
	s_delay_alu instid0(VALU_DEP_3) | instskip(SKIP_1) | instid1(VALU_DEP_3)
	v_dual_mul_f32 v151, v125, v90 :: v_dual_add_f32 v72, v72, v73
	v_dual_fmac_f32 v149, v122, v85 :: v_dual_mul_f32 v152, v127, v92
	v_dual_mul_f32 v153, v129, v94 :: v_dual_fmac_f32 v150, v124, v87
	s_delay_alu instid0(VALU_DEP_3) | instskip(SKIP_4) | instid1(VALU_DEP_4)
	v_add_f32_e32 v71, v72, v71
	v_dual_fmac_f32 v4, v112, v75 :: v_dual_add_f32 v1, v1, v2
	v_mul_f32_e32 v74, v114, v78
	v_mul_f32_e32 v2, v116, v80
	v_mul_f32_e32 v72, v120, v84
	v_dual_fmac_f32 v148, v120, v83 :: v_dual_add_f32 v1, v1, v4
	s_delay_alu instid0(VALU_DEP_4)
	v_fma_f32 v73, v113, v77, -v74
	v_mul_f32_e32 v4, v118, v82
	v_fma_f32 v2, v115, v79, -v2
	v_fma_f32 v72, v119, v83, -v72
	v_add_f32_e32 v1, v1, v145
	v_add_f32_e32 v71, v71, v73
	v_fma_f32 v4, v117, v81, -v4
	v_dual_fmac_f32 v151, v126, v89 :: v_dual_fmac_f32 v152, v128, v91
	v_fmac_f32_e32 v153, v130, v93
	v_add_f32_e32 v1, v1, v146
	v_add_f32_e32 v2, v71, v2
	v_dual_mul_f32 v71, v122, v86 :: v_dual_mul_f32 v154, v131, v96
	v_mul_f32_e32 v155, v133, v98
	s_delay_alu instid0(VALU_DEP_4) | instskip(SKIP_1) | instid1(VALU_DEP_4)
	v_dual_add_f32 v1, v1, v147 :: v_dual_mul_f32 v156, v135, v100
	v_mul_f32_e32 v157, v137, v102
	v_fma_f32 v71, v121, v85, -v71
	s_delay_alu instid0(VALU_DEP_4) | instskip(NEXT) | instid1(VALU_DEP_4)
	v_dual_fmac_f32 v154, v132, v95 :: v_dual_fmac_f32 v155, v134, v97
	v_add_f32_e32 v1, v1, v148
	v_add_f32_e32 v2, v2, v4
	v_mul_f32_e32 v4, v124, v88
	v_dual_fmac_f32 v156, v136, v99 :: v_dual_fmac_f32 v159, v142, v105
	s_delay_alu instid0(VALU_DEP_3) | instskip(NEXT) | instid1(VALU_DEP_3)
	v_dual_add_f32 v1, v1, v149 :: v_dual_add_f32 v2, v2, v72
	v_fma_f32 v4, v123, v87, -v4
	v_mul_f32_e32 v72, v126, v90
	s_delay_alu instid0(VALU_DEP_3) | instskip(NEXT) | instid1(VALU_DEP_4)
	v_dual_fmac_f32 v158, v140, v103 :: v_dual_add_f32 v1, v1, v150
	v_dual_add_f32 v2, v2, v71 :: v_dual_mul_f32 v71, v128, v92
	s_delay_alu instid0(VALU_DEP_3) | instskip(SKIP_1) | instid1(VALU_DEP_3)
	v_fma_f32 v72, v125, v89, -v72
	v_fmac_f32_e32 v157, v138, v101
	v_dual_add_f32 v1, v1, v151 :: v_dual_add_f32 v2, v2, v4
	v_mul_f32_e32 v4, v130, v94
	v_fma_f32 v71, v127, v91, -v71
	s_delay_alu instid0(VALU_DEP_3) | instskip(NEXT) | instid1(VALU_DEP_4)
	v_add_f32_e32 v1, v1, v152
	v_add_f32_e32 v2, v2, v72
	v_mul_f32_e32 v72, v132, v96
	v_fma_f32 v4, v129, v93, -v4
	s_delay_alu instid0(VALU_DEP_3) | instskip(SKIP_1) | instid1(VALU_DEP_4)
	v_dual_add_f32 v1, v1, v153 :: v_dual_add_f32 v2, v2, v71
	v_mul_f32_e32 v71, v134, v98
	v_fma_f32 v72, v131, v95, -v72
	s_delay_alu instid0(VALU_DEP_3) | instskip(SKIP_1) | instid1(VALU_DEP_4)
	v_dual_add_f32 v1, v1, v154 :: v_dual_add_f32 v2, v2, v4
	v_mul_f32_e32 v4, v136, v100
	v_fma_f32 v71, v133, v97, -v71
	s_delay_alu instid0(VALU_DEP_3) | instskip(NEXT) | instid1(VALU_DEP_3)
	v_add_f32_e32 v1, v1, v155
	v_fma_f32 v4, v135, v99, -v4
	s_delay_alu instid0(VALU_DEP_2) | instskip(SKIP_1) | instid1(VALU_DEP_2)
	v_add_f32_e32 v1, v1, v156
	v_add_f32_e32 v2, v2, v72
	v_dual_mul_f32 v72, v138, v102 :: v_dual_add_f32 v1, v1, v157
	s_delay_alu instid0(VALU_DEP_2) | instskip(NEXT) | instid1(VALU_DEP_2)
	v_dual_add_f32 v2, v2, v71 :: v_dual_mul_f32 v71, v140, v104
	v_fma_f32 v72, v137, v101, -v72
	s_delay_alu instid0(VALU_DEP_2) | instskip(SKIP_1) | instid1(VALU_DEP_4)
	v_dual_add_f32 v1, v1, v158 :: v_dual_add_f32 v2, v2, v4
	v_mul_f32_e32 v4, v142, v106
	v_fma_f32 v71, v139, v103, -v71
	s_delay_alu instid0(VALU_DEP_3) | instskip(NEXT) | instid1(VALU_DEP_3)
	v_add_f32_e32 v2, v2, v72
	v_fma_f32 v4, v141, v105, -v4
	s_delay_alu instid0(VALU_DEP_2) | instskip(NEXT) | instid1(VALU_DEP_1)
	v_add_f32_e32 v2, v2, v71
	v_add_f32_e32 v2, v2, v4
	s_wait_loadcnt 0x0
	s_delay_alu instid0(VALU_DEP_1) | instskip(NEXT) | instid1(VALU_DEP_1)
	v_dual_add_f32 v4, v1, v159 :: v_dual_sub_f32 v1, v143, v2
	v_sub_f32_e32 v2, v144, v4
	scratch_store_b64 off, v[1:2], off offset:112
	v_cmpx_lt_u32_e32 13, v0
	s_cbranch_execz .LBB32_185
; %bb.184:
	scratch_load_b64 v[1:2], off, off offset:104
	v_mov_b32_e32 v71, 0
	s_delay_alu instid0(VALU_DEP_1)
	v_mov_b32_e32 v72, v71
	scratch_store_b64 off, v[71:72], off offset:104
	s_wait_loadcnt 0x0
	ds_store_b64 v3, v[1:2]
.LBB32_185:
	s_wait_alu 0xfffe
	s_or_b32 exec_lo, exec_lo, s0
	s_wait_storecnt_dscnt 0x0
	s_barrier_signal -1
	s_barrier_wait -1
	global_inv scope:SCOPE_SE
	s_clause 0xa
	scratch_load_b128 v[71:74], off, off offset:112
	scratch_load_b128 v[75:78], off, off offset:128
	;; [unrolled: 1-line block ×9, first 2 shown]
	scratch_load_b64 v[143:144], off, off offset:256
	scratch_load_b64 v[145:146], off, off offset:104
	v_mov_b32_e32 v1, 0
	ds_load_b128 v[107:110], v1 offset:384
	ds_load_b128 v[111:114], v1 offset:400
	;; [unrolled: 1-line block ×9, first 2 shown]
	ds_load_b64 v[147:148], v1 offset:528
	s_mov_b32 s0, exec_lo
	s_wait_loadcnt_dscnt 0xa09
	v_mul_f32_e32 v2, v107, v72
	v_mul_f32_e32 v72, v108, v72
	s_wait_loadcnt_dscnt 0x908
	v_dual_mul_f32 v4, v109, v74 :: v_dual_mul_f32 v149, v111, v76
	v_mul_f32_e32 v74, v110, v74
	s_wait_loadcnt_dscnt 0x807
	v_dual_mul_f32 v150, v113, v78 :: v_dual_mul_f32 v151, v115, v80
	v_fma_f32 v72, v107, v71, -v72
	v_fmac_f32_e32 v2, v108, v71
	v_dual_mul_f32 v71, v112, v76 :: v_dual_fmac_f32 v4, v110, v73
	v_fmac_f32_e32 v149, v112, v75
	v_fma_f32 v73, v109, v73, -v74
	v_dual_add_f32 v72, 0, v72 :: v_dual_fmac_f32 v151, v116, v79
	v_mul_f32_e32 v74, v114, v78
	v_fma_f32 v71, v111, v75, -v71
	s_wait_loadcnt_dscnt 0x706
	v_dual_mul_f32 v152, v117, v82 :: v_dual_mul_f32 v153, v119, v84
	v_add_f32_e32 v72, v72, v73
	v_add_f32_e32 v2, 0, v2
	v_fma_f32 v73, v113, v77, -v74
	s_wait_loadcnt_dscnt 0x504
	v_dual_mul_f32 v156, v125, v90 :: v_dual_mul_f32 v157, v127, v92
	s_delay_alu instid0(VALU_DEP_3) | instskip(SKIP_2) | instid1(VALU_DEP_4)
	v_dual_add_f32 v71, v72, v71 :: v_dual_add_f32 v2, v2, v4
	v_fmac_f32_e32 v153, v120, v83
	v_mul_f32_e32 v4, v116, v80
	v_dual_mul_f32 v72, v118, v82 :: v_dual_fmac_f32 v157, v128, v91
	s_delay_alu instid0(VALU_DEP_4) | instskip(SKIP_1) | instid1(VALU_DEP_4)
	v_add_f32_e32 v71, v71, v73
	v_mul_f32_e32 v73, v120, v84
	v_fma_f32 v4, v115, v79, -v4
	s_delay_alu instid0(VALU_DEP_4) | instskip(SKIP_2) | instid1(VALU_DEP_4)
	v_fma_f32 v72, v117, v81, -v72
	v_add_f32_e32 v2, v2, v149
	v_dual_mul_f32 v154, v121, v86 :: v_dual_mul_f32 v155, v123, v88
	v_dual_add_f32 v4, v71, v4 :: v_dual_mul_f32 v71, v122, v86
	v_fma_f32 v73, v119, v83, -v73
	s_delay_alu instid0(VALU_DEP_3) | instskip(NEXT) | instid1(VALU_DEP_3)
	v_dual_fmac_f32 v150, v114, v77 :: v_dual_fmac_f32 v155, v124, v87
	v_add_f32_e32 v4, v4, v72
	v_mul_f32_e32 v72, v124, v88
	v_fma_f32 v71, v121, v85, -v71
	s_wait_loadcnt_dscnt 0x403
	v_dual_mul_f32 v158, v129, v94 :: v_dual_mul_f32 v159, v131, v96
	v_dual_add_f32 v4, v4, v73 :: v_dual_mul_f32 v73, v126, v90
	v_fma_f32 v72, v123, v87, -v72
	s_delay_alu instid0(VALU_DEP_3) | instskip(NEXT) | instid1(VALU_DEP_3)
	v_dual_fmac_f32 v152, v118, v81 :: v_dual_fmac_f32 v159, v132, v95
	v_add_f32_e32 v4, v4, v71
	v_mul_f32_e32 v71, v128, v92
	v_fma_f32 v73, v125, v89, -v73
	v_add_f32_e32 v2, v2, v150
	s_wait_loadcnt_dscnt 0x302
	v_dual_mul_f32 v160, v133, v98 :: v_dual_mul_f32 v161, v135, v100
	v_add_f32_e32 v4, v4, v72
	v_mul_f32_e32 v72, v130, v94
	v_fma_f32 v71, v127, v91, -v71
	s_wait_loadcnt_dscnt 0x201
	v_dual_mul_f32 v162, v137, v102 :: v_dual_mul_f32 v163, v139, v104
	v_add_f32_e32 v4, v4, v73
	v_mul_f32_e32 v73, v132, v96
	v_fma_f32 v72, v129, v93, -v72
	v_add_f32_e32 v2, v2, v151
	v_dual_fmac_f32 v154, v122, v85 :: v_dual_fmac_f32 v163, v140, v103
	v_dual_add_f32 v4, v4, v71 :: v_dual_mul_f32 v71, v134, v98
	v_fma_f32 v73, v131, v95, -v73
	v_dual_fmac_f32 v161, v136, v99 :: v_dual_mul_f32 v164, v141, v106
	s_wait_loadcnt_dscnt 0x100
	v_mul_f32_e32 v165, v147, v144
	v_add_f32_e32 v4, v4, v72
	v_mul_f32_e32 v72, v136, v100
	v_fma_f32 v71, v133, v97, -v71
	v_fmac_f32_e32 v158, v130, v93
	v_fmac_f32_e32 v160, v134, v97
	v_dual_add_f32 v4, v4, v73 :: v_dual_mul_f32 v73, v138, v102
	v_fma_f32 v72, v135, v99, -v72
	v_dual_fmac_f32 v165, v148, v143 :: v_dual_fmac_f32 v162, v138, v101
	s_delay_alu instid0(VALU_DEP_3)
	v_add_f32_e32 v4, v4, v71
	v_mul_f32_e32 v71, v140, v104
	v_fma_f32 v73, v137, v101, -v73
	v_add_f32_e32 v2, v2, v152
	v_fmac_f32_e32 v164, v142, v105
	v_add_f32_e32 v4, v4, v72
	v_mul_f32_e32 v72, v142, v106
	v_fma_f32 v71, v139, v103, -v71
	v_add_f32_e32 v2, v2, v153
	s_delay_alu instid0(VALU_DEP_4) | instskip(SKIP_2) | instid1(VALU_DEP_4)
	v_add_f32_e32 v4, v4, v73
	v_mul_f32_e32 v73, v148, v144
	v_fma_f32 v72, v141, v105, -v72
	v_add_f32_e32 v2, v2, v154
	s_delay_alu instid0(VALU_DEP_4) | instskip(NEXT) | instid1(VALU_DEP_4)
	v_add_f32_e32 v4, v4, v71
	v_fma_f32 v71, v147, v143, -v73
	s_delay_alu instid0(VALU_DEP_3) | instskip(NEXT) | instid1(VALU_DEP_3)
	v_add_f32_e32 v2, v2, v155
	v_add_f32_e32 v4, v4, v72
	s_delay_alu instid0(VALU_DEP_1) | instskip(SKIP_1) | instid1(VALU_DEP_1)
	v_add_f32_e32 v4, v4, v71
	s_wait_loadcnt 0x0
	v_dual_fmac_f32 v156, v126, v89 :: v_dual_sub_f32 v71, v145, v4
	s_delay_alu instid0(VALU_DEP_1) | instskip(NEXT) | instid1(VALU_DEP_1)
	v_add_f32_e32 v2, v2, v156
	v_add_f32_e32 v2, v2, v157
	s_delay_alu instid0(VALU_DEP_1) | instskip(NEXT) | instid1(VALU_DEP_1)
	v_add_f32_e32 v2, v2, v158
	v_add_f32_e32 v2, v2, v159
	;; [unrolled: 3-line block ×5, first 2 shown]
	s_delay_alu instid0(VALU_DEP_1)
	v_sub_f32_e32 v72, v146, v2
	scratch_store_b64 off, v[71:72], off offset:104
	v_cmpx_lt_u32_e32 12, v0
	s_cbranch_execz .LBB32_187
; %bb.186:
	scratch_load_b64 v[71:72], off, off offset:96
	v_mov_b32_e32 v2, v1
	scratch_store_b64 off, v[1:2], off offset:96
	s_wait_loadcnt 0x0
	ds_store_b64 v3, v[71:72]
.LBB32_187:
	s_wait_alu 0xfffe
	s_or_b32 exec_lo, exec_lo, s0
	s_wait_storecnt_dscnt 0x0
	s_barrier_signal -1
	s_barrier_wait -1
	global_inv scope:SCOPE_SE
	s_clause 0xa
	scratch_load_b128 v[71:74], off, off offset:104
	scratch_load_b128 v[75:78], off, off offset:120
	;; [unrolled: 1-line block ×10, first 2 shown]
	scratch_load_b64 v[151:152], off, off offset:96
	ds_load_2addr_b64 v[111:114], v1 offset0:47 offset1:48
	ds_load_2addr_b64 v[115:118], v1 offset0:49 offset1:50
	;; [unrolled: 1-line block ×10, first 2 shown]
	s_mov_b32 s0, exec_lo
	s_wait_loadcnt_dscnt 0xa09
	v_dual_mul_f32 v1, v111, v72 :: v_dual_mul_f32 v2, v113, v74
	v_mul_f32_e32 v72, v112, v72
	v_mul_f32_e32 v74, v114, v74
	s_wait_loadcnt_dscnt 0x807
	v_dual_mul_f32 v154, v119, v80 :: v_dual_mul_f32 v155, v121, v82
	v_dual_fmac_f32 v1, v112, v71 :: v_dual_mul_f32 v4, v115, v76
	s_wait_loadcnt_dscnt 0x100
	v_dual_mul_f32 v153, v117, v78 :: v_dual_mul_f32 v168, v147, v108
	v_mul_f32_e32 v169, v149, v110
	v_fma_f32 v72, v111, v71, -v72
	v_mul_f32_e32 v71, v116, v76
	v_dual_add_f32 v1, 0, v1 :: v_dual_fmac_f32 v154, v120, v79
	v_dual_mul_f32 v156, v123, v84 :: v_dual_mul_f32 v157, v125, v86
	s_delay_alu instid0(VALU_DEP_4) | instskip(NEXT) | instid1(VALU_DEP_4)
	v_add_f32_e32 v72, 0, v72
	v_fma_f32 v71, v115, v75, -v71
	v_fmac_f32_e32 v2, v114, v73
	v_fma_f32 v73, v113, v73, -v74
	v_fmac_f32_e32 v153, v118, v77
	v_dual_fmac_f32 v155, v122, v81 :: v_dual_mul_f32 v158, v127, v88
	s_delay_alu instid0(VALU_DEP_3) | instskip(SKIP_1) | instid1(VALU_DEP_3)
	v_dual_mul_f32 v159, v129, v90 :: v_dual_add_f32 v72, v72, v73
	v_dual_fmac_f32 v157, v126, v85 :: v_dual_mul_f32 v160, v131, v92
	v_dual_mul_f32 v161, v133, v94 :: v_dual_fmac_f32 v158, v128, v87
	s_delay_alu instid0(VALU_DEP_3) | instskip(SKIP_4) | instid1(VALU_DEP_4)
	v_add_f32_e32 v71, v72, v71
	v_dual_fmac_f32 v4, v116, v75 :: v_dual_add_f32 v1, v1, v2
	v_mul_f32_e32 v74, v118, v78
	v_mul_f32_e32 v2, v120, v80
	;; [unrolled: 1-line block ×3, first 2 shown]
	v_dual_fmac_f32 v156, v124, v83 :: v_dual_add_f32 v1, v1, v4
	s_delay_alu instid0(VALU_DEP_4)
	v_fma_f32 v73, v117, v77, -v74
	v_mul_f32_e32 v4, v122, v82
	v_fma_f32 v2, v119, v79, -v2
	v_fma_f32 v72, v123, v83, -v72
	v_add_f32_e32 v1, v1, v153
	v_add_f32_e32 v71, v71, v73
	v_fma_f32 v4, v121, v81, -v4
	v_dual_fmac_f32 v159, v130, v89 :: v_dual_fmac_f32 v160, v132, v91
	v_fmac_f32_e32 v161, v134, v93
	v_add_f32_e32 v1, v1, v154
	v_add_f32_e32 v2, v71, v2
	v_dual_mul_f32 v71, v126, v86 :: v_dual_mul_f32 v162, v135, v96
	v_mul_f32_e32 v163, v137, v98
	s_delay_alu instid0(VALU_DEP_4) | instskip(SKIP_1) | instid1(VALU_DEP_4)
	v_dual_add_f32 v1, v1, v155 :: v_dual_mul_f32 v164, v139, v100
	v_mul_f32_e32 v165, v141, v102
	v_fma_f32 v71, v125, v85, -v71
	s_delay_alu instid0(VALU_DEP_4) | instskip(NEXT) | instid1(VALU_DEP_4)
	v_dual_fmac_f32 v162, v136, v95 :: v_dual_fmac_f32 v163, v138, v97
	v_add_f32_e32 v1, v1, v156
	v_add_f32_e32 v2, v2, v4
	v_mul_f32_e32 v4, v128, v88
	v_dual_mul_f32 v166, v143, v104 :: v_dual_mul_f32 v167, v145, v106
	s_delay_alu instid0(VALU_DEP_3) | instskip(NEXT) | instid1(VALU_DEP_3)
	v_dual_add_f32 v1, v1, v157 :: v_dual_add_f32 v2, v2, v72
	v_fma_f32 v4, v127, v87, -v4
	v_mul_f32_e32 v72, v130, v90
	s_delay_alu instid0(VALU_DEP_4) | instskip(NEXT) | instid1(VALU_DEP_4)
	v_dual_fmac_f32 v164, v140, v99 :: v_dual_fmac_f32 v167, v146, v105
	v_dual_add_f32 v1, v1, v158 :: v_dual_add_f32 v2, v2, v71
	v_mul_f32_e32 v71, v132, v92
	s_delay_alu instid0(VALU_DEP_4) | instskip(SKIP_1) | instid1(VALU_DEP_4)
	v_fma_f32 v72, v129, v89, -v72
	v_fmac_f32_e32 v166, v144, v103
	v_dual_add_f32 v1, v1, v159 :: v_dual_add_f32 v2, v2, v4
	v_mul_f32_e32 v4, v134, v94
	v_fma_f32 v71, v131, v91, -v71
	v_fmac_f32_e32 v165, v142, v101
	s_delay_alu instid0(VALU_DEP_4) | instskip(SKIP_3) | instid1(VALU_DEP_4)
	v_add_f32_e32 v1, v1, v160
	v_add_f32_e32 v2, v2, v72
	v_mul_f32_e32 v72, v136, v96
	v_fma_f32 v4, v133, v93, -v4
	v_dual_fmac_f32 v168, v148, v107 :: v_dual_add_f32 v1, v1, v161
	s_delay_alu instid0(VALU_DEP_4) | instskip(SKIP_3) | instid1(VALU_DEP_4)
	v_add_f32_e32 v2, v2, v71
	v_mul_f32_e32 v71, v138, v98
	v_fma_f32 v72, v135, v95, -v72
	v_fmac_f32_e32 v169, v150, v109
	v_dual_add_f32 v1, v1, v162 :: v_dual_add_f32 v2, v2, v4
	v_mul_f32_e32 v4, v140, v100
	v_fma_f32 v71, v137, v97, -v71
	s_delay_alu instid0(VALU_DEP_3) | instskip(NEXT) | instid1(VALU_DEP_3)
	v_add_f32_e32 v1, v1, v163
	v_fma_f32 v4, v139, v99, -v4
	s_delay_alu instid0(VALU_DEP_2) | instskip(SKIP_1) | instid1(VALU_DEP_2)
	v_add_f32_e32 v1, v1, v164
	v_add_f32_e32 v2, v2, v72
	v_dual_mul_f32 v72, v142, v102 :: v_dual_add_f32 v1, v1, v165
	s_delay_alu instid0(VALU_DEP_2) | instskip(NEXT) | instid1(VALU_DEP_2)
	v_dual_add_f32 v2, v2, v71 :: v_dual_mul_f32 v71, v144, v104
	v_fma_f32 v72, v141, v101, -v72
	s_delay_alu instid0(VALU_DEP_2) | instskip(SKIP_1) | instid1(VALU_DEP_4)
	v_dual_add_f32 v1, v1, v166 :: v_dual_add_f32 v2, v2, v4
	v_mul_f32_e32 v4, v146, v106
	v_fma_f32 v71, v143, v103, -v71
	s_delay_alu instid0(VALU_DEP_3) | instskip(SKIP_1) | instid1(VALU_DEP_4)
	v_dual_add_f32 v1, v1, v167 :: v_dual_add_f32 v2, v2, v72
	v_mul_f32_e32 v72, v148, v108
	v_fma_f32 v4, v145, v105, -v4
	s_delay_alu instid0(VALU_DEP_3) | instskip(SKIP_1) | instid1(VALU_DEP_4)
	v_dual_add_f32 v1, v1, v168 :: v_dual_add_f32 v2, v2, v71
	v_mul_f32_e32 v71, v150, v110
	v_fma_f32 v72, v147, v107, -v72
	s_delay_alu instid0(VALU_DEP_3) | instskip(NEXT) | instid1(VALU_DEP_3)
	v_add_f32_e32 v2, v2, v4
	v_fma_f32 v4, v149, v109, -v71
	s_delay_alu instid0(VALU_DEP_2) | instskip(NEXT) | instid1(VALU_DEP_1)
	v_add_f32_e32 v2, v2, v72
	v_add_f32_e32 v2, v2, v4
	s_wait_loadcnt 0x0
	s_delay_alu instid0(VALU_DEP_1) | instskip(NEXT) | instid1(VALU_DEP_1)
	v_dual_add_f32 v4, v1, v169 :: v_dual_sub_f32 v1, v151, v2
	v_sub_f32_e32 v2, v152, v4
	scratch_store_b64 off, v[1:2], off offset:96
	v_cmpx_lt_u32_e32 11, v0
	s_cbranch_execz .LBB32_189
; %bb.188:
	scratch_load_b64 v[1:2], off, off offset:88
	v_mov_b32_e32 v71, 0
	s_delay_alu instid0(VALU_DEP_1)
	v_mov_b32_e32 v72, v71
	scratch_store_b64 off, v[71:72], off offset:88
	s_wait_loadcnt 0x0
	ds_store_b64 v3, v[1:2]
.LBB32_189:
	s_wait_alu 0xfffe
	s_or_b32 exec_lo, exec_lo, s0
	s_wait_storecnt_dscnt 0x0
	s_barrier_signal -1
	s_barrier_wait -1
	global_inv scope:SCOPE_SE
	s_clause 0xb
	scratch_load_b128 v[71:74], off, off offset:96
	scratch_load_b128 v[75:78], off, off offset:112
	scratch_load_b128 v[79:82], off, off offset:128
	scratch_load_b128 v[83:86], off, off offset:144
	scratch_load_b128 v[87:90], off, off offset:160
	scratch_load_b128 v[91:94], off, off offset:176
	scratch_load_b128 v[95:98], off, off offset:192
	scratch_load_b128 v[99:102], off, off offset:208
	scratch_load_b128 v[103:106], off, off offset:224
	scratch_load_b128 v[107:110], off, off offset:240
	scratch_load_b64 v[151:152], off, off offset:256
	scratch_load_b64 v[153:154], off, off offset:88
	v_mov_b32_e32 v1, 0
	ds_load_b128 v[111:114], v1 offset:368
	ds_load_b128 v[115:118], v1 offset:384
	;; [unrolled: 1-line block ×10, first 2 shown]
	ds_load_b64 v[155:156], v1 offset:528
	s_mov_b32 s0, exec_lo
	s_wait_loadcnt_dscnt 0xb0a
	v_mul_f32_e32 v2, v111, v72
	v_mul_f32_e32 v72, v112, v72
	s_wait_loadcnt_dscnt 0xa09
	v_dual_mul_f32 v4, v113, v74 :: v_dual_mul_f32 v157, v115, v76
	v_mul_f32_e32 v74, v114, v74
	s_wait_loadcnt_dscnt 0x908
	v_dual_mul_f32 v158, v117, v78 :: v_dual_mul_f32 v159, v119, v80
	v_fma_f32 v72, v111, v71, -v72
	v_fmac_f32_e32 v2, v112, v71
	v_dual_mul_f32 v71, v116, v76 :: v_dual_fmac_f32 v4, v114, v73
	v_fmac_f32_e32 v157, v116, v75
	v_fma_f32 v73, v113, v73, -v74
	v_dual_add_f32 v72, 0, v72 :: v_dual_fmac_f32 v159, v120, v79
	v_mul_f32_e32 v74, v118, v78
	v_fma_f32 v71, v115, v75, -v71
	s_wait_loadcnt_dscnt 0x807
	v_dual_mul_f32 v160, v121, v82 :: v_dual_mul_f32 v161, v123, v84
	v_add_f32_e32 v72, v72, v73
	v_add_f32_e32 v2, 0, v2
	v_fma_f32 v73, v117, v77, -v74
	s_wait_loadcnt_dscnt 0x605
	v_dual_mul_f32 v164, v129, v90 :: v_dual_mul_f32 v165, v131, v92
	s_delay_alu instid0(VALU_DEP_3) | instskip(SKIP_2) | instid1(VALU_DEP_4)
	v_dual_add_f32 v71, v72, v71 :: v_dual_add_f32 v2, v2, v4
	v_fmac_f32_e32 v161, v124, v83
	v_mul_f32_e32 v4, v120, v80
	v_dual_mul_f32 v72, v122, v82 :: v_dual_fmac_f32 v165, v132, v91
	s_delay_alu instid0(VALU_DEP_4) | instskip(SKIP_1) | instid1(VALU_DEP_4)
	v_add_f32_e32 v71, v71, v73
	v_mul_f32_e32 v73, v124, v84
	v_fma_f32 v4, v119, v79, -v4
	s_delay_alu instid0(VALU_DEP_4) | instskip(SKIP_2) | instid1(VALU_DEP_4)
	v_fma_f32 v72, v121, v81, -v72
	v_add_f32_e32 v2, v2, v157
	v_dual_mul_f32 v162, v125, v86 :: v_dual_mul_f32 v163, v127, v88
	v_dual_add_f32 v4, v71, v4 :: v_dual_mul_f32 v71, v126, v86
	v_fma_f32 v73, v123, v83, -v73
	s_delay_alu instid0(VALU_DEP_3) | instskip(NEXT) | instid1(VALU_DEP_3)
	v_dual_fmac_f32 v158, v118, v77 :: v_dual_fmac_f32 v163, v128, v87
	v_add_f32_e32 v4, v4, v72
	v_mul_f32_e32 v72, v128, v88
	v_fma_f32 v71, v125, v85, -v71
	s_wait_loadcnt_dscnt 0x504
	v_dual_mul_f32 v166, v133, v94 :: v_dual_mul_f32 v167, v135, v96
	v_dual_add_f32 v4, v4, v73 :: v_dual_mul_f32 v73, v130, v90
	v_fma_f32 v72, v127, v87, -v72
	s_delay_alu instid0(VALU_DEP_3) | instskip(NEXT) | instid1(VALU_DEP_3)
	v_dual_fmac_f32 v160, v122, v81 :: v_dual_fmac_f32 v167, v136, v95
	v_add_f32_e32 v4, v4, v71
	v_mul_f32_e32 v71, v132, v92
	v_fma_f32 v73, v129, v89, -v73
	v_add_f32_e32 v2, v2, v158
	s_wait_loadcnt_dscnt 0x403
	v_dual_mul_f32 v168, v137, v98 :: v_dual_mul_f32 v169, v139, v100
	v_add_f32_e32 v4, v4, v72
	v_mul_f32_e32 v72, v134, v94
	v_fma_f32 v71, v131, v91, -v71
	s_wait_loadcnt_dscnt 0x302
	v_dual_mul_f32 v170, v141, v102 :: v_dual_mul_f32 v171, v143, v104
	v_add_f32_e32 v4, v4, v73
	v_mul_f32_e32 v73, v136, v96
	v_fma_f32 v72, v133, v93, -v72
	v_add_f32_e32 v2, v2, v159
	v_dual_fmac_f32 v162, v126, v85 :: v_dual_fmac_f32 v171, v144, v103
	v_dual_add_f32 v4, v4, v71 :: v_dual_mul_f32 v71, v138, v98
	v_fma_f32 v73, v135, v95, -v73
	v_dual_fmac_f32 v169, v140, v99 :: v_dual_mul_f32 v172, v145, v106
	s_wait_loadcnt_dscnt 0x201
	v_mul_f32_e32 v173, v147, v108
	v_add_f32_e32 v4, v4, v72
	v_mul_f32_e32 v72, v140, v100
	v_fma_f32 v71, v137, v97, -v71
	s_wait_loadcnt_dscnt 0x100
	v_dual_mul_f32 v174, v149, v110 :: v_dual_mul_f32 v175, v155, v152
	v_dual_add_f32 v4, v4, v73 :: v_dual_mul_f32 v73, v142, v102
	v_fma_f32 v72, v139, v99, -v72
	s_delay_alu instid0(VALU_DEP_3) | instskip(NEXT) | instid1(VALU_DEP_3)
	v_dual_fmac_f32 v164, v130, v89 :: v_dual_fmac_f32 v175, v156, v151
	v_add_f32_e32 v4, v4, v71
	v_mul_f32_e32 v71, v144, v104
	v_fma_f32 v73, v141, v101, -v73
	v_dual_add_f32 v2, v2, v160 :: v_dual_fmac_f32 v173, v148, v107
	s_delay_alu instid0(VALU_DEP_4) | instskip(SKIP_2) | instid1(VALU_DEP_4)
	v_add_f32_e32 v4, v4, v72
	v_mul_f32_e32 v72, v146, v106
	v_fma_f32 v71, v143, v103, -v71
	v_add_f32_e32 v2, v2, v161
	v_fmac_f32_e32 v166, v134, v93
	v_add_f32_e32 v4, v4, v73
	v_mul_f32_e32 v73, v148, v108
	v_fma_f32 v72, v145, v105, -v72
	v_add_f32_e32 v2, v2, v162
	v_fmac_f32_e32 v168, v138, v97
	v_dual_add_f32 v4, v4, v71 :: v_dual_mul_f32 v71, v150, v110
	v_fma_f32 v73, v147, v107, -v73
	v_fmac_f32_e32 v170, v142, v101
	v_fmac_f32_e32 v172, v146, v105
	s_delay_alu instid0(VALU_DEP_4) | instskip(SKIP_3) | instid1(VALU_DEP_4)
	v_add_f32_e32 v4, v4, v72
	v_mul_f32_e32 v72, v156, v152
	v_fma_f32 v71, v149, v109, -v71
	v_fmac_f32_e32 v174, v150, v109
	v_add_f32_e32 v4, v4, v73
	s_delay_alu instid0(VALU_DEP_4) | instskip(NEXT) | instid1(VALU_DEP_2)
	v_fma_f32 v72, v155, v151, -v72
	v_add_f32_e32 v4, v4, v71
	s_delay_alu instid0(VALU_DEP_1) | instskip(SKIP_1) | instid1(VALU_DEP_1)
	v_add_f32_e32 v4, v4, v72
	s_wait_loadcnt 0x0
	v_dual_add_f32 v2, v2, v163 :: v_dual_sub_f32 v71, v153, v4
	s_delay_alu instid0(VALU_DEP_1) | instskip(NEXT) | instid1(VALU_DEP_1)
	v_add_f32_e32 v2, v2, v164
	v_add_f32_e32 v2, v2, v165
	s_delay_alu instid0(VALU_DEP_1) | instskip(NEXT) | instid1(VALU_DEP_1)
	v_add_f32_e32 v2, v2, v166
	v_add_f32_e32 v2, v2, v167
	;; [unrolled: 3-line block ×6, first 2 shown]
	s_delay_alu instid0(VALU_DEP_1)
	v_sub_f32_e32 v72, v154, v2
	scratch_store_b64 off, v[71:72], off offset:88
	v_cmpx_lt_u32_e32 10, v0
	s_cbranch_execz .LBB32_191
; %bb.190:
	scratch_load_b64 v[71:72], off, off offset:80
	v_mov_b32_e32 v2, v1
	scratch_store_b64 off, v[1:2], off offset:80
	s_wait_loadcnt 0x0
	ds_store_b64 v3, v[71:72]
.LBB32_191:
	s_wait_alu 0xfffe
	s_or_b32 exec_lo, exec_lo, s0
	s_wait_storecnt_dscnt 0x0
	s_barrier_signal -1
	s_barrier_wait -1
	global_inv scope:SCOPE_SE
	s_clause 0xb
	scratch_load_b128 v[71:74], off, off offset:88
	scratch_load_b128 v[75:78], off, off offset:104
	;; [unrolled: 1-line block ×11, first 2 shown]
	scratch_load_b64 v[159:160], off, off offset:80
	ds_load_2addr_b64 v[115:118], v1 offset0:45 offset1:46
	ds_load_2addr_b64 v[119:122], v1 offset0:47 offset1:48
	;; [unrolled: 1-line block ×11, first 2 shown]
	s_mov_b32 s0, exec_lo
	s_wait_loadcnt_dscnt 0xb0a
	v_dual_mul_f32 v1, v115, v72 :: v_dual_mul_f32 v2, v117, v74
	v_mul_f32_e32 v72, v116, v72
	v_mul_f32_e32 v74, v118, v74
	s_wait_loadcnt_dscnt 0x908
	v_dual_mul_f32 v162, v123, v80 :: v_dual_mul_f32 v163, v125, v82
	v_dual_fmac_f32 v1, v116, v71 :: v_dual_mul_f32 v4, v119, v76
	s_delay_alu instid0(VALU_DEP_2)
	v_dual_mul_f32 v161, v121, v78 :: v_dual_fmac_f32 v162, v124, v79
	s_wait_loadcnt_dscnt 0x100
	v_dual_mul_f32 v178, v155, v112 :: v_dual_mul_f32 v179, v157, v114
	v_fma_f32 v72, v115, v71, -v72
	v_mul_f32_e32 v71, v120, v76
	v_dual_add_f32 v1, 0, v1 :: v_dual_mul_f32 v164, v127, v84
	s_delay_alu instid0(VALU_DEP_3) | instskip(NEXT) | instid1(VALU_DEP_3)
	v_dual_mul_f32 v165, v129, v86 :: v_dual_add_f32 v72, 0, v72
	v_fma_f32 v71, v119, v75, -v71
	v_fmac_f32_e32 v2, v118, v73
	v_fma_f32 v73, v117, v73, -v74
	v_fmac_f32_e32 v161, v122, v77
	v_dual_fmac_f32 v163, v126, v81 :: v_dual_mul_f32 v166, v131, v88
	s_delay_alu instid0(VALU_DEP_3) | instskip(SKIP_1) | instid1(VALU_DEP_3)
	v_dual_mul_f32 v167, v133, v90 :: v_dual_add_f32 v72, v72, v73
	v_dual_fmac_f32 v165, v130, v85 :: v_dual_mul_f32 v168, v135, v92
	v_dual_mul_f32 v169, v137, v94 :: v_dual_fmac_f32 v166, v132, v87
	s_delay_alu instid0(VALU_DEP_3) | instskip(SKIP_4) | instid1(VALU_DEP_4)
	v_add_f32_e32 v71, v72, v71
	v_dual_fmac_f32 v4, v120, v75 :: v_dual_add_f32 v1, v1, v2
	v_mul_f32_e32 v74, v122, v78
	v_mul_f32_e32 v2, v124, v80
	;; [unrolled: 1-line block ×3, first 2 shown]
	v_dual_fmac_f32 v164, v128, v83 :: v_dual_add_f32 v1, v1, v4
	s_delay_alu instid0(VALU_DEP_4)
	v_fma_f32 v73, v121, v77, -v74
	v_mul_f32_e32 v4, v126, v82
	v_fma_f32 v2, v123, v79, -v2
	v_fma_f32 v72, v127, v83, -v72
	v_add_f32_e32 v1, v1, v161
	v_add_f32_e32 v71, v71, v73
	v_fma_f32 v4, v125, v81, -v4
	v_dual_fmac_f32 v168, v136, v91 :: v_dual_fmac_f32 v169, v138, v93
	s_delay_alu instid0(VALU_DEP_4) | instskip(NEXT) | instid1(VALU_DEP_4)
	v_add_f32_e32 v1, v1, v162
	v_add_f32_e32 v2, v71, v2
	v_mul_f32_e32 v71, v130, v86
	v_dual_fmac_f32 v167, v134, v89 :: v_dual_mul_f32 v170, v139, v96
	v_mul_f32_e32 v171, v141, v98
	v_add_f32_e32 v1, v1, v163
	s_delay_alu instid0(VALU_DEP_4) | instskip(SKIP_1) | instid1(VALU_DEP_4)
	v_fma_f32 v71, v129, v85, -v71
	v_dual_mul_f32 v172, v143, v100 :: v_dual_mul_f32 v173, v145, v102
	v_dual_fmac_f32 v170, v140, v95 :: v_dual_fmac_f32 v171, v142, v97
	s_delay_alu instid0(VALU_DEP_4) | instskip(SKIP_3) | instid1(VALU_DEP_3)
	v_add_f32_e32 v1, v1, v164
	v_add_f32_e32 v2, v2, v4
	v_mul_f32_e32 v4, v132, v88
	v_dual_mul_f32 v174, v147, v104 :: v_dual_mul_f32 v175, v149, v106
	v_dual_add_f32 v1, v1, v165 :: v_dual_add_f32 v2, v2, v72
	s_delay_alu instid0(VALU_DEP_3) | instskip(SKIP_1) | instid1(VALU_DEP_4)
	v_fma_f32 v4, v131, v87, -v4
	v_mul_f32_e32 v72, v134, v90
	v_dual_fmac_f32 v172, v144, v99 :: v_dual_fmac_f32 v175, v150, v105
	s_delay_alu instid0(VALU_DEP_4) | instskip(SKIP_1) | instid1(VALU_DEP_4)
	v_dual_add_f32 v1, v1, v166 :: v_dual_add_f32 v2, v2, v71
	v_mul_f32_e32 v71, v136, v92
	v_fma_f32 v72, v133, v89, -v72
	v_fmac_f32_e32 v174, v148, v103
	s_delay_alu instid0(VALU_DEP_4) | instskip(SKIP_3) | instid1(VALU_DEP_4)
	v_dual_add_f32 v1, v1, v167 :: v_dual_add_f32 v2, v2, v4
	v_mul_f32_e32 v4, v138, v94
	v_fma_f32 v71, v135, v91, -v71
	v_fmac_f32_e32 v173, v146, v101
	v_add_f32_e32 v1, v1, v168
	v_add_f32_e32 v2, v2, v72
	v_fma_f32 v4, v137, v93, -v4
	v_mul_f32_e32 v72, v140, v96
	v_dual_mul_f32 v176, v151, v108 :: v_dual_mul_f32 v177, v153, v110
	s_delay_alu instid0(VALU_DEP_4) | instskip(SKIP_1) | instid1(VALU_DEP_4)
	v_dual_add_f32 v1, v1, v169 :: v_dual_add_f32 v2, v2, v71
	v_mul_f32_e32 v71, v142, v98
	v_fma_f32 v72, v139, v95, -v72
	s_delay_alu instid0(VALU_DEP_4) | instskip(NEXT) | instid1(VALU_DEP_4)
	v_dual_fmac_f32 v176, v152, v107 :: v_dual_fmac_f32 v177, v154, v109
	v_dual_add_f32 v1, v1, v170 :: v_dual_add_f32 v2, v2, v4
	v_mul_f32_e32 v4, v144, v100
	v_fma_f32 v71, v141, v97, -v71
	v_fmac_f32_e32 v178, v156, v111
	s_delay_alu instid0(VALU_DEP_4) | instskip(SKIP_2) | instid1(VALU_DEP_3)
	v_add_f32_e32 v1, v1, v171
	v_fmac_f32_e32 v179, v158, v113
	v_fma_f32 v4, v143, v99, -v4
	v_add_f32_e32 v1, v1, v172
	v_add_f32_e32 v2, v2, v72
	s_delay_alu instid0(VALU_DEP_2) | instskip(NEXT) | instid1(VALU_DEP_2)
	v_dual_mul_f32 v72, v146, v102 :: v_dual_add_f32 v1, v1, v173
	v_dual_add_f32 v2, v2, v71 :: v_dual_mul_f32 v71, v148, v104
	s_delay_alu instid0(VALU_DEP_2) | instskip(NEXT) | instid1(VALU_DEP_2)
	v_fma_f32 v72, v145, v101, -v72
	v_dual_add_f32 v1, v1, v174 :: v_dual_add_f32 v2, v2, v4
	v_mul_f32_e32 v4, v150, v106
	s_delay_alu instid0(VALU_DEP_4) | instskip(NEXT) | instid1(VALU_DEP_3)
	v_fma_f32 v71, v147, v103, -v71
	v_add_f32_e32 v1, v1, v175
	s_delay_alu instid0(VALU_DEP_3) | instskip(NEXT) | instid1(VALU_DEP_2)
	v_fma_f32 v4, v149, v105, -v4
	v_add_f32_e32 v1, v1, v176
	v_add_f32_e32 v2, v2, v72
	s_delay_alu instid0(VALU_DEP_2) | instskip(NEXT) | instid1(VALU_DEP_2)
	v_dual_mul_f32 v72, v152, v108 :: v_dual_add_f32 v1, v1, v177
	v_add_f32_e32 v2, v2, v71
	v_mul_f32_e32 v71, v154, v110
	s_delay_alu instid0(VALU_DEP_3) | instskip(NEXT) | instid1(VALU_DEP_3)
	v_fma_f32 v72, v151, v107, -v72
	v_dual_add_f32 v1, v1, v178 :: v_dual_add_f32 v2, v2, v4
	v_mul_f32_e32 v4, v156, v112
	s_delay_alu instid0(VALU_DEP_4) | instskip(NEXT) | instid1(VALU_DEP_3)
	v_fma_f32 v71, v153, v109, -v71
	v_add_f32_e32 v2, v2, v72
	v_mul_f32_e32 v72, v158, v114
	s_delay_alu instid0(VALU_DEP_4) | instskip(NEXT) | instid1(VALU_DEP_3)
	v_fma_f32 v4, v155, v111, -v4
	v_add_f32_e32 v2, v2, v71
	s_delay_alu instid0(VALU_DEP_3) | instskip(NEXT) | instid1(VALU_DEP_2)
	v_fma_f32 v71, v157, v113, -v72
	v_add_f32_e32 v2, v2, v4
	v_add_f32_e32 v4, v1, v179
	s_delay_alu instid0(VALU_DEP_2) | instskip(SKIP_1) | instid1(VALU_DEP_1)
	v_add_f32_e32 v2, v2, v71
	s_wait_loadcnt 0x0
	v_dual_sub_f32 v1, v159, v2 :: v_dual_sub_f32 v2, v160, v4
	scratch_store_b64 off, v[1:2], off offset:80
	v_cmpx_lt_u32_e32 9, v0
	s_cbranch_execz .LBB32_193
; %bb.192:
	scratch_load_b64 v[1:2], off, off offset:72
	v_mov_b32_e32 v71, 0
	s_delay_alu instid0(VALU_DEP_1)
	v_mov_b32_e32 v72, v71
	scratch_store_b64 off, v[71:72], off offset:72
	s_wait_loadcnt 0x0
	ds_store_b64 v3, v[1:2]
.LBB32_193:
	s_wait_alu 0xfffe
	s_or_b32 exec_lo, exec_lo, s0
	s_wait_storecnt_dscnt 0x0
	s_barrier_signal -1
	s_barrier_wait -1
	global_inv scope:SCOPE_SE
	s_clause 0xc
	scratch_load_b128 v[71:74], off, off offset:80
	scratch_load_b128 v[75:78], off, off offset:96
	;; [unrolled: 1-line block ×11, first 2 shown]
	scratch_load_b64 v[159:160], off, off offset:256
	scratch_load_b64 v[161:162], off, off offset:72
	v_mov_b32_e32 v1, 0
	ds_load_b128 v[115:118], v1 offset:352
	ds_load_b128 v[119:122], v1 offset:368
	ds_load_b128 v[123:126], v1 offset:384
	ds_load_b128 v[127:130], v1 offset:400
	ds_load_b128 v[131:134], v1 offset:416
	ds_load_b128 v[135:138], v1 offset:432
	ds_load_b128 v[139:142], v1 offset:448
	ds_load_b128 v[143:146], v1 offset:464
	ds_load_b128 v[147:150], v1 offset:480
	ds_load_b128 v[151:154], v1 offset:496
	ds_load_b128 v[155:158], v1 offset:512
	ds_load_b64 v[163:164], v1 offset:528
	s_mov_b32 s0, exec_lo
	s_wait_loadcnt_dscnt 0xc0b
	v_mul_f32_e32 v2, v115, v72
	v_mul_f32_e32 v72, v116, v72
	s_wait_loadcnt_dscnt 0xb0a
	v_dual_mul_f32 v4, v117, v74 :: v_dual_mul_f32 v165, v119, v76
	v_mul_f32_e32 v74, v118, v74
	s_wait_loadcnt_dscnt 0xa09
	v_dual_mul_f32 v166, v121, v78 :: v_dual_mul_f32 v167, v123, v80
	v_fma_f32 v72, v115, v71, -v72
	v_fmac_f32_e32 v2, v116, v71
	v_dual_mul_f32 v71, v120, v76 :: v_dual_fmac_f32 v4, v118, v73
	v_fmac_f32_e32 v165, v120, v75
	v_fma_f32 v73, v117, v73, -v74
	v_dual_add_f32 v72, 0, v72 :: v_dual_fmac_f32 v167, v124, v79
	v_mul_f32_e32 v74, v122, v78
	v_fma_f32 v71, v119, v75, -v71
	s_wait_loadcnt_dscnt 0x908
	v_dual_mul_f32 v168, v125, v82 :: v_dual_mul_f32 v169, v127, v84
	v_add_f32_e32 v72, v72, v73
	v_add_f32_e32 v2, 0, v2
	v_fma_f32 v73, v121, v77, -v74
	s_wait_loadcnt_dscnt 0x706
	v_dual_mul_f32 v172, v133, v90 :: v_dual_mul_f32 v173, v135, v92
	s_delay_alu instid0(VALU_DEP_3) | instskip(SKIP_2) | instid1(VALU_DEP_4)
	v_dual_add_f32 v71, v72, v71 :: v_dual_add_f32 v2, v2, v4
	v_fmac_f32_e32 v169, v128, v83
	v_mul_f32_e32 v4, v124, v80
	v_dual_mul_f32 v72, v126, v82 :: v_dual_fmac_f32 v173, v136, v91
	s_delay_alu instid0(VALU_DEP_4) | instskip(SKIP_1) | instid1(VALU_DEP_4)
	v_add_f32_e32 v71, v71, v73
	v_mul_f32_e32 v73, v128, v84
	v_fma_f32 v4, v123, v79, -v4
	s_delay_alu instid0(VALU_DEP_4) | instskip(SKIP_2) | instid1(VALU_DEP_4)
	v_fma_f32 v72, v125, v81, -v72
	v_add_f32_e32 v2, v2, v165
	v_dual_mul_f32 v170, v129, v86 :: v_dual_mul_f32 v171, v131, v88
	v_dual_add_f32 v4, v71, v4 :: v_dual_mul_f32 v71, v130, v86
	v_fma_f32 v73, v127, v83, -v73
	s_wait_loadcnt_dscnt 0x100
	v_dual_mul_f32 v184, v157, v114 :: v_dual_mul_f32 v185, v163, v160
	s_delay_alu instid0(VALU_DEP_3) | instskip(SKIP_3) | instid1(VALU_DEP_4)
	v_add_f32_e32 v4, v4, v72
	v_mul_f32_e32 v72, v132, v88
	v_fma_f32 v71, v129, v85, -v71
	v_dual_fmac_f32 v166, v122, v77 :: v_dual_fmac_f32 v171, v132, v87
	v_dual_add_f32 v4, v4, v73 :: v_dual_mul_f32 v73, v134, v90
	s_delay_alu instid0(VALU_DEP_4) | instskip(SKIP_1) | instid1(VALU_DEP_3)
	v_fma_f32 v72, v131, v87, -v72
	v_dual_fmac_f32 v185, v164, v159 :: v_dual_mul_f32 v174, v137, v94
	v_dual_mul_f32 v175, v139, v96 :: v_dual_add_f32 v4, v4, v71
	v_mul_f32_e32 v71, v136, v92
	v_fma_f32 v73, v133, v89, -v73
	v_add_f32_e32 v2, v2, v166
	s_delay_alu instid0(VALU_DEP_4) | instskip(SKIP_4) | instid1(VALU_DEP_4)
	v_dual_fmac_f32 v168, v126, v81 :: v_dual_fmac_f32 v175, v140, v95
	v_add_f32_e32 v4, v4, v72
	v_mul_f32_e32 v72, v138, v94
	v_fma_f32 v71, v135, v91, -v71
	v_dual_mul_f32 v176, v141, v98 :: v_dual_mul_f32 v177, v143, v100
	v_add_f32_e32 v4, v4, v73
	v_mul_f32_e32 v73, v140, v96
	v_fma_f32 v72, v137, v93, -v72
	v_add_f32_e32 v2, v2, v167
	v_dual_mul_f32 v178, v145, v102 :: v_dual_mul_f32 v179, v147, v104
	v_dual_add_f32 v4, v4, v71 :: v_dual_mul_f32 v71, v142, v98
	v_fma_f32 v73, v139, v95, -v73
	v_dual_fmac_f32 v177, v144, v99 :: v_dual_fmac_f32 v170, v130, v85
	s_delay_alu instid0(VALU_DEP_4) | instskip(NEXT) | instid1(VALU_DEP_4)
	v_fmac_f32_e32 v179, v148, v103
	v_add_f32_e32 v4, v4, v72
	v_mul_f32_e32 v72, v144, v100
	v_fma_f32 v71, v141, v97, -v71
	v_dual_mul_f32 v180, v149, v106 :: v_dual_mul_f32 v181, v151, v108
	s_delay_alu instid0(VALU_DEP_4) | instskip(NEXT) | instid1(VALU_DEP_4)
	v_dual_add_f32 v4, v4, v73 :: v_dual_mul_f32 v73, v146, v102
	v_fma_f32 v72, v143, v99, -v72
	v_dual_mul_f32 v182, v153, v110 :: v_dual_mul_f32 v183, v155, v112
	s_delay_alu instid0(VALU_DEP_3)
	v_add_f32_e32 v4, v4, v71
	v_mul_f32_e32 v71, v148, v104
	v_fma_f32 v73, v145, v101, -v73
	v_add_f32_e32 v2, v2, v168
	v_dual_fmac_f32 v172, v134, v89 :: v_dual_fmac_f32 v183, v156, v111
	v_add_f32_e32 v4, v4, v72
	v_mul_f32_e32 v72, v150, v106
	v_fma_f32 v71, v147, v103, -v71
	v_dual_add_f32 v2, v2, v169 :: v_dual_fmac_f32 v181, v152, v107
	s_delay_alu instid0(VALU_DEP_4) | instskip(SKIP_2) | instid1(VALU_DEP_4)
	v_add_f32_e32 v4, v4, v73
	v_mul_f32_e32 v73, v152, v108
	v_fma_f32 v72, v149, v105, -v72
	v_add_f32_e32 v2, v2, v170
	v_fmac_f32_e32 v176, v142, v97
	v_dual_add_f32 v4, v4, v71 :: v_dual_mul_f32 v71, v154, v110
	v_fma_f32 v73, v151, v107, -v73
	s_delay_alu instid0(VALU_DEP_4) | instskip(SKIP_1) | instid1(VALU_DEP_4)
	v_add_f32_e32 v2, v2, v171
	v_fmac_f32_e32 v178, v146, v101
	v_add_f32_e32 v4, v4, v72
	v_mul_f32_e32 v72, v156, v112
	v_fma_f32 v71, v153, v109, -v71
	v_fmac_f32_e32 v180, v150, v105
	v_fmac_f32_e32 v182, v154, v109
	v_dual_add_f32 v4, v4, v73 :: v_dual_mul_f32 v73, v158, v114
	v_fma_f32 v72, v155, v111, -v72
	v_fmac_f32_e32 v184, v158, v113
	s_delay_alu instid0(VALU_DEP_3) | instskip(SKIP_3) | instid1(VALU_DEP_4)
	v_add_f32_e32 v4, v4, v71
	v_mul_f32_e32 v71, v164, v160
	v_fma_f32 v73, v157, v113, -v73
	v_add_f32_e32 v2, v2, v172
	v_add_f32_e32 v4, v4, v72
	s_delay_alu instid0(VALU_DEP_4) | instskip(NEXT) | instid1(VALU_DEP_3)
	v_fma_f32 v71, v163, v159, -v71
	v_add_f32_e32 v2, v2, v173
	s_delay_alu instid0(VALU_DEP_3) | instskip(NEXT) | instid1(VALU_DEP_1)
	v_add_f32_e32 v4, v4, v73
	v_add_f32_e32 v4, v4, v71
	s_wait_loadcnt 0x0
	s_delay_alu instid0(VALU_DEP_1) | instskip(NEXT) | instid1(VALU_DEP_1)
	v_dual_fmac_f32 v174, v138, v93 :: v_dual_sub_f32 v71, v161, v4
	v_add_f32_e32 v2, v2, v174
	s_delay_alu instid0(VALU_DEP_1) | instskip(NEXT) | instid1(VALU_DEP_1)
	v_add_f32_e32 v2, v2, v175
	v_add_f32_e32 v2, v2, v176
	s_delay_alu instid0(VALU_DEP_1) | instskip(NEXT) | instid1(VALU_DEP_1)
	v_add_f32_e32 v2, v2, v177
	;; [unrolled: 3-line block ×6, first 2 shown]
	v_sub_f32_e32 v72, v162, v2
	scratch_store_b64 off, v[71:72], off offset:72
	v_cmpx_lt_u32_e32 8, v0
	s_cbranch_execz .LBB32_195
; %bb.194:
	scratch_load_b64 v[71:72], off, off offset:64
	v_mov_b32_e32 v2, v1
	scratch_store_b64 off, v[1:2], off offset:64
	s_wait_loadcnt 0x0
	ds_store_b64 v3, v[71:72]
.LBB32_195:
	s_wait_alu 0xfffe
	s_or_b32 exec_lo, exec_lo, s0
	s_wait_storecnt_dscnt 0x0
	s_barrier_signal -1
	s_barrier_wait -1
	global_inv scope:SCOPE_SE
	s_clause 0xc
	scratch_load_b128 v[71:74], off, off offset:72
	scratch_load_b128 v[75:78], off, off offset:88
	;; [unrolled: 1-line block ×12, first 2 shown]
	scratch_load_b64 v[167:168], off, off offset:64
	ds_load_2addr_b64 v[119:122], v1 offset0:43 offset1:44
	ds_load_2addr_b64 v[123:126], v1 offset0:45 offset1:46
	;; [unrolled: 1-line block ×12, first 2 shown]
	s_mov_b32 s0, exec_lo
	s_wait_loadcnt_dscnt 0xc0b
	v_dual_mul_f32 v1, v119, v72 :: v_dual_mul_f32 v2, v121, v74
	v_mul_f32_e32 v72, v120, v72
	v_mul_f32_e32 v74, v122, v74
	s_wait_loadcnt_dscnt 0xa09
	v_dual_mul_f32 v170, v127, v80 :: v_dual_mul_f32 v171, v129, v82
	v_dual_mul_f32 v4, v123, v76 :: v_dual_mul_f32 v169, v125, v78
	v_fmac_f32_e32 v1, v120, v71
	s_delay_alu instid0(VALU_DEP_3)
	v_fmac_f32_e32 v170, v128, v79
	s_wait_loadcnt_dscnt 0x908
	v_dual_mul_f32 v172, v131, v84 :: v_dual_mul_f32 v173, v133, v86
	s_wait_loadcnt_dscnt 0x100
	v_dual_mul_f32 v188, v163, v116 :: v_dual_mul_f32 v189, v165, v118
	v_fma_f32 v72, v119, v71, -v72
	v_mul_f32_e32 v71, v124, v76
	v_dual_add_f32 v1, 0, v1 :: v_dual_mul_f32 v174, v135, v88
	s_delay_alu instid0(VALU_DEP_3) | instskip(NEXT) | instid1(VALU_DEP_3)
	v_dual_mul_f32 v175, v137, v90 :: v_dual_add_f32 v72, 0, v72
	v_fma_f32 v71, v123, v75, -v71
	v_fmac_f32_e32 v2, v122, v73
	v_fma_f32 v73, v121, v73, -v74
	v_fmac_f32_e32 v169, v126, v77
	v_fmac_f32_e32 v171, v130, v81
	v_dual_fmac_f32 v173, v134, v85 :: v_dual_fmac_f32 v174, v136, v87
	s_delay_alu instid0(VALU_DEP_4) | instskip(SKIP_2) | instid1(VALU_DEP_3)
	v_add_f32_e32 v72, v72, v73
	v_dual_mul_f32 v176, v139, v92 :: v_dual_mul_f32 v177, v141, v94
	v_dual_mul_f32 v178, v143, v96 :: v_dual_mul_f32 v179, v145, v98
	v_add_f32_e32 v71, v72, v71
	v_dual_fmac_f32 v4, v124, v75 :: v_dual_add_f32 v1, v1, v2
	v_mul_f32_e32 v74, v126, v78
	v_mul_f32_e32 v2, v128, v80
	v_mul_f32_e32 v72, v132, v84
	s_delay_alu instid0(VALU_DEP_4) | instskip(NEXT) | instid1(VALU_DEP_4)
	v_dual_fmac_f32 v172, v132, v83 :: v_dual_add_f32 v1, v1, v4
	v_fma_f32 v73, v125, v77, -v74
	v_mul_f32_e32 v4, v130, v82
	v_fma_f32 v2, v127, v79, -v2
	v_fma_f32 v72, v131, v83, -v72
	v_add_f32_e32 v1, v1, v169
	v_add_f32_e32 v71, v71, v73
	v_fma_f32 v4, v129, v81, -v4
	v_dual_fmac_f32 v175, v138, v89 :: v_dual_fmac_f32 v176, v140, v91
	v_fmac_f32_e32 v177, v142, v93
	v_add_f32_e32 v1, v1, v170
	v_add_f32_e32 v2, v71, v2
	v_dual_mul_f32 v71, v134, v86 :: v_dual_fmac_f32 v178, v144, v95
	v_fmac_f32_e32 v179, v146, v97
	s_delay_alu instid0(VALU_DEP_4) | instskip(SKIP_1) | instid1(VALU_DEP_4)
	v_dual_add_f32 v1, v1, v171 :: v_dual_mul_f32 v180, v147, v100
	v_mul_f32_e32 v181, v149, v102
	v_fma_f32 v71, v133, v85, -v71
	v_dual_mul_f32 v182, v151, v104 :: v_dual_mul_f32 v183, v153, v106
	s_delay_alu instid0(VALU_DEP_4) | instskip(SKIP_2) | instid1(VALU_DEP_4)
	v_add_f32_e32 v1, v1, v172
	v_add_f32_e32 v2, v2, v4
	v_mul_f32_e32 v4, v136, v88
	v_dual_fmac_f32 v180, v148, v99 :: v_dual_fmac_f32 v183, v154, v105
	s_delay_alu instid0(VALU_DEP_3) | instskip(NEXT) | instid1(VALU_DEP_3)
	v_dual_add_f32 v1, v1, v173 :: v_dual_add_f32 v2, v2, v72
	v_fma_f32 v4, v135, v87, -v4
	v_mul_f32_e32 v72, v138, v90
	s_delay_alu instid0(VALU_DEP_3) | instskip(NEXT) | instid1(VALU_DEP_4)
	v_dual_fmac_f32 v182, v152, v103 :: v_dual_add_f32 v1, v1, v174
	v_dual_add_f32 v2, v2, v71 :: v_dual_mul_f32 v71, v140, v92
	s_delay_alu instid0(VALU_DEP_3) | instskip(SKIP_1) | instid1(VALU_DEP_3)
	v_fma_f32 v72, v137, v89, -v72
	v_dual_mul_f32 v184, v155, v108 :: v_dual_mul_f32 v185, v157, v110
	v_dual_add_f32 v2, v2, v4 :: v_dual_add_f32 v1, v1, v175
	v_mul_f32_e32 v4, v142, v94
	v_fma_f32 v71, v139, v91, -v71
	s_delay_alu instid0(VALU_DEP_4)
	v_dual_fmac_f32 v181, v150, v101 :: v_dual_fmac_f32 v184, v156, v107
	v_fmac_f32_e32 v185, v158, v109
	v_add_f32_e32 v1, v1, v176
	v_add_f32_e32 v2, v2, v72
	v_fma_f32 v4, v141, v93, -v4
	v_mul_f32_e32 v72, v144, v96
	v_dual_mul_f32 v186, v159, v112 :: v_dual_mul_f32 v187, v161, v114
	s_delay_alu instid0(VALU_DEP_4) | instskip(SKIP_1) | instid1(VALU_DEP_4)
	v_dual_add_f32 v1, v1, v177 :: v_dual_add_f32 v2, v2, v71
	v_mul_f32_e32 v71, v146, v98
	v_fma_f32 v72, v143, v95, -v72
	s_delay_alu instid0(VALU_DEP_4) | instskip(NEXT) | instid1(VALU_DEP_4)
	v_dual_fmac_f32 v186, v160, v111 :: v_dual_fmac_f32 v189, v166, v117
	v_dual_add_f32 v1, v1, v178 :: v_dual_add_f32 v2, v2, v4
	v_mul_f32_e32 v4, v148, v100
	v_fma_f32 v71, v145, v97, -v71
	v_fmac_f32_e32 v188, v164, v115
	s_delay_alu instid0(VALU_DEP_4) | instskip(SKIP_2) | instid1(VALU_DEP_3)
	v_add_f32_e32 v1, v1, v179
	v_fmac_f32_e32 v187, v162, v113
	v_fma_f32 v4, v147, v99, -v4
	v_add_f32_e32 v1, v1, v180
	v_add_f32_e32 v2, v2, v72
	s_delay_alu instid0(VALU_DEP_2) | instskip(NEXT) | instid1(VALU_DEP_2)
	v_dual_mul_f32 v72, v150, v102 :: v_dual_add_f32 v1, v1, v181
	v_dual_add_f32 v2, v2, v71 :: v_dual_mul_f32 v71, v152, v104
	s_delay_alu instid0(VALU_DEP_2) | instskip(NEXT) | instid1(VALU_DEP_2)
	v_fma_f32 v72, v149, v101, -v72
	v_dual_add_f32 v1, v1, v182 :: v_dual_add_f32 v2, v2, v4
	v_mul_f32_e32 v4, v154, v106
	s_delay_alu instid0(VALU_DEP_4) | instskip(NEXT) | instid1(VALU_DEP_3)
	v_fma_f32 v71, v151, v103, -v71
	v_add_f32_e32 v1, v1, v183
	s_delay_alu instid0(VALU_DEP_3) | instskip(NEXT) | instid1(VALU_DEP_2)
	v_fma_f32 v4, v153, v105, -v4
	v_add_f32_e32 v1, v1, v184
	v_add_f32_e32 v2, v2, v72
	s_delay_alu instid0(VALU_DEP_2) | instskip(NEXT) | instid1(VALU_DEP_2)
	v_dual_mul_f32 v72, v156, v108 :: v_dual_add_f32 v1, v1, v185
	v_add_f32_e32 v2, v2, v71
	v_mul_f32_e32 v71, v158, v110
	s_delay_alu instid0(VALU_DEP_3) | instskip(NEXT) | instid1(VALU_DEP_3)
	v_fma_f32 v72, v155, v107, -v72
	v_dual_add_f32 v1, v1, v186 :: v_dual_add_f32 v2, v2, v4
	v_mul_f32_e32 v4, v160, v112
	s_delay_alu instid0(VALU_DEP_4) | instskip(NEXT) | instid1(VALU_DEP_3)
	v_fma_f32 v71, v157, v109, -v71
	v_dual_add_f32 v1, v1, v187 :: v_dual_add_f32 v2, v2, v72
	v_mul_f32_e32 v72, v162, v114
	s_delay_alu instid0(VALU_DEP_4) | instskip(NEXT) | instid1(VALU_DEP_3)
	;; [unrolled: 4-line block ×3, first 2 shown]
	v_fma_f32 v72, v161, v113, -v72
	v_add_f32_e32 v2, v2, v4
	v_mul_f32_e32 v4, v166, v118
	s_delay_alu instid0(VALU_DEP_4) | instskip(NEXT) | instid1(VALU_DEP_3)
	v_fma_f32 v71, v163, v115, -v71
	v_add_f32_e32 v2, v2, v72
	s_delay_alu instid0(VALU_DEP_3) | instskip(NEXT) | instid1(VALU_DEP_2)
	v_fma_f32 v4, v165, v117, -v4
	v_add_f32_e32 v2, v2, v71
	s_delay_alu instid0(VALU_DEP_1) | instskip(SKIP_1) | instid1(VALU_DEP_1)
	v_add_f32_e32 v2, v2, v4
	s_wait_loadcnt 0x0
	v_dual_add_f32 v4, v1, v189 :: v_dual_sub_f32 v1, v167, v2
	s_delay_alu instid0(VALU_DEP_1)
	v_sub_f32_e32 v2, v168, v4
	scratch_store_b64 off, v[1:2], off offset:64
	v_cmpx_lt_u32_e32 7, v0
	s_cbranch_execz .LBB32_197
; %bb.196:
	scratch_load_b64 v[1:2], off, off offset:56
	v_mov_b32_e32 v71, 0
	s_delay_alu instid0(VALU_DEP_1)
	v_mov_b32_e32 v72, v71
	scratch_store_b64 off, v[71:72], off offset:56
	s_wait_loadcnt 0x0
	ds_store_b64 v3, v[1:2]
.LBB32_197:
	s_wait_alu 0xfffe
	s_or_b32 exec_lo, exec_lo, s0
	s_wait_storecnt_dscnt 0x0
	s_barrier_signal -1
	s_barrier_wait -1
	global_inv scope:SCOPE_SE
	s_clause 0xd
	scratch_load_b128 v[71:74], off, off offset:64
	scratch_load_b128 v[75:78], off, off offset:80
	;; [unrolled: 1-line block ×12, first 2 shown]
	scratch_load_b64 v[167:168], off, off offset:256
	scratch_load_b64 v[169:170], off, off offset:56
	v_mov_b32_e32 v1, 0
	ds_load_b128 v[119:122], v1 offset:336
	ds_load_b128 v[123:126], v1 offset:352
	;; [unrolled: 1-line block ×12, first 2 shown]
	ds_load_b64 v[171:172], v1 offset:528
	s_mov_b32 s0, exec_lo
	s_wait_loadcnt_dscnt 0xd0c
	v_mul_f32_e32 v2, v119, v72
	v_mul_f32_e32 v72, v120, v72
	s_wait_loadcnt_dscnt 0xc0b
	v_dual_mul_f32 v4, v121, v74 :: v_dual_mul_f32 v173, v123, v76
	v_mul_f32_e32 v74, v122, v74
	s_wait_loadcnt_dscnt 0xb0a
	v_dual_mul_f32 v174, v125, v78 :: v_dual_mul_f32 v175, v127, v80
	v_fma_f32 v72, v119, v71, -v72
	v_fmac_f32_e32 v2, v120, v71
	v_dual_mul_f32 v71, v124, v76 :: v_dual_fmac_f32 v4, v122, v73
	v_fmac_f32_e32 v173, v124, v75
	v_fma_f32 v73, v121, v73, -v74
	v_dual_add_f32 v72, 0, v72 :: v_dual_fmac_f32 v175, v128, v79
	v_mul_f32_e32 v74, v126, v78
	v_fma_f32 v71, v123, v75, -v71
	s_wait_loadcnt_dscnt 0xa09
	v_dual_mul_f32 v176, v129, v82 :: v_dual_mul_f32 v177, v131, v84
	v_add_f32_e32 v72, v72, v73
	v_add_f32_e32 v2, 0, v2
	v_fma_f32 v73, v125, v77, -v74
	s_wait_loadcnt_dscnt 0x807
	v_dual_mul_f32 v180, v137, v90 :: v_dual_mul_f32 v181, v139, v92
	s_delay_alu instid0(VALU_DEP_3) | instskip(SKIP_2) | instid1(VALU_DEP_4)
	v_dual_add_f32 v71, v72, v71 :: v_dual_add_f32 v2, v2, v4
	v_fmac_f32_e32 v177, v132, v83
	v_mul_f32_e32 v4, v128, v80
	v_dual_mul_f32 v72, v130, v82 :: v_dual_fmac_f32 v181, v140, v91
	s_delay_alu instid0(VALU_DEP_4) | instskip(SKIP_1) | instid1(VALU_DEP_4)
	v_add_f32_e32 v71, v71, v73
	v_mul_f32_e32 v73, v132, v84
	v_fma_f32 v4, v127, v79, -v4
	s_delay_alu instid0(VALU_DEP_4) | instskip(SKIP_2) | instid1(VALU_DEP_4)
	v_fma_f32 v72, v129, v81, -v72
	v_add_f32_e32 v2, v2, v173
	v_dual_mul_f32 v178, v133, v86 :: v_dual_mul_f32 v179, v135, v88
	v_dual_add_f32 v4, v71, v4 :: v_dual_mul_f32 v71, v134, v86
	v_fma_f32 v73, v131, v83, -v73
	s_wait_loadcnt_dscnt 0x201
	v_dual_mul_f32 v192, v161, v114 :: v_dual_mul_f32 v193, v163, v116
	s_delay_alu instid0(VALU_DEP_3) | instskip(SKIP_3) | instid1(VALU_DEP_4)
	v_add_f32_e32 v4, v4, v72
	v_mul_f32_e32 v72, v136, v88
	v_fma_f32 v71, v133, v85, -v71
	v_dual_fmac_f32 v174, v126, v77 :: v_dual_fmac_f32 v179, v136, v87
	v_dual_add_f32 v4, v4, v73 :: v_dual_mul_f32 v73, v138, v90
	s_delay_alu instid0(VALU_DEP_4) | instskip(SKIP_1) | instid1(VALU_DEP_3)
	v_fma_f32 v72, v135, v87, -v72
	v_dual_fmac_f32 v193, v164, v115 :: v_dual_mul_f32 v182, v141, v94
	v_dual_mul_f32 v183, v143, v96 :: v_dual_add_f32 v4, v4, v71
	v_mul_f32_e32 v71, v140, v92
	v_fma_f32 v73, v137, v89, -v73
	v_add_f32_e32 v2, v2, v174
	s_delay_alu instid0(VALU_DEP_4) | instskip(SKIP_4) | instid1(VALU_DEP_4)
	v_dual_fmac_f32 v176, v130, v81 :: v_dual_fmac_f32 v183, v144, v95
	v_add_f32_e32 v4, v4, v72
	v_mul_f32_e32 v72, v142, v94
	v_fma_f32 v71, v139, v91, -v71
	v_dual_mul_f32 v184, v145, v98 :: v_dual_mul_f32 v185, v147, v100
	v_add_f32_e32 v4, v4, v73
	v_mul_f32_e32 v73, v144, v96
	v_fma_f32 v72, v141, v93, -v72
	v_add_f32_e32 v2, v2, v175
	v_dual_mul_f32 v186, v149, v102 :: v_dual_mul_f32 v187, v151, v104
	v_dual_add_f32 v4, v4, v71 :: v_dual_mul_f32 v71, v146, v98
	v_fma_f32 v73, v143, v95, -v73
	v_dual_fmac_f32 v185, v148, v99 :: v_dual_fmac_f32 v178, v134, v85
	s_delay_alu instid0(VALU_DEP_4) | instskip(NEXT) | instid1(VALU_DEP_4)
	v_fmac_f32_e32 v187, v152, v103
	v_add_f32_e32 v4, v4, v72
	v_mul_f32_e32 v72, v148, v100
	v_fma_f32 v71, v145, v97, -v71
	v_dual_mul_f32 v188, v153, v106 :: v_dual_mul_f32 v189, v155, v108
	s_delay_alu instid0(VALU_DEP_4) | instskip(NEXT) | instid1(VALU_DEP_4)
	v_dual_add_f32 v4, v4, v73 :: v_dual_mul_f32 v73, v150, v102
	v_fma_f32 v72, v147, v99, -v72
	v_dual_mul_f32 v190, v157, v110 :: v_dual_mul_f32 v191, v159, v112
	s_delay_alu instid0(VALU_DEP_3) | instskip(SKIP_3) | instid1(VALU_DEP_4)
	v_add_f32_e32 v4, v4, v71
	v_mul_f32_e32 v71, v152, v104
	v_fma_f32 v73, v149, v101, -v73
	v_dual_add_f32 v2, v2, v176 :: v_dual_fmac_f32 v189, v156, v107
	v_add_f32_e32 v4, v4, v72
	v_mul_f32_e32 v72, v154, v106
	v_fma_f32 v71, v151, v103, -v71
	s_delay_alu instid0(VALU_DEP_4)
	v_add_f32_e32 v2, v2, v177
	v_dual_fmac_f32 v180, v138, v89 :: v_dual_fmac_f32 v191, v160, v111
	v_add_f32_e32 v4, v4, v73
	v_mul_f32_e32 v73, v156, v108
	v_fma_f32 v72, v153, v105, -v72
	v_add_f32_e32 v2, v2, v178
	v_fmac_f32_e32 v182, v142, v93
	v_dual_add_f32 v4, v4, v71 :: v_dual_mul_f32 v71, v158, v110
	v_fma_f32 v73, v155, v107, -v73
	s_delay_alu instid0(VALU_DEP_4)
	v_add_f32_e32 v2, v2, v179
	s_wait_loadcnt_dscnt 0x100
	v_dual_mul_f32 v194, v165, v118 :: v_dual_mul_f32 v195, v171, v168
	v_add_f32_e32 v4, v4, v72
	v_mul_f32_e32 v72, v160, v112
	v_fma_f32 v71, v157, v109, -v71
	s_delay_alu instid0(VALU_DEP_4) | instskip(NEXT) | instid1(VALU_DEP_4)
	v_dual_fmac_f32 v184, v146, v97 :: v_dual_fmac_f32 v195, v172, v167
	v_dual_add_f32 v4, v4, v73 :: v_dual_mul_f32 v73, v162, v114
	s_delay_alu instid0(VALU_DEP_4) | instskip(SKIP_2) | instid1(VALU_DEP_4)
	v_fma_f32 v72, v159, v111, -v72
	v_fmac_f32_e32 v186, v150, v101
	v_fmac_f32_e32 v188, v154, v105
	v_add_f32_e32 v4, v4, v71
	v_mul_f32_e32 v71, v164, v116
	v_fma_f32 v73, v161, v113, -v73
	v_add_f32_e32 v2, v2, v180
	v_fmac_f32_e32 v190, v158, v109
	v_add_f32_e32 v4, v4, v72
	v_mul_f32_e32 v72, v166, v118
	v_fma_f32 v71, v163, v115, -v71
	v_fmac_f32_e32 v192, v162, v113
	v_fmac_f32_e32 v194, v166, v117
	v_add_f32_e32 v4, v4, v73
	v_mul_f32_e32 v73, v172, v168
	v_fma_f32 v72, v165, v117, -v72
	s_delay_alu instid0(VALU_DEP_3) | instskip(NEXT) | instid1(VALU_DEP_3)
	v_add_f32_e32 v4, v4, v71
	v_fma_f32 v71, v171, v167, -v73
	s_delay_alu instid0(VALU_DEP_2) | instskip(NEXT) | instid1(VALU_DEP_1)
	v_add_f32_e32 v4, v4, v72
	v_add_f32_e32 v4, v4, v71
	s_wait_loadcnt 0x0
	s_delay_alu instid0(VALU_DEP_1) | instskip(NEXT) | instid1(VALU_DEP_1)
	v_dual_add_f32 v2, v2, v181 :: v_dual_sub_f32 v71, v169, v4
	v_add_f32_e32 v2, v2, v182
	s_delay_alu instid0(VALU_DEP_1) | instskip(NEXT) | instid1(VALU_DEP_1)
	v_add_f32_e32 v2, v2, v183
	v_add_f32_e32 v2, v2, v184
	s_delay_alu instid0(VALU_DEP_1) | instskip(NEXT) | instid1(VALU_DEP_1)
	v_add_f32_e32 v2, v2, v185
	;; [unrolled: 3-line block ×7, first 2 shown]
	v_sub_f32_e32 v72, v170, v2
	scratch_store_b64 off, v[71:72], off offset:56
	v_cmpx_lt_u32_e32 6, v0
	s_cbranch_execz .LBB32_199
; %bb.198:
	scratch_load_b64 v[71:72], off, off offset:48
	v_mov_b32_e32 v2, v1
	scratch_store_b64 off, v[1:2], off offset:48
	s_wait_loadcnt 0x0
	ds_store_b64 v3, v[71:72]
.LBB32_199:
	s_wait_alu 0xfffe
	s_or_b32 exec_lo, exec_lo, s0
	s_wait_storecnt_dscnt 0x0
	s_barrier_signal -1
	s_barrier_wait -1
	global_inv scope:SCOPE_SE
	s_clause 0xd
	scratch_load_b128 v[71:74], off, off offset:56
	scratch_load_b128 v[75:78], off, off offset:72
	;; [unrolled: 1-line block ×13, first 2 shown]
	scratch_load_b64 v[175:176], off, off offset:48
	ds_load_2addr_b64 v[123:126], v1 offset0:41 offset1:42
	ds_load_2addr_b64 v[127:130], v1 offset0:43 offset1:44
	;; [unrolled: 1-line block ×13, first 2 shown]
	s_mov_b32 s0, exec_lo
	s_wait_loadcnt_dscnt 0xd0c
	v_dual_mul_f32 v1, v123, v72 :: v_dual_mul_f32 v2, v125, v74
	v_mul_f32_e32 v72, v124, v72
	v_mul_f32_e32 v74, v126, v74
	s_wait_loadcnt_dscnt 0xb0a
	v_dual_mul_f32 v178, v131, v80 :: v_dual_mul_f32 v179, v133, v82
	v_dual_mul_f32 v4, v127, v76 :: v_dual_mul_f32 v177, v129, v78
	v_fmac_f32_e32 v1, v124, v71
	s_delay_alu instid0(VALU_DEP_3)
	v_fmac_f32_e32 v178, v132, v79
	s_wait_loadcnt_dscnt 0xa09
	v_dual_mul_f32 v180, v135, v84 :: v_dual_mul_f32 v181, v137, v86
	s_wait_loadcnt_dscnt 0x100
	v_dual_mul_f32 v198, v171, v120 :: v_dual_mul_f32 v199, v173, v122
	v_fma_f32 v72, v123, v71, -v72
	v_mul_f32_e32 v71, v128, v76
	v_dual_add_f32 v1, 0, v1 :: v_dual_mul_f32 v182, v139, v88
	s_delay_alu instid0(VALU_DEP_3) | instskip(NEXT) | instid1(VALU_DEP_3)
	v_dual_mul_f32 v183, v141, v90 :: v_dual_add_f32 v72, 0, v72
	v_fma_f32 v71, v127, v75, -v71
	v_fmac_f32_e32 v2, v126, v73
	v_fma_f32 v73, v125, v73, -v74
	v_fmac_f32_e32 v177, v130, v77
	v_fmac_f32_e32 v179, v134, v81
	v_dual_fmac_f32 v181, v138, v85 :: v_dual_fmac_f32 v182, v140, v87
	s_delay_alu instid0(VALU_DEP_4) | instskip(SKIP_2) | instid1(VALU_DEP_3)
	v_add_f32_e32 v72, v72, v73
	v_dual_mul_f32 v184, v143, v92 :: v_dual_mul_f32 v185, v145, v94
	v_dual_mul_f32 v186, v147, v96 :: v_dual_mul_f32 v187, v149, v98
	v_add_f32_e32 v71, v72, v71
	v_dual_fmac_f32 v4, v128, v75 :: v_dual_add_f32 v1, v1, v2
	v_mul_f32_e32 v74, v130, v78
	v_mul_f32_e32 v2, v132, v80
	;; [unrolled: 1-line block ×3, first 2 shown]
	s_delay_alu instid0(VALU_DEP_4) | instskip(NEXT) | instid1(VALU_DEP_4)
	v_dual_fmac_f32 v180, v136, v83 :: v_dual_add_f32 v1, v1, v4
	v_fma_f32 v73, v129, v77, -v74
	v_mul_f32_e32 v4, v134, v82
	v_fma_f32 v2, v131, v79, -v2
	v_fma_f32 v72, v135, v83, -v72
	v_add_f32_e32 v1, v1, v177
	v_add_f32_e32 v71, v71, v73
	v_fma_f32 v4, v133, v81, -v4
	v_dual_fmac_f32 v184, v144, v91 :: v_dual_fmac_f32 v185, v146, v93
	s_delay_alu instid0(VALU_DEP_4) | instskip(NEXT) | instid1(VALU_DEP_4)
	v_add_f32_e32 v1, v1, v178
	v_add_f32_e32 v2, v71, v2
	v_mul_f32_e32 v71, v138, v86
	v_dual_fmac_f32 v183, v142, v89 :: v_dual_fmac_f32 v186, v148, v95
	v_fmac_f32_e32 v187, v150, v97
	v_add_f32_e32 v1, v1, v179
	s_delay_alu instid0(VALU_DEP_4) | instskip(SKIP_2) | instid1(VALU_DEP_4)
	v_fma_f32 v71, v137, v85, -v71
	v_dual_mul_f32 v188, v151, v100 :: v_dual_mul_f32 v189, v153, v102
	v_dual_mul_f32 v190, v155, v104 :: v_dual_mul_f32 v191, v157, v106
	v_add_f32_e32 v1, v1, v180
	v_add_f32_e32 v2, v2, v4
	v_mul_f32_e32 v4, v140, v88
	s_delay_alu instid0(VALU_DEP_4) | instskip(NEXT) | instid1(VALU_DEP_3)
	v_dual_fmac_f32 v188, v152, v99 :: v_dual_fmac_f32 v191, v158, v105
	v_dual_add_f32 v1, v1, v181 :: v_dual_add_f32 v2, v2, v72
	s_delay_alu instid0(VALU_DEP_3) | instskip(SKIP_1) | instid1(VALU_DEP_3)
	v_fma_f32 v4, v139, v87, -v4
	v_mul_f32_e32 v72, v142, v90
	v_dual_fmac_f32 v190, v156, v103 :: v_dual_add_f32 v1, v1, v182
	s_delay_alu instid0(VALU_DEP_4) | instskip(NEXT) | instid1(VALU_DEP_3)
	v_dual_add_f32 v2, v2, v71 :: v_dual_mul_f32 v71, v144, v92
	v_fma_f32 v72, v141, v89, -v72
	v_dual_mul_f32 v192, v159, v108 :: v_dual_mul_f32 v193, v161, v110
	s_delay_alu instid0(VALU_DEP_3) | instskip(SKIP_2) | instid1(VALU_DEP_4)
	v_dual_add_f32 v2, v2, v4 :: v_dual_add_f32 v1, v1, v183
	v_mul_f32_e32 v4, v146, v94
	v_fma_f32 v71, v143, v91, -v71
	v_dual_fmac_f32 v189, v154, v101 :: v_dual_fmac_f32 v192, v160, v107
	v_fmac_f32_e32 v193, v162, v109
	v_add_f32_e32 v1, v1, v184
	v_add_f32_e32 v2, v2, v72
	v_fma_f32 v4, v145, v93, -v4
	v_mul_f32_e32 v72, v148, v96
	v_dual_mul_f32 v194, v163, v112 :: v_dual_mul_f32 v195, v165, v114
	s_delay_alu instid0(VALU_DEP_4) | instskip(SKIP_1) | instid1(VALU_DEP_4)
	v_dual_add_f32 v1, v1, v185 :: v_dual_add_f32 v2, v2, v71
	v_mul_f32_e32 v71, v150, v98
	v_fma_f32 v72, v147, v95, -v72
	v_dual_mul_f32 v196, v167, v116 :: v_dual_mul_f32 v197, v169, v118
	s_delay_alu instid0(VALU_DEP_4) | instskip(SKIP_2) | instid1(VALU_DEP_4)
	v_dual_add_f32 v1, v1, v186 :: v_dual_add_f32 v2, v2, v4
	v_mul_f32_e32 v4, v152, v100
	v_fma_f32 v71, v149, v97, -v71
	v_dual_fmac_f32 v194, v164, v111 :: v_dual_fmac_f32 v197, v170, v117
	s_delay_alu instid0(VALU_DEP_4) | instskip(NEXT) | instid1(VALU_DEP_4)
	v_add_f32_e32 v1, v1, v187
	v_fma_f32 v4, v151, v99, -v4
	v_dual_fmac_f32 v196, v168, v115 :: v_dual_fmac_f32 v195, v166, v113
	s_delay_alu instid0(VALU_DEP_3) | instskip(SKIP_3) | instid1(VALU_DEP_3)
	v_dual_fmac_f32 v198, v172, v119 :: v_dual_add_f32 v1, v1, v188
	v_add_f32_e32 v2, v2, v72
	v_mul_f32_e32 v72, v154, v102
	v_fmac_f32_e32 v199, v174, v121
	v_dual_add_f32 v1, v1, v189 :: v_dual_add_f32 v2, v2, v71
	v_mul_f32_e32 v71, v156, v104
	s_delay_alu instid0(VALU_DEP_4) | instskip(NEXT) | instid1(VALU_DEP_3)
	v_fma_f32 v72, v153, v101, -v72
	v_dual_add_f32 v1, v1, v190 :: v_dual_add_f32 v2, v2, v4
	v_mul_f32_e32 v4, v158, v106
	s_delay_alu instid0(VALU_DEP_4) | instskip(NEXT) | instid1(VALU_DEP_3)
	v_fma_f32 v71, v155, v103, -v71
	v_add_f32_e32 v1, v1, v191
	s_delay_alu instid0(VALU_DEP_3) | instskip(NEXT) | instid1(VALU_DEP_2)
	v_fma_f32 v4, v157, v105, -v4
	v_add_f32_e32 v1, v1, v192
	v_add_f32_e32 v2, v2, v72
	s_delay_alu instid0(VALU_DEP_2) | instskip(NEXT) | instid1(VALU_DEP_2)
	v_dual_mul_f32 v72, v160, v108 :: v_dual_add_f32 v1, v1, v193
	v_add_f32_e32 v2, v2, v71
	v_mul_f32_e32 v71, v162, v110
	s_delay_alu instid0(VALU_DEP_3) | instskip(NEXT) | instid1(VALU_DEP_3)
	v_fma_f32 v72, v159, v107, -v72
	v_dual_add_f32 v1, v1, v194 :: v_dual_add_f32 v2, v2, v4
	v_mul_f32_e32 v4, v164, v112
	s_delay_alu instid0(VALU_DEP_4) | instskip(NEXT) | instid1(VALU_DEP_3)
	v_fma_f32 v71, v161, v109, -v71
	v_add_f32_e32 v1, v1, v195
	s_delay_alu instid0(VALU_DEP_3) | instskip(NEXT) | instid1(VALU_DEP_2)
	v_fma_f32 v4, v163, v111, -v4
	v_add_f32_e32 v1, v1, v196
	v_add_f32_e32 v2, v2, v72
	s_delay_alu instid0(VALU_DEP_2) | instskip(NEXT) | instid1(VALU_DEP_2)
	v_dual_mul_f32 v72, v166, v114 :: v_dual_add_f32 v1, v1, v197
	v_dual_add_f32 v2, v2, v71 :: v_dual_mul_f32 v71, v168, v116
	s_delay_alu instid0(VALU_DEP_2) | instskip(NEXT) | instid1(VALU_DEP_2)
	v_fma_f32 v72, v165, v113, -v72
	v_dual_add_f32 v1, v1, v198 :: v_dual_add_f32 v2, v2, v4
	v_mul_f32_e32 v4, v170, v118
	s_delay_alu instid0(VALU_DEP_4) | instskip(NEXT) | instid1(VALU_DEP_3)
	v_fma_f32 v71, v167, v115, -v71
	v_add_f32_e32 v2, v2, v72
	v_mul_f32_e32 v72, v172, v120
	s_delay_alu instid0(VALU_DEP_4) | instskip(NEXT) | instid1(VALU_DEP_3)
	v_fma_f32 v4, v169, v117, -v4
	v_add_f32_e32 v2, v2, v71
	;; [unrolled: 4-line block ×3, first 2 shown]
	s_delay_alu instid0(VALU_DEP_3) | instskip(NEXT) | instid1(VALU_DEP_2)
	v_fma_f32 v4, v173, v121, -v71
	v_add_f32_e32 v2, v2, v72
	s_delay_alu instid0(VALU_DEP_1) | instskip(SKIP_1) | instid1(VALU_DEP_1)
	v_add_f32_e32 v2, v2, v4
	s_wait_loadcnt 0x0
	v_dual_add_f32 v4, v1, v199 :: v_dual_sub_f32 v1, v175, v2
	s_delay_alu instid0(VALU_DEP_1)
	v_sub_f32_e32 v2, v176, v4
	scratch_store_b64 off, v[1:2], off offset:48
	v_cmpx_lt_u32_e32 5, v0
	s_cbranch_execz .LBB32_201
; %bb.200:
	scratch_load_b64 v[1:2], off, off offset:40
	v_mov_b32_e32 v71, 0
	s_delay_alu instid0(VALU_DEP_1)
	v_mov_b32_e32 v72, v71
	scratch_store_b64 off, v[71:72], off offset:40
	s_wait_loadcnt 0x0
	ds_store_b64 v3, v[1:2]
.LBB32_201:
	s_wait_alu 0xfffe
	s_or_b32 exec_lo, exec_lo, s0
	s_wait_storecnt_dscnt 0x0
	s_barrier_signal -1
	s_barrier_wait -1
	global_inv scope:SCOPE_SE
	s_clause 0xe
	scratch_load_b128 v[71:74], off, off offset:48
	scratch_load_b128 v[75:78], off, off offset:64
	;; [unrolled: 1-line block ×13, first 2 shown]
	scratch_load_b64 v[175:176], off, off offset:256
	scratch_load_b64 v[177:178], off, off offset:40
	v_mov_b32_e32 v1, 0
	ds_load_b128 v[123:126], v1 offset:320
	ds_load_b128 v[127:130], v1 offset:336
	;; [unrolled: 1-line block ×13, first 2 shown]
	ds_load_b64 v[179:180], v1 offset:528
	s_mov_b32 s0, exec_lo
	s_wait_loadcnt_dscnt 0xe0d
	v_mul_f32_e32 v2, v123, v72
	v_mul_f32_e32 v72, v124, v72
	s_wait_loadcnt_dscnt 0xd0c
	v_dual_mul_f32 v4, v125, v74 :: v_dual_mul_f32 v181, v127, v76
	v_mul_f32_e32 v74, v126, v74
	s_wait_loadcnt_dscnt 0xc0b
	v_dual_mul_f32 v182, v129, v78 :: v_dual_mul_f32 v183, v131, v80
	v_fma_f32 v72, v123, v71, -v72
	v_fmac_f32_e32 v2, v124, v71
	v_dual_mul_f32 v71, v128, v76 :: v_dual_fmac_f32 v4, v126, v73
	v_fmac_f32_e32 v181, v128, v75
	v_fma_f32 v73, v125, v73, -v74
	v_dual_add_f32 v72, 0, v72 :: v_dual_fmac_f32 v183, v132, v79
	v_mul_f32_e32 v74, v130, v78
	v_fma_f32 v71, v127, v75, -v71
	s_wait_loadcnt_dscnt 0xb0a
	v_dual_mul_f32 v184, v133, v82 :: v_dual_mul_f32 v185, v135, v84
	v_add_f32_e32 v72, v72, v73
	v_add_f32_e32 v2, 0, v2
	v_fma_f32 v73, v129, v77, -v74
	s_wait_loadcnt_dscnt 0x908
	v_dual_mul_f32 v188, v141, v90 :: v_dual_mul_f32 v189, v143, v92
	s_delay_alu instid0(VALU_DEP_3) | instskip(SKIP_2) | instid1(VALU_DEP_4)
	v_dual_add_f32 v71, v72, v71 :: v_dual_add_f32 v2, v2, v4
	v_fmac_f32_e32 v185, v136, v83
	v_mul_f32_e32 v4, v132, v80
	v_dual_mul_f32 v72, v134, v82 :: v_dual_fmac_f32 v189, v144, v91
	s_delay_alu instid0(VALU_DEP_4) | instskip(SKIP_1) | instid1(VALU_DEP_4)
	v_add_f32_e32 v71, v71, v73
	v_mul_f32_e32 v73, v136, v84
	v_fma_f32 v4, v131, v79, -v4
	s_delay_alu instid0(VALU_DEP_4) | instskip(SKIP_2) | instid1(VALU_DEP_4)
	v_fma_f32 v72, v133, v81, -v72
	v_add_f32_e32 v2, v2, v181
	v_dual_mul_f32 v186, v137, v86 :: v_dual_mul_f32 v187, v139, v88
	v_dual_add_f32 v4, v71, v4 :: v_dual_mul_f32 v71, v138, v86
	v_fma_f32 v73, v135, v83, -v73
	s_wait_loadcnt_dscnt 0x302
	v_dual_mul_f32 v200, v165, v114 :: v_dual_mul_f32 v201, v167, v116
	s_delay_alu instid0(VALU_DEP_3) | instskip(SKIP_3) | instid1(VALU_DEP_4)
	v_add_f32_e32 v4, v4, v72
	v_mul_f32_e32 v72, v140, v88
	v_fma_f32 v71, v137, v85, -v71
	v_dual_fmac_f32 v182, v130, v77 :: v_dual_fmac_f32 v187, v140, v87
	v_dual_add_f32 v4, v4, v73 :: v_dual_mul_f32 v73, v142, v90
	s_delay_alu instid0(VALU_DEP_4) | instskip(SKIP_1) | instid1(VALU_DEP_3)
	v_fma_f32 v72, v139, v87, -v72
	v_dual_fmac_f32 v201, v168, v115 :: v_dual_mul_f32 v190, v145, v94
	v_dual_mul_f32 v191, v147, v96 :: v_dual_add_f32 v4, v4, v71
	v_mul_f32_e32 v71, v144, v92
	v_fma_f32 v73, v141, v89, -v73
	v_add_f32_e32 v2, v2, v182
	s_delay_alu instid0(VALU_DEP_4) | instskip(SKIP_4) | instid1(VALU_DEP_4)
	v_dual_fmac_f32 v184, v134, v81 :: v_dual_fmac_f32 v191, v148, v95
	v_add_f32_e32 v4, v4, v72
	v_mul_f32_e32 v72, v146, v94
	v_fma_f32 v71, v143, v91, -v71
	v_dual_mul_f32 v192, v149, v98 :: v_dual_mul_f32 v193, v151, v100
	v_add_f32_e32 v4, v4, v73
	v_mul_f32_e32 v73, v148, v96
	v_fma_f32 v72, v145, v93, -v72
	v_add_f32_e32 v2, v2, v183
	v_dual_mul_f32 v194, v153, v102 :: v_dual_mul_f32 v195, v155, v104
	v_dual_add_f32 v4, v4, v71 :: v_dual_mul_f32 v71, v150, v98
	v_fma_f32 v73, v147, v95, -v73
	v_dual_fmac_f32 v193, v152, v99 :: v_dual_fmac_f32 v186, v138, v85
	s_delay_alu instid0(VALU_DEP_4) | instskip(NEXT) | instid1(VALU_DEP_4)
	v_fmac_f32_e32 v195, v156, v103
	v_add_f32_e32 v4, v4, v72
	v_mul_f32_e32 v72, v152, v100
	v_fma_f32 v71, v149, v97, -v71
	v_dual_mul_f32 v196, v157, v106 :: v_dual_mul_f32 v197, v159, v108
	s_delay_alu instid0(VALU_DEP_4) | instskip(NEXT) | instid1(VALU_DEP_4)
	v_dual_add_f32 v4, v4, v73 :: v_dual_mul_f32 v73, v154, v102
	v_fma_f32 v72, v151, v99, -v72
	s_delay_alu instid0(VALU_DEP_3) | instskip(NEXT) | instid1(VALU_DEP_3)
	v_dual_fmac_f32 v190, v146, v93 :: v_dual_fmac_f32 v197, v160, v107
	v_add_f32_e32 v4, v4, v71
	v_mul_f32_e32 v71, v156, v104
	v_fma_f32 v73, v153, v101, -v73
	v_add_f32_e32 v2, v2, v184
	v_dual_mul_f32 v198, v161, v110 :: v_dual_mul_f32 v199, v163, v112
	v_add_f32_e32 v4, v4, v72
	v_mul_f32_e32 v72, v158, v106
	v_fma_f32 v71, v155, v103, -v71
	v_add_f32_e32 v2, v2, v185
	v_dual_fmac_f32 v188, v142, v89 :: v_dual_fmac_f32 v199, v164, v111
	v_add_f32_e32 v4, v4, v73
	v_mul_f32_e32 v73, v160, v108
	v_fma_f32 v72, v157, v105, -v72
	v_add_f32_e32 v2, v2, v186
	s_wait_loadcnt_dscnt 0x201
	v_dual_mul_f32 v202, v169, v118 :: v_dual_mul_f32 v203, v171, v120
	v_dual_add_f32 v4, v4, v71 :: v_dual_mul_f32 v71, v162, v110
	v_fma_f32 v73, v159, v107, -v73
	v_add_f32_e32 v2, v2, v187
	s_wait_loadcnt_dscnt 0x100
	v_dual_mul_f32 v204, v173, v122 :: v_dual_mul_f32 v205, v179, v176
	v_add_f32_e32 v4, v4, v72
	v_mul_f32_e32 v72, v164, v112
	v_fma_f32 v71, v161, v109, -v71
	v_fmac_f32_e32 v203, v172, v119
	v_fmac_f32_e32 v205, v180, v175
	v_dual_add_f32 v4, v4, v73 :: v_dual_mul_f32 v73, v166, v114
	v_fma_f32 v72, v163, v111, -v72
	v_fmac_f32_e32 v192, v150, v97
	v_fmac_f32_e32 v194, v154, v101
	s_delay_alu instid0(VALU_DEP_4)
	v_add_f32_e32 v4, v4, v71
	v_mul_f32_e32 v71, v168, v116
	v_fma_f32 v73, v165, v113, -v73
	v_add_f32_e32 v2, v2, v188
	v_fmac_f32_e32 v196, v158, v105
	v_add_f32_e32 v4, v4, v72
	v_mul_f32_e32 v72, v170, v118
	v_fma_f32 v71, v167, v115, -v71
	v_add_f32_e32 v2, v2, v189
	v_fmac_f32_e32 v198, v162, v109
	v_add_f32_e32 v4, v4, v73
	v_mul_f32_e32 v73, v172, v120
	v_fma_f32 v72, v169, v117, -v72
	v_fmac_f32_e32 v200, v166, v113
	v_fmac_f32_e32 v202, v170, v117
	v_dual_add_f32 v4, v4, v71 :: v_dual_mul_f32 v71, v174, v122
	v_fma_f32 v73, v171, v119, -v73
	v_fmac_f32_e32 v204, v174, v121
	s_delay_alu instid0(VALU_DEP_3) | instskip(SKIP_2) | instid1(VALU_DEP_3)
	v_add_f32_e32 v4, v4, v72
	v_mul_f32_e32 v72, v180, v176
	v_fma_f32 v71, v173, v121, -v71
	v_add_f32_e32 v4, v4, v73
	s_delay_alu instid0(VALU_DEP_3) | instskip(NEXT) | instid1(VALU_DEP_2)
	v_fma_f32 v72, v179, v175, -v72
	v_add_f32_e32 v4, v4, v71
	s_delay_alu instid0(VALU_DEP_1) | instskip(SKIP_1) | instid1(VALU_DEP_1)
	v_add_f32_e32 v4, v4, v72
	s_wait_loadcnt 0x0
	v_dual_add_f32 v2, v2, v190 :: v_dual_sub_f32 v71, v177, v4
	s_delay_alu instid0(VALU_DEP_1) | instskip(NEXT) | instid1(VALU_DEP_1)
	v_add_f32_e32 v2, v2, v191
	v_add_f32_e32 v2, v2, v192
	s_delay_alu instid0(VALU_DEP_1) | instskip(NEXT) | instid1(VALU_DEP_1)
	v_add_f32_e32 v2, v2, v193
	v_add_f32_e32 v2, v2, v194
	;; [unrolled: 3-line block ×7, first 2 shown]
	s_delay_alu instid0(VALU_DEP_1) | instskip(NEXT) | instid1(VALU_DEP_1)
	v_add_f32_e32 v2, v2, v205
	v_sub_f32_e32 v72, v178, v2
	scratch_store_b64 off, v[71:72], off offset:40
	v_cmpx_lt_u32_e32 4, v0
	s_cbranch_execz .LBB32_203
; %bb.202:
	scratch_load_b64 v[71:72], off, off offset:32
	v_mov_b32_e32 v2, v1
	scratch_store_b64 off, v[1:2], off offset:32
	s_wait_loadcnt 0x0
	ds_store_b64 v3, v[71:72]
.LBB32_203:
	s_wait_alu 0xfffe
	s_or_b32 exec_lo, exec_lo, s0
	s_wait_storecnt_dscnt 0x0
	s_barrier_signal -1
	s_barrier_wait -1
	global_inv scope:SCOPE_SE
	s_clause 0xe
	scratch_load_b128 v[71:74], off, off offset:40
	scratch_load_b128 v[75:78], off, off offset:56
	;; [unrolled: 1-line block ×14, first 2 shown]
	scratch_load_b64 v[183:184], off, off offset:32
	ds_load_2addr_b64 v[127:130], v1 offset0:39 offset1:40
	ds_load_2addr_b64 v[131:134], v1 offset0:41 offset1:42
	;; [unrolled: 1-line block ×14, first 2 shown]
	s_mov_b32 s0, exec_lo
	s_wait_loadcnt_dscnt 0xe0d
	v_dual_mul_f32 v1, v127, v72 :: v_dual_mul_f32 v2, v129, v74
	v_mul_f32_e32 v72, v128, v72
	v_mul_f32_e32 v74, v130, v74
	s_wait_loadcnt_dscnt 0xc0b
	v_dual_mul_f32 v186, v135, v80 :: v_dual_mul_f32 v187, v137, v82
	v_dual_mul_f32 v4, v131, v76 :: v_dual_mul_f32 v185, v133, v78
	s_wait_loadcnt_dscnt 0xb0a
	v_dual_mul_f32 v188, v139, v84 :: v_dual_mul_f32 v189, v141, v86
	v_fmac_f32_e32 v1, v128, v71
	v_fmac_f32_e32 v186, v136, v79
	s_wait_loadcnt_dscnt 0xa09
	v_dual_mul_f32 v190, v143, v88 :: v_dual_mul_f32 v191, v145, v90
	s_wait_loadcnt_dscnt 0x100
	v_dual_mul_f32 v208, v179, v124 :: v_dual_mul_f32 v209, v181, v126
	v_fma_f32 v72, v127, v71, -v72
	v_mul_f32_e32 v71, v132, v76
	v_add_f32_e32 v1, 0, v1
	v_dual_fmac_f32 v189, v142, v85 :: v_dual_fmac_f32 v190, v144, v87
	s_delay_alu instid0(VALU_DEP_4) | instskip(NEXT) | instid1(VALU_DEP_4)
	v_add_f32_e32 v72, 0, v72
	v_fma_f32 v71, v131, v75, -v71
	v_fmac_f32_e32 v2, v130, v73
	v_fma_f32 v73, v129, v73, -v74
	v_fmac_f32_e32 v185, v134, v77
	v_dual_fmac_f32 v187, v138, v81 :: v_dual_mul_f32 v192, v147, v92
	s_delay_alu instid0(VALU_DEP_3) | instskip(SKIP_1) | instid1(VALU_DEP_2)
	v_dual_mul_f32 v193, v149, v94 :: v_dual_add_f32 v72, v72, v73
	v_dual_mul_f32 v194, v151, v96 :: v_dual_mul_f32 v195, v153, v98
	v_dual_fmac_f32 v192, v148, v91 :: v_dual_fmac_f32 v193, v150, v93
	s_delay_alu instid0(VALU_DEP_3) | instskip(SKIP_4) | instid1(VALU_DEP_4)
	v_add_f32_e32 v71, v72, v71
	v_dual_fmac_f32 v4, v132, v75 :: v_dual_add_f32 v1, v1, v2
	v_mul_f32_e32 v74, v134, v78
	v_mul_f32_e32 v2, v136, v80
	;; [unrolled: 1-line block ×3, first 2 shown]
	v_dual_fmac_f32 v188, v140, v83 :: v_dual_add_f32 v1, v1, v4
	s_delay_alu instid0(VALU_DEP_4)
	v_fma_f32 v73, v133, v77, -v74
	v_mul_f32_e32 v4, v138, v82
	v_fma_f32 v2, v135, v79, -v2
	v_fma_f32 v72, v139, v83, -v72
	v_add_f32_e32 v1, v1, v185
	v_add_f32_e32 v71, v71, v73
	v_fma_f32 v4, v137, v81, -v4
	v_dual_fmac_f32 v191, v146, v89 :: v_dual_fmac_f32 v194, v152, v95
	v_fmac_f32_e32 v195, v154, v97
	v_add_f32_e32 v1, v1, v186
	v_add_f32_e32 v2, v71, v2
	v_dual_mul_f32 v71, v142, v86 :: v_dual_mul_f32 v196, v155, v100
	v_mul_f32_e32 v197, v157, v102
	s_delay_alu instid0(VALU_DEP_4) | instskip(SKIP_1) | instid1(VALU_DEP_4)
	v_dual_add_f32 v1, v1, v187 :: v_dual_mul_f32 v198, v159, v104
	v_mul_f32_e32 v199, v161, v106
	v_fma_f32 v71, v141, v85, -v71
	s_delay_alu instid0(VALU_DEP_3) | instskip(SKIP_1) | instid1(VALU_DEP_4)
	v_dual_fmac_f32 v196, v156, v99 :: v_dual_add_f32 v1, v1, v188
	v_add_f32_e32 v2, v2, v4
	v_dual_mul_f32 v4, v144, v88 :: v_dual_fmac_f32 v199, v162, v105
	s_delay_alu instid0(VALU_DEP_3) | instskip(NEXT) | instid1(VALU_DEP_3)
	v_dual_fmac_f32 v198, v160, v103 :: v_dual_add_f32 v1, v1, v189
	v_add_f32_e32 v2, v2, v72
	s_delay_alu instid0(VALU_DEP_3) | instskip(SKIP_2) | instid1(VALU_DEP_4)
	v_fma_f32 v4, v143, v87, -v4
	v_mul_f32_e32 v72, v146, v90
	v_dual_mul_f32 v200, v163, v108 :: v_dual_mul_f32 v201, v165, v110
	v_dual_add_f32 v1, v1, v190 :: v_dual_add_f32 v2, v2, v71
	v_mul_f32_e32 v71, v148, v92
	s_delay_alu instid0(VALU_DEP_4) | instskip(NEXT) | instid1(VALU_DEP_4)
	v_fma_f32 v72, v145, v89, -v72
	v_dual_fmac_f32 v200, v164, v107 :: v_dual_fmac_f32 v201, v166, v109
	s_delay_alu instid0(VALU_DEP_4)
	v_dual_add_f32 v2, v2, v4 :: v_dual_add_f32 v1, v1, v191
	v_mul_f32_e32 v4, v150, v94
	v_fma_f32 v71, v147, v91, -v71
	v_dual_fmac_f32 v197, v158, v101 :: v_dual_mul_f32 v202, v167, v112
	v_mul_f32_e32 v203, v169, v114
	v_add_f32_e32 v1, v1, v192
	v_add_f32_e32 v2, v2, v72
	v_fma_f32 v4, v149, v93, -v4
	v_mul_f32_e32 v72, v152, v96
	v_dual_mul_f32 v204, v171, v116 :: v_dual_mul_f32 v205, v173, v118
	s_delay_alu instid0(VALU_DEP_4) | instskip(SKIP_1) | instid1(VALU_DEP_4)
	v_dual_add_f32 v1, v1, v193 :: v_dual_add_f32 v2, v2, v71
	v_mul_f32_e32 v71, v154, v98
	v_fma_f32 v72, v151, v95, -v72
	s_delay_alu instid0(VALU_DEP_4) | instskip(NEXT) | instid1(VALU_DEP_4)
	v_dual_fmac_f32 v202, v168, v111 :: v_dual_fmac_f32 v205, v174, v117
	v_dual_add_f32 v1, v1, v194 :: v_dual_add_f32 v2, v2, v4
	v_mul_f32_e32 v4, v156, v100
	v_fma_f32 v71, v153, v97, -v71
	v_dual_mul_f32 v206, v175, v120 :: v_dual_mul_f32 v207, v177, v122
	s_delay_alu instid0(VALU_DEP_4) | instskip(NEXT) | instid1(VALU_DEP_4)
	v_add_f32_e32 v1, v1, v195
	v_fma_f32 v4, v155, v99, -v4
	v_fmac_f32_e32 v204, v172, v115
	s_delay_alu instid0(VALU_DEP_4) | instskip(NEXT) | instid1(VALU_DEP_4)
	v_dual_fmac_f32 v208, v180, v123 :: v_dual_fmac_f32 v207, v178, v121
	v_add_f32_e32 v1, v1, v196
	v_add_f32_e32 v2, v2, v72
	v_mul_f32_e32 v72, v158, v102
	v_dual_fmac_f32 v203, v170, v113 :: v_dual_fmac_f32 v206, v176, v119
	s_delay_alu instid0(VALU_DEP_3) | instskip(SKIP_1) | instid1(VALU_DEP_4)
	v_dual_add_f32 v1, v1, v197 :: v_dual_add_f32 v2, v2, v71
	v_mul_f32_e32 v71, v160, v104
	v_fma_f32 v72, v157, v101, -v72
	v_fmac_f32_e32 v209, v182, v125
	s_delay_alu instid0(VALU_DEP_4) | instskip(SKIP_2) | instid1(VALU_DEP_3)
	v_dual_add_f32 v1, v1, v198 :: v_dual_add_f32 v2, v2, v4
	v_mul_f32_e32 v4, v162, v106
	v_fma_f32 v71, v159, v103, -v71
	v_add_f32_e32 v1, v1, v199
	s_delay_alu instid0(VALU_DEP_3) | instskip(NEXT) | instid1(VALU_DEP_2)
	v_fma_f32 v4, v161, v105, -v4
	v_add_f32_e32 v1, v1, v200
	v_add_f32_e32 v2, v2, v72
	s_delay_alu instid0(VALU_DEP_2) | instskip(NEXT) | instid1(VALU_DEP_2)
	v_dual_mul_f32 v72, v164, v108 :: v_dual_add_f32 v1, v1, v201
	v_add_f32_e32 v2, v2, v71
	v_mul_f32_e32 v71, v166, v110
	s_delay_alu instid0(VALU_DEP_3) | instskip(NEXT) | instid1(VALU_DEP_3)
	v_fma_f32 v72, v163, v107, -v72
	v_dual_add_f32 v1, v1, v202 :: v_dual_add_f32 v2, v2, v4
	v_mul_f32_e32 v4, v168, v112
	s_delay_alu instid0(VALU_DEP_4) | instskip(NEXT) | instid1(VALU_DEP_3)
	v_fma_f32 v71, v165, v109, -v71
	v_add_f32_e32 v1, v1, v203
	s_delay_alu instid0(VALU_DEP_3) | instskip(NEXT) | instid1(VALU_DEP_2)
	v_fma_f32 v4, v167, v111, -v4
	v_add_f32_e32 v1, v1, v204
	v_add_f32_e32 v2, v2, v72
	s_delay_alu instid0(VALU_DEP_2) | instskip(NEXT) | instid1(VALU_DEP_2)
	v_dual_mul_f32 v72, v170, v114 :: v_dual_add_f32 v1, v1, v205
	v_dual_add_f32 v2, v2, v71 :: v_dual_mul_f32 v71, v172, v116
	s_delay_alu instid0(VALU_DEP_2) | instskip(NEXT) | instid1(VALU_DEP_2)
	v_fma_f32 v72, v169, v113, -v72
	v_dual_add_f32 v1, v1, v206 :: v_dual_add_f32 v2, v2, v4
	s_delay_alu instid0(VALU_DEP_3) | instskip(NEXT) | instid1(VALU_DEP_2)
	v_fma_f32 v71, v171, v115, -v71
	v_dual_add_f32 v1, v1, v207 :: v_dual_mul_f32 v4, v174, v118
	s_delay_alu instid0(VALU_DEP_3) | instskip(SKIP_1) | instid1(VALU_DEP_3)
	v_add_f32_e32 v2, v2, v72
	v_mul_f32_e32 v72, v176, v120
	v_add_f32_e32 v1, v1, v208
	s_delay_alu instid0(VALU_DEP_4) | instskip(NEXT) | instid1(VALU_DEP_4)
	v_fma_f32 v4, v173, v117, -v4
	v_add_f32_e32 v2, v2, v71
	v_mul_f32_e32 v71, v178, v122
	v_fma_f32 v72, v175, v119, -v72
	s_delay_alu instid0(VALU_DEP_3) | instskip(SKIP_1) | instid1(VALU_DEP_4)
	v_add_f32_e32 v2, v2, v4
	v_mul_f32_e32 v4, v180, v124
	v_fma_f32 v71, v177, v121, -v71
	s_delay_alu instid0(VALU_DEP_3) | instskip(SKIP_1) | instid1(VALU_DEP_4)
	v_add_f32_e32 v2, v2, v72
	v_mul_f32_e32 v72, v182, v126
	v_fma_f32 v4, v179, v123, -v4
	s_delay_alu instid0(VALU_DEP_3) | instskip(NEXT) | instid1(VALU_DEP_3)
	v_add_f32_e32 v2, v2, v71
	v_fma_f32 v71, v181, v125, -v72
	s_delay_alu instid0(VALU_DEP_2) | instskip(SKIP_1) | instid1(VALU_DEP_2)
	v_add_f32_e32 v2, v2, v4
	v_add_f32_e32 v4, v1, v209
	v_add_f32_e32 v2, v2, v71
	s_wait_loadcnt 0x0
	s_delay_alu instid0(VALU_DEP_1)
	v_dual_sub_f32 v1, v183, v2 :: v_dual_sub_f32 v2, v184, v4
	scratch_store_b64 off, v[1:2], off offset:32
	v_cmpx_lt_u32_e32 3, v0
	s_cbranch_execz .LBB32_205
; %bb.204:
	scratch_load_b64 v[1:2], off, off offset:24
	v_mov_b32_e32 v71, 0
	s_delay_alu instid0(VALU_DEP_1)
	v_mov_b32_e32 v72, v71
	scratch_store_b64 off, v[71:72], off offset:24
	s_wait_loadcnt 0x0
	ds_store_b64 v3, v[1:2]
.LBB32_205:
	s_wait_alu 0xfffe
	s_or_b32 exec_lo, exec_lo, s0
	s_wait_storecnt_dscnt 0x0
	s_barrier_signal -1
	s_barrier_wait -1
	global_inv scope:SCOPE_SE
	s_clause 0xf
	scratch_load_b128 v[71:74], off, off offset:32
	scratch_load_b128 v[75:78], off, off offset:48
	;; [unrolled: 1-line block ×14, first 2 shown]
	scratch_load_b64 v[183:184], off, off offset:256
	scratch_load_b64 v[185:186], off, off offset:24
	v_mov_b32_e32 v1, 0
	ds_load_b128 v[127:130], v1 offset:304
	ds_load_b128 v[131:134], v1 offset:320
	;; [unrolled: 1-line block ×14, first 2 shown]
	ds_load_b64 v[187:188], v1 offset:528
	s_mov_b32 s0, exec_lo
	s_wait_loadcnt_dscnt 0xf0e
	v_mul_f32_e32 v2, v127, v72
	v_mul_f32_e32 v72, v128, v72
	s_wait_loadcnt_dscnt 0xe0d
	v_dual_mul_f32 v4, v129, v74 :: v_dual_mul_f32 v189, v131, v76
	v_mul_f32_e32 v74, v130, v74
	s_wait_loadcnt_dscnt 0xd0c
	v_dual_mul_f32 v190, v133, v78 :: v_dual_mul_f32 v191, v135, v80
	v_fma_f32 v72, v127, v71, -v72
	v_fmac_f32_e32 v2, v128, v71
	v_dual_mul_f32 v71, v132, v76 :: v_dual_fmac_f32 v4, v130, v73
	v_fmac_f32_e32 v189, v132, v75
	v_fma_f32 v73, v129, v73, -v74
	v_dual_add_f32 v72, 0, v72 :: v_dual_fmac_f32 v191, v136, v79
	v_mul_f32_e32 v74, v134, v78
	v_fma_f32 v71, v131, v75, -v71
	s_wait_loadcnt_dscnt 0xc0b
	v_dual_mul_f32 v192, v137, v82 :: v_dual_mul_f32 v193, v139, v84
	v_add_f32_e32 v72, v72, v73
	v_add_f32_e32 v2, 0, v2
	v_fma_f32 v73, v133, v77, -v74
	s_wait_loadcnt_dscnt 0xa09
	v_dual_mul_f32 v196, v145, v90 :: v_dual_mul_f32 v197, v147, v92
	s_delay_alu instid0(VALU_DEP_3) | instskip(SKIP_2) | instid1(VALU_DEP_4)
	v_dual_add_f32 v71, v72, v71 :: v_dual_add_f32 v2, v2, v4
	v_fmac_f32_e32 v193, v140, v83
	v_mul_f32_e32 v4, v136, v80
	v_dual_mul_f32 v72, v138, v82 :: v_dual_fmac_f32 v197, v148, v91
	s_delay_alu instid0(VALU_DEP_4) | instskip(SKIP_1) | instid1(VALU_DEP_4)
	v_add_f32_e32 v71, v71, v73
	v_mul_f32_e32 v73, v140, v84
	v_fma_f32 v4, v135, v79, -v4
	s_delay_alu instid0(VALU_DEP_4) | instskip(SKIP_2) | instid1(VALU_DEP_4)
	v_fma_f32 v72, v137, v81, -v72
	v_add_f32_e32 v2, v2, v189
	v_dual_mul_f32 v194, v141, v86 :: v_dual_mul_f32 v195, v143, v88
	v_dual_add_f32 v4, v71, v4 :: v_dual_mul_f32 v71, v142, v86
	v_fma_f32 v73, v139, v83, -v73
	s_wait_loadcnt_dscnt 0x403
	v_dual_mul_f32 v208, v169, v114 :: v_dual_mul_f32 v209, v171, v116
	s_delay_alu instid0(VALU_DEP_3) | instskip(SKIP_3) | instid1(VALU_DEP_4)
	v_add_f32_e32 v4, v4, v72
	v_mul_f32_e32 v72, v144, v88
	v_fma_f32 v71, v141, v85, -v71
	v_dual_fmac_f32 v190, v134, v77 :: v_dual_fmac_f32 v195, v144, v87
	v_dual_add_f32 v4, v4, v73 :: v_dual_mul_f32 v73, v146, v90
	s_delay_alu instid0(VALU_DEP_4) | instskip(SKIP_1) | instid1(VALU_DEP_3)
	v_fma_f32 v72, v143, v87, -v72
	v_dual_fmac_f32 v209, v172, v115 :: v_dual_mul_f32 v198, v149, v94
	v_dual_mul_f32 v199, v151, v96 :: v_dual_add_f32 v4, v4, v71
	v_mul_f32_e32 v71, v148, v92
	v_fma_f32 v73, v145, v89, -v73
	v_add_f32_e32 v2, v2, v190
	s_delay_alu instid0(VALU_DEP_4) | instskip(SKIP_4) | instid1(VALU_DEP_4)
	v_dual_fmac_f32 v192, v138, v81 :: v_dual_fmac_f32 v199, v152, v95
	v_add_f32_e32 v4, v4, v72
	v_mul_f32_e32 v72, v150, v94
	v_fma_f32 v71, v147, v91, -v71
	v_dual_mul_f32 v200, v153, v98 :: v_dual_mul_f32 v201, v155, v100
	v_add_f32_e32 v4, v4, v73
	v_mul_f32_e32 v73, v152, v96
	v_fma_f32 v72, v149, v93, -v72
	v_add_f32_e32 v2, v2, v191
	v_dual_mul_f32 v202, v157, v102 :: v_dual_mul_f32 v203, v159, v104
	v_dual_add_f32 v4, v4, v71 :: v_dual_mul_f32 v71, v154, v98
	v_fma_f32 v73, v151, v95, -v73
	v_dual_fmac_f32 v201, v156, v99 :: v_dual_fmac_f32 v194, v142, v85
	s_delay_alu instid0(VALU_DEP_4) | instskip(NEXT) | instid1(VALU_DEP_4)
	v_fmac_f32_e32 v203, v160, v103
	v_add_f32_e32 v4, v4, v72
	v_mul_f32_e32 v72, v156, v100
	v_fma_f32 v71, v153, v97, -v71
	v_dual_mul_f32 v204, v161, v106 :: v_dual_mul_f32 v205, v163, v108
	s_delay_alu instid0(VALU_DEP_4) | instskip(NEXT) | instid1(VALU_DEP_4)
	v_dual_add_f32 v4, v4, v73 :: v_dual_mul_f32 v73, v158, v102
	v_fma_f32 v72, v155, v99, -v72
	s_delay_alu instid0(VALU_DEP_3) | instskip(NEXT) | instid1(VALU_DEP_3)
	v_dual_fmac_f32 v198, v150, v93 :: v_dual_fmac_f32 v205, v164, v107
	v_add_f32_e32 v4, v4, v71
	v_mul_f32_e32 v71, v160, v104
	v_fma_f32 v73, v157, v101, -v73
	v_add_f32_e32 v2, v2, v192
	v_dual_mul_f32 v206, v165, v110 :: v_dual_mul_f32 v207, v167, v112
	v_add_f32_e32 v4, v4, v72
	v_mul_f32_e32 v72, v162, v106
	v_fma_f32 v71, v159, v103, -v71
	v_add_f32_e32 v2, v2, v193
	v_dual_fmac_f32 v196, v146, v89 :: v_dual_fmac_f32 v207, v168, v111
	v_add_f32_e32 v4, v4, v73
	v_mul_f32_e32 v73, v164, v108
	v_fma_f32 v72, v161, v105, -v72
	v_add_f32_e32 v2, v2, v194
	s_wait_loadcnt_dscnt 0x302
	v_dual_mul_f32 v210, v173, v118 :: v_dual_mul_f32 v211, v175, v120
	v_dual_add_f32 v4, v4, v71 :: v_dual_mul_f32 v71, v166, v110
	v_fma_f32 v73, v163, v107, -v73
	v_add_f32_e32 v2, v2, v195
	s_wait_loadcnt_dscnt 0x201
	v_dual_mul_f32 v212, v177, v122 :: v_dual_mul_f32 v213, v179, v124
	v_add_f32_e32 v4, v4, v72
	v_mul_f32_e32 v72, v168, v112
	v_fma_f32 v71, v165, v109, -v71
	v_fmac_f32_e32 v211, v176, v119
	v_fmac_f32_e32 v213, v180, v123
	v_dual_add_f32 v4, v4, v73 :: v_dual_mul_f32 v73, v170, v114
	v_fma_f32 v72, v167, v111, -v72
	s_wait_loadcnt_dscnt 0x100
	v_dual_mul_f32 v214, v181, v126 :: v_dual_mul_f32 v215, v187, v184
	s_delay_alu instid0(VALU_DEP_3)
	v_add_f32_e32 v4, v4, v71
	v_mul_f32_e32 v71, v172, v116
	v_fma_f32 v73, v169, v113, -v73
	v_add_f32_e32 v2, v2, v196
	v_dual_fmac_f32 v200, v154, v97 :: v_dual_fmac_f32 v215, v188, v183
	v_add_f32_e32 v4, v4, v72
	v_mul_f32_e32 v72, v174, v118
	v_fma_f32 v71, v171, v115, -v71
	v_add_f32_e32 v2, v2, v197
	v_fmac_f32_e32 v202, v158, v101
	v_add_f32_e32 v4, v4, v73
	v_mul_f32_e32 v73, v176, v120
	v_fma_f32 v72, v173, v117, -v72
	v_add_f32_e32 v2, v2, v198
	v_fmac_f32_e32 v204, v162, v105
	v_dual_add_f32 v4, v4, v71 :: v_dual_mul_f32 v71, v178, v122
	v_fma_f32 v73, v175, v119, -v73
	v_fmac_f32_e32 v206, v166, v109
	v_fmac_f32_e32 v208, v170, v113
	s_delay_alu instid0(VALU_DEP_4)
	v_add_f32_e32 v4, v4, v72
	v_mul_f32_e32 v72, v180, v124
	v_fma_f32 v71, v177, v121, -v71
	v_fmac_f32_e32 v210, v174, v117
	v_fmac_f32_e32 v212, v178, v121
	v_dual_add_f32 v4, v4, v73 :: v_dual_mul_f32 v73, v182, v126
	v_fma_f32 v72, v179, v123, -v72
	v_fmac_f32_e32 v214, v182, v125
	s_delay_alu instid0(VALU_DEP_3) | instskip(SKIP_2) | instid1(VALU_DEP_3)
	v_add_f32_e32 v4, v4, v71
	v_mul_f32_e32 v71, v188, v184
	v_fma_f32 v73, v181, v125, -v73
	v_add_f32_e32 v4, v4, v72
	s_delay_alu instid0(VALU_DEP_3) | instskip(NEXT) | instid1(VALU_DEP_2)
	v_fma_f32 v71, v187, v183, -v71
	v_add_f32_e32 v4, v4, v73
	s_delay_alu instid0(VALU_DEP_1) | instskip(SKIP_1) | instid1(VALU_DEP_1)
	v_add_f32_e32 v4, v4, v71
	s_wait_loadcnt 0x0
	v_dual_add_f32 v2, v2, v199 :: v_dual_sub_f32 v71, v185, v4
	s_delay_alu instid0(VALU_DEP_1) | instskip(NEXT) | instid1(VALU_DEP_1)
	v_add_f32_e32 v2, v2, v200
	v_add_f32_e32 v2, v2, v201
	s_delay_alu instid0(VALU_DEP_1) | instskip(NEXT) | instid1(VALU_DEP_1)
	v_add_f32_e32 v2, v2, v202
	v_add_f32_e32 v2, v2, v203
	;; [unrolled: 3-line block ×8, first 2 shown]
	s_delay_alu instid0(VALU_DEP_1)
	v_sub_f32_e32 v72, v186, v2
	scratch_store_b64 off, v[71:72], off offset:24
	v_cmpx_lt_u32_e32 2, v0
	s_cbranch_execz .LBB32_207
; %bb.206:
	scratch_load_b64 v[71:72], off, off offset:16
	v_mov_b32_e32 v2, v1
	scratch_store_b64 off, v[1:2], off offset:16
	s_wait_loadcnt 0x0
	ds_store_b64 v3, v[71:72]
.LBB32_207:
	s_wait_alu 0xfffe
	s_or_b32 exec_lo, exec_lo, s0
	s_wait_storecnt_dscnt 0x0
	s_barrier_signal -1
	s_barrier_wait -1
	global_inv scope:SCOPE_SE
	s_clause 0xf
	scratch_load_b128 v[71:74], off, off offset:24
	scratch_load_b128 v[75:78], off, off offset:40
	;; [unrolled: 1-line block ×15, first 2 shown]
	scratch_load_b64 v[191:192], off, off offset:16
	ds_load_2addr_b64 v[131:134], v1 offset0:37 offset1:38
	ds_load_2addr_b64 v[135:138], v1 offset0:39 offset1:40
	;; [unrolled: 1-line block ×15, first 2 shown]
	s_mov_b32 s0, exec_lo
	s_wait_loadcnt_dscnt 0xf0e
	v_dual_mul_f32 v1, v131, v72 :: v_dual_mul_f32 v2, v133, v74
	v_mul_f32_e32 v72, v132, v72
	v_mul_f32_e32 v74, v134, v74
	s_wait_loadcnt_dscnt 0xd0c
	v_dual_mul_f32 v194, v139, v80 :: v_dual_mul_f32 v195, v141, v82
	v_dual_mul_f32 v4, v135, v76 :: v_dual_mul_f32 v193, v137, v78
	s_wait_loadcnt_dscnt 0xc0b
	v_dual_mul_f32 v196, v143, v84 :: v_dual_mul_f32 v197, v145, v86
	v_fmac_f32_e32 v1, v132, v71
	v_fmac_f32_e32 v194, v140, v79
	s_wait_loadcnt_dscnt 0xb0a
	v_dual_mul_f32 v198, v147, v88 :: v_dual_mul_f32 v199, v149, v90
	s_wait_loadcnt_dscnt 0x100
	v_dual_mul_f32 v218, v187, v128 :: v_dual_mul_f32 v219, v189, v130
	v_fma_f32 v72, v131, v71, -v72
	v_mul_f32_e32 v71, v136, v76
	v_add_f32_e32 v1, 0, v1
	v_dual_fmac_f32 v197, v146, v85 :: v_dual_fmac_f32 v198, v148, v87
	s_delay_alu instid0(VALU_DEP_4) | instskip(NEXT) | instid1(VALU_DEP_4)
	v_add_f32_e32 v72, 0, v72
	v_fma_f32 v71, v135, v75, -v71
	v_fmac_f32_e32 v2, v134, v73
	v_fma_f32 v73, v133, v73, -v74
	v_fmac_f32_e32 v193, v138, v77
	v_dual_fmac_f32 v195, v142, v81 :: v_dual_mul_f32 v200, v151, v92
	s_delay_alu instid0(VALU_DEP_3) | instskip(SKIP_1) | instid1(VALU_DEP_2)
	v_dual_mul_f32 v201, v153, v94 :: v_dual_add_f32 v72, v72, v73
	v_dual_mul_f32 v202, v155, v96 :: v_dual_mul_f32 v203, v157, v98
	v_dual_fmac_f32 v200, v152, v91 :: v_dual_fmac_f32 v201, v154, v93
	s_delay_alu instid0(VALU_DEP_3) | instskip(SKIP_4) | instid1(VALU_DEP_4)
	v_add_f32_e32 v71, v72, v71
	v_dual_fmac_f32 v4, v136, v75 :: v_dual_add_f32 v1, v1, v2
	v_mul_f32_e32 v74, v138, v78
	v_mul_f32_e32 v2, v140, v80
	;; [unrolled: 1-line block ×3, first 2 shown]
	v_dual_fmac_f32 v196, v144, v83 :: v_dual_add_f32 v1, v1, v4
	s_delay_alu instid0(VALU_DEP_4)
	v_fma_f32 v73, v137, v77, -v74
	v_mul_f32_e32 v4, v142, v82
	v_fma_f32 v2, v139, v79, -v2
	v_fma_f32 v72, v143, v83, -v72
	v_add_f32_e32 v1, v1, v193
	v_add_f32_e32 v71, v71, v73
	v_fma_f32 v4, v141, v81, -v4
	v_dual_fmac_f32 v202, v156, v95 :: v_dual_fmac_f32 v203, v158, v97
	s_delay_alu instid0(VALU_DEP_4) | instskip(NEXT) | instid1(VALU_DEP_4)
	v_add_f32_e32 v1, v1, v194
	v_add_f32_e32 v2, v71, v2
	v_mul_f32_e32 v71, v146, v86
	v_dual_fmac_f32 v199, v150, v89 :: v_dual_mul_f32 v204, v159, v100
	v_mul_f32_e32 v205, v161, v102
	v_add_f32_e32 v1, v1, v195
	s_delay_alu instid0(VALU_DEP_4) | instskip(SKIP_1) | instid1(VALU_DEP_3)
	v_fma_f32 v71, v145, v85, -v71
	v_dual_mul_f32 v206, v163, v104 :: v_dual_mul_f32 v207, v165, v106
	v_dual_fmac_f32 v204, v160, v99 :: v_dual_add_f32 v1, v1, v196
	v_add_f32_e32 v2, v2, v4
	s_delay_alu instid0(VALU_DEP_3) | instskip(NEXT) | instid1(VALU_DEP_3)
	v_dual_mul_f32 v4, v148, v88 :: v_dual_fmac_f32 v207, v166, v105
	v_dual_fmac_f32 v206, v164, v103 :: v_dual_add_f32 v1, v1, v197
	s_delay_alu instid0(VALU_DEP_3) | instskip(NEXT) | instid1(VALU_DEP_3)
	v_add_f32_e32 v2, v2, v72
	v_fma_f32 v4, v147, v87, -v4
	v_mul_f32_e32 v72, v150, v90
	v_dual_mul_f32 v208, v167, v108 :: v_dual_mul_f32 v209, v169, v110
	s_delay_alu instid0(VALU_DEP_4) | instskip(SKIP_1) | instid1(VALU_DEP_4)
	v_dual_add_f32 v1, v1, v198 :: v_dual_add_f32 v2, v2, v71
	v_mul_f32_e32 v71, v152, v92
	v_fma_f32 v72, v149, v89, -v72
	s_delay_alu instid0(VALU_DEP_4) | instskip(NEXT) | instid1(VALU_DEP_4)
	v_dual_fmac_f32 v208, v168, v107 :: v_dual_fmac_f32 v209, v170, v109
	v_dual_add_f32 v2, v2, v4 :: v_dual_add_f32 v1, v1, v199
	v_mul_f32_e32 v4, v154, v94
	v_fma_f32 v71, v151, v91, -v71
	v_dual_fmac_f32 v205, v162, v101 :: v_dual_mul_f32 v210, v171, v112
	v_mul_f32_e32 v211, v173, v114
	v_add_f32_e32 v1, v1, v200
	v_add_f32_e32 v2, v2, v72
	v_fma_f32 v4, v153, v93, -v4
	v_mul_f32_e32 v72, v156, v96
	v_dual_mul_f32 v212, v175, v116 :: v_dual_mul_f32 v213, v177, v118
	s_delay_alu instid0(VALU_DEP_4) | instskip(SKIP_1) | instid1(VALU_DEP_4)
	v_dual_add_f32 v1, v1, v201 :: v_dual_add_f32 v2, v2, v71
	v_mul_f32_e32 v71, v158, v98
	v_fma_f32 v72, v155, v95, -v72
	s_delay_alu instid0(VALU_DEP_4) | instskip(NEXT) | instid1(VALU_DEP_4)
	v_dual_fmac_f32 v210, v172, v111 :: v_dual_fmac_f32 v213, v178, v117
	v_dual_add_f32 v1, v1, v202 :: v_dual_add_f32 v2, v2, v4
	v_mul_f32_e32 v4, v160, v100
	v_fma_f32 v71, v157, v97, -v71
	v_fmac_f32_e32 v212, v176, v115
	s_delay_alu instid0(VALU_DEP_4) | instskip(SKIP_3) | instid1(VALU_DEP_4)
	v_dual_add_f32 v1, v1, v203 :: v_dual_mul_f32 v214, v179, v120
	v_mul_f32_e32 v215, v181, v122
	v_fma_f32 v4, v159, v99, -v4
	v_dual_mul_f32 v216, v183, v124 :: v_dual_mul_f32 v217, v185, v126
	v_add_f32_e32 v1, v1, v204
	v_add_f32_e32 v2, v2, v72
	v_mul_f32_e32 v72, v162, v102
	v_fmac_f32_e32 v211, v174, v113
	v_dual_fmac_f32 v215, v182, v121 :: v_dual_fmac_f32 v216, v184, v123
	s_delay_alu instid0(VALU_DEP_4) | instskip(SKIP_3) | instid1(VALU_DEP_4)
	v_dual_add_f32 v1, v1, v205 :: v_dual_add_f32 v2, v2, v71
	v_mul_f32_e32 v71, v164, v104
	v_fma_f32 v72, v161, v101, -v72
	v_dual_fmac_f32 v217, v186, v125 :: v_dual_fmac_f32 v218, v188, v127
	v_dual_add_f32 v1, v1, v206 :: v_dual_add_f32 v2, v2, v4
	v_mul_f32_e32 v4, v166, v106
	v_fma_f32 v71, v163, v103, -v71
	v_fmac_f32_e32 v214, v180, v119
	s_delay_alu instid0(VALU_DEP_4) | instskip(SKIP_2) | instid1(VALU_DEP_3)
	v_add_f32_e32 v1, v1, v207
	v_fmac_f32_e32 v219, v190, v129
	v_fma_f32 v4, v165, v105, -v4
	v_add_f32_e32 v1, v1, v208
	v_add_f32_e32 v2, v2, v72
	s_delay_alu instid0(VALU_DEP_2) | instskip(NEXT) | instid1(VALU_DEP_2)
	v_dual_mul_f32 v72, v168, v108 :: v_dual_add_f32 v1, v1, v209
	v_add_f32_e32 v2, v2, v71
	v_mul_f32_e32 v71, v170, v110
	s_delay_alu instid0(VALU_DEP_3) | instskip(NEXT) | instid1(VALU_DEP_3)
	v_fma_f32 v72, v167, v107, -v72
	v_dual_add_f32 v1, v1, v210 :: v_dual_add_f32 v2, v2, v4
	v_mul_f32_e32 v4, v172, v112
	s_delay_alu instid0(VALU_DEP_4) | instskip(NEXT) | instid1(VALU_DEP_3)
	v_fma_f32 v71, v169, v109, -v71
	v_add_f32_e32 v1, v1, v211
	s_delay_alu instid0(VALU_DEP_3) | instskip(NEXT) | instid1(VALU_DEP_2)
	v_fma_f32 v4, v171, v111, -v4
	v_add_f32_e32 v1, v1, v212
	v_add_f32_e32 v2, v2, v72
	s_delay_alu instid0(VALU_DEP_2) | instskip(NEXT) | instid1(VALU_DEP_2)
	v_dual_mul_f32 v72, v174, v114 :: v_dual_add_f32 v1, v1, v213
	v_dual_add_f32 v2, v2, v71 :: v_dual_mul_f32 v71, v176, v116
	s_delay_alu instid0(VALU_DEP_2) | instskip(NEXT) | instid1(VALU_DEP_2)
	v_fma_f32 v72, v173, v113, -v72
	v_dual_add_f32 v1, v1, v214 :: v_dual_add_f32 v2, v2, v4
	v_mul_f32_e32 v4, v178, v118
	s_delay_alu instid0(VALU_DEP_4) | instskip(NEXT) | instid1(VALU_DEP_3)
	v_fma_f32 v71, v175, v115, -v71
	v_add_f32_e32 v1, v1, v215
	s_delay_alu instid0(VALU_DEP_3) | instskip(NEXT) | instid1(VALU_DEP_2)
	v_fma_f32 v4, v177, v117, -v4
	v_add_f32_e32 v1, v1, v216
	v_add_f32_e32 v2, v2, v72
	s_delay_alu instid0(VALU_DEP_2) | instskip(NEXT) | instid1(VALU_DEP_2)
	v_dual_mul_f32 v72, v180, v120 :: v_dual_add_f32 v1, v1, v217
	v_add_f32_e32 v2, v2, v71
	v_mul_f32_e32 v71, v182, v122
	s_delay_alu instid0(VALU_DEP_3) | instskip(NEXT) | instid1(VALU_DEP_3)
	v_fma_f32 v72, v179, v119, -v72
	v_dual_add_f32 v1, v1, v218 :: v_dual_add_f32 v2, v2, v4
	v_mul_f32_e32 v4, v184, v124
	s_delay_alu instid0(VALU_DEP_4) | instskip(NEXT) | instid1(VALU_DEP_3)
	v_fma_f32 v71, v181, v121, -v71
	v_add_f32_e32 v2, v2, v72
	v_mul_f32_e32 v72, v186, v126
	s_delay_alu instid0(VALU_DEP_4) | instskip(NEXT) | instid1(VALU_DEP_3)
	v_fma_f32 v4, v183, v123, -v4
	v_dual_add_f32 v2, v2, v71 :: v_dual_mul_f32 v71, v188, v128
	s_delay_alu instid0(VALU_DEP_3) | instskip(NEXT) | instid1(VALU_DEP_2)
	v_fma_f32 v72, v185, v125, -v72
	v_add_f32_e32 v2, v2, v4
	v_mul_f32_e32 v4, v190, v130
	s_delay_alu instid0(VALU_DEP_4) | instskip(NEXT) | instid1(VALU_DEP_3)
	v_fma_f32 v71, v187, v127, -v71
	v_add_f32_e32 v2, v2, v72
	s_delay_alu instid0(VALU_DEP_3) | instskip(NEXT) | instid1(VALU_DEP_2)
	v_fma_f32 v4, v189, v129, -v4
	v_add_f32_e32 v2, v2, v71
	s_delay_alu instid0(VALU_DEP_1) | instskip(SKIP_1) | instid1(VALU_DEP_1)
	v_add_f32_e32 v2, v2, v4
	s_wait_loadcnt 0x0
	v_dual_add_f32 v4, v1, v219 :: v_dual_sub_f32 v1, v191, v2
	s_delay_alu instid0(VALU_DEP_1)
	v_sub_f32_e32 v2, v192, v4
	scratch_store_b64 off, v[1:2], off offset:16
	v_cmpx_lt_u32_e32 1, v0
	s_cbranch_execz .LBB32_209
; %bb.208:
	scratch_load_b64 v[1:2], off, off offset:8
	v_mov_b32_e32 v71, 0
	s_delay_alu instid0(VALU_DEP_1)
	v_mov_b32_e32 v72, v71
	scratch_store_b64 off, v[71:72], off offset:8
	s_wait_loadcnt 0x0
	ds_store_b64 v3, v[1:2]
.LBB32_209:
	s_wait_alu 0xfffe
	s_or_b32 exec_lo, exec_lo, s0
	s_wait_storecnt_dscnt 0x0
	s_barrier_signal -1
	s_barrier_wait -1
	global_inv scope:SCOPE_SE
	s_clause 0x10
	scratch_load_b128 v[71:74], off, off offset:16
	scratch_load_b128 v[75:78], off, off offset:32
	;; [unrolled: 1-line block ×15, first 2 shown]
	scratch_load_b64 v[191:192], off, off offset:256
	scratch_load_b64 v[193:194], off, off offset:8
	v_mov_b32_e32 v1, 0
	ds_load_b128 v[131:134], v1 offset:288
	ds_load_b128 v[135:138], v1 offset:304
	;; [unrolled: 1-line block ×15, first 2 shown]
	ds_load_b64 v[195:196], v1 offset:528
	s_mov_b32 s0, exec_lo
	s_wait_loadcnt_dscnt 0x100f
	v_mul_f32_e32 v2, v131, v72
	v_mul_f32_e32 v72, v132, v72
	s_wait_loadcnt_dscnt 0xf0e
	v_dual_mul_f32 v4, v133, v74 :: v_dual_mul_f32 v197, v135, v76
	v_mul_f32_e32 v74, v134, v74
	s_wait_loadcnt_dscnt 0xe0d
	v_dual_mul_f32 v198, v137, v78 :: v_dual_mul_f32 v199, v139, v80
	v_fma_f32 v72, v131, v71, -v72
	v_fmac_f32_e32 v2, v132, v71
	v_dual_mul_f32 v71, v136, v76 :: v_dual_fmac_f32 v4, v134, v73
	v_fmac_f32_e32 v197, v136, v75
	v_fma_f32 v73, v133, v73, -v74
	v_dual_add_f32 v72, 0, v72 :: v_dual_fmac_f32 v199, v140, v79
	v_mul_f32_e32 v74, v138, v78
	v_fma_f32 v71, v135, v75, -v71
	s_wait_loadcnt_dscnt 0xd0c
	v_dual_mul_f32 v200, v141, v82 :: v_dual_mul_f32 v201, v143, v84
	v_add_f32_e32 v72, v72, v73
	v_add_f32_e32 v2, 0, v2
	v_fma_f32 v73, v137, v77, -v74
	s_wait_loadcnt_dscnt 0xb0a
	v_dual_mul_f32 v204, v149, v90 :: v_dual_mul_f32 v205, v151, v92
	s_delay_alu instid0(VALU_DEP_3) | instskip(SKIP_2) | instid1(VALU_DEP_4)
	v_dual_add_f32 v71, v72, v71 :: v_dual_add_f32 v2, v2, v4
	v_fmac_f32_e32 v201, v144, v83
	v_mul_f32_e32 v4, v140, v80
	v_dual_mul_f32 v72, v142, v82 :: v_dual_fmac_f32 v205, v152, v91
	s_delay_alu instid0(VALU_DEP_4) | instskip(SKIP_1) | instid1(VALU_DEP_4)
	v_add_f32_e32 v71, v71, v73
	v_mul_f32_e32 v73, v144, v84
	v_fma_f32 v4, v139, v79, -v4
	s_delay_alu instid0(VALU_DEP_4) | instskip(SKIP_2) | instid1(VALU_DEP_4)
	v_fma_f32 v72, v141, v81, -v72
	v_add_f32_e32 v2, v2, v197
	v_dual_mul_f32 v202, v145, v86 :: v_dual_mul_f32 v203, v147, v88
	v_dual_add_f32 v4, v71, v4 :: v_dual_mul_f32 v71, v146, v86
	v_fma_f32 v73, v143, v83, -v73
	s_wait_loadcnt_dscnt 0x504
	v_dual_mul_f32 v216, v173, v114 :: v_dual_mul_f32 v217, v175, v116
	s_delay_alu instid0(VALU_DEP_3) | instskip(SKIP_3) | instid1(VALU_DEP_4)
	v_add_f32_e32 v4, v4, v72
	v_mul_f32_e32 v72, v148, v88
	v_fma_f32 v71, v145, v85, -v71
	v_dual_fmac_f32 v198, v138, v77 :: v_dual_fmac_f32 v203, v148, v87
	v_dual_add_f32 v4, v4, v73 :: v_dual_mul_f32 v73, v150, v90
	s_delay_alu instid0(VALU_DEP_4) | instskip(SKIP_1) | instid1(VALU_DEP_3)
	v_fma_f32 v72, v147, v87, -v72
	v_dual_fmac_f32 v217, v176, v115 :: v_dual_mul_f32 v206, v153, v94
	v_dual_mul_f32 v207, v155, v96 :: v_dual_add_f32 v4, v4, v71
	v_mul_f32_e32 v71, v152, v92
	v_fma_f32 v73, v149, v89, -v73
	v_add_f32_e32 v2, v2, v198
	s_delay_alu instid0(VALU_DEP_4) | instskip(SKIP_4) | instid1(VALU_DEP_4)
	v_dual_fmac_f32 v200, v142, v81 :: v_dual_fmac_f32 v207, v156, v95
	v_add_f32_e32 v4, v4, v72
	v_mul_f32_e32 v72, v154, v94
	v_fma_f32 v71, v151, v91, -v71
	v_dual_mul_f32 v208, v157, v98 :: v_dual_mul_f32 v209, v159, v100
	v_add_f32_e32 v4, v4, v73
	v_mul_f32_e32 v73, v156, v96
	v_fma_f32 v72, v153, v93, -v72
	v_add_f32_e32 v2, v2, v199
	v_dual_mul_f32 v210, v161, v102 :: v_dual_mul_f32 v211, v163, v104
	v_dual_add_f32 v4, v4, v71 :: v_dual_mul_f32 v71, v158, v98
	v_fma_f32 v73, v155, v95, -v73
	v_dual_fmac_f32 v209, v160, v99 :: v_dual_fmac_f32 v202, v146, v85
	s_delay_alu instid0(VALU_DEP_4) | instskip(NEXT) | instid1(VALU_DEP_4)
	v_fmac_f32_e32 v211, v164, v103
	v_add_f32_e32 v4, v4, v72
	v_mul_f32_e32 v72, v160, v100
	v_fma_f32 v71, v157, v97, -v71
	v_dual_mul_f32 v212, v165, v106 :: v_dual_mul_f32 v213, v167, v108
	s_delay_alu instid0(VALU_DEP_4) | instskip(NEXT) | instid1(VALU_DEP_4)
	v_dual_add_f32 v4, v4, v73 :: v_dual_mul_f32 v73, v162, v102
	v_fma_f32 v72, v159, v99, -v72
	s_delay_alu instid0(VALU_DEP_3) | instskip(NEXT) | instid1(VALU_DEP_3)
	v_dual_fmac_f32 v206, v154, v93 :: v_dual_fmac_f32 v213, v168, v107
	v_add_f32_e32 v4, v4, v71
	v_mul_f32_e32 v71, v164, v104
	v_fma_f32 v73, v161, v101, -v73
	v_add_f32_e32 v2, v2, v200
	v_dual_mul_f32 v214, v169, v110 :: v_dual_mul_f32 v215, v171, v112
	v_add_f32_e32 v4, v4, v72
	v_mul_f32_e32 v72, v166, v106
	v_fma_f32 v71, v163, v103, -v71
	v_add_f32_e32 v2, v2, v201
	v_dual_fmac_f32 v204, v150, v89 :: v_dual_fmac_f32 v215, v172, v111
	v_add_f32_e32 v4, v4, v73
	v_mul_f32_e32 v73, v168, v108
	v_fma_f32 v72, v165, v105, -v72
	v_add_f32_e32 v2, v2, v202
	s_wait_loadcnt_dscnt 0x403
	v_dual_mul_f32 v218, v177, v118 :: v_dual_mul_f32 v219, v179, v120
	v_dual_add_f32 v4, v4, v71 :: v_dual_mul_f32 v71, v170, v110
	v_fma_f32 v73, v167, v107, -v73
	v_add_f32_e32 v2, v2, v203
	s_wait_loadcnt_dscnt 0x302
	v_dual_mul_f32 v220, v181, v122 :: v_dual_mul_f32 v221, v183, v124
	v_add_f32_e32 v4, v4, v72
	v_mul_f32_e32 v72, v172, v112
	v_fma_f32 v71, v169, v109, -v71
	v_fmac_f32_e32 v219, v180, v119
	v_fmac_f32_e32 v221, v184, v123
	v_dual_add_f32 v4, v4, v73 :: v_dual_mul_f32 v73, v174, v114
	v_fma_f32 v72, v171, v111, -v72
	s_wait_loadcnt_dscnt 0x201
	v_dual_mul_f32 v222, v185, v126 :: v_dual_mul_f32 v223, v187, v128
	s_delay_alu instid0(VALU_DEP_3)
	v_add_f32_e32 v4, v4, v71
	v_mul_f32_e32 v71, v176, v116
	v_fma_f32 v73, v173, v113, -v73
	v_add_f32_e32 v2, v2, v204
	v_dual_fmac_f32 v208, v158, v97 :: v_dual_fmac_f32 v223, v188, v127
	v_add_f32_e32 v4, v4, v72
	v_mul_f32_e32 v72, v178, v118
	v_fma_f32 v71, v175, v115, -v71
	v_add_f32_e32 v2, v2, v205
	s_wait_loadcnt_dscnt 0x100
	v_dual_mul_f32 v224, v189, v130 :: v_dual_mul_f32 v225, v195, v192
	v_add_f32_e32 v4, v4, v73
	v_mul_f32_e32 v73, v180, v120
	v_fma_f32 v72, v177, v117, -v72
	v_add_f32_e32 v2, v2, v206
	v_fmac_f32_e32 v212, v166, v105
	v_dual_add_f32 v4, v4, v71 :: v_dual_mul_f32 v71, v182, v122
	v_fma_f32 v73, v179, v119, -v73
	v_dual_fmac_f32 v214, v170, v109 :: v_dual_fmac_f32 v225, v196, v191
	s_delay_alu instid0(VALU_DEP_3)
	v_add_f32_e32 v4, v4, v72
	v_mul_f32_e32 v72, v184, v124
	v_fma_f32 v71, v181, v121, -v71
	v_fmac_f32_e32 v216, v174, v113
	v_fmac_f32_e32 v218, v178, v117
	v_dual_add_f32 v4, v4, v73 :: v_dual_mul_f32 v73, v186, v126
	v_fma_f32 v72, v183, v123, -v72
	v_fmac_f32_e32 v220, v182, v121
	v_fmac_f32_e32 v222, v186, v125
	s_delay_alu instid0(VALU_DEP_4)
	v_add_f32_e32 v4, v4, v71
	v_mul_f32_e32 v71, v188, v128
	v_fma_f32 v73, v185, v125, -v73
	v_add_f32_e32 v2, v2, v207
	v_fmac_f32_e32 v224, v190, v129
	v_add_f32_e32 v4, v4, v72
	v_mul_f32_e32 v72, v190, v130
	v_fma_f32 v71, v187, v127, -v71
	s_delay_alu instid0(VALU_DEP_3) | instskip(SKIP_1) | instid1(VALU_DEP_4)
	v_add_f32_e32 v4, v4, v73
	v_mul_f32_e32 v73, v196, v192
	v_fma_f32 v72, v189, v129, -v72
	v_add_f32_e32 v2, v2, v208
	s_delay_alu instid0(VALU_DEP_4) | instskip(NEXT) | instid1(VALU_DEP_4)
	v_add_f32_e32 v4, v4, v71
	v_fma_f32 v71, v195, v191, -v73
	s_delay_alu instid0(VALU_DEP_3) | instskip(NEXT) | instid1(VALU_DEP_3)
	v_add_f32_e32 v2, v2, v209
	v_add_f32_e32 v4, v4, v72
	s_delay_alu instid0(VALU_DEP_1) | instskip(SKIP_1) | instid1(VALU_DEP_1)
	v_add_f32_e32 v4, v4, v71
	s_wait_loadcnt 0x0
	v_dual_fmac_f32 v210, v162, v101 :: v_dual_sub_f32 v71, v193, v4
	s_delay_alu instid0(VALU_DEP_1) | instskip(NEXT) | instid1(VALU_DEP_1)
	v_add_f32_e32 v2, v2, v210
	v_add_f32_e32 v2, v2, v211
	s_delay_alu instid0(VALU_DEP_1) | instskip(NEXT) | instid1(VALU_DEP_1)
	v_add_f32_e32 v2, v2, v212
	v_add_f32_e32 v2, v2, v213
	;; [unrolled: 3-line block ×8, first 2 shown]
	s_delay_alu instid0(VALU_DEP_1)
	v_sub_f32_e32 v72, v194, v2
	scratch_store_b64 off, v[71:72], off offset:8
	v_cmpx_ne_u32_e32 0, v0
	s_cbranch_execz .LBB32_211
; %bb.210:
	scratch_load_b64 v[71:72], off, off
	v_mov_b32_e32 v2, v1
	scratch_store_b64 off, v[1:2], off
	s_wait_loadcnt 0x0
	ds_store_b64 v3, v[71:72]
.LBB32_211:
	s_wait_alu 0xfffe
	s_or_b32 exec_lo, exec_lo, s0
	s_wait_storecnt_dscnt 0x0
	s_barrier_signal -1
	s_barrier_wait -1
	global_inv scope:SCOPE_SE
	s_clause 0x10
	scratch_load_b128 v[71:74], off, off offset:8
	scratch_load_b128 v[75:78], off, off offset:24
	;; [unrolled: 1-line block ×16, first 2 shown]
	scratch_load_b64 v[195:196], off, off
	ds_load_2addr_b64 v[135:138], v1 offset0:35 offset1:36
	ds_load_2addr_b64 v[139:142], v1 offset0:37 offset1:38
	ds_load_2addr_b64 v[143:146], v1 offset0:39 offset1:40
	ds_load_2addr_b64 v[147:150], v1 offset0:41 offset1:42
	ds_load_2addr_b64 v[151:154], v1 offset0:43 offset1:44
	ds_load_2addr_b64 v[155:158], v1 offset0:45 offset1:46
	ds_load_2addr_b64 v[159:162], v1 offset0:47 offset1:48
	ds_load_2addr_b64 v[163:166], v1 offset0:49 offset1:50
	ds_load_2addr_b64 v[167:170], v1 offset0:51 offset1:52
	ds_load_2addr_b64 v[171:174], v1 offset0:53 offset1:54
	ds_load_2addr_b64 v[175:178], v1 offset0:55 offset1:56
	ds_load_2addr_b64 v[179:182], v1 offset0:57 offset1:58
	ds_load_2addr_b64 v[183:186], v1 offset0:59 offset1:60
	ds_load_2addr_b64 v[187:190], v1 offset0:61 offset1:62
	ds_load_2addr_b64 v[191:194], v1 offset0:63 offset1:64
	ds_load_2addr_b64 v[0:3], v1 offset0:65 offset1:66
	s_and_b32 vcc_lo, exec_lo, s18
	s_wait_loadcnt_dscnt 0x100f
	v_dual_mul_f32 v4, v135, v72 :: v_dual_mul_f32 v197, v137, v74
	v_mul_f32_e32 v72, v136, v72
	v_mul_f32_e32 v74, v138, v74
	s_wait_loadcnt_dscnt 0xf0e
	v_dual_mul_f32 v198, v139, v76 :: v_dual_mul_f32 v199, v141, v78
	v_fmac_f32_e32 v4, v136, v71
	s_wait_loadcnt_dscnt 0xc0b
	v_dual_mul_f32 v204, v151, v88 :: v_dual_mul_f32 v205, v153, v90
	v_dual_mul_f32 v200, v143, v80 :: v_dual_mul_f32 v201, v145, v82
	v_fmac_f32_e32 v197, v138, v73
	v_dual_fmac_f32 v199, v142, v77 :: v_dual_fmac_f32 v198, v140, v75
	v_dual_mul_f32 v202, v147, v84 :: v_dual_mul_f32 v203, v149, v86
	s_wait_loadcnt_dscnt 0x100
	v_dual_mul_f32 v226, v0, v132 :: v_dual_mul_f32 v227, v2, v134
	v_fma_f32 v72, v135, v71, -v72
	v_mul_f32_e32 v71, v140, v76
	v_fma_f32 v73, v137, v73, -v74
	v_mul_f32_e32 v74, v142, v78
	v_dual_mul_f32 v206, v155, v92 :: v_dual_mul_f32 v207, v157, v94
	s_delay_alu instid0(VALU_DEP_4) | instskip(SKIP_1) | instid1(VALU_DEP_4)
	v_fma_f32 v71, v139, v75, -v71
	v_fmac_f32_e32 v201, v146, v81
	v_fma_f32 v74, v141, v77, -v74
	v_add_f32_e32 v72, 0, v72
	v_dual_mul_f32 v212, v167, v104 :: v_dual_mul_f32 v213, v169, v106
	v_dual_mul_f32 v208, v159, v96 :: v_dual_mul_f32 v209, v161, v98
	s_delay_alu instid0(VALU_DEP_3)
	v_add_f32_e32 v72, v72, v73
	v_add_f32_e32 v4, 0, v4
	v_mul_f32_e32 v73, v144, v80
	v_dual_fmac_f32 v205, v154, v89 :: v_dual_mul_f32 v214, v171, v108
	v_mul_f32_e32 v215, v173, v110
	v_add_f32_e32 v71, v72, v71
	s_delay_alu instid0(VALU_DEP_4) | instskip(SKIP_2) | instid1(VALU_DEP_4)
	v_fma_f32 v73, v143, v79, -v73
	v_dual_mul_f32 v210, v163, v100 :: v_dual_mul_f32 v211, v165, v102
	v_fmac_f32_e32 v203, v150, v85
	v_add_f32_e32 v71, v71, v74
	v_mul_f32_e32 v72, v146, v82
	v_dual_mul_f32 v74, v148, v84 :: v_dual_fmac_f32 v207, v158, v93
	v_dual_fmac_f32 v206, v156, v91 :: v_dual_fmac_f32 v211, v166, v101
	s_delay_alu instid0(VALU_DEP_4) | instskip(NEXT) | instid1(VALU_DEP_4)
	v_add_f32_e32 v71, v71, v73
	v_fma_f32 v72, v145, v81, -v72
	v_dual_add_f32 v4, v4, v197 :: v_dual_mul_f32 v73, v150, v86
	v_fma_f32 v74, v147, v83, -v74
	v_dual_mul_f32 v220, v183, v120 :: v_dual_mul_f32 v221, v185, v122
	s_delay_alu instid0(VALU_DEP_3) | instskip(SKIP_3) | instid1(VALU_DEP_4)
	v_dual_add_f32 v71, v71, v72 :: v_dual_add_f32 v4, v4, v198
	v_fmac_f32_e32 v200, v144, v79
	v_mul_f32_e32 v72, v152, v88
	v_fma_f32 v73, v149, v85, -v73
	v_dual_add_f32 v71, v71, v74 :: v_dual_add_f32 v4, v4, v199
	v_mul_f32_e32 v74, v154, v90
	s_delay_alu instid0(VALU_DEP_4) | instskip(SKIP_1) | instid1(VALU_DEP_4)
	v_fma_f32 v72, v151, v87, -v72
	v_fmac_f32_e32 v213, v170, v105
	v_dual_add_f32 v71, v71, v73 :: v_dual_fmac_f32 v202, v148, v83
	v_mul_f32_e32 v73, v156, v92
	v_fma_f32 v74, v153, v89, -v74
	v_dual_mul_f32 v216, v175, v112 :: v_dual_mul_f32 v217, v177, v114
	s_delay_alu instid0(VALU_DEP_4) | instskip(SKIP_3) | instid1(VALU_DEP_3)
	v_add_f32_e32 v71, v71, v72
	v_add_f32_e32 v4, v4, v200
	v_fma_f32 v73, v155, v91, -v73
	v_dual_mul_f32 v218, v179, v116 :: v_dual_mul_f32 v219, v181, v118
	v_dual_add_f32 v71, v71, v74 :: v_dual_add_f32 v4, v4, v201
	v_fmac_f32_e32 v204, v152, v87
	v_dual_mul_f32 v74, v160, v96 :: v_dual_fmac_f32 v209, v162, v97
	s_delay_alu instid0(VALU_DEP_3) | instskip(SKIP_2) | instid1(VALU_DEP_4)
	v_add_f32_e32 v71, v71, v73
	v_mul_f32_e32 v73, v162, v98
	v_fmac_f32_e32 v215, v174, v109
	v_fma_f32 v74, v159, v95, -v74
	v_dual_fmac_f32 v220, v184, v119 :: v_dual_fmac_f32 v227, v3, v133
	s_delay_alu instid0(VALU_DEP_4) | instskip(SKIP_4) | instid1(VALU_DEP_4)
	v_fma_f32 v73, v161, v97, -v73
	v_mul_f32_e32 v72, v158, v94
	v_dual_mul_f32 v222, v187, v124 :: v_dual_mul_f32 v223, v189, v126
	v_fmac_f32_e32 v216, v176, v111
	v_dual_mul_f32 v224, v191, v128 :: v_dual_mul_f32 v225, v193, v130
	v_fma_f32 v72, v157, v93, -v72
	s_delay_alu instid0(VALU_DEP_4) | instskip(NEXT) | instid1(VALU_DEP_3)
	v_dual_add_f32 v4, v4, v202 :: v_dual_fmac_f32 v223, v190, v125
	v_dual_fmac_f32 v218, v180, v115 :: v_dual_fmac_f32 v225, v194, v129
	s_delay_alu instid0(VALU_DEP_2) | instskip(SKIP_2) | instid1(VALU_DEP_3)
	v_dual_add_f32 v71, v71, v72 :: v_dual_add_f32 v4, v4, v203
	v_mul_f32_e32 v72, v164, v100
	v_fmac_f32_e32 v226, v1, v131
	v_dual_fmac_f32 v222, v188, v123 :: v_dual_add_f32 v71, v71, v74
	s_delay_alu instid0(VALU_DEP_4) | instskip(SKIP_2) | instid1(VALU_DEP_4)
	v_add_f32_e32 v4, v4, v204
	v_mul_f32_e32 v74, v166, v102
	v_fma_f32 v72, v163, v99, -v72
	v_dual_fmac_f32 v224, v192, v127 :: v_dual_add_f32 v71, v71, v73
	s_delay_alu instid0(VALU_DEP_4) | instskip(SKIP_4) | instid1(VALU_DEP_4)
	v_add_f32_e32 v4, v4, v205
	v_mul_f32_e32 v73, v168, v104
	v_fma_f32 v74, v165, v101, -v74
	v_fmac_f32_e32 v221, v186, v121
	v_dual_add_f32 v71, v71, v72 :: v_dual_fmac_f32 v208, v160, v95
	v_fma_f32 v73, v167, v103, -v73
	v_fmac_f32_e32 v217, v178, v113
	v_fmac_f32_e32 v219, v182, v117
	s_delay_alu instid0(VALU_DEP_4) | instskip(SKIP_1) | instid1(VALU_DEP_2)
	v_add_f32_e32 v71, v71, v74
	v_add_f32_e32 v4, v4, v206
	v_dual_mul_f32 v74, v172, v108 :: v_dual_add_f32 v71, v71, v73
	s_delay_alu instid0(VALU_DEP_2) | instskip(NEXT) | instid1(VALU_DEP_2)
	v_dual_add_f32 v4, v4, v207 :: v_dual_mul_f32 v73, v174, v110
	v_fma_f32 v74, v171, v107, -v74
	s_delay_alu instid0(VALU_DEP_2) | instskip(SKIP_1) | instid1(VALU_DEP_1)
	v_fma_f32 v73, v173, v109, -v73
	v_mul_f32_e32 v72, v170, v106
	v_fma_f32 v72, v169, v105, -v72
	s_delay_alu instid0(VALU_DEP_1) | instskip(SKIP_1) | instid1(VALU_DEP_2)
	v_dual_fmac_f32 v210, v164, v99 :: v_dual_add_f32 v71, v71, v72
	v_add_f32_e32 v4, v4, v208
	v_dual_mul_f32 v72, v176, v112 :: v_dual_add_f32 v71, v71, v74
	v_mul_f32_e32 v74, v178, v114
	s_delay_alu instid0(VALU_DEP_2) | instskip(NEXT) | instid1(VALU_DEP_3)
	v_fma_f32 v72, v175, v111, -v72
	v_add_f32_e32 v71, v71, v73
	v_add_f32_e32 v4, v4, v209
	v_mul_f32_e32 v73, v180, v116
	v_fma_f32 v74, v177, v113, -v74
	s_delay_alu instid0(VALU_DEP_3) | instskip(SKIP_3) | instid1(VALU_DEP_4)
	v_dual_add_f32 v71, v71, v72 :: v_dual_add_f32 v4, v4, v210
	v_fmac_f32_e32 v212, v168, v103
	v_mul_f32_e32 v72, v182, v118
	v_fma_f32 v73, v179, v115, -v73
	v_dual_add_f32 v71, v71, v74 :: v_dual_add_f32 v4, v4, v211
	v_mul_f32_e32 v74, v184, v120
	s_delay_alu instid0(VALU_DEP_4) | instskip(NEXT) | instid1(VALU_DEP_3)
	v_fma_f32 v72, v181, v117, -v72
	v_dual_add_f32 v71, v71, v73 :: v_dual_add_f32 v4, v4, v212
	v_dual_mul_f32 v73, v186, v122 :: v_dual_fmac_f32 v214, v172, v107
	s_delay_alu instid0(VALU_DEP_4) | instskip(NEXT) | instid1(VALU_DEP_3)
	v_fma_f32 v74, v183, v119, -v74
	v_dual_add_f32 v71, v71, v72 :: v_dual_add_f32 v4, v4, v213
	v_mul_f32_e32 v72, v188, v124
	s_delay_alu instid0(VALU_DEP_4) | instskip(NEXT) | instid1(VALU_DEP_3)
	v_fma_f32 v73, v185, v121, -v73
	v_add_f32_e32 v71, v71, v74
	s_delay_alu instid0(VALU_DEP_4) | instskip(SKIP_2) | instid1(VALU_DEP_3)
	v_add_f32_e32 v4, v4, v214
	v_mul_f32_e32 v74, v190, v126
	v_fma_f32 v72, v187, v123, -v72
	v_dual_add_f32 v71, v71, v73 :: v_dual_add_f32 v4, v4, v215
	v_mul_f32_e32 v73, v192, v128
	s_delay_alu instid0(VALU_DEP_4) | instskip(NEXT) | instid1(VALU_DEP_3)
	v_fma_f32 v74, v189, v125, -v74
	v_add_f32_e32 v71, v71, v72
	s_delay_alu instid0(VALU_DEP_4) | instskip(SKIP_2) | instid1(VALU_DEP_3)
	v_add_f32_e32 v4, v4, v216
	v_mul_f32_e32 v72, v194, v130
	v_fma_f32 v73, v191, v127, -v73
	v_dual_add_f32 v71, v71, v74 :: v_dual_add_f32 v4, v4, v217
	s_delay_alu instid0(VALU_DEP_3) | instskip(NEXT) | instid1(VALU_DEP_2)
	v_fma_f32 v72, v193, v129, -v72
	v_dual_mul_f32 v74, v1, v132 :: v_dual_add_f32 v71, v71, v73
	v_mul_f32_e32 v73, v3, v134
	s_delay_alu instid0(VALU_DEP_4) | instskip(NEXT) | instid1(VALU_DEP_3)
	v_add_f32_e32 v4, v4, v218
	v_fma_f32 v0, v0, v131, -v74
	s_delay_alu instid0(VALU_DEP_4) | instskip(NEXT) | instid1(VALU_DEP_4)
	v_add_f32_e32 v1, v71, v72
	v_fma_f32 v2, v2, v133, -v73
	s_delay_alu instid0(VALU_DEP_4) | instskip(NEXT) | instid1(VALU_DEP_3)
	v_add_f32_e32 v4, v4, v219
	v_add_f32_e32 v0, v1, v0
	s_delay_alu instid0(VALU_DEP_2) | instskip(NEXT) | instid1(VALU_DEP_2)
	v_add_f32_e32 v4, v4, v220
	v_add_f32_e32 v0, v0, v2
	s_delay_alu instid0(VALU_DEP_2) | instskip(SKIP_1) | instid1(VALU_DEP_2)
	v_add_f32_e32 v4, v4, v221
	s_wait_loadcnt 0x0
	v_sub_f32_e32 v0, v195, v0
	s_delay_alu instid0(VALU_DEP_2) | instskip(NEXT) | instid1(VALU_DEP_1)
	v_add_f32_e32 v4, v4, v222
	v_add_f32_e32 v4, v4, v223
	s_delay_alu instid0(VALU_DEP_1) | instskip(NEXT) | instid1(VALU_DEP_1)
	v_add_f32_e32 v4, v4, v224
	v_add_f32_e32 v4, v4, v225
	s_delay_alu instid0(VALU_DEP_1) | instskip(NEXT) | instid1(VALU_DEP_1)
	v_add_f32_e32 v1, v4, v226
	v_add_f32_e32 v1, v1, v227
	s_delay_alu instid0(VALU_DEP_1)
	v_sub_f32_e32 v1, v196, v1
	scratch_store_b64 off, v[0:1], off
	s_wait_alu 0xfffe
	s_cbranch_vccz .LBB32_276
; %bb.212:
	v_mov_b32_e32 v0, 0
	global_load_b32 v1, v0, s[2:3] offset:124
	s_wait_loadcnt 0x0
	v_cmp_ne_u32_e32 vcc_lo, 32, v1
	s_cbranch_vccz .LBB32_214
; %bb.213:
	v_lshlrev_b32_e32 v1, 3, v1
	s_delay_alu instid0(VALU_DEP_1)
	v_mov_b32_e32 v71, v1
	scratch_load_b64 v[1:2], v71, off offset:-8
	scratch_load_b64 v[3:4], off, off offset:248
	s_wait_loadcnt 0x1
	scratch_store_b64 off, v[1:2], off offset:248
	s_wait_loadcnt 0x0
	scratch_store_b64 v71, v[3:4], off offset:-8
.LBB32_214:
	global_load_b32 v0, v0, s[2:3] offset:120
	s_wait_loadcnt 0x0
	v_cmp_eq_u32_e32 vcc_lo, 31, v0
	s_cbranch_vccnz .LBB32_216
; %bb.215:
	v_lshlrev_b32_e32 v0, 3, v0
	s_delay_alu instid0(VALU_DEP_1)
	v_mov_b32_e32 v4, v0
	scratch_load_b64 v[0:1], v4, off offset:-8
	scratch_load_b64 v[2:3], off, off offset:240
	s_wait_loadcnt 0x1
	scratch_store_b64 off, v[0:1], off offset:240
	s_wait_loadcnt 0x0
	scratch_store_b64 v4, v[2:3], off offset:-8
.LBB32_216:
	v_mov_b32_e32 v0, 0
	global_load_b32 v1, v0, s[2:3] offset:116
	s_wait_loadcnt 0x0
	v_cmp_eq_u32_e32 vcc_lo, 30, v1
	s_cbranch_vccnz .LBB32_218
; %bb.217:
	v_lshlrev_b32_e32 v1, 3, v1
	s_delay_alu instid0(VALU_DEP_1)
	v_mov_b32_e32 v71, v1
	scratch_load_b64 v[1:2], v71, off offset:-8
	scratch_load_b64 v[3:4], off, off offset:232
	s_wait_loadcnt 0x1
	scratch_store_b64 off, v[1:2], off offset:232
	s_wait_loadcnt 0x0
	scratch_store_b64 v71, v[3:4], off offset:-8
.LBB32_218:
	global_load_b32 v0, v0, s[2:3] offset:112
	s_wait_loadcnt 0x0
	v_cmp_eq_u32_e32 vcc_lo, 29, v0
	s_cbranch_vccnz .LBB32_220
; %bb.219:
	v_lshlrev_b32_e32 v0, 3, v0
	s_delay_alu instid0(VALU_DEP_1)
	v_mov_b32_e32 v4, v0
	scratch_load_b64 v[0:1], v4, off offset:-8
	scratch_load_b64 v[2:3], off, off offset:224
	s_wait_loadcnt 0x1
	scratch_store_b64 off, v[0:1], off offset:224
	s_wait_loadcnt 0x0
	scratch_store_b64 v4, v[2:3], off offset:-8
.LBB32_220:
	v_mov_b32_e32 v0, 0
	global_load_b32 v1, v0, s[2:3] offset:108
	s_wait_loadcnt 0x0
	v_cmp_eq_u32_e32 vcc_lo, 28, v1
	s_cbranch_vccnz .LBB32_222
; %bb.221:
	v_lshlrev_b32_e32 v1, 3, v1
	s_delay_alu instid0(VALU_DEP_1)
	v_mov_b32_e32 v71, v1
	scratch_load_b64 v[1:2], v71, off offset:-8
	scratch_load_b64 v[3:4], off, off offset:216
	s_wait_loadcnt 0x1
	scratch_store_b64 off, v[1:2], off offset:216
	s_wait_loadcnt 0x0
	scratch_store_b64 v71, v[3:4], off offset:-8
.LBB32_222:
	;; [unrolled: 31-line block ×15, first 2 shown]
	global_load_b32 v0, v0, s[2:3]
	s_wait_loadcnt 0x0
	v_cmp_eq_u32_e32 vcc_lo, 1, v0
	s_cbranch_vccnz .LBB32_276
; %bb.275:
	v_lshlrev_b32_e32 v0, 3, v0
	s_delay_alu instid0(VALU_DEP_1)
	v_mov_b32_e32 v4, v0
	scratch_load_b64 v[0:1], v4, off offset:-8
	scratch_load_b64 v[2:3], off, off
	s_wait_loadcnt 0x1
	scratch_store_b64 off, v[0:1], off
	s_wait_loadcnt 0x0
	scratch_store_b64 v4, v[2:3], off offset:-8
.LBB32_276:
	s_clause 0x10
	scratch_load_b128 v[0:3], off, off
	scratch_load_b128 v[71:74], off, off offset:16
	scratch_load_b128 v[75:78], off, off offset:32
	;; [unrolled: 1-line block ×15, first 2 shown]
	scratch_load_b64 v[131:132], off, off offset:256
	s_wait_loadcnt 0x10
	s_clause 0x1
	global_store_b64 v[5:6], v[0:1], off
	global_store_b64 v[7:8], v[2:3], off
	s_wait_loadcnt 0xf
	s_clause 0x1
	global_store_b64 v[9:10], v[71:72], off
	global_store_b64 v[11:12], v[73:74], off
	;; [unrolled: 4-line block ×16, first 2 shown]
	s_wait_loadcnt 0x0
	global_store_b64 v[69:70], v[131:132], off
	s_nop 0
	s_sendmsg sendmsg(MSG_DEALLOC_VGPRS)
	s_endpgm
	.section	.rodata,"a",@progbits
	.p2align	6, 0x0
	.amdhsa_kernel _ZN9rocsolver6v33100L18getri_kernel_smallILi33E19rocblas_complex_numIfEPS3_EEvT1_iilPiilS6_bb
		.amdhsa_group_segment_fixed_size 536
		.amdhsa_private_segment_fixed_size 272
		.amdhsa_kernarg_size 60
		.amdhsa_user_sgpr_count 2
		.amdhsa_user_sgpr_dispatch_ptr 0
		.amdhsa_user_sgpr_queue_ptr 0
		.amdhsa_user_sgpr_kernarg_segment_ptr 1
		.amdhsa_user_sgpr_dispatch_id 0
		.amdhsa_user_sgpr_private_segment_size 0
		.amdhsa_wavefront_size32 1
		.amdhsa_uses_dynamic_stack 0
		.amdhsa_enable_private_segment 1
		.amdhsa_system_sgpr_workgroup_id_x 1
		.amdhsa_system_sgpr_workgroup_id_y 0
		.amdhsa_system_sgpr_workgroup_id_z 0
		.amdhsa_system_sgpr_workgroup_info 0
		.amdhsa_system_vgpr_workitem_id 0
		.amdhsa_next_free_vgpr 228
		.amdhsa_next_free_sgpr 19
		.amdhsa_reserve_vcc 1
		.amdhsa_float_round_mode_32 0
		.amdhsa_float_round_mode_16_64 0
		.amdhsa_float_denorm_mode_32 3
		.amdhsa_float_denorm_mode_16_64 3
		.amdhsa_fp16_overflow 0
		.amdhsa_workgroup_processor_mode 1
		.amdhsa_memory_ordered 1
		.amdhsa_forward_progress 1
		.amdhsa_inst_pref_size 255
		.amdhsa_round_robin_scheduling 0
		.amdhsa_exception_fp_ieee_invalid_op 0
		.amdhsa_exception_fp_denorm_src 0
		.amdhsa_exception_fp_ieee_div_zero 0
		.amdhsa_exception_fp_ieee_overflow 0
		.amdhsa_exception_fp_ieee_underflow 0
		.amdhsa_exception_fp_ieee_inexact 0
		.amdhsa_exception_int_div_zero 0
	.end_amdhsa_kernel
	.section	.text._ZN9rocsolver6v33100L18getri_kernel_smallILi33E19rocblas_complex_numIfEPS3_EEvT1_iilPiilS6_bb,"axG",@progbits,_ZN9rocsolver6v33100L18getri_kernel_smallILi33E19rocblas_complex_numIfEPS3_EEvT1_iilPiilS6_bb,comdat
.Lfunc_end32:
	.size	_ZN9rocsolver6v33100L18getri_kernel_smallILi33E19rocblas_complex_numIfEPS3_EEvT1_iilPiilS6_bb, .Lfunc_end32-_ZN9rocsolver6v33100L18getri_kernel_smallILi33E19rocblas_complex_numIfEPS3_EEvT1_iilPiilS6_bb
                                        ; -- End function
	.set _ZN9rocsolver6v33100L18getri_kernel_smallILi33E19rocblas_complex_numIfEPS3_EEvT1_iilPiilS6_bb.num_vgpr, 228
	.set _ZN9rocsolver6v33100L18getri_kernel_smallILi33E19rocblas_complex_numIfEPS3_EEvT1_iilPiilS6_bb.num_agpr, 0
	.set _ZN9rocsolver6v33100L18getri_kernel_smallILi33E19rocblas_complex_numIfEPS3_EEvT1_iilPiilS6_bb.numbered_sgpr, 19
	.set _ZN9rocsolver6v33100L18getri_kernel_smallILi33E19rocblas_complex_numIfEPS3_EEvT1_iilPiilS6_bb.num_named_barrier, 0
	.set _ZN9rocsolver6v33100L18getri_kernel_smallILi33E19rocblas_complex_numIfEPS3_EEvT1_iilPiilS6_bb.private_seg_size, 272
	.set _ZN9rocsolver6v33100L18getri_kernel_smallILi33E19rocblas_complex_numIfEPS3_EEvT1_iilPiilS6_bb.uses_vcc, 1
	.set _ZN9rocsolver6v33100L18getri_kernel_smallILi33E19rocblas_complex_numIfEPS3_EEvT1_iilPiilS6_bb.uses_flat_scratch, 1
	.set _ZN9rocsolver6v33100L18getri_kernel_smallILi33E19rocblas_complex_numIfEPS3_EEvT1_iilPiilS6_bb.has_dyn_sized_stack, 0
	.set _ZN9rocsolver6v33100L18getri_kernel_smallILi33E19rocblas_complex_numIfEPS3_EEvT1_iilPiilS6_bb.has_recursion, 0
	.set _ZN9rocsolver6v33100L18getri_kernel_smallILi33E19rocblas_complex_numIfEPS3_EEvT1_iilPiilS6_bb.has_indirect_call, 0
	.section	.AMDGPU.csdata,"",@progbits
; Kernel info:
; codeLenInByte = 42624
; TotalNumSgprs: 21
; NumVgprs: 228
; ScratchSize: 272
; MemoryBound: 0
; FloatMode: 240
; IeeeMode: 1
; LDSByteSize: 536 bytes/workgroup (compile time only)
; SGPRBlocks: 0
; VGPRBlocks: 28
; NumSGPRsForWavesPerEU: 21
; NumVGPRsForWavesPerEU: 228
; Occupancy: 6
; WaveLimiterHint : 1
; COMPUTE_PGM_RSRC2:SCRATCH_EN: 1
; COMPUTE_PGM_RSRC2:USER_SGPR: 2
; COMPUTE_PGM_RSRC2:TRAP_HANDLER: 0
; COMPUTE_PGM_RSRC2:TGID_X_EN: 1
; COMPUTE_PGM_RSRC2:TGID_Y_EN: 0
; COMPUTE_PGM_RSRC2:TGID_Z_EN: 0
; COMPUTE_PGM_RSRC2:TIDIG_COMP_CNT: 0
	.section	.text._ZN9rocsolver6v33100L18getri_kernel_smallILi34E19rocblas_complex_numIfEPS3_EEvT1_iilPiilS6_bb,"axG",@progbits,_ZN9rocsolver6v33100L18getri_kernel_smallILi34E19rocblas_complex_numIfEPS3_EEvT1_iilPiilS6_bb,comdat
	.globl	_ZN9rocsolver6v33100L18getri_kernel_smallILi34E19rocblas_complex_numIfEPS3_EEvT1_iilPiilS6_bb ; -- Begin function _ZN9rocsolver6v33100L18getri_kernel_smallILi34E19rocblas_complex_numIfEPS3_EEvT1_iilPiilS6_bb
	.p2align	8
	.type	_ZN9rocsolver6v33100L18getri_kernel_smallILi34E19rocblas_complex_numIfEPS3_EEvT1_iilPiilS6_bb,@function
_ZN9rocsolver6v33100L18getri_kernel_smallILi34E19rocblas_complex_numIfEPS3_EEvT1_iilPiilS6_bb: ; @_ZN9rocsolver6v33100L18getri_kernel_smallILi34E19rocblas_complex_numIfEPS3_EEvT1_iilPiilS6_bb
; %bb.0:
	s_mov_b32 s2, exec_lo
	v_cmpx_gt_u32_e32 34, v0
	s_cbranch_execz .LBB33_150
; %bb.1:
	s_clause 0x2
	s_load_b32 s2, s[0:1], 0x38
	s_load_b128 s[12:15], s[0:1], 0x10
	s_load_b128 s[4:7], s[0:1], 0x28
	s_mov_b32 s16, ttmp9
	s_wait_kmcnt 0x0
	s_bitcmp1_b32 s2, 8
	s_cselect_b32 s18, -1, 0
	s_bfe_u32 s2, s2, 0x10008
	s_ashr_i32 s17, ttmp9, 31
	s_cmp_eq_u32 s2, 0
                                        ; implicit-def: $sgpr2_sgpr3
	s_cbranch_scc1 .LBB33_3
; %bb.2:
	s_load_b32 s2, s[0:1], 0x20
	s_mul_u64 s[4:5], s[4:5], s[16:17]
	s_delay_alu instid0(SALU_CYCLE_1) | instskip(NEXT) | instid1(SALU_CYCLE_1)
	s_lshl_b64 s[4:5], s[4:5], 2
	s_add_nc_u64 s[4:5], s[14:15], s[4:5]
	s_wait_kmcnt 0x0
	s_ashr_i32 s3, s2, 31
	s_delay_alu instid0(SALU_CYCLE_1) | instskip(NEXT) | instid1(SALU_CYCLE_1)
	s_lshl_b64 s[2:3], s[2:3], 2
	s_add_nc_u64 s[2:3], s[4:5], s[2:3]
.LBB33_3:
	s_clause 0x1
	s_load_b128 s[8:11], s[0:1], 0x0
	s_load_b32 s4, s[0:1], 0x38
	s_mul_u64 s[0:1], s[12:13], s[16:17]
	v_lshlrev_b32_e32 v75, 3, v0
	s_lshl_b64 s[0:1], s[0:1], 3
	s_wait_kmcnt 0x0
	v_add3_u32 v3, s11, s11, v0
	s_ashr_i32 s13, s10, 31
	s_mov_b32 s12, s10
	s_add_nc_u64 s[0:1], s[8:9], s[0:1]
	s_lshl_b64 s[12:13], s[12:13], 3
	v_add_nc_u32_e32 v9, s11, v3
	v_ashrrev_i32_e32 v4, 31, v3
	s_add_nc_u64 s[0:1], s[0:1], s[12:13]
	s_ashr_i32 s9, s11, 31
	v_add_co_u32 v5, s5, s0, v75
	v_add_nc_u32_e32 v11, s11, v9
	s_mov_b32 s8, s11
	v_lshlrev_b64_e32 v[3:4], 3, v[3:4]
	v_add_co_ci_u32_e64 v6, null, s1, 0, s5
	v_ashrrev_i32_e32 v10, 31, v9
	v_add_nc_u32_e32 v15, s11, v11
	s_lshl_b64 s[8:9], s[8:9], 3
	v_ashrrev_i32_e32 v12, 31, v11
	v_add_co_u32 v7, vcc_lo, v5, s8
	s_delay_alu instid0(VALU_DEP_1)
	v_add_co_ci_u32_e64 v8, null, s9, v6, vcc_lo
	v_lshlrev_b64_e32 v[13:14], 3, v[9:10]
	v_add_co_u32 v9, vcc_lo, s0, v3
	v_add_nc_u32_e32 v3, s11, v15
	v_lshlrev_b64_e32 v[17:18], 3, v[11:12]
	v_ashrrev_i32_e32 v16, 31, v15
	s_wait_alu 0xfffd
	v_add_co_ci_u32_e64 v10, null, s1, v4, vcc_lo
	v_add_nc_u32_e32 v19, s11, v3
	v_ashrrev_i32_e32 v4, 31, v3
	v_add_co_u32 v11, vcc_lo, s0, v13
	s_wait_alu 0xfffd
	v_add_co_ci_u32_e64 v12, null, s1, v14, vcc_lo
	v_add_nc_u32_e32 v21, s11, v19
	v_ashrrev_i32_e32 v20, 31, v19
	v_lshlrev_b64_e32 v[15:16], 3, v[15:16]
	v_add_co_u32 v13, vcc_lo, s0, v17
	s_delay_alu instid0(VALU_DEP_4)
	v_add_nc_u32_e32 v23, s11, v21
	v_ashrrev_i32_e32 v22, 31, v21
	s_wait_alu 0xfffd
	v_add_co_ci_u32_e64 v14, null, s1, v18, vcc_lo
	v_lshlrev_b64_e32 v[17:18], 3, v[3:4]
	v_add_nc_u32_e32 v25, s11, v23
	v_ashrrev_i32_e32 v24, 31, v23
	v_lshlrev_b64_e32 v[19:20], 3, v[19:20]
	v_add_co_u32 v15, vcc_lo, s0, v15
	s_delay_alu instid0(VALU_DEP_4)
	v_add_nc_u32_e32 v27, s11, v25
	v_ashrrev_i32_e32 v26, 31, v25
	v_lshlrev_b64_e32 v[21:22], 3, v[21:22]
	s_wait_alu 0xfffd
	v_add_co_ci_u32_e64 v16, null, s1, v16, vcc_lo
	v_add_nc_u32_e32 v29, s11, v27
	v_ashrrev_i32_e32 v28, 31, v27
	v_add_co_u32 v17, vcc_lo, s0, v17
	v_lshlrev_b64_e32 v[23:24], 3, v[23:24]
	s_delay_alu instid0(VALU_DEP_4)
	v_add_nc_u32_e32 v31, s11, v29
	v_ashrrev_i32_e32 v30, 31, v29
	s_wait_alu 0xfffd
	v_add_co_ci_u32_e64 v18, null, s1, v18, vcc_lo
	v_add_co_u32 v19, vcc_lo, s0, v19
	v_add_nc_u32_e32 v33, s11, v31
	v_lshlrev_b64_e32 v[25:26], 3, v[25:26]
	v_ashrrev_i32_e32 v32, 31, v31
	s_wait_alu 0xfffd
	v_add_co_ci_u32_e64 v20, null, s1, v20, vcc_lo
	v_add_nc_u32_e32 v35, s11, v33
	v_add_co_u32 v21, vcc_lo, s0, v21
	v_lshlrev_b64_e32 v[27:28], 3, v[27:28]
	v_ashrrev_i32_e32 v34, 31, v33
	s_delay_alu instid0(VALU_DEP_4) | instskip(SKIP_3) | instid1(VALU_DEP_3)
	v_add_nc_u32_e32 v37, s11, v35
	s_wait_alu 0xfffd
	v_add_co_ci_u32_e64 v22, null, s1, v22, vcc_lo
	v_add_co_u32 v23, vcc_lo, s0, v23
	v_add_nc_u32_e32 v39, s11, v37
	v_lshlrev_b64_e32 v[29:30], 3, v[29:30]
	v_ashrrev_i32_e32 v36, 31, v35
	s_wait_alu 0xfffd
	v_add_co_ci_u32_e64 v24, null, s1, v24, vcc_lo
	v_add_nc_u32_e32 v41, s11, v39
	v_add_co_u32 v25, vcc_lo, s0, v25
	v_lshlrev_b64_e32 v[31:32], 3, v[31:32]
	v_ashrrev_i32_e32 v38, 31, v37
	s_delay_alu instid0(VALU_DEP_4) | instskip(SKIP_3) | instid1(VALU_DEP_3)
	v_add_nc_u32_e32 v43, s11, v41
	;; [unrolled: 14-line block ×4, first 2 shown]
	s_wait_alu 0xfffd
	v_add_co_ci_u32_e64 v34, null, s1, v34, vcc_lo
	v_add_co_u32 v35, vcc_lo, s0, v35
	v_add_nc_u32_e32 v58, s11, v56
	v_lshlrev_b64_e32 v[41:42], 3, v[41:42]
	v_ashrrev_i32_e32 v48, 31, v47
	s_wait_alu 0xfffd
	v_add_co_ci_u32_e64 v36, null, s1, v36, vcc_lo
	v_add_nc_u32_e32 v60, s11, v58
	v_add_co_u32 v37, vcc_lo, s0, v37
	v_lshlrev_b64_e32 v[43:44], 3, v[43:44]
	v_ashrrev_i32_e32 v50, 31, v49
	s_wait_alu 0xfffd
	v_add_co_ci_u32_e64 v38, null, s1, v38, vcc_lo
	v_add_co_u32 v39, vcc_lo, s0, v39
	v_lshlrev_b64_e32 v[45:46], 3, v[45:46]
	v_ashrrev_i32_e32 v52, 31, v51
	v_add_nc_u32_e32 v62, s11, v60
	s_wait_alu 0xfffd
	v_add_co_ci_u32_e64 v40, null, s1, v40, vcc_lo
	v_add_co_u32 v41, vcc_lo, s0, v41
	v_lshlrev_b64_e32 v[47:48], 3, v[47:48]
	s_wait_alu 0xfffd
	v_add_co_ci_u32_e64 v42, null, s1, v42, vcc_lo
	v_add_co_u32 v43, vcc_lo, s0, v43
	v_lshlrev_b64_e32 v[49:50], 3, v[49:50]
	;; [unrolled: 4-line block ×3, first 2 shown]
	v_add_nc_u32_e32 v64, s11, v62
	s_wait_alu 0xfffd
	v_add_co_ci_u32_e64 v46, null, s1, v46, vcc_lo
	v_add_co_u32 v47, vcc_lo, s0, v47
	v_ashrrev_i32_e32 v55, 31, v54
	s_wait_alu 0xfffd
	v_add_co_ci_u32_e64 v48, null, s1, v48, vcc_lo
	v_add_co_u32 v49, vcc_lo, s0, v49
	v_ashrrev_i32_e32 v57, 31, v56
	v_ashrrev_i32_e32 v59, 31, v58
	v_ashrrev_i32_e32 v61, 31, v60
	v_ashrrev_i32_e32 v63, 31, v62
	v_ashrrev_i32_e32 v65, 31, v64
	v_add_nc_u32_e32 v66, s11, v64
	s_wait_alu 0xfffd
	v_add_co_ci_u32_e64 v50, null, s1, v50, vcc_lo
	v_add_co_u32 v51, vcc_lo, s0, v52
	s_wait_alu 0xfffd
	v_add_co_ci_u32_e64 v52, null, s1, v53, vcc_lo
	v_lshlrev_b64_e32 v[53:54], 3, v[54:55]
	v_lshlrev_b64_e32 v[55:56], 3, v[56:57]
	;; [unrolled: 1-line block ×6, first 2 shown]
	v_add_nc_u32_e32 v65, s11, v66
	v_ashrrev_i32_e32 v67, 31, v66
	v_add_co_u32 v53, vcc_lo, s0, v53
	s_wait_alu 0xfffd
	v_add_co_ci_u32_e64 v54, null, s1, v54, vcc_lo
	v_add_nc_u32_e32 v69, s11, v65
	v_add_co_u32 v55, vcc_lo, s0, v55
	v_lshlrev_b64_e32 v[67:68], 3, v[66:67]
	v_ashrrev_i32_e32 v66, 31, v65
	s_wait_alu 0xfffd
	v_add_co_ci_u32_e64 v56, null, s1, v56, vcc_lo
	v_add_co_u32 v57, vcc_lo, s0, v57
	s_wait_alu 0xfffd
	v_add_co_ci_u32_e64 v58, null, s1, v58, vcc_lo
	v_add_co_u32 v59, vcc_lo, s0, v59
	v_add_nc_u32_e32 v73, s11, v69
	s_wait_alu 0xfffd
	v_add_co_ci_u32_e64 v60, null, s1, v60, vcc_lo
	v_add_co_u32 v61, vcc_lo, s0, v61
	v_lshlrev_b64_e32 v[71:72], 3, v[65:66]
	v_ashrrev_i32_e32 v70, 31, v69
	s_wait_alu 0xfffd
	v_add_co_ci_u32_e64 v62, null, s1, v62, vcc_lo
	v_add_co_u32 v63, vcc_lo, s0, v63
	v_ashrrev_i32_e32 v74, 31, v73
	s_wait_alu 0xfffd
	v_add_co_ci_u32_e64 v64, null, s1, v64, vcc_lo
	v_add_co_u32 v65, vcc_lo, s0, v67
	s_wait_alu 0xfffd
	v_add_co_ci_u32_e64 v66, null, s1, v68, vcc_lo
	v_lshlrev_b64_e32 v[69:70], 3, v[69:70]
	v_add_co_u32 v67, vcc_lo, s0, v71
	s_wait_alu 0xfffd
	v_add_co_ci_u32_e64 v68, null, s1, v72, vcc_lo
	v_lshlrev_b64_e32 v[71:72], 3, v[73:74]
	s_delay_alu instid0(VALU_DEP_4)
	v_add_co_u32 v69, vcc_lo, s0, v69
	s_wait_alu 0xfffd
	v_add_co_ci_u32_e64 v70, null, s1, v70, vcc_lo
	global_load_b64 v[1:2], v75, s[0:1]
	v_add_co_u32 v71, vcc_lo, s0, v71
	s_wait_alu 0xfffd
	v_add_co_ci_u32_e64 v72, null, s1, v72, vcc_lo
	s_clause 0x1f
	global_load_b64 v[3:4], v[7:8], off
	global_load_b64 v[76:77], v[9:10], off
	;; [unrolled: 1-line block ×33, first 2 shown]
	s_bitcmp0_b32 s4, 0
	s_mov_b32 s1, -1
	s_wait_loadcnt 0x20
	scratch_store_b128 off, v[1:4], off
	s_wait_loadcnt 0x1e
	scratch_store_b128 off, v[76:79], off offset:16
	s_wait_loadcnt 0x1c
	scratch_store_b128 off, v[80:83], off offset:32
	;; [unrolled: 2-line block ×16, first 2 shown]
	s_cbranch_scc1 .LBB33_148
; %bb.4:
	v_cmp_eq_u32_e64 s0, 0, v0
	s_and_saveexec_b32 s1, s0
; %bb.5:
	v_mov_b32_e32 v1, 0
	ds_store_b32 v1, v1 offset:544
; %bb.6:
	s_wait_alu 0xfffe
	s_or_b32 exec_lo, exec_lo, s1
	s_wait_storecnt_dscnt 0x0
	s_barrier_signal -1
	s_barrier_wait -1
	global_inv scope:SCOPE_SE
	scratch_load_b64 v[1:2], v75, off
	s_wait_loadcnt 0x0
	v_cmp_eq_f32_e32 vcc_lo, 0, v1
	v_cmp_eq_f32_e64 s1, 0, v2
	s_and_b32 s1, vcc_lo, s1
	s_wait_alu 0xfffe
	s_and_saveexec_b32 s4, s1
	s_cbranch_execz .LBB33_10
; %bb.7:
	v_mov_b32_e32 v1, 0
	s_mov_b32 s5, 0
	ds_load_b32 v2, v1 offset:544
	s_wait_dscnt 0x0
	v_readfirstlane_b32 s1, v2
	v_add_nc_u32_e32 v2, 1, v0
	s_cmp_eq_u32 s1, 0
	s_delay_alu instid0(VALU_DEP_1)
	v_cmp_gt_i32_e32 vcc_lo, s1, v2
	s_cselect_b32 s8, -1, 0
	s_wait_alu 0xfffe
	s_or_b32 s8, s8, vcc_lo
	s_wait_alu 0xfffe
	s_and_b32 exec_lo, exec_lo, s8
	s_cbranch_execz .LBB33_10
; %bb.8:
	v_mov_b32_e32 v3, s1
.LBB33_9:                               ; =>This Inner Loop Header: Depth=1
	ds_cmpstore_rtn_b32 v3, v1, v2, v3 offset:544
	s_wait_dscnt 0x0
	v_cmp_ne_u32_e32 vcc_lo, 0, v3
	v_cmp_le_i32_e64 s1, v3, v2
	s_and_b32 s1, vcc_lo, s1
	s_wait_alu 0xfffe
	s_and_b32 s1, exec_lo, s1
	s_wait_alu 0xfffe
	s_or_b32 s5, s1, s5
	s_wait_alu 0xfffe
	s_and_not1_b32 exec_lo, exec_lo, s5
	s_cbranch_execnz .LBB33_9
.LBB33_10:
	s_wait_alu 0xfffe
	s_or_b32 exec_lo, exec_lo, s4
	v_mov_b32_e32 v1, 0
	s_barrier_signal -1
	s_barrier_wait -1
	global_inv scope:SCOPE_SE
	ds_load_b32 v2, v1 offset:544
	s_and_saveexec_b32 s1, s0
	s_cbranch_execz .LBB33_12
; %bb.11:
	s_lshl_b64 s[4:5], s[16:17], 2
	s_wait_alu 0xfffe
	s_add_nc_u64 s[4:5], s[6:7], s[4:5]
	s_wait_dscnt 0x0
	global_store_b32 v1, v2, s[4:5]
.LBB33_12:
	s_wait_alu 0xfffe
	s_or_b32 exec_lo, exec_lo, s1
	s_wait_dscnt 0x0
	v_cmp_ne_u32_e32 vcc_lo, 0, v2
	s_mov_b32 s1, 0
	s_cbranch_vccnz .LBB33_148
; %bb.13:
	v_mov_b32_e32 v76, v75
                                        ; implicit-def: $vgpr3
                                        ; implicit-def: $vgpr73
	scratch_load_b64 v[1:2], v76, off
	s_wait_loadcnt 0x0
	v_cmp_ngt_f32_e64 s1, |v1|, |v2|
	s_wait_alu 0xfffe
	s_and_saveexec_b32 s4, s1
	s_wait_alu 0xfffe
	s_xor_b32 s1, exec_lo, s4
	s_cbranch_execz .LBB33_15
; %bb.14:
	v_div_scale_f32 v3, null, v2, v2, v1
	v_div_scale_f32 v74, vcc_lo, v1, v2, v1
	s_delay_alu instid0(VALU_DEP_2) | instskip(NEXT) | instid1(TRANS32_DEP_1)
	v_rcp_f32_e32 v4, v3
	v_fma_f32 v73, -v3, v4, 1.0
	s_delay_alu instid0(VALU_DEP_1) | instskip(NEXT) | instid1(VALU_DEP_1)
	v_fmac_f32_e32 v4, v73, v4
	v_mul_f32_e32 v73, v74, v4
	s_delay_alu instid0(VALU_DEP_1) | instskip(NEXT) | instid1(VALU_DEP_1)
	v_fma_f32 v77, -v3, v73, v74
	v_fmac_f32_e32 v73, v77, v4
	s_delay_alu instid0(VALU_DEP_1) | instskip(SKIP_1) | instid1(VALU_DEP_1)
	v_fma_f32 v3, -v3, v73, v74
	s_wait_alu 0xfffd
	v_div_fmas_f32 v3, v3, v4, v73
	s_delay_alu instid0(VALU_DEP_1) | instskip(NEXT) | instid1(VALU_DEP_1)
	v_div_fixup_f32 v3, v3, v2, v1
	v_fmac_f32_e32 v2, v1, v3
	s_delay_alu instid0(VALU_DEP_1) | instskip(NEXT) | instid1(VALU_DEP_1)
	v_div_scale_f32 v1, null, v2, v2, 1.0
	v_rcp_f32_e32 v4, v1
	s_delay_alu instid0(TRANS32_DEP_1) | instskip(NEXT) | instid1(VALU_DEP_1)
	v_fma_f32 v73, -v1, v4, 1.0
	v_fmac_f32_e32 v4, v73, v4
	v_div_scale_f32 v73, vcc_lo, 1.0, v2, 1.0
	s_delay_alu instid0(VALU_DEP_1) | instskip(NEXT) | instid1(VALU_DEP_1)
	v_mul_f32_e32 v74, v73, v4
	v_fma_f32 v77, -v1, v74, v73
	s_delay_alu instid0(VALU_DEP_1) | instskip(NEXT) | instid1(VALU_DEP_1)
	v_fmac_f32_e32 v74, v77, v4
	v_fma_f32 v1, -v1, v74, v73
	s_wait_alu 0xfffd
	s_delay_alu instid0(VALU_DEP_1) | instskip(NEXT) | instid1(VALU_DEP_1)
	v_div_fmas_f32 v1, v1, v4, v74
	v_div_fixup_f32 v1, v1, v2, 1.0
	s_delay_alu instid0(VALU_DEP_1) | instskip(SKIP_1) | instid1(VALU_DEP_2)
	v_mul_f32_e32 v3, v3, v1
	v_xor_b32_e32 v4, 0x80000000, v1
                                        ; implicit-def: $vgpr1_vgpr2
	v_xor_b32_e32 v73, 0x80000000, v3
.LBB33_15:
	s_wait_alu 0xfffe
	s_and_not1_saveexec_b32 s1, s1
	s_cbranch_execz .LBB33_17
; %bb.16:
	v_div_scale_f32 v3, null, v1, v1, v2
	v_div_scale_f32 v74, vcc_lo, v2, v1, v2
	s_delay_alu instid0(VALU_DEP_2) | instskip(NEXT) | instid1(TRANS32_DEP_1)
	v_rcp_f32_e32 v4, v3
	v_fma_f32 v73, -v3, v4, 1.0
	s_delay_alu instid0(VALU_DEP_1) | instskip(NEXT) | instid1(VALU_DEP_1)
	v_fmac_f32_e32 v4, v73, v4
	v_mul_f32_e32 v73, v74, v4
	s_delay_alu instid0(VALU_DEP_1) | instskip(NEXT) | instid1(VALU_DEP_1)
	v_fma_f32 v77, -v3, v73, v74
	v_fmac_f32_e32 v73, v77, v4
	s_delay_alu instid0(VALU_DEP_1) | instskip(SKIP_1) | instid1(VALU_DEP_1)
	v_fma_f32 v3, -v3, v73, v74
	s_wait_alu 0xfffd
	v_div_fmas_f32 v3, v3, v4, v73
	s_delay_alu instid0(VALU_DEP_1) | instskip(NEXT) | instid1(VALU_DEP_1)
	v_div_fixup_f32 v4, v3, v1, v2
	v_fmac_f32_e32 v1, v2, v4
	s_delay_alu instid0(VALU_DEP_1) | instskip(SKIP_1) | instid1(VALU_DEP_2)
	v_div_scale_f32 v2, null, v1, v1, 1.0
	v_div_scale_f32 v74, vcc_lo, 1.0, v1, 1.0
	v_rcp_f32_e32 v3, v2
	s_delay_alu instid0(TRANS32_DEP_1) | instskip(NEXT) | instid1(VALU_DEP_1)
	v_fma_f32 v73, -v2, v3, 1.0
	v_fmac_f32_e32 v3, v73, v3
	s_delay_alu instid0(VALU_DEP_1) | instskip(NEXT) | instid1(VALU_DEP_1)
	v_mul_f32_e32 v73, v74, v3
	v_fma_f32 v77, -v2, v73, v74
	s_delay_alu instid0(VALU_DEP_1) | instskip(NEXT) | instid1(VALU_DEP_1)
	v_fmac_f32_e32 v73, v77, v3
	v_fma_f32 v2, -v2, v73, v74
	s_wait_alu 0xfffd
	s_delay_alu instid0(VALU_DEP_1) | instskip(NEXT) | instid1(VALU_DEP_1)
	v_div_fmas_f32 v2, v2, v3, v73
	v_div_fixup_f32 v3, v2, v1, 1.0
	s_delay_alu instid0(VALU_DEP_1)
	v_xor_b32_e32 v73, 0x80000000, v3
	v_mul_f32_e64 v4, v4, -v3
.LBB33_17:
	s_wait_alu 0xfffe
	s_or_b32 exec_lo, exec_lo, s1
	scratch_store_b64 v76, v[3:4], off
	scratch_load_b64 v[2:3], off, off offset:8
	v_xor_b32_e32 v74, 0x80000000, v4
	v_add_nc_u32_e32 v1, 0x110, v75
	s_wait_loadcnt 0x0
	ds_store_2addr_b64 v75, v[73:74], v[2:3] offset1:34
	s_wait_storecnt_dscnt 0x0
	s_barrier_signal -1
	s_barrier_wait -1
	global_inv scope:SCOPE_SE
	s_and_saveexec_b32 s1, s0
	s_cbranch_execz .LBB33_19
; %bb.18:
	scratch_load_b64 v[2:3], v76, off
	ds_load_b64 v[73:74], v1
	v_mov_b32_e32 v4, 0
	ds_load_b64 v[77:78], v4 offset:8
	s_wait_loadcnt_dscnt 0x1
	v_mul_f32_e32 v4, v73, v3
	v_mul_f32_e32 v3, v74, v3
	s_delay_alu instid0(VALU_DEP_2) | instskip(NEXT) | instid1(VALU_DEP_2)
	v_fmac_f32_e32 v4, v74, v2
	v_fma_f32 v2, v73, v2, -v3
	s_delay_alu instid0(VALU_DEP_2) | instskip(NEXT) | instid1(VALU_DEP_2)
	v_add_f32_e32 v4, 0, v4
	v_add_f32_e32 v2, 0, v2
	s_wait_dscnt 0x0
	s_delay_alu instid0(VALU_DEP_2) | instskip(NEXT) | instid1(VALU_DEP_2)
	v_mul_f32_e32 v73, v4, v78
	v_mul_f32_e32 v3, v2, v78
	s_delay_alu instid0(VALU_DEP_1) | instskip(NEXT) | instid1(VALU_DEP_3)
	v_fmac_f32_e32 v3, v4, v77
	v_fma_f32 v2, v2, v77, -v73
	scratch_store_b64 off, v[2:3], off offset:8
.LBB33_19:
	s_wait_alu 0xfffe
	s_or_b32 exec_lo, exec_lo, s1
	s_wait_loadcnt 0x0
	s_wait_storecnt 0x0
	s_barrier_signal -1
	s_barrier_wait -1
	global_inv scope:SCOPE_SE
	scratch_load_b64 v[2:3], off, off offset:16
	s_mov_b32 s1, exec_lo
	s_wait_loadcnt 0x0
	ds_store_b64 v1, v[2:3]
	s_wait_dscnt 0x0
	s_barrier_signal -1
	s_barrier_wait -1
	global_inv scope:SCOPE_SE
	v_cmpx_gt_u32_e32 2, v0
	s_cbranch_execz .LBB33_23
; %bb.20:
	scratch_load_b64 v[2:3], v76, off
	ds_load_b64 v[73:74], v1
	s_wait_loadcnt_dscnt 0x0
	v_mul_f32_e32 v4, v74, v3
	v_mul_f32_e32 v77, v73, v3
	s_delay_alu instid0(VALU_DEP_2) | instskip(NEXT) | instid1(VALU_DEP_2)
	v_fma_f32 v3, v73, v2, -v4
	v_fmac_f32_e32 v77, v74, v2
	s_delay_alu instid0(VALU_DEP_1)
	v_dual_add_f32 v3, 0, v3 :: v_dual_add_f32 v2, 0, v77
	s_and_saveexec_b32 s4, s0
	s_cbranch_execz .LBB33_22
; %bb.21:
	scratch_load_b64 v[73:74], off, off offset:8
	v_mov_b32_e32 v4, 0
	ds_load_b64 v[77:78], v4 offset:280
	s_wait_loadcnt_dscnt 0x0
	v_mul_f32_e32 v4, v77, v74
	v_mul_f32_e32 v74, v78, v74
	s_delay_alu instid0(VALU_DEP_2) | instskip(NEXT) | instid1(VALU_DEP_2)
	v_fmac_f32_e32 v4, v78, v73
	v_fma_f32 v73, v77, v73, -v74
	s_delay_alu instid0(VALU_DEP_1)
	v_dual_add_f32 v2, v2, v4 :: v_dual_add_f32 v3, v3, v73
.LBB33_22:
	s_wait_alu 0xfffe
	s_or_b32 exec_lo, exec_lo, s4
	v_mov_b32_e32 v4, 0
	ds_load_b64 v[73:74], v4 offset:16
	s_wait_dscnt 0x0
	v_mul_f32_e32 v77, v2, v74
	v_mul_f32_e32 v4, v3, v74
	s_delay_alu instid0(VALU_DEP_2) | instskip(NEXT) | instid1(VALU_DEP_2)
	v_fma_f32 v3, v3, v73, -v77
	v_fmac_f32_e32 v4, v2, v73
	scratch_store_b64 off, v[3:4], off offset:16
.LBB33_23:
	s_wait_alu 0xfffe
	s_or_b32 exec_lo, exec_lo, s1
	s_wait_loadcnt 0x0
	s_wait_storecnt 0x0
	s_barrier_signal -1
	s_barrier_wait -1
	global_inv scope:SCOPE_SE
	scratch_load_b64 v[3:4], off, off offset:24
	v_add_nc_u32_e32 v2, -1, v0
	s_mov_b32 s0, exec_lo
	s_wait_loadcnt 0x0
	ds_store_b64 v1, v[3:4]
	s_wait_dscnt 0x0
	s_barrier_signal -1
	s_barrier_wait -1
	global_inv scope:SCOPE_SE
	v_cmpx_gt_u32_e32 3, v0
	s_cbranch_execz .LBB33_27
; %bb.24:
	v_dual_mov_b32 v3, 0 :: v_dual_add_nc_u32 v4, -1, v0
	v_dual_mov_b32 v74, v75 :: v_dual_add_nc_u32 v73, 0x110, v75
	v_mov_b32_e32 v77, 0
	s_mov_b32 s1, 0
.LBB33_25:                              ; =>This Inner Loop Header: Depth=1
	scratch_load_b64 v[78:79], v74, off
	ds_load_b64 v[80:81], v73
	v_add_nc_u32_e32 v4, 1, v4
	v_add_nc_u32_e32 v73, 8, v73
	s_delay_alu instid0(VALU_DEP_2)
	v_cmp_lt_u32_e32 vcc_lo, 1, v4
	s_wait_alu 0xfffe
	s_or_b32 s1, vcc_lo, s1
	s_wait_loadcnt_dscnt 0x0
	v_mul_f32_e32 v82, v81, v79
	v_mul_f32_e32 v79, v80, v79
	s_delay_alu instid0(VALU_DEP_2) | instskip(NEXT) | instid1(VALU_DEP_2)
	v_fma_f32 v80, v80, v78, -v82
	v_fmac_f32_e32 v79, v81, v78
	s_delay_alu instid0(VALU_DEP_2) | instskip(NEXT) | instid1(VALU_DEP_2)
	v_dual_add_f32 v77, v77, v80 :: v_dual_add_nc_u32 v74, 8, v74
	v_add_f32_e32 v3, v3, v79
	s_wait_alu 0xfffe
	s_and_not1_b32 exec_lo, exec_lo, s1
	s_cbranch_execnz .LBB33_25
; %bb.26:
	s_or_b32 exec_lo, exec_lo, s1
	v_mov_b32_e32 v4, 0
	ds_load_b64 v[73:74], v4 offset:24
	s_wait_dscnt 0x0
	v_mul_f32_e32 v4, v3, v74
	v_mul_f32_e32 v78, v77, v74
	s_delay_alu instid0(VALU_DEP_2) | instskip(NEXT) | instid1(VALU_DEP_2)
	v_fma_f32 v77, v77, v73, -v4
	v_fmac_f32_e32 v78, v3, v73
	scratch_store_b64 off, v[77:78], off offset:24
.LBB33_27:
	s_wait_alu 0xfffe
	s_or_b32 exec_lo, exec_lo, s0
	s_wait_loadcnt 0x0
	s_wait_storecnt 0x0
	s_barrier_signal -1
	s_barrier_wait -1
	global_inv scope:SCOPE_SE
	scratch_load_b64 v[3:4], off, off offset:32
	s_mov_b32 s0, exec_lo
	s_wait_loadcnt 0x0
	ds_store_b64 v1, v[3:4]
	s_wait_dscnt 0x0
	s_barrier_signal -1
	s_barrier_wait -1
	global_inv scope:SCOPE_SE
	v_cmpx_gt_u32_e32 4, v0
	s_cbranch_execz .LBB33_31
; %bb.28:
	v_dual_mov_b32 v3, 0 :: v_dual_add_nc_u32 v4, -1, v0
	v_dual_mov_b32 v74, v75 :: v_dual_add_nc_u32 v73, 0x110, v75
	v_mov_b32_e32 v77, 0
	s_mov_b32 s1, 0
.LBB33_29:                              ; =>This Inner Loop Header: Depth=1
	scratch_load_b64 v[78:79], v74, off
	ds_load_b64 v[80:81], v73
	v_add_nc_u32_e32 v4, 1, v4
	v_add_nc_u32_e32 v73, 8, v73
	s_delay_alu instid0(VALU_DEP_2)
	v_cmp_lt_u32_e32 vcc_lo, 2, v4
	s_wait_alu 0xfffe
	s_or_b32 s1, vcc_lo, s1
	s_wait_loadcnt_dscnt 0x0
	v_mul_f32_e32 v82, v81, v79
	v_mul_f32_e32 v79, v80, v79
	s_delay_alu instid0(VALU_DEP_2) | instskip(NEXT) | instid1(VALU_DEP_2)
	v_fma_f32 v80, v80, v78, -v82
	v_fmac_f32_e32 v79, v81, v78
	s_delay_alu instid0(VALU_DEP_2) | instskip(NEXT) | instid1(VALU_DEP_2)
	v_dual_add_f32 v77, v77, v80 :: v_dual_add_nc_u32 v74, 8, v74
	v_add_f32_e32 v3, v3, v79
	s_wait_alu 0xfffe
	s_and_not1_b32 exec_lo, exec_lo, s1
	s_cbranch_execnz .LBB33_29
; %bb.30:
	s_or_b32 exec_lo, exec_lo, s1
	v_mov_b32_e32 v4, 0
	ds_load_b64 v[73:74], v4 offset:32
	s_wait_dscnt 0x0
	v_mul_f32_e32 v4, v3, v74
	v_mul_f32_e32 v78, v77, v74
	s_delay_alu instid0(VALU_DEP_2) | instskip(NEXT) | instid1(VALU_DEP_2)
	v_fma_f32 v77, v77, v73, -v4
	v_fmac_f32_e32 v78, v3, v73
	scratch_store_b64 off, v[77:78], off offset:32
.LBB33_31:
	s_wait_alu 0xfffe
	s_or_b32 exec_lo, exec_lo, s0
	s_wait_loadcnt 0x0
	s_wait_storecnt 0x0
	s_barrier_signal -1
	s_barrier_wait -1
	global_inv scope:SCOPE_SE
	scratch_load_b64 v[3:4], off, off offset:40
	s_mov_b32 s0, exec_lo
	s_wait_loadcnt 0x0
	ds_store_b64 v1, v[3:4]
	s_wait_dscnt 0x0
	s_barrier_signal -1
	s_barrier_wait -1
	global_inv scope:SCOPE_SE
	v_cmpx_gt_u32_e32 5, v0
	s_cbranch_execz .LBB33_35
; %bb.32:
	v_dual_mov_b32 v3, 0 :: v_dual_add_nc_u32 v4, -1, v0
	v_dual_mov_b32 v74, v75 :: v_dual_add_nc_u32 v73, 0x110, v75
	v_mov_b32_e32 v77, 0
	s_mov_b32 s1, 0
.LBB33_33:                              ; =>This Inner Loop Header: Depth=1
	scratch_load_b64 v[78:79], v74, off
	ds_load_b64 v[80:81], v73
	v_add_nc_u32_e32 v4, 1, v4
	v_add_nc_u32_e32 v73, 8, v73
	s_delay_alu instid0(VALU_DEP_2)
	v_cmp_lt_u32_e32 vcc_lo, 3, v4
	s_wait_alu 0xfffe
	s_or_b32 s1, vcc_lo, s1
	s_wait_loadcnt_dscnt 0x0
	v_mul_f32_e32 v82, v81, v79
	v_mul_f32_e32 v79, v80, v79
	s_delay_alu instid0(VALU_DEP_2) | instskip(NEXT) | instid1(VALU_DEP_2)
	v_fma_f32 v80, v80, v78, -v82
	v_fmac_f32_e32 v79, v81, v78
	s_delay_alu instid0(VALU_DEP_2) | instskip(NEXT) | instid1(VALU_DEP_2)
	v_dual_add_f32 v77, v77, v80 :: v_dual_add_nc_u32 v74, 8, v74
	v_add_f32_e32 v3, v3, v79
	s_wait_alu 0xfffe
	s_and_not1_b32 exec_lo, exec_lo, s1
	s_cbranch_execnz .LBB33_33
; %bb.34:
	s_or_b32 exec_lo, exec_lo, s1
	v_mov_b32_e32 v4, 0
	ds_load_b64 v[73:74], v4 offset:40
	s_wait_dscnt 0x0
	v_mul_f32_e32 v4, v3, v74
	v_mul_f32_e32 v78, v77, v74
	s_delay_alu instid0(VALU_DEP_2) | instskip(NEXT) | instid1(VALU_DEP_2)
	v_fma_f32 v77, v77, v73, -v4
	v_fmac_f32_e32 v78, v3, v73
	scratch_store_b64 off, v[77:78], off offset:40
.LBB33_35:
	s_wait_alu 0xfffe
	s_or_b32 exec_lo, exec_lo, s0
	s_wait_loadcnt 0x0
	s_wait_storecnt 0x0
	s_barrier_signal -1
	s_barrier_wait -1
	global_inv scope:SCOPE_SE
	scratch_load_b64 v[3:4], off, off offset:48
	s_mov_b32 s0, exec_lo
	s_wait_loadcnt 0x0
	ds_store_b64 v1, v[3:4]
	s_wait_dscnt 0x0
	s_barrier_signal -1
	s_barrier_wait -1
	global_inv scope:SCOPE_SE
	v_cmpx_gt_u32_e32 6, v0
	s_cbranch_execz .LBB33_39
; %bb.36:
	v_dual_mov_b32 v3, 0 :: v_dual_add_nc_u32 v4, -1, v0
	v_dual_mov_b32 v74, v75 :: v_dual_add_nc_u32 v73, 0x110, v75
	v_mov_b32_e32 v77, 0
	s_mov_b32 s1, 0
.LBB33_37:                              ; =>This Inner Loop Header: Depth=1
	scratch_load_b64 v[78:79], v74, off
	ds_load_b64 v[80:81], v73
	v_add_nc_u32_e32 v4, 1, v4
	v_add_nc_u32_e32 v73, 8, v73
	s_delay_alu instid0(VALU_DEP_2)
	v_cmp_lt_u32_e32 vcc_lo, 4, v4
	s_wait_alu 0xfffe
	s_or_b32 s1, vcc_lo, s1
	s_wait_loadcnt_dscnt 0x0
	v_mul_f32_e32 v82, v81, v79
	v_mul_f32_e32 v79, v80, v79
	s_delay_alu instid0(VALU_DEP_2) | instskip(NEXT) | instid1(VALU_DEP_2)
	v_fma_f32 v80, v80, v78, -v82
	v_fmac_f32_e32 v79, v81, v78
	s_delay_alu instid0(VALU_DEP_2) | instskip(NEXT) | instid1(VALU_DEP_2)
	v_dual_add_f32 v77, v77, v80 :: v_dual_add_nc_u32 v74, 8, v74
	v_add_f32_e32 v3, v3, v79
	s_wait_alu 0xfffe
	s_and_not1_b32 exec_lo, exec_lo, s1
	s_cbranch_execnz .LBB33_37
; %bb.38:
	s_or_b32 exec_lo, exec_lo, s1
	v_mov_b32_e32 v4, 0
	ds_load_b64 v[73:74], v4 offset:48
	s_wait_dscnt 0x0
	v_mul_f32_e32 v4, v3, v74
	v_mul_f32_e32 v78, v77, v74
	s_delay_alu instid0(VALU_DEP_2) | instskip(NEXT) | instid1(VALU_DEP_2)
	v_fma_f32 v77, v77, v73, -v4
	v_fmac_f32_e32 v78, v3, v73
	scratch_store_b64 off, v[77:78], off offset:48
.LBB33_39:
	s_wait_alu 0xfffe
	s_or_b32 exec_lo, exec_lo, s0
	s_wait_loadcnt 0x0
	s_wait_storecnt 0x0
	s_barrier_signal -1
	s_barrier_wait -1
	global_inv scope:SCOPE_SE
	scratch_load_b64 v[3:4], off, off offset:56
	s_mov_b32 s0, exec_lo
	s_wait_loadcnt 0x0
	ds_store_b64 v1, v[3:4]
	s_wait_dscnt 0x0
	s_barrier_signal -1
	s_barrier_wait -1
	global_inv scope:SCOPE_SE
	v_cmpx_gt_u32_e32 7, v0
	s_cbranch_execz .LBB33_43
; %bb.40:
	v_dual_mov_b32 v3, 0 :: v_dual_add_nc_u32 v4, -1, v0
	v_dual_mov_b32 v74, v75 :: v_dual_add_nc_u32 v73, 0x110, v75
	v_mov_b32_e32 v77, 0
	s_mov_b32 s1, 0
.LBB33_41:                              ; =>This Inner Loop Header: Depth=1
	scratch_load_b64 v[78:79], v74, off
	ds_load_b64 v[80:81], v73
	v_add_nc_u32_e32 v4, 1, v4
	v_add_nc_u32_e32 v73, 8, v73
	s_delay_alu instid0(VALU_DEP_2)
	v_cmp_lt_u32_e32 vcc_lo, 5, v4
	s_wait_alu 0xfffe
	s_or_b32 s1, vcc_lo, s1
	s_wait_loadcnt_dscnt 0x0
	v_mul_f32_e32 v82, v81, v79
	v_mul_f32_e32 v79, v80, v79
	s_delay_alu instid0(VALU_DEP_2) | instskip(NEXT) | instid1(VALU_DEP_2)
	v_fma_f32 v80, v80, v78, -v82
	v_fmac_f32_e32 v79, v81, v78
	s_delay_alu instid0(VALU_DEP_2) | instskip(NEXT) | instid1(VALU_DEP_2)
	v_dual_add_f32 v77, v77, v80 :: v_dual_add_nc_u32 v74, 8, v74
	v_add_f32_e32 v3, v3, v79
	s_wait_alu 0xfffe
	s_and_not1_b32 exec_lo, exec_lo, s1
	s_cbranch_execnz .LBB33_41
; %bb.42:
	s_or_b32 exec_lo, exec_lo, s1
	v_mov_b32_e32 v4, 0
	ds_load_b64 v[73:74], v4 offset:56
	s_wait_dscnt 0x0
	v_mul_f32_e32 v4, v3, v74
	v_mul_f32_e32 v78, v77, v74
	s_delay_alu instid0(VALU_DEP_2) | instskip(NEXT) | instid1(VALU_DEP_2)
	v_fma_f32 v77, v77, v73, -v4
	v_fmac_f32_e32 v78, v3, v73
	scratch_store_b64 off, v[77:78], off offset:56
.LBB33_43:
	s_wait_alu 0xfffe
	s_or_b32 exec_lo, exec_lo, s0
	s_wait_loadcnt 0x0
	s_wait_storecnt 0x0
	s_barrier_signal -1
	s_barrier_wait -1
	global_inv scope:SCOPE_SE
	scratch_load_b64 v[3:4], off, off offset:64
	s_mov_b32 s0, exec_lo
	s_wait_loadcnt 0x0
	ds_store_b64 v1, v[3:4]
	s_wait_dscnt 0x0
	s_barrier_signal -1
	s_barrier_wait -1
	global_inv scope:SCOPE_SE
	v_cmpx_gt_u32_e32 8, v0
	s_cbranch_execz .LBB33_47
; %bb.44:
	v_dual_mov_b32 v3, 0 :: v_dual_add_nc_u32 v4, -1, v0
	v_dual_mov_b32 v74, v75 :: v_dual_add_nc_u32 v73, 0x110, v75
	v_mov_b32_e32 v77, 0
	s_mov_b32 s1, 0
.LBB33_45:                              ; =>This Inner Loop Header: Depth=1
	scratch_load_b64 v[78:79], v74, off
	ds_load_b64 v[80:81], v73
	v_add_nc_u32_e32 v4, 1, v4
	v_add_nc_u32_e32 v73, 8, v73
	s_delay_alu instid0(VALU_DEP_2)
	v_cmp_lt_u32_e32 vcc_lo, 6, v4
	s_wait_alu 0xfffe
	s_or_b32 s1, vcc_lo, s1
	s_wait_loadcnt_dscnt 0x0
	v_mul_f32_e32 v82, v81, v79
	v_mul_f32_e32 v79, v80, v79
	s_delay_alu instid0(VALU_DEP_2) | instskip(NEXT) | instid1(VALU_DEP_2)
	v_fma_f32 v80, v80, v78, -v82
	v_fmac_f32_e32 v79, v81, v78
	s_delay_alu instid0(VALU_DEP_2) | instskip(NEXT) | instid1(VALU_DEP_2)
	v_dual_add_f32 v77, v77, v80 :: v_dual_add_nc_u32 v74, 8, v74
	v_add_f32_e32 v3, v3, v79
	s_wait_alu 0xfffe
	s_and_not1_b32 exec_lo, exec_lo, s1
	s_cbranch_execnz .LBB33_45
; %bb.46:
	s_or_b32 exec_lo, exec_lo, s1
	v_mov_b32_e32 v4, 0
	ds_load_b64 v[73:74], v4 offset:64
	s_wait_dscnt 0x0
	v_mul_f32_e32 v4, v3, v74
	v_mul_f32_e32 v78, v77, v74
	s_delay_alu instid0(VALU_DEP_2) | instskip(NEXT) | instid1(VALU_DEP_2)
	v_fma_f32 v77, v77, v73, -v4
	v_fmac_f32_e32 v78, v3, v73
	scratch_store_b64 off, v[77:78], off offset:64
.LBB33_47:
	s_wait_alu 0xfffe
	s_or_b32 exec_lo, exec_lo, s0
	s_wait_loadcnt 0x0
	s_wait_storecnt 0x0
	s_barrier_signal -1
	s_barrier_wait -1
	global_inv scope:SCOPE_SE
	scratch_load_b64 v[3:4], off, off offset:72
	s_mov_b32 s0, exec_lo
	s_wait_loadcnt 0x0
	ds_store_b64 v1, v[3:4]
	s_wait_dscnt 0x0
	s_barrier_signal -1
	s_barrier_wait -1
	global_inv scope:SCOPE_SE
	v_cmpx_gt_u32_e32 9, v0
	s_cbranch_execz .LBB33_51
; %bb.48:
	v_dual_mov_b32 v3, 0 :: v_dual_add_nc_u32 v4, -1, v0
	v_dual_mov_b32 v74, v75 :: v_dual_add_nc_u32 v73, 0x110, v75
	v_mov_b32_e32 v77, 0
	s_mov_b32 s1, 0
.LBB33_49:                              ; =>This Inner Loop Header: Depth=1
	scratch_load_b64 v[78:79], v74, off
	ds_load_b64 v[80:81], v73
	v_add_nc_u32_e32 v4, 1, v4
	v_add_nc_u32_e32 v73, 8, v73
	s_delay_alu instid0(VALU_DEP_2)
	v_cmp_lt_u32_e32 vcc_lo, 7, v4
	s_wait_alu 0xfffe
	s_or_b32 s1, vcc_lo, s1
	s_wait_loadcnt_dscnt 0x0
	v_mul_f32_e32 v82, v81, v79
	v_mul_f32_e32 v79, v80, v79
	s_delay_alu instid0(VALU_DEP_2) | instskip(NEXT) | instid1(VALU_DEP_2)
	v_fma_f32 v80, v80, v78, -v82
	v_fmac_f32_e32 v79, v81, v78
	s_delay_alu instid0(VALU_DEP_2) | instskip(NEXT) | instid1(VALU_DEP_2)
	v_dual_add_f32 v77, v77, v80 :: v_dual_add_nc_u32 v74, 8, v74
	v_add_f32_e32 v3, v3, v79
	s_wait_alu 0xfffe
	s_and_not1_b32 exec_lo, exec_lo, s1
	s_cbranch_execnz .LBB33_49
; %bb.50:
	s_or_b32 exec_lo, exec_lo, s1
	v_mov_b32_e32 v4, 0
	ds_load_b64 v[73:74], v4 offset:72
	s_wait_dscnt 0x0
	v_mul_f32_e32 v4, v3, v74
	v_mul_f32_e32 v78, v77, v74
	s_delay_alu instid0(VALU_DEP_2) | instskip(NEXT) | instid1(VALU_DEP_2)
	v_fma_f32 v77, v77, v73, -v4
	v_fmac_f32_e32 v78, v3, v73
	scratch_store_b64 off, v[77:78], off offset:72
.LBB33_51:
	s_wait_alu 0xfffe
	s_or_b32 exec_lo, exec_lo, s0
	s_wait_loadcnt 0x0
	s_wait_storecnt 0x0
	s_barrier_signal -1
	s_barrier_wait -1
	global_inv scope:SCOPE_SE
	scratch_load_b64 v[3:4], off, off offset:80
	s_mov_b32 s0, exec_lo
	s_wait_loadcnt 0x0
	ds_store_b64 v1, v[3:4]
	s_wait_dscnt 0x0
	s_barrier_signal -1
	s_barrier_wait -1
	global_inv scope:SCOPE_SE
	v_cmpx_gt_u32_e32 10, v0
	s_cbranch_execz .LBB33_55
; %bb.52:
	v_dual_mov_b32 v3, 0 :: v_dual_add_nc_u32 v4, -1, v0
	v_dual_mov_b32 v74, v75 :: v_dual_add_nc_u32 v73, 0x110, v75
	v_mov_b32_e32 v77, 0
	s_mov_b32 s1, 0
.LBB33_53:                              ; =>This Inner Loop Header: Depth=1
	scratch_load_b64 v[78:79], v74, off
	ds_load_b64 v[80:81], v73
	v_add_nc_u32_e32 v4, 1, v4
	v_add_nc_u32_e32 v73, 8, v73
	s_delay_alu instid0(VALU_DEP_2)
	v_cmp_lt_u32_e32 vcc_lo, 8, v4
	s_wait_alu 0xfffe
	s_or_b32 s1, vcc_lo, s1
	s_wait_loadcnt_dscnt 0x0
	v_mul_f32_e32 v82, v81, v79
	v_mul_f32_e32 v79, v80, v79
	s_delay_alu instid0(VALU_DEP_2) | instskip(NEXT) | instid1(VALU_DEP_2)
	v_fma_f32 v80, v80, v78, -v82
	v_fmac_f32_e32 v79, v81, v78
	s_delay_alu instid0(VALU_DEP_2) | instskip(NEXT) | instid1(VALU_DEP_2)
	v_dual_add_f32 v77, v77, v80 :: v_dual_add_nc_u32 v74, 8, v74
	v_add_f32_e32 v3, v3, v79
	s_wait_alu 0xfffe
	s_and_not1_b32 exec_lo, exec_lo, s1
	s_cbranch_execnz .LBB33_53
; %bb.54:
	s_or_b32 exec_lo, exec_lo, s1
	v_mov_b32_e32 v4, 0
	ds_load_b64 v[73:74], v4 offset:80
	s_wait_dscnt 0x0
	v_mul_f32_e32 v4, v3, v74
	v_mul_f32_e32 v78, v77, v74
	s_delay_alu instid0(VALU_DEP_2) | instskip(NEXT) | instid1(VALU_DEP_2)
	v_fma_f32 v77, v77, v73, -v4
	v_fmac_f32_e32 v78, v3, v73
	scratch_store_b64 off, v[77:78], off offset:80
.LBB33_55:
	s_wait_alu 0xfffe
	s_or_b32 exec_lo, exec_lo, s0
	s_wait_loadcnt 0x0
	s_wait_storecnt 0x0
	s_barrier_signal -1
	s_barrier_wait -1
	global_inv scope:SCOPE_SE
	scratch_load_b64 v[3:4], off, off offset:88
	s_mov_b32 s0, exec_lo
	s_wait_loadcnt 0x0
	ds_store_b64 v1, v[3:4]
	s_wait_dscnt 0x0
	s_barrier_signal -1
	s_barrier_wait -1
	global_inv scope:SCOPE_SE
	v_cmpx_gt_u32_e32 11, v0
	s_cbranch_execz .LBB33_59
; %bb.56:
	v_dual_mov_b32 v3, 0 :: v_dual_add_nc_u32 v4, -1, v0
	v_dual_mov_b32 v74, v75 :: v_dual_add_nc_u32 v73, 0x110, v75
	v_mov_b32_e32 v77, 0
	s_mov_b32 s1, 0
.LBB33_57:                              ; =>This Inner Loop Header: Depth=1
	scratch_load_b64 v[78:79], v74, off
	ds_load_b64 v[80:81], v73
	v_add_nc_u32_e32 v4, 1, v4
	v_add_nc_u32_e32 v73, 8, v73
	s_delay_alu instid0(VALU_DEP_2)
	v_cmp_lt_u32_e32 vcc_lo, 9, v4
	s_wait_alu 0xfffe
	s_or_b32 s1, vcc_lo, s1
	s_wait_loadcnt_dscnt 0x0
	v_mul_f32_e32 v82, v81, v79
	v_mul_f32_e32 v79, v80, v79
	s_delay_alu instid0(VALU_DEP_2) | instskip(NEXT) | instid1(VALU_DEP_2)
	v_fma_f32 v80, v80, v78, -v82
	v_fmac_f32_e32 v79, v81, v78
	s_delay_alu instid0(VALU_DEP_2) | instskip(NEXT) | instid1(VALU_DEP_2)
	v_dual_add_f32 v77, v77, v80 :: v_dual_add_nc_u32 v74, 8, v74
	v_add_f32_e32 v3, v3, v79
	s_wait_alu 0xfffe
	s_and_not1_b32 exec_lo, exec_lo, s1
	s_cbranch_execnz .LBB33_57
; %bb.58:
	s_or_b32 exec_lo, exec_lo, s1
	v_mov_b32_e32 v4, 0
	ds_load_b64 v[73:74], v4 offset:88
	s_wait_dscnt 0x0
	v_mul_f32_e32 v4, v3, v74
	v_mul_f32_e32 v78, v77, v74
	s_delay_alu instid0(VALU_DEP_2) | instskip(NEXT) | instid1(VALU_DEP_2)
	v_fma_f32 v77, v77, v73, -v4
	v_fmac_f32_e32 v78, v3, v73
	scratch_store_b64 off, v[77:78], off offset:88
.LBB33_59:
	s_wait_alu 0xfffe
	s_or_b32 exec_lo, exec_lo, s0
	s_wait_loadcnt 0x0
	s_wait_storecnt 0x0
	s_barrier_signal -1
	s_barrier_wait -1
	global_inv scope:SCOPE_SE
	scratch_load_b64 v[3:4], off, off offset:96
	s_mov_b32 s0, exec_lo
	s_wait_loadcnt 0x0
	ds_store_b64 v1, v[3:4]
	s_wait_dscnt 0x0
	s_barrier_signal -1
	s_barrier_wait -1
	global_inv scope:SCOPE_SE
	v_cmpx_gt_u32_e32 12, v0
	s_cbranch_execz .LBB33_63
; %bb.60:
	v_dual_mov_b32 v3, 0 :: v_dual_add_nc_u32 v4, -1, v0
	v_dual_mov_b32 v74, v75 :: v_dual_add_nc_u32 v73, 0x110, v75
	v_mov_b32_e32 v77, 0
	s_mov_b32 s1, 0
.LBB33_61:                              ; =>This Inner Loop Header: Depth=1
	scratch_load_b64 v[78:79], v74, off
	ds_load_b64 v[80:81], v73
	v_add_nc_u32_e32 v4, 1, v4
	v_add_nc_u32_e32 v73, 8, v73
	s_delay_alu instid0(VALU_DEP_2)
	v_cmp_lt_u32_e32 vcc_lo, 10, v4
	s_wait_alu 0xfffe
	s_or_b32 s1, vcc_lo, s1
	s_wait_loadcnt_dscnt 0x0
	v_mul_f32_e32 v82, v81, v79
	v_mul_f32_e32 v79, v80, v79
	s_delay_alu instid0(VALU_DEP_2) | instskip(NEXT) | instid1(VALU_DEP_2)
	v_fma_f32 v80, v80, v78, -v82
	v_fmac_f32_e32 v79, v81, v78
	s_delay_alu instid0(VALU_DEP_2) | instskip(NEXT) | instid1(VALU_DEP_2)
	v_dual_add_f32 v77, v77, v80 :: v_dual_add_nc_u32 v74, 8, v74
	v_add_f32_e32 v3, v3, v79
	s_wait_alu 0xfffe
	s_and_not1_b32 exec_lo, exec_lo, s1
	s_cbranch_execnz .LBB33_61
; %bb.62:
	s_or_b32 exec_lo, exec_lo, s1
	v_mov_b32_e32 v4, 0
	ds_load_b64 v[73:74], v4 offset:96
	s_wait_dscnt 0x0
	v_mul_f32_e32 v4, v3, v74
	v_mul_f32_e32 v78, v77, v74
	s_delay_alu instid0(VALU_DEP_2) | instskip(NEXT) | instid1(VALU_DEP_2)
	v_fma_f32 v77, v77, v73, -v4
	v_fmac_f32_e32 v78, v3, v73
	scratch_store_b64 off, v[77:78], off offset:96
.LBB33_63:
	s_wait_alu 0xfffe
	s_or_b32 exec_lo, exec_lo, s0
	s_wait_loadcnt 0x0
	s_wait_storecnt 0x0
	s_barrier_signal -1
	s_barrier_wait -1
	global_inv scope:SCOPE_SE
	scratch_load_b64 v[3:4], off, off offset:104
	s_mov_b32 s0, exec_lo
	s_wait_loadcnt 0x0
	ds_store_b64 v1, v[3:4]
	s_wait_dscnt 0x0
	s_barrier_signal -1
	s_barrier_wait -1
	global_inv scope:SCOPE_SE
	v_cmpx_gt_u32_e32 13, v0
	s_cbranch_execz .LBB33_67
; %bb.64:
	v_dual_mov_b32 v3, 0 :: v_dual_add_nc_u32 v4, -1, v0
	v_dual_mov_b32 v74, v75 :: v_dual_add_nc_u32 v73, 0x110, v75
	v_mov_b32_e32 v77, 0
	s_mov_b32 s1, 0
.LBB33_65:                              ; =>This Inner Loop Header: Depth=1
	scratch_load_b64 v[78:79], v74, off
	ds_load_b64 v[80:81], v73
	v_add_nc_u32_e32 v4, 1, v4
	v_add_nc_u32_e32 v73, 8, v73
	s_delay_alu instid0(VALU_DEP_2)
	v_cmp_lt_u32_e32 vcc_lo, 11, v4
	s_wait_alu 0xfffe
	s_or_b32 s1, vcc_lo, s1
	s_wait_loadcnt_dscnt 0x0
	v_mul_f32_e32 v82, v81, v79
	v_mul_f32_e32 v79, v80, v79
	s_delay_alu instid0(VALU_DEP_2) | instskip(NEXT) | instid1(VALU_DEP_2)
	v_fma_f32 v80, v80, v78, -v82
	v_fmac_f32_e32 v79, v81, v78
	s_delay_alu instid0(VALU_DEP_2) | instskip(NEXT) | instid1(VALU_DEP_2)
	v_dual_add_f32 v77, v77, v80 :: v_dual_add_nc_u32 v74, 8, v74
	v_add_f32_e32 v3, v3, v79
	s_wait_alu 0xfffe
	s_and_not1_b32 exec_lo, exec_lo, s1
	s_cbranch_execnz .LBB33_65
; %bb.66:
	s_or_b32 exec_lo, exec_lo, s1
	v_mov_b32_e32 v4, 0
	ds_load_b64 v[73:74], v4 offset:104
	s_wait_dscnt 0x0
	v_mul_f32_e32 v4, v3, v74
	v_mul_f32_e32 v78, v77, v74
	s_delay_alu instid0(VALU_DEP_2) | instskip(NEXT) | instid1(VALU_DEP_2)
	v_fma_f32 v77, v77, v73, -v4
	v_fmac_f32_e32 v78, v3, v73
	scratch_store_b64 off, v[77:78], off offset:104
.LBB33_67:
	s_wait_alu 0xfffe
	s_or_b32 exec_lo, exec_lo, s0
	s_wait_loadcnt 0x0
	s_wait_storecnt 0x0
	s_barrier_signal -1
	s_barrier_wait -1
	global_inv scope:SCOPE_SE
	scratch_load_b64 v[3:4], off, off offset:112
	s_mov_b32 s0, exec_lo
	s_wait_loadcnt 0x0
	ds_store_b64 v1, v[3:4]
	s_wait_dscnt 0x0
	s_barrier_signal -1
	s_barrier_wait -1
	global_inv scope:SCOPE_SE
	v_cmpx_gt_u32_e32 14, v0
	s_cbranch_execz .LBB33_71
; %bb.68:
	v_dual_mov_b32 v3, 0 :: v_dual_add_nc_u32 v4, -1, v0
	v_dual_mov_b32 v74, v75 :: v_dual_add_nc_u32 v73, 0x110, v75
	v_mov_b32_e32 v77, 0
	s_mov_b32 s1, 0
.LBB33_69:                              ; =>This Inner Loop Header: Depth=1
	scratch_load_b64 v[78:79], v74, off
	ds_load_b64 v[80:81], v73
	v_add_nc_u32_e32 v4, 1, v4
	v_add_nc_u32_e32 v73, 8, v73
	s_delay_alu instid0(VALU_DEP_2)
	v_cmp_lt_u32_e32 vcc_lo, 12, v4
	s_wait_alu 0xfffe
	s_or_b32 s1, vcc_lo, s1
	s_wait_loadcnt_dscnt 0x0
	v_mul_f32_e32 v82, v81, v79
	v_mul_f32_e32 v79, v80, v79
	s_delay_alu instid0(VALU_DEP_2) | instskip(NEXT) | instid1(VALU_DEP_2)
	v_fma_f32 v80, v80, v78, -v82
	v_fmac_f32_e32 v79, v81, v78
	s_delay_alu instid0(VALU_DEP_2) | instskip(NEXT) | instid1(VALU_DEP_2)
	v_dual_add_f32 v77, v77, v80 :: v_dual_add_nc_u32 v74, 8, v74
	v_add_f32_e32 v3, v3, v79
	s_wait_alu 0xfffe
	s_and_not1_b32 exec_lo, exec_lo, s1
	s_cbranch_execnz .LBB33_69
; %bb.70:
	s_or_b32 exec_lo, exec_lo, s1
	v_mov_b32_e32 v4, 0
	ds_load_b64 v[73:74], v4 offset:112
	s_wait_dscnt 0x0
	v_mul_f32_e32 v4, v3, v74
	v_mul_f32_e32 v78, v77, v74
	s_delay_alu instid0(VALU_DEP_2) | instskip(NEXT) | instid1(VALU_DEP_2)
	v_fma_f32 v77, v77, v73, -v4
	v_fmac_f32_e32 v78, v3, v73
	scratch_store_b64 off, v[77:78], off offset:112
.LBB33_71:
	s_wait_alu 0xfffe
	s_or_b32 exec_lo, exec_lo, s0
	s_wait_loadcnt 0x0
	s_wait_storecnt 0x0
	s_barrier_signal -1
	s_barrier_wait -1
	global_inv scope:SCOPE_SE
	scratch_load_b64 v[3:4], off, off offset:120
	s_mov_b32 s0, exec_lo
	s_wait_loadcnt 0x0
	ds_store_b64 v1, v[3:4]
	s_wait_dscnt 0x0
	s_barrier_signal -1
	s_barrier_wait -1
	global_inv scope:SCOPE_SE
	v_cmpx_gt_u32_e32 15, v0
	s_cbranch_execz .LBB33_75
; %bb.72:
	v_dual_mov_b32 v3, 0 :: v_dual_add_nc_u32 v4, -1, v0
	v_dual_mov_b32 v74, v75 :: v_dual_add_nc_u32 v73, 0x110, v75
	v_mov_b32_e32 v77, 0
	s_mov_b32 s1, 0
.LBB33_73:                              ; =>This Inner Loop Header: Depth=1
	scratch_load_b64 v[78:79], v74, off
	ds_load_b64 v[80:81], v73
	v_add_nc_u32_e32 v4, 1, v4
	v_add_nc_u32_e32 v73, 8, v73
	s_delay_alu instid0(VALU_DEP_2)
	v_cmp_lt_u32_e32 vcc_lo, 13, v4
	s_wait_alu 0xfffe
	s_or_b32 s1, vcc_lo, s1
	s_wait_loadcnt_dscnt 0x0
	v_mul_f32_e32 v82, v81, v79
	v_mul_f32_e32 v79, v80, v79
	s_delay_alu instid0(VALU_DEP_2) | instskip(NEXT) | instid1(VALU_DEP_2)
	v_fma_f32 v80, v80, v78, -v82
	v_fmac_f32_e32 v79, v81, v78
	s_delay_alu instid0(VALU_DEP_2) | instskip(NEXT) | instid1(VALU_DEP_2)
	v_dual_add_f32 v77, v77, v80 :: v_dual_add_nc_u32 v74, 8, v74
	v_add_f32_e32 v3, v3, v79
	s_wait_alu 0xfffe
	s_and_not1_b32 exec_lo, exec_lo, s1
	s_cbranch_execnz .LBB33_73
; %bb.74:
	s_or_b32 exec_lo, exec_lo, s1
	v_mov_b32_e32 v4, 0
	ds_load_b64 v[73:74], v4 offset:120
	s_wait_dscnt 0x0
	v_mul_f32_e32 v4, v3, v74
	v_mul_f32_e32 v78, v77, v74
	s_delay_alu instid0(VALU_DEP_2) | instskip(NEXT) | instid1(VALU_DEP_2)
	v_fma_f32 v77, v77, v73, -v4
	v_fmac_f32_e32 v78, v3, v73
	scratch_store_b64 off, v[77:78], off offset:120
.LBB33_75:
	s_wait_alu 0xfffe
	s_or_b32 exec_lo, exec_lo, s0
	s_wait_loadcnt 0x0
	s_wait_storecnt 0x0
	s_barrier_signal -1
	s_barrier_wait -1
	global_inv scope:SCOPE_SE
	scratch_load_b64 v[3:4], off, off offset:128
	s_mov_b32 s0, exec_lo
	s_wait_loadcnt 0x0
	ds_store_b64 v1, v[3:4]
	s_wait_dscnt 0x0
	s_barrier_signal -1
	s_barrier_wait -1
	global_inv scope:SCOPE_SE
	v_cmpx_gt_u32_e32 16, v0
	s_cbranch_execz .LBB33_79
; %bb.76:
	v_dual_mov_b32 v3, 0 :: v_dual_add_nc_u32 v4, -1, v0
	v_dual_mov_b32 v74, v75 :: v_dual_add_nc_u32 v73, 0x110, v75
	v_mov_b32_e32 v77, 0
	s_mov_b32 s1, 0
.LBB33_77:                              ; =>This Inner Loop Header: Depth=1
	scratch_load_b64 v[78:79], v74, off
	ds_load_b64 v[80:81], v73
	v_add_nc_u32_e32 v4, 1, v4
	v_add_nc_u32_e32 v73, 8, v73
	s_delay_alu instid0(VALU_DEP_2)
	v_cmp_lt_u32_e32 vcc_lo, 14, v4
	s_wait_alu 0xfffe
	s_or_b32 s1, vcc_lo, s1
	s_wait_loadcnt_dscnt 0x0
	v_mul_f32_e32 v82, v81, v79
	v_mul_f32_e32 v79, v80, v79
	s_delay_alu instid0(VALU_DEP_2) | instskip(NEXT) | instid1(VALU_DEP_2)
	v_fma_f32 v80, v80, v78, -v82
	v_fmac_f32_e32 v79, v81, v78
	s_delay_alu instid0(VALU_DEP_2) | instskip(NEXT) | instid1(VALU_DEP_2)
	v_dual_add_f32 v77, v77, v80 :: v_dual_add_nc_u32 v74, 8, v74
	v_add_f32_e32 v3, v3, v79
	s_wait_alu 0xfffe
	s_and_not1_b32 exec_lo, exec_lo, s1
	s_cbranch_execnz .LBB33_77
; %bb.78:
	s_or_b32 exec_lo, exec_lo, s1
	v_mov_b32_e32 v4, 0
	ds_load_b64 v[73:74], v4 offset:128
	s_wait_dscnt 0x0
	v_mul_f32_e32 v4, v3, v74
	v_mul_f32_e32 v78, v77, v74
	s_delay_alu instid0(VALU_DEP_2) | instskip(NEXT) | instid1(VALU_DEP_2)
	v_fma_f32 v77, v77, v73, -v4
	v_fmac_f32_e32 v78, v3, v73
	scratch_store_b64 off, v[77:78], off offset:128
.LBB33_79:
	s_wait_alu 0xfffe
	s_or_b32 exec_lo, exec_lo, s0
	s_wait_loadcnt 0x0
	s_wait_storecnt 0x0
	s_barrier_signal -1
	s_barrier_wait -1
	global_inv scope:SCOPE_SE
	scratch_load_b64 v[3:4], off, off offset:136
	s_mov_b32 s0, exec_lo
	s_wait_loadcnt 0x0
	ds_store_b64 v1, v[3:4]
	s_wait_dscnt 0x0
	s_barrier_signal -1
	s_barrier_wait -1
	global_inv scope:SCOPE_SE
	v_cmpx_gt_u32_e32 17, v0
	s_cbranch_execz .LBB33_83
; %bb.80:
	v_dual_mov_b32 v3, 0 :: v_dual_add_nc_u32 v4, -1, v0
	v_dual_mov_b32 v74, v75 :: v_dual_add_nc_u32 v73, 0x110, v75
	v_mov_b32_e32 v77, 0
	s_mov_b32 s1, 0
.LBB33_81:                              ; =>This Inner Loop Header: Depth=1
	scratch_load_b64 v[78:79], v74, off
	ds_load_b64 v[80:81], v73
	v_add_nc_u32_e32 v4, 1, v4
	v_add_nc_u32_e32 v73, 8, v73
	s_delay_alu instid0(VALU_DEP_2)
	v_cmp_lt_u32_e32 vcc_lo, 15, v4
	s_wait_alu 0xfffe
	s_or_b32 s1, vcc_lo, s1
	s_wait_loadcnt_dscnt 0x0
	v_mul_f32_e32 v82, v81, v79
	v_mul_f32_e32 v79, v80, v79
	s_delay_alu instid0(VALU_DEP_2) | instskip(NEXT) | instid1(VALU_DEP_2)
	v_fma_f32 v80, v80, v78, -v82
	v_fmac_f32_e32 v79, v81, v78
	s_delay_alu instid0(VALU_DEP_2) | instskip(NEXT) | instid1(VALU_DEP_2)
	v_dual_add_f32 v77, v77, v80 :: v_dual_add_nc_u32 v74, 8, v74
	v_add_f32_e32 v3, v3, v79
	s_wait_alu 0xfffe
	s_and_not1_b32 exec_lo, exec_lo, s1
	s_cbranch_execnz .LBB33_81
; %bb.82:
	s_or_b32 exec_lo, exec_lo, s1
	v_mov_b32_e32 v4, 0
	ds_load_b64 v[73:74], v4 offset:136
	s_wait_dscnt 0x0
	v_mul_f32_e32 v4, v3, v74
	v_mul_f32_e32 v78, v77, v74
	s_delay_alu instid0(VALU_DEP_2) | instskip(NEXT) | instid1(VALU_DEP_2)
	v_fma_f32 v77, v77, v73, -v4
	v_fmac_f32_e32 v78, v3, v73
	scratch_store_b64 off, v[77:78], off offset:136
.LBB33_83:
	s_wait_alu 0xfffe
	s_or_b32 exec_lo, exec_lo, s0
	s_wait_loadcnt 0x0
	s_wait_storecnt 0x0
	s_barrier_signal -1
	s_barrier_wait -1
	global_inv scope:SCOPE_SE
	scratch_load_b64 v[3:4], off, off offset:144
	s_mov_b32 s0, exec_lo
	s_wait_loadcnt 0x0
	ds_store_b64 v1, v[3:4]
	s_wait_dscnt 0x0
	s_barrier_signal -1
	s_barrier_wait -1
	global_inv scope:SCOPE_SE
	v_cmpx_gt_u32_e32 18, v0
	s_cbranch_execz .LBB33_87
; %bb.84:
	v_dual_mov_b32 v3, 0 :: v_dual_add_nc_u32 v4, -1, v0
	v_dual_mov_b32 v74, v75 :: v_dual_add_nc_u32 v73, 0x110, v75
	v_mov_b32_e32 v77, 0
	s_mov_b32 s1, 0
.LBB33_85:                              ; =>This Inner Loop Header: Depth=1
	scratch_load_b64 v[78:79], v74, off
	ds_load_b64 v[80:81], v73
	v_add_nc_u32_e32 v4, 1, v4
	v_add_nc_u32_e32 v73, 8, v73
	s_delay_alu instid0(VALU_DEP_2)
	v_cmp_lt_u32_e32 vcc_lo, 16, v4
	s_wait_alu 0xfffe
	s_or_b32 s1, vcc_lo, s1
	s_wait_loadcnt_dscnt 0x0
	v_mul_f32_e32 v82, v81, v79
	v_mul_f32_e32 v79, v80, v79
	s_delay_alu instid0(VALU_DEP_2) | instskip(NEXT) | instid1(VALU_DEP_2)
	v_fma_f32 v80, v80, v78, -v82
	v_fmac_f32_e32 v79, v81, v78
	s_delay_alu instid0(VALU_DEP_2) | instskip(NEXT) | instid1(VALU_DEP_2)
	v_dual_add_f32 v77, v77, v80 :: v_dual_add_nc_u32 v74, 8, v74
	v_add_f32_e32 v3, v3, v79
	s_wait_alu 0xfffe
	s_and_not1_b32 exec_lo, exec_lo, s1
	s_cbranch_execnz .LBB33_85
; %bb.86:
	s_or_b32 exec_lo, exec_lo, s1
	v_mov_b32_e32 v4, 0
	ds_load_b64 v[73:74], v4 offset:144
	s_wait_dscnt 0x0
	v_mul_f32_e32 v4, v3, v74
	v_mul_f32_e32 v78, v77, v74
	s_delay_alu instid0(VALU_DEP_2) | instskip(NEXT) | instid1(VALU_DEP_2)
	v_fma_f32 v77, v77, v73, -v4
	v_fmac_f32_e32 v78, v3, v73
	scratch_store_b64 off, v[77:78], off offset:144
.LBB33_87:
	s_wait_alu 0xfffe
	s_or_b32 exec_lo, exec_lo, s0
	s_wait_loadcnt 0x0
	s_wait_storecnt 0x0
	s_barrier_signal -1
	s_barrier_wait -1
	global_inv scope:SCOPE_SE
	scratch_load_b64 v[3:4], off, off offset:152
	s_mov_b32 s0, exec_lo
	s_wait_loadcnt 0x0
	ds_store_b64 v1, v[3:4]
	s_wait_dscnt 0x0
	s_barrier_signal -1
	s_barrier_wait -1
	global_inv scope:SCOPE_SE
	v_cmpx_gt_u32_e32 19, v0
	s_cbranch_execz .LBB33_91
; %bb.88:
	v_dual_mov_b32 v3, 0 :: v_dual_add_nc_u32 v4, -1, v0
	v_dual_mov_b32 v74, v75 :: v_dual_add_nc_u32 v73, 0x110, v75
	v_mov_b32_e32 v77, 0
	s_mov_b32 s1, 0
.LBB33_89:                              ; =>This Inner Loop Header: Depth=1
	scratch_load_b64 v[78:79], v74, off
	ds_load_b64 v[80:81], v73
	v_add_nc_u32_e32 v4, 1, v4
	v_add_nc_u32_e32 v73, 8, v73
	s_delay_alu instid0(VALU_DEP_2)
	v_cmp_lt_u32_e32 vcc_lo, 17, v4
	s_wait_alu 0xfffe
	s_or_b32 s1, vcc_lo, s1
	s_wait_loadcnt_dscnt 0x0
	v_mul_f32_e32 v82, v81, v79
	v_mul_f32_e32 v79, v80, v79
	s_delay_alu instid0(VALU_DEP_2) | instskip(NEXT) | instid1(VALU_DEP_2)
	v_fma_f32 v80, v80, v78, -v82
	v_fmac_f32_e32 v79, v81, v78
	s_delay_alu instid0(VALU_DEP_2) | instskip(NEXT) | instid1(VALU_DEP_2)
	v_dual_add_f32 v77, v77, v80 :: v_dual_add_nc_u32 v74, 8, v74
	v_add_f32_e32 v3, v3, v79
	s_wait_alu 0xfffe
	s_and_not1_b32 exec_lo, exec_lo, s1
	s_cbranch_execnz .LBB33_89
; %bb.90:
	s_or_b32 exec_lo, exec_lo, s1
	v_mov_b32_e32 v4, 0
	ds_load_b64 v[73:74], v4 offset:152
	s_wait_dscnt 0x0
	v_mul_f32_e32 v4, v3, v74
	v_mul_f32_e32 v78, v77, v74
	s_delay_alu instid0(VALU_DEP_2) | instskip(NEXT) | instid1(VALU_DEP_2)
	v_fma_f32 v77, v77, v73, -v4
	v_fmac_f32_e32 v78, v3, v73
	scratch_store_b64 off, v[77:78], off offset:152
.LBB33_91:
	s_wait_alu 0xfffe
	s_or_b32 exec_lo, exec_lo, s0
	s_wait_loadcnt 0x0
	s_wait_storecnt 0x0
	s_barrier_signal -1
	s_barrier_wait -1
	global_inv scope:SCOPE_SE
	scratch_load_b64 v[3:4], off, off offset:160
	s_mov_b32 s0, exec_lo
	s_wait_loadcnt 0x0
	ds_store_b64 v1, v[3:4]
	s_wait_dscnt 0x0
	s_barrier_signal -1
	s_barrier_wait -1
	global_inv scope:SCOPE_SE
	v_cmpx_gt_u32_e32 20, v0
	s_cbranch_execz .LBB33_95
; %bb.92:
	v_dual_mov_b32 v3, 0 :: v_dual_add_nc_u32 v4, -1, v0
	v_dual_mov_b32 v74, v75 :: v_dual_add_nc_u32 v73, 0x110, v75
	v_mov_b32_e32 v77, 0
	s_mov_b32 s1, 0
.LBB33_93:                              ; =>This Inner Loop Header: Depth=1
	scratch_load_b64 v[78:79], v74, off
	ds_load_b64 v[80:81], v73
	v_add_nc_u32_e32 v4, 1, v4
	v_add_nc_u32_e32 v73, 8, v73
	s_delay_alu instid0(VALU_DEP_2)
	v_cmp_lt_u32_e32 vcc_lo, 18, v4
	s_wait_alu 0xfffe
	s_or_b32 s1, vcc_lo, s1
	s_wait_loadcnt_dscnt 0x0
	v_mul_f32_e32 v82, v81, v79
	v_mul_f32_e32 v79, v80, v79
	s_delay_alu instid0(VALU_DEP_2) | instskip(NEXT) | instid1(VALU_DEP_2)
	v_fma_f32 v80, v80, v78, -v82
	v_fmac_f32_e32 v79, v81, v78
	s_delay_alu instid0(VALU_DEP_2) | instskip(NEXT) | instid1(VALU_DEP_2)
	v_dual_add_f32 v77, v77, v80 :: v_dual_add_nc_u32 v74, 8, v74
	v_add_f32_e32 v3, v3, v79
	s_wait_alu 0xfffe
	s_and_not1_b32 exec_lo, exec_lo, s1
	s_cbranch_execnz .LBB33_93
; %bb.94:
	s_or_b32 exec_lo, exec_lo, s1
	v_mov_b32_e32 v4, 0
	ds_load_b64 v[73:74], v4 offset:160
	s_wait_dscnt 0x0
	v_mul_f32_e32 v4, v3, v74
	v_mul_f32_e32 v78, v77, v74
	s_delay_alu instid0(VALU_DEP_2) | instskip(NEXT) | instid1(VALU_DEP_2)
	v_fma_f32 v77, v77, v73, -v4
	v_fmac_f32_e32 v78, v3, v73
	scratch_store_b64 off, v[77:78], off offset:160
.LBB33_95:
	s_wait_alu 0xfffe
	s_or_b32 exec_lo, exec_lo, s0
	s_wait_loadcnt 0x0
	s_wait_storecnt 0x0
	s_barrier_signal -1
	s_barrier_wait -1
	global_inv scope:SCOPE_SE
	scratch_load_b64 v[3:4], off, off offset:168
	s_mov_b32 s0, exec_lo
	s_wait_loadcnt 0x0
	ds_store_b64 v1, v[3:4]
	s_wait_dscnt 0x0
	s_barrier_signal -1
	s_barrier_wait -1
	global_inv scope:SCOPE_SE
	v_cmpx_gt_u32_e32 21, v0
	s_cbranch_execz .LBB33_99
; %bb.96:
	v_dual_mov_b32 v3, 0 :: v_dual_add_nc_u32 v4, -1, v0
	v_dual_mov_b32 v74, v75 :: v_dual_add_nc_u32 v73, 0x110, v75
	v_mov_b32_e32 v77, 0
	s_mov_b32 s1, 0
.LBB33_97:                              ; =>This Inner Loop Header: Depth=1
	scratch_load_b64 v[78:79], v74, off
	ds_load_b64 v[80:81], v73
	v_add_nc_u32_e32 v4, 1, v4
	v_add_nc_u32_e32 v73, 8, v73
	s_delay_alu instid0(VALU_DEP_2)
	v_cmp_lt_u32_e32 vcc_lo, 19, v4
	s_wait_alu 0xfffe
	s_or_b32 s1, vcc_lo, s1
	s_wait_loadcnt_dscnt 0x0
	v_mul_f32_e32 v82, v81, v79
	v_mul_f32_e32 v79, v80, v79
	s_delay_alu instid0(VALU_DEP_2) | instskip(NEXT) | instid1(VALU_DEP_2)
	v_fma_f32 v80, v80, v78, -v82
	v_fmac_f32_e32 v79, v81, v78
	s_delay_alu instid0(VALU_DEP_2) | instskip(NEXT) | instid1(VALU_DEP_2)
	v_dual_add_f32 v77, v77, v80 :: v_dual_add_nc_u32 v74, 8, v74
	v_add_f32_e32 v3, v3, v79
	s_wait_alu 0xfffe
	s_and_not1_b32 exec_lo, exec_lo, s1
	s_cbranch_execnz .LBB33_97
; %bb.98:
	s_or_b32 exec_lo, exec_lo, s1
	v_mov_b32_e32 v4, 0
	ds_load_b64 v[73:74], v4 offset:168
	s_wait_dscnt 0x0
	v_mul_f32_e32 v4, v3, v74
	v_mul_f32_e32 v78, v77, v74
	s_delay_alu instid0(VALU_DEP_2) | instskip(NEXT) | instid1(VALU_DEP_2)
	v_fma_f32 v77, v77, v73, -v4
	v_fmac_f32_e32 v78, v3, v73
	scratch_store_b64 off, v[77:78], off offset:168
.LBB33_99:
	s_wait_alu 0xfffe
	s_or_b32 exec_lo, exec_lo, s0
	s_wait_loadcnt 0x0
	s_wait_storecnt 0x0
	s_barrier_signal -1
	s_barrier_wait -1
	global_inv scope:SCOPE_SE
	scratch_load_b64 v[3:4], off, off offset:176
	s_mov_b32 s0, exec_lo
	s_wait_loadcnt 0x0
	ds_store_b64 v1, v[3:4]
	s_wait_dscnt 0x0
	s_barrier_signal -1
	s_barrier_wait -1
	global_inv scope:SCOPE_SE
	v_cmpx_gt_u32_e32 22, v0
	s_cbranch_execz .LBB33_103
; %bb.100:
	v_dual_mov_b32 v3, 0 :: v_dual_add_nc_u32 v4, -1, v0
	v_dual_mov_b32 v74, v75 :: v_dual_add_nc_u32 v73, 0x110, v75
	v_mov_b32_e32 v77, 0
	s_mov_b32 s1, 0
.LBB33_101:                             ; =>This Inner Loop Header: Depth=1
	scratch_load_b64 v[78:79], v74, off
	ds_load_b64 v[80:81], v73
	v_add_nc_u32_e32 v4, 1, v4
	v_add_nc_u32_e32 v73, 8, v73
	s_delay_alu instid0(VALU_DEP_2)
	v_cmp_lt_u32_e32 vcc_lo, 20, v4
	s_wait_alu 0xfffe
	s_or_b32 s1, vcc_lo, s1
	s_wait_loadcnt_dscnt 0x0
	v_mul_f32_e32 v82, v81, v79
	v_mul_f32_e32 v79, v80, v79
	s_delay_alu instid0(VALU_DEP_2) | instskip(NEXT) | instid1(VALU_DEP_2)
	v_fma_f32 v80, v80, v78, -v82
	v_fmac_f32_e32 v79, v81, v78
	s_delay_alu instid0(VALU_DEP_2) | instskip(NEXT) | instid1(VALU_DEP_2)
	v_dual_add_f32 v77, v77, v80 :: v_dual_add_nc_u32 v74, 8, v74
	v_add_f32_e32 v3, v3, v79
	s_wait_alu 0xfffe
	s_and_not1_b32 exec_lo, exec_lo, s1
	s_cbranch_execnz .LBB33_101
; %bb.102:
	s_or_b32 exec_lo, exec_lo, s1
	v_mov_b32_e32 v4, 0
	ds_load_b64 v[73:74], v4 offset:176
	s_wait_dscnt 0x0
	v_mul_f32_e32 v4, v3, v74
	v_mul_f32_e32 v78, v77, v74
	s_delay_alu instid0(VALU_DEP_2) | instskip(NEXT) | instid1(VALU_DEP_2)
	v_fma_f32 v77, v77, v73, -v4
	v_fmac_f32_e32 v78, v3, v73
	scratch_store_b64 off, v[77:78], off offset:176
.LBB33_103:
	s_wait_alu 0xfffe
	s_or_b32 exec_lo, exec_lo, s0
	s_wait_loadcnt 0x0
	s_wait_storecnt 0x0
	s_barrier_signal -1
	s_barrier_wait -1
	global_inv scope:SCOPE_SE
	scratch_load_b64 v[3:4], off, off offset:184
	s_mov_b32 s0, exec_lo
	s_wait_loadcnt 0x0
	ds_store_b64 v1, v[3:4]
	s_wait_dscnt 0x0
	s_barrier_signal -1
	s_barrier_wait -1
	global_inv scope:SCOPE_SE
	v_cmpx_gt_u32_e32 23, v0
	s_cbranch_execz .LBB33_107
; %bb.104:
	v_dual_mov_b32 v3, 0 :: v_dual_add_nc_u32 v4, -1, v0
	v_dual_mov_b32 v74, v75 :: v_dual_add_nc_u32 v73, 0x110, v75
	v_mov_b32_e32 v77, 0
	s_mov_b32 s1, 0
.LBB33_105:                             ; =>This Inner Loop Header: Depth=1
	scratch_load_b64 v[78:79], v74, off
	ds_load_b64 v[80:81], v73
	v_add_nc_u32_e32 v4, 1, v4
	v_add_nc_u32_e32 v73, 8, v73
	s_delay_alu instid0(VALU_DEP_2)
	v_cmp_lt_u32_e32 vcc_lo, 21, v4
	s_wait_alu 0xfffe
	s_or_b32 s1, vcc_lo, s1
	s_wait_loadcnt_dscnt 0x0
	v_mul_f32_e32 v82, v81, v79
	v_mul_f32_e32 v79, v80, v79
	s_delay_alu instid0(VALU_DEP_2) | instskip(NEXT) | instid1(VALU_DEP_2)
	v_fma_f32 v80, v80, v78, -v82
	v_fmac_f32_e32 v79, v81, v78
	s_delay_alu instid0(VALU_DEP_2) | instskip(NEXT) | instid1(VALU_DEP_2)
	v_dual_add_f32 v77, v77, v80 :: v_dual_add_nc_u32 v74, 8, v74
	v_add_f32_e32 v3, v3, v79
	s_wait_alu 0xfffe
	s_and_not1_b32 exec_lo, exec_lo, s1
	s_cbranch_execnz .LBB33_105
; %bb.106:
	s_or_b32 exec_lo, exec_lo, s1
	v_mov_b32_e32 v4, 0
	ds_load_b64 v[73:74], v4 offset:184
	s_wait_dscnt 0x0
	v_mul_f32_e32 v4, v3, v74
	v_mul_f32_e32 v78, v77, v74
	s_delay_alu instid0(VALU_DEP_2) | instskip(NEXT) | instid1(VALU_DEP_2)
	v_fma_f32 v77, v77, v73, -v4
	v_fmac_f32_e32 v78, v3, v73
	scratch_store_b64 off, v[77:78], off offset:184
.LBB33_107:
	s_wait_alu 0xfffe
	s_or_b32 exec_lo, exec_lo, s0
	s_wait_loadcnt 0x0
	s_wait_storecnt 0x0
	s_barrier_signal -1
	s_barrier_wait -1
	global_inv scope:SCOPE_SE
	scratch_load_b64 v[3:4], off, off offset:192
	;; [unrolled: 55-line block ×10, first 2 shown]
	s_mov_b32 s0, exec_lo
	s_wait_loadcnt 0x0
	ds_store_b64 v1, v[3:4]
	s_wait_dscnt 0x0
	s_barrier_signal -1
	s_barrier_wait -1
	global_inv scope:SCOPE_SE
	v_cmpx_gt_u32_e32 32, v0
	s_cbranch_execz .LBB33_143
; %bb.140:
	v_dual_mov_b32 v3, 0 :: v_dual_add_nc_u32 v4, -1, v0
	v_dual_mov_b32 v74, v75 :: v_dual_add_nc_u32 v73, 0x110, v75
	v_mov_b32_e32 v75, 0
	s_mov_b32 s1, 0
.LBB33_141:                             ; =>This Inner Loop Header: Depth=1
	scratch_load_b64 v[77:78], v74, off
	ds_load_b64 v[79:80], v73
	v_add_nc_u32_e32 v74, 8, v74
	v_add_nc_u32_e32 v4, 1, v4
	;; [unrolled: 1-line block ×3, first 2 shown]
	s_delay_alu instid0(VALU_DEP_2)
	v_cmp_lt_u32_e32 vcc_lo, 30, v4
	s_wait_alu 0xfffe
	s_or_b32 s1, vcc_lo, s1
	s_wait_loadcnt_dscnt 0x0
	v_mul_f32_e32 v81, v80, v78
	v_mul_f32_e32 v78, v79, v78
	s_delay_alu instid0(VALU_DEP_2) | instskip(NEXT) | instid1(VALU_DEP_1)
	v_fma_f32 v79, v79, v77, -v81
	v_dual_fmac_f32 v78, v80, v77 :: v_dual_add_f32 v75, v75, v79
	s_delay_alu instid0(VALU_DEP_1)
	v_add_f32_e32 v3, v3, v78
	s_wait_alu 0xfffe
	s_and_not1_b32 exec_lo, exec_lo, s1
	s_cbranch_execnz .LBB33_141
; %bb.142:
	s_or_b32 exec_lo, exec_lo, s1
	v_mov_b32_e32 v4, 0
	ds_load_b64 v[73:74], v4 offset:256
	s_wait_dscnt 0x0
	v_mul_f32_e32 v4, v3, v74
	v_mul_f32_e32 v78, v75, v74
	s_delay_alu instid0(VALU_DEP_2) | instskip(NEXT) | instid1(VALU_DEP_2)
	v_fma_f32 v77, v75, v73, -v4
	v_fmac_f32_e32 v78, v3, v73
	scratch_store_b64 off, v[77:78], off offset:256
.LBB33_143:
	s_wait_alu 0xfffe
	s_or_b32 exec_lo, exec_lo, s0
	s_wait_loadcnt 0x0
	s_wait_storecnt 0x0
	s_barrier_signal -1
	s_barrier_wait -1
	global_inv scope:SCOPE_SE
	scratch_load_b64 v[3:4], off, off offset:264
	s_mov_b32 s0, exec_lo
	s_wait_loadcnt 0x0
	ds_store_b64 v1, v[3:4]
	s_wait_dscnt 0x0
	s_barrier_signal -1
	s_barrier_wait -1
	global_inv scope:SCOPE_SE
	v_cmpx_ne_u32_e32 33, v0
	s_cbranch_execz .LBB33_147
; %bb.144:
	v_dual_mov_b32 v3, 0 :: v_dual_mov_b32 v4, 0
	s_mov_b32 s1, 0
.LBB33_145:                             ; =>This Inner Loop Header: Depth=1
	scratch_load_b64 v[73:74], v76, off
	ds_load_b64 v[77:78], v1
	v_add_nc_u32_e32 v2, 1, v2
	v_add_nc_u32_e32 v1, 8, v1
	;; [unrolled: 1-line block ×3, first 2 shown]
	s_delay_alu instid0(VALU_DEP_3)
	v_cmp_lt_u32_e32 vcc_lo, 31, v2
	s_wait_alu 0xfffe
	s_or_b32 s1, vcc_lo, s1
	s_wait_loadcnt_dscnt 0x0
	v_mul_f32_e32 v75, v78, v74
	v_mul_f32_e32 v74, v77, v74
	s_delay_alu instid0(VALU_DEP_2) | instskip(NEXT) | instid1(VALU_DEP_2)
	v_fma_f32 v75, v77, v73, -v75
	v_fmac_f32_e32 v74, v78, v73
	s_delay_alu instid0(VALU_DEP_1)
	v_dual_add_f32 v4, v4, v75 :: v_dual_add_f32 v3, v3, v74
	s_wait_alu 0xfffe
	s_and_not1_b32 exec_lo, exec_lo, s1
	s_cbranch_execnz .LBB33_145
; %bb.146:
	s_or_b32 exec_lo, exec_lo, s1
	v_mov_b32_e32 v1, 0
	ds_load_b64 v[1:2], v1 offset:264
	s_wait_dscnt 0x0
	v_mul_f32_e32 v73, v3, v2
	v_mul_f32_e32 v74, v4, v2
	s_delay_alu instid0(VALU_DEP_2) | instskip(NEXT) | instid1(VALU_DEP_2)
	v_fma_f32 v73, v4, v1, -v73
	v_fmac_f32_e32 v74, v3, v1
	scratch_store_b64 off, v[73:74], off offset:264
.LBB33_147:
	s_wait_alu 0xfffe
	s_or_b32 exec_lo, exec_lo, s0
	s_mov_b32 s1, -1
	s_wait_loadcnt 0x0
	s_wait_storecnt 0x0
	s_barrier_signal -1
	s_barrier_wait -1
	global_inv scope:SCOPE_SE
.LBB33_148:
	s_wait_alu 0xfffe
	s_and_b32 vcc_lo, exec_lo, s1
	s_wait_alu 0xfffe
	s_cbranch_vccz .LBB33_150
; %bb.149:
	v_mov_b32_e32 v1, 0
	s_lshl_b64 s[0:1], s[16:17], 2
	s_wait_alu 0xfffe
	s_add_nc_u64 s[0:1], s[6:7], s[0:1]
	global_load_b32 v1, v1, s[0:1]
	s_wait_loadcnt 0x0
	v_cmp_ne_u32_e32 vcc_lo, 0, v1
	s_cbranch_vccz .LBB33_151
.LBB33_150:
	s_nop 0
	s_sendmsg sendmsg(MSG_DEALLOC_VGPRS)
	s_endpgm
.LBB33_151:
	v_lshl_add_u32 v3, v0, 3, 0x110
	s_mov_b32 s0, exec_lo
	v_cmpx_eq_u32_e32 33, v0
	s_cbranch_execz .LBB33_153
; %bb.152:
	scratch_load_b64 v[1:2], off, off offset:256
	v_mov_b32_e32 v73, 0
	s_delay_alu instid0(VALU_DEP_1)
	v_mov_b32_e32 v74, v73
	scratch_store_b64 off, v[73:74], off offset:256
	s_wait_loadcnt 0x0
	ds_store_b64 v3, v[1:2]
.LBB33_153:
	s_wait_alu 0xfffe
	s_or_b32 exec_lo, exec_lo, s0
	s_wait_storecnt_dscnt 0x0
	s_barrier_signal -1
	s_barrier_wait -1
	global_inv scope:SCOPE_SE
	s_clause 0x1
	scratch_load_b64 v[73:74], off, off offset:264
	scratch_load_b64 v[75:76], off, off offset:256
	v_mov_b32_e32 v1, 0
	s_mov_b32 s0, exec_lo
	ds_load_b64 v[77:78], v1 offset:536
	s_wait_loadcnt_dscnt 0x100
	v_mul_f32_e32 v2, v78, v74
	v_mul_f32_e32 v4, v77, v74
	s_delay_alu instid0(VALU_DEP_2) | instskip(NEXT) | instid1(VALU_DEP_1)
	v_fma_f32 v2, v77, v73, -v2
	v_add_f32_e32 v2, 0, v2
	s_wait_loadcnt 0x0
	s_delay_alu instid0(VALU_DEP_1) | instskip(NEXT) | instid1(VALU_DEP_1)
	v_dual_fmac_f32 v4, v78, v73 :: v_dual_sub_f32 v73, v75, v2
	v_add_f32_e32 v4, 0, v4
	s_delay_alu instid0(VALU_DEP_1)
	v_sub_f32_e32 v74, v76, v4
	scratch_store_b64 off, v[73:74], off offset:256
	v_cmpx_lt_u32_e32 31, v0
	s_cbranch_execz .LBB33_155
; %bb.154:
	scratch_load_b64 v[73:74], off, off offset:248
	v_mov_b32_e32 v2, v1
	scratch_store_b64 off, v[1:2], off offset:248
	s_wait_loadcnt 0x0
	ds_store_b64 v3, v[73:74]
.LBB33_155:
	s_wait_alu 0xfffe
	s_or_b32 exec_lo, exec_lo, s0
	s_wait_storecnt_dscnt 0x0
	s_barrier_signal -1
	s_barrier_wait -1
	global_inv scope:SCOPE_SE
	s_clause 0x1
	scratch_load_b128 v[73:76], off, off offset:256
	scratch_load_b64 v[81:82], off, off offset:248
	ds_load_b128 v[77:80], v1 offset:528
	s_mov_b32 s0, exec_lo
	s_wait_loadcnt_dscnt 0x100
	v_dual_mul_f32 v1, v78, v74 :: v_dual_mul_f32 v4, v79, v76
	s_delay_alu instid0(VALU_DEP_1) | instskip(NEXT) | instid1(VALU_DEP_1)
	v_fma_f32 v1, v77, v73, -v1
	v_dual_mul_f32 v2, v77, v74 :: v_dual_add_f32 v1, 0, v1
	v_mul_f32_e32 v74, v80, v76
	s_delay_alu instid0(VALU_DEP_2) | instskip(NEXT) | instid1(VALU_DEP_2)
	v_fmac_f32_e32 v2, v78, v73
	v_fma_f32 v73, v79, v75, -v74
	s_delay_alu instid0(VALU_DEP_1) | instskip(SKIP_1) | instid1(VALU_DEP_1)
	v_dual_add_f32 v2, 0, v2 :: v_dual_add_f32 v1, v1, v73
	s_wait_loadcnt 0x0
	v_dual_fmac_f32 v4, v80, v75 :: v_dual_sub_f32 v1, v81, v1
	s_delay_alu instid0(VALU_DEP_1) | instskip(NEXT) | instid1(VALU_DEP_1)
	v_add_f32_e32 v2, v2, v4
	v_sub_f32_e32 v2, v82, v2
	scratch_store_b64 off, v[1:2], off offset:248
	v_cmpx_lt_u32_e32 30, v0
	s_cbranch_execz .LBB33_157
; %bb.156:
	scratch_load_b64 v[1:2], off, off offset:240
	v_mov_b32_e32 v73, 0
	s_delay_alu instid0(VALU_DEP_1)
	v_mov_b32_e32 v74, v73
	scratch_store_b64 off, v[73:74], off offset:240
	s_wait_loadcnt 0x0
	ds_store_b64 v3, v[1:2]
.LBB33_157:
	s_wait_alu 0xfffe
	s_or_b32 exec_lo, exec_lo, s0
	s_wait_storecnt_dscnt 0x0
	s_barrier_signal -1
	s_barrier_wait -1
	global_inv scope:SCOPE_SE
	s_clause 0x2
	scratch_load_b128 v[73:76], off, off offset:248
	scratch_load_b64 v[81:82], off, off offset:264
	scratch_load_b64 v[83:84], off, off offset:240
	v_mov_b32_e32 v1, 0
	ds_load_2addr_b64 v[77:80], v1 offset0:65 offset1:66
	ds_load_b64 v[85:86], v1 offset:536
	s_mov_b32 s0, exec_lo
	s_wait_loadcnt_dscnt 0x201
	v_mul_f32_e32 v2, v78, v74
	s_wait_loadcnt_dscnt 0x100
	v_mul_f32_e32 v87, v85, v82
	v_mul_f32_e32 v4, v77, v74
	;; [unrolled: 1-line block ×4, first 2 shown]
	v_fma_f32 v2, v77, v73, -v2
	v_fmac_f32_e32 v87, v86, v81
	v_fmac_f32_e32 v4, v78, v73
	v_dual_mul_f32 v73, v86, v82 :: v_dual_fmac_f32 v74, v80, v75
	v_fma_f32 v75, v79, v75, -v76
	v_add_f32_e32 v2, 0, v2
	s_delay_alu instid0(VALU_DEP_3) | instskip(NEXT) | instid1(VALU_DEP_2)
	v_fma_f32 v73, v85, v81, -v73
	v_add_f32_e32 v2, v2, v75
	s_delay_alu instid0(VALU_DEP_1) | instskip(SKIP_1) | instid1(VALU_DEP_1)
	v_add_f32_e32 v2, v2, v73
	s_wait_loadcnt 0x0
	v_dual_sub_f32 v73, v83, v2 :: v_dual_add_f32 v4, 0, v4
	s_delay_alu instid0(VALU_DEP_1) | instskip(NEXT) | instid1(VALU_DEP_1)
	v_add_f32_e32 v4, v4, v74
	v_add_f32_e32 v4, v4, v87
	s_delay_alu instid0(VALU_DEP_1)
	v_sub_f32_e32 v74, v84, v4
	scratch_store_b64 off, v[73:74], off offset:240
	v_cmpx_lt_u32_e32 29, v0
	s_cbranch_execz .LBB33_159
; %bb.158:
	scratch_load_b64 v[73:74], off, off offset:232
	v_mov_b32_e32 v2, v1
	scratch_store_b64 off, v[1:2], off offset:232
	s_wait_loadcnt 0x0
	ds_store_b64 v3, v[73:74]
.LBB33_159:
	s_wait_alu 0xfffe
	s_or_b32 exec_lo, exec_lo, s0
	s_wait_storecnt_dscnt 0x0
	s_barrier_signal -1
	s_barrier_wait -1
	global_inv scope:SCOPE_SE
	s_clause 0x2
	scratch_load_b128 v[73:76], off, off offset:240
	scratch_load_b128 v[77:80], off, off offset:256
	scratch_load_b64 v[89:90], off, off offset:232
	ds_load_b128 v[81:84], v1 offset:512
	ds_load_b128 v[85:88], v1 offset:528
	s_mov_b32 s0, exec_lo
	s_wait_loadcnt_dscnt 0x201
	v_dual_mul_f32 v1, v81, v74 :: v_dual_mul_f32 v4, v83, v76
	s_wait_loadcnt_dscnt 0x100
	v_dual_mul_f32 v2, v82, v74 :: v_dual_mul_f32 v91, v87, v80
	s_delay_alu instid0(VALU_DEP_2) | instskip(SKIP_1) | instid1(VALU_DEP_3)
	v_dual_mul_f32 v74, v85, v78 :: v_dual_fmac_f32 v1, v82, v73
	v_mul_f32_e32 v76, v84, v76
	v_fma_f32 v2, v81, v73, -v2
	v_dual_mul_f32 v73, v86, v78 :: v_dual_fmac_f32 v4, v84, v75
	s_delay_alu instid0(VALU_DEP_4) | instskip(NEXT) | instid1(VALU_DEP_4)
	v_add_f32_e32 v1, 0, v1
	v_fma_f32 v75, v83, v75, -v76
	s_delay_alu instid0(VALU_DEP_4) | instskip(SKIP_4) | instid1(VALU_DEP_2)
	v_add_f32_e32 v2, 0, v2
	v_dual_fmac_f32 v74, v86, v77 :: v_dual_fmac_f32 v91, v88, v79
	v_fma_f32 v73, v85, v77, -v73
	v_add_f32_e32 v1, v1, v4
	v_mul_f32_e32 v76, v88, v80
	v_dual_add_f32 v2, v2, v75 :: v_dual_add_f32 v1, v1, v74
	s_delay_alu instid0(VALU_DEP_2) | instskip(NEXT) | instid1(VALU_DEP_2)
	v_fma_f32 v4, v87, v79, -v76
	v_add_f32_e32 v2, v2, v73
	s_delay_alu instid0(VALU_DEP_1) | instskip(NEXT) | instid1(VALU_DEP_4)
	v_add_f32_e32 v2, v2, v4
	v_add_f32_e32 v4, v1, v91
	s_wait_loadcnt 0x0
	s_delay_alu instid0(VALU_DEP_1)
	v_dual_sub_f32 v1, v89, v2 :: v_dual_sub_f32 v2, v90, v4
	scratch_store_b64 off, v[1:2], off offset:232
	v_cmpx_lt_u32_e32 28, v0
	s_cbranch_execz .LBB33_161
; %bb.160:
	scratch_load_b64 v[1:2], off, off offset:224
	v_mov_b32_e32 v73, 0
	s_delay_alu instid0(VALU_DEP_1)
	v_mov_b32_e32 v74, v73
	scratch_store_b64 off, v[73:74], off offset:224
	s_wait_loadcnt 0x0
	ds_store_b64 v3, v[1:2]
.LBB33_161:
	s_wait_alu 0xfffe
	s_or_b32 exec_lo, exec_lo, s0
	s_wait_storecnt_dscnt 0x0
	s_barrier_signal -1
	s_barrier_wait -1
	global_inv scope:SCOPE_SE
	s_clause 0x3
	scratch_load_b128 v[73:76], off, off offset:232
	scratch_load_b128 v[77:80], off, off offset:248
	scratch_load_b64 v[89:90], off, off offset:264
	scratch_load_b64 v[91:92], off, off offset:224
	v_mov_b32_e32 v1, 0
	ds_load_2addr_b64 v[81:84], v1 offset0:63 offset1:64
	ds_load_2addr_b64 v[85:88], v1 offset0:65 offset1:66
	ds_load_b64 v[93:94], v1 offset:536
	s_mov_b32 s0, exec_lo
	s_wait_loadcnt_dscnt 0x302
	v_mul_f32_e32 v2, v81, v74
	v_mul_f32_e32 v74, v82, v74
	s_wait_loadcnt_dscnt 0x201
	v_dual_mul_f32 v4, v83, v76 :: v_dual_mul_f32 v95, v85, v78
	v_mul_f32_e32 v76, v84, v76
	s_wait_loadcnt_dscnt 0x100
	v_dual_mul_f32 v96, v87, v80 :: v_dual_mul_f32 v97, v93, v90
	v_fma_f32 v74, v81, v73, -v74
	v_fmac_f32_e32 v2, v82, v73
	v_dual_mul_f32 v73, v86, v78 :: v_dual_fmac_f32 v4, v84, v75
	v_fmac_f32_e32 v95, v86, v77
	v_fma_f32 v75, v83, v75, -v76
	v_dual_add_f32 v74, 0, v74 :: v_dual_fmac_f32 v97, v94, v89
	s_delay_alu instid0(VALU_DEP_4) | instskip(SKIP_2) | instid1(VALU_DEP_4)
	v_fma_f32 v73, v85, v77, -v73
	v_mul_f32_e32 v76, v88, v80
	v_fmac_f32_e32 v96, v88, v79
	v_add_f32_e32 v74, v74, v75
	v_add_f32_e32 v2, 0, v2
	s_delay_alu instid0(VALU_DEP_4) | instskip(NEXT) | instid1(VALU_DEP_3)
	v_fma_f32 v75, v87, v79, -v76
	v_add_f32_e32 v73, v74, v73
	s_delay_alu instid0(VALU_DEP_3) | instskip(NEXT) | instid1(VALU_DEP_2)
	v_add_f32_e32 v2, v2, v4
	v_dual_mul_f32 v4, v94, v90 :: v_dual_add_f32 v73, v73, v75
	s_delay_alu instid0(VALU_DEP_2) | instskip(NEXT) | instid1(VALU_DEP_2)
	v_add_f32_e32 v2, v2, v95
	v_fma_f32 v4, v93, v89, -v4
	s_delay_alu instid0(VALU_DEP_2) | instskip(NEXT) | instid1(VALU_DEP_2)
	v_add_f32_e32 v2, v2, v96
	v_add_f32_e32 v4, v73, v4
	s_wait_loadcnt 0x0
	s_delay_alu instid0(VALU_DEP_1) | instskip(NEXT) | instid1(VALU_DEP_1)
	v_dual_add_f32 v2, v2, v97 :: v_dual_sub_f32 v73, v91, v4
	v_sub_f32_e32 v74, v92, v2
	scratch_store_b64 off, v[73:74], off offset:224
	v_cmpx_lt_u32_e32 27, v0
	s_cbranch_execz .LBB33_163
; %bb.162:
	scratch_load_b64 v[73:74], off, off offset:216
	v_mov_b32_e32 v2, v1
	scratch_store_b64 off, v[1:2], off offset:216
	s_wait_loadcnt 0x0
	ds_store_b64 v3, v[73:74]
.LBB33_163:
	s_wait_alu 0xfffe
	s_or_b32 exec_lo, exec_lo, s0
	s_wait_storecnt_dscnt 0x0
	s_barrier_signal -1
	s_barrier_wait -1
	global_inv scope:SCOPE_SE
	s_clause 0x3
	scratch_load_b128 v[73:76], off, off offset:224
	scratch_load_b128 v[77:80], off, off offset:240
	;; [unrolled: 1-line block ×3, first 2 shown]
	scratch_load_b64 v[97:98], off, off offset:216
	ds_load_b128 v[85:88], v1 offset:496
	ds_load_b128 v[89:92], v1 offset:512
	;; [unrolled: 1-line block ×3, first 2 shown]
	s_mov_b32 s0, exec_lo
	s_wait_loadcnt_dscnt 0x302
	v_dual_mul_f32 v1, v85, v74 :: v_dual_mul_f32 v2, v87, v76
	s_wait_loadcnt_dscnt 0x100
	v_dual_mul_f32 v74, v86, v74 :: v_dual_mul_f32 v101, v95, v84
	s_delay_alu instid0(VALU_DEP_2) | instskip(SKIP_1) | instid1(VALU_DEP_3)
	v_dual_mul_f32 v100, v93, v82 :: v_dual_fmac_f32 v1, v86, v73
	v_mul_f32_e32 v76, v88, v76
	v_fma_f32 v74, v85, v73, -v74
	v_dual_mul_f32 v4, v89, v78 :: v_dual_mul_f32 v99, v91, v80
	v_dual_mul_f32 v73, v90, v78 :: v_dual_fmac_f32 v2, v88, v75
	v_add_f32_e32 v1, 0, v1
	v_fma_f32 v75, v87, v75, -v76
	s_delay_alu instid0(VALU_DEP_4) | instskip(NEXT) | instid1(VALU_DEP_3)
	v_dual_add_f32 v74, 0, v74 :: v_dual_fmac_f32 v99, v92, v79
	v_dual_mul_f32 v76, v92, v80 :: v_dual_add_f32 v1, v1, v2
	v_fma_f32 v73, v89, v77, -v73
	s_delay_alu instid0(VALU_DEP_3) | instskip(SKIP_1) | instid1(VALU_DEP_4)
	v_add_f32_e32 v74, v74, v75
	v_dual_fmac_f32 v100, v94, v81 :: v_dual_fmac_f32 v101, v96, v83
	v_fma_f32 v75, v91, v79, -v76
	s_delay_alu instid0(VALU_DEP_3) | instskip(NEXT) | instid1(VALU_DEP_1)
	v_add_f32_e32 v73, v74, v73
	v_dual_fmac_f32 v4, v90, v77 :: v_dual_add_f32 v73, v73, v75
	s_delay_alu instid0(VALU_DEP_1) | instskip(NEXT) | instid1(VALU_DEP_1)
	v_dual_add_f32 v1, v1, v4 :: v_dual_mul_f32 v2, v94, v82
	v_dual_mul_f32 v4, v96, v84 :: v_dual_add_f32 v1, v1, v99
	s_delay_alu instid0(VALU_DEP_2) | instskip(NEXT) | instid1(VALU_DEP_2)
	v_fma_f32 v2, v93, v81, -v2
	v_fma_f32 v4, v95, v83, -v4
	s_delay_alu instid0(VALU_DEP_3) | instskip(NEXT) | instid1(VALU_DEP_3)
	v_add_f32_e32 v1, v1, v100
	v_add_f32_e32 v2, v73, v2
	s_delay_alu instid0(VALU_DEP_1) | instskip(NEXT) | instid1(VALU_DEP_3)
	v_add_f32_e32 v2, v2, v4
	v_add_f32_e32 v4, v1, v101
	s_wait_loadcnt 0x0
	s_delay_alu instid0(VALU_DEP_1)
	v_dual_sub_f32 v1, v97, v2 :: v_dual_sub_f32 v2, v98, v4
	scratch_store_b64 off, v[1:2], off offset:216
	v_cmpx_lt_u32_e32 26, v0
	s_cbranch_execz .LBB33_165
; %bb.164:
	scratch_load_b64 v[1:2], off, off offset:208
	v_mov_b32_e32 v73, 0
	s_delay_alu instid0(VALU_DEP_1)
	v_mov_b32_e32 v74, v73
	scratch_store_b64 off, v[73:74], off offset:208
	s_wait_loadcnt 0x0
	ds_store_b64 v3, v[1:2]
.LBB33_165:
	s_wait_alu 0xfffe
	s_or_b32 exec_lo, exec_lo, s0
	s_wait_storecnt_dscnt 0x0
	s_barrier_signal -1
	s_barrier_wait -1
	global_inv scope:SCOPE_SE
	s_clause 0x4
	scratch_load_b128 v[73:76], off, off offset:216
	scratch_load_b128 v[77:80], off, off offset:232
	;; [unrolled: 1-line block ×3, first 2 shown]
	scratch_load_b64 v[97:98], off, off offset:264
	scratch_load_b64 v[99:100], off, off offset:208
	v_mov_b32_e32 v1, 0
	ds_load_2addr_b64 v[85:88], v1 offset0:61 offset1:62
	ds_load_2addr_b64 v[89:92], v1 offset0:63 offset1:64
	;; [unrolled: 1-line block ×3, first 2 shown]
	ds_load_b64 v[101:102], v1 offset:536
	s_mov_b32 s0, exec_lo
	s_wait_loadcnt_dscnt 0x403
	v_mul_f32_e32 v2, v85, v74
	v_mul_f32_e32 v74, v86, v74
	s_wait_loadcnt_dscnt 0x302
	v_dual_mul_f32 v4, v87, v76 :: v_dual_mul_f32 v103, v89, v78
	v_mul_f32_e32 v76, v88, v76
	s_wait_loadcnt_dscnt 0x201
	v_dual_mul_f32 v104, v91, v80 :: v_dual_mul_f32 v105, v93, v82
	v_fma_f32 v74, v85, v73, -v74
	v_fmac_f32_e32 v2, v86, v73
	v_dual_mul_f32 v73, v90, v78 :: v_dual_fmac_f32 v4, v88, v75
	v_fmac_f32_e32 v103, v90, v77
	v_fma_f32 v75, v87, v75, -v76
	v_dual_add_f32 v74, 0, v74 :: v_dual_fmac_f32 v105, v94, v81
	s_delay_alu instid0(VALU_DEP_4)
	v_fma_f32 v73, v89, v77, -v73
	v_mul_f32_e32 v76, v92, v80
	s_wait_loadcnt_dscnt 0x100
	v_dual_mul_f32 v106, v95, v84 :: v_dual_mul_f32 v107, v101, v98
	v_add_f32_e32 v74, v74, v75
	v_add_f32_e32 v2, 0, v2
	v_fmac_f32_e32 v104, v92, v79
	v_fma_f32 v75, v91, v79, -v76
	v_fmac_f32_e32 v107, v102, v97
	v_add_f32_e32 v73, v74, v73
	v_add_f32_e32 v2, v2, v4
	v_mul_f32_e32 v4, v94, v82
	v_mul_f32_e32 v74, v96, v84
	v_fmac_f32_e32 v106, v96, v83
	v_add_f32_e32 v73, v73, v75
	v_add_f32_e32 v2, v2, v103
	v_fma_f32 v4, v93, v81, -v4
	v_mul_f32_e32 v75, v102, v98
	v_fma_f32 v74, v95, v83, -v74
	s_delay_alu instid0(VALU_DEP_4) | instskip(NEXT) | instid1(VALU_DEP_4)
	v_add_f32_e32 v2, v2, v104
	v_add_f32_e32 v4, v73, v4
	s_delay_alu instid0(VALU_DEP_4) | instskip(NEXT) | instid1(VALU_DEP_3)
	v_fma_f32 v73, v101, v97, -v75
	v_add_f32_e32 v2, v2, v105
	s_delay_alu instid0(VALU_DEP_3) | instskip(NEXT) | instid1(VALU_DEP_2)
	v_add_f32_e32 v4, v4, v74
	v_add_f32_e32 v2, v2, v106
	s_delay_alu instid0(VALU_DEP_2) | instskip(SKIP_1) | instid1(VALU_DEP_1)
	v_add_f32_e32 v4, v4, v73
	s_wait_loadcnt 0x0
	v_dual_add_f32 v2, v2, v107 :: v_dual_sub_f32 v73, v99, v4
	s_delay_alu instid0(VALU_DEP_1)
	v_sub_f32_e32 v74, v100, v2
	scratch_store_b64 off, v[73:74], off offset:208
	v_cmpx_lt_u32_e32 25, v0
	s_cbranch_execz .LBB33_167
; %bb.166:
	scratch_load_b64 v[73:74], off, off offset:200
	v_mov_b32_e32 v2, v1
	scratch_store_b64 off, v[1:2], off offset:200
	s_wait_loadcnt 0x0
	ds_store_b64 v3, v[73:74]
.LBB33_167:
	s_wait_alu 0xfffe
	s_or_b32 exec_lo, exec_lo, s0
	s_wait_storecnt_dscnt 0x0
	s_barrier_signal -1
	s_barrier_wait -1
	global_inv scope:SCOPE_SE
	s_clause 0x4
	scratch_load_b128 v[73:76], off, off offset:208
	scratch_load_b128 v[77:80], off, off offset:224
	;; [unrolled: 1-line block ×4, first 2 shown]
	scratch_load_b64 v[105:106], off, off offset:200
	ds_load_b128 v[89:92], v1 offset:480
	ds_load_b128 v[93:96], v1 offset:496
	;; [unrolled: 1-line block ×4, first 2 shown]
	s_mov_b32 s0, exec_lo
	s_wait_loadcnt_dscnt 0x403
	v_dual_mul_f32 v1, v89, v74 :: v_dual_mul_f32 v2, v91, v76
	s_wait_loadcnt_dscnt 0x100
	v_dual_mul_f32 v74, v90, v74 :: v_dual_mul_f32 v111, v103, v88
	s_delay_alu instid0(VALU_DEP_2) | instskip(SKIP_1) | instid1(VALU_DEP_3)
	v_dual_mul_f32 v110, v101, v86 :: v_dual_fmac_f32 v1, v90, v73
	v_mul_f32_e32 v76, v92, v76
	v_fma_f32 v74, v89, v73, -v74
	v_dual_mul_f32 v4, v93, v78 :: v_dual_mul_f32 v107, v95, v80
	v_dual_mul_f32 v73, v94, v78 :: v_dual_fmac_f32 v2, v92, v75
	v_add_f32_e32 v1, 0, v1
	v_fma_f32 v75, v91, v75, -v76
	s_delay_alu instid0(VALU_DEP_4) | instskip(NEXT) | instid1(VALU_DEP_3)
	v_dual_add_f32 v74, 0, v74 :: v_dual_fmac_f32 v107, v96, v79
	v_dual_mul_f32 v76, v96, v80 :: v_dual_add_f32 v1, v1, v2
	v_fma_f32 v73, v93, v77, -v73
	s_delay_alu instid0(VALU_DEP_3) | instskip(SKIP_1) | instid1(VALU_DEP_4)
	v_add_f32_e32 v74, v74, v75
	v_dual_mul_f32 v108, v97, v82 :: v_dual_mul_f32 v109, v99, v84
	v_fma_f32 v75, v95, v79, -v76
	v_dual_fmac_f32 v110, v102, v85 :: v_dual_fmac_f32 v111, v104, v87
	s_delay_alu instid0(VALU_DEP_4) | instskip(SKIP_2) | instid1(VALU_DEP_3)
	v_add_f32_e32 v73, v74, v73
	v_fmac_f32_e32 v4, v94, v77
	v_dual_fmac_f32 v108, v98, v81 :: v_dual_fmac_f32 v109, v100, v83
	v_add_f32_e32 v73, v73, v75
	s_delay_alu instid0(VALU_DEP_3) | instskip(NEXT) | instid1(VALU_DEP_1)
	v_dual_add_f32 v1, v1, v4 :: v_dual_mul_f32 v2, v98, v82
	v_dual_mul_f32 v4, v100, v84 :: v_dual_add_f32 v1, v1, v107
	s_delay_alu instid0(VALU_DEP_2) | instskip(SKIP_1) | instid1(VALU_DEP_3)
	v_fma_f32 v2, v97, v81, -v2
	v_mul_f32_e32 v74, v102, v86
	v_fma_f32 v4, v99, v83, -v4
	s_delay_alu instid0(VALU_DEP_4) | instskip(NEXT) | instid1(VALU_DEP_4)
	v_add_f32_e32 v1, v1, v108
	v_dual_add_f32 v2, v73, v2 :: v_dual_mul_f32 v73, v104, v88
	s_delay_alu instid0(VALU_DEP_4) | instskip(NEXT) | instid1(VALU_DEP_2)
	v_fma_f32 v74, v101, v85, -v74
	v_dual_add_f32 v1, v1, v109 :: v_dual_add_f32 v2, v2, v4
	s_delay_alu instid0(VALU_DEP_3) | instskip(NEXT) | instid1(VALU_DEP_2)
	v_fma_f32 v4, v103, v87, -v73
	v_add_f32_e32 v2, v2, v74
	s_delay_alu instid0(VALU_DEP_1) | instskip(NEXT) | instid1(VALU_DEP_1)
	v_dual_add_f32 v1, v1, v110 :: v_dual_add_f32 v2, v2, v4
	v_add_f32_e32 v4, v1, v111
	s_wait_loadcnt 0x0
	s_delay_alu instid0(VALU_DEP_1)
	v_dual_sub_f32 v1, v105, v2 :: v_dual_sub_f32 v2, v106, v4
	scratch_store_b64 off, v[1:2], off offset:200
	v_cmpx_lt_u32_e32 24, v0
	s_cbranch_execz .LBB33_169
; %bb.168:
	scratch_load_b64 v[1:2], off, off offset:192
	v_mov_b32_e32 v73, 0
	s_delay_alu instid0(VALU_DEP_1)
	v_mov_b32_e32 v74, v73
	scratch_store_b64 off, v[73:74], off offset:192
	s_wait_loadcnt 0x0
	ds_store_b64 v3, v[1:2]
.LBB33_169:
	s_wait_alu 0xfffe
	s_or_b32 exec_lo, exec_lo, s0
	s_wait_storecnt_dscnt 0x0
	s_barrier_signal -1
	s_barrier_wait -1
	global_inv scope:SCOPE_SE
	s_clause 0x5
	scratch_load_b128 v[73:76], off, off offset:200
	scratch_load_b128 v[77:80], off, off offset:216
	;; [unrolled: 1-line block ×4, first 2 shown]
	scratch_load_b64 v[105:106], off, off offset:264
	scratch_load_b64 v[107:108], off, off offset:192
	v_mov_b32_e32 v1, 0
	ds_load_2addr_b64 v[89:92], v1 offset0:59 offset1:60
	ds_load_2addr_b64 v[93:96], v1 offset0:61 offset1:62
	;; [unrolled: 1-line block ×4, first 2 shown]
	ds_load_b64 v[109:110], v1 offset:536
	s_mov_b32 s0, exec_lo
	s_wait_loadcnt_dscnt 0x504
	v_mul_f32_e32 v2, v89, v74
	v_mul_f32_e32 v74, v90, v74
	s_wait_loadcnt_dscnt 0x403
	v_dual_mul_f32 v4, v91, v76 :: v_dual_mul_f32 v111, v93, v78
	v_mul_f32_e32 v76, v92, v76
	s_wait_loadcnt_dscnt 0x302
	v_dual_mul_f32 v112, v95, v80 :: v_dual_mul_f32 v113, v97, v82
	v_fma_f32 v74, v89, v73, -v74
	v_fmac_f32_e32 v2, v90, v73
	v_dual_mul_f32 v73, v94, v78 :: v_dual_fmac_f32 v4, v92, v75
	v_fmac_f32_e32 v111, v94, v77
	v_fma_f32 v75, v91, v75, -v76
	v_dual_add_f32 v74, 0, v74 :: v_dual_fmac_f32 v113, v98, v81
	s_delay_alu instid0(VALU_DEP_4)
	v_fma_f32 v73, v93, v77, -v73
	v_mul_f32_e32 v76, v96, v80
	s_wait_loadcnt_dscnt 0x201
	v_dual_mul_f32 v114, v99, v84 :: v_dual_mul_f32 v115, v101, v86
	v_add_f32_e32 v74, v74, v75
	v_add_f32_e32 v2, 0, v2
	v_fmac_f32_e32 v112, v96, v79
	v_fma_f32 v75, v95, v79, -v76
	s_wait_loadcnt_dscnt 0x100
	v_dual_mul_f32 v116, v103, v88 :: v_dual_mul_f32 v117, v109, v106
	v_add_f32_e32 v73, v74, v73
	v_add_f32_e32 v2, v2, v4
	v_mul_f32_e32 v4, v98, v82
	s_delay_alu instid0(VALU_DEP_4) | instskip(NEXT) | instid1(VALU_DEP_4)
	v_dual_mul_f32 v74, v100, v84 :: v_dual_fmac_f32 v117, v110, v105
	v_add_f32_e32 v73, v73, v75
	s_delay_alu instid0(VALU_DEP_4) | instskip(NEXT) | instid1(VALU_DEP_4)
	v_add_f32_e32 v2, v2, v111
	v_fma_f32 v4, v97, v81, -v4
	v_fmac_f32_e32 v115, v102, v85
	v_dual_mul_f32 v75, v102, v86 :: v_dual_fmac_f32 v114, v100, v83
	s_delay_alu instid0(VALU_DEP_4)
	v_add_f32_e32 v2, v2, v112
	v_fma_f32 v74, v99, v83, -v74
	v_add_f32_e32 v4, v73, v4
	v_mul_f32_e32 v73, v104, v88
	v_fma_f32 v75, v101, v85, -v75
	v_add_f32_e32 v2, v2, v113
	v_fmac_f32_e32 v116, v104, v87
	v_add_f32_e32 v4, v4, v74
	v_mul_f32_e32 v74, v110, v106
	v_fma_f32 v73, v103, v87, -v73
	v_add_f32_e32 v2, v2, v114
	s_delay_alu instid0(VALU_DEP_4) | instskip(NEXT) | instid1(VALU_DEP_4)
	v_add_f32_e32 v4, v4, v75
	v_fma_f32 v74, v109, v105, -v74
	s_delay_alu instid0(VALU_DEP_3) | instskip(NEXT) | instid1(VALU_DEP_3)
	v_add_f32_e32 v2, v2, v115
	v_add_f32_e32 v4, v4, v73
	s_delay_alu instid0(VALU_DEP_2) | instskip(NEXT) | instid1(VALU_DEP_2)
	v_add_f32_e32 v2, v2, v116
	v_add_f32_e32 v4, v4, v74
	s_wait_loadcnt 0x0
	s_delay_alu instid0(VALU_DEP_1) | instskip(NEXT) | instid1(VALU_DEP_1)
	v_dual_add_f32 v2, v2, v117 :: v_dual_sub_f32 v73, v107, v4
	v_sub_f32_e32 v74, v108, v2
	scratch_store_b64 off, v[73:74], off offset:192
	v_cmpx_lt_u32_e32 23, v0
	s_cbranch_execz .LBB33_171
; %bb.170:
	scratch_load_b64 v[73:74], off, off offset:184
	v_mov_b32_e32 v2, v1
	scratch_store_b64 off, v[1:2], off offset:184
	s_wait_loadcnt 0x0
	ds_store_b64 v3, v[73:74]
.LBB33_171:
	s_wait_alu 0xfffe
	s_or_b32 exec_lo, exec_lo, s0
	s_wait_storecnt_dscnt 0x0
	s_barrier_signal -1
	s_barrier_wait -1
	global_inv scope:SCOPE_SE
	s_clause 0x5
	scratch_load_b128 v[73:76], off, off offset:192
	scratch_load_b128 v[77:80], off, off offset:208
	;; [unrolled: 1-line block ×5, first 2 shown]
	scratch_load_b64 v[113:114], off, off offset:184
	ds_load_b128 v[93:96], v1 offset:464
	ds_load_b128 v[97:100], v1 offset:480
	;; [unrolled: 1-line block ×5, first 2 shown]
	s_mov_b32 s0, exec_lo
	s_wait_loadcnt_dscnt 0x504
	v_dual_mul_f32 v1, v93, v74 :: v_dual_mul_f32 v2, v95, v76
	v_mul_f32_e32 v74, v94, v74
	v_mul_f32_e32 v76, v96, v76
	s_wait_loadcnt_dscnt 0x100
	s_delay_alu instid0(VALU_DEP_3)
	v_dual_mul_f32 v120, v109, v90 :: v_dual_fmac_f32 v1, v94, v73
	v_mul_f32_e32 v121, v111, v92
	v_fma_f32 v74, v93, v73, -v74
	v_dual_mul_f32 v4, v97, v78 :: v_dual_mul_f32 v115, v99, v80
	v_dual_mul_f32 v73, v98, v78 :: v_dual_fmac_f32 v2, v96, v75
	v_add_f32_e32 v1, 0, v1
	v_fma_f32 v75, v95, v75, -v76
	s_delay_alu instid0(VALU_DEP_4) | instskip(NEXT) | instid1(VALU_DEP_3)
	v_dual_add_f32 v74, 0, v74 :: v_dual_fmac_f32 v115, v100, v79
	v_dual_mul_f32 v76, v100, v80 :: v_dual_add_f32 v1, v1, v2
	v_fma_f32 v73, v97, v77, -v73
	s_delay_alu instid0(VALU_DEP_3) | instskip(SKIP_1) | instid1(VALU_DEP_4)
	v_add_f32_e32 v74, v74, v75
	v_dual_mul_f32 v116, v101, v82 :: v_dual_mul_f32 v117, v103, v84
	v_fma_f32 v75, v99, v79, -v76
	v_dual_mul_f32 v118, v105, v86 :: v_dual_mul_f32 v119, v107, v88
	s_delay_alu instid0(VALU_DEP_4) | instskip(SKIP_2) | instid1(VALU_DEP_4)
	v_add_f32_e32 v73, v74, v73
	v_fmac_f32_e32 v4, v98, v77
	v_dual_fmac_f32 v116, v102, v81 :: v_dual_fmac_f32 v117, v104, v83
	v_dual_fmac_f32 v118, v106, v85 :: v_dual_fmac_f32 v119, v108, v87
	s_delay_alu instid0(VALU_DEP_4) | instskip(NEXT) | instid1(VALU_DEP_4)
	v_add_f32_e32 v73, v73, v75
	v_dual_add_f32 v1, v1, v4 :: v_dual_mul_f32 v2, v102, v82
	v_mul_f32_e32 v4, v104, v84
	v_fmac_f32_e32 v121, v112, v91
	s_delay_alu instid0(VALU_DEP_3) | instskip(NEXT) | instid1(VALU_DEP_4)
	v_add_f32_e32 v1, v1, v115
	v_fma_f32 v2, v101, v81, -v2
	v_mul_f32_e32 v74, v106, v86
	v_fma_f32 v4, v103, v83, -v4
	s_delay_alu instid0(VALU_DEP_4) | instskip(NEXT) | instid1(VALU_DEP_4)
	v_add_f32_e32 v1, v1, v116
	v_dual_add_f32 v2, v73, v2 :: v_dual_mul_f32 v73, v108, v88
	s_delay_alu instid0(VALU_DEP_4) | instskip(NEXT) | instid1(VALU_DEP_2)
	v_fma_f32 v74, v105, v85, -v74
	v_dual_add_f32 v1, v1, v117 :: v_dual_add_f32 v2, v2, v4
	s_delay_alu instid0(VALU_DEP_3) | instskip(NEXT) | instid1(VALU_DEP_2)
	v_fma_f32 v73, v107, v87, -v73
	v_add_f32_e32 v1, v1, v118
	s_delay_alu instid0(VALU_DEP_3) | instskip(SKIP_1) | instid1(VALU_DEP_3)
	v_add_f32_e32 v2, v2, v74
	v_mul_f32_e32 v74, v112, v92
	v_dual_mul_f32 v4, v110, v90 :: v_dual_add_f32 v1, v1, v119
	s_delay_alu instid0(VALU_DEP_3) | instskip(NEXT) | instid1(VALU_DEP_3)
	v_add_f32_e32 v2, v2, v73
	v_fma_f32 v73, v111, v91, -v74
	s_delay_alu instid0(VALU_DEP_3) | instskip(NEXT) | instid1(VALU_DEP_1)
	v_fma_f32 v4, v109, v89, -v4
	v_add_f32_e32 v2, v2, v4
	s_delay_alu instid0(VALU_DEP_1) | instskip(SKIP_1) | instid1(VALU_DEP_1)
	v_add_f32_e32 v2, v2, v73
	v_fmac_f32_e32 v120, v110, v89
	v_add_f32_e32 v1, v1, v120
	s_delay_alu instid0(VALU_DEP_1) | instskip(SKIP_1) | instid1(VALU_DEP_1)
	v_add_f32_e32 v4, v1, v121
	s_wait_loadcnt 0x0
	v_dual_sub_f32 v1, v113, v2 :: v_dual_sub_f32 v2, v114, v4
	scratch_store_b64 off, v[1:2], off offset:184
	v_cmpx_lt_u32_e32 22, v0
	s_cbranch_execz .LBB33_173
; %bb.172:
	scratch_load_b64 v[1:2], off, off offset:176
	v_mov_b32_e32 v73, 0
	s_delay_alu instid0(VALU_DEP_1)
	v_mov_b32_e32 v74, v73
	scratch_store_b64 off, v[73:74], off offset:176
	s_wait_loadcnt 0x0
	ds_store_b64 v3, v[1:2]
.LBB33_173:
	s_wait_alu 0xfffe
	s_or_b32 exec_lo, exec_lo, s0
	s_wait_storecnt_dscnt 0x0
	s_barrier_signal -1
	s_barrier_wait -1
	global_inv scope:SCOPE_SE
	s_clause 0x6
	scratch_load_b128 v[73:76], off, off offset:184
	scratch_load_b128 v[77:80], off, off offset:200
	;; [unrolled: 1-line block ×5, first 2 shown]
	scratch_load_b64 v[113:114], off, off offset:264
	scratch_load_b64 v[115:116], off, off offset:176
	v_mov_b32_e32 v1, 0
	ds_load_2addr_b64 v[93:96], v1 offset0:57 offset1:58
	ds_load_2addr_b64 v[97:100], v1 offset0:59 offset1:60
	ds_load_2addr_b64 v[101:104], v1 offset0:61 offset1:62
	ds_load_2addr_b64 v[105:108], v1 offset0:63 offset1:64
	ds_load_2addr_b64 v[109:112], v1 offset0:65 offset1:66
	ds_load_b64 v[117:118], v1 offset:536
	s_mov_b32 s0, exec_lo
	s_wait_loadcnt_dscnt 0x605
	v_mul_f32_e32 v2, v93, v74
	v_mul_f32_e32 v74, v94, v74
	s_wait_loadcnt_dscnt 0x504
	v_dual_mul_f32 v4, v95, v76 :: v_dual_mul_f32 v119, v97, v78
	v_mul_f32_e32 v76, v96, v76
	s_wait_loadcnt_dscnt 0x403
	v_dual_mul_f32 v120, v99, v80 :: v_dual_mul_f32 v121, v101, v82
	v_fma_f32 v74, v93, v73, -v74
	v_fmac_f32_e32 v2, v94, v73
	v_dual_mul_f32 v73, v98, v78 :: v_dual_fmac_f32 v4, v96, v75
	v_fmac_f32_e32 v119, v98, v77
	v_fma_f32 v75, v95, v75, -v76
	v_dual_add_f32 v74, 0, v74 :: v_dual_fmac_f32 v121, v102, v81
	v_mul_f32_e32 v76, v100, v80
	v_fma_f32 v73, v97, v77, -v73
	s_wait_loadcnt_dscnt 0x201
	v_dual_mul_f32 v124, v107, v88 :: v_dual_mul_f32 v125, v109, v90
	v_add_f32_e32 v74, v74, v75
	v_add_f32_e32 v2, 0, v2
	v_fma_f32 v75, v99, v79, -v76
	s_wait_loadcnt_dscnt 0x100
	v_dual_mul_f32 v126, v111, v92 :: v_dual_mul_f32 v127, v117, v114
	v_add_f32_e32 v73, v74, v73
	v_add_f32_e32 v2, v2, v4
	v_mul_f32_e32 v4, v102, v82
	v_dual_mul_f32 v74, v104, v84 :: v_dual_fmac_f32 v125, v110, v89
	s_delay_alu instid0(VALU_DEP_4) | instskip(SKIP_1) | instid1(VALU_DEP_4)
	v_add_f32_e32 v73, v73, v75
	v_mul_f32_e32 v75, v106, v86
	v_fma_f32 v4, v101, v81, -v4
	s_delay_alu instid0(VALU_DEP_4) | instskip(SKIP_2) | instid1(VALU_DEP_4)
	v_fma_f32 v74, v103, v83, -v74
	v_dual_fmac_f32 v127, v118, v113 :: v_dual_mul_f32 v122, v103, v84
	v_mul_f32_e32 v123, v105, v86
	v_add_f32_e32 v4, v73, v4
	v_mul_f32_e32 v73, v108, v88
	v_fma_f32 v75, v105, v85, -v75
	v_fmac_f32_e32 v122, v104, v83
	v_dual_fmac_f32 v120, v100, v79 :: v_dual_fmac_f32 v123, v106, v85
	v_add_f32_e32 v4, v4, v74
	v_mul_f32_e32 v74, v110, v90
	v_fma_f32 v73, v107, v87, -v73
	v_fmac_f32_e32 v124, v108, v87
	v_fmac_f32_e32 v126, v112, v91
	v_add_f32_e32 v4, v4, v75
	v_mul_f32_e32 v75, v112, v92
	v_fma_f32 v74, v109, v89, -v74
	s_delay_alu instid0(VALU_DEP_3) | instskip(NEXT) | instid1(VALU_DEP_3)
	v_dual_add_f32 v4, v4, v73 :: v_dual_mul_f32 v73, v118, v114
	v_fma_f32 v75, v111, v91, -v75
	s_delay_alu instid0(VALU_DEP_2) | instskip(NEXT) | instid1(VALU_DEP_3)
	v_add_f32_e32 v4, v4, v74
	v_fma_f32 v73, v117, v113, -v73
	s_delay_alu instid0(VALU_DEP_2) | instskip(NEXT) | instid1(VALU_DEP_1)
	v_add_f32_e32 v4, v4, v75
	v_add_f32_e32 v4, v4, v73
	s_wait_loadcnt 0x0
	s_delay_alu instid0(VALU_DEP_1) | instskip(NEXT) | instid1(VALU_DEP_1)
	v_dual_add_f32 v2, v2, v119 :: v_dual_sub_f32 v73, v115, v4
	v_add_f32_e32 v2, v2, v120
	s_delay_alu instid0(VALU_DEP_1) | instskip(NEXT) | instid1(VALU_DEP_1)
	v_add_f32_e32 v2, v2, v121
	v_add_f32_e32 v2, v2, v122
	s_delay_alu instid0(VALU_DEP_1) | instskip(NEXT) | instid1(VALU_DEP_1)
	v_add_f32_e32 v2, v2, v123
	v_add_f32_e32 v2, v2, v124
	s_delay_alu instid0(VALU_DEP_1) | instskip(NEXT) | instid1(VALU_DEP_1)
	v_add_f32_e32 v2, v2, v125
	v_add_f32_e32 v2, v2, v126
	s_delay_alu instid0(VALU_DEP_1) | instskip(NEXT) | instid1(VALU_DEP_1)
	v_add_f32_e32 v2, v2, v127
	v_sub_f32_e32 v74, v116, v2
	scratch_store_b64 off, v[73:74], off offset:176
	v_cmpx_lt_u32_e32 21, v0
	s_cbranch_execz .LBB33_175
; %bb.174:
	scratch_load_b64 v[73:74], off, off offset:168
	v_mov_b32_e32 v2, v1
	scratch_store_b64 off, v[1:2], off offset:168
	s_wait_loadcnt 0x0
	ds_store_b64 v3, v[73:74]
.LBB33_175:
	s_wait_alu 0xfffe
	s_or_b32 exec_lo, exec_lo, s0
	s_wait_storecnt_dscnt 0x0
	s_barrier_signal -1
	s_barrier_wait -1
	global_inv scope:SCOPE_SE
	s_clause 0x6
	scratch_load_b128 v[73:76], off, off offset:176
	scratch_load_b128 v[77:80], off, off offset:192
	;; [unrolled: 1-line block ×6, first 2 shown]
	scratch_load_b64 v[121:122], off, off offset:168
	ds_load_b128 v[97:100], v1 offset:448
	ds_load_b128 v[101:104], v1 offset:464
	;; [unrolled: 1-line block ×6, first 2 shown]
	s_mov_b32 s0, exec_lo
	s_wait_loadcnt_dscnt 0x605
	v_dual_mul_f32 v1, v97, v74 :: v_dual_mul_f32 v2, v99, v76
	v_mul_f32_e32 v74, v98, v74
	v_mul_f32_e32 v76, v100, v76
	s_wait_loadcnt_dscnt 0x504
	v_dual_mul_f32 v4, v101, v78 :: v_dual_mul_f32 v123, v103, v80
	s_wait_loadcnt_dscnt 0x100
	v_dual_mul_f32 v130, v117, v94 :: v_dual_fmac_f32 v1, v98, v73
	v_mul_f32_e32 v131, v119, v96
	v_fma_f32 v74, v97, v73, -v74
	v_dual_mul_f32 v73, v102, v78 :: v_dual_fmac_f32 v2, v100, v75
	s_delay_alu instid0(VALU_DEP_4) | instskip(SKIP_1) | instid1(VALU_DEP_4)
	v_add_f32_e32 v1, 0, v1
	v_fma_f32 v75, v99, v75, -v76
	v_dual_add_f32 v74, 0, v74 :: v_dual_fmac_f32 v123, v104, v79
	s_delay_alu instid0(VALU_DEP_3) | instskip(SKIP_1) | instid1(VALU_DEP_3)
	v_dual_mul_f32 v76, v104, v80 :: v_dual_add_f32 v1, v1, v2
	v_fma_f32 v73, v101, v77, -v73
	v_add_f32_e32 v74, v74, v75
	v_dual_mul_f32 v124, v105, v82 :: v_dual_mul_f32 v125, v107, v84
	s_delay_alu instid0(VALU_DEP_4) | instskip(SKIP_1) | instid1(VALU_DEP_4)
	v_fma_f32 v75, v103, v79, -v76
	v_dual_mul_f32 v126, v109, v86 :: v_dual_mul_f32 v127, v111, v88
	v_add_f32_e32 v73, v74, v73
	v_fmac_f32_e32 v4, v102, v77
	v_dual_fmac_f32 v124, v106, v81 :: v_dual_fmac_f32 v125, v108, v83
	s_delay_alu instid0(VALU_DEP_4) | instskip(NEXT) | instid1(VALU_DEP_4)
	v_dual_fmac_f32 v126, v110, v85 :: v_dual_fmac_f32 v127, v112, v87
	v_add_f32_e32 v73, v73, v75
	s_delay_alu instid0(VALU_DEP_4) | instskip(SKIP_2) | instid1(VALU_DEP_3)
	v_dual_add_f32 v1, v1, v4 :: v_dual_mul_f32 v2, v106, v82
	v_mul_f32_e32 v4, v108, v84
	v_dual_mul_f32 v128, v113, v90 :: v_dual_mul_f32 v129, v115, v92
	v_add_f32_e32 v1, v1, v123
	s_delay_alu instid0(VALU_DEP_4) | instskip(SKIP_3) | instid1(VALU_DEP_4)
	v_fma_f32 v2, v105, v81, -v2
	v_mul_f32_e32 v74, v110, v86
	v_fma_f32 v4, v107, v83, -v4
	v_dual_fmac_f32 v128, v114, v89 :: v_dual_fmac_f32 v131, v120, v95
	v_dual_add_f32 v2, v73, v2 :: v_dual_mul_f32 v73, v112, v88
	v_add_f32_e32 v1, v1, v124
	v_fma_f32 v74, v109, v85, -v74
	s_delay_alu instid0(VALU_DEP_3) | instskip(NEXT) | instid1(VALU_DEP_4)
	v_dual_fmac_f32 v129, v116, v91 :: v_dual_add_f32 v2, v2, v4
	v_fma_f32 v73, v111, v87, -v73
	s_delay_alu instid0(VALU_DEP_2) | instskip(NEXT) | instid1(VALU_DEP_1)
	v_dual_add_f32 v1, v1, v125 :: v_dual_add_f32 v2, v2, v74
	v_dual_mul_f32 v74, v116, v92 :: v_dual_add_f32 v1, v1, v126
	v_mul_f32_e32 v4, v114, v90
	s_delay_alu instid0(VALU_DEP_2) | instskip(NEXT) | instid1(VALU_DEP_3)
	v_fma_f32 v74, v115, v91, -v74
	v_add_f32_e32 v1, v1, v127
	s_delay_alu instid0(VALU_DEP_3) | instskip(SKIP_2) | instid1(VALU_DEP_4)
	v_fma_f32 v4, v113, v89, -v4
	v_add_f32_e32 v2, v2, v73
	v_mul_f32_e32 v73, v118, v94
	v_add_f32_e32 v1, v1, v128
	s_delay_alu instid0(VALU_DEP_3) | instskip(SKIP_1) | instid1(VALU_DEP_4)
	v_add_f32_e32 v2, v2, v4
	v_mul_f32_e32 v4, v120, v96
	v_fma_f32 v73, v117, v93, -v73
	s_delay_alu instid0(VALU_DEP_3) | instskip(NEXT) | instid1(VALU_DEP_3)
	v_dual_add_f32 v1, v1, v129 :: v_dual_add_f32 v2, v2, v74
	v_fma_f32 v4, v119, v95, -v4
	s_delay_alu instid0(VALU_DEP_2) | instskip(NEXT) | instid1(VALU_DEP_1)
	v_add_f32_e32 v2, v2, v73
	v_add_f32_e32 v2, v2, v4
	v_fmac_f32_e32 v130, v118, v93
	s_delay_alu instid0(VALU_DEP_1) | instskip(NEXT) | instid1(VALU_DEP_1)
	v_add_f32_e32 v1, v1, v130
	v_add_f32_e32 v4, v1, v131
	s_wait_loadcnt 0x0
	s_delay_alu instid0(VALU_DEP_1)
	v_dual_sub_f32 v1, v121, v2 :: v_dual_sub_f32 v2, v122, v4
	scratch_store_b64 off, v[1:2], off offset:168
	v_cmpx_lt_u32_e32 20, v0
	s_cbranch_execz .LBB33_177
; %bb.176:
	scratch_load_b64 v[1:2], off, off offset:160
	v_mov_b32_e32 v73, 0
	s_delay_alu instid0(VALU_DEP_1)
	v_mov_b32_e32 v74, v73
	scratch_store_b64 off, v[73:74], off offset:160
	s_wait_loadcnt 0x0
	ds_store_b64 v3, v[1:2]
.LBB33_177:
	s_wait_alu 0xfffe
	s_or_b32 exec_lo, exec_lo, s0
	s_wait_storecnt_dscnt 0x0
	s_barrier_signal -1
	s_barrier_wait -1
	global_inv scope:SCOPE_SE
	s_clause 0x7
	scratch_load_b128 v[73:76], off, off offset:168
	scratch_load_b128 v[77:80], off, off offset:184
	;; [unrolled: 1-line block ×6, first 2 shown]
	scratch_load_b64 v[121:122], off, off offset:264
	scratch_load_b64 v[123:124], off, off offset:160
	v_mov_b32_e32 v1, 0
	ds_load_2addr_b64 v[97:100], v1 offset0:55 offset1:56
	ds_load_2addr_b64 v[101:104], v1 offset0:57 offset1:58
	;; [unrolled: 1-line block ×6, first 2 shown]
	ds_load_b64 v[125:126], v1 offset:536
	s_mov_b32 s0, exec_lo
	s_wait_loadcnt_dscnt 0x706
	v_mul_f32_e32 v2, v97, v74
	v_mul_f32_e32 v74, v98, v74
	s_wait_loadcnt_dscnt 0x605
	v_dual_mul_f32 v4, v99, v76 :: v_dual_mul_f32 v127, v101, v78
	v_mul_f32_e32 v76, v100, v76
	s_wait_loadcnt_dscnt 0x504
	v_dual_mul_f32 v128, v103, v80 :: v_dual_mul_f32 v129, v105, v82
	v_fma_f32 v74, v97, v73, -v74
	v_fmac_f32_e32 v2, v98, v73
	v_dual_mul_f32 v73, v102, v78 :: v_dual_fmac_f32 v4, v100, v75
	v_fmac_f32_e32 v127, v102, v77
	v_fma_f32 v75, v99, v75, -v76
	v_dual_add_f32 v74, 0, v74 :: v_dual_fmac_f32 v129, v106, v81
	v_mul_f32_e32 v76, v104, v80
	v_fma_f32 v73, v101, v77, -v73
	s_wait_loadcnt_dscnt 0x302
	v_dual_mul_f32 v132, v111, v88 :: v_dual_mul_f32 v133, v113, v90
	v_add_f32_e32 v74, v74, v75
	v_add_f32_e32 v2, 0, v2
	v_fma_f32 v75, v103, v79, -v76
	s_wait_loadcnt_dscnt 0x201
	v_dual_mul_f32 v134, v115, v92 :: v_dual_mul_f32 v135, v117, v94
	v_add_f32_e32 v73, v74, v73
	v_add_f32_e32 v2, v2, v4
	v_mul_f32_e32 v4, v106, v82
	v_dual_mul_f32 v74, v108, v84 :: v_dual_fmac_f32 v133, v114, v89
	s_delay_alu instid0(VALU_DEP_4) | instskip(SKIP_1) | instid1(VALU_DEP_4)
	v_add_f32_e32 v73, v73, v75
	v_mul_f32_e32 v75, v110, v86
	v_fma_f32 v4, v105, v81, -v4
	s_delay_alu instid0(VALU_DEP_4)
	v_fma_f32 v74, v107, v83, -v74
	s_wait_loadcnt_dscnt 0x100
	v_dual_mul_f32 v136, v119, v96 :: v_dual_mul_f32 v137, v125, v122
	v_fma_f32 v75, v109, v85, -v75
	v_dual_add_f32 v4, v73, v4 :: v_dual_fmac_f32 v135, v118, v93
	v_mul_f32_e32 v73, v112, v88
	s_delay_alu instid0(VALU_DEP_4) | instskip(SKIP_1) | instid1(VALU_DEP_4)
	v_dual_fmac_f32 v137, v126, v121 :: v_dual_mul_f32 v130, v107, v84
	v_mul_f32_e32 v131, v109, v86
	v_add_f32_e32 v4, v4, v74
	v_mul_f32_e32 v74, v114, v90
	v_fma_f32 v73, v111, v87, -v73
	v_fmac_f32_e32 v130, v108, v83
	v_fmac_f32_e32 v132, v112, v87
	v_add_f32_e32 v4, v4, v75
	v_mul_f32_e32 v75, v116, v92
	v_fma_f32 v74, v113, v89, -v74
	v_dual_fmac_f32 v128, v104, v79 :: v_dual_fmac_f32 v131, v110, v85
	s_delay_alu instid0(VALU_DEP_4) | instskip(NEXT) | instid1(VALU_DEP_4)
	v_dual_add_f32 v4, v4, v73 :: v_dual_mul_f32 v73, v118, v94
	v_fma_f32 v75, v115, v91, -v75
	v_fmac_f32_e32 v134, v116, v91
	v_fmac_f32_e32 v136, v120, v95
	s_delay_alu instid0(VALU_DEP_4) | instskip(SKIP_2) | instid1(VALU_DEP_3)
	v_add_f32_e32 v4, v4, v74
	v_mul_f32_e32 v74, v120, v96
	v_fma_f32 v73, v117, v93, -v73
	v_dual_add_f32 v4, v4, v75 :: v_dual_mul_f32 v75, v126, v122
	s_delay_alu instid0(VALU_DEP_3) | instskip(NEXT) | instid1(VALU_DEP_2)
	v_fma_f32 v74, v119, v95, -v74
	v_add_f32_e32 v4, v4, v73
	s_delay_alu instid0(VALU_DEP_3) | instskip(NEXT) | instid1(VALU_DEP_2)
	v_fma_f32 v73, v125, v121, -v75
	v_add_f32_e32 v4, v4, v74
	s_delay_alu instid0(VALU_DEP_1) | instskip(SKIP_1) | instid1(VALU_DEP_1)
	v_add_f32_e32 v4, v4, v73
	s_wait_loadcnt 0x0
	v_dual_add_f32 v2, v2, v127 :: v_dual_sub_f32 v73, v123, v4
	s_delay_alu instid0(VALU_DEP_1) | instskip(NEXT) | instid1(VALU_DEP_1)
	v_add_f32_e32 v2, v2, v128
	v_add_f32_e32 v2, v2, v129
	s_delay_alu instid0(VALU_DEP_1) | instskip(NEXT) | instid1(VALU_DEP_1)
	v_add_f32_e32 v2, v2, v130
	v_add_f32_e32 v2, v2, v131
	s_delay_alu instid0(VALU_DEP_1) | instskip(NEXT) | instid1(VALU_DEP_1)
	v_add_f32_e32 v2, v2, v132
	v_add_f32_e32 v2, v2, v133
	s_delay_alu instid0(VALU_DEP_1) | instskip(NEXT) | instid1(VALU_DEP_1)
	v_add_f32_e32 v2, v2, v134
	v_add_f32_e32 v2, v2, v135
	s_delay_alu instid0(VALU_DEP_1) | instskip(NEXT) | instid1(VALU_DEP_1)
	v_add_f32_e32 v2, v2, v136
	v_add_f32_e32 v2, v2, v137
	s_delay_alu instid0(VALU_DEP_1)
	v_sub_f32_e32 v74, v124, v2
	scratch_store_b64 off, v[73:74], off offset:160
	v_cmpx_lt_u32_e32 19, v0
	s_cbranch_execz .LBB33_179
; %bb.178:
	scratch_load_b64 v[73:74], off, off offset:152
	v_mov_b32_e32 v2, v1
	scratch_store_b64 off, v[1:2], off offset:152
	s_wait_loadcnt 0x0
	ds_store_b64 v3, v[73:74]
.LBB33_179:
	s_wait_alu 0xfffe
	s_or_b32 exec_lo, exec_lo, s0
	s_wait_storecnt_dscnt 0x0
	s_barrier_signal -1
	s_barrier_wait -1
	global_inv scope:SCOPE_SE
	s_clause 0x7
	scratch_load_b128 v[73:76], off, off offset:160
	scratch_load_b128 v[77:80], off, off offset:176
	scratch_load_b128 v[81:84], off, off offset:192
	scratch_load_b128 v[85:88], off, off offset:208
	scratch_load_b128 v[89:92], off, off offset:224
	scratch_load_b128 v[93:96], off, off offset:240
	scratch_load_b128 v[97:100], off, off offset:256
	scratch_load_b64 v[129:130], off, off offset:152
	ds_load_b128 v[101:104], v1 offset:432
	ds_load_b128 v[105:108], v1 offset:448
	;; [unrolled: 1-line block ×7, first 2 shown]
	s_mov_b32 s0, exec_lo
	s_wait_loadcnt_dscnt 0x706
	v_dual_mul_f32 v1, v101, v74 :: v_dual_mul_f32 v2, v103, v76
	v_mul_f32_e32 v74, v102, v74
	v_mul_f32_e32 v76, v104, v76
	s_wait_loadcnt_dscnt 0x605
	v_dual_mul_f32 v4, v105, v78 :: v_dual_mul_f32 v131, v107, v80
	s_wait_loadcnt_dscnt 0x100
	v_dual_mul_f32 v140, v125, v98 :: v_dual_fmac_f32 v1, v102, v73
	v_mul_f32_e32 v141, v127, v100
	v_fma_f32 v74, v101, v73, -v74
	v_dual_mul_f32 v73, v106, v78 :: v_dual_fmac_f32 v2, v104, v75
	s_delay_alu instid0(VALU_DEP_4) | instskip(SKIP_1) | instid1(VALU_DEP_4)
	v_add_f32_e32 v1, 0, v1
	v_fma_f32 v75, v103, v75, -v76
	v_dual_add_f32 v74, 0, v74 :: v_dual_fmac_f32 v131, v108, v79
	s_delay_alu instid0(VALU_DEP_3) | instskip(SKIP_1) | instid1(VALU_DEP_3)
	v_dual_mul_f32 v76, v108, v80 :: v_dual_add_f32 v1, v1, v2
	v_fma_f32 v73, v105, v77, -v73
	v_add_f32_e32 v74, v74, v75
	v_dual_mul_f32 v132, v109, v82 :: v_dual_mul_f32 v133, v111, v84
	s_delay_alu instid0(VALU_DEP_4) | instskip(SKIP_1) | instid1(VALU_DEP_4)
	v_fma_f32 v75, v107, v79, -v76
	v_dual_mul_f32 v134, v113, v86 :: v_dual_mul_f32 v135, v115, v88
	v_add_f32_e32 v73, v74, v73
	v_fmac_f32_e32 v4, v106, v77
	v_dual_fmac_f32 v132, v110, v81 :: v_dual_fmac_f32 v133, v112, v83
	s_delay_alu instid0(VALU_DEP_4) | instskip(NEXT) | instid1(VALU_DEP_4)
	v_dual_fmac_f32 v134, v114, v85 :: v_dual_fmac_f32 v135, v116, v87
	v_add_f32_e32 v73, v73, v75
	s_delay_alu instid0(VALU_DEP_4) | instskip(SKIP_2) | instid1(VALU_DEP_3)
	v_dual_add_f32 v1, v1, v4 :: v_dual_mul_f32 v2, v110, v82
	v_mul_f32_e32 v4, v112, v84
	v_dual_mul_f32 v136, v117, v90 :: v_dual_mul_f32 v137, v119, v92
	v_add_f32_e32 v1, v1, v131
	s_delay_alu instid0(VALU_DEP_4) | instskip(SKIP_3) | instid1(VALU_DEP_4)
	v_fma_f32 v2, v109, v81, -v2
	v_mul_f32_e32 v74, v114, v86
	v_fma_f32 v4, v111, v83, -v4
	v_dual_mul_f32 v138, v121, v94 :: v_dual_mul_f32 v139, v123, v96
	v_dual_add_f32 v2, v73, v2 :: v_dual_mul_f32 v73, v116, v88
	v_add_f32_e32 v1, v1, v132
	v_fma_f32 v74, v113, v85, -v74
	s_delay_alu instid0(VALU_DEP_4) | instskip(NEXT) | instid1(VALU_DEP_3)
	v_dual_fmac_f32 v136, v118, v89 :: v_dual_fmac_f32 v139, v124, v95
	v_dual_add_f32 v2, v2, v4 :: v_dual_add_f32 v1, v1, v133
	v_fma_f32 v73, v115, v87, -v73
	v_dual_fmac_f32 v137, v120, v91 :: v_dual_fmac_f32 v138, v122, v93
	s_delay_alu instid0(VALU_DEP_3) | instskip(NEXT) | instid1(VALU_DEP_4)
	v_add_f32_e32 v2, v2, v74
	v_dual_add_f32 v1, v1, v134 :: v_dual_mul_f32 v74, v120, v92
	v_dual_mul_f32 v4, v118, v90 :: v_dual_fmac_f32 v141, v128, v99
	s_delay_alu instid0(VALU_DEP_2) | instskip(NEXT) | instid1(VALU_DEP_2)
	v_dual_add_f32 v1, v1, v135 :: v_dual_add_f32 v2, v2, v73
	v_fma_f32 v4, v117, v89, -v4
	v_mul_f32_e32 v73, v122, v94
	v_fma_f32 v74, v119, v91, -v74
	s_delay_alu instid0(VALU_DEP_4) | instskip(NEXT) | instid1(VALU_DEP_4)
	v_add_f32_e32 v1, v1, v136
	v_add_f32_e32 v2, v2, v4
	v_mul_f32_e32 v4, v124, v96
	v_fma_f32 v73, v121, v93, -v73
	s_delay_alu instid0(VALU_DEP_3) | instskip(SKIP_1) | instid1(VALU_DEP_4)
	v_dual_add_f32 v1, v1, v137 :: v_dual_add_f32 v2, v2, v74
	v_mul_f32_e32 v74, v126, v98
	v_fma_f32 v4, v123, v95, -v4
	s_delay_alu instid0(VALU_DEP_3) | instskip(NEXT) | instid1(VALU_DEP_4)
	v_dual_add_f32 v2, v2, v73 :: v_dual_mul_f32 v73, v128, v100
	v_add_f32_e32 v1, v1, v138
	s_delay_alu instid0(VALU_DEP_4) | instskip(NEXT) | instid1(VALU_DEP_3)
	v_fma_f32 v74, v125, v97, -v74
	v_add_f32_e32 v2, v2, v4
	s_delay_alu instid0(VALU_DEP_4) | instskip(NEXT) | instid1(VALU_DEP_2)
	v_fma_f32 v4, v127, v99, -v73
	v_dual_add_f32 v1, v1, v139 :: v_dual_add_f32 v2, v2, v74
	s_delay_alu instid0(VALU_DEP_1) | instskip(SKIP_1) | instid1(VALU_DEP_1)
	v_add_f32_e32 v2, v2, v4
	v_fmac_f32_e32 v140, v126, v97
	v_add_f32_e32 v1, v1, v140
	s_delay_alu instid0(VALU_DEP_1) | instskip(SKIP_1) | instid1(VALU_DEP_1)
	v_add_f32_e32 v4, v1, v141
	s_wait_loadcnt 0x0
	v_dual_sub_f32 v1, v129, v2 :: v_dual_sub_f32 v2, v130, v4
	scratch_store_b64 off, v[1:2], off offset:152
	v_cmpx_lt_u32_e32 18, v0
	s_cbranch_execz .LBB33_181
; %bb.180:
	scratch_load_b64 v[1:2], off, off offset:144
	v_mov_b32_e32 v73, 0
	s_delay_alu instid0(VALU_DEP_1)
	v_mov_b32_e32 v74, v73
	scratch_store_b64 off, v[73:74], off offset:144
	s_wait_loadcnt 0x0
	ds_store_b64 v3, v[1:2]
.LBB33_181:
	s_wait_alu 0xfffe
	s_or_b32 exec_lo, exec_lo, s0
	s_wait_storecnt_dscnt 0x0
	s_barrier_signal -1
	s_barrier_wait -1
	global_inv scope:SCOPE_SE
	s_clause 0x8
	scratch_load_b128 v[73:76], off, off offset:152
	scratch_load_b128 v[77:80], off, off offset:168
	;; [unrolled: 1-line block ×7, first 2 shown]
	scratch_load_b64 v[129:130], off, off offset:264
	scratch_load_b64 v[131:132], off, off offset:144
	v_mov_b32_e32 v1, 0
	ds_load_2addr_b64 v[101:104], v1 offset0:53 offset1:54
	ds_load_2addr_b64 v[105:108], v1 offset0:55 offset1:56
	;; [unrolled: 1-line block ×7, first 2 shown]
	ds_load_b64 v[133:134], v1 offset:536
	s_mov_b32 s0, exec_lo
	s_wait_loadcnt_dscnt 0x807
	v_mul_f32_e32 v2, v101, v74
	v_mul_f32_e32 v74, v102, v74
	s_wait_loadcnt_dscnt 0x706
	v_dual_mul_f32 v4, v103, v76 :: v_dual_mul_f32 v135, v105, v78
	v_mul_f32_e32 v76, v104, v76
	s_wait_loadcnt_dscnt 0x605
	v_dual_mul_f32 v136, v107, v80 :: v_dual_mul_f32 v137, v109, v82
	v_fma_f32 v74, v101, v73, -v74
	v_fmac_f32_e32 v2, v102, v73
	v_dual_mul_f32 v73, v106, v78 :: v_dual_fmac_f32 v4, v104, v75
	v_fmac_f32_e32 v135, v106, v77
	v_fma_f32 v75, v103, v75, -v76
	v_dual_add_f32 v74, 0, v74 :: v_dual_fmac_f32 v137, v110, v81
	v_mul_f32_e32 v76, v108, v80
	v_fma_f32 v73, v105, v77, -v73
	s_wait_loadcnt_dscnt 0x403
	v_dual_mul_f32 v140, v115, v88 :: v_dual_mul_f32 v141, v117, v90
	v_add_f32_e32 v74, v74, v75
	v_add_f32_e32 v2, 0, v2
	v_fma_f32 v75, v107, v79, -v76
	s_wait_loadcnt_dscnt 0x302
	v_dual_mul_f32 v142, v119, v92 :: v_dual_mul_f32 v143, v121, v94
	v_add_f32_e32 v73, v74, v73
	v_add_f32_e32 v2, v2, v4
	v_mul_f32_e32 v4, v110, v82
	v_dual_mul_f32 v74, v112, v84 :: v_dual_fmac_f32 v141, v118, v89
	s_delay_alu instid0(VALU_DEP_4) | instskip(SKIP_1) | instid1(VALU_DEP_4)
	v_add_f32_e32 v73, v73, v75
	v_mul_f32_e32 v75, v114, v86
	v_fma_f32 v4, v109, v81, -v4
	s_delay_alu instid0(VALU_DEP_4)
	v_fma_f32 v74, v111, v83, -v74
	s_wait_loadcnt_dscnt 0x201
	v_dual_mul_f32 v144, v123, v96 :: v_dual_mul_f32 v145, v125, v98
	v_fma_f32 v75, v113, v85, -v75
	v_dual_add_f32 v4, v73, v4 :: v_dual_fmac_f32 v143, v122, v93
	v_mul_f32_e32 v73, v116, v88
	s_wait_loadcnt_dscnt 0x100
	v_dual_mul_f32 v146, v127, v100 :: v_dual_mul_f32 v147, v133, v130
	s_delay_alu instid0(VALU_DEP_3) | instskip(SKIP_3) | instid1(VALU_DEP_4)
	v_dual_add_f32 v4, v4, v74 :: v_dual_fmac_f32 v145, v126, v97
	v_mul_f32_e32 v74, v118, v90
	v_fma_f32 v73, v115, v87, -v73
	v_dual_mul_f32 v138, v111, v84 :: v_dual_mul_f32 v139, v113, v86
	v_dual_add_f32 v4, v4, v75 :: v_dual_fmac_f32 v147, v134, v129
	v_mul_f32_e32 v75, v120, v92
	v_fma_f32 v74, v117, v89, -v74
	s_delay_alu instid0(VALU_DEP_4) | instskip(NEXT) | instid1(VALU_DEP_4)
	v_fmac_f32_e32 v138, v112, v83
	v_dual_add_f32 v4, v4, v73 :: v_dual_mul_f32 v73, v122, v94
	s_delay_alu instid0(VALU_DEP_4) | instskip(SKIP_2) | instid1(VALU_DEP_4)
	v_fma_f32 v75, v119, v91, -v75
	v_fmac_f32_e32 v140, v116, v87
	v_dual_fmac_f32 v136, v108, v79 :: v_dual_fmac_f32 v139, v114, v85
	v_add_f32_e32 v4, v4, v74
	v_mul_f32_e32 v74, v124, v96
	v_fma_f32 v73, v121, v93, -v73
	v_fmac_f32_e32 v142, v120, v91
	v_fmac_f32_e32 v144, v124, v95
	v_dual_add_f32 v4, v4, v75 :: v_dual_mul_f32 v75, v126, v98
	v_fma_f32 v74, v123, v95, -v74
	v_fmac_f32_e32 v146, v128, v99
	s_delay_alu instid0(VALU_DEP_3) | instskip(SKIP_2) | instid1(VALU_DEP_3)
	v_add_f32_e32 v4, v4, v73
	v_mul_f32_e32 v73, v128, v100
	v_fma_f32 v75, v125, v97, -v75
	v_add_f32_e32 v4, v4, v74
	v_mul_f32_e32 v74, v134, v130
	s_delay_alu instid0(VALU_DEP_4) | instskip(NEXT) | instid1(VALU_DEP_3)
	v_fma_f32 v73, v127, v99, -v73
	v_add_f32_e32 v4, v4, v75
	s_delay_alu instid0(VALU_DEP_3) | instskip(NEXT) | instid1(VALU_DEP_2)
	v_fma_f32 v74, v133, v129, -v74
	v_add_f32_e32 v4, v4, v73
	s_delay_alu instid0(VALU_DEP_1) | instskip(SKIP_1) | instid1(VALU_DEP_1)
	v_add_f32_e32 v4, v4, v74
	s_wait_loadcnt 0x0
	v_dual_add_f32 v2, v2, v135 :: v_dual_sub_f32 v73, v131, v4
	s_delay_alu instid0(VALU_DEP_1) | instskip(NEXT) | instid1(VALU_DEP_1)
	v_add_f32_e32 v2, v2, v136
	v_add_f32_e32 v2, v2, v137
	s_delay_alu instid0(VALU_DEP_1) | instskip(NEXT) | instid1(VALU_DEP_1)
	v_add_f32_e32 v2, v2, v138
	v_add_f32_e32 v2, v2, v139
	;; [unrolled: 3-line block ×6, first 2 shown]
	s_delay_alu instid0(VALU_DEP_1)
	v_sub_f32_e32 v74, v132, v2
	scratch_store_b64 off, v[73:74], off offset:144
	v_cmpx_lt_u32_e32 17, v0
	s_cbranch_execz .LBB33_183
; %bb.182:
	scratch_load_b64 v[73:74], off, off offset:136
	v_mov_b32_e32 v2, v1
	scratch_store_b64 off, v[1:2], off offset:136
	s_wait_loadcnt 0x0
	ds_store_b64 v3, v[73:74]
.LBB33_183:
	s_wait_alu 0xfffe
	s_or_b32 exec_lo, exec_lo, s0
	s_wait_storecnt_dscnt 0x0
	s_barrier_signal -1
	s_barrier_wait -1
	global_inv scope:SCOPE_SE
	s_clause 0x8
	scratch_load_b128 v[73:76], off, off offset:144
	scratch_load_b128 v[77:80], off, off offset:160
	;; [unrolled: 1-line block ×8, first 2 shown]
	scratch_load_b64 v[137:138], off, off offset:136
	ds_load_b128 v[105:108], v1 offset:416
	ds_load_b128 v[109:112], v1 offset:432
	;; [unrolled: 1-line block ×8, first 2 shown]
	s_mov_b32 s0, exec_lo
	s_wait_loadcnt_dscnt 0x807
	v_dual_mul_f32 v1, v105, v74 :: v_dual_mul_f32 v2, v107, v76
	v_mul_f32_e32 v74, v106, v74
	v_mul_f32_e32 v76, v108, v76
	s_wait_loadcnt_dscnt 0x706
	v_dual_mul_f32 v4, v109, v78 :: v_dual_mul_f32 v139, v111, v80
	s_wait_loadcnt_dscnt 0x100
	v_dual_fmac_f32 v1, v106, v73 :: v_dual_mul_f32 v150, v133, v102
	v_mul_f32_e32 v151, v135, v104
	v_fma_f32 v74, v105, v73, -v74
	v_dual_mul_f32 v73, v110, v78 :: v_dual_fmac_f32 v2, v108, v75
	s_delay_alu instid0(VALU_DEP_4) | instskip(SKIP_1) | instid1(VALU_DEP_4)
	v_add_f32_e32 v1, 0, v1
	v_fma_f32 v75, v107, v75, -v76
	v_dual_add_f32 v74, 0, v74 :: v_dual_fmac_f32 v139, v112, v79
	s_delay_alu instid0(VALU_DEP_3) | instskip(SKIP_1) | instid1(VALU_DEP_3)
	v_dual_mul_f32 v76, v112, v80 :: v_dual_add_f32 v1, v1, v2
	v_fma_f32 v73, v109, v77, -v73
	v_add_f32_e32 v74, v74, v75
	v_dual_mul_f32 v140, v113, v82 :: v_dual_mul_f32 v141, v115, v84
	s_delay_alu instid0(VALU_DEP_4) | instskip(SKIP_1) | instid1(VALU_DEP_4)
	v_fma_f32 v75, v111, v79, -v76
	v_dual_mul_f32 v142, v117, v86 :: v_dual_mul_f32 v143, v119, v88
	v_add_f32_e32 v73, v74, v73
	v_fmac_f32_e32 v4, v110, v77
	v_dual_fmac_f32 v140, v114, v81 :: v_dual_fmac_f32 v141, v116, v83
	s_delay_alu instid0(VALU_DEP_4) | instskip(NEXT) | instid1(VALU_DEP_4)
	v_dual_fmac_f32 v142, v118, v85 :: v_dual_fmac_f32 v143, v120, v87
	v_add_f32_e32 v73, v73, v75
	s_delay_alu instid0(VALU_DEP_4) | instskip(SKIP_2) | instid1(VALU_DEP_3)
	v_dual_add_f32 v1, v1, v4 :: v_dual_mul_f32 v2, v114, v82
	v_mul_f32_e32 v4, v116, v84
	v_dual_mul_f32 v144, v121, v90 :: v_dual_mul_f32 v145, v123, v92
	v_add_f32_e32 v1, v1, v139
	s_delay_alu instid0(VALU_DEP_4) | instskip(SKIP_3) | instid1(VALU_DEP_4)
	v_fma_f32 v2, v113, v81, -v2
	v_mul_f32_e32 v74, v118, v86
	v_fma_f32 v4, v115, v83, -v4
	v_dual_mul_f32 v146, v125, v94 :: v_dual_mul_f32 v147, v127, v96
	v_dual_add_f32 v2, v73, v2 :: v_dual_mul_f32 v73, v120, v88
	v_add_f32_e32 v1, v1, v140
	v_fma_f32 v74, v117, v85, -v74
	s_delay_alu instid0(VALU_DEP_4) | instskip(NEXT) | instid1(VALU_DEP_3)
	v_dual_fmac_f32 v144, v122, v89 :: v_dual_fmac_f32 v147, v128, v95
	v_dual_add_f32 v2, v2, v4 :: v_dual_add_f32 v1, v1, v141
	v_fma_f32 v73, v119, v87, -v73
	v_dual_fmac_f32 v145, v124, v91 :: v_dual_fmac_f32 v146, v126, v93
	s_delay_alu instid0(VALU_DEP_3) | instskip(NEXT) | instid1(VALU_DEP_4)
	v_add_f32_e32 v2, v2, v74
	v_dual_add_f32 v1, v1, v142 :: v_dual_mul_f32 v74, v124, v92
	v_mul_f32_e32 v4, v122, v90
	v_dual_mul_f32 v148, v129, v98 :: v_dual_mul_f32 v149, v131, v100
	s_delay_alu instid0(VALU_DEP_3) | instskip(NEXT) | instid1(VALU_DEP_3)
	v_dual_add_f32 v1, v1, v143 :: v_dual_add_f32 v2, v2, v73
	v_fma_f32 v4, v121, v89, -v4
	v_mul_f32_e32 v73, v126, v94
	v_fma_f32 v74, v123, v91, -v74
	s_delay_alu instid0(VALU_DEP_4) | instskip(NEXT) | instid1(VALU_DEP_4)
	v_dual_add_f32 v1, v1, v144 :: v_dual_fmac_f32 v148, v130, v97
	v_dual_fmac_f32 v151, v136, v103 :: v_dual_add_f32 v2, v2, v4
	v_mul_f32_e32 v4, v128, v96
	v_fma_f32 v73, v125, v93, -v73
	s_delay_alu instid0(VALU_DEP_4) | instskip(NEXT) | instid1(VALU_DEP_4)
	v_add_f32_e32 v1, v1, v145
	v_dual_fmac_f32 v149, v132, v99 :: v_dual_add_f32 v2, v2, v74
	v_mul_f32_e32 v74, v130, v98
	v_fma_f32 v4, v127, v95, -v4
	v_fmac_f32_e32 v150, v134, v101
	s_delay_alu instid0(VALU_DEP_4) | instskip(SKIP_2) | instid1(VALU_DEP_3)
	v_dual_add_f32 v2, v2, v73 :: v_dual_mul_f32 v73, v132, v100
	v_add_f32_e32 v1, v1, v146
	v_fma_f32 v74, v129, v97, -v74
	v_fma_f32 v73, v131, v99, -v73
	s_delay_alu instid0(VALU_DEP_3) | instskip(NEXT) | instid1(VALU_DEP_1)
	v_add_f32_e32 v1, v1, v147
	v_add_f32_e32 v1, v1, v148
	;; [unrolled: 1-line block ×3, first 2 shown]
	s_delay_alu instid0(VALU_DEP_2) | instskip(NEXT) | instid1(VALU_DEP_2)
	v_dual_mul_f32 v4, v134, v102 :: v_dual_add_f32 v1, v1, v149
	v_add_f32_e32 v2, v2, v74
	v_mul_f32_e32 v74, v136, v104
	s_delay_alu instid0(VALU_DEP_3) | instskip(NEXT) | instid1(VALU_DEP_3)
	v_fma_f32 v4, v133, v101, -v4
	v_dual_add_f32 v1, v1, v150 :: v_dual_add_f32 v2, v2, v73
	s_delay_alu instid0(VALU_DEP_3) | instskip(NEXT) | instid1(VALU_DEP_2)
	v_fma_f32 v73, v135, v103, -v74
	v_add_f32_e32 v2, v2, v4
	s_delay_alu instid0(VALU_DEP_3) | instskip(NEXT) | instid1(VALU_DEP_2)
	v_add_f32_e32 v4, v1, v151
	v_add_f32_e32 v2, v2, v73
	s_wait_loadcnt 0x0
	s_delay_alu instid0(VALU_DEP_1)
	v_dual_sub_f32 v1, v137, v2 :: v_dual_sub_f32 v2, v138, v4
	scratch_store_b64 off, v[1:2], off offset:136
	v_cmpx_lt_u32_e32 16, v0
	s_cbranch_execz .LBB33_185
; %bb.184:
	scratch_load_b64 v[1:2], off, off offset:128
	v_mov_b32_e32 v73, 0
	s_delay_alu instid0(VALU_DEP_1)
	v_mov_b32_e32 v74, v73
	scratch_store_b64 off, v[73:74], off offset:128
	s_wait_loadcnt 0x0
	ds_store_b64 v3, v[1:2]
.LBB33_185:
	s_wait_alu 0xfffe
	s_or_b32 exec_lo, exec_lo, s0
	s_wait_storecnt_dscnt 0x0
	s_barrier_signal -1
	s_barrier_wait -1
	global_inv scope:SCOPE_SE
	s_clause 0x9
	scratch_load_b128 v[73:76], off, off offset:136
	scratch_load_b128 v[77:80], off, off offset:152
	;; [unrolled: 1-line block ×8, first 2 shown]
	scratch_load_b64 v[137:138], off, off offset:264
	scratch_load_b64 v[139:140], off, off offset:128
	v_mov_b32_e32 v1, 0
	ds_load_2addr_b64 v[105:108], v1 offset0:51 offset1:52
	ds_load_2addr_b64 v[109:112], v1 offset0:53 offset1:54
	;; [unrolled: 1-line block ×8, first 2 shown]
	ds_load_b64 v[141:142], v1 offset:536
	s_mov_b32 s0, exec_lo
	s_wait_loadcnt_dscnt 0x908
	v_mul_f32_e32 v2, v105, v74
	v_mul_f32_e32 v74, v106, v74
	s_wait_loadcnt_dscnt 0x807
	v_dual_mul_f32 v4, v107, v76 :: v_dual_mul_f32 v143, v109, v78
	v_mul_f32_e32 v76, v108, v76
	s_wait_loadcnt_dscnt 0x706
	v_dual_mul_f32 v144, v111, v80 :: v_dual_mul_f32 v145, v113, v82
	v_fma_f32 v74, v105, v73, -v74
	v_fmac_f32_e32 v2, v106, v73
	v_dual_mul_f32 v73, v110, v78 :: v_dual_fmac_f32 v4, v108, v75
	v_fmac_f32_e32 v143, v110, v77
	v_fma_f32 v75, v107, v75, -v76
	v_dual_add_f32 v74, 0, v74 :: v_dual_fmac_f32 v145, v114, v81
	v_mul_f32_e32 v76, v112, v80
	v_fma_f32 v73, v109, v77, -v73
	s_wait_loadcnt_dscnt 0x504
	v_dual_mul_f32 v148, v119, v88 :: v_dual_mul_f32 v149, v121, v90
	v_add_f32_e32 v74, v74, v75
	v_add_f32_e32 v2, 0, v2
	v_fma_f32 v75, v111, v79, -v76
	s_wait_loadcnt_dscnt 0x403
	v_dual_mul_f32 v150, v123, v92 :: v_dual_mul_f32 v151, v125, v94
	v_add_f32_e32 v73, v74, v73
	v_add_f32_e32 v2, v2, v4
	v_mul_f32_e32 v4, v114, v82
	v_dual_mul_f32 v74, v116, v84 :: v_dual_fmac_f32 v149, v122, v89
	s_delay_alu instid0(VALU_DEP_4) | instskip(SKIP_1) | instid1(VALU_DEP_4)
	v_add_f32_e32 v73, v73, v75
	v_mul_f32_e32 v75, v118, v86
	v_fma_f32 v4, v113, v81, -v4
	s_delay_alu instid0(VALU_DEP_4)
	v_fma_f32 v74, v115, v83, -v74
	s_wait_loadcnt_dscnt 0x302
	v_dual_mul_f32 v152, v127, v96 :: v_dual_mul_f32 v153, v129, v98
	v_fma_f32 v75, v117, v85, -v75
	v_dual_add_f32 v4, v73, v4 :: v_dual_fmac_f32 v151, v126, v93
	v_mul_f32_e32 v73, v120, v88
	s_wait_loadcnt_dscnt 0x201
	v_dual_mul_f32 v154, v131, v100 :: v_dual_mul_f32 v155, v133, v102
	s_delay_alu instid0(VALU_DEP_3) | instskip(SKIP_3) | instid1(VALU_DEP_4)
	v_dual_add_f32 v4, v4, v74 :: v_dual_fmac_f32 v153, v130, v97
	v_mul_f32_e32 v74, v122, v90
	v_fma_f32 v73, v119, v87, -v73
	v_dual_mul_f32 v146, v115, v84 :: v_dual_mul_f32 v147, v117, v86
	v_dual_add_f32 v4, v4, v75 :: v_dual_fmac_f32 v155, v134, v101
	v_mul_f32_e32 v75, v124, v92
	v_fma_f32 v74, v121, v89, -v74
	s_delay_alu instid0(VALU_DEP_4) | instskip(NEXT) | instid1(VALU_DEP_4)
	v_fmac_f32_e32 v146, v116, v83
	v_dual_add_f32 v4, v4, v73 :: v_dual_mul_f32 v73, v126, v94
	s_delay_alu instid0(VALU_DEP_4) | instskip(SKIP_2) | instid1(VALU_DEP_4)
	v_fma_f32 v75, v123, v91, -v75
	v_fmac_f32_e32 v148, v120, v87
	v_add_f32_e32 v2, v2, v143
	v_add_f32_e32 v4, v4, v74
	v_mul_f32_e32 v74, v128, v96
	v_fma_f32 v73, v125, v93, -v73
	v_dual_fmac_f32 v144, v112, v79 :: v_dual_fmac_f32 v147, v118, v85
	s_delay_alu instid0(VALU_DEP_4) | instskip(NEXT) | instid1(VALU_DEP_4)
	v_dual_add_f32 v4, v4, v75 :: v_dual_mul_f32 v75, v130, v98
	v_fma_f32 v74, v127, v95, -v74
	s_wait_loadcnt_dscnt 0x100
	v_dual_mul_f32 v156, v135, v104 :: v_dual_mul_f32 v157, v141, v138
	s_delay_alu instid0(VALU_DEP_3) | instskip(SKIP_2) | instid1(VALU_DEP_4)
	v_add_f32_e32 v4, v4, v73
	v_mul_f32_e32 v73, v132, v100
	v_fma_f32 v75, v129, v97, -v75
	v_dual_fmac_f32 v150, v124, v91 :: v_dual_fmac_f32 v157, v142, v137
	s_delay_alu instid0(VALU_DEP_4)
	v_add_f32_e32 v4, v4, v74
	v_mul_f32_e32 v74, v134, v102
	v_fma_f32 v73, v131, v99, -v73
	v_fmac_f32_e32 v152, v128, v95
	v_fmac_f32_e32 v154, v132, v99
	v_add_f32_e32 v4, v4, v75
	v_mul_f32_e32 v75, v136, v104
	v_fma_f32 v74, v133, v101, -v74
	v_add_f32_e32 v2, v2, v144
	v_fmac_f32_e32 v156, v136, v103
	v_dual_add_f32 v4, v4, v73 :: v_dual_mul_f32 v73, v142, v138
	v_fma_f32 v75, v135, v103, -v75
	s_delay_alu instid0(VALU_DEP_2) | instskip(NEXT) | instid1(VALU_DEP_3)
	v_add_f32_e32 v4, v4, v74
	v_fma_f32 v73, v141, v137, -v73
	s_delay_alu instid0(VALU_DEP_2) | instskip(NEXT) | instid1(VALU_DEP_1)
	v_add_f32_e32 v4, v4, v75
	v_add_f32_e32 v4, v4, v73
	s_wait_loadcnt 0x0
	s_delay_alu instid0(VALU_DEP_1) | instskip(NEXT) | instid1(VALU_DEP_1)
	v_dual_add_f32 v2, v2, v145 :: v_dual_sub_f32 v73, v139, v4
	v_add_f32_e32 v2, v2, v146
	s_delay_alu instid0(VALU_DEP_1) | instskip(NEXT) | instid1(VALU_DEP_1)
	v_add_f32_e32 v2, v2, v147
	v_add_f32_e32 v2, v2, v148
	s_delay_alu instid0(VALU_DEP_1) | instskip(NEXT) | instid1(VALU_DEP_1)
	v_add_f32_e32 v2, v2, v149
	;; [unrolled: 3-line block ×6, first 2 shown]
	v_sub_f32_e32 v74, v140, v2
	scratch_store_b64 off, v[73:74], off offset:128
	v_cmpx_lt_u32_e32 15, v0
	s_cbranch_execz .LBB33_187
; %bb.186:
	scratch_load_b64 v[73:74], off, off offset:120
	v_mov_b32_e32 v2, v1
	scratch_store_b64 off, v[1:2], off offset:120
	s_wait_loadcnt 0x0
	ds_store_b64 v3, v[73:74]
.LBB33_187:
	s_wait_alu 0xfffe
	s_or_b32 exec_lo, exec_lo, s0
	s_wait_storecnt_dscnt 0x0
	s_barrier_signal -1
	s_barrier_wait -1
	global_inv scope:SCOPE_SE
	s_clause 0x9
	scratch_load_b128 v[73:76], off, off offset:128
	scratch_load_b128 v[77:80], off, off offset:144
	;; [unrolled: 1-line block ×9, first 2 shown]
	scratch_load_b64 v[145:146], off, off offset:120
	ds_load_b128 v[109:112], v1 offset:400
	ds_load_b128 v[113:116], v1 offset:416
	;; [unrolled: 1-line block ×9, first 2 shown]
	s_mov_b32 s0, exec_lo
	s_wait_loadcnt_dscnt 0x908
	v_dual_mul_f32 v1, v109, v74 :: v_dual_mul_f32 v2, v111, v76
	v_mul_f32_e32 v74, v110, v74
	v_mul_f32_e32 v76, v112, v76
	s_wait_loadcnt_dscnt 0x807
	v_dual_mul_f32 v4, v113, v78 :: v_dual_mul_f32 v147, v115, v80
	v_dual_fmac_f32 v1, v110, v73 :: v_dual_fmac_f32 v2, v112, v75
	s_wait_loadcnt_dscnt 0x100
	v_dual_mul_f32 v160, v141, v106 :: v_dual_mul_f32 v161, v143, v108
	v_fma_f32 v74, v109, v73, -v74
	v_mul_f32_e32 v73, v114, v78
	v_fma_f32 v75, v111, v75, -v76
	v_dual_add_f32 v1, 0, v1 :: v_dual_mul_f32 v76, v116, v80
	s_delay_alu instid0(VALU_DEP_4) | instskip(NEXT) | instid1(VALU_DEP_4)
	v_dual_add_f32 v74, 0, v74 :: v_dual_fmac_f32 v147, v116, v79
	v_fma_f32 v73, v113, v77, -v73
	s_delay_alu instid0(VALU_DEP_3) | instskip(SKIP_1) | instid1(VALU_DEP_4)
	v_add_f32_e32 v1, v1, v2
	v_dual_mul_f32 v148, v117, v82 :: v_dual_mul_f32 v149, v119, v84
	v_add_f32_e32 v74, v74, v75
	v_fma_f32 v75, v115, v79, -v76
	v_dual_mul_f32 v150, v121, v86 :: v_dual_mul_f32 v151, v123, v88
	s_delay_alu instid0(VALU_DEP_4) | instskip(NEXT) | instid1(VALU_DEP_4)
	v_dual_fmac_f32 v148, v118, v81 :: v_dual_fmac_f32 v149, v120, v83
	v_add_f32_e32 v73, v74, v73
	v_fmac_f32_e32 v4, v114, v77
	s_delay_alu instid0(VALU_DEP_4) | instskip(SKIP_1) | instid1(VALU_DEP_4)
	v_dual_fmac_f32 v150, v122, v85 :: v_dual_fmac_f32 v151, v124, v87
	v_dual_mul_f32 v152, v125, v90 :: v_dual_mul_f32 v153, v127, v92
	v_add_f32_e32 v73, v73, v75
	s_delay_alu instid0(VALU_DEP_4) | instskip(SKIP_2) | instid1(VALU_DEP_3)
	v_dual_add_f32 v1, v1, v4 :: v_dual_mul_f32 v2, v118, v82
	v_mul_f32_e32 v4, v120, v84
	v_dual_mul_f32 v154, v129, v94 :: v_dual_mul_f32 v155, v131, v96
	v_add_f32_e32 v1, v1, v147
	s_delay_alu instid0(VALU_DEP_4) | instskip(SKIP_3) | instid1(VALU_DEP_4)
	v_fma_f32 v2, v117, v81, -v2
	v_mul_f32_e32 v74, v122, v86
	v_fma_f32 v4, v119, v83, -v4
	v_dual_fmac_f32 v152, v126, v89 :: v_dual_fmac_f32 v155, v132, v95
	v_dual_add_f32 v2, v73, v2 :: v_dual_mul_f32 v73, v124, v88
	v_add_f32_e32 v1, v1, v148
	v_fma_f32 v74, v121, v85, -v74
	s_delay_alu instid0(VALU_DEP_3) | instskip(NEXT) | instid1(VALU_DEP_4)
	v_dual_fmac_f32 v153, v128, v91 :: v_dual_add_f32 v2, v2, v4
	v_fma_f32 v73, v123, v87, -v73
	s_delay_alu instid0(VALU_DEP_4) | instskip(SKIP_3) | instid1(VALU_DEP_4)
	v_add_f32_e32 v1, v1, v149
	v_fmac_f32_e32 v154, v130, v93
	v_dual_mul_f32 v156, v133, v98 :: v_dual_mul_f32 v157, v135, v100
	v_add_f32_e32 v2, v2, v74
	v_dual_add_f32 v1, v1, v150 :: v_dual_mul_f32 v74, v128, v92
	v_mul_f32_e32 v4, v126, v90
	v_dual_mul_f32 v158, v137, v102 :: v_dual_mul_f32 v159, v139, v104
	s_delay_alu instid0(VALU_DEP_3) | instskip(NEXT) | instid1(VALU_DEP_3)
	v_dual_add_f32 v1, v1, v151 :: v_dual_add_f32 v2, v2, v73
	v_fma_f32 v4, v125, v89, -v4
	v_mul_f32_e32 v73, v130, v94
	v_fma_f32 v74, v127, v91, -v74
	s_delay_alu instid0(VALU_DEP_4) | instskip(NEXT) | instid1(VALU_DEP_4)
	v_dual_add_f32 v1, v1, v152 :: v_dual_fmac_f32 v156, v134, v97
	v_dual_fmac_f32 v159, v140, v103 :: v_dual_add_f32 v2, v2, v4
	v_mul_f32_e32 v4, v132, v96
	v_fma_f32 v73, v129, v93, -v73
	s_delay_alu instid0(VALU_DEP_4) | instskip(NEXT) | instid1(VALU_DEP_4)
	v_add_f32_e32 v1, v1, v153
	v_dual_fmac_f32 v157, v136, v99 :: v_dual_add_f32 v2, v2, v74
	v_mul_f32_e32 v74, v134, v98
	v_fma_f32 v4, v131, v95, -v4
	v_dual_fmac_f32 v158, v138, v101 :: v_dual_fmac_f32 v161, v144, v107
	s_delay_alu instid0(VALU_DEP_4) | instskip(SKIP_3) | instid1(VALU_DEP_4)
	v_dual_add_f32 v2, v2, v73 :: v_dual_mul_f32 v73, v136, v100
	v_add_f32_e32 v1, v1, v154
	v_fma_f32 v74, v133, v97, -v74
	v_fmac_f32_e32 v160, v142, v105
	v_fma_f32 v73, v135, v99, -v73
	s_delay_alu instid0(VALU_DEP_4) | instskip(NEXT) | instid1(VALU_DEP_1)
	v_add_f32_e32 v1, v1, v155
	v_add_f32_e32 v1, v1, v156
	s_delay_alu instid0(VALU_DEP_1) | instskip(NEXT) | instid1(VALU_DEP_1)
	v_dual_add_f32 v2, v2, v4 :: v_dual_add_f32 v1, v1, v157
	v_add_f32_e32 v2, v2, v74
	s_delay_alu instid0(VALU_DEP_2) | instskip(NEXT) | instid1(VALU_DEP_2)
	v_dual_mul_f32 v74, v140, v104 :: v_dual_add_f32 v1, v1, v158
	v_add_f32_e32 v2, v2, v73
	v_mul_f32_e32 v4, v138, v102
	v_mul_f32_e32 v73, v142, v106
	s_delay_alu instid0(VALU_DEP_4) | instskip(SKIP_1) | instid1(VALU_DEP_4)
	v_fma_f32 v74, v139, v103, -v74
	v_add_f32_e32 v1, v1, v159
	v_fma_f32 v4, v137, v101, -v4
	s_delay_alu instid0(VALU_DEP_4) | instskip(NEXT) | instid1(VALU_DEP_3)
	v_fma_f32 v73, v141, v105, -v73
	v_add_f32_e32 v1, v1, v160
	s_delay_alu instid0(VALU_DEP_3) | instskip(SKIP_1) | instid1(VALU_DEP_2)
	v_add_f32_e32 v2, v2, v4
	v_mul_f32_e32 v4, v144, v108
	v_add_f32_e32 v2, v2, v74
	s_delay_alu instid0(VALU_DEP_2) | instskip(NEXT) | instid1(VALU_DEP_2)
	v_fma_f32 v4, v143, v107, -v4
	v_add_f32_e32 v2, v2, v73
	s_delay_alu instid0(VALU_DEP_1) | instskip(SKIP_2) | instid1(VALU_DEP_1)
	v_add_f32_e32 v2, v2, v4
	v_add_f32_e32 v4, v1, v161
	s_wait_loadcnt 0x0
	v_dual_sub_f32 v1, v145, v2 :: v_dual_sub_f32 v2, v146, v4
	scratch_store_b64 off, v[1:2], off offset:120
	v_cmpx_lt_u32_e32 14, v0
	s_cbranch_execz .LBB33_189
; %bb.188:
	scratch_load_b64 v[1:2], off, off offset:112
	v_mov_b32_e32 v73, 0
	s_delay_alu instid0(VALU_DEP_1)
	v_mov_b32_e32 v74, v73
	scratch_store_b64 off, v[73:74], off offset:112
	s_wait_loadcnt 0x0
	ds_store_b64 v3, v[1:2]
.LBB33_189:
	s_wait_alu 0xfffe
	s_or_b32 exec_lo, exec_lo, s0
	s_wait_storecnt_dscnt 0x0
	s_barrier_signal -1
	s_barrier_wait -1
	global_inv scope:SCOPE_SE
	s_clause 0xa
	scratch_load_b128 v[73:76], off, off offset:120
	scratch_load_b128 v[77:80], off, off offset:136
	;; [unrolled: 1-line block ×9, first 2 shown]
	scratch_load_b64 v[145:146], off, off offset:264
	scratch_load_b64 v[147:148], off, off offset:112
	v_mov_b32_e32 v1, 0
	ds_load_2addr_b64 v[109:112], v1 offset0:49 offset1:50
	ds_load_2addr_b64 v[113:116], v1 offset0:51 offset1:52
	;; [unrolled: 1-line block ×9, first 2 shown]
	ds_load_b64 v[149:150], v1 offset:536
	s_mov_b32 s0, exec_lo
	s_wait_loadcnt_dscnt 0xa09
	v_mul_f32_e32 v2, v109, v74
	v_mul_f32_e32 v74, v110, v74
	s_wait_loadcnt_dscnt 0x908
	v_dual_mul_f32 v4, v111, v76 :: v_dual_mul_f32 v151, v113, v78
	v_mul_f32_e32 v76, v112, v76
	s_wait_loadcnt_dscnt 0x807
	v_dual_mul_f32 v152, v115, v80 :: v_dual_mul_f32 v153, v117, v82
	v_fma_f32 v74, v109, v73, -v74
	v_fmac_f32_e32 v2, v110, v73
	v_dual_mul_f32 v73, v114, v78 :: v_dual_fmac_f32 v4, v112, v75
	v_fmac_f32_e32 v151, v114, v77
	v_fma_f32 v75, v111, v75, -v76
	v_dual_add_f32 v74, 0, v74 :: v_dual_fmac_f32 v153, v118, v81
	v_mul_f32_e32 v76, v116, v80
	v_fma_f32 v73, v113, v77, -v73
	s_wait_loadcnt_dscnt 0x605
	v_dual_mul_f32 v156, v123, v88 :: v_dual_mul_f32 v157, v125, v90
	v_add_f32_e32 v74, v74, v75
	v_add_f32_e32 v2, 0, v2
	v_fma_f32 v75, v115, v79, -v76
	s_wait_loadcnt_dscnt 0x504
	v_dual_mul_f32 v158, v127, v92 :: v_dual_mul_f32 v159, v129, v94
	v_add_f32_e32 v73, v74, v73
	v_add_f32_e32 v2, v2, v4
	v_mul_f32_e32 v4, v118, v82
	v_dual_mul_f32 v74, v120, v84 :: v_dual_fmac_f32 v157, v126, v89
	s_delay_alu instid0(VALU_DEP_4) | instskip(SKIP_1) | instid1(VALU_DEP_4)
	v_add_f32_e32 v73, v73, v75
	v_mul_f32_e32 v75, v122, v86
	v_fma_f32 v4, v117, v81, -v4
	s_delay_alu instid0(VALU_DEP_4)
	v_fma_f32 v74, v119, v83, -v74
	s_wait_loadcnt_dscnt 0x403
	v_dual_mul_f32 v160, v131, v96 :: v_dual_mul_f32 v161, v133, v98
	v_fma_f32 v75, v121, v85, -v75
	v_dual_add_f32 v4, v73, v4 :: v_dual_fmac_f32 v159, v130, v93
	v_mul_f32_e32 v73, v124, v88
	s_wait_loadcnt_dscnt 0x302
	v_dual_mul_f32 v162, v135, v100 :: v_dual_mul_f32 v163, v137, v102
	s_delay_alu instid0(VALU_DEP_3) | instskip(SKIP_3) | instid1(VALU_DEP_4)
	v_dual_add_f32 v4, v4, v74 :: v_dual_fmac_f32 v161, v134, v97
	v_mul_f32_e32 v74, v126, v90
	v_fma_f32 v73, v123, v87, -v73
	v_dual_mul_f32 v154, v119, v84 :: v_dual_mul_f32 v155, v121, v86
	v_dual_add_f32 v4, v4, v75 :: v_dual_fmac_f32 v163, v138, v101
	v_mul_f32_e32 v75, v128, v92
	v_fma_f32 v74, v125, v89, -v74
	s_wait_loadcnt_dscnt 0x100
	v_dual_mul_f32 v166, v143, v108 :: v_dual_mul_f32 v167, v149, v146
	v_add_f32_e32 v4, v4, v73
	v_dual_fmac_f32 v154, v120, v83 :: v_dual_mul_f32 v73, v130, v94
	v_fma_f32 v75, v127, v91, -v75
	s_delay_alu instid0(VALU_DEP_3) | instskip(SKIP_1) | instid1(VALU_DEP_4)
	v_dual_fmac_f32 v167, v150, v145 :: v_dual_add_f32 v4, v4, v74
	v_mul_f32_e32 v74, v132, v96
	v_fma_f32 v73, v129, v93, -v73
	v_fmac_f32_e32 v156, v124, v87
	v_add_f32_e32 v2, v2, v151
	v_dual_add_f32 v4, v4, v75 :: v_dual_mul_f32 v75, v134, v98
	v_fma_f32 v74, v131, v95, -v74
	v_dual_fmac_f32 v152, v116, v79 :: v_dual_fmac_f32 v155, v122, v85
	s_delay_alu instid0(VALU_DEP_3) | instskip(SKIP_3) | instid1(VALU_DEP_4)
	v_add_f32_e32 v4, v4, v73
	v_mul_f32_e32 v73, v136, v100
	v_fma_f32 v75, v133, v97, -v75
	v_dual_mul_f32 v164, v139, v104 :: v_dual_mul_f32 v165, v141, v106
	v_add_f32_e32 v4, v4, v74
	v_mul_f32_e32 v74, v138, v102
	v_fma_f32 v73, v135, v99, -v73
	s_delay_alu instid0(VALU_DEP_4) | instskip(NEXT) | instid1(VALU_DEP_4)
	v_dual_fmac_f32 v158, v128, v91 :: v_dual_fmac_f32 v165, v142, v105
	v_add_f32_e32 v4, v4, v75
	v_mul_f32_e32 v75, v140, v104
	v_fma_f32 v74, v137, v101, -v74
	v_add_f32_e32 v2, v2, v152
	v_fmac_f32_e32 v160, v132, v95
	v_dual_add_f32 v4, v4, v73 :: v_dual_mul_f32 v73, v142, v106
	v_fma_f32 v75, v139, v103, -v75
	v_fmac_f32_e32 v162, v136, v99
	v_fmac_f32_e32 v164, v140, v103
	s_delay_alu instid0(VALU_DEP_4) | instskip(SKIP_3) | instid1(VALU_DEP_4)
	v_add_f32_e32 v4, v4, v74
	v_mul_f32_e32 v74, v144, v108
	v_fma_f32 v73, v141, v105, -v73
	v_fmac_f32_e32 v166, v144, v107
	v_dual_add_f32 v4, v4, v75 :: v_dual_mul_f32 v75, v150, v146
	s_delay_alu instid0(VALU_DEP_4) | instskip(NEXT) | instid1(VALU_DEP_2)
	v_fma_f32 v74, v143, v107, -v74
	v_add_f32_e32 v4, v4, v73
	s_delay_alu instid0(VALU_DEP_3) | instskip(NEXT) | instid1(VALU_DEP_2)
	v_fma_f32 v73, v149, v145, -v75
	v_add_f32_e32 v4, v4, v74
	s_delay_alu instid0(VALU_DEP_1) | instskip(SKIP_1) | instid1(VALU_DEP_1)
	v_add_f32_e32 v4, v4, v73
	s_wait_loadcnt 0x0
	v_dual_add_f32 v2, v2, v153 :: v_dual_sub_f32 v73, v147, v4
	s_delay_alu instid0(VALU_DEP_1) | instskip(NEXT) | instid1(VALU_DEP_1)
	v_add_f32_e32 v2, v2, v154
	v_add_f32_e32 v2, v2, v155
	s_delay_alu instid0(VALU_DEP_1) | instskip(NEXT) | instid1(VALU_DEP_1)
	v_add_f32_e32 v2, v2, v156
	v_add_f32_e32 v2, v2, v157
	;; [unrolled: 3-line block ×7, first 2 shown]
	s_delay_alu instid0(VALU_DEP_1)
	v_sub_f32_e32 v74, v148, v2
	scratch_store_b64 off, v[73:74], off offset:112
	v_cmpx_lt_u32_e32 13, v0
	s_cbranch_execz .LBB33_191
; %bb.190:
	scratch_load_b64 v[73:74], off, off offset:104
	v_mov_b32_e32 v2, v1
	scratch_store_b64 off, v[1:2], off offset:104
	s_wait_loadcnt 0x0
	ds_store_b64 v3, v[73:74]
.LBB33_191:
	s_wait_alu 0xfffe
	s_or_b32 exec_lo, exec_lo, s0
	s_wait_storecnt_dscnt 0x0
	s_barrier_signal -1
	s_barrier_wait -1
	global_inv scope:SCOPE_SE
	s_clause 0xa
	scratch_load_b128 v[73:76], off, off offset:112
	scratch_load_b128 v[77:80], off, off offset:128
	;; [unrolled: 1-line block ×10, first 2 shown]
	scratch_load_b64 v[153:154], off, off offset:104
	ds_load_b128 v[113:116], v1 offset:384
	ds_load_b128 v[117:120], v1 offset:400
	;; [unrolled: 1-line block ×10, first 2 shown]
	s_mov_b32 s0, exec_lo
	s_wait_loadcnt_dscnt 0xa09
	v_dual_mul_f32 v1, v113, v74 :: v_dual_mul_f32 v2, v115, v76
	v_mul_f32_e32 v74, v114, v74
	v_mul_f32_e32 v76, v116, v76
	s_wait_loadcnt_dscnt 0x908
	v_dual_mul_f32 v4, v117, v78 :: v_dual_mul_f32 v155, v119, v80
	v_dual_fmac_f32 v1, v114, v73 :: v_dual_fmac_f32 v2, v116, v75
	s_wait_loadcnt_dscnt 0x807
	v_dual_mul_f32 v156, v121, v82 :: v_dual_mul_f32 v157, v123, v84
	s_wait_loadcnt_dscnt 0x100
	v_dual_mul_f32 v170, v149, v110 :: v_dual_mul_f32 v171, v151, v112
	v_fma_f32 v74, v113, v73, -v74
	v_mul_f32_e32 v73, v118, v78
	v_fma_f32 v75, v115, v75, -v76
	v_dual_add_f32 v1, 0, v1 :: v_dual_mul_f32 v76, v120, v80
	s_delay_alu instid0(VALU_DEP_4) | instskip(NEXT) | instid1(VALU_DEP_4)
	v_dual_add_f32 v74, 0, v74 :: v_dual_fmac_f32 v155, v120, v79
	v_fma_f32 v73, v117, v77, -v73
	s_delay_alu instid0(VALU_DEP_3) | instskip(SKIP_1) | instid1(VALU_DEP_4)
	v_dual_add_f32 v1, v1, v2 :: v_dual_fmac_f32 v156, v122, v81
	v_fmac_f32_e32 v157, v124, v83
	v_add_f32_e32 v74, v74, v75
	v_fma_f32 v75, v119, v79, -v76
	v_dual_mul_f32 v158, v125, v86 :: v_dual_mul_f32 v159, v127, v88
	v_dual_mul_f32 v160, v129, v90 :: v_dual_mul_f32 v161, v131, v92
	s_delay_alu instid0(VALU_DEP_4) | instskip(SKIP_1) | instid1(VALU_DEP_4)
	v_add_f32_e32 v73, v74, v73
	v_fmac_f32_e32 v4, v118, v77
	v_dual_fmac_f32 v158, v126, v85 :: v_dual_fmac_f32 v159, v128, v87
	v_dual_mul_f32 v162, v133, v94 :: v_dual_mul_f32 v163, v135, v96
	s_delay_alu instid0(VALU_DEP_4) | instskip(NEXT) | instid1(VALU_DEP_4)
	v_add_f32_e32 v73, v73, v75
	v_dual_add_f32 v1, v1, v4 :: v_dual_mul_f32 v2, v122, v82
	v_mul_f32_e32 v4, v124, v84
	s_delay_alu instid0(VALU_DEP_4) | instskip(NEXT) | instid1(VALU_DEP_3)
	v_dual_fmac_f32 v160, v130, v89 :: v_dual_fmac_f32 v163, v136, v95
	v_add_f32_e32 v1, v1, v155
	s_delay_alu instid0(VALU_DEP_4)
	v_fma_f32 v2, v121, v81, -v2
	v_mul_f32_e32 v74, v126, v86
	v_fma_f32 v4, v123, v83, -v4
	v_fmac_f32_e32 v161, v132, v91
	v_add_f32_e32 v1, v1, v156
	v_dual_add_f32 v2, v73, v2 :: v_dual_mul_f32 v73, v128, v88
	v_fma_f32 v74, v125, v85, -v74
	v_fmac_f32_e32 v162, v134, v93
	s_delay_alu instid0(VALU_DEP_3) | instskip(NEXT) | instid1(VALU_DEP_4)
	v_dual_add_f32 v1, v1, v157 :: v_dual_add_f32 v2, v2, v4
	v_fma_f32 v73, v127, v87, -v73
	v_dual_mul_f32 v164, v137, v98 :: v_dual_mul_f32 v165, v139, v100
	s_delay_alu instid0(VALU_DEP_3) | instskip(NEXT) | instid1(VALU_DEP_4)
	v_add_f32_e32 v1, v1, v158
	v_add_f32_e32 v2, v2, v74
	v_mul_f32_e32 v74, v132, v92
	v_mul_f32_e32 v4, v130, v90
	v_dual_mul_f32 v166, v141, v102 :: v_dual_mul_f32 v167, v143, v104
	s_delay_alu instid0(VALU_DEP_4) | instskip(NEXT) | instid1(VALU_DEP_3)
	v_dual_add_f32 v1, v1, v159 :: v_dual_add_f32 v2, v2, v73
	v_fma_f32 v4, v129, v89, -v4
	v_mul_f32_e32 v73, v134, v94
	v_fma_f32 v74, v131, v91, -v74
	s_delay_alu instid0(VALU_DEP_4) | instskip(NEXT) | instid1(VALU_DEP_4)
	v_dual_add_f32 v1, v1, v160 :: v_dual_fmac_f32 v164, v138, v97
	v_dual_fmac_f32 v167, v144, v103 :: v_dual_add_f32 v2, v2, v4
	v_mul_f32_e32 v4, v136, v96
	v_fma_f32 v73, v133, v93, -v73
	s_delay_alu instid0(VALU_DEP_4) | instskip(NEXT) | instid1(VALU_DEP_4)
	v_add_f32_e32 v1, v1, v161
	v_dual_fmac_f32 v165, v140, v99 :: v_dual_add_f32 v2, v2, v74
	v_mul_f32_e32 v74, v138, v98
	v_fma_f32 v4, v135, v95, -v4
	v_fmac_f32_e32 v166, v142, v101
	v_dual_mul_f32 v168, v145, v106 :: v_dual_mul_f32 v169, v147, v108
	v_dual_add_f32 v2, v2, v73 :: v_dual_mul_f32 v73, v140, v100
	v_add_f32_e32 v1, v1, v162
	v_fma_f32 v74, v137, v97, -v74
	s_delay_alu instid0(VALU_DEP_4) | instskip(NEXT) | instid1(VALU_DEP_4)
	v_dual_fmac_f32 v169, v148, v107 :: v_dual_fmac_f32 v168, v146, v105
	v_fma_f32 v73, v139, v99, -v73
	s_delay_alu instid0(VALU_DEP_4) | instskip(SKIP_1) | instid1(VALU_DEP_2)
	v_dual_add_f32 v1, v1, v163 :: v_dual_fmac_f32 v170, v150, v109
	v_fmac_f32_e32 v171, v152, v111
	v_add_f32_e32 v1, v1, v164
	s_delay_alu instid0(VALU_DEP_1) | instskip(NEXT) | instid1(VALU_DEP_1)
	v_dual_add_f32 v2, v2, v4 :: v_dual_add_f32 v1, v1, v165
	v_add_f32_e32 v2, v2, v74
	s_delay_alu instid0(VALU_DEP_2) | instskip(NEXT) | instid1(VALU_DEP_2)
	v_dual_mul_f32 v74, v144, v104 :: v_dual_add_f32 v1, v1, v166
	v_add_f32_e32 v2, v2, v73
	v_mul_f32_e32 v4, v142, v102
	v_mul_f32_e32 v73, v146, v106
	s_delay_alu instid0(VALU_DEP_4) | instskip(SKIP_1) | instid1(VALU_DEP_4)
	v_fma_f32 v74, v143, v103, -v74
	v_add_f32_e32 v1, v1, v167
	v_fma_f32 v4, v141, v101, -v4
	s_delay_alu instid0(VALU_DEP_4) | instskip(NEXT) | instid1(VALU_DEP_3)
	v_fma_f32 v73, v145, v105, -v73
	v_add_f32_e32 v1, v1, v168
	s_delay_alu instid0(VALU_DEP_1) | instskip(SKIP_1) | instid1(VALU_DEP_2)
	v_dual_add_f32 v2, v2, v4 :: v_dual_add_f32 v1, v1, v169
	v_mul_f32_e32 v4, v148, v108
	v_add_f32_e32 v2, v2, v74
	v_mul_f32_e32 v74, v150, v110
	s_delay_alu instid0(VALU_DEP_4) | instskip(NEXT) | instid1(VALU_DEP_4)
	v_add_f32_e32 v1, v1, v170
	v_fma_f32 v4, v147, v107, -v4
	s_delay_alu instid0(VALU_DEP_4) | instskip(NEXT) | instid1(VALU_DEP_4)
	v_dual_add_f32 v2, v2, v73 :: v_dual_mul_f32 v73, v152, v112
	v_fma_f32 v74, v149, v109, -v74
	s_delay_alu instid0(VALU_DEP_2) | instskip(NEXT) | instid1(VALU_DEP_3)
	v_add_f32_e32 v2, v2, v4
	v_fma_f32 v4, v151, v111, -v73
	s_delay_alu instid0(VALU_DEP_2) | instskip(NEXT) | instid1(VALU_DEP_1)
	v_add_f32_e32 v2, v2, v74
	v_add_f32_e32 v2, v2, v4
	v_add_f32_e32 v4, v1, v171
	s_wait_loadcnt 0x0
	s_delay_alu instid0(VALU_DEP_1)
	v_dual_sub_f32 v1, v153, v2 :: v_dual_sub_f32 v2, v154, v4
	scratch_store_b64 off, v[1:2], off offset:104
	v_cmpx_lt_u32_e32 12, v0
	s_cbranch_execz .LBB33_193
; %bb.192:
	scratch_load_b64 v[1:2], off, off offset:96
	v_mov_b32_e32 v73, 0
	s_delay_alu instid0(VALU_DEP_1)
	v_mov_b32_e32 v74, v73
	scratch_store_b64 off, v[73:74], off offset:96
	s_wait_loadcnt 0x0
	ds_store_b64 v3, v[1:2]
.LBB33_193:
	s_wait_alu 0xfffe
	s_or_b32 exec_lo, exec_lo, s0
	s_wait_storecnt_dscnt 0x0
	s_barrier_signal -1
	s_barrier_wait -1
	global_inv scope:SCOPE_SE
	s_clause 0xb
	scratch_load_b128 v[73:76], off, off offset:104
	scratch_load_b128 v[77:80], off, off offset:120
	;; [unrolled: 1-line block ×10, first 2 shown]
	scratch_load_b64 v[153:154], off, off offset:264
	scratch_load_b64 v[155:156], off, off offset:96
	v_mov_b32_e32 v1, 0
	ds_load_2addr_b64 v[113:116], v1 offset0:47 offset1:48
	ds_load_2addr_b64 v[117:120], v1 offset0:49 offset1:50
	;; [unrolled: 1-line block ×10, first 2 shown]
	ds_load_b64 v[157:158], v1 offset:536
	s_mov_b32 s0, exec_lo
	s_wait_loadcnt_dscnt 0xb0a
	v_mul_f32_e32 v2, v113, v74
	v_mul_f32_e32 v74, v114, v74
	s_wait_loadcnt_dscnt 0xa09
	v_dual_mul_f32 v4, v115, v76 :: v_dual_mul_f32 v159, v117, v78
	v_mul_f32_e32 v76, v116, v76
	s_wait_loadcnt_dscnt 0x908
	v_dual_mul_f32 v160, v119, v80 :: v_dual_mul_f32 v161, v121, v82
	v_fma_f32 v74, v113, v73, -v74
	v_fmac_f32_e32 v2, v114, v73
	v_dual_mul_f32 v73, v118, v78 :: v_dual_fmac_f32 v4, v116, v75
	v_fmac_f32_e32 v159, v118, v77
	v_fma_f32 v75, v115, v75, -v76
	v_dual_add_f32 v74, 0, v74 :: v_dual_fmac_f32 v161, v122, v81
	v_mul_f32_e32 v76, v120, v80
	v_fma_f32 v73, v117, v77, -v73
	s_wait_loadcnt_dscnt 0x706
	v_dual_mul_f32 v164, v127, v88 :: v_dual_mul_f32 v165, v129, v90
	v_add_f32_e32 v74, v74, v75
	v_add_f32_e32 v2, 0, v2
	v_fma_f32 v75, v119, v79, -v76
	s_wait_loadcnt_dscnt 0x605
	v_dual_mul_f32 v166, v131, v92 :: v_dual_mul_f32 v167, v133, v94
	v_add_f32_e32 v73, v74, v73
	v_add_f32_e32 v2, v2, v4
	v_mul_f32_e32 v4, v122, v82
	v_dual_mul_f32 v74, v124, v84 :: v_dual_fmac_f32 v165, v130, v89
	s_delay_alu instid0(VALU_DEP_4) | instskip(SKIP_1) | instid1(VALU_DEP_4)
	v_add_f32_e32 v73, v73, v75
	v_mul_f32_e32 v75, v126, v86
	v_fma_f32 v4, v121, v81, -v4
	s_delay_alu instid0(VALU_DEP_4)
	v_fma_f32 v74, v123, v83, -v74
	s_wait_loadcnt_dscnt 0x504
	v_dual_mul_f32 v168, v135, v96 :: v_dual_mul_f32 v169, v137, v98
	v_fma_f32 v75, v125, v85, -v75
	v_dual_add_f32 v4, v73, v4 :: v_dual_fmac_f32 v167, v134, v93
	v_mul_f32_e32 v73, v128, v88
	s_wait_loadcnt_dscnt 0x403
	v_dual_mul_f32 v170, v139, v100 :: v_dual_mul_f32 v171, v141, v102
	s_delay_alu instid0(VALU_DEP_3) | instskip(SKIP_3) | instid1(VALU_DEP_4)
	v_dual_add_f32 v4, v4, v74 :: v_dual_fmac_f32 v169, v138, v97
	v_mul_f32_e32 v74, v130, v90
	v_fma_f32 v73, v127, v87, -v73
	v_dual_mul_f32 v162, v123, v84 :: v_dual_mul_f32 v163, v125, v86
	v_dual_add_f32 v4, v4, v75 :: v_dual_fmac_f32 v171, v142, v101
	v_mul_f32_e32 v75, v132, v92
	v_fma_f32 v74, v129, v89, -v74
	s_wait_loadcnt_dscnt 0x201
	v_dual_mul_f32 v174, v147, v108 :: v_dual_mul_f32 v175, v149, v110
	v_add_f32_e32 v4, v4, v73
	v_dual_fmac_f32 v162, v124, v83 :: v_dual_mul_f32 v73, v134, v94
	v_fma_f32 v75, v131, v91, -v75
	s_wait_loadcnt_dscnt 0x100
	v_dual_mul_f32 v176, v151, v112 :: v_dual_mul_f32 v177, v157, v154
	v_dual_add_f32 v4, v4, v74 :: v_dual_fmac_f32 v175, v150, v109
	v_mul_f32_e32 v74, v136, v96
	v_fma_f32 v73, v133, v93, -v73
	v_fmac_f32_e32 v164, v128, v87
	s_delay_alu instid0(VALU_DEP_4) | instskip(SKIP_3) | instid1(VALU_DEP_4)
	v_dual_add_f32 v4, v4, v75 :: v_dual_fmac_f32 v177, v158, v153
	v_mul_f32_e32 v75, v138, v98
	v_fma_f32 v74, v135, v95, -v74
	v_add_f32_e32 v2, v2, v159
	v_add_f32_e32 v4, v4, v73
	v_mul_f32_e32 v73, v140, v100
	v_fma_f32 v75, v137, v97, -v75
	v_dual_fmac_f32 v160, v120, v79 :: v_dual_fmac_f32 v163, v126, v85
	s_delay_alu instid0(VALU_DEP_4) | instskip(SKIP_3) | instid1(VALU_DEP_4)
	v_add_f32_e32 v4, v4, v74
	v_mul_f32_e32 v74, v142, v102
	v_fma_f32 v73, v139, v99, -v73
	v_dual_mul_f32 v172, v143, v104 :: v_dual_mul_f32 v173, v145, v106
	v_add_f32_e32 v4, v4, v75
	v_mul_f32_e32 v75, v144, v104
	v_fma_f32 v74, v141, v101, -v74
	v_add_f32_e32 v2, v2, v160
	v_dual_fmac_f32 v166, v132, v91 :: v_dual_fmac_f32 v173, v146, v105
	v_dual_add_f32 v4, v4, v73 :: v_dual_mul_f32 v73, v146, v106
	v_fma_f32 v75, v143, v103, -v75
	s_delay_alu instid0(VALU_DEP_4) | instskip(SKIP_1) | instid1(VALU_DEP_4)
	v_add_f32_e32 v2, v2, v161
	v_fmac_f32_e32 v168, v136, v95
	v_add_f32_e32 v4, v4, v74
	v_mul_f32_e32 v74, v148, v108
	v_fma_f32 v73, v145, v105, -v73
	v_fmac_f32_e32 v170, v140, v99
	v_fmac_f32_e32 v172, v144, v103
	v_dual_add_f32 v4, v4, v75 :: v_dual_mul_f32 v75, v150, v110
	v_fma_f32 v74, v147, v107, -v74
	v_fmac_f32_e32 v174, v148, v107
	v_fmac_f32_e32 v176, v152, v111
	s_delay_alu instid0(VALU_DEP_4) | instskip(SKIP_2) | instid1(VALU_DEP_3)
	v_add_f32_e32 v4, v4, v73
	v_mul_f32_e32 v73, v152, v112
	v_fma_f32 v75, v149, v109, -v75
	v_add_f32_e32 v4, v4, v74
	v_mul_f32_e32 v74, v158, v154
	s_delay_alu instid0(VALU_DEP_4) | instskip(NEXT) | instid1(VALU_DEP_3)
	v_fma_f32 v73, v151, v111, -v73
	v_add_f32_e32 v4, v4, v75
	s_delay_alu instid0(VALU_DEP_3) | instskip(NEXT) | instid1(VALU_DEP_2)
	v_fma_f32 v74, v157, v153, -v74
	v_add_f32_e32 v4, v4, v73
	s_delay_alu instid0(VALU_DEP_1) | instskip(SKIP_1) | instid1(VALU_DEP_1)
	v_add_f32_e32 v4, v4, v74
	s_wait_loadcnt 0x0
	v_dual_add_f32 v2, v2, v162 :: v_dual_sub_f32 v73, v155, v4
	s_delay_alu instid0(VALU_DEP_1) | instskip(NEXT) | instid1(VALU_DEP_1)
	v_add_f32_e32 v2, v2, v163
	v_add_f32_e32 v2, v2, v164
	s_delay_alu instid0(VALU_DEP_1) | instskip(NEXT) | instid1(VALU_DEP_1)
	v_add_f32_e32 v2, v2, v165
	v_add_f32_e32 v2, v2, v166
	;; [unrolled: 3-line block ×7, first 2 shown]
	s_delay_alu instid0(VALU_DEP_1) | instskip(NEXT) | instid1(VALU_DEP_1)
	v_add_f32_e32 v2, v2, v177
	v_sub_f32_e32 v74, v156, v2
	scratch_store_b64 off, v[73:74], off offset:96
	v_cmpx_lt_u32_e32 11, v0
	s_cbranch_execz .LBB33_195
; %bb.194:
	scratch_load_b64 v[73:74], off, off offset:88
	v_mov_b32_e32 v2, v1
	scratch_store_b64 off, v[1:2], off offset:88
	s_wait_loadcnt 0x0
	ds_store_b64 v3, v[73:74]
.LBB33_195:
	s_wait_alu 0xfffe
	s_or_b32 exec_lo, exec_lo, s0
	s_wait_storecnt_dscnt 0x0
	s_barrier_signal -1
	s_barrier_wait -1
	global_inv scope:SCOPE_SE
	s_clause 0xb
	scratch_load_b128 v[73:76], off, off offset:96
	scratch_load_b128 v[77:80], off, off offset:112
	;; [unrolled: 1-line block ×11, first 2 shown]
	scratch_load_b64 v[161:162], off, off offset:88
	ds_load_b128 v[117:120], v1 offset:368
	ds_load_b128 v[121:124], v1 offset:384
	;; [unrolled: 1-line block ×11, first 2 shown]
	s_mov_b32 s0, exec_lo
	s_wait_loadcnt_dscnt 0xb0a
	v_dual_mul_f32 v1, v117, v74 :: v_dual_mul_f32 v2, v119, v76
	v_mul_f32_e32 v74, v118, v74
	v_mul_f32_e32 v76, v120, v76
	s_wait_loadcnt_dscnt 0xa09
	v_dual_mul_f32 v4, v121, v78 :: v_dual_mul_f32 v163, v123, v80
	v_dual_fmac_f32 v1, v118, v73 :: v_dual_fmac_f32 v2, v120, v75
	s_wait_loadcnt_dscnt 0x908
	v_dual_mul_f32 v164, v125, v82 :: v_dual_mul_f32 v165, v127, v84
	s_wait_loadcnt_dscnt 0x100
	v_dual_mul_f32 v180, v157, v114 :: v_dual_mul_f32 v181, v159, v116
	v_fma_f32 v74, v117, v73, -v74
	v_mul_f32_e32 v73, v122, v78
	v_fma_f32 v75, v119, v75, -v76
	v_dual_add_f32 v1, 0, v1 :: v_dual_mul_f32 v76, v124, v80
	s_delay_alu instid0(VALU_DEP_4) | instskip(NEXT) | instid1(VALU_DEP_4)
	v_dual_add_f32 v74, 0, v74 :: v_dual_fmac_f32 v163, v124, v79
	v_fma_f32 v73, v121, v77, -v73
	s_delay_alu instid0(VALU_DEP_3) | instskip(SKIP_1) | instid1(VALU_DEP_4)
	v_dual_add_f32 v1, v1, v2 :: v_dual_fmac_f32 v164, v126, v81
	v_fmac_f32_e32 v165, v128, v83
	v_add_f32_e32 v74, v74, v75
	v_fma_f32 v75, v123, v79, -v76
	v_dual_mul_f32 v166, v129, v86 :: v_dual_mul_f32 v167, v131, v88
	v_dual_mul_f32 v168, v133, v90 :: v_dual_mul_f32 v169, v135, v92
	s_delay_alu instid0(VALU_DEP_4) | instskip(SKIP_1) | instid1(VALU_DEP_4)
	v_add_f32_e32 v73, v74, v73
	v_fmac_f32_e32 v4, v122, v77
	v_dual_fmac_f32 v166, v130, v85 :: v_dual_fmac_f32 v167, v132, v87
	v_dual_mul_f32 v170, v137, v94 :: v_dual_mul_f32 v171, v139, v96
	s_delay_alu instid0(VALU_DEP_4) | instskip(NEXT) | instid1(VALU_DEP_4)
	v_add_f32_e32 v73, v73, v75
	v_dual_add_f32 v1, v1, v4 :: v_dual_mul_f32 v2, v126, v82
	v_mul_f32_e32 v4, v128, v84
	s_delay_alu instid0(VALU_DEP_4) | instskip(NEXT) | instid1(VALU_DEP_3)
	v_dual_fmac_f32 v168, v134, v89 :: v_dual_fmac_f32 v171, v140, v95
	v_add_f32_e32 v1, v1, v163
	s_delay_alu instid0(VALU_DEP_4) | instskip(SKIP_2) | instid1(VALU_DEP_4)
	v_fma_f32 v2, v125, v81, -v2
	v_mul_f32_e32 v74, v130, v86
	v_fma_f32 v4, v127, v83, -v4
	v_dual_fmac_f32 v170, v138, v93 :: v_dual_add_f32 v1, v1, v164
	s_delay_alu instid0(VALU_DEP_4) | instskip(NEXT) | instid1(VALU_DEP_4)
	v_dual_add_f32 v2, v73, v2 :: v_dual_mul_f32 v73, v132, v88
	v_fma_f32 v74, v129, v85, -v74
	v_fmac_f32_e32 v169, v136, v91
	s_delay_alu instid0(VALU_DEP_3) | instskip(NEXT) | instid1(VALU_DEP_4)
	v_dual_add_f32 v1, v1, v165 :: v_dual_add_f32 v2, v2, v4
	v_fma_f32 v73, v131, v87, -v73
	v_dual_mul_f32 v172, v141, v98 :: v_dual_mul_f32 v173, v143, v100
	s_delay_alu instid0(VALU_DEP_3) | instskip(NEXT) | instid1(VALU_DEP_4)
	v_add_f32_e32 v1, v1, v166
	v_add_f32_e32 v2, v2, v74
	v_mul_f32_e32 v74, v136, v92
	v_mul_f32_e32 v4, v134, v90
	v_dual_mul_f32 v174, v145, v102 :: v_dual_mul_f32 v175, v147, v104
	s_delay_alu instid0(VALU_DEP_4) | instskip(NEXT) | instid1(VALU_DEP_3)
	v_dual_add_f32 v1, v1, v167 :: v_dual_add_f32 v2, v2, v73
	v_fma_f32 v4, v133, v89, -v4
	v_mul_f32_e32 v73, v138, v94
	v_fma_f32 v74, v135, v91, -v74
	s_delay_alu instid0(VALU_DEP_4) | instskip(NEXT) | instid1(VALU_DEP_4)
	v_dual_add_f32 v1, v1, v168 :: v_dual_fmac_f32 v172, v142, v97
	v_dual_fmac_f32 v175, v148, v103 :: v_dual_add_f32 v2, v2, v4
	v_mul_f32_e32 v4, v140, v96
	v_fma_f32 v73, v137, v93, -v73
	s_delay_alu instid0(VALU_DEP_4) | instskip(NEXT) | instid1(VALU_DEP_4)
	v_add_f32_e32 v1, v1, v169
	v_dual_fmac_f32 v173, v144, v99 :: v_dual_add_f32 v2, v2, v74
	v_mul_f32_e32 v74, v142, v98
	v_fma_f32 v4, v139, v95, -v4
	v_fmac_f32_e32 v174, v146, v101
	v_dual_mul_f32 v176, v149, v106 :: v_dual_mul_f32 v177, v151, v108
	v_dual_add_f32 v2, v2, v73 :: v_dual_mul_f32 v73, v144, v100
	v_add_f32_e32 v1, v1, v170
	v_fma_f32 v74, v141, v97, -v74
	s_delay_alu instid0(VALU_DEP_4) | instskip(SKIP_1) | instid1(VALU_DEP_4)
	v_dual_fmac_f32 v177, v152, v107 :: v_dual_mul_f32 v178, v153, v110
	v_mul_f32_e32 v179, v155, v112
	v_add_f32_e32 v1, v1, v171
	v_fma_f32 v73, v143, v99, -v73
	v_fmac_f32_e32 v176, v150, v105
	v_fmac_f32_e32 v180, v158, v113
	s_delay_alu instid0(VALU_DEP_4) | instskip(SKIP_2) | instid1(VALU_DEP_2)
	v_dual_fmac_f32 v178, v154, v109 :: v_dual_add_f32 v1, v1, v172
	v_dual_add_f32 v2, v2, v4 :: v_dual_fmac_f32 v179, v156, v111
	v_fmac_f32_e32 v181, v160, v115
	v_dual_add_f32 v1, v1, v173 :: v_dual_add_f32 v2, v2, v74
	s_delay_alu instid0(VALU_DEP_1) | instskip(NEXT) | instid1(VALU_DEP_2)
	v_dual_mul_f32 v74, v148, v104 :: v_dual_add_f32 v1, v1, v174
	v_add_f32_e32 v2, v2, v73
	v_mul_f32_e32 v4, v146, v102
	v_mul_f32_e32 v73, v150, v106
	s_delay_alu instid0(VALU_DEP_4) | instskip(SKIP_1) | instid1(VALU_DEP_4)
	v_fma_f32 v74, v147, v103, -v74
	v_add_f32_e32 v1, v1, v175
	v_fma_f32 v4, v145, v101, -v4
	s_delay_alu instid0(VALU_DEP_4) | instskip(NEXT) | instid1(VALU_DEP_3)
	v_fma_f32 v73, v149, v105, -v73
	v_add_f32_e32 v1, v1, v176
	s_delay_alu instid0(VALU_DEP_1) | instskip(SKIP_1) | instid1(VALU_DEP_2)
	v_dual_add_f32 v2, v2, v4 :: v_dual_add_f32 v1, v1, v177
	v_mul_f32_e32 v4, v152, v108
	v_add_f32_e32 v2, v2, v74
	s_delay_alu instid0(VALU_DEP_3) | instskip(SKIP_1) | instid1(VALU_DEP_4)
	v_add_f32_e32 v1, v1, v178
	v_mul_f32_e32 v74, v154, v110
	v_fma_f32 v4, v151, v107, -v4
	s_delay_alu instid0(VALU_DEP_4) | instskip(NEXT) | instid1(VALU_DEP_4)
	v_dual_add_f32 v2, v2, v73 :: v_dual_mul_f32 v73, v156, v112
	v_add_f32_e32 v1, v1, v179
	s_delay_alu instid0(VALU_DEP_4) | instskip(NEXT) | instid1(VALU_DEP_3)
	v_fma_f32 v74, v153, v109, -v74
	v_add_f32_e32 v2, v2, v4
	s_delay_alu instid0(VALU_DEP_3) | instskip(SKIP_1) | instid1(VALU_DEP_3)
	v_dual_mul_f32 v4, v158, v114 :: v_dual_add_f32 v1, v1, v180
	v_fma_f32 v73, v155, v111, -v73
	v_add_f32_e32 v2, v2, v74
	v_mul_f32_e32 v74, v160, v116
	s_delay_alu instid0(VALU_DEP_4) | instskip(NEXT) | instid1(VALU_DEP_3)
	v_fma_f32 v4, v157, v113, -v4
	v_add_f32_e32 v2, v2, v73
	s_delay_alu instid0(VALU_DEP_3) | instskip(NEXT) | instid1(VALU_DEP_2)
	v_fma_f32 v73, v159, v115, -v74
	v_add_f32_e32 v2, v2, v4
	v_add_f32_e32 v4, v1, v181
	s_delay_alu instid0(VALU_DEP_2) | instskip(SKIP_1) | instid1(VALU_DEP_1)
	v_add_f32_e32 v2, v2, v73
	s_wait_loadcnt 0x0
	v_dual_sub_f32 v1, v161, v2 :: v_dual_sub_f32 v2, v162, v4
	scratch_store_b64 off, v[1:2], off offset:88
	v_cmpx_lt_u32_e32 10, v0
	s_cbranch_execz .LBB33_197
; %bb.196:
	scratch_load_b64 v[1:2], off, off offset:80
	v_mov_b32_e32 v73, 0
	s_delay_alu instid0(VALU_DEP_1)
	v_mov_b32_e32 v74, v73
	scratch_store_b64 off, v[73:74], off offset:80
	s_wait_loadcnt 0x0
	ds_store_b64 v3, v[1:2]
.LBB33_197:
	s_wait_alu 0xfffe
	s_or_b32 exec_lo, exec_lo, s0
	s_wait_storecnt_dscnt 0x0
	s_barrier_signal -1
	s_barrier_wait -1
	global_inv scope:SCOPE_SE
	s_clause 0xc
	scratch_load_b128 v[73:76], off, off offset:88
	scratch_load_b128 v[77:80], off, off offset:104
	;; [unrolled: 1-line block ×11, first 2 shown]
	scratch_load_b64 v[161:162], off, off offset:264
	scratch_load_b64 v[163:164], off, off offset:80
	v_mov_b32_e32 v1, 0
	ds_load_2addr_b64 v[117:120], v1 offset0:45 offset1:46
	ds_load_2addr_b64 v[121:124], v1 offset0:47 offset1:48
	;; [unrolled: 1-line block ×11, first 2 shown]
	ds_load_b64 v[165:166], v1 offset:536
	s_mov_b32 s0, exec_lo
	s_wait_loadcnt_dscnt 0xc0b
	v_mul_f32_e32 v2, v117, v74
	v_mul_f32_e32 v74, v118, v74
	s_wait_loadcnt_dscnt 0xb0a
	v_dual_mul_f32 v4, v119, v76 :: v_dual_mul_f32 v167, v121, v78
	v_mul_f32_e32 v76, v120, v76
	s_wait_loadcnt_dscnt 0xa09
	v_dual_mul_f32 v168, v123, v80 :: v_dual_mul_f32 v169, v125, v82
	v_fma_f32 v74, v117, v73, -v74
	v_fmac_f32_e32 v2, v118, v73
	v_dual_mul_f32 v73, v122, v78 :: v_dual_fmac_f32 v4, v120, v75
	v_fmac_f32_e32 v167, v122, v77
	v_fma_f32 v75, v119, v75, -v76
	v_dual_add_f32 v74, 0, v74 :: v_dual_fmac_f32 v169, v126, v81
	v_mul_f32_e32 v76, v124, v80
	v_fma_f32 v73, v121, v77, -v73
	s_wait_loadcnt_dscnt 0x807
	v_dual_mul_f32 v172, v131, v88 :: v_dual_mul_f32 v173, v133, v90
	v_add_f32_e32 v74, v74, v75
	v_add_f32_e32 v2, 0, v2
	v_fma_f32 v75, v123, v79, -v76
	s_wait_loadcnt_dscnt 0x706
	v_dual_mul_f32 v174, v135, v92 :: v_dual_mul_f32 v175, v137, v94
	v_add_f32_e32 v73, v74, v73
	v_add_f32_e32 v2, v2, v4
	v_mul_f32_e32 v4, v126, v82
	v_dual_mul_f32 v74, v128, v84 :: v_dual_fmac_f32 v173, v134, v89
	s_delay_alu instid0(VALU_DEP_4) | instskip(SKIP_1) | instid1(VALU_DEP_4)
	v_add_f32_e32 v73, v73, v75
	v_mul_f32_e32 v75, v130, v86
	v_fma_f32 v4, v125, v81, -v4
	s_delay_alu instid0(VALU_DEP_4)
	v_fma_f32 v74, v127, v83, -v74
	s_wait_loadcnt_dscnt 0x605
	v_dual_mul_f32 v176, v139, v96 :: v_dual_mul_f32 v177, v141, v98
	v_fma_f32 v75, v129, v85, -v75
	v_dual_add_f32 v4, v73, v4 :: v_dual_fmac_f32 v175, v138, v93
	v_mul_f32_e32 v73, v132, v88
	s_wait_loadcnt_dscnt 0x504
	v_dual_mul_f32 v178, v143, v100 :: v_dual_mul_f32 v179, v145, v102
	s_delay_alu instid0(VALU_DEP_3) | instskip(SKIP_3) | instid1(VALU_DEP_4)
	v_dual_add_f32 v4, v4, v74 :: v_dual_fmac_f32 v177, v142, v97
	v_mul_f32_e32 v74, v134, v90
	v_fma_f32 v73, v131, v87, -v73
	v_dual_mul_f32 v170, v127, v84 :: v_dual_mul_f32 v171, v129, v86
	v_dual_add_f32 v4, v4, v75 :: v_dual_fmac_f32 v179, v146, v101
	v_mul_f32_e32 v75, v136, v92
	v_fma_f32 v74, v133, v89, -v74
	s_wait_loadcnt_dscnt 0x302
	v_dual_mul_f32 v182, v151, v108 :: v_dual_mul_f32 v183, v153, v110
	v_add_f32_e32 v4, v4, v73
	v_dual_fmac_f32 v170, v128, v83 :: v_dual_mul_f32 v73, v138, v94
	v_fma_f32 v75, v135, v91, -v75
	s_wait_loadcnt_dscnt 0x201
	v_dual_mul_f32 v184, v155, v112 :: v_dual_mul_f32 v185, v157, v114
	v_dual_add_f32 v4, v4, v74 :: v_dual_fmac_f32 v183, v154, v109
	v_mul_f32_e32 v74, v140, v96
	v_fma_f32 v73, v137, v93, -v73
	v_fmac_f32_e32 v172, v132, v87
	s_delay_alu instid0(VALU_DEP_4)
	v_dual_add_f32 v4, v4, v75 :: v_dual_fmac_f32 v185, v158, v113
	v_mul_f32_e32 v75, v142, v98
	v_fma_f32 v74, v139, v95, -v74
	s_wait_loadcnt_dscnt 0x100
	v_dual_mul_f32 v186, v159, v116 :: v_dual_mul_f32 v187, v165, v162
	v_add_f32_e32 v4, v4, v73
	v_mul_f32_e32 v73, v144, v100
	v_fma_f32 v75, v141, v97, -v75
	v_add_f32_e32 v2, v2, v167
	s_delay_alu instid0(VALU_DEP_4) | instskip(SKIP_3) | instid1(VALU_DEP_4)
	v_dual_fmac_f32 v187, v166, v161 :: v_dual_add_f32 v4, v4, v74
	v_mul_f32_e32 v74, v146, v102
	v_fma_f32 v73, v143, v99, -v73
	v_dual_fmac_f32 v168, v124, v79 :: v_dual_fmac_f32 v171, v130, v85
	v_add_f32_e32 v4, v4, v75
	v_mul_f32_e32 v75, v148, v104
	v_fma_f32 v74, v145, v101, -v74
	s_delay_alu instid0(VALU_DEP_4) | instskip(SKIP_3) | instid1(VALU_DEP_4)
	v_add_f32_e32 v2, v2, v168
	v_dual_mul_f32 v180, v147, v104 :: v_dual_mul_f32 v181, v149, v106
	v_dual_add_f32 v4, v4, v73 :: v_dual_mul_f32 v73, v150, v106
	v_fma_f32 v75, v147, v103, -v75
	v_add_f32_e32 v2, v2, v169
	s_delay_alu instid0(VALU_DEP_4) | instskip(NEXT) | instid1(VALU_DEP_4)
	v_dual_fmac_f32 v174, v136, v91 :: v_dual_fmac_f32 v181, v150, v105
	v_add_f32_e32 v4, v4, v74
	v_mul_f32_e32 v74, v152, v108
	v_fma_f32 v73, v149, v105, -v73
	v_fmac_f32_e32 v176, v140, v95
	v_fmac_f32_e32 v178, v144, v99
	v_dual_add_f32 v4, v4, v75 :: v_dual_mul_f32 v75, v154, v110
	v_fma_f32 v74, v151, v107, -v74
	v_fmac_f32_e32 v180, v148, v103
	v_fmac_f32_e32 v182, v152, v107
	s_delay_alu instid0(VALU_DEP_4) | instskip(SKIP_3) | instid1(VALU_DEP_4)
	v_add_f32_e32 v4, v4, v73
	v_dual_mul_f32 v73, v156, v112 :: v_dual_add_f32 v2, v2, v170
	v_fma_f32 v75, v153, v109, -v75
	v_fmac_f32_e32 v184, v156, v111
	v_add_f32_e32 v4, v4, v74
	s_delay_alu instid0(VALU_DEP_4) | instskip(SKIP_2) | instid1(VALU_DEP_4)
	v_fma_f32 v73, v155, v111, -v73
	v_mul_f32_e32 v74, v158, v114
	v_fmac_f32_e32 v186, v160, v115
	v_add_f32_e32 v4, v4, v75
	v_dual_mul_f32 v75, v160, v116 :: v_dual_add_f32 v2, v2, v171
	s_delay_alu instid0(VALU_DEP_4) | instskip(NEXT) | instid1(VALU_DEP_3)
	v_fma_f32 v74, v157, v113, -v74
	v_dual_add_f32 v4, v4, v73 :: v_dual_mul_f32 v73, v166, v162
	s_delay_alu instid0(VALU_DEP_3) | instskip(NEXT) | instid1(VALU_DEP_4)
	v_add_f32_e32 v2, v2, v172
	v_fma_f32 v75, v159, v115, -v75
	s_delay_alu instid0(VALU_DEP_3) | instskip(NEXT) | instid1(VALU_DEP_4)
	v_add_f32_e32 v4, v4, v74
	v_fma_f32 v73, v165, v161, -v73
	s_delay_alu instid0(VALU_DEP_4) | instskip(NEXT) | instid1(VALU_DEP_3)
	v_add_f32_e32 v2, v2, v173
	v_add_f32_e32 v4, v4, v75
	s_delay_alu instid0(VALU_DEP_2) | instskip(NEXT) | instid1(VALU_DEP_2)
	v_add_f32_e32 v2, v2, v174
	v_add_f32_e32 v4, v4, v73
	s_wait_loadcnt 0x0
	s_delay_alu instid0(VALU_DEP_1) | instskip(NEXT) | instid1(VALU_DEP_1)
	v_dual_add_f32 v2, v2, v175 :: v_dual_sub_f32 v73, v163, v4
	v_add_f32_e32 v2, v2, v176
	s_delay_alu instid0(VALU_DEP_1) | instskip(NEXT) | instid1(VALU_DEP_1)
	v_add_f32_e32 v2, v2, v177
	v_add_f32_e32 v2, v2, v178
	s_delay_alu instid0(VALU_DEP_1) | instskip(NEXT) | instid1(VALU_DEP_1)
	v_add_f32_e32 v2, v2, v179
	;; [unrolled: 3-line block ×6, first 2 shown]
	v_sub_f32_e32 v74, v164, v2
	scratch_store_b64 off, v[73:74], off offset:80
	v_cmpx_lt_u32_e32 9, v0
	s_cbranch_execz .LBB33_199
; %bb.198:
	scratch_load_b64 v[73:74], off, off offset:72
	v_mov_b32_e32 v2, v1
	scratch_store_b64 off, v[1:2], off offset:72
	s_wait_loadcnt 0x0
	ds_store_b64 v3, v[73:74]
.LBB33_199:
	s_wait_alu 0xfffe
	s_or_b32 exec_lo, exec_lo, s0
	s_wait_storecnt_dscnt 0x0
	s_barrier_signal -1
	s_barrier_wait -1
	global_inv scope:SCOPE_SE
	s_clause 0xc
	scratch_load_b128 v[73:76], off, off offset:80
	scratch_load_b128 v[77:80], off, off offset:96
	;; [unrolled: 1-line block ×12, first 2 shown]
	scratch_load_b64 v[169:170], off, off offset:72
	ds_load_b128 v[121:124], v1 offset:352
	ds_load_b128 v[125:128], v1 offset:368
	;; [unrolled: 1-line block ×12, first 2 shown]
	s_mov_b32 s0, exec_lo
	s_wait_loadcnt_dscnt 0xc0b
	v_dual_mul_f32 v1, v121, v74 :: v_dual_mul_f32 v2, v123, v76
	v_mul_f32_e32 v74, v122, v74
	v_mul_f32_e32 v76, v124, v76
	s_wait_loadcnt_dscnt 0xb0a
	v_dual_mul_f32 v4, v125, v78 :: v_dual_mul_f32 v171, v127, v80
	s_wait_loadcnt_dscnt 0xa09
	v_dual_mul_f32 v172, v129, v82 :: v_dual_mul_f32 v173, v131, v84
	v_dual_fmac_f32 v1, v122, v73 :: v_dual_fmac_f32 v2, v124, v75
	s_wait_loadcnt_dscnt 0x908
	v_dual_mul_f32 v174, v133, v86 :: v_dual_mul_f32 v175, v135, v88
	s_wait_loadcnt_dscnt 0x100
	v_dual_mul_f32 v190, v165, v118 :: v_dual_mul_f32 v191, v167, v120
	v_fma_f32 v74, v121, v73, -v74
	v_mul_f32_e32 v73, v126, v78
	v_fma_f32 v75, v123, v75, -v76
	v_dual_add_f32 v1, 0, v1 :: v_dual_mul_f32 v76, v128, v80
	s_delay_alu instid0(VALU_DEP_4) | instskip(NEXT) | instid1(VALU_DEP_4)
	v_dual_add_f32 v74, 0, v74 :: v_dual_fmac_f32 v171, v128, v79
	v_fma_f32 v73, v125, v77, -v73
	s_delay_alu instid0(VALU_DEP_3) | instskip(SKIP_1) | instid1(VALU_DEP_4)
	v_dual_add_f32 v1, v1, v2 :: v_dual_fmac_f32 v172, v130, v81
	v_fmac_f32_e32 v173, v132, v83
	v_add_f32_e32 v74, v74, v75
	v_fma_f32 v75, v127, v79, -v76
	v_dual_fmac_f32 v174, v134, v85 :: v_dual_fmac_f32 v175, v136, v87
	v_dual_mul_f32 v176, v137, v90 :: v_dual_mul_f32 v177, v139, v92
	s_delay_alu instid0(VALU_DEP_4) | instskip(SKIP_2) | instid1(VALU_DEP_3)
	v_add_f32_e32 v73, v74, v73
	v_fmac_f32_e32 v4, v126, v77
	v_dual_mul_f32 v178, v141, v94 :: v_dual_mul_f32 v179, v143, v96
	v_dual_fmac_f32 v176, v138, v89 :: v_dual_add_f32 v73, v73, v75
	s_delay_alu instid0(VALU_DEP_3) | instskip(SKIP_1) | instid1(VALU_DEP_4)
	v_dual_add_f32 v1, v1, v4 :: v_dual_mul_f32 v2, v130, v82
	v_mul_f32_e32 v4, v132, v84
	v_dual_fmac_f32 v179, v144, v95 :: v_dual_fmac_f32 v178, v142, v93
	s_delay_alu instid0(VALU_DEP_3) | instskip(NEXT) | instid1(VALU_DEP_4)
	v_add_f32_e32 v1, v1, v171
	v_fma_f32 v2, v129, v81, -v2
	v_mul_f32_e32 v74, v134, v86
	v_fma_f32 v4, v131, v83, -v4
	v_dual_mul_f32 v180, v145, v98 :: v_dual_mul_f32 v181, v147, v100
	s_delay_alu instid0(VALU_DEP_4) | instskip(SKIP_2) | instid1(VALU_DEP_3)
	v_dual_add_f32 v2, v73, v2 :: v_dual_mul_f32 v73, v136, v88
	v_add_f32_e32 v1, v1, v172
	v_fma_f32 v74, v133, v85, -v74
	v_dual_fmac_f32 v177, v140, v91 :: v_dual_add_f32 v2, v2, v4
	s_delay_alu instid0(VALU_DEP_4) | instskip(NEXT) | instid1(VALU_DEP_4)
	v_fma_f32 v73, v135, v87, -v73
	v_add_f32_e32 v1, v1, v173
	v_dual_mul_f32 v182, v149, v102 :: v_dual_mul_f32 v183, v151, v104
	s_delay_alu instid0(VALU_DEP_4) | instskip(NEXT) | instid1(VALU_DEP_3)
	v_add_f32_e32 v2, v2, v74
	v_dual_mul_f32 v74, v140, v92 :: v_dual_add_f32 v1, v1, v174
	v_mul_f32_e32 v4, v138, v90
	s_delay_alu instid0(VALU_DEP_4) | instskip(NEXT) | instid1(VALU_DEP_3)
	v_dual_fmac_f32 v180, v146, v97 :: v_dual_fmac_f32 v183, v152, v103
	v_fma_f32 v74, v139, v91, -v74
	s_delay_alu instid0(VALU_DEP_4) | instskip(NEXT) | instid1(VALU_DEP_4)
	v_add_f32_e32 v1, v1, v175
	v_fma_f32 v4, v137, v89, -v4
	v_add_f32_e32 v2, v2, v73
	v_mul_f32_e32 v73, v142, v94
	v_fmac_f32_e32 v181, v148, v99
	v_add_f32_e32 v1, v1, v176
	v_dual_mul_f32 v184, v153, v106 :: v_dual_mul_f32 v185, v155, v108
	v_add_f32_e32 v2, v2, v4
	v_mul_f32_e32 v4, v144, v96
	v_fma_f32 v73, v141, v93, -v73
	v_add_f32_e32 v1, v1, v177
	v_fmac_f32_e32 v182, v150, v101
	v_add_f32_e32 v2, v2, v74
	v_mul_f32_e32 v74, v146, v98
	v_fma_f32 v4, v143, v95, -v4
	v_dual_fmac_f32 v184, v154, v105 :: v_dual_fmac_f32 v185, v156, v107
	s_delay_alu instid0(VALU_DEP_4) | instskip(SKIP_3) | instid1(VALU_DEP_4)
	v_dual_add_f32 v2, v2, v73 :: v_dual_mul_f32 v73, v148, v100
	v_add_f32_e32 v1, v1, v178
	v_fma_f32 v74, v145, v97, -v74
	v_dual_mul_f32 v186, v157, v110 :: v_dual_mul_f32 v187, v159, v112
	v_fma_f32 v73, v147, v99, -v73
	s_delay_alu instid0(VALU_DEP_4) | instskip(SKIP_2) | instid1(VALU_DEP_3)
	v_add_f32_e32 v1, v1, v179
	v_dual_mul_f32 v188, v161, v114 :: v_dual_mul_f32 v189, v163, v116
	v_fmac_f32_e32 v190, v166, v117
	v_dual_fmac_f32 v186, v158, v109 :: v_dual_add_f32 v1, v1, v180
	v_add_f32_e32 v2, v2, v4
	s_delay_alu instid0(VALU_DEP_4) | instskip(SKIP_1) | instid1(VALU_DEP_3)
	v_dual_fmac_f32 v188, v162, v113 :: v_dual_fmac_f32 v187, v160, v111
	v_fmac_f32_e32 v189, v164, v115
	v_dual_add_f32 v1, v1, v181 :: v_dual_add_f32 v2, v2, v74
	v_mul_f32_e32 v74, v152, v104
	v_fmac_f32_e32 v191, v168, v119
	s_delay_alu instid0(VALU_DEP_3) | instskip(SKIP_3) | instid1(VALU_DEP_4)
	v_dual_add_f32 v1, v1, v182 :: v_dual_add_f32 v2, v2, v73
	v_mul_f32_e32 v4, v150, v102
	v_mul_f32_e32 v73, v154, v106
	v_fma_f32 v74, v151, v103, -v74
	v_add_f32_e32 v1, v1, v183
	s_delay_alu instid0(VALU_DEP_4) | instskip(NEXT) | instid1(VALU_DEP_4)
	v_fma_f32 v4, v149, v101, -v4
	v_fma_f32 v73, v153, v105, -v73
	s_delay_alu instid0(VALU_DEP_3) | instskip(NEXT) | instid1(VALU_DEP_1)
	v_add_f32_e32 v1, v1, v184
	v_dual_add_f32 v2, v2, v4 :: v_dual_add_f32 v1, v1, v185
	v_mul_f32_e32 v4, v156, v108
	s_delay_alu instid0(VALU_DEP_2) | instskip(NEXT) | instid1(VALU_DEP_3)
	v_add_f32_e32 v2, v2, v74
	v_add_f32_e32 v1, v1, v186
	v_mul_f32_e32 v74, v158, v110
	s_delay_alu instid0(VALU_DEP_4) | instskip(NEXT) | instid1(VALU_DEP_4)
	v_fma_f32 v4, v155, v107, -v4
	v_dual_add_f32 v2, v2, v73 :: v_dual_mul_f32 v73, v160, v112
	s_delay_alu instid0(VALU_DEP_4) | instskip(NEXT) | instid1(VALU_DEP_4)
	v_add_f32_e32 v1, v1, v187
	v_fma_f32 v74, v157, v109, -v74
	s_delay_alu instid0(VALU_DEP_3) | instskip(NEXT) | instid1(VALU_DEP_3)
	v_fma_f32 v73, v159, v111, -v73
	v_add_f32_e32 v1, v1, v188
	v_add_f32_e32 v2, v2, v4
	s_delay_alu instid0(VALU_DEP_2) | instskip(NEXT) | instid1(VALU_DEP_2)
	v_dual_mul_f32 v4, v162, v114 :: v_dual_add_f32 v1, v1, v189
	v_add_f32_e32 v2, v2, v74
	v_mul_f32_e32 v74, v164, v116
	s_delay_alu instid0(VALU_DEP_3) | instskip(NEXT) | instid1(VALU_DEP_3)
	v_fma_f32 v4, v161, v113, -v4
	v_dual_add_f32 v1, v1, v190 :: v_dual_add_f32 v2, v2, v73
	v_mul_f32_e32 v73, v166, v118
	s_delay_alu instid0(VALU_DEP_4) | instskip(NEXT) | instid1(VALU_DEP_3)
	v_fma_f32 v74, v163, v115, -v74
	v_add_f32_e32 v2, v2, v4
	v_mul_f32_e32 v4, v168, v120
	s_delay_alu instid0(VALU_DEP_4) | instskip(NEXT) | instid1(VALU_DEP_3)
	v_fma_f32 v73, v165, v117, -v73
	v_add_f32_e32 v2, v2, v74
	s_delay_alu instid0(VALU_DEP_3) | instskip(NEXT) | instid1(VALU_DEP_2)
	v_fma_f32 v4, v167, v119, -v4
	v_add_f32_e32 v2, v2, v73
	s_delay_alu instid0(VALU_DEP_1) | instskip(SKIP_2) | instid1(VALU_DEP_1)
	v_add_f32_e32 v2, v2, v4
	v_add_f32_e32 v4, v1, v191
	s_wait_loadcnt 0x0
	v_dual_sub_f32 v1, v169, v2 :: v_dual_sub_f32 v2, v170, v4
	scratch_store_b64 off, v[1:2], off offset:72
	v_cmpx_lt_u32_e32 8, v0
	s_cbranch_execz .LBB33_201
; %bb.200:
	scratch_load_b64 v[1:2], off, off offset:64
	v_mov_b32_e32 v73, 0
	s_delay_alu instid0(VALU_DEP_1)
	v_mov_b32_e32 v74, v73
	scratch_store_b64 off, v[73:74], off offset:64
	s_wait_loadcnt 0x0
	ds_store_b64 v3, v[1:2]
.LBB33_201:
	s_wait_alu 0xfffe
	s_or_b32 exec_lo, exec_lo, s0
	s_wait_storecnt_dscnt 0x0
	s_barrier_signal -1
	s_barrier_wait -1
	global_inv scope:SCOPE_SE
	s_clause 0xd
	scratch_load_b128 v[73:76], off, off offset:72
	scratch_load_b128 v[77:80], off, off offset:88
	;; [unrolled: 1-line block ×12, first 2 shown]
	scratch_load_b64 v[169:170], off, off offset:264
	scratch_load_b64 v[171:172], off, off offset:64
	v_mov_b32_e32 v1, 0
	ds_load_2addr_b64 v[121:124], v1 offset0:43 offset1:44
	ds_load_2addr_b64 v[125:128], v1 offset0:45 offset1:46
	;; [unrolled: 1-line block ×12, first 2 shown]
	ds_load_b64 v[173:174], v1 offset:536
	s_mov_b32 s0, exec_lo
	s_wait_loadcnt_dscnt 0xd0c
	v_mul_f32_e32 v2, v121, v74
	v_mul_f32_e32 v74, v122, v74
	s_wait_loadcnt_dscnt 0xc0b
	v_dual_mul_f32 v4, v123, v76 :: v_dual_mul_f32 v175, v125, v78
	v_mul_f32_e32 v76, v124, v76
	s_wait_loadcnt_dscnt 0xb0a
	v_dual_mul_f32 v176, v127, v80 :: v_dual_mul_f32 v177, v129, v82
	v_fma_f32 v74, v121, v73, -v74
	v_fmac_f32_e32 v2, v122, v73
	v_dual_mul_f32 v73, v126, v78 :: v_dual_fmac_f32 v4, v124, v75
	v_fmac_f32_e32 v175, v126, v77
	v_fma_f32 v75, v123, v75, -v76
	v_dual_add_f32 v74, 0, v74 :: v_dual_fmac_f32 v177, v130, v81
	v_mul_f32_e32 v76, v128, v80
	v_fma_f32 v73, v125, v77, -v73
	s_wait_loadcnt_dscnt 0x908
	v_dual_mul_f32 v180, v135, v88 :: v_dual_mul_f32 v181, v137, v90
	v_add_f32_e32 v74, v74, v75
	v_add_f32_e32 v2, 0, v2
	v_fma_f32 v75, v127, v79, -v76
	s_wait_loadcnt_dscnt 0x807
	v_dual_mul_f32 v182, v139, v92 :: v_dual_mul_f32 v183, v141, v94
	v_add_f32_e32 v73, v74, v73
	v_add_f32_e32 v2, v2, v4
	v_mul_f32_e32 v4, v130, v82
	v_dual_mul_f32 v74, v132, v84 :: v_dual_fmac_f32 v181, v138, v89
	s_delay_alu instid0(VALU_DEP_4) | instskip(SKIP_1) | instid1(VALU_DEP_4)
	v_add_f32_e32 v73, v73, v75
	v_mul_f32_e32 v75, v134, v86
	v_fma_f32 v4, v129, v81, -v4
	s_delay_alu instid0(VALU_DEP_4)
	v_fma_f32 v74, v131, v83, -v74
	s_wait_loadcnt_dscnt 0x706
	v_dual_mul_f32 v184, v143, v96 :: v_dual_mul_f32 v185, v145, v98
	v_fma_f32 v75, v133, v85, -v75
	v_dual_add_f32 v4, v73, v4 :: v_dual_fmac_f32 v183, v142, v93
	v_mul_f32_e32 v73, v136, v88
	s_wait_loadcnt_dscnt 0x605
	v_dual_mul_f32 v186, v147, v100 :: v_dual_mul_f32 v187, v149, v102
	s_delay_alu instid0(VALU_DEP_3) | instskip(SKIP_3) | instid1(VALU_DEP_4)
	v_dual_add_f32 v4, v4, v74 :: v_dual_fmac_f32 v185, v146, v97
	v_mul_f32_e32 v74, v138, v90
	v_fma_f32 v73, v135, v87, -v73
	v_dual_mul_f32 v178, v131, v84 :: v_dual_mul_f32 v179, v133, v86
	v_dual_add_f32 v4, v4, v75 :: v_dual_fmac_f32 v187, v150, v101
	v_mul_f32_e32 v75, v140, v92
	v_fma_f32 v74, v137, v89, -v74
	s_wait_loadcnt_dscnt 0x403
	v_dual_mul_f32 v190, v155, v108 :: v_dual_mul_f32 v191, v157, v110
	v_add_f32_e32 v4, v4, v73
	v_dual_fmac_f32 v178, v132, v83 :: v_dual_mul_f32 v73, v142, v94
	v_fma_f32 v75, v139, v91, -v75
	s_wait_loadcnt_dscnt 0x302
	v_dual_mul_f32 v192, v159, v112 :: v_dual_mul_f32 v193, v161, v114
	v_dual_add_f32 v4, v4, v74 :: v_dual_fmac_f32 v191, v158, v109
	v_mul_f32_e32 v74, v144, v96
	v_fma_f32 v73, v141, v93, -v73
	v_fmac_f32_e32 v180, v136, v87
	s_delay_alu instid0(VALU_DEP_4)
	v_dual_add_f32 v4, v4, v75 :: v_dual_fmac_f32 v193, v162, v113
	v_mul_f32_e32 v75, v146, v98
	v_fma_f32 v74, v143, v95, -v74
	s_wait_loadcnt_dscnt 0x201
	v_dual_mul_f32 v194, v163, v116 :: v_dual_mul_f32 v195, v165, v118
	v_add_f32_e32 v4, v4, v73
	v_mul_f32_e32 v73, v148, v100
	v_fma_f32 v75, v145, v97, -v75
	v_add_f32_e32 v2, v2, v175
	s_delay_alu instid0(VALU_DEP_4) | instskip(SKIP_3) | instid1(VALU_DEP_4)
	v_dual_fmac_f32 v195, v166, v117 :: v_dual_add_f32 v4, v4, v74
	v_mul_f32_e32 v74, v150, v102
	v_fma_f32 v73, v147, v99, -v73
	v_dual_fmac_f32 v176, v128, v79 :: v_dual_fmac_f32 v179, v134, v85
	v_add_f32_e32 v4, v4, v75
	v_mul_f32_e32 v75, v152, v104
	v_fma_f32 v74, v149, v101, -v74
	s_delay_alu instid0(VALU_DEP_4) | instskip(SKIP_3) | instid1(VALU_DEP_4)
	v_add_f32_e32 v2, v2, v176
	v_dual_mul_f32 v188, v151, v104 :: v_dual_mul_f32 v189, v153, v106
	v_dual_add_f32 v4, v4, v73 :: v_dual_mul_f32 v73, v154, v106
	v_fma_f32 v75, v151, v103, -v75
	v_add_f32_e32 v2, v2, v177
	s_delay_alu instid0(VALU_DEP_4) | instskip(NEXT) | instid1(VALU_DEP_4)
	v_dual_fmac_f32 v182, v140, v91 :: v_dual_fmac_f32 v189, v154, v105
	v_add_f32_e32 v4, v4, v74
	v_mul_f32_e32 v74, v156, v108
	v_fma_f32 v73, v153, v105, -v73
	v_fmac_f32_e32 v184, v144, v95
	s_wait_loadcnt_dscnt 0x100
	v_dual_mul_f32 v196, v167, v120 :: v_dual_mul_f32 v197, v173, v170
	v_dual_add_f32 v4, v4, v75 :: v_dual_mul_f32 v75, v158, v110
	v_fma_f32 v74, v155, v107, -v74
	s_delay_alu instid0(VALU_DEP_3) | instskip(NEXT) | instid1(VALU_DEP_3)
	v_dual_fmac_f32 v186, v148, v99 :: v_dual_fmac_f32 v197, v174, v169
	v_add_f32_e32 v4, v4, v73
	v_dual_mul_f32 v73, v160, v112 :: v_dual_add_f32 v2, v2, v178
	v_fma_f32 v75, v157, v109, -v75
	v_fmac_f32_e32 v188, v152, v103
	s_delay_alu instid0(VALU_DEP_4) | instskip(NEXT) | instid1(VALU_DEP_4)
	v_add_f32_e32 v4, v4, v74
	v_fma_f32 v73, v159, v111, -v73
	v_fmac_f32_e32 v190, v156, v107
	v_mul_f32_e32 v74, v162, v114
	v_fmac_f32_e32 v192, v160, v111
	v_add_f32_e32 v4, v4, v75
	v_dual_mul_f32 v75, v164, v116 :: v_dual_add_f32 v2, v2, v179
	s_delay_alu instid0(VALU_DEP_4) | instskip(SKIP_1) | instid1(VALU_DEP_4)
	v_fma_f32 v74, v161, v113, -v74
	v_fmac_f32_e32 v194, v164, v115
	v_dual_add_f32 v4, v4, v73 :: v_dual_mul_f32 v73, v166, v118
	s_delay_alu instid0(VALU_DEP_4) | instskip(SKIP_2) | instid1(VALU_DEP_4)
	v_add_f32_e32 v2, v2, v180
	v_fma_f32 v75, v163, v115, -v75
	v_fmac_f32_e32 v196, v168, v119
	v_add_f32_e32 v4, v4, v74
	v_mul_f32_e32 v74, v168, v120
	v_add_f32_e32 v2, v2, v181
	v_fma_f32 v73, v165, v117, -v73
	s_delay_alu instid0(VALU_DEP_4) | instskip(NEXT) | instid1(VALU_DEP_3)
	v_dual_add_f32 v4, v4, v75 :: v_dual_mul_f32 v75, v174, v170
	v_add_f32_e32 v2, v2, v182
	v_fma_f32 v74, v167, v119, -v74
	s_delay_alu instid0(VALU_DEP_3) | instskip(NEXT) | instid1(VALU_DEP_4)
	v_add_f32_e32 v4, v4, v73
	v_fma_f32 v73, v173, v169, -v75
	s_delay_alu instid0(VALU_DEP_4) | instskip(NEXT) | instid1(VALU_DEP_3)
	v_add_f32_e32 v2, v2, v183
	v_add_f32_e32 v4, v4, v74
	s_delay_alu instid0(VALU_DEP_2) | instskip(NEXT) | instid1(VALU_DEP_2)
	v_add_f32_e32 v2, v2, v184
	v_add_f32_e32 v4, v4, v73
	s_wait_loadcnt 0x0
	s_delay_alu instid0(VALU_DEP_1) | instskip(NEXT) | instid1(VALU_DEP_1)
	v_dual_add_f32 v2, v2, v185 :: v_dual_sub_f32 v73, v171, v4
	v_add_f32_e32 v2, v2, v186
	s_delay_alu instid0(VALU_DEP_1) | instskip(NEXT) | instid1(VALU_DEP_1)
	v_add_f32_e32 v2, v2, v187
	v_add_f32_e32 v2, v2, v188
	s_delay_alu instid0(VALU_DEP_1) | instskip(NEXT) | instid1(VALU_DEP_1)
	v_add_f32_e32 v2, v2, v189
	;; [unrolled: 3-line block ×6, first 2 shown]
	v_sub_f32_e32 v74, v172, v2
	scratch_store_b64 off, v[73:74], off offset:64
	v_cmpx_lt_u32_e32 7, v0
	s_cbranch_execz .LBB33_203
; %bb.202:
	scratch_load_b64 v[73:74], off, off offset:56
	v_mov_b32_e32 v2, v1
	scratch_store_b64 off, v[1:2], off offset:56
	s_wait_loadcnt 0x0
	ds_store_b64 v3, v[73:74]
.LBB33_203:
	s_wait_alu 0xfffe
	s_or_b32 exec_lo, exec_lo, s0
	s_wait_storecnt_dscnt 0x0
	s_barrier_signal -1
	s_barrier_wait -1
	global_inv scope:SCOPE_SE
	s_clause 0xd
	scratch_load_b128 v[73:76], off, off offset:64
	scratch_load_b128 v[77:80], off, off offset:80
	scratch_load_b128 v[81:84], off, off offset:96
	scratch_load_b128 v[85:88], off, off offset:112
	scratch_load_b128 v[89:92], off, off offset:128
	scratch_load_b128 v[93:96], off, off offset:144
	scratch_load_b128 v[97:100], off, off offset:160
	scratch_load_b128 v[101:104], off, off offset:176
	scratch_load_b128 v[105:108], off, off offset:192
	scratch_load_b128 v[109:112], off, off offset:208
	scratch_load_b128 v[113:116], off, off offset:224
	scratch_load_b128 v[117:120], off, off offset:240
	scratch_load_b128 v[121:124], off, off offset:256
	scratch_load_b64 v[177:178], off, off offset:56
	ds_load_b128 v[125:128], v1 offset:336
	ds_load_b128 v[129:132], v1 offset:352
	;; [unrolled: 1-line block ×13, first 2 shown]
	s_mov_b32 s0, exec_lo
	s_wait_loadcnt_dscnt 0xd0c
	v_dual_mul_f32 v1, v125, v74 :: v_dual_mul_f32 v2, v127, v76
	v_mul_f32_e32 v74, v126, v74
	v_mul_f32_e32 v76, v128, v76
	s_wait_loadcnt_dscnt 0xc0b
	v_dual_mul_f32 v4, v129, v78 :: v_dual_mul_f32 v179, v131, v80
	s_wait_loadcnt_dscnt 0xb0a
	v_dual_mul_f32 v180, v133, v82 :: v_dual_mul_f32 v181, v135, v84
	v_dual_fmac_f32 v1, v126, v73 :: v_dual_fmac_f32 v2, v128, v75
	s_wait_loadcnt_dscnt 0xa09
	v_dual_mul_f32 v182, v137, v86 :: v_dual_mul_f32 v183, v139, v88
	s_wait_loadcnt_dscnt 0x100
	v_dual_mul_f32 v200, v173, v122 :: v_dual_mul_f32 v201, v175, v124
	v_fma_f32 v74, v125, v73, -v74
	v_mul_f32_e32 v73, v130, v78
	v_fma_f32 v75, v127, v75, -v76
	v_dual_add_f32 v1, 0, v1 :: v_dual_mul_f32 v76, v132, v80
	s_delay_alu instid0(VALU_DEP_4) | instskip(NEXT) | instid1(VALU_DEP_4)
	v_dual_add_f32 v74, 0, v74 :: v_dual_fmac_f32 v179, v132, v79
	v_fma_f32 v73, v129, v77, -v73
	s_delay_alu instid0(VALU_DEP_3) | instskip(SKIP_1) | instid1(VALU_DEP_4)
	v_dual_add_f32 v1, v1, v2 :: v_dual_fmac_f32 v180, v134, v81
	v_fmac_f32_e32 v181, v136, v83
	v_add_f32_e32 v74, v74, v75
	v_fma_f32 v75, v131, v79, -v76
	v_dual_fmac_f32 v182, v138, v85 :: v_dual_fmac_f32 v183, v140, v87
	v_dual_mul_f32 v184, v141, v90 :: v_dual_mul_f32 v185, v143, v92
	s_delay_alu instid0(VALU_DEP_4) | instskip(SKIP_2) | instid1(VALU_DEP_3)
	v_add_f32_e32 v73, v74, v73
	v_fmac_f32_e32 v4, v130, v77
	v_dual_mul_f32 v186, v145, v94 :: v_dual_mul_f32 v187, v147, v96
	v_dual_fmac_f32 v184, v142, v89 :: v_dual_add_f32 v73, v73, v75
	s_delay_alu instid0(VALU_DEP_3) | instskip(SKIP_1) | instid1(VALU_DEP_4)
	v_dual_add_f32 v1, v1, v4 :: v_dual_mul_f32 v2, v134, v82
	v_mul_f32_e32 v4, v136, v84
	v_dual_fmac_f32 v187, v148, v95 :: v_dual_fmac_f32 v186, v146, v93
	s_delay_alu instid0(VALU_DEP_3) | instskip(NEXT) | instid1(VALU_DEP_4)
	v_add_f32_e32 v1, v1, v179
	v_fma_f32 v2, v133, v81, -v2
	v_mul_f32_e32 v74, v138, v86
	v_fma_f32 v4, v135, v83, -v4
	v_dual_mul_f32 v188, v149, v98 :: v_dual_mul_f32 v189, v151, v100
	s_delay_alu instid0(VALU_DEP_4) | instskip(SKIP_2) | instid1(VALU_DEP_3)
	v_dual_add_f32 v2, v73, v2 :: v_dual_mul_f32 v73, v140, v88
	v_add_f32_e32 v1, v1, v180
	v_fma_f32 v74, v137, v85, -v74
	v_dual_fmac_f32 v185, v144, v91 :: v_dual_add_f32 v2, v2, v4
	s_delay_alu instid0(VALU_DEP_4) | instskip(NEXT) | instid1(VALU_DEP_4)
	v_fma_f32 v73, v139, v87, -v73
	v_add_f32_e32 v1, v1, v181
	v_dual_mul_f32 v190, v153, v102 :: v_dual_mul_f32 v191, v155, v104
	s_delay_alu instid0(VALU_DEP_4) | instskip(NEXT) | instid1(VALU_DEP_3)
	v_add_f32_e32 v2, v2, v74
	v_dual_mul_f32 v74, v144, v92 :: v_dual_add_f32 v1, v1, v182
	v_mul_f32_e32 v4, v142, v90
	s_delay_alu instid0(VALU_DEP_4) | instskip(NEXT) | instid1(VALU_DEP_3)
	v_dual_fmac_f32 v188, v150, v97 :: v_dual_fmac_f32 v191, v156, v103
	v_fma_f32 v74, v143, v91, -v74
	s_delay_alu instid0(VALU_DEP_4) | instskip(NEXT) | instid1(VALU_DEP_4)
	v_add_f32_e32 v1, v1, v183
	v_fma_f32 v4, v141, v89, -v4
	v_add_f32_e32 v2, v2, v73
	v_mul_f32_e32 v73, v146, v94
	v_fmac_f32_e32 v189, v152, v99
	v_add_f32_e32 v1, v1, v184
	v_dual_mul_f32 v192, v157, v106 :: v_dual_mul_f32 v193, v159, v108
	v_add_f32_e32 v2, v2, v4
	v_mul_f32_e32 v4, v148, v96
	v_fma_f32 v73, v145, v93, -v73
	v_add_f32_e32 v1, v1, v185
	v_fmac_f32_e32 v192, v158, v105
	v_add_f32_e32 v2, v2, v74
	v_mul_f32_e32 v74, v150, v98
	v_fma_f32 v4, v147, v95, -v4
	v_fmac_f32_e32 v190, v154, v101
	v_dual_mul_f32 v194, v161, v110 :: v_dual_mul_f32 v195, v163, v112
	v_dual_add_f32 v2, v2, v73 :: v_dual_mul_f32 v73, v152, v100
	v_add_f32_e32 v1, v1, v186
	v_fma_f32 v74, v149, v97, -v74
	v_dual_fmac_f32 v193, v160, v107 :: v_dual_mul_f32 v196, v165, v114
	v_mul_f32_e32 v197, v167, v116
	s_delay_alu instid0(VALU_DEP_4) | instskip(SKIP_2) | instid1(VALU_DEP_3)
	v_add_f32_e32 v1, v1, v187
	v_fma_f32 v73, v151, v99, -v73
	v_dual_mul_f32 v198, v169, v118 :: v_dual_mul_f32 v199, v171, v120
	v_dual_fmac_f32 v200, v174, v121 :: v_dual_add_f32 v1, v1, v188
	v_add_f32_e32 v2, v2, v4
	v_fmac_f32_e32 v194, v162, v109
	s_delay_alu instid0(VALU_DEP_4) | instskip(SKIP_1) | instid1(VALU_DEP_4)
	v_fmac_f32_e32 v198, v170, v117
	v_fmac_f32_e32 v196, v166, v113
	v_dual_add_f32 v1, v1, v189 :: v_dual_add_f32 v2, v2, v74
	v_mul_f32_e32 v74, v156, v104
	v_fmac_f32_e32 v195, v164, v111
	v_fmac_f32_e32 v197, v168, v115
	s_delay_alu instid0(VALU_DEP_4) | instskip(SKIP_3) | instid1(VALU_DEP_4)
	v_dual_add_f32 v1, v1, v190 :: v_dual_add_f32 v2, v2, v73
	v_mul_f32_e32 v4, v154, v102
	v_mul_f32_e32 v73, v158, v106
	v_fma_f32 v74, v155, v103, -v74
	v_add_f32_e32 v1, v1, v191
	v_fmac_f32_e32 v199, v172, v119
	v_fma_f32 v4, v153, v101, -v4
	v_fma_f32 v73, v157, v105, -v73
	v_fmac_f32_e32 v201, v176, v123
	v_add_f32_e32 v1, v1, v192
	s_delay_alu instid0(VALU_DEP_1) | instskip(SKIP_1) | instid1(VALU_DEP_2)
	v_dual_add_f32 v2, v2, v4 :: v_dual_add_f32 v1, v1, v193
	v_mul_f32_e32 v4, v160, v108
	v_add_f32_e32 v2, v2, v74
	s_delay_alu instid0(VALU_DEP_3) | instskip(SKIP_1) | instid1(VALU_DEP_4)
	v_add_f32_e32 v1, v1, v194
	v_mul_f32_e32 v74, v162, v110
	v_fma_f32 v4, v159, v107, -v4
	s_delay_alu instid0(VALU_DEP_4) | instskip(NEXT) | instid1(VALU_DEP_4)
	v_dual_add_f32 v2, v2, v73 :: v_dual_mul_f32 v73, v164, v112
	v_add_f32_e32 v1, v1, v195
	s_delay_alu instid0(VALU_DEP_4) | instskip(NEXT) | instid1(VALU_DEP_3)
	v_fma_f32 v74, v161, v109, -v74
	v_fma_f32 v73, v163, v111, -v73
	s_delay_alu instid0(VALU_DEP_3) | instskip(SKIP_1) | instid1(VALU_DEP_2)
	v_add_f32_e32 v1, v1, v196
	v_add_f32_e32 v2, v2, v4
	v_dual_mul_f32 v4, v166, v114 :: v_dual_add_f32 v1, v1, v197
	s_delay_alu instid0(VALU_DEP_2) | instskip(SKIP_1) | instid1(VALU_DEP_3)
	v_add_f32_e32 v2, v2, v74
	v_mul_f32_e32 v74, v168, v116
	v_fma_f32 v4, v165, v113, -v4
	s_delay_alu instid0(VALU_DEP_3) | instskip(SKIP_1) | instid1(VALU_DEP_4)
	v_dual_add_f32 v1, v1, v198 :: v_dual_add_f32 v2, v2, v73
	v_mul_f32_e32 v73, v170, v118
	v_fma_f32 v74, v167, v115, -v74
	s_delay_alu instid0(VALU_DEP_3) | instskip(SKIP_1) | instid1(VALU_DEP_4)
	v_dual_add_f32 v1, v1, v199 :: v_dual_add_f32 v2, v2, v4
	;; [unrolled: 4-line block ×3, first 2 shown]
	v_mul_f32_e32 v74, v174, v122
	v_fma_f32 v4, v171, v119, -v4
	s_delay_alu instid0(VALU_DEP_3) | instskip(NEXT) | instid1(VALU_DEP_3)
	v_dual_add_f32 v2, v2, v73 :: v_dual_mul_f32 v73, v176, v124
	v_fma_f32 v74, v173, v121, -v74
	s_delay_alu instid0(VALU_DEP_2) | instskip(NEXT) | instid1(VALU_DEP_3)
	v_add_f32_e32 v2, v2, v4
	v_fma_f32 v4, v175, v123, -v73
	s_delay_alu instid0(VALU_DEP_2) | instskip(NEXT) | instid1(VALU_DEP_1)
	v_add_f32_e32 v2, v2, v74
	v_add_f32_e32 v2, v2, v4
	;; [unrolled: 1-line block ×3, first 2 shown]
	s_wait_loadcnt 0x0
	s_delay_alu instid0(VALU_DEP_1)
	v_dual_sub_f32 v1, v177, v2 :: v_dual_sub_f32 v2, v178, v4
	scratch_store_b64 off, v[1:2], off offset:56
	v_cmpx_lt_u32_e32 6, v0
	s_cbranch_execz .LBB33_205
; %bb.204:
	scratch_load_b64 v[1:2], off, off offset:48
	v_mov_b32_e32 v73, 0
	s_delay_alu instid0(VALU_DEP_1)
	v_mov_b32_e32 v74, v73
	scratch_store_b64 off, v[73:74], off offset:48
	s_wait_loadcnt 0x0
	ds_store_b64 v3, v[1:2]
.LBB33_205:
	s_wait_alu 0xfffe
	s_or_b32 exec_lo, exec_lo, s0
	s_wait_storecnt_dscnt 0x0
	s_barrier_signal -1
	s_barrier_wait -1
	global_inv scope:SCOPE_SE
	s_clause 0xe
	scratch_load_b128 v[73:76], off, off offset:56
	scratch_load_b128 v[77:80], off, off offset:72
	;; [unrolled: 1-line block ×13, first 2 shown]
	scratch_load_b64 v[177:178], off, off offset:264
	scratch_load_b64 v[179:180], off, off offset:48
	v_mov_b32_e32 v1, 0
	ds_load_2addr_b64 v[125:128], v1 offset0:41 offset1:42
	ds_load_2addr_b64 v[129:132], v1 offset0:43 offset1:44
	;; [unrolled: 1-line block ×13, first 2 shown]
	ds_load_b64 v[181:182], v1 offset:536
	s_mov_b32 s0, exec_lo
	s_wait_loadcnt_dscnt 0xe0d
	v_mul_f32_e32 v2, v125, v74
	v_mul_f32_e32 v74, v126, v74
	s_wait_loadcnt_dscnt 0xd0c
	v_dual_mul_f32 v4, v127, v76 :: v_dual_mul_f32 v183, v129, v78
	v_mul_f32_e32 v76, v128, v76
	s_wait_loadcnt_dscnt 0xc0b
	v_dual_mul_f32 v184, v131, v80 :: v_dual_mul_f32 v185, v133, v82
	v_fma_f32 v74, v125, v73, -v74
	v_fmac_f32_e32 v2, v126, v73
	v_dual_mul_f32 v73, v130, v78 :: v_dual_fmac_f32 v4, v128, v75
	v_fmac_f32_e32 v183, v130, v77
	v_fma_f32 v75, v127, v75, -v76
	v_dual_add_f32 v74, 0, v74 :: v_dual_fmac_f32 v185, v134, v81
	v_mul_f32_e32 v76, v132, v80
	v_fma_f32 v73, v129, v77, -v73
	s_wait_loadcnt_dscnt 0xa09
	v_dual_mul_f32 v188, v139, v88 :: v_dual_mul_f32 v189, v141, v90
	v_add_f32_e32 v74, v74, v75
	v_add_f32_e32 v2, 0, v2
	v_fma_f32 v75, v131, v79, -v76
	s_wait_loadcnt_dscnt 0x908
	v_dual_mul_f32 v190, v143, v92 :: v_dual_mul_f32 v191, v145, v94
	v_add_f32_e32 v73, v74, v73
	v_add_f32_e32 v2, v2, v4
	v_mul_f32_e32 v4, v134, v82
	v_dual_mul_f32 v74, v136, v84 :: v_dual_fmac_f32 v189, v142, v89
	s_delay_alu instid0(VALU_DEP_4) | instskip(SKIP_1) | instid1(VALU_DEP_4)
	v_add_f32_e32 v73, v73, v75
	v_mul_f32_e32 v75, v138, v86
	v_fma_f32 v4, v133, v81, -v4
	s_delay_alu instid0(VALU_DEP_4)
	v_fma_f32 v74, v135, v83, -v74
	s_wait_loadcnt_dscnt 0x807
	v_dual_mul_f32 v192, v147, v96 :: v_dual_mul_f32 v193, v149, v98
	v_fma_f32 v75, v137, v85, -v75
	v_dual_add_f32 v4, v73, v4 :: v_dual_fmac_f32 v191, v146, v93
	v_mul_f32_e32 v73, v140, v88
	s_wait_loadcnt_dscnt 0x706
	v_dual_mul_f32 v194, v151, v100 :: v_dual_mul_f32 v195, v153, v102
	s_delay_alu instid0(VALU_DEP_3) | instskip(SKIP_3) | instid1(VALU_DEP_4)
	v_dual_add_f32 v4, v4, v74 :: v_dual_fmac_f32 v193, v150, v97
	v_mul_f32_e32 v74, v142, v90
	v_fma_f32 v73, v139, v87, -v73
	v_dual_mul_f32 v186, v135, v84 :: v_dual_mul_f32 v187, v137, v86
	v_dual_add_f32 v4, v4, v75 :: v_dual_fmac_f32 v195, v154, v101
	v_mul_f32_e32 v75, v144, v92
	v_fma_f32 v74, v141, v89, -v74
	s_wait_loadcnt_dscnt 0x504
	v_dual_mul_f32 v198, v159, v108 :: v_dual_mul_f32 v199, v161, v110
	v_add_f32_e32 v4, v4, v73
	v_dual_fmac_f32 v186, v136, v83 :: v_dual_mul_f32 v73, v146, v94
	v_fma_f32 v75, v143, v91, -v75
	s_wait_loadcnt_dscnt 0x403
	v_dual_mul_f32 v200, v163, v112 :: v_dual_mul_f32 v201, v165, v114
	v_dual_add_f32 v4, v4, v74 :: v_dual_fmac_f32 v199, v162, v109
	v_mul_f32_e32 v74, v148, v96
	v_fma_f32 v73, v145, v93, -v73
	v_fmac_f32_e32 v188, v140, v87
	s_delay_alu instid0(VALU_DEP_4)
	v_dual_add_f32 v4, v4, v75 :: v_dual_fmac_f32 v201, v166, v113
	v_mul_f32_e32 v75, v150, v98
	v_fma_f32 v74, v147, v95, -v74
	s_wait_loadcnt_dscnt 0x302
	v_dual_mul_f32 v202, v167, v116 :: v_dual_mul_f32 v203, v169, v118
	v_add_f32_e32 v4, v4, v73
	v_mul_f32_e32 v73, v152, v100
	v_fma_f32 v75, v149, v97, -v75
	s_wait_loadcnt_dscnt 0x100
	v_dual_mul_f32 v206, v175, v124 :: v_dual_mul_f32 v207, v181, v178
	v_dual_add_f32 v4, v4, v74 :: v_dual_fmac_f32 v203, v170, v117
	v_mul_f32_e32 v74, v154, v102
	v_fma_f32 v73, v151, v99, -v73
	v_add_f32_e32 v2, v2, v183
	s_delay_alu instid0(VALU_DEP_4) | instskip(SKIP_3) | instid1(VALU_DEP_4)
	v_dual_add_f32 v4, v4, v75 :: v_dual_fmac_f32 v207, v182, v177
	v_mul_f32_e32 v75, v156, v104
	v_fma_f32 v74, v153, v101, -v74
	v_dual_fmac_f32 v184, v132, v79 :: v_dual_fmac_f32 v187, v138, v85
	v_dual_add_f32 v4, v4, v73 :: v_dual_mul_f32 v73, v158, v106
	s_delay_alu instid0(VALU_DEP_4) | instskip(NEXT) | instid1(VALU_DEP_3)
	v_fma_f32 v75, v155, v103, -v75
	v_add_f32_e32 v2, v2, v184
	v_fmac_f32_e32 v192, v148, v95
	s_delay_alu instid0(VALU_DEP_4)
	v_add_f32_e32 v4, v4, v74
	v_mul_f32_e32 v74, v160, v108
	v_fma_f32 v73, v157, v105, -v73
	v_add_f32_e32 v2, v2, v185
	v_dual_mul_f32 v196, v155, v104 :: v_dual_mul_f32 v197, v157, v106
	v_dual_add_f32 v4, v4, v75 :: v_dual_mul_f32 v75, v162, v110
	v_fma_f32 v74, v159, v107, -v74
	s_delay_alu instid0(VALU_DEP_3) | instskip(NEXT) | instid1(VALU_DEP_3)
	v_dual_fmac_f32 v190, v144, v91 :: v_dual_fmac_f32 v197, v158, v105
	v_add_f32_e32 v4, v4, v73
	v_mul_f32_e32 v73, v164, v112
	v_fma_f32 v75, v161, v109, -v75
	v_add_f32_e32 v2, v2, v186
	v_dual_mul_f32 v204, v171, v120 :: v_dual_mul_f32 v205, v173, v122
	v_add_f32_e32 v4, v4, v74
	v_mul_f32_e32 v74, v166, v114
	v_fma_f32 v73, v163, v111, -v73
	s_delay_alu instid0(VALU_DEP_4) | instskip(NEXT) | instid1(VALU_DEP_4)
	v_dual_fmac_f32 v194, v152, v99 :: v_dual_fmac_f32 v205, v174, v121
	v_add_f32_e32 v4, v4, v75
	v_mul_f32_e32 v75, v168, v116
	v_fma_f32 v74, v165, v113, -v74
	v_fmac_f32_e32 v196, v156, v103
	v_fmac_f32_e32 v198, v160, v107
	v_dual_add_f32 v4, v4, v73 :: v_dual_mul_f32 v73, v170, v118
	v_fma_f32 v75, v167, v115, -v75
	v_fmac_f32_e32 v200, v164, v111
	v_fmac_f32_e32 v202, v168, v115
	s_delay_alu instid0(VALU_DEP_4)
	v_add_f32_e32 v4, v4, v74
	v_mul_f32_e32 v74, v172, v120
	v_fma_f32 v73, v169, v117, -v73
	v_fmac_f32_e32 v204, v172, v119
	v_fmac_f32_e32 v206, v176, v123
	v_dual_add_f32 v4, v4, v75 :: v_dual_mul_f32 v75, v174, v122
	v_fma_f32 v74, v171, v119, -v74
	s_delay_alu instid0(VALU_DEP_2) | instskip(SKIP_1) | instid1(VALU_DEP_4)
	v_add_f32_e32 v4, v4, v73
	v_mul_f32_e32 v73, v176, v124
	v_fma_f32 v75, v173, v121, -v75
	s_delay_alu instid0(VALU_DEP_3) | instskip(SKIP_1) | instid1(VALU_DEP_4)
	v_add_f32_e32 v4, v4, v74
	v_mul_f32_e32 v74, v182, v178
	v_fma_f32 v73, v175, v123, -v73
	s_delay_alu instid0(VALU_DEP_3) | instskip(NEXT) | instid1(VALU_DEP_3)
	v_add_f32_e32 v4, v4, v75
	v_fma_f32 v74, v181, v177, -v74
	s_delay_alu instid0(VALU_DEP_2) | instskip(NEXT) | instid1(VALU_DEP_1)
	v_add_f32_e32 v4, v4, v73
	v_add_f32_e32 v4, v4, v74
	s_wait_loadcnt 0x0
	s_delay_alu instid0(VALU_DEP_1) | instskip(NEXT) | instid1(VALU_DEP_1)
	v_dual_add_f32 v2, v2, v187 :: v_dual_sub_f32 v73, v179, v4
	v_add_f32_e32 v2, v2, v188
	s_delay_alu instid0(VALU_DEP_1) | instskip(NEXT) | instid1(VALU_DEP_1)
	v_add_f32_e32 v2, v2, v189
	v_add_f32_e32 v2, v2, v190
	s_delay_alu instid0(VALU_DEP_1) | instskip(NEXT) | instid1(VALU_DEP_1)
	v_add_f32_e32 v2, v2, v191
	;; [unrolled: 3-line block ×10, first 2 shown]
	v_sub_f32_e32 v74, v180, v2
	scratch_store_b64 off, v[73:74], off offset:48
	v_cmpx_lt_u32_e32 5, v0
	s_cbranch_execz .LBB33_207
; %bb.206:
	scratch_load_b64 v[73:74], off, off offset:40
	v_mov_b32_e32 v2, v1
	scratch_store_b64 off, v[1:2], off offset:40
	s_wait_loadcnt 0x0
	ds_store_b64 v3, v[73:74]
.LBB33_207:
	s_wait_alu 0xfffe
	s_or_b32 exec_lo, exec_lo, s0
	s_wait_storecnt_dscnt 0x0
	s_barrier_signal -1
	s_barrier_wait -1
	global_inv scope:SCOPE_SE
	s_clause 0xe
	scratch_load_b128 v[73:76], off, off offset:48
	scratch_load_b128 v[77:80], off, off offset:64
	;; [unrolled: 1-line block ×14, first 2 shown]
	scratch_load_b64 v[185:186], off, off offset:40
	ds_load_b128 v[129:132], v1 offset:320
	ds_load_b128 v[133:136], v1 offset:336
	;; [unrolled: 1-line block ×14, first 2 shown]
	s_mov_b32 s0, exec_lo
	s_wait_loadcnt_dscnt 0xe0d
	v_dual_mul_f32 v1, v129, v74 :: v_dual_mul_f32 v2, v131, v76
	v_mul_f32_e32 v74, v130, v74
	v_mul_f32_e32 v76, v132, v76
	s_wait_loadcnt_dscnt 0xd0c
	v_dual_mul_f32 v4, v133, v78 :: v_dual_mul_f32 v187, v135, v80
	s_wait_loadcnt_dscnt 0xc0b
	v_dual_mul_f32 v188, v137, v82 :: v_dual_mul_f32 v189, v139, v84
	;; [unrolled: 2-line block ×3, first 2 shown]
	v_dual_fmac_f32 v1, v130, v73 :: v_dual_fmac_f32 v2, v132, v75
	s_delay_alu instid0(VALU_DEP_3)
	v_dual_fmac_f32 v188, v138, v81 :: v_dual_fmac_f32 v189, v140, v83
	s_wait_loadcnt_dscnt 0x100
	v_dual_mul_f32 v210, v181, v126 :: v_dual_mul_f32 v211, v183, v128
	v_fma_f32 v74, v129, v73, -v74
	v_mul_f32_e32 v73, v134, v78
	v_fma_f32 v75, v131, v75, -v76
	v_dual_add_f32 v1, 0, v1 :: v_dual_mul_f32 v76, v136, v80
	s_delay_alu instid0(VALU_DEP_4) | instskip(NEXT) | instid1(VALU_DEP_4)
	v_dual_add_f32 v74, 0, v74 :: v_dual_fmac_f32 v187, v136, v79
	v_fma_f32 v73, v133, v77, -v73
	s_delay_alu instid0(VALU_DEP_3) | instskip(SKIP_1) | instid1(VALU_DEP_4)
	v_dual_add_f32 v1, v1, v2 :: v_dual_fmac_f32 v190, v142, v85
	v_fmac_f32_e32 v191, v144, v87
	v_add_f32_e32 v74, v74, v75
	v_fma_f32 v75, v135, v79, -v76
	v_dual_mul_f32 v192, v145, v90 :: v_dual_mul_f32 v193, v147, v92
	v_dual_mul_f32 v194, v149, v94 :: v_dual_mul_f32 v195, v151, v96
	s_delay_alu instid0(VALU_DEP_4) | instskip(SKIP_1) | instid1(VALU_DEP_4)
	v_add_f32_e32 v73, v74, v73
	v_fmac_f32_e32 v4, v134, v77
	v_fmac_f32_e32 v192, v146, v89
	s_delay_alu instid0(VALU_DEP_4) | instskip(NEXT) | instid1(VALU_DEP_4)
	v_dual_fmac_f32 v194, v150, v93 :: v_dual_fmac_f32 v195, v152, v95
	v_add_f32_e32 v73, v73, v75
	s_delay_alu instid0(VALU_DEP_4) | instskip(SKIP_2) | instid1(VALU_DEP_3)
	v_dual_add_f32 v1, v1, v4 :: v_dual_mul_f32 v2, v138, v82
	v_mul_f32_e32 v4, v140, v84
	v_dual_mul_f32 v196, v153, v98 :: v_dual_mul_f32 v197, v155, v100
	v_add_f32_e32 v1, v1, v187
	s_delay_alu instid0(VALU_DEP_4) | instskip(SKIP_3) | instid1(VALU_DEP_4)
	v_fma_f32 v2, v137, v81, -v2
	v_mul_f32_e32 v74, v142, v86
	v_fma_f32 v4, v139, v83, -v4
	v_dual_mul_f32 v198, v157, v102 :: v_dual_mul_f32 v199, v159, v104
	v_dual_add_f32 v2, v73, v2 :: v_dual_mul_f32 v73, v144, v88
	v_add_f32_e32 v1, v1, v188
	v_fma_f32 v74, v141, v85, -v74
	s_delay_alu instid0(VALU_DEP_3) | instskip(NEXT) | instid1(VALU_DEP_4)
	v_dual_fmac_f32 v193, v148, v91 :: v_dual_add_f32 v2, v2, v4
	v_fma_f32 v73, v143, v87, -v73
	s_delay_alu instid0(VALU_DEP_4) | instskip(SKIP_1) | instid1(VALU_DEP_4)
	v_add_f32_e32 v1, v1, v189
	v_dual_fmac_f32 v196, v154, v97 :: v_dual_fmac_f32 v199, v160, v103
	v_add_f32_e32 v2, v2, v74
	s_delay_alu instid0(VALU_DEP_3) | instskip(SKIP_2) | instid1(VALU_DEP_3)
	v_dual_mul_f32 v74, v148, v92 :: v_dual_add_f32 v1, v1, v190
	v_dual_mul_f32 v4, v146, v90 :: v_dual_fmac_f32 v197, v156, v99
	v_dual_mul_f32 v200, v161, v106 :: v_dual_mul_f32 v201, v163, v108
	v_add_f32_e32 v1, v1, v191
	s_delay_alu instid0(VALU_DEP_3) | instskip(SKIP_4) | instid1(VALU_DEP_4)
	v_fma_f32 v4, v145, v89, -v4
	v_add_f32_e32 v2, v2, v73
	v_mul_f32_e32 v73, v150, v94
	v_fma_f32 v74, v147, v91, -v74
	v_dual_add_f32 v1, v1, v192 :: v_dual_fmac_f32 v200, v162, v105
	v_add_f32_e32 v2, v2, v4
	v_mul_f32_e32 v4, v152, v96
	v_fma_f32 v73, v149, v93, -v73
	s_delay_alu instid0(VALU_DEP_4)
	v_add_f32_e32 v1, v1, v193
	v_dual_mul_f32 v202, v165, v110 :: v_dual_mul_f32 v203, v167, v112
	v_add_f32_e32 v2, v2, v74
	v_mul_f32_e32 v74, v154, v98
	v_fma_f32 v4, v151, v95, -v4
	v_dual_fmac_f32 v198, v158, v101 :: v_dual_fmac_f32 v201, v164, v107
	s_delay_alu instid0(VALU_DEP_4) | instskip(SKIP_3) | instid1(VALU_DEP_4)
	v_dual_add_f32 v2, v2, v73 :: v_dual_mul_f32 v73, v156, v100
	v_add_f32_e32 v1, v1, v194
	v_fma_f32 v74, v153, v97, -v74
	v_dual_mul_f32 v204, v169, v114 :: v_dual_mul_f32 v205, v171, v116
	v_fma_f32 v73, v155, v99, -v73
	s_delay_alu instid0(VALU_DEP_4) | instskip(SKIP_2) | instid1(VALU_DEP_3)
	v_add_f32_e32 v1, v1, v195
	v_dual_mul_f32 v206, v173, v118 :: v_dual_mul_f32 v207, v175, v120
	v_dual_mul_f32 v208, v177, v122 :: v_dual_mul_f32 v209, v179, v124
	v_add_f32_e32 v1, v1, v196
	v_add_f32_e32 v2, v2, v4
	v_fmac_f32_e32 v202, v166, v109
	s_delay_alu instid0(VALU_DEP_4) | instskip(SKIP_1) | instid1(VALU_DEP_4)
	v_fmac_f32_e32 v208, v178, v121
	v_fmac_f32_e32 v206, v174, v117
	v_dual_add_f32 v1, v1, v197 :: v_dual_add_f32 v2, v2, v74
	v_mul_f32_e32 v74, v160, v104
	v_dual_fmac_f32 v203, v168, v111 :: v_dual_fmac_f32 v204, v170, v113
	s_delay_alu instid0(VALU_DEP_3) | instskip(SKIP_3) | instid1(VALU_DEP_4)
	v_dual_add_f32 v1, v1, v198 :: v_dual_add_f32 v2, v2, v73
	v_mul_f32_e32 v4, v158, v102
	v_mul_f32_e32 v73, v162, v106
	v_fma_f32 v74, v159, v103, -v74
	v_add_f32_e32 v1, v1, v199
	v_fmac_f32_e32 v205, v172, v115
	v_fma_f32 v4, v157, v101, -v4
	v_fma_f32 v73, v161, v105, -v73
	s_delay_alu instid0(VALU_DEP_4) | instskip(NEXT) | instid1(VALU_DEP_3)
	v_dual_fmac_f32 v210, v182, v125 :: v_dual_add_f32 v1, v1, v200
	v_dual_fmac_f32 v207, v176, v119 :: v_dual_add_f32 v2, v2, v4
	v_fmac_f32_e32 v209, v180, v123
	v_fmac_f32_e32 v211, v184, v127
	s_delay_alu instid0(VALU_DEP_4) | instskip(NEXT) | instid1(VALU_DEP_4)
	v_dual_add_f32 v1, v1, v201 :: v_dual_mul_f32 v4, v164, v108
	v_add_f32_e32 v2, v2, v74
	s_delay_alu instid0(VALU_DEP_2) | instskip(SKIP_1) | instid1(VALU_DEP_4)
	v_add_f32_e32 v1, v1, v202
	v_mul_f32_e32 v74, v166, v110
	v_fma_f32 v4, v163, v107, -v4
	s_delay_alu instid0(VALU_DEP_4) | instskip(NEXT) | instid1(VALU_DEP_4)
	v_dual_add_f32 v2, v2, v73 :: v_dual_mul_f32 v73, v168, v112
	v_add_f32_e32 v1, v1, v203
	s_delay_alu instid0(VALU_DEP_4) | instskip(NEXT) | instid1(VALU_DEP_3)
	v_fma_f32 v74, v165, v109, -v74
	v_fma_f32 v73, v167, v111, -v73
	s_delay_alu instid0(VALU_DEP_3) | instskip(SKIP_1) | instid1(VALU_DEP_2)
	v_add_f32_e32 v1, v1, v204
	v_add_f32_e32 v2, v2, v4
	v_dual_mul_f32 v4, v170, v114 :: v_dual_add_f32 v1, v1, v205
	s_delay_alu instid0(VALU_DEP_2) | instskip(SKIP_1) | instid1(VALU_DEP_3)
	v_add_f32_e32 v2, v2, v74
	v_mul_f32_e32 v74, v172, v116
	v_fma_f32 v4, v169, v113, -v4
	s_delay_alu instid0(VALU_DEP_3) | instskip(SKIP_1) | instid1(VALU_DEP_4)
	v_dual_add_f32 v1, v1, v206 :: v_dual_add_f32 v2, v2, v73
	v_mul_f32_e32 v73, v174, v118
	v_fma_f32 v74, v171, v115, -v74
	s_delay_alu instid0(VALU_DEP_3) | instskip(NEXT) | instid1(VALU_DEP_3)
	v_dual_add_f32 v1, v1, v207 :: v_dual_add_f32 v2, v2, v4
	v_fma_f32 v73, v173, v117, -v73
	s_delay_alu instid0(VALU_DEP_2) | instskip(SKIP_1) | instid1(VALU_DEP_4)
	v_add_f32_e32 v1, v1, v208
	v_mul_f32_e32 v4, v176, v120
	v_add_f32_e32 v2, v2, v74
	s_delay_alu instid0(VALU_DEP_3) | instskip(NEXT) | instid1(VALU_DEP_3)
	v_dual_mul_f32 v74, v178, v122 :: v_dual_add_f32 v1, v1, v209
	v_fma_f32 v4, v175, v119, -v4
	s_delay_alu instid0(VALU_DEP_3) | instskip(NEXT) | instid1(VALU_DEP_3)
	v_dual_add_f32 v2, v2, v73 :: v_dual_mul_f32 v73, v180, v124
	v_fma_f32 v74, v177, v121, -v74
	s_delay_alu instid0(VALU_DEP_2) | instskip(SKIP_1) | instid1(VALU_DEP_4)
	v_dual_add_f32 v1, v1, v210 :: v_dual_add_f32 v2, v2, v4
	v_mul_f32_e32 v4, v182, v126
	v_fma_f32 v73, v179, v123, -v73
	s_delay_alu instid0(VALU_DEP_3) | instskip(SKIP_1) | instid1(VALU_DEP_4)
	v_add_f32_e32 v2, v2, v74
	v_mul_f32_e32 v74, v184, v128
	v_fma_f32 v4, v181, v125, -v4
	s_delay_alu instid0(VALU_DEP_3) | instskip(NEXT) | instid1(VALU_DEP_3)
	v_add_f32_e32 v2, v2, v73
	v_fma_f32 v73, v183, v127, -v74
	s_delay_alu instid0(VALU_DEP_2) | instskip(SKIP_1) | instid1(VALU_DEP_2)
	v_add_f32_e32 v2, v2, v4
	v_add_f32_e32 v4, v1, v211
	;; [unrolled: 1-line block ×3, first 2 shown]
	s_wait_loadcnt 0x0
	s_delay_alu instid0(VALU_DEP_1)
	v_dual_sub_f32 v1, v185, v2 :: v_dual_sub_f32 v2, v186, v4
	scratch_store_b64 off, v[1:2], off offset:40
	v_cmpx_lt_u32_e32 4, v0
	s_cbranch_execz .LBB33_209
; %bb.208:
	scratch_load_b64 v[1:2], off, off offset:32
	v_mov_b32_e32 v73, 0
	s_delay_alu instid0(VALU_DEP_1)
	v_mov_b32_e32 v74, v73
	scratch_store_b64 off, v[73:74], off offset:32
	s_wait_loadcnt 0x0
	ds_store_b64 v3, v[1:2]
.LBB33_209:
	s_wait_alu 0xfffe
	s_or_b32 exec_lo, exec_lo, s0
	s_wait_storecnt_dscnt 0x0
	s_barrier_signal -1
	s_barrier_wait -1
	global_inv scope:SCOPE_SE
	s_clause 0xf
	scratch_load_b128 v[73:76], off, off offset:40
	scratch_load_b128 v[77:80], off, off offset:56
	;; [unrolled: 1-line block ×14, first 2 shown]
	scratch_load_b64 v[185:186], off, off offset:264
	scratch_load_b64 v[187:188], off, off offset:32
	v_mov_b32_e32 v1, 0
	ds_load_2addr_b64 v[129:132], v1 offset0:39 offset1:40
	ds_load_2addr_b64 v[133:136], v1 offset0:41 offset1:42
	;; [unrolled: 1-line block ×14, first 2 shown]
	ds_load_b64 v[189:190], v1 offset:536
	s_mov_b32 s0, exec_lo
	s_wait_loadcnt_dscnt 0xf0e
	v_mul_f32_e32 v2, v129, v74
	v_mul_f32_e32 v74, v130, v74
	s_wait_loadcnt_dscnt 0xe0d
	v_dual_mul_f32 v4, v131, v76 :: v_dual_mul_f32 v191, v133, v78
	v_mul_f32_e32 v76, v132, v76
	s_wait_loadcnt_dscnt 0xd0c
	v_dual_mul_f32 v192, v135, v80 :: v_dual_mul_f32 v193, v137, v82
	v_fma_f32 v74, v129, v73, -v74
	v_fmac_f32_e32 v2, v130, v73
	v_dual_mul_f32 v73, v134, v78 :: v_dual_fmac_f32 v4, v132, v75
	v_fmac_f32_e32 v191, v134, v77
	v_fma_f32 v75, v131, v75, -v76
	v_dual_add_f32 v74, 0, v74 :: v_dual_fmac_f32 v193, v138, v81
	v_mul_f32_e32 v76, v136, v80
	v_fma_f32 v73, v133, v77, -v73
	s_wait_loadcnt_dscnt 0xb0a
	v_dual_mul_f32 v196, v143, v88 :: v_dual_mul_f32 v197, v145, v90
	v_add_f32_e32 v74, v74, v75
	v_add_f32_e32 v2, 0, v2
	v_fma_f32 v75, v135, v79, -v76
	s_wait_loadcnt_dscnt 0xa09
	v_dual_mul_f32 v198, v147, v92 :: v_dual_mul_f32 v199, v149, v94
	v_add_f32_e32 v73, v74, v73
	v_add_f32_e32 v2, v2, v4
	v_mul_f32_e32 v4, v138, v82
	v_dual_mul_f32 v74, v140, v84 :: v_dual_fmac_f32 v197, v146, v89
	s_delay_alu instid0(VALU_DEP_4) | instskip(SKIP_1) | instid1(VALU_DEP_4)
	v_add_f32_e32 v73, v73, v75
	v_mul_f32_e32 v75, v142, v86
	v_fma_f32 v4, v137, v81, -v4
	s_delay_alu instid0(VALU_DEP_4)
	v_fma_f32 v74, v139, v83, -v74
	s_wait_loadcnt_dscnt 0x908
	v_dual_mul_f32 v200, v151, v96 :: v_dual_mul_f32 v201, v153, v98
	v_fma_f32 v75, v141, v85, -v75
	v_dual_add_f32 v4, v73, v4 :: v_dual_fmac_f32 v199, v150, v93
	v_mul_f32_e32 v73, v144, v88
	s_wait_loadcnt_dscnt 0x807
	v_dual_mul_f32 v202, v155, v100 :: v_dual_mul_f32 v203, v157, v102
	s_delay_alu instid0(VALU_DEP_3) | instskip(SKIP_3) | instid1(VALU_DEP_4)
	v_dual_add_f32 v4, v4, v74 :: v_dual_fmac_f32 v201, v154, v97
	v_mul_f32_e32 v74, v146, v90
	v_fma_f32 v73, v143, v87, -v73
	v_dual_mul_f32 v194, v139, v84 :: v_dual_mul_f32 v195, v141, v86
	v_dual_add_f32 v4, v4, v75 :: v_dual_fmac_f32 v203, v158, v101
	v_mul_f32_e32 v75, v148, v92
	v_fma_f32 v74, v145, v89, -v74
	s_wait_loadcnt_dscnt 0x605
	v_dual_mul_f32 v206, v163, v108 :: v_dual_mul_f32 v207, v165, v110
	v_add_f32_e32 v4, v4, v73
	v_dual_fmac_f32 v194, v140, v83 :: v_dual_mul_f32 v73, v150, v94
	v_fma_f32 v75, v147, v91, -v75
	s_wait_loadcnt_dscnt 0x504
	v_dual_mul_f32 v208, v167, v112 :: v_dual_mul_f32 v209, v169, v114
	v_dual_add_f32 v4, v4, v74 :: v_dual_fmac_f32 v207, v166, v109
	v_mul_f32_e32 v74, v152, v96
	v_fma_f32 v73, v149, v93, -v73
	v_fmac_f32_e32 v196, v144, v87
	s_delay_alu instid0(VALU_DEP_4)
	v_dual_add_f32 v4, v4, v75 :: v_dual_fmac_f32 v209, v170, v113
	v_mul_f32_e32 v75, v154, v98
	v_fma_f32 v74, v151, v95, -v74
	s_wait_loadcnt_dscnt 0x403
	v_dual_mul_f32 v210, v171, v116 :: v_dual_mul_f32 v211, v173, v118
	v_add_f32_e32 v4, v4, v73
	v_mul_f32_e32 v73, v156, v100
	v_fma_f32 v75, v153, v97, -v75
	s_wait_loadcnt_dscnt 0x201
	v_dual_mul_f32 v214, v179, v124 :: v_dual_mul_f32 v215, v181, v126
	v_dual_add_f32 v4, v4, v74 :: v_dual_fmac_f32 v211, v174, v117
	v_mul_f32_e32 v74, v158, v102
	v_fma_f32 v73, v155, v99, -v73
	v_add_f32_e32 v2, v2, v191
	s_delay_alu instid0(VALU_DEP_4) | instskip(SKIP_3) | instid1(VALU_DEP_4)
	v_dual_add_f32 v4, v4, v75 :: v_dual_fmac_f32 v215, v182, v125
	v_mul_f32_e32 v75, v160, v104
	v_fma_f32 v74, v157, v101, -v74
	v_dual_fmac_f32 v192, v136, v79 :: v_dual_fmac_f32 v195, v142, v85
	v_dual_add_f32 v4, v4, v73 :: v_dual_mul_f32 v73, v162, v106
	s_delay_alu instid0(VALU_DEP_4) | instskip(NEXT) | instid1(VALU_DEP_3)
	v_fma_f32 v75, v159, v103, -v75
	v_add_f32_e32 v2, v2, v192
	v_fmac_f32_e32 v200, v152, v95
	s_delay_alu instid0(VALU_DEP_4)
	v_add_f32_e32 v4, v4, v74
	v_mul_f32_e32 v74, v164, v108
	v_fma_f32 v73, v161, v105, -v73
	v_add_f32_e32 v2, v2, v193
	v_dual_mul_f32 v204, v159, v104 :: v_dual_mul_f32 v205, v161, v106
	v_dual_add_f32 v4, v4, v75 :: v_dual_mul_f32 v75, v166, v110
	v_fma_f32 v74, v163, v107, -v74
	s_delay_alu instid0(VALU_DEP_3) | instskip(NEXT) | instid1(VALU_DEP_3)
	v_dual_fmac_f32 v198, v148, v91 :: v_dual_fmac_f32 v205, v162, v105
	v_add_f32_e32 v4, v4, v73
	v_mul_f32_e32 v73, v168, v112
	v_fma_f32 v75, v165, v109, -v75
	v_add_f32_e32 v2, v2, v194
	v_dual_mul_f32 v212, v175, v120 :: v_dual_mul_f32 v213, v177, v122
	v_add_f32_e32 v4, v4, v74
	v_mul_f32_e32 v74, v170, v114
	v_fma_f32 v73, v167, v111, -v73
	s_delay_alu instid0(VALU_DEP_4) | instskip(NEXT) | instid1(VALU_DEP_4)
	v_dual_fmac_f32 v202, v156, v99 :: v_dual_fmac_f32 v213, v178, v121
	v_add_f32_e32 v4, v4, v75
	v_mul_f32_e32 v75, v172, v116
	v_fma_f32 v74, v169, v113, -v74
	v_add_f32_e32 v2, v2, v195
	s_wait_loadcnt_dscnt 0x100
	v_dual_mul_f32 v216, v183, v128 :: v_dual_mul_f32 v217, v189, v186
	v_dual_add_f32 v4, v4, v73 :: v_dual_mul_f32 v73, v174, v118
	v_fma_f32 v75, v171, v115, -v75
	s_delay_alu instid0(VALU_DEP_3) | instskip(NEXT) | instid1(VALU_DEP_3)
	v_dual_fmac_f32 v204, v160, v103 :: v_dual_fmac_f32 v217, v190, v185
	v_add_f32_e32 v4, v4, v74
	v_mul_f32_e32 v74, v176, v120
	v_fma_f32 v73, v173, v117, -v73
	v_fmac_f32_e32 v206, v164, v107
	v_fmac_f32_e32 v208, v168, v111
	v_dual_add_f32 v4, v4, v75 :: v_dual_mul_f32 v75, v178, v122
	v_fma_f32 v74, v175, v119, -v74
	v_fmac_f32_e32 v210, v172, v115
	v_fmac_f32_e32 v212, v176, v119
	s_delay_alu instid0(VALU_DEP_4)
	v_add_f32_e32 v4, v4, v73
	v_mul_f32_e32 v73, v180, v124
	v_fma_f32 v75, v177, v121, -v75
	v_fmac_f32_e32 v214, v180, v123
	v_fmac_f32_e32 v216, v184, v127
	v_add_f32_e32 v4, v4, v74
	v_mul_f32_e32 v74, v182, v126
	v_fma_f32 v73, v179, v123, -v73
	s_delay_alu instid0(VALU_DEP_3) | instskip(SKIP_1) | instid1(VALU_DEP_4)
	v_add_f32_e32 v4, v4, v75
	v_mul_f32_e32 v75, v184, v128
	v_fma_f32 v74, v181, v125, -v74
	v_add_f32_e32 v2, v2, v196
	s_delay_alu instid0(VALU_DEP_4) | instskip(NEXT) | instid1(VALU_DEP_4)
	v_dual_add_f32 v4, v4, v73 :: v_dual_mul_f32 v73, v190, v186
	v_fma_f32 v75, v183, v127, -v75
	s_delay_alu instid0(VALU_DEP_2) | instskip(NEXT) | instid1(VALU_DEP_3)
	v_add_f32_e32 v4, v4, v74
	v_fma_f32 v73, v189, v185, -v73
	s_delay_alu instid0(VALU_DEP_2) | instskip(NEXT) | instid1(VALU_DEP_1)
	v_add_f32_e32 v4, v4, v75
	v_add_f32_e32 v4, v4, v73
	s_wait_loadcnt 0x0
	s_delay_alu instid0(VALU_DEP_1) | instskip(NEXT) | instid1(VALU_DEP_1)
	v_dual_add_f32 v2, v2, v197 :: v_dual_sub_f32 v73, v187, v4
	v_add_f32_e32 v2, v2, v198
	s_delay_alu instid0(VALU_DEP_1) | instskip(NEXT) | instid1(VALU_DEP_1)
	v_add_f32_e32 v2, v2, v199
	v_add_f32_e32 v2, v2, v200
	s_delay_alu instid0(VALU_DEP_1) | instskip(NEXT) | instid1(VALU_DEP_1)
	v_add_f32_e32 v2, v2, v201
	;; [unrolled: 3-line block ×10, first 2 shown]
	v_sub_f32_e32 v74, v188, v2
	scratch_store_b64 off, v[73:74], off offset:32
	v_cmpx_lt_u32_e32 3, v0
	s_cbranch_execz .LBB33_211
; %bb.210:
	scratch_load_b64 v[73:74], off, off offset:24
	v_mov_b32_e32 v2, v1
	scratch_store_b64 off, v[1:2], off offset:24
	s_wait_loadcnt 0x0
	ds_store_b64 v3, v[73:74]
.LBB33_211:
	s_wait_alu 0xfffe
	s_or_b32 exec_lo, exec_lo, s0
	s_wait_storecnt_dscnt 0x0
	s_barrier_signal -1
	s_barrier_wait -1
	global_inv scope:SCOPE_SE
	s_clause 0xf
	scratch_load_b128 v[73:76], off, off offset:32
	scratch_load_b128 v[77:80], off, off offset:48
	scratch_load_b128 v[81:84], off, off offset:64
	scratch_load_b128 v[85:88], off, off offset:80
	scratch_load_b128 v[89:92], off, off offset:96
	scratch_load_b128 v[93:96], off, off offset:112
	scratch_load_b128 v[97:100], off, off offset:128
	scratch_load_b128 v[101:104], off, off offset:144
	scratch_load_b128 v[105:108], off, off offset:160
	scratch_load_b128 v[109:112], off, off offset:176
	scratch_load_b128 v[113:116], off, off offset:192
	scratch_load_b128 v[117:120], off, off offset:208
	scratch_load_b128 v[121:124], off, off offset:224
	scratch_load_b128 v[125:128], off, off offset:240
	scratch_load_b128 v[129:132], off, off offset:256
	scratch_load_b64 v[193:194], off, off offset:24
	ds_load_b128 v[133:136], v1 offset:304
	ds_load_b128 v[137:140], v1 offset:320
	;; [unrolled: 1-line block ×15, first 2 shown]
	s_mov_b32 s0, exec_lo
	s_wait_loadcnt_dscnt 0xf0e
	v_dual_mul_f32 v1, v133, v74 :: v_dual_mul_f32 v2, v135, v76
	v_mul_f32_e32 v74, v134, v74
	v_mul_f32_e32 v76, v136, v76
	s_wait_loadcnt_dscnt 0xe0d
	v_dual_mul_f32 v4, v137, v78 :: v_dual_mul_f32 v195, v139, v80
	s_wait_loadcnt_dscnt 0xd0c
	v_dual_mul_f32 v196, v141, v82 :: v_dual_mul_f32 v197, v143, v84
	;; [unrolled: 2-line block ×3, first 2 shown]
	v_dual_fmac_f32 v1, v134, v73 :: v_dual_fmac_f32 v2, v136, v75
	s_delay_alu instid0(VALU_DEP_3)
	v_dual_fmac_f32 v196, v142, v81 :: v_dual_fmac_f32 v197, v144, v83
	s_wait_loadcnt_dscnt 0x100
	v_dual_mul_f32 v220, v189, v130 :: v_dual_mul_f32 v221, v191, v132
	v_fma_f32 v74, v133, v73, -v74
	v_mul_f32_e32 v73, v138, v78
	v_fma_f32 v75, v135, v75, -v76
	v_dual_add_f32 v1, 0, v1 :: v_dual_mul_f32 v76, v140, v80
	s_delay_alu instid0(VALU_DEP_4) | instskip(NEXT) | instid1(VALU_DEP_4)
	v_dual_add_f32 v74, 0, v74 :: v_dual_fmac_f32 v195, v140, v79
	v_fma_f32 v73, v137, v77, -v73
	s_delay_alu instid0(VALU_DEP_3) | instskip(SKIP_1) | instid1(VALU_DEP_4)
	v_dual_add_f32 v1, v1, v2 :: v_dual_fmac_f32 v198, v146, v85
	v_fmac_f32_e32 v199, v148, v87
	v_add_f32_e32 v74, v74, v75
	v_fma_f32 v75, v139, v79, -v76
	v_dual_mul_f32 v200, v149, v90 :: v_dual_mul_f32 v201, v151, v92
	v_dual_mul_f32 v202, v153, v94 :: v_dual_mul_f32 v203, v155, v96
	s_delay_alu instid0(VALU_DEP_4) | instskip(SKIP_1) | instid1(VALU_DEP_4)
	v_add_f32_e32 v73, v74, v73
	v_fmac_f32_e32 v4, v138, v77
	v_fmac_f32_e32 v200, v150, v89
	s_delay_alu instid0(VALU_DEP_4) | instskip(NEXT) | instid1(VALU_DEP_4)
	v_dual_fmac_f32 v202, v154, v93 :: v_dual_fmac_f32 v203, v156, v95
	v_add_f32_e32 v73, v73, v75
	s_delay_alu instid0(VALU_DEP_4) | instskip(SKIP_2) | instid1(VALU_DEP_3)
	v_dual_add_f32 v1, v1, v4 :: v_dual_mul_f32 v2, v142, v82
	v_mul_f32_e32 v4, v144, v84
	v_dual_mul_f32 v204, v157, v98 :: v_dual_mul_f32 v205, v159, v100
	v_add_f32_e32 v1, v1, v195
	s_delay_alu instid0(VALU_DEP_4) | instskip(SKIP_3) | instid1(VALU_DEP_4)
	v_fma_f32 v2, v141, v81, -v2
	v_mul_f32_e32 v74, v146, v86
	v_fma_f32 v4, v143, v83, -v4
	v_dual_mul_f32 v206, v161, v102 :: v_dual_mul_f32 v207, v163, v104
	v_dual_add_f32 v2, v73, v2 :: v_dual_mul_f32 v73, v148, v88
	v_add_f32_e32 v1, v1, v196
	v_fma_f32 v74, v145, v85, -v74
	s_delay_alu instid0(VALU_DEP_3) | instskip(NEXT) | instid1(VALU_DEP_4)
	v_dual_fmac_f32 v201, v152, v91 :: v_dual_add_f32 v2, v2, v4
	v_fma_f32 v73, v147, v87, -v73
	s_delay_alu instid0(VALU_DEP_4) | instskip(SKIP_1) | instid1(VALU_DEP_4)
	v_add_f32_e32 v1, v1, v197
	v_dual_fmac_f32 v204, v158, v97 :: v_dual_fmac_f32 v207, v164, v103
	v_add_f32_e32 v2, v2, v74
	s_delay_alu instid0(VALU_DEP_3) | instskip(SKIP_2) | instid1(VALU_DEP_3)
	v_dual_mul_f32 v74, v152, v92 :: v_dual_add_f32 v1, v1, v198
	v_mul_f32_e32 v4, v150, v90
	v_dual_mul_f32 v208, v165, v106 :: v_dual_mul_f32 v209, v167, v108
	v_fma_f32 v74, v151, v91, -v74
	s_delay_alu instid0(VALU_DEP_4) | instskip(NEXT) | instid1(VALU_DEP_4)
	v_add_f32_e32 v1, v1, v199
	v_fma_f32 v4, v149, v89, -v4
	v_add_f32_e32 v2, v2, v73
	v_mul_f32_e32 v73, v154, v94
	v_fmac_f32_e32 v205, v160, v99
	v_dual_add_f32 v1, v1, v200 :: v_dual_fmac_f32 v208, v166, v105
	s_delay_alu instid0(VALU_DEP_4) | instskip(SKIP_2) | instid1(VALU_DEP_4)
	v_add_f32_e32 v2, v2, v4
	v_mul_f32_e32 v4, v156, v96
	v_fma_f32 v73, v153, v93, -v73
	v_add_f32_e32 v1, v1, v201
	v_dual_mul_f32 v210, v169, v110 :: v_dual_mul_f32 v211, v171, v112
	v_add_f32_e32 v2, v2, v74
	v_mul_f32_e32 v74, v158, v98
	v_fma_f32 v4, v155, v95, -v4
	v_fmac_f32_e32 v206, v162, v101
	v_dual_mul_f32 v212, v173, v114 :: v_dual_mul_f32 v213, v175, v116
	v_dual_add_f32 v2, v2, v73 :: v_dual_mul_f32 v73, v160, v100
	v_add_f32_e32 v1, v1, v202
	v_fma_f32 v74, v157, v97, -v74
	v_dual_fmac_f32 v209, v168, v107 :: v_dual_mul_f32 v214, v177, v118
	v_mul_f32_e32 v215, v179, v120
	s_delay_alu instid0(VALU_DEP_4) | instskip(SKIP_3) | instid1(VALU_DEP_4)
	v_add_f32_e32 v1, v1, v203
	v_fma_f32 v73, v159, v99, -v73
	v_dual_mul_f32 v216, v181, v122 :: v_dual_mul_f32 v217, v183, v124
	v_dual_mul_f32 v218, v185, v126 :: v_dual_mul_f32 v219, v187, v128
	v_add_f32_e32 v1, v1, v204
	v_add_f32_e32 v2, v2, v4
	v_fmac_f32_e32 v210, v170, v109
	v_fmac_f32_e32 v216, v182, v121
	;; [unrolled: 1-line block ×3, first 2 shown]
	s_delay_alu instid0(VALU_DEP_4) | instskip(SKIP_2) | instid1(VALU_DEP_3)
	v_dual_add_f32 v1, v1, v205 :: v_dual_add_f32 v2, v2, v74
	v_mul_f32_e32 v74, v164, v104
	v_dual_fmac_f32 v211, v172, v111 :: v_dual_fmac_f32 v212, v174, v113
	v_dual_add_f32 v1, v1, v206 :: v_dual_add_f32 v2, v2, v73
	v_mul_f32_e32 v4, v162, v102
	v_mul_f32_e32 v73, v166, v106
	v_fma_f32 v74, v163, v103, -v74
	s_delay_alu instid0(VALU_DEP_4) | instskip(SKIP_3) | instid1(VALU_DEP_4)
	v_add_f32_e32 v1, v1, v207
	v_fmac_f32_e32 v213, v176, v115
	v_fma_f32 v4, v161, v101, -v4
	v_fma_f32 v73, v165, v105, -v73
	v_dual_fmac_f32 v218, v186, v125 :: v_dual_add_f32 v1, v1, v208
	s_delay_alu instid0(VALU_DEP_3) | instskip(SKIP_1) | instid1(VALU_DEP_3)
	v_dual_fmac_f32 v215, v180, v119 :: v_dual_add_f32 v2, v2, v4
	v_dual_fmac_f32 v220, v190, v129 :: v_dual_fmac_f32 v217, v184, v123
	v_dual_add_f32 v1, v1, v209 :: v_dual_mul_f32 v4, v168, v108
	s_delay_alu instid0(VALU_DEP_3) | instskip(SKIP_1) | instid1(VALU_DEP_3)
	v_dual_add_f32 v2, v2, v74 :: v_dual_fmac_f32 v219, v188, v127
	v_fmac_f32_e32 v221, v192, v131
	v_add_f32_e32 v1, v1, v210
	v_mul_f32_e32 v74, v170, v110
	v_fma_f32 v4, v167, v107, -v4
	v_dual_add_f32 v2, v2, v73 :: v_dual_mul_f32 v73, v172, v112
	s_delay_alu instid0(VALU_DEP_4) | instskip(NEXT) | instid1(VALU_DEP_4)
	v_add_f32_e32 v1, v1, v211
	v_fma_f32 v74, v169, v109, -v74
	s_delay_alu instid0(VALU_DEP_3) | instskip(NEXT) | instid1(VALU_DEP_3)
	v_fma_f32 v73, v171, v111, -v73
	v_add_f32_e32 v1, v1, v212
	v_add_f32_e32 v2, v2, v4
	s_delay_alu instid0(VALU_DEP_2) | instskip(NEXT) | instid1(VALU_DEP_2)
	v_dual_mul_f32 v4, v174, v114 :: v_dual_add_f32 v1, v1, v213
	v_add_f32_e32 v2, v2, v74
	v_mul_f32_e32 v74, v176, v116
	s_delay_alu instid0(VALU_DEP_3) | instskip(NEXT) | instid1(VALU_DEP_3)
	v_fma_f32 v4, v173, v113, -v4
	v_dual_add_f32 v1, v1, v214 :: v_dual_add_f32 v2, v2, v73
	v_mul_f32_e32 v73, v178, v118
	s_delay_alu instid0(VALU_DEP_4) | instskip(NEXT) | instid1(VALU_DEP_3)
	v_fma_f32 v74, v175, v115, -v74
	v_dual_add_f32 v1, v1, v215 :: v_dual_add_f32 v2, v2, v4
	s_delay_alu instid0(VALU_DEP_3) | instskip(NEXT) | instid1(VALU_DEP_2)
	v_fma_f32 v73, v177, v117, -v73
	v_add_f32_e32 v1, v1, v216
	v_mul_f32_e32 v4, v180, v120
	s_delay_alu instid0(VALU_DEP_4) | instskip(NEXT) | instid1(VALU_DEP_3)
	v_add_f32_e32 v2, v2, v74
	v_dual_mul_f32 v74, v182, v122 :: v_dual_add_f32 v1, v1, v217
	s_delay_alu instid0(VALU_DEP_3) | instskip(NEXT) | instid1(VALU_DEP_3)
	v_fma_f32 v4, v179, v119, -v4
	v_dual_add_f32 v2, v2, v73 :: v_dual_mul_f32 v73, v184, v124
	s_delay_alu instid0(VALU_DEP_3) | instskip(NEXT) | instid1(VALU_DEP_2)
	v_fma_f32 v74, v181, v121, -v74
	v_dual_add_f32 v1, v1, v218 :: v_dual_add_f32 v2, v2, v4
	s_delay_alu instid0(VALU_DEP_3) | instskip(NEXT) | instid1(VALU_DEP_2)
	v_fma_f32 v73, v183, v123, -v73
	v_dual_add_f32 v1, v1, v219 :: v_dual_mul_f32 v4, v186, v126
	s_delay_alu instid0(VALU_DEP_3) | instskip(SKIP_1) | instid1(VALU_DEP_3)
	v_add_f32_e32 v2, v2, v74
	v_mul_f32_e32 v74, v188, v128
	v_add_f32_e32 v1, v1, v220
	s_delay_alu instid0(VALU_DEP_4) | instskip(NEXT) | instid1(VALU_DEP_4)
	v_fma_f32 v4, v185, v125, -v4
	v_add_f32_e32 v2, v2, v73
	v_mul_f32_e32 v73, v190, v130
	v_fma_f32 v74, v187, v127, -v74
	s_delay_alu instid0(VALU_DEP_3) | instskip(SKIP_1) | instid1(VALU_DEP_4)
	v_add_f32_e32 v2, v2, v4
	v_mul_f32_e32 v4, v192, v132
	v_fma_f32 v73, v189, v129, -v73
	s_delay_alu instid0(VALU_DEP_3) | instskip(NEXT) | instid1(VALU_DEP_3)
	v_add_f32_e32 v2, v2, v74
	v_fma_f32 v4, v191, v131, -v4
	s_delay_alu instid0(VALU_DEP_2) | instskip(NEXT) | instid1(VALU_DEP_1)
	v_add_f32_e32 v2, v2, v73
	v_add_f32_e32 v2, v2, v4
	;; [unrolled: 1-line block ×3, first 2 shown]
	s_wait_loadcnt 0x0
	s_delay_alu instid0(VALU_DEP_1)
	v_dual_sub_f32 v1, v193, v2 :: v_dual_sub_f32 v2, v194, v4
	scratch_store_b64 off, v[1:2], off offset:24
	v_cmpx_lt_u32_e32 2, v0
	s_cbranch_execz .LBB33_213
; %bb.212:
	scratch_load_b64 v[1:2], off, off offset:16
	v_mov_b32_e32 v73, 0
	s_delay_alu instid0(VALU_DEP_1)
	v_mov_b32_e32 v74, v73
	scratch_store_b64 off, v[73:74], off offset:16
	s_wait_loadcnt 0x0
	ds_store_b64 v3, v[1:2]
.LBB33_213:
	s_wait_alu 0xfffe
	s_or_b32 exec_lo, exec_lo, s0
	s_wait_storecnt_dscnt 0x0
	s_barrier_signal -1
	s_barrier_wait -1
	global_inv scope:SCOPE_SE
	s_clause 0x10
	scratch_load_b128 v[73:76], off, off offset:24
	scratch_load_b128 v[77:80], off, off offset:40
	;; [unrolled: 1-line block ×15, first 2 shown]
	scratch_load_b64 v[193:194], off, off offset:264
	scratch_load_b64 v[195:196], off, off offset:16
	v_mov_b32_e32 v1, 0
	ds_load_2addr_b64 v[133:136], v1 offset0:37 offset1:38
	ds_load_2addr_b64 v[137:140], v1 offset0:39 offset1:40
	;; [unrolled: 1-line block ×15, first 2 shown]
	ds_load_b64 v[197:198], v1 offset:536
	s_mov_b32 s0, exec_lo
	s_wait_loadcnt_dscnt 0x100f
	v_mul_f32_e32 v2, v133, v74
	v_mul_f32_e32 v74, v134, v74
	s_wait_loadcnt_dscnt 0xf0e
	v_dual_mul_f32 v4, v135, v76 :: v_dual_mul_f32 v199, v137, v78
	v_mul_f32_e32 v76, v136, v76
	s_wait_loadcnt_dscnt 0xe0d
	v_dual_mul_f32 v200, v139, v80 :: v_dual_mul_f32 v201, v141, v82
	v_fma_f32 v74, v133, v73, -v74
	v_fmac_f32_e32 v2, v134, v73
	v_dual_mul_f32 v73, v138, v78 :: v_dual_fmac_f32 v4, v136, v75
	v_fmac_f32_e32 v199, v138, v77
	v_fma_f32 v75, v135, v75, -v76
	v_dual_add_f32 v74, 0, v74 :: v_dual_fmac_f32 v201, v142, v81
	v_mul_f32_e32 v76, v140, v80
	v_fma_f32 v73, v137, v77, -v73
	s_wait_loadcnt_dscnt 0xc0b
	v_dual_mul_f32 v204, v147, v88 :: v_dual_mul_f32 v205, v149, v90
	v_add_f32_e32 v74, v74, v75
	v_add_f32_e32 v2, 0, v2
	v_fma_f32 v75, v139, v79, -v76
	s_wait_loadcnt_dscnt 0xb0a
	v_dual_mul_f32 v206, v151, v92 :: v_dual_mul_f32 v207, v153, v94
	v_add_f32_e32 v73, v74, v73
	v_add_f32_e32 v2, v2, v4
	v_mul_f32_e32 v4, v142, v82
	v_dual_mul_f32 v74, v144, v84 :: v_dual_fmac_f32 v205, v150, v89
	s_delay_alu instid0(VALU_DEP_4) | instskip(SKIP_1) | instid1(VALU_DEP_4)
	v_add_f32_e32 v73, v73, v75
	v_mul_f32_e32 v75, v146, v86
	v_fma_f32 v4, v141, v81, -v4
	s_delay_alu instid0(VALU_DEP_4)
	v_fma_f32 v74, v143, v83, -v74
	s_wait_loadcnt_dscnt 0xa09
	v_dual_mul_f32 v208, v155, v96 :: v_dual_mul_f32 v209, v157, v98
	v_fma_f32 v75, v145, v85, -v75
	v_dual_add_f32 v4, v73, v4 :: v_dual_fmac_f32 v207, v154, v93
	v_mul_f32_e32 v73, v148, v88
	s_wait_loadcnt_dscnt 0x908
	v_dual_mul_f32 v210, v159, v100 :: v_dual_mul_f32 v211, v161, v102
	s_delay_alu instid0(VALU_DEP_3) | instskip(SKIP_3) | instid1(VALU_DEP_4)
	v_dual_add_f32 v4, v4, v74 :: v_dual_fmac_f32 v209, v158, v97
	v_mul_f32_e32 v74, v150, v90
	v_fma_f32 v73, v147, v87, -v73
	v_dual_mul_f32 v202, v143, v84 :: v_dual_mul_f32 v203, v145, v86
	v_dual_add_f32 v4, v4, v75 :: v_dual_fmac_f32 v211, v162, v101
	v_mul_f32_e32 v75, v152, v92
	v_fma_f32 v74, v149, v89, -v74
	s_wait_loadcnt_dscnt 0x706
	v_dual_mul_f32 v214, v167, v108 :: v_dual_mul_f32 v215, v169, v110
	v_add_f32_e32 v4, v4, v73
	v_dual_fmac_f32 v202, v144, v83 :: v_dual_mul_f32 v73, v154, v94
	v_fma_f32 v75, v151, v91, -v75
	s_wait_loadcnt_dscnt 0x605
	v_dual_mul_f32 v216, v171, v112 :: v_dual_mul_f32 v217, v173, v114
	v_dual_add_f32 v4, v4, v74 :: v_dual_fmac_f32 v215, v170, v109
	v_mul_f32_e32 v74, v156, v96
	v_fma_f32 v73, v153, v93, -v73
	v_fmac_f32_e32 v204, v148, v87
	s_delay_alu instid0(VALU_DEP_4)
	v_dual_add_f32 v4, v4, v75 :: v_dual_fmac_f32 v217, v174, v113
	v_mul_f32_e32 v75, v158, v98
	v_fma_f32 v74, v155, v95, -v74
	s_wait_loadcnt_dscnt 0x504
	v_dual_mul_f32 v218, v175, v116 :: v_dual_mul_f32 v219, v177, v118
	v_add_f32_e32 v4, v4, v73
	v_mul_f32_e32 v73, v160, v100
	v_fma_f32 v75, v157, v97, -v75
	s_wait_loadcnt_dscnt 0x302
	v_dual_mul_f32 v222, v183, v124 :: v_dual_mul_f32 v223, v185, v126
	v_dual_add_f32 v4, v4, v74 :: v_dual_fmac_f32 v219, v178, v117
	v_mul_f32_e32 v74, v162, v102
	v_fma_f32 v73, v159, v99, -v73
	v_add_f32_e32 v2, v2, v199
	s_delay_alu instid0(VALU_DEP_4)
	v_dual_add_f32 v4, v4, v75 :: v_dual_fmac_f32 v223, v186, v125
	v_mul_f32_e32 v75, v164, v104
	v_fma_f32 v74, v161, v101, -v74
	s_wait_loadcnt_dscnt 0x100
	v_dual_mul_f32 v226, v191, v132 :: v_dual_mul_f32 v227, v197, v194
	v_dual_add_f32 v4, v4, v73 :: v_dual_mul_f32 v73, v166, v106
	v_fma_f32 v75, v163, v103, -v75
	v_dual_fmac_f32 v200, v140, v79 :: v_dual_fmac_f32 v203, v146, v85
	s_delay_alu instid0(VALU_DEP_3) | instskip(SKIP_2) | instid1(VALU_DEP_4)
	v_dual_add_f32 v4, v4, v74 :: v_dual_fmac_f32 v227, v198, v193
	v_mul_f32_e32 v74, v168, v108
	v_fma_f32 v73, v165, v105, -v73
	v_add_f32_e32 v2, v2, v200
	s_delay_alu instid0(VALU_DEP_4) | instskip(NEXT) | instid1(VALU_DEP_4)
	v_dual_add_f32 v4, v4, v75 :: v_dual_mul_f32 v75, v170, v110
	v_fma_f32 v74, v167, v107, -v74
	v_fmac_f32_e32 v208, v156, v95
	s_delay_alu instid0(VALU_DEP_4) | instskip(NEXT) | instid1(VALU_DEP_4)
	v_add_f32_e32 v2, v2, v201
	v_add_f32_e32 v4, v4, v73
	v_mul_f32_e32 v73, v172, v112
	v_fma_f32 v75, v169, v109, -v75
	v_dual_mul_f32 v212, v163, v104 :: v_dual_mul_f32 v213, v165, v106
	s_delay_alu instid0(VALU_DEP_4)
	v_add_f32_e32 v4, v4, v74
	v_mul_f32_e32 v74, v174, v114
	v_fma_f32 v73, v171, v111, -v73
	v_add_f32_e32 v2, v2, v202
	v_dual_fmac_f32 v206, v152, v91 :: v_dual_fmac_f32 v213, v166, v105
	v_add_f32_e32 v4, v4, v75
	v_mul_f32_e32 v75, v176, v116
	v_fma_f32 v74, v173, v113, -v74
	v_add_f32_e32 v2, v2, v203
	v_dual_mul_f32 v220, v179, v120 :: v_dual_mul_f32 v221, v181, v122
	v_dual_add_f32 v4, v4, v73 :: v_dual_mul_f32 v73, v178, v118
	v_fma_f32 v75, v175, v115, -v75
	s_delay_alu instid0(VALU_DEP_3) | instskip(NEXT) | instid1(VALU_DEP_3)
	v_dual_fmac_f32 v210, v160, v99 :: v_dual_fmac_f32 v221, v182, v121
	v_add_f32_e32 v4, v4, v74
	v_mul_f32_e32 v74, v180, v120
	v_fma_f32 v73, v177, v117, -v73
	v_dual_mul_f32 v224, v187, v128 :: v_dual_mul_f32 v225, v189, v130
	s_delay_alu instid0(VALU_DEP_4) | instskip(NEXT) | instid1(VALU_DEP_4)
	v_dual_add_f32 v4, v4, v75 :: v_dual_mul_f32 v75, v182, v122
	v_fma_f32 v74, v179, v119, -v74
	s_delay_alu instid0(VALU_DEP_3) | instskip(NEXT) | instid1(VALU_DEP_3)
	v_dual_fmac_f32 v212, v164, v103 :: v_dual_fmac_f32 v225, v190, v129
	v_add_f32_e32 v4, v4, v73
	v_mul_f32_e32 v73, v184, v124
	v_fma_f32 v75, v181, v121, -v75
	v_fmac_f32_e32 v214, v168, v107
	v_fmac_f32_e32 v216, v172, v111
	v_add_f32_e32 v4, v4, v74
	v_mul_f32_e32 v74, v186, v126
	v_fma_f32 v73, v183, v123, -v73
	v_fmac_f32_e32 v218, v176, v115
	v_fmac_f32_e32 v220, v180, v119
	v_add_f32_e32 v4, v4, v75
	v_mul_f32_e32 v75, v188, v128
	v_fma_f32 v74, v185, v125, -v74
	v_add_f32_e32 v2, v2, v204
	v_fmac_f32_e32 v222, v184, v123
	v_dual_add_f32 v4, v4, v73 :: v_dual_mul_f32 v73, v190, v130
	v_fma_f32 v75, v187, v127, -v75
	v_fmac_f32_e32 v224, v188, v127
	v_fmac_f32_e32 v226, v192, v131
	s_delay_alu instid0(VALU_DEP_4) | instskip(SKIP_2) | instid1(VALU_DEP_3)
	v_add_f32_e32 v4, v4, v74
	v_mul_f32_e32 v74, v192, v132
	v_fma_f32 v73, v189, v129, -v73
	v_dual_add_f32 v4, v4, v75 :: v_dual_mul_f32 v75, v198, v194
	s_delay_alu instid0(VALU_DEP_3) | instskip(NEXT) | instid1(VALU_DEP_2)
	v_fma_f32 v74, v191, v131, -v74
	v_add_f32_e32 v4, v4, v73
	s_delay_alu instid0(VALU_DEP_3) | instskip(NEXT) | instid1(VALU_DEP_2)
	v_fma_f32 v73, v197, v193, -v75
	v_add_f32_e32 v4, v4, v74
	s_delay_alu instid0(VALU_DEP_1) | instskip(SKIP_1) | instid1(VALU_DEP_1)
	v_add_f32_e32 v4, v4, v73
	s_wait_loadcnt 0x0
	v_dual_add_f32 v2, v2, v205 :: v_dual_sub_f32 v73, v195, v4
	s_delay_alu instid0(VALU_DEP_1) | instskip(NEXT) | instid1(VALU_DEP_1)
	v_add_f32_e32 v2, v2, v206
	v_add_f32_e32 v2, v2, v207
	s_delay_alu instid0(VALU_DEP_1) | instskip(NEXT) | instid1(VALU_DEP_1)
	v_add_f32_e32 v2, v2, v208
	v_add_f32_e32 v2, v2, v209
	;; [unrolled: 3-line block ×11, first 2 shown]
	s_delay_alu instid0(VALU_DEP_1)
	v_sub_f32_e32 v74, v196, v2
	scratch_store_b64 off, v[73:74], off offset:16
	v_cmpx_lt_u32_e32 1, v0
	s_cbranch_execz .LBB33_215
; %bb.214:
	scratch_load_b64 v[73:74], off, off offset:8
	v_mov_b32_e32 v2, v1
	scratch_store_b64 off, v[1:2], off offset:8
	s_wait_loadcnt 0x0
	ds_store_b64 v3, v[73:74]
.LBB33_215:
	s_wait_alu 0xfffe
	s_or_b32 exec_lo, exec_lo, s0
	s_wait_storecnt_dscnt 0x0
	s_barrier_signal -1
	s_barrier_wait -1
	global_inv scope:SCOPE_SE
	s_clause 0x10
	scratch_load_b128 v[73:76], off, off offset:16
	scratch_load_b128 v[77:80], off, off offset:32
	;; [unrolled: 1-line block ×16, first 2 shown]
	scratch_load_b64 v[201:202], off, off offset:8
	ds_load_b128 v[137:140], v1 offset:288
	ds_load_b128 v[141:144], v1 offset:304
	;; [unrolled: 1-line block ×16, first 2 shown]
	s_mov_b32 s0, exec_lo
	s_wait_loadcnt_dscnt 0x100f
	v_dual_mul_f32 v1, v137, v74 :: v_dual_mul_f32 v2, v139, v76
	v_mul_f32_e32 v74, v138, v74
	v_mul_f32_e32 v76, v140, v76
	s_wait_loadcnt_dscnt 0xf0e
	v_dual_mul_f32 v4, v141, v78 :: v_dual_mul_f32 v203, v143, v80
	s_wait_loadcnt_dscnt 0xe0d
	v_dual_mul_f32 v204, v145, v82 :: v_dual_mul_f32 v205, v147, v84
	;; [unrolled: 2-line block ×4, first 2 shown]
	v_dual_fmac_f32 v1, v138, v73 :: v_dual_fmac_f32 v2, v140, v75
	v_dual_fmac_f32 v204, v146, v81 :: v_dual_fmac_f32 v205, v148, v83
	s_wait_loadcnt_dscnt 0x100
	v_dual_mul_f32 v230, v197, v134 :: v_dual_mul_f32 v231, v199, v136
	v_fma_f32 v74, v137, v73, -v74
	v_mul_f32_e32 v73, v142, v78
	v_fma_f32 v75, v139, v75, -v76
	v_dual_add_f32 v1, 0, v1 :: v_dual_mul_f32 v76, v144, v80
	s_delay_alu instid0(VALU_DEP_4) | instskip(NEXT) | instid1(VALU_DEP_4)
	v_dual_add_f32 v74, 0, v74 :: v_dual_fmac_f32 v203, v144, v79
	v_fma_f32 v73, v141, v77, -v73
	s_delay_alu instid0(VALU_DEP_3) | instskip(SKIP_1) | instid1(VALU_DEP_4)
	v_dual_add_f32 v1, v1, v2 :: v_dual_fmac_f32 v206, v150, v85
	v_fmac_f32_e32 v207, v152, v87
	v_add_f32_e32 v74, v74, v75
	v_fma_f32 v75, v143, v79, -v76
	v_dual_mul_f32 v210, v157, v94 :: v_dual_mul_f32 v211, v159, v96
	v_fmac_f32_e32 v208, v154, v89
	s_delay_alu instid0(VALU_DEP_4) | instskip(SKIP_1) | instid1(VALU_DEP_4)
	v_add_f32_e32 v73, v74, v73
	v_fmac_f32_e32 v4, v142, v77
	v_dual_fmac_f32 v210, v158, v93 :: v_dual_fmac_f32 v211, v160, v95
	v_dual_mul_f32 v212, v161, v98 :: v_dual_mul_f32 v213, v163, v100
	s_delay_alu instid0(VALU_DEP_4) | instskip(NEXT) | instid1(VALU_DEP_4)
	v_add_f32_e32 v73, v73, v75
	v_dual_add_f32 v1, v1, v4 :: v_dual_mul_f32 v2, v146, v82
	v_mul_f32_e32 v4, v148, v84
	v_dual_mul_f32 v214, v165, v102 :: v_dual_mul_f32 v215, v167, v104
	s_delay_alu instid0(VALU_DEP_3) | instskip(NEXT) | instid1(VALU_DEP_4)
	v_add_f32_e32 v1, v1, v203
	v_fma_f32 v2, v145, v81, -v2
	v_mul_f32_e32 v74, v150, v86
	v_fma_f32 v4, v147, v83, -v4
	v_dual_fmac_f32 v212, v162, v97 :: v_dual_fmac_f32 v215, v168, v103
	s_delay_alu instid0(VALU_DEP_4) | instskip(SKIP_2) | instid1(VALU_DEP_3)
	v_dual_add_f32 v2, v73, v2 :: v_dual_mul_f32 v73, v152, v88
	v_add_f32_e32 v1, v1, v204
	v_fma_f32 v74, v149, v85, -v74
	v_dual_fmac_f32 v209, v156, v91 :: v_dual_add_f32 v2, v2, v4
	s_delay_alu instid0(VALU_DEP_4) | instskip(NEXT) | instid1(VALU_DEP_4)
	v_fma_f32 v73, v151, v87, -v73
	v_add_f32_e32 v1, v1, v205
	v_dual_mul_f32 v216, v169, v106 :: v_dual_mul_f32 v217, v171, v108
	s_delay_alu instid0(VALU_DEP_4) | instskip(NEXT) | instid1(VALU_DEP_3)
	v_add_f32_e32 v2, v2, v74
	v_dual_mul_f32 v74, v156, v92 :: v_dual_add_f32 v1, v1, v206
	v_dual_mul_f32 v4, v154, v90 :: v_dual_fmac_f32 v213, v164, v99
	s_delay_alu instid0(VALU_DEP_4) | instskip(NEXT) | instid1(VALU_DEP_3)
	v_fmac_f32_e32 v216, v170, v105
	v_fma_f32 v74, v155, v91, -v74
	s_delay_alu instid0(VALU_DEP_4) | instskip(NEXT) | instid1(VALU_DEP_4)
	v_add_f32_e32 v1, v1, v207
	v_fma_f32 v4, v153, v89, -v4
	v_add_f32_e32 v2, v2, v73
	v_mul_f32_e32 v73, v158, v94
	v_dual_mul_f32 v218, v173, v110 :: v_dual_mul_f32 v219, v175, v112
	v_add_f32_e32 v1, v1, v208
	s_delay_alu instid0(VALU_DEP_4) | instskip(SKIP_3) | instid1(VALU_DEP_4)
	v_add_f32_e32 v2, v2, v4
	v_mul_f32_e32 v4, v160, v96
	v_fma_f32 v73, v157, v93, -v73
	v_dual_mul_f32 v220, v177, v114 :: v_dual_mul_f32 v221, v179, v116
	v_dual_add_f32 v1, v1, v209 :: v_dual_add_f32 v2, v2, v74
	v_mul_f32_e32 v74, v162, v98
	v_fma_f32 v4, v159, v95, -v4
	v_dual_fmac_f32 v214, v166, v101 :: v_dual_fmac_f32 v217, v172, v107
	s_delay_alu instid0(VALU_DEP_4) | instskip(SKIP_3) | instid1(VALU_DEP_4)
	v_dual_add_f32 v2, v2, v73 :: v_dual_mul_f32 v73, v164, v100
	v_add_f32_e32 v1, v1, v210
	v_fma_f32 v74, v161, v97, -v74
	v_dual_mul_f32 v222, v181, v118 :: v_dual_mul_f32 v223, v183, v120
	v_fma_f32 v73, v163, v99, -v73
	s_delay_alu instid0(VALU_DEP_4) | instskip(SKIP_2) | instid1(VALU_DEP_3)
	v_add_f32_e32 v1, v1, v211
	v_dual_mul_f32 v224, v185, v122 :: v_dual_mul_f32 v225, v187, v124
	v_dual_mul_f32 v226, v189, v126 :: v_dual_mul_f32 v227, v191, v128
	v_add_f32_e32 v1, v1, v212
	v_add_f32_e32 v2, v2, v4
	v_fmac_f32_e32 v218, v174, v109
	v_fmac_f32_e32 v224, v186, v121
	;; [unrolled: 1-line block ×3, first 2 shown]
	s_delay_alu instid0(VALU_DEP_4) | instskip(SKIP_2) | instid1(VALU_DEP_3)
	v_dual_add_f32 v1, v1, v213 :: v_dual_add_f32 v2, v2, v74
	v_mul_f32_e32 v74, v168, v104
	v_dual_fmac_f32 v219, v176, v111 :: v_dual_fmac_f32 v220, v178, v113
	v_dual_add_f32 v1, v1, v214 :: v_dual_add_f32 v2, v2, v73
	v_mul_f32_e32 v4, v166, v102
	v_mul_f32_e32 v73, v170, v106
	v_fma_f32 v74, v167, v103, -v74
	s_delay_alu instid0(VALU_DEP_4)
	v_add_f32_e32 v1, v1, v215
	v_fmac_f32_e32 v221, v180, v115
	v_fma_f32 v4, v165, v101, -v4
	v_fma_f32 v73, v169, v105, -v73
	v_dual_fmac_f32 v226, v190, v125 :: v_dual_fmac_f32 v231, v200, v135
	v_add_f32_e32 v1, v1, v216
	s_delay_alu instid0(VALU_DEP_4) | instskip(SKIP_1) | instid1(VALU_DEP_3)
	v_dual_add_f32 v2, v2, v4 :: v_dual_fmac_f32 v223, v184, v119
	v_dual_mul_f32 v228, v193, v130 :: v_dual_mul_f32 v229, v195, v132
	v_dual_add_f32 v1, v1, v217 :: v_dual_mul_f32 v4, v172, v108
	s_delay_alu instid0(VALU_DEP_3) | instskip(NEXT) | instid1(VALU_DEP_3)
	v_add_f32_e32 v2, v2, v74
	v_fmac_f32_e32 v228, v194, v129
	s_delay_alu instid0(VALU_DEP_3) | instskip(SKIP_3) | instid1(VALU_DEP_4)
	v_dual_fmac_f32 v230, v198, v133 :: v_dual_add_f32 v1, v1, v218
	v_mul_f32_e32 v74, v174, v110
	v_fma_f32 v4, v171, v107, -v4
	v_dual_add_f32 v2, v2, v73 :: v_dual_mul_f32 v73, v176, v112
	v_add_f32_e32 v1, v1, v219
	s_delay_alu instid0(VALU_DEP_4)
	v_fma_f32 v74, v173, v109, -v74
	v_fmac_f32_e32 v225, v188, v123
	v_fmac_f32_e32 v227, v192, v127
	v_fma_f32 v73, v175, v111, -v73
	v_add_f32_e32 v1, v1, v220
	v_add_f32_e32 v2, v2, v4
	v_dual_mul_f32 v4, v178, v114 :: v_dual_fmac_f32 v229, v196, v131
	s_delay_alu instid0(VALU_DEP_2) | instskip(SKIP_1) | instid1(VALU_DEP_3)
	v_dual_add_f32 v1, v1, v221 :: v_dual_add_f32 v2, v2, v74
	v_mul_f32_e32 v74, v180, v116
	v_fma_f32 v4, v177, v113, -v4
	s_delay_alu instid0(VALU_DEP_3) | instskip(SKIP_1) | instid1(VALU_DEP_4)
	v_dual_add_f32 v1, v1, v222 :: v_dual_add_f32 v2, v2, v73
	v_mul_f32_e32 v73, v182, v118
	v_fma_f32 v74, v179, v115, -v74
	s_delay_alu instid0(VALU_DEP_3) | instskip(NEXT) | instid1(VALU_DEP_3)
	v_dual_add_f32 v1, v1, v223 :: v_dual_add_f32 v2, v2, v4
	v_fma_f32 v73, v181, v117, -v73
	s_delay_alu instid0(VALU_DEP_2) | instskip(SKIP_1) | instid1(VALU_DEP_4)
	v_add_f32_e32 v1, v1, v224
	v_mul_f32_e32 v4, v184, v120
	v_add_f32_e32 v2, v2, v74
	s_delay_alu instid0(VALU_DEP_3) | instskip(NEXT) | instid1(VALU_DEP_3)
	v_dual_mul_f32 v74, v186, v122 :: v_dual_add_f32 v1, v1, v225
	v_fma_f32 v4, v183, v119, -v4
	s_delay_alu instid0(VALU_DEP_3) | instskip(NEXT) | instid1(VALU_DEP_3)
	v_dual_add_f32 v2, v2, v73 :: v_dual_mul_f32 v73, v188, v124
	v_fma_f32 v74, v185, v121, -v74
	s_delay_alu instid0(VALU_DEP_2) | instskip(NEXT) | instid1(VALU_DEP_3)
	v_dual_add_f32 v1, v1, v226 :: v_dual_add_f32 v2, v2, v4
	v_fma_f32 v73, v187, v123, -v73
	s_delay_alu instid0(VALU_DEP_2) | instskip(NEXT) | instid1(VALU_DEP_3)
	v_dual_add_f32 v1, v1, v227 :: v_dual_mul_f32 v4, v190, v126
	v_add_f32_e32 v2, v2, v74
	v_mul_f32_e32 v74, v192, v128
	s_delay_alu instid0(VALU_DEP_3) | instskip(NEXT) | instid1(VALU_DEP_4)
	v_add_f32_e32 v1, v1, v228
	v_fma_f32 v4, v189, v125, -v4
	s_delay_alu instid0(VALU_DEP_2) | instskip(SKIP_3) | instid1(VALU_DEP_3)
	v_add_f32_e32 v1, v1, v229
	v_add_f32_e32 v2, v2, v73
	v_mul_f32_e32 v73, v194, v130
	v_fma_f32 v74, v191, v127, -v74
	v_dual_add_f32 v1, v1, v230 :: v_dual_add_f32 v2, v2, v4
	v_mul_f32_e32 v4, v196, v132
	s_delay_alu instid0(VALU_DEP_4) | instskip(NEXT) | instid1(VALU_DEP_3)
	v_fma_f32 v73, v193, v129, -v73
	v_add_f32_e32 v2, v2, v74
	v_mul_f32_e32 v74, v198, v134
	s_delay_alu instid0(VALU_DEP_4) | instskip(NEXT) | instid1(VALU_DEP_3)
	v_fma_f32 v4, v195, v131, -v4
	v_dual_add_f32 v2, v2, v73 :: v_dual_mul_f32 v73, v200, v136
	s_delay_alu instid0(VALU_DEP_3) | instskip(NEXT) | instid1(VALU_DEP_2)
	v_fma_f32 v74, v197, v133, -v74
	v_add_f32_e32 v2, v2, v4
	s_delay_alu instid0(VALU_DEP_3) | instskip(NEXT) | instid1(VALU_DEP_2)
	v_fma_f32 v4, v199, v135, -v73
	v_add_f32_e32 v2, v2, v74
	s_delay_alu instid0(VALU_DEP_1) | instskip(SKIP_2) | instid1(VALU_DEP_1)
	v_add_f32_e32 v2, v2, v4
	v_add_f32_e32 v4, v1, v231
	s_wait_loadcnt 0x0
	v_dual_sub_f32 v1, v201, v2 :: v_dual_sub_f32 v2, v202, v4
	scratch_store_b64 off, v[1:2], off offset:8
	v_cmpx_ne_u32_e32 0, v0
	s_cbranch_execz .LBB33_217
; %bb.216:
	scratch_load_b64 v[0:1], off, off
	v_mov_b32_e32 v73, 0
	s_delay_alu instid0(VALU_DEP_1)
	v_mov_b32_e32 v74, v73
	scratch_store_b64 off, v[73:74], off
	s_wait_loadcnt 0x0
	ds_store_b64 v3, v[0:1]
.LBB33_217:
	s_wait_alu 0xfffe
	s_or_b32 exec_lo, exec_lo, s0
	s_wait_storecnt_dscnt 0x0
	s_barrier_signal -1
	s_barrier_wait -1
	global_inv scope:SCOPE_SE
	s_clause 0x11
	scratch_load_b128 v[1:4], off, off offset:8
	scratch_load_b128 v[73:76], off, off offset:24
	;; [unrolled: 1-line block ×16, first 2 shown]
	scratch_load_b64 v[197:198], off, off offset:264
	scratch_load_b64 v[199:200], off, off
	v_mov_b32_e32 v0, 0
	ds_load_2addr_b64 v[133:136], v0 offset0:35 offset1:36
	ds_load_2addr_b64 v[137:140], v0 offset0:37 offset1:38
	;; [unrolled: 1-line block ×16, first 2 shown]
	ds_load_b64 v[201:202], v0 offset:536
	s_and_b32 vcc_lo, exec_lo, s18
	s_wait_loadcnt_dscnt 0x1110
	v_dual_mul_f32 v203, v133, v2 :: v_dual_mul_f32 v204, v135, v4
	s_wait_loadcnt_dscnt 0x100f
	v_dual_mul_f32 v205, v137, v74 :: v_dual_mul_f32 v4, v136, v4
	;; [unrolled: 2-line block ×3, first 2 shown]
	v_dual_fmac_f32 v203, v134, v1 :: v_dual_fmac_f32 v204, v136, v3
	s_delay_alu instid0(VALU_DEP_3) | instskip(SKIP_1) | instid1(VALU_DEP_4)
	v_fmac_f32_e32 v205, v138, v73
	v_fma_f32 v3, v135, v3, -v4
	v_dual_fmac_f32 v206, v140, v75 :: v_dual_fmac_f32 v207, v142, v77
	s_delay_alu instid0(VALU_DEP_4)
	v_add_f32_e32 v4, 0, v203
	v_mul_f32_e32 v2, v134, v2
	s_wait_loadcnt_dscnt 0xe0d
	v_dual_mul_f32 v208, v143, v80 :: v_dual_mul_f32 v209, v145, v82
	s_wait_loadcnt_dscnt 0xd0c
	v_dual_mul_f32 v210, v147, v84 :: v_dual_mul_f32 v211, v149, v86
	v_fma_f32 v2, v133, v1, -v2
	v_dual_mul_f32 v1, v138, v74 :: v_dual_mul_f32 v74, v140, v76
	v_dual_fmac_f32 v208, v144, v79 :: v_dual_fmac_f32 v209, v146, v81
	s_delay_alu instid0(VALU_DEP_3) | instskip(NEXT) | instid1(VALU_DEP_3)
	v_add_f32_e32 v2, 0, v2
	v_fma_f32 v1, v137, v73, -v1
	s_delay_alu instid0(VALU_DEP_4) | instskip(SKIP_1) | instid1(VALU_DEP_4)
	v_fma_f32 v73, v139, v75, -v74
	v_dual_fmac_f32 v210, v148, v83 :: v_dual_fmac_f32 v211, v150, v85
	v_add_f32_e32 v2, v2, v3
	s_wait_loadcnt_dscnt 0xc0b
	v_dual_mul_f32 v212, v151, v88 :: v_dual_mul_f32 v213, v153, v90
	s_wait_loadcnt_dscnt 0xb0a
	v_dual_mul_f32 v214, v155, v92 :: v_dual_mul_f32 v215, v157, v94
	v_add_f32_e32 v1, v2, v1
	v_add_f32_e32 v3, v4, v204
	v_dual_fmac_f32 v212, v152, v87 :: v_dual_fmac_f32 v213, v154, v89
	s_wait_loadcnt_dscnt 0xa09
	v_dual_mul_f32 v216, v159, v96 :: v_dual_mul_f32 v217, v161, v98
	s_delay_alu instid0(VALU_DEP_3)
	v_dual_add_f32 v2, v3, v205 :: v_dual_mul_f32 v3, v144, v80
	v_add_f32_e32 v1, v1, v73
	v_dual_mul_f32 v73, v146, v82 :: v_dual_mul_f32 v218, v163, v100
	s_wait_loadcnt_dscnt 0x908
	v_mul_f32_e32 v219, v165, v102
	v_fma_f32 v3, v143, v79, -v3
	v_mul_f32_e32 v4, v142, v78
	v_fma_f32 v73, v145, v81, -v73
	v_dual_fmac_f32 v217, v162, v97 :: v_dual_fmac_f32 v218, v164, v99
	s_wait_loadcnt_dscnt 0x807
	v_dual_mul_f32 v220, v167, v104 :: v_dual_mul_f32 v221, v169, v106
	v_fma_f32 v4, v141, v77, -v4
	v_add_f32_e32 v2, v2, v206
	s_delay_alu instid0(VALU_DEP_3) | instskip(SKIP_4) | instid1(VALU_DEP_3)
	v_dual_fmac_f32 v219, v166, v101 :: v_dual_fmac_f32 v220, v168, v103
	s_wait_loadcnt_dscnt 0x706
	v_dual_mul_f32 v222, v171, v108 :: v_dual_mul_f32 v223, v173, v110
	v_add_f32_e32 v1, v1, v4
	v_dual_mul_f32 v4, v148, v84 :: v_dual_fmac_f32 v221, v170, v105
	v_fmac_f32_e32 v222, v172, v107
	s_wait_loadcnt_dscnt 0x605
	v_dual_mul_f32 v224, v175, v112 :: v_dual_mul_f32 v225, v177, v114
	v_add_f32_e32 v1, v1, v3
	v_add_f32_e32 v2, v2, v207
	v_mul_f32_e32 v3, v150, v86
	v_fma_f32 v4, v147, v83, -v4
	s_wait_loadcnt_dscnt 0x504
	v_dual_mul_f32 v226, v179, v116 :: v_dual_mul_f32 v227, v181, v118
	v_add_f32_e32 v1, v1, v73
	v_fma_f32 v3, v149, v85, -v3
	v_mul_f32_e32 v73, v152, v88
	s_delay_alu instid0(VALU_DEP_4) | instskip(NEXT) | instid1(VALU_DEP_4)
	v_dual_fmac_f32 v223, v174, v109 :: v_dual_fmac_f32 v226, v180, v115
	v_add_f32_e32 v1, v1, v4
	v_add_f32_e32 v2, v2, v208
	v_mul_f32_e32 v4, v154, v90
	v_fma_f32 v73, v151, v87, -v73
	v_fmac_f32_e32 v214, v156, v91
	s_delay_alu instid0(VALU_DEP_4) | instskip(SKIP_3) | instid1(VALU_DEP_4)
	v_dual_add_f32 v1, v1, v3 :: v_dual_add_f32 v2, v2, v209
	v_mul_f32_e32 v3, v156, v92
	v_fma_f32 v4, v153, v89, -v4
	v_fmac_f32_e32 v215, v158, v93
	v_dual_add_f32 v1, v1, v73 :: v_dual_add_f32 v2, v2, v210
	s_delay_alu instid0(VALU_DEP_4) | instskip(SKIP_1) | instid1(VALU_DEP_3)
	v_fma_f32 v3, v155, v91, -v3
	v_dual_mul_f32 v73, v158, v94 :: v_dual_fmac_f32 v216, v160, v95
	v_dual_add_f32 v1, v1, v4 :: v_dual_add_f32 v2, v2, v211
	v_mul_f32_e32 v4, v160, v96
	s_delay_alu instid0(VALU_DEP_3) | instskip(SKIP_1) | instid1(VALU_DEP_4)
	v_fma_f32 v73, v157, v93, -v73
	v_fmac_f32_e32 v225, v178, v113
	v_dual_add_f32 v1, v1, v3 :: v_dual_add_f32 v2, v2, v212
	v_mul_f32_e32 v3, v162, v98
	v_fma_f32 v4, v159, v95, -v4
	s_wait_loadcnt_dscnt 0x403
	v_dual_mul_f32 v228, v183, v120 :: v_dual_mul_f32 v229, v185, v122
	v_add_f32_e32 v2, v2, v213
	v_add_f32_e32 v1, v1, v73
	v_mul_f32_e32 v73, v164, v100
	v_fma_f32 v3, v161, v97, -v3
	s_wait_loadcnt_dscnt 0x302
	v_dual_mul_f32 v230, v187, v124 :: v_dual_mul_f32 v231, v189, v126
	v_dual_add_f32 v2, v2, v214 :: v_dual_add_f32 v1, v1, v4
	v_mul_f32_e32 v4, v166, v102
	v_fma_f32 v73, v163, v99, -v73
	s_delay_alu instid0(VALU_DEP_4) | instskip(NEXT) | instid1(VALU_DEP_4)
	v_dual_fmac_f32 v227, v182, v117 :: v_dual_fmac_f32 v230, v188, v123
	v_add_f32_e32 v2, v2, v215
	v_add_f32_e32 v1, v1, v3
	v_mul_f32_e32 v3, v168, v104
	v_fma_f32 v4, v165, v101, -v4
	v_fmac_f32_e32 v224, v176, v111
	v_add_f32_e32 v2, v2, v216
	s_wait_loadcnt_dscnt 0x201
	v_dual_mul_f32 v232, v191, v128 :: v_dual_mul_f32 v233, v193, v130
	v_fma_f32 v3, v167, v103, -v3
	v_fmac_f32_e32 v229, v186, v121
	v_add_f32_e32 v2, v2, v217
	v_add_f32_e32 v1, v1, v73
	v_mul_f32_e32 v73, v170, v106
	v_dual_fmac_f32 v233, v194, v129 :: v_dual_mul_f32 v234, v195, v132
	s_wait_loadcnt_dscnt 0x100
	v_mul_f32_e32 v235, v201, v198
	v_dual_add_f32 v2, v2, v218 :: v_dual_add_f32 v1, v1, v4
	v_mul_f32_e32 v4, v172, v108
	v_fma_f32 v73, v169, v105, -v73
	v_dual_fmac_f32 v231, v190, v125 :: v_dual_fmac_f32 v234, v196, v131
	s_delay_alu instid0(VALU_DEP_4)
	v_add_f32_e32 v2, v2, v219
	v_add_f32_e32 v1, v1, v3
	v_mul_f32_e32 v3, v174, v110
	v_fma_f32 v4, v171, v107, -v4
	v_fmac_f32_e32 v235, v202, v197
	v_add_f32_e32 v2, v2, v220
	v_fmac_f32_e32 v228, v184, v119
	v_fma_f32 v3, v173, v109, -v3
	v_fmac_f32_e32 v232, v192, v127
	s_delay_alu instid0(VALU_DEP_4) | instskip(SKIP_1) | instid1(VALU_DEP_2)
	v_add_f32_e32 v2, v2, v221
	v_add_f32_e32 v1, v1, v73
	v_dual_mul_f32 v73, v176, v112 :: v_dual_add_f32 v2, v2, v222
	s_delay_alu instid0(VALU_DEP_2) | instskip(NEXT) | instid1(VALU_DEP_2)
	v_dual_add_f32 v1, v1, v4 :: v_dual_mul_f32 v4, v178, v114
	v_fma_f32 v73, v175, v111, -v73
	s_delay_alu instid0(VALU_DEP_3) | instskip(NEXT) | instid1(VALU_DEP_3)
	v_add_f32_e32 v2, v2, v223
	v_add_f32_e32 v1, v1, v3
	v_mul_f32_e32 v3, v180, v116
	v_fma_f32 v4, v177, v113, -v4
	s_delay_alu instid0(VALU_DEP_3) | instskip(SKIP_1) | instid1(VALU_DEP_4)
	v_dual_add_f32 v2, v2, v224 :: v_dual_add_f32 v1, v1, v73
	v_mul_f32_e32 v73, v182, v118
	v_fma_f32 v3, v179, v115, -v3
	s_delay_alu instid0(VALU_DEP_3) | instskip(SKIP_3) | instid1(VALU_DEP_3)
	v_add_f32_e32 v1, v1, v4
	v_mul_f32_e32 v4, v184, v120
	v_add_f32_e32 v2, v2, v225
	v_fma_f32 v73, v181, v117, -v73
	v_fma_f32 v4, v183, v119, -v4
	s_delay_alu instid0(VALU_DEP_3) | instskip(NEXT) | instid1(VALU_DEP_1)
	v_add_f32_e32 v2, v2, v226
	v_add_f32_e32 v2, v2, v227
	;; [unrolled: 1-line block ×3, first 2 shown]
	v_mul_f32_e32 v3, v186, v122
	s_delay_alu instid0(VALU_DEP_2) | instskip(SKIP_1) | instid1(VALU_DEP_3)
	v_dual_add_f32 v2, v2, v228 :: v_dual_add_f32 v1, v1, v73
	v_mul_f32_e32 v73, v188, v124
	v_fma_f32 v3, v185, v121, -v3
	s_delay_alu instid0(VALU_DEP_3) | instskip(NEXT) | instid1(VALU_DEP_3)
	v_dual_add_f32 v1, v1, v4 :: v_dual_mul_f32 v4, v190, v126
	v_fma_f32 v73, v187, v123, -v73
	s_delay_alu instid0(VALU_DEP_2) | instskip(NEXT) | instid1(VALU_DEP_3)
	v_add_f32_e32 v1, v1, v3
	v_fma_f32 v4, v189, v125, -v4
	s_delay_alu instid0(VALU_DEP_2) | instskip(SKIP_1) | instid1(VALU_DEP_2)
	v_add_f32_e32 v1, v1, v73
	v_mul_f32_e32 v73, v194, v130
	v_add_f32_e32 v1, v1, v4
	v_mul_f32_e32 v4, v196, v132
	v_add_f32_e32 v2, v2, v229
	s_delay_alu instid0(VALU_DEP_4) | instskip(NEXT) | instid1(VALU_DEP_3)
	v_fma_f32 v73, v193, v129, -v73
	v_fma_f32 v4, v195, v131, -v4
	s_delay_alu instid0(VALU_DEP_3) | instskip(NEXT) | instid1(VALU_DEP_1)
	v_dual_add_f32 v2, v2, v230 :: v_dual_mul_f32 v3, v192, v128
	v_add_f32_e32 v2, v2, v231
	s_delay_alu instid0(VALU_DEP_2) | instskip(NEXT) | instid1(VALU_DEP_2)
	v_fma_f32 v3, v191, v127, -v3
	v_add_f32_e32 v2, v2, v232
	s_delay_alu instid0(VALU_DEP_1) | instskip(SKIP_1) | instid1(VALU_DEP_2)
	v_dual_add_f32 v2, v2, v233 :: v_dual_add_f32 v1, v1, v3
	v_mul_f32_e32 v3, v202, v198
	v_dual_add_f32 v2, v2, v234 :: v_dual_add_f32 v1, v1, v73
	s_delay_alu instid0(VALU_DEP_2) | instskip(NEXT) | instid1(VALU_DEP_2)
	v_fma_f32 v3, v201, v197, -v3
	v_dual_add_f32 v2, v2, v235 :: v_dual_add_f32 v1, v1, v4
	s_wait_loadcnt 0x0
	s_delay_alu instid0(VALU_DEP_1) | instskip(NEXT) | instid1(VALU_DEP_1)
	v_dual_sub_f32 v2, v200, v2 :: v_dual_add_f32 v1, v1, v3
	v_sub_f32_e32 v1, v199, v1
	scratch_store_b64 off, v[1:2], off
	s_wait_alu 0xfffe
	s_cbranch_vccz .LBB33_284
; %bb.218:
	global_load_b32 v0, v0, s[2:3] offset:128
	s_wait_loadcnt 0x0
	v_cmp_ne_u32_e32 vcc_lo, 33, v0
	s_cbranch_vccz .LBB33_220
; %bb.219:
	v_lshlrev_b32_e32 v0, 3, v0
	s_delay_alu instid0(VALU_DEP_1)
	v_mov_b32_e32 v4, v0
	scratch_load_b64 v[0:1], v4, off offset:-8
	scratch_load_b64 v[2:3], off, off offset:256
	s_wait_loadcnt 0x1
	scratch_store_b64 off, v[0:1], off offset:256
	s_wait_loadcnt 0x0
	scratch_store_b64 v4, v[2:3], off offset:-8
.LBB33_220:
	v_mov_b32_e32 v0, 0
	global_load_b32 v1, v0, s[2:3] offset:124
	s_wait_loadcnt 0x0
	v_cmp_eq_u32_e32 vcc_lo, 32, v1
	s_cbranch_vccnz .LBB33_222
; %bb.221:
	v_lshlrev_b32_e32 v1, 3, v1
	s_delay_alu instid0(VALU_DEP_1)
	v_mov_b32_e32 v73, v1
	scratch_load_b64 v[1:2], v73, off offset:-8
	scratch_load_b64 v[3:4], off, off offset:248
	s_wait_loadcnt 0x1
	scratch_store_b64 off, v[1:2], off offset:248
	s_wait_loadcnt 0x0
	scratch_store_b64 v73, v[3:4], off offset:-8
.LBB33_222:
	global_load_b32 v0, v0, s[2:3] offset:120
	s_wait_loadcnt 0x0
	v_cmp_eq_u32_e32 vcc_lo, 31, v0
	s_cbranch_vccnz .LBB33_224
; %bb.223:
	v_lshlrev_b32_e32 v0, 3, v0
	s_delay_alu instid0(VALU_DEP_1)
	v_mov_b32_e32 v4, v0
	scratch_load_b64 v[0:1], v4, off offset:-8
	scratch_load_b64 v[2:3], off, off offset:240
	s_wait_loadcnt 0x1
	scratch_store_b64 off, v[0:1], off offset:240
	s_wait_loadcnt 0x0
	scratch_store_b64 v4, v[2:3], off offset:-8
.LBB33_224:
	v_mov_b32_e32 v0, 0
	global_load_b32 v1, v0, s[2:3] offset:116
	s_wait_loadcnt 0x0
	v_cmp_eq_u32_e32 vcc_lo, 30, v1
	s_cbranch_vccnz .LBB33_226
; %bb.225:
	v_lshlrev_b32_e32 v1, 3, v1
	s_delay_alu instid0(VALU_DEP_1)
	v_mov_b32_e32 v73, v1
	scratch_load_b64 v[1:2], v73, off offset:-8
	scratch_load_b64 v[3:4], off, off offset:232
	s_wait_loadcnt 0x1
	scratch_store_b64 off, v[1:2], off offset:232
	s_wait_loadcnt 0x0
	scratch_store_b64 v73, v[3:4], off offset:-8
.LBB33_226:
	global_load_b32 v0, v0, s[2:3] offset:112
	s_wait_loadcnt 0x0
	v_cmp_eq_u32_e32 vcc_lo, 29, v0
	s_cbranch_vccnz .LBB33_228
; %bb.227:
	v_lshlrev_b32_e32 v0, 3, v0
	s_delay_alu instid0(VALU_DEP_1)
	v_mov_b32_e32 v4, v0
	scratch_load_b64 v[0:1], v4, off offset:-8
	scratch_load_b64 v[2:3], off, off offset:224
	s_wait_loadcnt 0x1
	scratch_store_b64 off, v[0:1], off offset:224
	s_wait_loadcnt 0x0
	scratch_store_b64 v4, v[2:3], off offset:-8
.LBB33_228:
	;; [unrolled: 31-line block ×15, first 2 shown]
	v_mov_b32_e32 v0, 0
	global_load_b32 v1, v0, s[2:3] offset:4
	s_wait_loadcnt 0x0
	v_cmp_eq_u32_e32 vcc_lo, 2, v1
	s_cbranch_vccnz .LBB33_282
; %bb.281:
	v_lshlrev_b32_e32 v1, 3, v1
	s_delay_alu instid0(VALU_DEP_1)
	v_mov_b32_e32 v73, v1
	scratch_load_b64 v[1:2], v73, off offset:-8
	scratch_load_b64 v[3:4], off, off offset:8
	s_wait_loadcnt 0x1
	scratch_store_b64 off, v[1:2], off offset:8
	s_wait_loadcnt 0x0
	scratch_store_b64 v73, v[3:4], off offset:-8
.LBB33_282:
	global_load_b32 v0, v0, s[2:3]
	s_wait_loadcnt 0x0
	v_cmp_eq_u32_e32 vcc_lo, 1, v0
	s_cbranch_vccnz .LBB33_284
; %bb.283:
	v_lshlrev_b32_e32 v0, 3, v0
	s_delay_alu instid0(VALU_DEP_1)
	v_mov_b32_e32 v4, v0
	scratch_load_b64 v[0:1], v4, off offset:-8
	scratch_load_b64 v[2:3], off, off
	s_wait_loadcnt 0x1
	scratch_store_b64 off, v[0:1], off
	s_wait_loadcnt 0x0
	scratch_store_b64 v4, v[2:3], off offset:-8
.LBB33_284:
	s_clause 0x10
	scratch_load_b128 v[0:3], off, off
	scratch_load_b128 v[73:76], off, off offset:16
	scratch_load_b128 v[77:80], off, off offset:32
	;; [unrolled: 1-line block ×16, first 2 shown]
	s_wait_loadcnt 0x10
	s_clause 0x1
	global_store_b64 v[5:6], v[0:1], off
	global_store_b64 v[7:8], v[2:3], off
	s_wait_loadcnt 0xf
	s_clause 0x1
	global_store_b64 v[9:10], v[73:74], off
	global_store_b64 v[11:12], v[75:76], off
	;; [unrolled: 4-line block ×17, first 2 shown]
	s_nop 0
	s_sendmsg sendmsg(MSG_DEALLOC_VGPRS)
	s_endpgm
	.section	.rodata,"a",@progbits
	.p2align	6, 0x0
	.amdhsa_kernel _ZN9rocsolver6v33100L18getri_kernel_smallILi34E19rocblas_complex_numIfEPS3_EEvT1_iilPiilS6_bb
		.amdhsa_group_segment_fixed_size 548
		.amdhsa_private_segment_fixed_size 288
		.amdhsa_kernarg_size 60
		.amdhsa_user_sgpr_count 2
		.amdhsa_user_sgpr_dispatch_ptr 0
		.amdhsa_user_sgpr_queue_ptr 0
		.amdhsa_user_sgpr_kernarg_segment_ptr 1
		.amdhsa_user_sgpr_dispatch_id 0
		.amdhsa_user_sgpr_private_segment_size 0
		.amdhsa_wavefront_size32 1
		.amdhsa_uses_dynamic_stack 0
		.amdhsa_enable_private_segment 1
		.amdhsa_system_sgpr_workgroup_id_x 1
		.amdhsa_system_sgpr_workgroup_id_y 0
		.amdhsa_system_sgpr_workgroup_id_z 0
		.amdhsa_system_sgpr_workgroup_info 0
		.amdhsa_system_vgpr_workitem_id 0
		.amdhsa_next_free_vgpr 236
		.amdhsa_next_free_sgpr 19
		.amdhsa_reserve_vcc 1
		.amdhsa_float_round_mode_32 0
		.amdhsa_float_round_mode_16_64 0
		.amdhsa_float_denorm_mode_32 3
		.amdhsa_float_denorm_mode_16_64 3
		.amdhsa_fp16_overflow 0
		.amdhsa_workgroup_processor_mode 1
		.amdhsa_memory_ordered 1
		.amdhsa_forward_progress 1
		.amdhsa_inst_pref_size 255
		.amdhsa_round_robin_scheduling 0
		.amdhsa_exception_fp_ieee_invalid_op 0
		.amdhsa_exception_fp_denorm_src 0
		.amdhsa_exception_fp_ieee_div_zero 0
		.amdhsa_exception_fp_ieee_overflow 0
		.amdhsa_exception_fp_ieee_underflow 0
		.amdhsa_exception_fp_ieee_inexact 0
		.amdhsa_exception_int_div_zero 0
	.end_amdhsa_kernel
	.section	.text._ZN9rocsolver6v33100L18getri_kernel_smallILi34E19rocblas_complex_numIfEPS3_EEvT1_iilPiilS6_bb,"axG",@progbits,_ZN9rocsolver6v33100L18getri_kernel_smallILi34E19rocblas_complex_numIfEPS3_EEvT1_iilPiilS6_bb,comdat
.Lfunc_end33:
	.size	_ZN9rocsolver6v33100L18getri_kernel_smallILi34E19rocblas_complex_numIfEPS3_EEvT1_iilPiilS6_bb, .Lfunc_end33-_ZN9rocsolver6v33100L18getri_kernel_smallILi34E19rocblas_complex_numIfEPS3_EEvT1_iilPiilS6_bb
                                        ; -- End function
	.set _ZN9rocsolver6v33100L18getri_kernel_smallILi34E19rocblas_complex_numIfEPS3_EEvT1_iilPiilS6_bb.num_vgpr, 236
	.set _ZN9rocsolver6v33100L18getri_kernel_smallILi34E19rocblas_complex_numIfEPS3_EEvT1_iilPiilS6_bb.num_agpr, 0
	.set _ZN9rocsolver6v33100L18getri_kernel_smallILi34E19rocblas_complex_numIfEPS3_EEvT1_iilPiilS6_bb.numbered_sgpr, 19
	.set _ZN9rocsolver6v33100L18getri_kernel_smallILi34E19rocblas_complex_numIfEPS3_EEvT1_iilPiilS6_bb.num_named_barrier, 0
	.set _ZN9rocsolver6v33100L18getri_kernel_smallILi34E19rocblas_complex_numIfEPS3_EEvT1_iilPiilS6_bb.private_seg_size, 288
	.set _ZN9rocsolver6v33100L18getri_kernel_smallILi34E19rocblas_complex_numIfEPS3_EEvT1_iilPiilS6_bb.uses_vcc, 1
	.set _ZN9rocsolver6v33100L18getri_kernel_smallILi34E19rocblas_complex_numIfEPS3_EEvT1_iilPiilS6_bb.uses_flat_scratch, 1
	.set _ZN9rocsolver6v33100L18getri_kernel_smallILi34E19rocblas_complex_numIfEPS3_EEvT1_iilPiilS6_bb.has_dyn_sized_stack, 0
	.set _ZN9rocsolver6v33100L18getri_kernel_smallILi34E19rocblas_complex_numIfEPS3_EEvT1_iilPiilS6_bb.has_recursion, 0
	.set _ZN9rocsolver6v33100L18getri_kernel_smallILi34E19rocblas_complex_numIfEPS3_EEvT1_iilPiilS6_bb.has_indirect_call, 0
	.section	.AMDGPU.csdata,"",@progbits
; Kernel info:
; codeLenInByte = 44820
; TotalNumSgprs: 21
; NumVgprs: 236
; ScratchSize: 288
; MemoryBound: 0
; FloatMode: 240
; IeeeMode: 1
; LDSByteSize: 548 bytes/workgroup (compile time only)
; SGPRBlocks: 0
; VGPRBlocks: 29
; NumSGPRsForWavesPerEU: 21
; NumVGPRsForWavesPerEU: 236
; Occupancy: 6
; WaveLimiterHint : 1
; COMPUTE_PGM_RSRC2:SCRATCH_EN: 1
; COMPUTE_PGM_RSRC2:USER_SGPR: 2
; COMPUTE_PGM_RSRC2:TRAP_HANDLER: 0
; COMPUTE_PGM_RSRC2:TGID_X_EN: 1
; COMPUTE_PGM_RSRC2:TGID_Y_EN: 0
; COMPUTE_PGM_RSRC2:TGID_Z_EN: 0
; COMPUTE_PGM_RSRC2:TIDIG_COMP_CNT: 0
	.section	.text._ZN9rocsolver6v33100L18getri_kernel_smallILi35E19rocblas_complex_numIfEPS3_EEvT1_iilPiilS6_bb,"axG",@progbits,_ZN9rocsolver6v33100L18getri_kernel_smallILi35E19rocblas_complex_numIfEPS3_EEvT1_iilPiilS6_bb,comdat
	.globl	_ZN9rocsolver6v33100L18getri_kernel_smallILi35E19rocblas_complex_numIfEPS3_EEvT1_iilPiilS6_bb ; -- Begin function _ZN9rocsolver6v33100L18getri_kernel_smallILi35E19rocblas_complex_numIfEPS3_EEvT1_iilPiilS6_bb
	.p2align	8
	.type	_ZN9rocsolver6v33100L18getri_kernel_smallILi35E19rocblas_complex_numIfEPS3_EEvT1_iilPiilS6_bb,@function
_ZN9rocsolver6v33100L18getri_kernel_smallILi35E19rocblas_complex_numIfEPS3_EEvT1_iilPiilS6_bb: ; @_ZN9rocsolver6v33100L18getri_kernel_smallILi35E19rocblas_complex_numIfEPS3_EEvT1_iilPiilS6_bb
; %bb.0:
	s_mov_b32 s2, exec_lo
	v_cmpx_gt_u32_e32 35, v0
	s_cbranch_execz .LBB34_154
; %bb.1:
	s_clause 0x2
	s_load_b32 s2, s[0:1], 0x38
	s_load_b128 s[12:15], s[0:1], 0x10
	s_load_b128 s[4:7], s[0:1], 0x28
	s_mov_b32 s16, ttmp9
	s_wait_kmcnt 0x0
	s_bitcmp1_b32 s2, 8
	s_cselect_b32 s18, -1, 0
	s_bfe_u32 s2, s2, 0x10008
	s_ashr_i32 s17, ttmp9, 31
	s_cmp_eq_u32 s2, 0
                                        ; implicit-def: $sgpr2_sgpr3
	s_cbranch_scc1 .LBB34_3
; %bb.2:
	s_load_b32 s2, s[0:1], 0x20
	s_mul_u64 s[4:5], s[4:5], s[16:17]
	s_delay_alu instid0(SALU_CYCLE_1) | instskip(NEXT) | instid1(SALU_CYCLE_1)
	s_lshl_b64 s[4:5], s[4:5], 2
	s_add_nc_u64 s[4:5], s[14:15], s[4:5]
	s_wait_kmcnt 0x0
	s_ashr_i32 s3, s2, 31
	s_delay_alu instid0(SALU_CYCLE_1) | instskip(NEXT) | instid1(SALU_CYCLE_1)
	s_lshl_b64 s[2:3], s[2:3], 2
	s_add_nc_u64 s[2:3], s[4:5], s[2:3]
.LBB34_3:
	s_clause 0x1
	s_load_b128 s[8:11], s[0:1], 0x0
	s_load_b32 s4, s[0:1], 0x38
	s_mul_u64 s[0:1], s[12:13], s[16:17]
	v_lshlrev_b32_e32 v77, 3, v0
	s_lshl_b64 s[0:1], s[0:1], 3
	s_wait_kmcnt 0x0
	v_add3_u32 v3, s11, s11, v0
	s_ashr_i32 s13, s10, 31
	s_mov_b32 s12, s10
	s_add_nc_u64 s[0:1], s[8:9], s[0:1]
	s_lshl_b64 s[12:13], s[12:13], 3
	v_add_nc_u32_e32 v9, s11, v3
	v_ashrrev_i32_e32 v4, 31, v3
	s_add_nc_u64 s[0:1], s[0:1], s[12:13]
	s_ashr_i32 s9, s11, 31
	v_add_co_u32 v5, s5, s0, v77
	v_add_nc_u32_e32 v11, s11, v9
	s_mov_b32 s8, s11
	v_lshlrev_b64_e32 v[3:4], 3, v[3:4]
	v_add_co_ci_u32_e64 v6, null, s1, 0, s5
	s_delay_alu instid0(VALU_DEP_3)
	v_add_nc_u32_e32 v15, s11, v11
	v_ashrrev_i32_e32 v10, 31, v9
	s_lshl_b64 s[8:9], s[8:9], 3
	v_ashrrev_i32_e32 v12, 31, v11
	v_add_co_u32 v7, vcc_lo, v5, s8
	v_add_nc_u32_e32 v17, s11, v15
	v_ashrrev_i32_e32 v16, 31, v15
	v_add_co_ci_u32_e64 v8, null, s9, v6, vcc_lo
	v_lshlrev_b64_e32 v[13:14], 3, v[9:10]
	s_delay_alu instid0(VALU_DEP_4)
	v_add_nc_u32_e32 v19, s11, v17
	v_add_co_u32 v9, vcc_lo, s0, v3
	v_ashrrev_i32_e32 v18, 31, v17
	s_wait_alu 0xfffd
	v_add_co_ci_u32_e64 v10, null, s1, v4, vcc_lo
	v_add_nc_u32_e32 v21, s11, v19
	v_lshlrev_b64_e32 v[3:4], 3, v[11:12]
	v_ashrrev_i32_e32 v20, 31, v19
	v_lshlrev_b64_e32 v[15:16], 3, v[15:16]
	v_add_co_u32 v11, vcc_lo, s0, v13
	v_add_nc_u32_e32 v23, s11, v21
	v_ashrrev_i32_e32 v22, 31, v21
	v_lshlrev_b64_e32 v[17:18], 3, v[17:18]
	s_wait_alu 0xfffd
	v_add_co_ci_u32_e64 v12, null, s1, v14, vcc_lo
	v_add_nc_u32_e32 v25, s11, v23
	v_ashrrev_i32_e32 v24, 31, v23
	v_add_co_u32 v13, vcc_lo, s0, v3
	v_lshlrev_b64_e32 v[19:20], 3, v[19:20]
	s_delay_alu instid0(VALU_DEP_4)
	v_add_nc_u32_e32 v27, s11, v25
	v_ashrrev_i32_e32 v26, 31, v25
	s_wait_alu 0xfffd
	v_add_co_ci_u32_e64 v14, null, s1, v4, vcc_lo
	v_add_co_u32 v15, vcc_lo, s0, v15
	v_add_nc_u32_e32 v29, s11, v27
	v_lshlrev_b64_e32 v[21:22], 3, v[21:22]
	v_ashrrev_i32_e32 v28, 31, v27
	s_wait_alu 0xfffd
	v_add_co_ci_u32_e64 v16, null, s1, v16, vcc_lo
	v_add_nc_u32_e32 v31, s11, v29
	v_add_co_u32 v17, vcc_lo, s0, v17
	v_lshlrev_b64_e32 v[23:24], 3, v[23:24]
	v_ashrrev_i32_e32 v30, 31, v29
	s_delay_alu instid0(VALU_DEP_4) | instskip(SKIP_3) | instid1(VALU_DEP_3)
	v_add_nc_u32_e32 v33, s11, v31
	s_wait_alu 0xfffd
	v_add_co_ci_u32_e64 v18, null, s1, v18, vcc_lo
	v_add_co_u32 v19, vcc_lo, s0, v19
	v_add_nc_u32_e32 v35, s11, v33
	v_lshlrev_b64_e32 v[25:26], 3, v[25:26]
	v_ashrrev_i32_e32 v32, 31, v31
	s_wait_alu 0xfffd
	v_add_co_ci_u32_e64 v20, null, s1, v20, vcc_lo
	v_add_nc_u32_e32 v37, s11, v35
	v_add_co_u32 v21, vcc_lo, s0, v21
	v_lshlrev_b64_e32 v[27:28], 3, v[27:28]
	v_ashrrev_i32_e32 v34, 31, v33
	s_delay_alu instid0(VALU_DEP_4) | instskip(SKIP_3) | instid1(VALU_DEP_3)
	v_add_nc_u32_e32 v39, s11, v37
	;; [unrolled: 14-line block ×6, first 2 shown]
	s_wait_alu 0xfffd
	v_add_co_ci_u32_e64 v38, null, s1, v38, vcc_lo
	v_add_co_u32 v39, vcc_lo, s0, v39
	v_add_nc_u32_e32 v65, s11, v63
	v_lshlrev_b64_e32 v[45:46], 3, v[45:46]
	v_ashrrev_i32_e32 v52, 31, v51
	s_wait_alu 0xfffd
	v_add_co_ci_u32_e64 v40, null, s1, v40, vcc_lo
	v_add_co_u32 v41, vcc_lo, s0, v41
	v_lshlrev_b64_e32 v[47:48], 3, v[47:48]
	v_ashrrev_i32_e32 v54, 31, v53
	v_add_nc_u32_e32 v67, s11, v65
	s_wait_alu 0xfffd
	v_add_co_ci_u32_e64 v42, null, s1, v42, vcc_lo
	v_add_co_u32 v43, vcc_lo, s0, v43
	v_lshlrev_b64_e32 v[49:50], 3, v[49:50]
	v_ashrrev_i32_e32 v56, 31, v55
	s_wait_alu 0xfffd
	v_add_co_ci_u32_e64 v44, null, s1, v44, vcc_lo
	v_add_co_u32 v45, vcc_lo, s0, v45
	v_lshlrev_b64_e32 v[51:52], 3, v[51:52]
	v_ashrrev_i32_e32 v58, 31, v57
	s_wait_alu 0xfffd
	v_add_co_ci_u32_e64 v46, null, s1, v46, vcc_lo
	v_add_co_u32 v47, vcc_lo, s0, v47
	v_lshlrev_b64_e32 v[53:54], 3, v[53:54]
	v_add_nc_u32_e32 v69, s11, v67
	v_ashrrev_i32_e32 v60, 31, v59
	s_wait_alu 0xfffd
	v_add_co_ci_u32_e64 v48, null, s1, v48, vcc_lo
	v_add_co_u32 v49, vcc_lo, s0, v49
	v_lshlrev_b64_e32 v[55:56], 3, v[55:56]
	v_ashrrev_i32_e32 v62, 31, v61
	s_wait_alu 0xfffd
	v_add_co_ci_u32_e64 v50, null, s1, v50, vcc_lo
	v_add_co_u32 v51, vcc_lo, s0, v51
	v_lshlrev_b64_e32 v[57:58], 3, v[57:58]
	v_ashrrev_i32_e32 v64, 31, v63
	v_add_nc_u32_e32 v71, s11, v69
	s_wait_alu 0xfffd
	v_add_co_ci_u32_e64 v52, null, s1, v52, vcc_lo
	v_add_co_u32 v53, vcc_lo, s0, v53
	v_lshlrev_b64_e32 v[59:60], 3, v[59:60]
	v_ashrrev_i32_e32 v66, 31, v65
	s_wait_alu 0xfffd
	v_add_co_ci_u32_e64 v54, null, s1, v54, vcc_lo
	v_add_co_u32 v55, vcc_lo, s0, v55
	v_lshlrev_b64_e32 v[61:62], 3, v[61:62]
	v_ashrrev_i32_e32 v68, 31, v67
	s_wait_alu 0xfffd
	v_add_co_ci_u32_e64 v56, null, s1, v56, vcc_lo
	v_add_co_u32 v57, vcc_lo, s0, v57
	v_lshlrev_b64_e32 v[63:64], 3, v[63:64]
	v_add_nc_u32_e32 v73, s11, v71
	v_ashrrev_i32_e32 v70, 31, v69
	s_wait_alu 0xfffd
	v_add_co_ci_u32_e64 v58, null, s1, v58, vcc_lo
	v_add_co_u32 v59, vcc_lo, s0, v59
	v_lshlrev_b64_e32 v[65:66], 3, v[65:66]
	v_ashrrev_i32_e32 v72, 31, v71
	s_wait_alu 0xfffd
	v_add_co_ci_u32_e64 v60, null, s1, v60, vcc_lo
	v_add_co_u32 v61, vcc_lo, s0, v61
	v_lshlrev_b64_e32 v[67:68], 3, v[67:68]
	v_ashrrev_i32_e32 v74, 31, v73
	s_wait_alu 0xfffd
	v_add_co_ci_u32_e64 v62, null, s1, v62, vcc_lo
	v_add_co_u32 v63, vcc_lo, s0, v63
	v_lshlrev_b64_e32 v[69:70], 3, v[69:70]
	s_wait_alu 0xfffd
	v_add_co_ci_u32_e64 v64, null, s1, v64, vcc_lo
	v_add_co_u32 v65, vcc_lo, s0, v65
	v_lshlrev_b64_e32 v[71:72], 3, v[71:72]
	s_wait_alu 0xfffd
	v_add_co_ci_u32_e64 v66, null, s1, v66, vcc_lo
	v_add_co_u32 v67, vcc_lo, s0, v67
	v_lshlrev_b64_e32 v[73:74], 3, v[73:74]
	s_wait_alu 0xfffd
	v_add_co_ci_u32_e64 v68, null, s1, v68, vcc_lo
	v_add_co_u32 v69, vcc_lo, s0, v69
	s_wait_alu 0xfffd
	v_add_co_ci_u32_e64 v70, null, s1, v70, vcc_lo
	v_add_co_u32 v71, vcc_lo, s0, v71
	;; [unrolled: 3-line block ×3, first 2 shown]
	s_clause 0x4
	global_load_b64 v[1:2], v77, s[0:1]
	global_load_b64 v[3:4], v[7:8], off
	global_load_b64 v[78:79], v[9:10], off
	;; [unrolled: 1-line block ×4, first 2 shown]
	s_wait_alu 0xfffd
	v_add_co_ci_u32_e64 v74, null, s1, v74, vcc_lo
	s_clause 0x1d
	global_load_b64 v[84:85], v[15:16], off
	global_load_b64 v[86:87], v[17:18], off
	;; [unrolled: 1-line block ×30, first 2 shown]
	s_mov_b32 s1, -1
	s_bitcmp0_b32 s4, 0
	s_wait_loadcnt 0x21
	scratch_store_b128 off, v[1:4], off
	s_wait_loadcnt 0x1f
	scratch_store_b128 off, v[78:81], off offset:16
	s_wait_loadcnt 0x1d
	scratch_store_b128 off, v[82:85], off offset:32
	s_wait_loadcnt 0x1b
	scratch_store_b128 off, v[86:89], off offset:48
	s_wait_loadcnt 0x19
	scratch_store_b128 off, v[90:93], off offset:64
	s_wait_loadcnt 0x17
	scratch_store_b128 off, v[94:97], off offset:80
	s_wait_loadcnt 0x15
	scratch_store_b128 off, v[98:101], off offset:96
	s_wait_loadcnt 0x13
	scratch_store_b128 off, v[102:105], off offset:112
	s_wait_loadcnt 0x11
	scratch_store_b128 off, v[106:109], off offset:128
	s_wait_loadcnt 0xf
	scratch_store_b128 off, v[110:113], off offset:144
	s_wait_loadcnt 0xd
	scratch_store_b128 off, v[114:117], off offset:160
	s_wait_loadcnt 0xb
	scratch_store_b128 off, v[118:121], off offset:176
	s_wait_loadcnt 0x9
	scratch_store_b128 off, v[122:125], off offset:192
	s_wait_loadcnt 0x7
	scratch_store_b128 off, v[126:129], off offset:208
	s_wait_loadcnt 0x5
	scratch_store_b128 off, v[130:133], off offset:224
	s_wait_loadcnt 0x3
	scratch_store_b128 off, v[134:137], off offset:240
	s_wait_loadcnt 0x1
	scratch_store_b128 off, v[138:141], off offset:256
	s_wait_loadcnt 0x0
	scratch_store_b64 off, v[75:76], off offset:272
	s_cbranch_scc1 .LBB34_152
; %bb.4:
	v_cmp_eq_u32_e64 s0, 0, v0
	s_and_saveexec_b32 s1, s0
; %bb.5:
	v_mov_b32_e32 v1, 0
	ds_store_b32 v1, v1 offset:280
; %bb.6:
	s_wait_alu 0xfffe
	s_or_b32 exec_lo, exec_lo, s1
	s_wait_storecnt_dscnt 0x0
	s_barrier_signal -1
	s_barrier_wait -1
	global_inv scope:SCOPE_SE
	scratch_load_b64 v[1:2], v77, off
	s_wait_loadcnt 0x0
	v_cmp_eq_f32_e32 vcc_lo, 0, v1
	v_cmp_eq_f32_e64 s1, 0, v2
	s_and_b32 s1, vcc_lo, s1
	s_wait_alu 0xfffe
	s_and_saveexec_b32 s4, s1
	s_cbranch_execz .LBB34_10
; %bb.7:
	v_mov_b32_e32 v1, 0
	s_mov_b32 s5, 0
	ds_load_b32 v2, v1 offset:280
	s_wait_dscnt 0x0
	v_readfirstlane_b32 s1, v2
	v_add_nc_u32_e32 v2, 1, v0
	s_cmp_eq_u32 s1, 0
	s_delay_alu instid0(VALU_DEP_1)
	v_cmp_gt_i32_e32 vcc_lo, s1, v2
	s_cselect_b32 s8, -1, 0
	s_wait_alu 0xfffe
	s_or_b32 s8, s8, vcc_lo
	s_wait_alu 0xfffe
	s_and_b32 exec_lo, exec_lo, s8
	s_cbranch_execz .LBB34_10
; %bb.8:
	v_mov_b32_e32 v3, s1
.LBB34_9:                               ; =>This Inner Loop Header: Depth=1
	ds_cmpstore_rtn_b32 v3, v1, v2, v3 offset:280
	s_wait_dscnt 0x0
	v_cmp_ne_u32_e32 vcc_lo, 0, v3
	v_cmp_le_i32_e64 s1, v3, v2
	s_and_b32 s1, vcc_lo, s1
	s_wait_alu 0xfffe
	s_and_b32 s1, exec_lo, s1
	s_wait_alu 0xfffe
	s_or_b32 s5, s1, s5
	s_wait_alu 0xfffe
	s_and_not1_b32 exec_lo, exec_lo, s5
	s_cbranch_execnz .LBB34_9
.LBB34_10:
	s_wait_alu 0xfffe
	s_or_b32 exec_lo, exec_lo, s4
	v_mov_b32_e32 v1, 0
	s_barrier_signal -1
	s_barrier_wait -1
	global_inv scope:SCOPE_SE
	ds_load_b32 v2, v1 offset:280
	s_and_saveexec_b32 s1, s0
	s_cbranch_execz .LBB34_12
; %bb.11:
	s_lshl_b64 s[4:5], s[16:17], 2
	s_wait_alu 0xfffe
	s_add_nc_u64 s[4:5], s[6:7], s[4:5]
	s_wait_dscnt 0x0
	global_store_b32 v1, v2, s[4:5]
.LBB34_12:
	s_wait_alu 0xfffe
	s_or_b32 exec_lo, exec_lo, s1
	s_wait_dscnt 0x0
	v_cmp_ne_u32_e32 vcc_lo, 0, v2
	s_mov_b32 s1, 0
	s_cbranch_vccnz .LBB34_152
; %bb.13:
	v_mov_b32_e32 v78, v77
                                        ; implicit-def: $vgpr3
                                        ; implicit-def: $vgpr75
	scratch_load_b64 v[1:2], v78, off
	s_wait_loadcnt 0x0
	v_cmp_ngt_f32_e64 s1, |v1|, |v2|
	s_wait_alu 0xfffe
	s_and_saveexec_b32 s4, s1
	s_wait_alu 0xfffe
	s_xor_b32 s1, exec_lo, s4
	s_cbranch_execz .LBB34_15
; %bb.14:
	v_div_scale_f32 v3, null, v2, v2, v1
	v_div_scale_f32 v76, vcc_lo, v1, v2, v1
	s_delay_alu instid0(VALU_DEP_2) | instskip(NEXT) | instid1(TRANS32_DEP_1)
	v_rcp_f32_e32 v4, v3
	v_fma_f32 v75, -v3, v4, 1.0
	s_delay_alu instid0(VALU_DEP_1) | instskip(NEXT) | instid1(VALU_DEP_1)
	v_fmac_f32_e32 v4, v75, v4
	v_mul_f32_e32 v75, v76, v4
	s_delay_alu instid0(VALU_DEP_1) | instskip(NEXT) | instid1(VALU_DEP_1)
	v_fma_f32 v79, -v3, v75, v76
	v_fmac_f32_e32 v75, v79, v4
	s_delay_alu instid0(VALU_DEP_1) | instskip(SKIP_1) | instid1(VALU_DEP_1)
	v_fma_f32 v3, -v3, v75, v76
	s_wait_alu 0xfffd
	v_div_fmas_f32 v3, v3, v4, v75
	s_delay_alu instid0(VALU_DEP_1) | instskip(NEXT) | instid1(VALU_DEP_1)
	v_div_fixup_f32 v3, v3, v2, v1
	v_fmac_f32_e32 v2, v1, v3
	s_delay_alu instid0(VALU_DEP_1) | instskip(NEXT) | instid1(VALU_DEP_1)
	v_div_scale_f32 v1, null, v2, v2, 1.0
	v_rcp_f32_e32 v4, v1
	s_delay_alu instid0(TRANS32_DEP_1) | instskip(NEXT) | instid1(VALU_DEP_1)
	v_fma_f32 v75, -v1, v4, 1.0
	v_fmac_f32_e32 v4, v75, v4
	v_div_scale_f32 v75, vcc_lo, 1.0, v2, 1.0
	s_delay_alu instid0(VALU_DEP_1) | instskip(NEXT) | instid1(VALU_DEP_1)
	v_mul_f32_e32 v76, v75, v4
	v_fma_f32 v79, -v1, v76, v75
	s_delay_alu instid0(VALU_DEP_1) | instskip(NEXT) | instid1(VALU_DEP_1)
	v_fmac_f32_e32 v76, v79, v4
	v_fma_f32 v1, -v1, v76, v75
	s_wait_alu 0xfffd
	s_delay_alu instid0(VALU_DEP_1) | instskip(NEXT) | instid1(VALU_DEP_1)
	v_div_fmas_f32 v1, v1, v4, v76
	v_div_fixup_f32 v1, v1, v2, 1.0
	s_delay_alu instid0(VALU_DEP_1) | instskip(SKIP_1) | instid1(VALU_DEP_2)
	v_mul_f32_e32 v3, v3, v1
	v_xor_b32_e32 v4, 0x80000000, v1
                                        ; implicit-def: $vgpr1_vgpr2
	v_xor_b32_e32 v75, 0x80000000, v3
.LBB34_15:
	s_wait_alu 0xfffe
	s_and_not1_saveexec_b32 s1, s1
	s_cbranch_execz .LBB34_17
; %bb.16:
	v_div_scale_f32 v3, null, v1, v1, v2
	v_div_scale_f32 v76, vcc_lo, v2, v1, v2
	s_delay_alu instid0(VALU_DEP_2) | instskip(NEXT) | instid1(TRANS32_DEP_1)
	v_rcp_f32_e32 v4, v3
	v_fma_f32 v75, -v3, v4, 1.0
	s_delay_alu instid0(VALU_DEP_1) | instskip(NEXT) | instid1(VALU_DEP_1)
	v_fmac_f32_e32 v4, v75, v4
	v_mul_f32_e32 v75, v76, v4
	s_delay_alu instid0(VALU_DEP_1) | instskip(NEXT) | instid1(VALU_DEP_1)
	v_fma_f32 v79, -v3, v75, v76
	v_fmac_f32_e32 v75, v79, v4
	s_delay_alu instid0(VALU_DEP_1) | instskip(SKIP_1) | instid1(VALU_DEP_1)
	v_fma_f32 v3, -v3, v75, v76
	s_wait_alu 0xfffd
	v_div_fmas_f32 v3, v3, v4, v75
	s_delay_alu instid0(VALU_DEP_1) | instskip(NEXT) | instid1(VALU_DEP_1)
	v_div_fixup_f32 v4, v3, v1, v2
	v_fmac_f32_e32 v1, v2, v4
	s_delay_alu instid0(VALU_DEP_1) | instskip(SKIP_1) | instid1(VALU_DEP_2)
	v_div_scale_f32 v2, null, v1, v1, 1.0
	v_div_scale_f32 v76, vcc_lo, 1.0, v1, 1.0
	v_rcp_f32_e32 v3, v2
	s_delay_alu instid0(TRANS32_DEP_1) | instskip(NEXT) | instid1(VALU_DEP_1)
	v_fma_f32 v75, -v2, v3, 1.0
	v_fmac_f32_e32 v3, v75, v3
	s_delay_alu instid0(VALU_DEP_1) | instskip(NEXT) | instid1(VALU_DEP_1)
	v_mul_f32_e32 v75, v76, v3
	v_fma_f32 v79, -v2, v75, v76
	s_delay_alu instid0(VALU_DEP_1) | instskip(NEXT) | instid1(VALU_DEP_1)
	v_fmac_f32_e32 v75, v79, v3
	v_fma_f32 v2, -v2, v75, v76
	s_wait_alu 0xfffd
	s_delay_alu instid0(VALU_DEP_1) | instskip(NEXT) | instid1(VALU_DEP_1)
	v_div_fmas_f32 v2, v2, v3, v75
	v_div_fixup_f32 v3, v2, v1, 1.0
	s_delay_alu instid0(VALU_DEP_1)
	v_xor_b32_e32 v75, 0x80000000, v3
	v_mul_f32_e64 v4, v4, -v3
.LBB34_17:
	s_wait_alu 0xfffe
	s_or_b32 exec_lo, exec_lo, s1
	scratch_store_b64 v78, v[3:4], off
	scratch_load_b64 v[2:3], off, off offset:8
	v_xor_b32_e32 v76, 0x80000000, v4
	v_add_nc_u32_e32 v1, 0x120, v77
	s_wait_loadcnt 0x0
	ds_store_2addr_b64 v77, v[75:76], v[2:3] offset1:36
	s_wait_storecnt_dscnt 0x0
	s_barrier_signal -1
	s_barrier_wait -1
	global_inv scope:SCOPE_SE
	s_and_saveexec_b32 s1, s0
	s_cbranch_execz .LBB34_19
; %bb.18:
	scratch_load_b64 v[2:3], v78, off
	ds_load_b64 v[75:76], v1
	v_mov_b32_e32 v4, 0
	ds_load_b64 v[79:80], v4 offset:8
	s_wait_loadcnt_dscnt 0x1
	v_mul_f32_e32 v4, v75, v3
	v_mul_f32_e32 v3, v76, v3
	s_delay_alu instid0(VALU_DEP_2) | instskip(NEXT) | instid1(VALU_DEP_2)
	v_fmac_f32_e32 v4, v76, v2
	v_fma_f32 v2, v75, v2, -v3
	s_delay_alu instid0(VALU_DEP_2) | instskip(SKIP_1) | instid1(VALU_DEP_1)
	v_add_f32_e32 v4, 0, v4
	s_wait_dscnt 0x0
	v_dual_add_f32 v2, 0, v2 :: v_dual_mul_f32 v75, v4, v80
	s_delay_alu instid0(VALU_DEP_1) | instskip(NEXT) | instid1(VALU_DEP_2)
	v_mul_f32_e32 v3, v2, v80
	v_fma_f32 v2, v2, v79, -v75
	s_delay_alu instid0(VALU_DEP_2)
	v_fmac_f32_e32 v3, v4, v79
	scratch_store_b64 off, v[2:3], off offset:8
.LBB34_19:
	s_wait_alu 0xfffe
	s_or_b32 exec_lo, exec_lo, s1
	s_wait_loadcnt 0x0
	s_wait_storecnt 0x0
	s_barrier_signal -1
	s_barrier_wait -1
	global_inv scope:SCOPE_SE
	scratch_load_b64 v[2:3], off, off offset:16
	s_mov_b32 s1, exec_lo
	s_wait_loadcnt 0x0
	ds_store_b64 v1, v[2:3]
	s_wait_dscnt 0x0
	s_barrier_signal -1
	s_barrier_wait -1
	global_inv scope:SCOPE_SE
	v_cmpx_gt_u32_e32 2, v0
	s_cbranch_execz .LBB34_23
; %bb.20:
	scratch_load_b64 v[2:3], v78, off
	ds_load_b64 v[75:76], v1
	s_wait_loadcnt_dscnt 0x0
	v_mul_f32_e32 v4, v76, v3
	v_mul_f32_e32 v79, v75, v3
	s_delay_alu instid0(VALU_DEP_2) | instskip(NEXT) | instid1(VALU_DEP_2)
	v_fma_f32 v3, v75, v2, -v4
	v_fmac_f32_e32 v79, v76, v2
	s_delay_alu instid0(VALU_DEP_2) | instskip(NEXT) | instid1(VALU_DEP_2)
	v_add_f32_e32 v3, 0, v3
	v_add_f32_e32 v2, 0, v79
	s_and_saveexec_b32 s4, s0
	s_cbranch_execz .LBB34_22
; %bb.21:
	scratch_load_b64 v[75:76], off, off offset:8
	v_mov_b32_e32 v4, 0
	ds_load_b64 v[79:80], v4 offset:296
	s_wait_loadcnt_dscnt 0x0
	v_mul_f32_e32 v4, v79, v76
	v_mul_f32_e32 v76, v80, v76
	s_delay_alu instid0(VALU_DEP_2) | instskip(NEXT) | instid1(VALU_DEP_2)
	v_fmac_f32_e32 v4, v80, v75
	v_fma_f32 v75, v79, v75, -v76
	s_delay_alu instid0(VALU_DEP_1)
	v_dual_add_f32 v2, v2, v4 :: v_dual_add_f32 v3, v3, v75
.LBB34_22:
	s_wait_alu 0xfffe
	s_or_b32 exec_lo, exec_lo, s4
	v_mov_b32_e32 v4, 0
	ds_load_b64 v[75:76], v4 offset:16
	s_wait_dscnt 0x0
	v_mul_f32_e32 v79, v2, v76
	v_mul_f32_e32 v4, v3, v76
	s_delay_alu instid0(VALU_DEP_2) | instskip(NEXT) | instid1(VALU_DEP_2)
	v_fma_f32 v3, v3, v75, -v79
	v_fmac_f32_e32 v4, v2, v75
	scratch_store_b64 off, v[3:4], off offset:16
.LBB34_23:
	s_wait_alu 0xfffe
	s_or_b32 exec_lo, exec_lo, s1
	s_wait_loadcnt 0x0
	s_wait_storecnt 0x0
	s_barrier_signal -1
	s_barrier_wait -1
	global_inv scope:SCOPE_SE
	scratch_load_b64 v[3:4], off, off offset:24
	v_add_nc_u32_e32 v2, -1, v0
	s_mov_b32 s0, exec_lo
	s_wait_loadcnt 0x0
	ds_store_b64 v1, v[3:4]
	s_wait_dscnt 0x0
	s_barrier_signal -1
	s_barrier_wait -1
	global_inv scope:SCOPE_SE
	v_cmpx_gt_u32_e32 3, v0
	s_cbranch_execz .LBB34_27
; %bb.24:
	v_dual_mov_b32 v3, 0 :: v_dual_add_nc_u32 v4, -1, v0
	v_dual_mov_b32 v76, v77 :: v_dual_add_nc_u32 v75, 0x120, v77
	v_mov_b32_e32 v79, 0
	s_mov_b32 s1, 0
.LBB34_25:                              ; =>This Inner Loop Header: Depth=1
	scratch_load_b64 v[80:81], v76, off
	ds_load_b64 v[82:83], v75
	v_add_nc_u32_e32 v4, 1, v4
	v_add_nc_u32_e32 v75, 8, v75
	s_delay_alu instid0(VALU_DEP_2)
	v_cmp_lt_u32_e32 vcc_lo, 1, v4
	s_wait_alu 0xfffe
	s_or_b32 s1, vcc_lo, s1
	s_wait_loadcnt_dscnt 0x0
	v_mul_f32_e32 v84, v83, v81
	v_mul_f32_e32 v81, v82, v81
	s_delay_alu instid0(VALU_DEP_2) | instskip(NEXT) | instid1(VALU_DEP_2)
	v_fma_f32 v82, v82, v80, -v84
	v_fmac_f32_e32 v81, v83, v80
	s_delay_alu instid0(VALU_DEP_2) | instskip(NEXT) | instid1(VALU_DEP_2)
	v_dual_add_f32 v79, v79, v82 :: v_dual_add_nc_u32 v76, 8, v76
	v_add_f32_e32 v3, v3, v81
	s_wait_alu 0xfffe
	s_and_not1_b32 exec_lo, exec_lo, s1
	s_cbranch_execnz .LBB34_25
; %bb.26:
	s_or_b32 exec_lo, exec_lo, s1
	v_mov_b32_e32 v4, 0
	ds_load_b64 v[75:76], v4 offset:24
	s_wait_dscnt 0x0
	v_mul_f32_e32 v4, v3, v76
	v_mul_f32_e32 v80, v79, v76
	s_delay_alu instid0(VALU_DEP_2) | instskip(NEXT) | instid1(VALU_DEP_2)
	v_fma_f32 v79, v79, v75, -v4
	v_fmac_f32_e32 v80, v3, v75
	scratch_store_b64 off, v[79:80], off offset:24
.LBB34_27:
	s_wait_alu 0xfffe
	s_or_b32 exec_lo, exec_lo, s0
	s_wait_loadcnt 0x0
	s_wait_storecnt 0x0
	s_barrier_signal -1
	s_barrier_wait -1
	global_inv scope:SCOPE_SE
	scratch_load_b64 v[3:4], off, off offset:32
	s_mov_b32 s0, exec_lo
	s_wait_loadcnt 0x0
	ds_store_b64 v1, v[3:4]
	s_wait_dscnt 0x0
	s_barrier_signal -1
	s_barrier_wait -1
	global_inv scope:SCOPE_SE
	v_cmpx_gt_u32_e32 4, v0
	s_cbranch_execz .LBB34_31
; %bb.28:
	v_dual_mov_b32 v3, 0 :: v_dual_add_nc_u32 v4, -1, v0
	v_dual_mov_b32 v76, v77 :: v_dual_add_nc_u32 v75, 0x120, v77
	v_mov_b32_e32 v79, 0
	s_mov_b32 s1, 0
.LBB34_29:                              ; =>This Inner Loop Header: Depth=1
	scratch_load_b64 v[80:81], v76, off
	ds_load_b64 v[82:83], v75
	v_add_nc_u32_e32 v4, 1, v4
	v_add_nc_u32_e32 v75, 8, v75
	s_delay_alu instid0(VALU_DEP_2)
	v_cmp_lt_u32_e32 vcc_lo, 2, v4
	s_wait_alu 0xfffe
	s_or_b32 s1, vcc_lo, s1
	s_wait_loadcnt_dscnt 0x0
	v_mul_f32_e32 v84, v83, v81
	v_mul_f32_e32 v81, v82, v81
	s_delay_alu instid0(VALU_DEP_2) | instskip(NEXT) | instid1(VALU_DEP_2)
	v_fma_f32 v82, v82, v80, -v84
	v_fmac_f32_e32 v81, v83, v80
	s_delay_alu instid0(VALU_DEP_2) | instskip(NEXT) | instid1(VALU_DEP_2)
	v_dual_add_f32 v79, v79, v82 :: v_dual_add_nc_u32 v76, 8, v76
	v_add_f32_e32 v3, v3, v81
	s_wait_alu 0xfffe
	s_and_not1_b32 exec_lo, exec_lo, s1
	s_cbranch_execnz .LBB34_29
; %bb.30:
	s_or_b32 exec_lo, exec_lo, s1
	v_mov_b32_e32 v4, 0
	ds_load_b64 v[75:76], v4 offset:32
	s_wait_dscnt 0x0
	v_mul_f32_e32 v4, v3, v76
	v_mul_f32_e32 v80, v79, v76
	s_delay_alu instid0(VALU_DEP_2) | instskip(NEXT) | instid1(VALU_DEP_2)
	v_fma_f32 v79, v79, v75, -v4
	v_fmac_f32_e32 v80, v3, v75
	scratch_store_b64 off, v[79:80], off offset:32
.LBB34_31:
	s_wait_alu 0xfffe
	s_or_b32 exec_lo, exec_lo, s0
	s_wait_loadcnt 0x0
	s_wait_storecnt 0x0
	s_barrier_signal -1
	s_barrier_wait -1
	global_inv scope:SCOPE_SE
	scratch_load_b64 v[3:4], off, off offset:40
	;; [unrolled: 55-line block ×19, first 2 shown]
	s_mov_b32 s0, exec_lo
	s_wait_loadcnt 0x0
	ds_store_b64 v1, v[3:4]
	s_wait_dscnt 0x0
	s_barrier_signal -1
	s_barrier_wait -1
	global_inv scope:SCOPE_SE
	v_cmpx_gt_u32_e32 22, v0
	s_cbranch_execz .LBB34_103
; %bb.100:
	v_dual_mov_b32 v3, 0 :: v_dual_add_nc_u32 v4, -1, v0
	v_dual_mov_b32 v76, v77 :: v_dual_add_nc_u32 v75, 0x120, v77
	v_mov_b32_e32 v79, 0
	s_mov_b32 s1, 0
.LBB34_101:                             ; =>This Inner Loop Header: Depth=1
	scratch_load_b64 v[80:81], v76, off
	ds_load_b64 v[82:83], v75
	v_add_nc_u32_e32 v4, 1, v4
	v_add_nc_u32_e32 v75, 8, v75
	s_delay_alu instid0(VALU_DEP_2)
	v_cmp_lt_u32_e32 vcc_lo, 20, v4
	s_wait_alu 0xfffe
	s_or_b32 s1, vcc_lo, s1
	s_wait_loadcnt_dscnt 0x0
	v_mul_f32_e32 v84, v83, v81
	v_mul_f32_e32 v81, v82, v81
	s_delay_alu instid0(VALU_DEP_2) | instskip(NEXT) | instid1(VALU_DEP_2)
	v_fma_f32 v82, v82, v80, -v84
	v_fmac_f32_e32 v81, v83, v80
	s_delay_alu instid0(VALU_DEP_2) | instskip(NEXT) | instid1(VALU_DEP_2)
	v_dual_add_f32 v79, v79, v82 :: v_dual_add_nc_u32 v76, 8, v76
	v_add_f32_e32 v3, v3, v81
	s_wait_alu 0xfffe
	s_and_not1_b32 exec_lo, exec_lo, s1
	s_cbranch_execnz .LBB34_101
; %bb.102:
	s_or_b32 exec_lo, exec_lo, s1
	v_mov_b32_e32 v4, 0
	ds_load_b64 v[75:76], v4 offset:176
	s_wait_dscnt 0x0
	v_mul_f32_e32 v4, v3, v76
	v_mul_f32_e32 v80, v79, v76
	s_delay_alu instid0(VALU_DEP_2) | instskip(NEXT) | instid1(VALU_DEP_2)
	v_fma_f32 v79, v79, v75, -v4
	v_fmac_f32_e32 v80, v3, v75
	scratch_store_b64 off, v[79:80], off offset:176
.LBB34_103:
	s_wait_alu 0xfffe
	s_or_b32 exec_lo, exec_lo, s0
	s_wait_loadcnt 0x0
	s_wait_storecnt 0x0
	s_barrier_signal -1
	s_barrier_wait -1
	global_inv scope:SCOPE_SE
	scratch_load_b64 v[3:4], off, off offset:184
	s_mov_b32 s0, exec_lo
	s_wait_loadcnt 0x0
	ds_store_b64 v1, v[3:4]
	s_wait_dscnt 0x0
	s_barrier_signal -1
	s_barrier_wait -1
	global_inv scope:SCOPE_SE
	v_cmpx_gt_u32_e32 23, v0
	s_cbranch_execz .LBB34_107
; %bb.104:
	v_dual_mov_b32 v3, 0 :: v_dual_add_nc_u32 v4, -1, v0
	v_dual_mov_b32 v76, v77 :: v_dual_add_nc_u32 v75, 0x120, v77
	v_mov_b32_e32 v79, 0
	s_mov_b32 s1, 0
.LBB34_105:                             ; =>This Inner Loop Header: Depth=1
	scratch_load_b64 v[80:81], v76, off
	ds_load_b64 v[82:83], v75
	v_add_nc_u32_e32 v4, 1, v4
	v_add_nc_u32_e32 v75, 8, v75
	s_delay_alu instid0(VALU_DEP_2)
	v_cmp_lt_u32_e32 vcc_lo, 21, v4
	s_wait_alu 0xfffe
	s_or_b32 s1, vcc_lo, s1
	s_wait_loadcnt_dscnt 0x0
	v_mul_f32_e32 v84, v83, v81
	v_mul_f32_e32 v81, v82, v81
	s_delay_alu instid0(VALU_DEP_2) | instskip(NEXT) | instid1(VALU_DEP_2)
	v_fma_f32 v82, v82, v80, -v84
	v_fmac_f32_e32 v81, v83, v80
	s_delay_alu instid0(VALU_DEP_2) | instskip(NEXT) | instid1(VALU_DEP_2)
	v_dual_add_f32 v79, v79, v82 :: v_dual_add_nc_u32 v76, 8, v76
	v_add_f32_e32 v3, v3, v81
	s_wait_alu 0xfffe
	s_and_not1_b32 exec_lo, exec_lo, s1
	s_cbranch_execnz .LBB34_105
; %bb.106:
	s_or_b32 exec_lo, exec_lo, s1
	v_mov_b32_e32 v4, 0
	ds_load_b64 v[75:76], v4 offset:184
	s_wait_dscnt 0x0
	v_mul_f32_e32 v4, v3, v76
	v_mul_f32_e32 v80, v79, v76
	s_delay_alu instid0(VALU_DEP_2) | instskip(NEXT) | instid1(VALU_DEP_2)
	v_fma_f32 v79, v79, v75, -v4
	v_fmac_f32_e32 v80, v3, v75
	scratch_store_b64 off, v[79:80], off offset:184
.LBB34_107:
	s_wait_alu 0xfffe
	s_or_b32 exec_lo, exec_lo, s0
	s_wait_loadcnt 0x0
	s_wait_storecnt 0x0
	s_barrier_signal -1
	s_barrier_wait -1
	global_inv scope:SCOPE_SE
	scratch_load_b64 v[3:4], off, off offset:192
	;; [unrolled: 55-line block ×11, first 2 shown]
	s_mov_b32 s0, exec_lo
	s_wait_loadcnt 0x0
	ds_store_b64 v1, v[3:4]
	s_wait_dscnt 0x0
	s_barrier_signal -1
	s_barrier_wait -1
	global_inv scope:SCOPE_SE
	v_cmpx_gt_u32_e32 33, v0
	s_cbranch_execz .LBB34_147
; %bb.144:
	v_dual_mov_b32 v3, 0 :: v_dual_add_nc_u32 v4, -1, v0
	v_dual_mov_b32 v76, v77 :: v_dual_add_nc_u32 v75, 0x120, v77
	v_mov_b32_e32 v77, 0
	s_mov_b32 s1, 0
.LBB34_145:                             ; =>This Inner Loop Header: Depth=1
	scratch_load_b64 v[79:80], v76, off
	ds_load_b64 v[81:82], v75
	v_add_nc_u32_e32 v76, 8, v76
	v_add_nc_u32_e32 v75, 8, v75
	s_wait_loadcnt_dscnt 0x0
	v_mul_f32_e32 v83, v82, v80
	v_mul_f32_e32 v80, v81, v80
	s_delay_alu instid0(VALU_DEP_2) | instskip(SKIP_1) | instid1(VALU_DEP_2)
	v_fma_f32 v81, v81, v79, -v83
	v_add_nc_u32_e32 v4, 1, v4
	v_dual_fmac_f32 v80, v82, v79 :: v_dual_add_f32 v77, v77, v81
	s_delay_alu instid0(VALU_DEP_2) | instskip(NEXT) | instid1(VALU_DEP_2)
	v_cmp_lt_u32_e32 vcc_lo, 31, v4
	v_add_f32_e32 v3, v3, v80
	s_wait_alu 0xfffe
	s_or_b32 s1, vcc_lo, s1
	s_wait_alu 0xfffe
	s_and_not1_b32 exec_lo, exec_lo, s1
	s_cbranch_execnz .LBB34_145
; %bb.146:
	s_or_b32 exec_lo, exec_lo, s1
	v_mov_b32_e32 v4, 0
	ds_load_b64 v[75:76], v4 offset:264
	s_wait_dscnt 0x0
	v_mul_f32_e32 v4, v3, v76
	v_mul_f32_e32 v80, v77, v76
	s_delay_alu instid0(VALU_DEP_2) | instskip(NEXT) | instid1(VALU_DEP_2)
	v_fma_f32 v79, v77, v75, -v4
	v_fmac_f32_e32 v80, v3, v75
	scratch_store_b64 off, v[79:80], off offset:264
.LBB34_147:
	s_wait_alu 0xfffe
	s_or_b32 exec_lo, exec_lo, s0
	s_wait_loadcnt 0x0
	s_wait_storecnt 0x0
	s_barrier_signal -1
	s_barrier_wait -1
	global_inv scope:SCOPE_SE
	scratch_load_b64 v[3:4], off, off offset:272
	s_mov_b32 s0, exec_lo
	s_wait_loadcnt 0x0
	ds_store_b64 v1, v[3:4]
	s_wait_dscnt 0x0
	s_barrier_signal -1
	s_barrier_wait -1
	global_inv scope:SCOPE_SE
	v_cmpx_ne_u32_e32 34, v0
	s_cbranch_execz .LBB34_151
; %bb.148:
	v_dual_mov_b32 v3, 0 :: v_dual_mov_b32 v4, 0
	s_mov_b32 s1, 0
.LBB34_149:                             ; =>This Inner Loop Header: Depth=1
	scratch_load_b64 v[75:76], v78, off
	ds_load_b64 v[79:80], v1
	v_add_nc_u32_e32 v2, 1, v2
	v_add_nc_u32_e32 v1, 8, v1
	s_delay_alu instid0(VALU_DEP_2)
	v_cmp_lt_u32_e32 vcc_lo, 32, v2
	s_wait_alu 0xfffe
	s_or_b32 s1, vcc_lo, s1
	s_wait_loadcnt_dscnt 0x0
	v_mul_f32_e32 v77, v80, v76
	v_mul_f32_e32 v76, v79, v76
	s_delay_alu instid0(VALU_DEP_2) | instskip(NEXT) | instid1(VALU_DEP_2)
	v_fma_f32 v77, v79, v75, -v77
	v_fmac_f32_e32 v76, v80, v75
	v_add_nc_u32_e32 v78, 8, v78
	s_delay_alu instid0(VALU_DEP_2)
	v_dual_add_f32 v4, v4, v77 :: v_dual_add_f32 v3, v3, v76
	s_wait_alu 0xfffe
	s_and_not1_b32 exec_lo, exec_lo, s1
	s_cbranch_execnz .LBB34_149
; %bb.150:
	s_or_b32 exec_lo, exec_lo, s1
	v_mov_b32_e32 v1, 0
	ds_load_b64 v[1:2], v1 offset:272
	s_wait_dscnt 0x0
	v_mul_f32_e32 v75, v3, v2
	v_mul_f32_e32 v76, v4, v2
	s_delay_alu instid0(VALU_DEP_2) | instskip(NEXT) | instid1(VALU_DEP_2)
	v_fma_f32 v75, v4, v1, -v75
	v_fmac_f32_e32 v76, v3, v1
	scratch_store_b64 off, v[75:76], off offset:272
.LBB34_151:
	s_wait_alu 0xfffe
	s_or_b32 exec_lo, exec_lo, s0
	s_mov_b32 s1, -1
	s_wait_loadcnt 0x0
	s_wait_storecnt 0x0
	s_barrier_signal -1
	s_barrier_wait -1
	global_inv scope:SCOPE_SE
.LBB34_152:
	s_wait_alu 0xfffe
	s_and_b32 vcc_lo, exec_lo, s1
	s_wait_alu 0xfffe
	s_cbranch_vccz .LBB34_154
; %bb.153:
	v_mov_b32_e32 v1, 0
	s_lshl_b64 s[0:1], s[16:17], 2
	s_wait_alu 0xfffe
	s_add_nc_u64 s[0:1], s[6:7], s[0:1]
	global_load_b32 v1, v1, s[0:1]
	s_wait_loadcnt 0x0
	v_cmp_ne_u32_e32 vcc_lo, 0, v1
	s_cbranch_vccz .LBB34_155
.LBB34_154:
	s_nop 0
	s_sendmsg sendmsg(MSG_DEALLOC_VGPRS)
	s_endpgm
.LBB34_155:
	v_lshl_add_u32 v3, v0, 3, 0x120
	s_mov_b32 s0, exec_lo
	v_cmpx_eq_u32_e32 34, v0
	s_cbranch_execz .LBB34_157
; %bb.156:
	scratch_load_b64 v[1:2], off, off offset:264
	v_mov_b32_e32 v75, 0
	s_delay_alu instid0(VALU_DEP_1)
	v_mov_b32_e32 v76, v75
	scratch_store_b64 off, v[75:76], off offset:264
	s_wait_loadcnt 0x0
	ds_store_b64 v3, v[1:2]
.LBB34_157:
	s_wait_alu 0xfffe
	s_or_b32 exec_lo, exec_lo, s0
	s_wait_storecnt_dscnt 0x0
	s_barrier_signal -1
	s_barrier_wait -1
	global_inv scope:SCOPE_SE
	s_clause 0x1
	scratch_load_b64 v[75:76], off, off offset:272
	scratch_load_b64 v[77:78], off, off offset:264
	v_mov_b32_e32 v1, 0
	s_mov_b32 s0, exec_lo
	ds_load_b64 v[79:80], v1 offset:560
	s_wait_loadcnt_dscnt 0x100
	v_mul_f32_e32 v2, v80, v76
	s_delay_alu instid0(VALU_DEP_1) | instskip(NEXT) | instid1(VALU_DEP_1)
	v_fma_f32 v2, v79, v75, -v2
	v_add_f32_e32 v2, 0, v2
	v_mul_f32_e32 v4, v79, v76
	s_wait_loadcnt 0x0
	s_delay_alu instid0(VALU_DEP_1) | instskip(NEXT) | instid1(VALU_DEP_1)
	v_dual_fmac_f32 v4, v80, v75 :: v_dual_sub_f32 v75, v77, v2
	v_add_f32_e32 v4, 0, v4
	s_delay_alu instid0(VALU_DEP_1)
	v_sub_f32_e32 v76, v78, v4
	scratch_store_b64 off, v[75:76], off offset:264
	v_cmpx_lt_u32_e32 32, v0
	s_cbranch_execz .LBB34_159
; %bb.158:
	scratch_load_b64 v[75:76], off, off offset:256
	v_mov_b32_e32 v2, v1
	scratch_store_b64 off, v[1:2], off offset:256
	s_wait_loadcnt 0x0
	ds_store_b64 v3, v[75:76]
.LBB34_159:
	s_wait_alu 0xfffe
	s_or_b32 exec_lo, exec_lo, s0
	s_wait_storecnt_dscnt 0x0
	s_barrier_signal -1
	s_barrier_wait -1
	global_inv scope:SCOPE_SE
	s_clause 0x1
	scratch_load_b128 v[75:78], off, off offset:264
	scratch_load_b64 v[83:84], off, off offset:256
	ds_load_2addr_b64 v[79:82], v1 offset0:69 offset1:70
	s_mov_b32 s0, exec_lo
	s_wait_loadcnt_dscnt 0x100
	v_dual_mul_f32 v1, v80, v76 :: v_dual_mul_f32 v4, v81, v78
	s_delay_alu instid0(VALU_DEP_1) | instskip(SKIP_1) | instid1(VALU_DEP_3)
	v_fma_f32 v1, v79, v75, -v1
	v_mul_f32_e32 v2, v79, v76
	v_fmac_f32_e32 v4, v82, v77
	s_delay_alu instid0(VALU_DEP_3) | instskip(NEXT) | instid1(VALU_DEP_3)
	v_dual_add_f32 v1, 0, v1 :: v_dual_mul_f32 v76, v82, v78
	v_fmac_f32_e32 v2, v80, v75
	s_delay_alu instid0(VALU_DEP_2) | instskip(NEXT) | instid1(VALU_DEP_1)
	v_fma_f32 v75, v81, v77, -v76
	v_add_f32_e32 v1, v1, v75
	s_wait_loadcnt 0x0
	s_delay_alu instid0(VALU_DEP_1) | instskip(NEXT) | instid1(VALU_DEP_1)
	v_dual_sub_f32 v1, v83, v1 :: v_dual_add_f32 v2, 0, v2
	v_add_f32_e32 v2, v2, v4
	s_delay_alu instid0(VALU_DEP_1)
	v_sub_f32_e32 v2, v84, v2
	scratch_store_b64 off, v[1:2], off offset:256
	v_cmpx_lt_u32_e32 31, v0
	s_cbranch_execz .LBB34_161
; %bb.160:
	scratch_load_b64 v[1:2], off, off offset:248
	v_mov_b32_e32 v75, 0
	s_delay_alu instid0(VALU_DEP_1)
	v_mov_b32_e32 v76, v75
	scratch_store_b64 off, v[75:76], off offset:248
	s_wait_loadcnt 0x0
	ds_store_b64 v3, v[1:2]
.LBB34_161:
	s_wait_alu 0xfffe
	s_or_b32 exec_lo, exec_lo, s0
	s_wait_storecnt_dscnt 0x0
	s_barrier_signal -1
	s_barrier_wait -1
	global_inv scope:SCOPE_SE
	s_clause 0x2
	scratch_load_b128 v[75:78], off, off offset:256
	scratch_load_b64 v[83:84], off, off offset:272
	scratch_load_b64 v[85:86], off, off offset:248
	v_mov_b32_e32 v1, 0
	ds_load_b128 v[79:82], v1 offset:544
	ds_load_b64 v[87:88], v1 offset:560
	s_mov_b32 s0, exec_lo
	s_wait_loadcnt_dscnt 0x201
	v_mul_f32_e32 v2, v80, v76
	s_wait_loadcnt_dscnt 0x100
	v_mul_f32_e32 v89, v87, v84
	v_mul_f32_e32 v4, v79, v76
	v_mul_f32_e32 v76, v81, v78
	v_mul_f32_e32 v78, v82, v78
	v_fma_f32 v2, v79, v75, -v2
	v_fmac_f32_e32 v89, v88, v83
	v_fmac_f32_e32 v4, v80, v75
	v_dual_mul_f32 v75, v88, v84 :: v_dual_fmac_f32 v76, v82, v77
	v_fma_f32 v77, v81, v77, -v78
	v_add_f32_e32 v2, 0, v2
	s_delay_alu instid0(VALU_DEP_3) | instskip(NEXT) | instid1(VALU_DEP_2)
	v_fma_f32 v75, v87, v83, -v75
	v_add_f32_e32 v2, v2, v77
	s_delay_alu instid0(VALU_DEP_1) | instskip(SKIP_1) | instid1(VALU_DEP_1)
	v_add_f32_e32 v2, v2, v75
	s_wait_loadcnt 0x0
	v_dual_sub_f32 v75, v85, v2 :: v_dual_add_f32 v4, 0, v4
	s_delay_alu instid0(VALU_DEP_1) | instskip(NEXT) | instid1(VALU_DEP_1)
	v_add_f32_e32 v4, v4, v76
	v_add_f32_e32 v4, v4, v89
	s_delay_alu instid0(VALU_DEP_1)
	v_sub_f32_e32 v76, v86, v4
	scratch_store_b64 off, v[75:76], off offset:248
	v_cmpx_lt_u32_e32 30, v0
	s_cbranch_execz .LBB34_163
; %bb.162:
	scratch_load_b64 v[75:76], off, off offset:240
	v_mov_b32_e32 v2, v1
	scratch_store_b64 off, v[1:2], off offset:240
	s_wait_loadcnt 0x0
	ds_store_b64 v3, v[75:76]
.LBB34_163:
	s_wait_alu 0xfffe
	s_or_b32 exec_lo, exec_lo, s0
	s_wait_storecnt_dscnt 0x0
	s_barrier_signal -1
	s_barrier_wait -1
	global_inv scope:SCOPE_SE
	s_clause 0x2
	scratch_load_b128 v[75:78], off, off offset:248
	scratch_load_b128 v[79:82], off, off offset:264
	scratch_load_b64 v[91:92], off, off offset:240
	ds_load_2addr_b64 v[83:86], v1 offset0:67 offset1:68
	ds_load_2addr_b64 v[87:90], v1 offset0:69 offset1:70
	s_mov_b32 s0, exec_lo
	s_wait_loadcnt_dscnt 0x201
	v_dual_mul_f32 v1, v83, v76 :: v_dual_mul_f32 v4, v85, v78
	s_wait_loadcnt_dscnt 0x100
	v_dual_mul_f32 v2, v84, v76 :: v_dual_mul_f32 v93, v89, v82
	s_delay_alu instid0(VALU_DEP_2) | instskip(SKIP_1) | instid1(VALU_DEP_3)
	v_dual_mul_f32 v76, v87, v80 :: v_dual_fmac_f32 v1, v84, v75
	v_mul_f32_e32 v78, v86, v78
	v_fma_f32 v2, v83, v75, -v2
	v_mul_f32_e32 v75, v88, v80
	s_delay_alu instid0(VALU_DEP_4)
	v_dual_fmac_f32 v76, v88, v79 :: v_dual_fmac_f32 v93, v90, v81
	v_fmac_f32_e32 v4, v86, v77
	v_fma_f32 v77, v85, v77, -v78
	v_dual_add_f32 v2, 0, v2 :: v_dual_add_f32 v1, 0, v1
	v_mul_f32_e32 v78, v90, v82
	v_fma_f32 v75, v87, v79, -v75
	s_delay_alu instid0(VALU_DEP_3) | instskip(NEXT) | instid1(VALU_DEP_3)
	v_dual_add_f32 v2, v2, v77 :: v_dual_add_f32 v1, v1, v4
	v_fma_f32 v4, v89, v81, -v78
	s_delay_alu instid0(VALU_DEP_2) | instskip(NEXT) | instid1(VALU_DEP_1)
	v_dual_add_f32 v2, v2, v75 :: v_dual_add_f32 v1, v1, v76
	v_add_f32_e32 v2, v2, v4
	s_wait_loadcnt 0x0
	s_delay_alu instid0(VALU_DEP_1) | instskip(NEXT) | instid1(VALU_DEP_1)
	v_dual_add_f32 v4, v1, v93 :: v_dual_sub_f32 v1, v91, v2
	v_sub_f32_e32 v2, v92, v4
	scratch_store_b64 off, v[1:2], off offset:240
	v_cmpx_lt_u32_e32 29, v0
	s_cbranch_execz .LBB34_165
; %bb.164:
	scratch_load_b64 v[1:2], off, off offset:232
	v_mov_b32_e32 v75, 0
	s_delay_alu instid0(VALU_DEP_1)
	v_mov_b32_e32 v76, v75
	scratch_store_b64 off, v[75:76], off offset:232
	s_wait_loadcnt 0x0
	ds_store_b64 v3, v[1:2]
.LBB34_165:
	s_wait_alu 0xfffe
	s_or_b32 exec_lo, exec_lo, s0
	s_wait_storecnt_dscnt 0x0
	s_barrier_signal -1
	s_barrier_wait -1
	global_inv scope:SCOPE_SE
	s_clause 0x3
	scratch_load_b128 v[75:78], off, off offset:240
	scratch_load_b128 v[79:82], off, off offset:256
	scratch_load_b64 v[91:92], off, off offset:272
	scratch_load_b64 v[93:94], off, off offset:232
	v_mov_b32_e32 v1, 0
	ds_load_b128 v[83:86], v1 offset:528
	ds_load_b128 v[87:90], v1 offset:544
	ds_load_b64 v[95:96], v1 offset:560
	s_mov_b32 s0, exec_lo
	s_wait_loadcnt_dscnt 0x302
	v_mul_f32_e32 v2, v83, v76
	v_mul_f32_e32 v76, v84, v76
	s_wait_loadcnt_dscnt 0x201
	v_dual_mul_f32 v4, v85, v78 :: v_dual_mul_f32 v97, v87, v80
	v_mul_f32_e32 v78, v86, v78
	s_wait_loadcnt_dscnt 0x100
	v_dual_mul_f32 v98, v89, v82 :: v_dual_mul_f32 v99, v95, v92
	v_fma_f32 v76, v83, v75, -v76
	v_fmac_f32_e32 v2, v84, v75
	v_dual_mul_f32 v75, v88, v80 :: v_dual_fmac_f32 v4, v86, v77
	v_fmac_f32_e32 v97, v88, v79
	v_fma_f32 v77, v85, v77, -v78
	v_dual_add_f32 v76, 0, v76 :: v_dual_fmac_f32 v99, v96, v91
	s_delay_alu instid0(VALU_DEP_4) | instskip(SKIP_2) | instid1(VALU_DEP_4)
	v_fma_f32 v75, v87, v79, -v75
	v_mul_f32_e32 v78, v90, v82
	v_fmac_f32_e32 v98, v90, v81
	v_add_f32_e32 v76, v76, v77
	v_add_f32_e32 v2, 0, v2
	s_delay_alu instid0(VALU_DEP_4) | instskip(NEXT) | instid1(VALU_DEP_2)
	v_fma_f32 v77, v89, v81, -v78
	v_dual_add_f32 v75, v76, v75 :: v_dual_add_f32 v2, v2, v4
	s_delay_alu instid0(VALU_DEP_1) | instskip(NEXT) | instid1(VALU_DEP_2)
	v_dual_mul_f32 v4, v96, v92 :: v_dual_add_f32 v75, v75, v77
	v_add_f32_e32 v2, v2, v97
	s_delay_alu instid0(VALU_DEP_2) | instskip(NEXT) | instid1(VALU_DEP_2)
	v_fma_f32 v4, v95, v91, -v4
	v_add_f32_e32 v2, v2, v98
	s_delay_alu instid0(VALU_DEP_2) | instskip(SKIP_1) | instid1(VALU_DEP_1)
	v_add_f32_e32 v4, v75, v4
	s_wait_loadcnt 0x0
	v_dual_add_f32 v2, v2, v99 :: v_dual_sub_f32 v75, v93, v4
	s_delay_alu instid0(VALU_DEP_1)
	v_sub_f32_e32 v76, v94, v2
	scratch_store_b64 off, v[75:76], off offset:232
	v_cmpx_lt_u32_e32 28, v0
	s_cbranch_execz .LBB34_167
; %bb.166:
	scratch_load_b64 v[75:76], off, off offset:224
	v_mov_b32_e32 v2, v1
	scratch_store_b64 off, v[1:2], off offset:224
	s_wait_loadcnt 0x0
	ds_store_b64 v3, v[75:76]
.LBB34_167:
	s_wait_alu 0xfffe
	s_or_b32 exec_lo, exec_lo, s0
	s_wait_storecnt_dscnt 0x0
	s_barrier_signal -1
	s_barrier_wait -1
	global_inv scope:SCOPE_SE
	s_clause 0x3
	scratch_load_b128 v[75:78], off, off offset:232
	scratch_load_b128 v[79:82], off, off offset:248
	;; [unrolled: 1-line block ×3, first 2 shown]
	scratch_load_b64 v[99:100], off, off offset:224
	ds_load_2addr_b64 v[87:90], v1 offset0:65 offset1:66
	ds_load_2addr_b64 v[91:94], v1 offset0:67 offset1:68
	;; [unrolled: 1-line block ×3, first 2 shown]
	s_mov_b32 s0, exec_lo
	s_wait_loadcnt_dscnt 0x302
	v_dual_mul_f32 v1, v87, v76 :: v_dual_mul_f32 v2, v89, v78
	s_wait_loadcnt_dscnt 0x100
	v_dual_mul_f32 v76, v88, v76 :: v_dual_mul_f32 v103, v97, v86
	s_delay_alu instid0(VALU_DEP_2) | instskip(SKIP_1) | instid1(VALU_DEP_3)
	v_dual_mul_f32 v102, v95, v84 :: v_dual_fmac_f32 v1, v88, v75
	v_mul_f32_e32 v78, v90, v78
	v_fma_f32 v76, v87, v75, -v76
	v_mul_f32_e32 v75, v92, v80
	v_dual_mul_f32 v4, v91, v80 :: v_dual_mul_f32 v101, v93, v82
	s_delay_alu instid0(VALU_DEP_3) | instskip(NEXT) | instid1(VALU_DEP_3)
	v_dual_add_f32 v1, 0, v1 :: v_dual_add_f32 v76, 0, v76
	v_fma_f32 v75, v91, v79, -v75
	v_fmac_f32_e32 v2, v90, v77
	v_fma_f32 v77, v89, v77, -v78
	v_dual_fmac_f32 v102, v96, v83 :: v_dual_fmac_f32 v101, v94, v81
	s_delay_alu instid0(VALU_DEP_2) | instskip(NEXT) | instid1(VALU_DEP_1)
	v_add_f32_e32 v76, v76, v77
	v_add_f32_e32 v75, v76, v75
	v_dual_fmac_f32 v4, v92, v79 :: v_dual_add_f32 v1, v1, v2
	v_mul_f32_e32 v78, v94, v82
	v_mul_f32_e32 v2, v96, v84
	s_delay_alu instid0(VALU_DEP_3) | instskip(NEXT) | instid1(VALU_DEP_3)
	v_add_f32_e32 v1, v1, v4
	v_fma_f32 v77, v93, v81, -v78
	v_mul_f32_e32 v4, v98, v86
	s_delay_alu instid0(VALU_DEP_4) | instskip(NEXT) | instid1(VALU_DEP_4)
	v_fma_f32 v2, v95, v83, -v2
	v_add_f32_e32 v1, v1, v101
	s_delay_alu instid0(VALU_DEP_4) | instskip(SKIP_2) | instid1(VALU_DEP_4)
	v_add_f32_e32 v75, v75, v77
	v_fmac_f32_e32 v103, v98, v85
	v_fma_f32 v4, v97, v85, -v4
	v_add_f32_e32 v1, v1, v102
	s_delay_alu instid0(VALU_DEP_4) | instskip(NEXT) | instid1(VALU_DEP_1)
	v_add_f32_e32 v2, v75, v2
	v_add_f32_e32 v2, v2, v4
	s_wait_loadcnt 0x0
	s_delay_alu instid0(VALU_DEP_1) | instskip(NEXT) | instid1(VALU_DEP_1)
	v_dual_add_f32 v4, v1, v103 :: v_dual_sub_f32 v1, v99, v2
	v_sub_f32_e32 v2, v100, v4
	scratch_store_b64 off, v[1:2], off offset:224
	v_cmpx_lt_u32_e32 27, v0
	s_cbranch_execz .LBB34_169
; %bb.168:
	scratch_load_b64 v[1:2], off, off offset:216
	v_mov_b32_e32 v75, 0
	s_delay_alu instid0(VALU_DEP_1)
	v_mov_b32_e32 v76, v75
	scratch_store_b64 off, v[75:76], off offset:216
	s_wait_loadcnt 0x0
	ds_store_b64 v3, v[1:2]
.LBB34_169:
	s_wait_alu 0xfffe
	s_or_b32 exec_lo, exec_lo, s0
	s_wait_storecnt_dscnt 0x0
	s_barrier_signal -1
	s_barrier_wait -1
	global_inv scope:SCOPE_SE
	s_clause 0x4
	scratch_load_b128 v[75:78], off, off offset:224
	scratch_load_b128 v[79:82], off, off offset:240
	;; [unrolled: 1-line block ×3, first 2 shown]
	scratch_load_b64 v[99:100], off, off offset:272
	scratch_load_b64 v[101:102], off, off offset:216
	v_mov_b32_e32 v1, 0
	ds_load_b128 v[87:90], v1 offset:512
	ds_load_b128 v[91:94], v1 offset:528
	;; [unrolled: 1-line block ×3, first 2 shown]
	ds_load_b64 v[103:104], v1 offset:560
	s_mov_b32 s0, exec_lo
	s_wait_loadcnt_dscnt 0x403
	v_mul_f32_e32 v2, v87, v76
	v_mul_f32_e32 v76, v88, v76
	s_wait_loadcnt_dscnt 0x302
	v_dual_mul_f32 v4, v89, v78 :: v_dual_mul_f32 v105, v91, v80
	v_mul_f32_e32 v78, v90, v78
	s_wait_loadcnt_dscnt 0x201
	v_dual_mul_f32 v106, v93, v82 :: v_dual_mul_f32 v107, v95, v84
	v_fma_f32 v76, v87, v75, -v76
	v_fmac_f32_e32 v2, v88, v75
	v_dual_mul_f32 v75, v92, v80 :: v_dual_fmac_f32 v4, v90, v77
	v_fmac_f32_e32 v105, v92, v79
	v_fma_f32 v77, v89, v77, -v78
	v_dual_add_f32 v76, 0, v76 :: v_dual_fmac_f32 v107, v96, v83
	s_delay_alu instid0(VALU_DEP_4) | instskip(SKIP_2) | instid1(VALU_DEP_3)
	v_fma_f32 v75, v91, v79, -v75
	s_wait_loadcnt_dscnt 0x100
	v_dual_mul_f32 v108, v97, v86 :: v_dual_mul_f32 v109, v103, v100
	v_add_f32_e32 v76, v76, v77
	v_add_f32_e32 v2, 0, v2
	v_mul_f32_e32 v78, v94, v82
	s_delay_alu instid0(VALU_DEP_4) | instskip(NEXT) | instid1(VALU_DEP_3)
	v_dual_fmac_f32 v106, v94, v81 :: v_dual_fmac_f32 v109, v104, v99
	v_dual_add_f32 v75, v76, v75 :: v_dual_add_f32 v2, v2, v4
	v_mul_f32_e32 v4, v96, v84
	s_delay_alu instid0(VALU_DEP_4)
	v_fma_f32 v77, v93, v81, -v78
	v_mul_f32_e32 v76, v98, v86
	v_fmac_f32_e32 v108, v98, v85
	v_add_f32_e32 v2, v2, v105
	v_fma_f32 v4, v95, v83, -v4
	v_add_f32_e32 v75, v75, v77
	v_mul_f32_e32 v77, v104, v100
	v_fma_f32 v76, v97, v85, -v76
	v_add_f32_e32 v2, v2, v106
	s_delay_alu instid0(VALU_DEP_4) | instskip(NEXT) | instid1(VALU_DEP_4)
	v_add_f32_e32 v4, v75, v4
	v_fma_f32 v75, v103, v99, -v77
	s_delay_alu instid0(VALU_DEP_3) | instskip(NEXT) | instid1(VALU_DEP_3)
	v_add_f32_e32 v2, v2, v107
	v_add_f32_e32 v4, v4, v76
	s_delay_alu instid0(VALU_DEP_2) | instskip(NEXT) | instid1(VALU_DEP_2)
	v_add_f32_e32 v2, v2, v108
	v_add_f32_e32 v4, v4, v75
	s_wait_loadcnt 0x0
	s_delay_alu instid0(VALU_DEP_1) | instskip(NEXT) | instid1(VALU_DEP_1)
	v_dual_add_f32 v2, v2, v109 :: v_dual_sub_f32 v75, v101, v4
	v_sub_f32_e32 v76, v102, v2
	scratch_store_b64 off, v[75:76], off offset:216
	v_cmpx_lt_u32_e32 26, v0
	s_cbranch_execz .LBB34_171
; %bb.170:
	scratch_load_b64 v[75:76], off, off offset:208
	v_mov_b32_e32 v2, v1
	scratch_store_b64 off, v[1:2], off offset:208
	s_wait_loadcnt 0x0
	ds_store_b64 v3, v[75:76]
.LBB34_171:
	s_wait_alu 0xfffe
	s_or_b32 exec_lo, exec_lo, s0
	s_wait_storecnt_dscnt 0x0
	s_barrier_signal -1
	s_barrier_wait -1
	global_inv scope:SCOPE_SE
	s_clause 0x4
	scratch_load_b128 v[75:78], off, off offset:216
	scratch_load_b128 v[79:82], off, off offset:232
	;; [unrolled: 1-line block ×4, first 2 shown]
	scratch_load_b64 v[107:108], off, off offset:208
	ds_load_2addr_b64 v[91:94], v1 offset0:63 offset1:64
	ds_load_2addr_b64 v[95:98], v1 offset0:65 offset1:66
	;; [unrolled: 1-line block ×4, first 2 shown]
	s_mov_b32 s0, exec_lo
	s_wait_loadcnt_dscnt 0x403
	v_dual_mul_f32 v1, v91, v76 :: v_dual_mul_f32 v2, v93, v78
	s_wait_loadcnt_dscnt 0x100
	v_dual_mul_f32 v76, v92, v76 :: v_dual_mul_f32 v113, v105, v90
	s_delay_alu instid0(VALU_DEP_2) | instskip(SKIP_1) | instid1(VALU_DEP_3)
	v_dual_mul_f32 v112, v103, v88 :: v_dual_fmac_f32 v1, v92, v75
	v_mul_f32_e32 v78, v94, v78
	v_fma_f32 v76, v91, v75, -v76
	v_mul_f32_e32 v75, v96, v80
	v_dual_mul_f32 v110, v99, v84 :: v_dual_mul_f32 v111, v101, v86
	v_dual_mul_f32 v4, v95, v80 :: v_dual_mul_f32 v109, v97, v82
	s_delay_alu instid0(VALU_DEP_4) | instskip(NEXT) | instid1(VALU_DEP_4)
	v_dual_add_f32 v76, 0, v76 :: v_dual_add_f32 v1, 0, v1
	v_fma_f32 v75, v95, v79, -v75
	v_fmac_f32_e32 v2, v94, v77
	v_fma_f32 v77, v93, v77, -v78
	v_dual_fmac_f32 v110, v100, v83 :: v_dual_fmac_f32 v109, v98, v81
	v_fmac_f32_e32 v111, v102, v85
	v_fmac_f32_e32 v113, v106, v89
	s_delay_alu instid0(VALU_DEP_4) | instskip(SKIP_1) | instid1(VALU_DEP_2)
	v_add_f32_e32 v76, v76, v77
	v_fmac_f32_e32 v112, v104, v87
	v_add_f32_e32 v75, v76, v75
	v_dual_fmac_f32 v4, v96, v79 :: v_dual_add_f32 v1, v1, v2
	v_mul_f32_e32 v78, v98, v82
	v_mul_f32_e32 v2, v100, v84
	;; [unrolled: 1-line block ×3, first 2 shown]
	s_delay_alu instid0(VALU_DEP_4) | instskip(NEXT) | instid1(VALU_DEP_4)
	v_add_f32_e32 v1, v1, v4
	v_fma_f32 v77, v97, v81, -v78
	v_mul_f32_e32 v4, v102, v86
	v_fma_f32 v2, v99, v83, -v2
	v_fma_f32 v76, v103, v87, -v76
	v_add_f32_e32 v1, v1, v109
	v_add_f32_e32 v75, v75, v77
	v_fma_f32 v4, v101, v85, -v4
	s_delay_alu instid0(VALU_DEP_3) | instskip(NEXT) | instid1(VALU_DEP_3)
	v_add_f32_e32 v1, v1, v110
	v_add_f32_e32 v2, v75, v2
	v_mul_f32_e32 v75, v106, v90
	s_delay_alu instid0(VALU_DEP_2) | instskip(NEXT) | instid1(VALU_DEP_2)
	v_dual_add_f32 v1, v1, v111 :: v_dual_add_f32 v2, v2, v4
	v_fma_f32 v4, v105, v89, -v75
	s_delay_alu instid0(VALU_DEP_2) | instskip(NEXT) | instid1(VALU_DEP_3)
	v_add_f32_e32 v1, v1, v112
	v_add_f32_e32 v2, v2, v76
	s_delay_alu instid0(VALU_DEP_1) | instskip(SKIP_1) | instid1(VALU_DEP_1)
	v_add_f32_e32 v2, v2, v4
	s_wait_loadcnt 0x0
	v_dual_add_f32 v4, v1, v113 :: v_dual_sub_f32 v1, v107, v2
	s_delay_alu instid0(VALU_DEP_1)
	v_sub_f32_e32 v2, v108, v4
	scratch_store_b64 off, v[1:2], off offset:208
	v_cmpx_lt_u32_e32 25, v0
	s_cbranch_execz .LBB34_173
; %bb.172:
	scratch_load_b64 v[1:2], off, off offset:200
	v_mov_b32_e32 v75, 0
	s_delay_alu instid0(VALU_DEP_1)
	v_mov_b32_e32 v76, v75
	scratch_store_b64 off, v[75:76], off offset:200
	s_wait_loadcnt 0x0
	ds_store_b64 v3, v[1:2]
.LBB34_173:
	s_wait_alu 0xfffe
	s_or_b32 exec_lo, exec_lo, s0
	s_wait_storecnt_dscnt 0x0
	s_barrier_signal -1
	s_barrier_wait -1
	global_inv scope:SCOPE_SE
	s_clause 0x5
	scratch_load_b128 v[75:78], off, off offset:208
	scratch_load_b128 v[79:82], off, off offset:224
	;; [unrolled: 1-line block ×4, first 2 shown]
	scratch_load_b64 v[107:108], off, off offset:272
	scratch_load_b64 v[109:110], off, off offset:200
	v_mov_b32_e32 v1, 0
	ds_load_b128 v[91:94], v1 offset:496
	ds_load_b128 v[95:98], v1 offset:512
	;; [unrolled: 1-line block ×4, first 2 shown]
	ds_load_b64 v[111:112], v1 offset:560
	s_mov_b32 s0, exec_lo
	s_wait_loadcnt_dscnt 0x504
	v_mul_f32_e32 v2, v91, v76
	v_mul_f32_e32 v76, v92, v76
	s_wait_loadcnt_dscnt 0x403
	v_dual_mul_f32 v4, v93, v78 :: v_dual_mul_f32 v113, v95, v80
	v_mul_f32_e32 v78, v94, v78
	s_wait_loadcnt_dscnt 0x302
	v_dual_mul_f32 v114, v97, v82 :: v_dual_mul_f32 v115, v99, v84
	v_fma_f32 v76, v91, v75, -v76
	v_fmac_f32_e32 v2, v92, v75
	v_dual_mul_f32 v75, v96, v80 :: v_dual_fmac_f32 v4, v94, v77
	v_fmac_f32_e32 v113, v96, v79
	v_fma_f32 v77, v93, v77, -v78
	v_dual_add_f32 v76, 0, v76 :: v_dual_fmac_f32 v115, v100, v83
	s_delay_alu instid0(VALU_DEP_4) | instskip(SKIP_2) | instid1(VALU_DEP_3)
	v_fma_f32 v75, v95, v79, -v75
	s_wait_loadcnt_dscnt 0x201
	v_dual_mul_f32 v116, v101, v86 :: v_dual_mul_f32 v117, v103, v88
	v_add_f32_e32 v76, v76, v77
	v_add_f32_e32 v2, 0, v2
	v_mul_f32_e32 v78, v98, v82
	s_wait_loadcnt_dscnt 0x100
	v_dual_mul_f32 v118, v105, v90 :: v_dual_mul_f32 v119, v111, v108
	s_delay_alu instid0(VALU_DEP_3) | instskip(SKIP_2) | instid1(VALU_DEP_4)
	v_dual_add_f32 v75, v76, v75 :: v_dual_add_f32 v2, v2, v4
	v_fmac_f32_e32 v117, v104, v87
	v_mul_f32_e32 v4, v100, v84
	v_dual_fmac_f32 v114, v98, v81 :: v_dual_fmac_f32 v119, v112, v107
	v_fma_f32 v77, v97, v81, -v78
	v_add_f32_e32 v2, v2, v113
	v_mul_f32_e32 v76, v102, v86
	v_fma_f32 v4, v99, v83, -v4
	v_fmac_f32_e32 v116, v102, v85
	s_delay_alu instid0(VALU_DEP_4) | instskip(SKIP_3) | instid1(VALU_DEP_4)
	v_dual_add_f32 v75, v75, v77 :: v_dual_add_f32 v2, v2, v114
	v_mul_f32_e32 v77, v104, v88
	v_fma_f32 v76, v101, v85, -v76
	v_fmac_f32_e32 v118, v106, v89
	v_add_f32_e32 v4, v75, v4
	v_add_f32_e32 v2, v2, v115
	v_mul_f32_e32 v75, v106, v90
	v_fma_f32 v77, v103, v87, -v77
	s_delay_alu instid0(VALU_DEP_4) | instskip(NEXT) | instid1(VALU_DEP_4)
	v_add_f32_e32 v4, v4, v76
	v_add_f32_e32 v2, v2, v116
	v_mul_f32_e32 v76, v112, v108
	v_fma_f32 v75, v105, v89, -v75
	s_delay_alu instid0(VALU_DEP_4) | instskip(NEXT) | instid1(VALU_DEP_4)
	v_add_f32_e32 v4, v4, v77
	v_add_f32_e32 v2, v2, v117
	s_delay_alu instid0(VALU_DEP_4) | instskip(NEXT) | instid1(VALU_DEP_3)
	v_fma_f32 v76, v111, v107, -v76
	v_add_f32_e32 v4, v4, v75
	s_delay_alu instid0(VALU_DEP_3) | instskip(NEXT) | instid1(VALU_DEP_2)
	v_add_f32_e32 v2, v2, v118
	v_add_f32_e32 v4, v4, v76
	s_wait_loadcnt 0x0
	s_delay_alu instid0(VALU_DEP_1) | instskip(NEXT) | instid1(VALU_DEP_1)
	v_dual_add_f32 v2, v2, v119 :: v_dual_sub_f32 v75, v109, v4
	v_sub_f32_e32 v76, v110, v2
	scratch_store_b64 off, v[75:76], off offset:200
	v_cmpx_lt_u32_e32 24, v0
	s_cbranch_execz .LBB34_175
; %bb.174:
	scratch_load_b64 v[75:76], off, off offset:192
	v_mov_b32_e32 v2, v1
	scratch_store_b64 off, v[1:2], off offset:192
	s_wait_loadcnt 0x0
	ds_store_b64 v3, v[75:76]
.LBB34_175:
	s_wait_alu 0xfffe
	s_or_b32 exec_lo, exec_lo, s0
	s_wait_storecnt_dscnt 0x0
	s_barrier_signal -1
	s_barrier_wait -1
	global_inv scope:SCOPE_SE
	s_clause 0x5
	scratch_load_b128 v[75:78], off, off offset:200
	scratch_load_b128 v[79:82], off, off offset:216
	;; [unrolled: 1-line block ×5, first 2 shown]
	scratch_load_b64 v[115:116], off, off offset:192
	ds_load_2addr_b64 v[95:98], v1 offset0:61 offset1:62
	ds_load_2addr_b64 v[99:102], v1 offset0:63 offset1:64
	ds_load_2addr_b64 v[103:106], v1 offset0:65 offset1:66
	ds_load_2addr_b64 v[107:110], v1 offset0:67 offset1:68
	ds_load_2addr_b64 v[111:114], v1 offset0:69 offset1:70
	s_mov_b32 s0, exec_lo
	s_wait_loadcnt_dscnt 0x504
	v_dual_mul_f32 v1, v95, v76 :: v_dual_mul_f32 v2, v97, v78
	v_mul_f32_e32 v76, v96, v76
	v_mul_f32_e32 v78, v98, v78
	s_wait_loadcnt_dscnt 0x100
	s_delay_alu instid0(VALU_DEP_3)
	v_dual_mul_f32 v122, v111, v92 :: v_dual_fmac_f32 v1, v96, v75
	v_mul_f32_e32 v123, v113, v94
	v_fma_f32 v76, v95, v75, -v76
	v_mul_f32_e32 v75, v100, v80
	v_dual_mul_f32 v118, v103, v84 :: v_dual_mul_f32 v119, v105, v86
	v_dual_mul_f32 v4, v99, v80 :: v_dual_mul_f32 v117, v101, v82
	s_delay_alu instid0(VALU_DEP_4) | instskip(NEXT) | instid1(VALU_DEP_4)
	v_dual_add_f32 v76, 0, v76 :: v_dual_add_f32 v1, 0, v1
	v_fma_f32 v75, v99, v79, -v75
	v_fmac_f32_e32 v2, v98, v77
	v_fma_f32 v77, v97, v77, -v78
	v_dual_fmac_f32 v118, v104, v83 :: v_dual_fmac_f32 v117, v102, v81
	v_dual_mul_f32 v120, v107, v88 :: v_dual_mul_f32 v121, v109, v90
	s_delay_alu instid0(VALU_DEP_3) | instskip(SKIP_1) | instid1(VALU_DEP_3)
	v_add_f32_e32 v76, v76, v77
	v_dual_fmac_f32 v119, v106, v85 :: v_dual_fmac_f32 v122, v112, v91
	v_dual_fmac_f32 v120, v108, v87 :: v_dual_fmac_f32 v121, v110, v89
	s_delay_alu instid0(VALU_DEP_3) | instskip(SKIP_4) | instid1(VALU_DEP_4)
	v_add_f32_e32 v75, v76, v75
	v_dual_fmac_f32 v4, v100, v79 :: v_dual_add_f32 v1, v1, v2
	v_mul_f32_e32 v78, v102, v82
	v_mul_f32_e32 v2, v104, v84
	v_dual_mul_f32 v76, v108, v88 :: v_dual_fmac_f32 v123, v114, v93
	v_add_f32_e32 v1, v1, v4
	s_delay_alu instid0(VALU_DEP_4)
	v_fma_f32 v77, v101, v81, -v78
	v_mul_f32_e32 v4, v106, v86
	v_fma_f32 v2, v103, v83, -v2
	v_fma_f32 v76, v107, v87, -v76
	v_add_f32_e32 v1, v1, v117
	v_add_f32_e32 v75, v75, v77
	v_fma_f32 v4, v105, v85, -v4
	s_delay_alu instid0(VALU_DEP_3) | instskip(NEXT) | instid1(VALU_DEP_3)
	v_add_f32_e32 v1, v1, v118
	v_add_f32_e32 v2, v75, v2
	v_mul_f32_e32 v75, v110, v90
	s_delay_alu instid0(VALU_DEP_3) | instskip(NEXT) | instid1(VALU_DEP_2)
	v_add_f32_e32 v1, v1, v119
	v_fma_f32 v75, v109, v89, -v75
	s_delay_alu instid0(VALU_DEP_2) | instskip(SKIP_1) | instid1(VALU_DEP_2)
	v_add_f32_e32 v1, v1, v120
	v_add_f32_e32 v2, v2, v4
	v_dual_mul_f32 v4, v112, v92 :: v_dual_add_f32 v1, v1, v121
	s_delay_alu instid0(VALU_DEP_2) | instskip(SKIP_1) | instid1(VALU_DEP_3)
	v_add_f32_e32 v2, v2, v76
	v_mul_f32_e32 v76, v114, v94
	v_fma_f32 v4, v111, v91, -v4
	s_delay_alu instid0(VALU_DEP_3) | instskip(NEXT) | instid1(VALU_DEP_3)
	v_dual_add_f32 v1, v1, v122 :: v_dual_add_f32 v2, v2, v75
	v_fma_f32 v75, v113, v93, -v76
	s_delay_alu instid0(VALU_DEP_2) | instskip(NEXT) | instid1(VALU_DEP_1)
	v_add_f32_e32 v2, v2, v4
	v_add_f32_e32 v2, v2, v75
	s_wait_loadcnt 0x0
	s_delay_alu instid0(VALU_DEP_1) | instskip(NEXT) | instid1(VALU_DEP_1)
	v_dual_add_f32 v4, v1, v123 :: v_dual_sub_f32 v1, v115, v2
	v_sub_f32_e32 v2, v116, v4
	scratch_store_b64 off, v[1:2], off offset:192
	v_cmpx_lt_u32_e32 23, v0
	s_cbranch_execz .LBB34_177
; %bb.176:
	scratch_load_b64 v[1:2], off, off offset:184
	v_mov_b32_e32 v75, 0
	s_delay_alu instid0(VALU_DEP_1)
	v_mov_b32_e32 v76, v75
	scratch_store_b64 off, v[75:76], off offset:184
	s_wait_loadcnt 0x0
	ds_store_b64 v3, v[1:2]
.LBB34_177:
	s_wait_alu 0xfffe
	s_or_b32 exec_lo, exec_lo, s0
	s_wait_storecnt_dscnt 0x0
	s_barrier_signal -1
	s_barrier_wait -1
	global_inv scope:SCOPE_SE
	s_clause 0x6
	scratch_load_b128 v[75:78], off, off offset:192
	scratch_load_b128 v[79:82], off, off offset:208
	scratch_load_b128 v[83:86], off, off offset:224
	scratch_load_b128 v[87:90], off, off offset:240
	scratch_load_b128 v[91:94], off, off offset:256
	scratch_load_b64 v[115:116], off, off offset:272
	scratch_load_b64 v[117:118], off, off offset:184
	v_mov_b32_e32 v1, 0
	ds_load_b128 v[95:98], v1 offset:480
	ds_load_b128 v[99:102], v1 offset:496
	;; [unrolled: 1-line block ×5, first 2 shown]
	ds_load_b64 v[119:120], v1 offset:560
	s_mov_b32 s0, exec_lo
	s_wait_loadcnt_dscnt 0x605
	v_mul_f32_e32 v2, v95, v76
	v_mul_f32_e32 v76, v96, v76
	s_wait_loadcnt_dscnt 0x504
	v_dual_mul_f32 v4, v97, v78 :: v_dual_mul_f32 v121, v99, v80
	v_mul_f32_e32 v78, v98, v78
	s_wait_loadcnt_dscnt 0x403
	v_dual_mul_f32 v122, v101, v82 :: v_dual_mul_f32 v123, v103, v84
	v_fma_f32 v76, v95, v75, -v76
	v_fmac_f32_e32 v2, v96, v75
	v_dual_mul_f32 v75, v100, v80 :: v_dual_fmac_f32 v4, v98, v77
	v_fmac_f32_e32 v121, v100, v79
	v_fma_f32 v77, v97, v77, -v78
	v_dual_add_f32 v76, 0, v76 :: v_dual_fmac_f32 v123, v104, v83
	v_mul_f32_e32 v78, v102, v82
	v_fma_f32 v75, v99, v79, -v75
	s_wait_loadcnt_dscnt 0x302
	v_dual_mul_f32 v124, v105, v86 :: v_dual_mul_f32 v125, v107, v88
	v_add_f32_e32 v76, v76, v77
	v_add_f32_e32 v2, 0, v2
	v_fma_f32 v77, v101, v81, -v78
	s_wait_loadcnt_dscnt 0x100
	v_dual_mul_f32 v128, v113, v94 :: v_dual_mul_f32 v129, v119, v116
	s_delay_alu instid0(VALU_DEP_3) | instskip(SKIP_2) | instid1(VALU_DEP_4)
	v_dual_add_f32 v75, v76, v75 :: v_dual_add_f32 v2, v2, v4
	v_fmac_f32_e32 v125, v108, v87
	v_mul_f32_e32 v4, v104, v84
	v_dual_mul_f32 v76, v106, v86 :: v_dual_fmac_f32 v129, v120, v115
	s_delay_alu instid0(VALU_DEP_4) | instskip(SKIP_1) | instid1(VALU_DEP_4)
	v_add_f32_e32 v75, v75, v77
	v_mul_f32_e32 v77, v108, v88
	v_fma_f32 v4, v103, v83, -v4
	s_delay_alu instid0(VALU_DEP_4) | instskip(SKIP_2) | instid1(VALU_DEP_4)
	v_fma_f32 v76, v105, v85, -v76
	v_add_f32_e32 v2, v2, v121
	v_dual_mul_f32 v126, v109, v90 :: v_dual_mul_f32 v127, v111, v92
	v_dual_add_f32 v4, v75, v4 :: v_dual_mul_f32 v75, v110, v90
	v_fma_f32 v77, v107, v87, -v77
	s_delay_alu instid0(VALU_DEP_3) | instskip(NEXT) | instid1(VALU_DEP_3)
	v_dual_fmac_f32 v122, v102, v81 :: v_dual_fmac_f32 v127, v112, v91
	v_add_f32_e32 v4, v4, v76
	v_mul_f32_e32 v76, v112, v92
	v_fma_f32 v75, v109, v89, -v75
	v_fmac_f32_e32 v124, v106, v85
	v_fmac_f32_e32 v126, v110, v89
	v_dual_add_f32 v4, v4, v77 :: v_dual_mul_f32 v77, v114, v94
	v_fma_f32 v76, v111, v91, -v76
	v_fmac_f32_e32 v128, v114, v93
	s_delay_alu instid0(VALU_DEP_3) | instskip(SKIP_2) | instid1(VALU_DEP_3)
	v_add_f32_e32 v4, v4, v75
	v_mul_f32_e32 v75, v120, v116
	v_fma_f32 v77, v113, v93, -v77
	v_add_f32_e32 v4, v4, v76
	s_delay_alu instid0(VALU_DEP_3) | instskip(NEXT) | instid1(VALU_DEP_2)
	v_fma_f32 v75, v119, v115, -v75
	v_add_f32_e32 v4, v4, v77
	s_delay_alu instid0(VALU_DEP_1) | instskip(SKIP_1) | instid1(VALU_DEP_1)
	v_add_f32_e32 v4, v4, v75
	s_wait_loadcnt 0x0
	v_dual_add_f32 v2, v2, v122 :: v_dual_sub_f32 v75, v117, v4
	s_delay_alu instid0(VALU_DEP_1) | instskip(NEXT) | instid1(VALU_DEP_1)
	v_add_f32_e32 v2, v2, v123
	v_add_f32_e32 v2, v2, v124
	s_delay_alu instid0(VALU_DEP_1) | instskip(NEXT) | instid1(VALU_DEP_1)
	v_add_f32_e32 v2, v2, v125
	v_add_f32_e32 v2, v2, v126
	;; [unrolled: 3-line block ×3, first 2 shown]
	s_delay_alu instid0(VALU_DEP_1) | instskip(NEXT) | instid1(VALU_DEP_1)
	v_add_f32_e32 v2, v2, v129
	v_sub_f32_e32 v76, v118, v2
	scratch_store_b64 off, v[75:76], off offset:184
	v_cmpx_lt_u32_e32 22, v0
	s_cbranch_execz .LBB34_179
; %bb.178:
	scratch_load_b64 v[75:76], off, off offset:176
	v_mov_b32_e32 v2, v1
	scratch_store_b64 off, v[1:2], off offset:176
	s_wait_loadcnt 0x0
	ds_store_b64 v3, v[75:76]
.LBB34_179:
	s_wait_alu 0xfffe
	s_or_b32 exec_lo, exec_lo, s0
	s_wait_storecnt_dscnt 0x0
	s_barrier_signal -1
	s_barrier_wait -1
	global_inv scope:SCOPE_SE
	s_clause 0x6
	scratch_load_b128 v[75:78], off, off offset:184
	scratch_load_b128 v[79:82], off, off offset:200
	;; [unrolled: 1-line block ×6, first 2 shown]
	scratch_load_b64 v[123:124], off, off offset:176
	ds_load_2addr_b64 v[99:102], v1 offset0:59 offset1:60
	ds_load_2addr_b64 v[103:106], v1 offset0:61 offset1:62
	;; [unrolled: 1-line block ×6, first 2 shown]
	s_mov_b32 s0, exec_lo
	s_wait_loadcnt_dscnt 0x605
	v_dual_mul_f32 v1, v99, v76 :: v_dual_mul_f32 v2, v101, v78
	v_mul_f32_e32 v76, v100, v76
	v_mul_f32_e32 v78, v102, v78
	s_wait_loadcnt_dscnt 0x403
	v_dual_mul_f32 v126, v107, v84 :: v_dual_mul_f32 v127, v109, v86
	s_wait_loadcnt_dscnt 0x100
	v_dual_mul_f32 v132, v119, v96 :: v_dual_fmac_f32 v1, v100, v75
	v_mul_f32_e32 v133, v121, v98
	v_fma_f32 v76, v99, v75, -v76
	v_mul_f32_e32 v75, v104, v80
	v_dual_mul_f32 v4, v103, v80 :: v_dual_mul_f32 v125, v105, v82
	s_delay_alu instid0(VALU_DEP_3) | instskip(NEXT) | instid1(VALU_DEP_3)
	v_dual_add_f32 v1, 0, v1 :: v_dual_add_f32 v76, 0, v76
	v_fma_f32 v75, v103, v79, -v75
	v_fmac_f32_e32 v2, v102, v77
	v_fma_f32 v77, v101, v77, -v78
	v_dual_fmac_f32 v126, v108, v83 :: v_dual_fmac_f32 v125, v106, v81
	v_dual_mul_f32 v128, v111, v88 :: v_dual_mul_f32 v129, v113, v90
	s_delay_alu instid0(VALU_DEP_3) | instskip(SKIP_2) | instid1(VALU_DEP_4)
	v_add_f32_e32 v76, v76, v77
	v_dual_fmac_f32 v127, v110, v85 :: v_dual_mul_f32 v130, v115, v92
	v_mul_f32_e32 v131, v117, v94
	v_fmac_f32_e32 v129, v114, v89
	s_delay_alu instid0(VALU_DEP_4) | instskip(SKIP_4) | instid1(VALU_DEP_4)
	v_add_f32_e32 v75, v76, v75
	v_dual_fmac_f32 v4, v104, v79 :: v_dual_add_f32 v1, v1, v2
	v_mul_f32_e32 v78, v106, v82
	v_mul_f32_e32 v2, v108, v84
	;; [unrolled: 1-line block ×3, first 2 shown]
	v_dual_fmac_f32 v128, v112, v87 :: v_dual_add_f32 v1, v1, v4
	s_delay_alu instid0(VALU_DEP_4)
	v_fma_f32 v77, v105, v81, -v78
	v_mul_f32_e32 v4, v110, v86
	v_fma_f32 v2, v107, v83, -v2
	v_fma_f32 v76, v111, v87, -v76
	v_add_f32_e32 v1, v1, v125
	v_add_f32_e32 v75, v75, v77
	v_fma_f32 v4, v109, v85, -v4
	v_dual_fmac_f32 v130, v116, v91 :: v_dual_fmac_f32 v131, v118, v93
	s_delay_alu instid0(VALU_DEP_4) | instskip(NEXT) | instid1(VALU_DEP_4)
	v_add_f32_e32 v1, v1, v126
	v_add_f32_e32 v2, v75, v2
	v_dual_mul_f32 v75, v114, v90 :: v_dual_fmac_f32 v132, v120, v95
	v_fmac_f32_e32 v133, v122, v97
	s_delay_alu instid0(VALU_DEP_4) | instskip(NEXT) | instid1(VALU_DEP_3)
	v_add_f32_e32 v1, v1, v127
	v_fma_f32 v75, v113, v89, -v75
	s_delay_alu instid0(VALU_DEP_2) | instskip(SKIP_1) | instid1(VALU_DEP_2)
	v_add_f32_e32 v1, v1, v128
	v_add_f32_e32 v2, v2, v4
	v_dual_mul_f32 v4, v116, v92 :: v_dual_add_f32 v1, v1, v129
	s_delay_alu instid0(VALU_DEP_2) | instskip(SKIP_1) | instid1(VALU_DEP_3)
	v_add_f32_e32 v2, v2, v76
	v_mul_f32_e32 v76, v118, v94
	v_fma_f32 v4, v115, v91, -v4
	s_delay_alu instid0(VALU_DEP_3) | instskip(SKIP_1) | instid1(VALU_DEP_4)
	v_dual_add_f32 v1, v1, v130 :: v_dual_add_f32 v2, v2, v75
	v_mul_f32_e32 v75, v120, v96
	v_fma_f32 v76, v117, v93, -v76
	s_delay_alu instid0(VALU_DEP_3) | instskip(SKIP_1) | instid1(VALU_DEP_4)
	v_dual_add_f32 v1, v1, v131 :: v_dual_add_f32 v2, v2, v4
	v_mul_f32_e32 v4, v122, v98
	v_fma_f32 v75, v119, v95, -v75
	s_delay_alu instid0(VALU_DEP_3) | instskip(NEXT) | instid1(VALU_DEP_4)
	v_add_f32_e32 v1, v1, v132
	v_add_f32_e32 v2, v2, v76
	s_delay_alu instid0(VALU_DEP_4) | instskip(NEXT) | instid1(VALU_DEP_2)
	v_fma_f32 v4, v121, v97, -v4
	v_add_f32_e32 v2, v2, v75
	s_delay_alu instid0(VALU_DEP_1) | instskip(SKIP_1) | instid1(VALU_DEP_1)
	v_add_f32_e32 v2, v2, v4
	s_wait_loadcnt 0x0
	v_dual_add_f32 v4, v1, v133 :: v_dual_sub_f32 v1, v123, v2
	s_delay_alu instid0(VALU_DEP_1)
	v_sub_f32_e32 v2, v124, v4
	scratch_store_b64 off, v[1:2], off offset:176
	v_cmpx_lt_u32_e32 21, v0
	s_cbranch_execz .LBB34_181
; %bb.180:
	scratch_load_b64 v[1:2], off, off offset:168
	v_mov_b32_e32 v75, 0
	s_delay_alu instid0(VALU_DEP_1)
	v_mov_b32_e32 v76, v75
	scratch_store_b64 off, v[75:76], off offset:168
	s_wait_loadcnt 0x0
	ds_store_b64 v3, v[1:2]
.LBB34_181:
	s_wait_alu 0xfffe
	s_or_b32 exec_lo, exec_lo, s0
	s_wait_storecnt_dscnt 0x0
	s_barrier_signal -1
	s_barrier_wait -1
	global_inv scope:SCOPE_SE
	s_clause 0x7
	scratch_load_b128 v[75:78], off, off offset:176
	scratch_load_b128 v[79:82], off, off offset:192
	scratch_load_b128 v[83:86], off, off offset:208
	scratch_load_b128 v[87:90], off, off offset:224
	scratch_load_b128 v[91:94], off, off offset:240
	scratch_load_b128 v[95:98], off, off offset:256
	scratch_load_b64 v[123:124], off, off offset:272
	scratch_load_b64 v[125:126], off, off offset:168
	v_mov_b32_e32 v1, 0
	ds_load_b128 v[99:102], v1 offset:464
	ds_load_b128 v[103:106], v1 offset:480
	;; [unrolled: 1-line block ×6, first 2 shown]
	ds_load_b64 v[127:128], v1 offset:560
	s_mov_b32 s0, exec_lo
	s_wait_loadcnt_dscnt 0x706
	v_mul_f32_e32 v2, v99, v76
	v_mul_f32_e32 v76, v100, v76
	s_wait_loadcnt_dscnt 0x605
	v_dual_mul_f32 v4, v101, v78 :: v_dual_mul_f32 v129, v103, v80
	v_mul_f32_e32 v78, v102, v78
	s_wait_loadcnt_dscnt 0x504
	v_dual_mul_f32 v130, v105, v82 :: v_dual_mul_f32 v131, v107, v84
	v_fma_f32 v76, v99, v75, -v76
	v_fmac_f32_e32 v2, v100, v75
	v_dual_mul_f32 v75, v104, v80 :: v_dual_fmac_f32 v4, v102, v77
	v_fmac_f32_e32 v129, v104, v79
	v_fma_f32 v77, v101, v77, -v78
	v_dual_add_f32 v76, 0, v76 :: v_dual_fmac_f32 v131, v108, v83
	v_mul_f32_e32 v78, v106, v82
	v_fma_f32 v75, v103, v79, -v75
	s_wait_loadcnt_dscnt 0x403
	v_dual_mul_f32 v132, v109, v86 :: v_dual_mul_f32 v133, v111, v88
	v_add_f32_e32 v76, v76, v77
	v_add_f32_e32 v2, 0, v2
	v_fma_f32 v77, v105, v81, -v78
	s_wait_loadcnt_dscnt 0x201
	v_dual_mul_f32 v136, v117, v94 :: v_dual_mul_f32 v137, v119, v96
	s_delay_alu instid0(VALU_DEP_3) | instskip(SKIP_2) | instid1(VALU_DEP_4)
	v_dual_add_f32 v75, v76, v75 :: v_dual_add_f32 v2, v2, v4
	v_fmac_f32_e32 v133, v112, v87
	v_mul_f32_e32 v4, v108, v84
	v_dual_mul_f32 v76, v110, v86 :: v_dual_fmac_f32 v137, v120, v95
	s_delay_alu instid0(VALU_DEP_4) | instskip(SKIP_1) | instid1(VALU_DEP_4)
	v_add_f32_e32 v75, v75, v77
	v_mul_f32_e32 v77, v112, v88
	v_fma_f32 v4, v107, v83, -v4
	s_delay_alu instid0(VALU_DEP_4) | instskip(SKIP_2) | instid1(VALU_DEP_4)
	v_fma_f32 v76, v109, v85, -v76
	v_add_f32_e32 v2, v2, v129
	v_dual_mul_f32 v134, v113, v90 :: v_dual_mul_f32 v135, v115, v92
	v_dual_add_f32 v4, v75, v4 :: v_dual_mul_f32 v75, v114, v90
	v_fma_f32 v77, v111, v87, -v77
	s_delay_alu instid0(VALU_DEP_3) | instskip(NEXT) | instid1(VALU_DEP_3)
	v_dual_fmac_f32 v130, v106, v81 :: v_dual_fmac_f32 v135, v116, v91
	v_add_f32_e32 v4, v4, v76
	v_mul_f32_e32 v76, v116, v92
	v_fma_f32 v75, v113, v89, -v75
	s_wait_loadcnt_dscnt 0x100
	v_dual_mul_f32 v138, v121, v98 :: v_dual_mul_f32 v139, v127, v124
	v_dual_add_f32 v4, v4, v77 :: v_dual_mul_f32 v77, v118, v94
	v_fma_f32 v76, v115, v91, -v76
	s_delay_alu instid0(VALU_DEP_3) | instskip(NEXT) | instid1(VALU_DEP_3)
	v_dual_fmac_f32 v132, v110, v85 :: v_dual_fmac_f32 v139, v128, v123
	v_add_f32_e32 v4, v4, v75
	v_mul_f32_e32 v75, v120, v96
	v_fma_f32 v77, v117, v93, -v77
	v_add_f32_e32 v2, v2, v130
	v_fmac_f32_e32 v134, v114, v89
	v_add_f32_e32 v4, v4, v76
	v_mul_f32_e32 v76, v122, v98
	v_fma_f32 v75, v119, v95, -v75
	v_fmac_f32_e32 v136, v118, v93
	v_fmac_f32_e32 v138, v122, v97
	v_add_f32_e32 v4, v4, v77
	v_mul_f32_e32 v77, v128, v124
	v_fma_f32 v76, v121, v97, -v76
	s_delay_alu instid0(VALU_DEP_3) | instskip(NEXT) | instid1(VALU_DEP_3)
	v_add_f32_e32 v4, v4, v75
	v_fma_f32 v75, v127, v123, -v77
	s_delay_alu instid0(VALU_DEP_2) | instskip(NEXT) | instid1(VALU_DEP_1)
	v_add_f32_e32 v4, v4, v76
	v_add_f32_e32 v4, v4, v75
	s_wait_loadcnt 0x0
	s_delay_alu instid0(VALU_DEP_1) | instskip(NEXT) | instid1(VALU_DEP_1)
	v_dual_add_f32 v2, v2, v131 :: v_dual_sub_f32 v75, v125, v4
	v_add_f32_e32 v2, v2, v132
	s_delay_alu instid0(VALU_DEP_1) | instskip(NEXT) | instid1(VALU_DEP_1)
	v_add_f32_e32 v2, v2, v133
	v_add_f32_e32 v2, v2, v134
	s_delay_alu instid0(VALU_DEP_1) | instskip(NEXT) | instid1(VALU_DEP_1)
	v_add_f32_e32 v2, v2, v135
	;; [unrolled: 3-line block ×4, first 2 shown]
	v_sub_f32_e32 v76, v126, v2
	scratch_store_b64 off, v[75:76], off offset:168
	v_cmpx_lt_u32_e32 20, v0
	s_cbranch_execz .LBB34_183
; %bb.182:
	scratch_load_b64 v[75:76], off, off offset:160
	v_mov_b32_e32 v2, v1
	scratch_store_b64 off, v[1:2], off offset:160
	s_wait_loadcnt 0x0
	ds_store_b64 v3, v[75:76]
.LBB34_183:
	s_wait_alu 0xfffe
	s_or_b32 exec_lo, exec_lo, s0
	s_wait_storecnt_dscnt 0x0
	s_barrier_signal -1
	s_barrier_wait -1
	global_inv scope:SCOPE_SE
	s_clause 0x7
	scratch_load_b128 v[75:78], off, off offset:168
	scratch_load_b128 v[79:82], off, off offset:184
	scratch_load_b128 v[83:86], off, off offset:200
	scratch_load_b128 v[87:90], off, off offset:216
	scratch_load_b128 v[91:94], off, off offset:232
	scratch_load_b128 v[95:98], off, off offset:248
	scratch_load_b128 v[99:102], off, off offset:264
	scratch_load_b64 v[131:132], off, off offset:160
	ds_load_2addr_b64 v[103:106], v1 offset0:57 offset1:58
	ds_load_2addr_b64 v[107:110], v1 offset0:59 offset1:60
	;; [unrolled: 1-line block ×7, first 2 shown]
	s_mov_b32 s0, exec_lo
	s_wait_loadcnt_dscnt 0x706
	v_dual_mul_f32 v1, v103, v76 :: v_dual_mul_f32 v2, v105, v78
	v_mul_f32_e32 v76, v104, v76
	v_mul_f32_e32 v78, v106, v78
	s_wait_loadcnt_dscnt 0x504
	v_dual_mul_f32 v134, v111, v84 :: v_dual_mul_f32 v135, v113, v86
	s_wait_loadcnt_dscnt 0x100
	v_dual_mul_f32 v142, v127, v100 :: v_dual_fmac_f32 v1, v104, v75
	v_mul_f32_e32 v143, v129, v102
	v_fma_f32 v76, v103, v75, -v76
	v_mul_f32_e32 v75, v108, v80
	v_dual_mul_f32 v4, v107, v80 :: v_dual_mul_f32 v133, v109, v82
	s_delay_alu instid0(VALU_DEP_3) | instskip(NEXT) | instid1(VALU_DEP_3)
	v_dual_add_f32 v1, 0, v1 :: v_dual_add_f32 v76, 0, v76
	v_fma_f32 v75, v107, v79, -v75
	v_fmac_f32_e32 v2, v106, v77
	v_fma_f32 v77, v105, v77, -v78
	v_dual_fmac_f32 v134, v112, v83 :: v_dual_fmac_f32 v133, v110, v81
	v_dual_mul_f32 v136, v115, v88 :: v_dual_mul_f32 v137, v117, v90
	s_delay_alu instid0(VALU_DEP_3) | instskip(SKIP_2) | instid1(VALU_DEP_4)
	v_add_f32_e32 v76, v76, v77
	v_dual_fmac_f32 v135, v114, v85 :: v_dual_mul_f32 v138, v119, v92
	v_mul_f32_e32 v139, v121, v94
	v_fmac_f32_e32 v137, v118, v89
	s_delay_alu instid0(VALU_DEP_4) | instskip(SKIP_4) | instid1(VALU_DEP_4)
	v_add_f32_e32 v75, v76, v75
	v_dual_fmac_f32 v4, v108, v79 :: v_dual_add_f32 v1, v1, v2
	v_mul_f32_e32 v78, v110, v82
	v_mul_f32_e32 v2, v112, v84
	;; [unrolled: 1-line block ×3, first 2 shown]
	v_dual_fmac_f32 v136, v116, v87 :: v_dual_add_f32 v1, v1, v4
	s_delay_alu instid0(VALU_DEP_4)
	v_fma_f32 v77, v109, v81, -v78
	v_mul_f32_e32 v4, v114, v86
	v_fma_f32 v2, v111, v83, -v2
	v_fma_f32 v76, v115, v87, -v76
	v_add_f32_e32 v1, v1, v133
	v_add_f32_e32 v75, v75, v77
	v_fma_f32 v4, v113, v85, -v4
	v_fmac_f32_e32 v138, v120, v91
	v_dual_mul_f32 v140, v123, v96 :: v_dual_mul_f32 v141, v125, v98
	v_add_f32_e32 v1, v1, v134
	v_add_f32_e32 v2, v75, v2
	v_mul_f32_e32 v75, v118, v90
	s_delay_alu instid0(VALU_DEP_4) | instskip(SKIP_2) | instid1(VALU_DEP_4)
	v_dual_fmac_f32 v139, v122, v93 :: v_dual_fmac_f32 v140, v124, v95
	v_fmac_f32_e32 v141, v126, v97
	v_add_f32_e32 v1, v1, v135
	v_fma_f32 v75, v117, v89, -v75
	v_dual_fmac_f32 v142, v128, v99 :: v_dual_fmac_f32 v143, v130, v101
	s_delay_alu instid0(VALU_DEP_3) | instskip(SKIP_1) | instid1(VALU_DEP_2)
	v_add_f32_e32 v1, v1, v136
	v_add_f32_e32 v2, v2, v4
	v_dual_mul_f32 v4, v120, v92 :: v_dual_add_f32 v1, v1, v137
	s_delay_alu instid0(VALU_DEP_2) | instskip(SKIP_1) | instid1(VALU_DEP_3)
	v_add_f32_e32 v2, v2, v76
	v_mul_f32_e32 v76, v122, v94
	v_fma_f32 v4, v119, v91, -v4
	s_delay_alu instid0(VALU_DEP_3) | instskip(SKIP_1) | instid1(VALU_DEP_4)
	v_dual_add_f32 v1, v1, v138 :: v_dual_add_f32 v2, v2, v75
	v_mul_f32_e32 v75, v124, v96
	v_fma_f32 v76, v121, v93, -v76
	s_delay_alu instid0(VALU_DEP_3) | instskip(SKIP_1) | instid1(VALU_DEP_4)
	v_dual_add_f32 v1, v1, v139 :: v_dual_add_f32 v2, v2, v4
	v_mul_f32_e32 v4, v126, v98
	v_fma_f32 v75, v123, v95, -v75
	s_delay_alu instid0(VALU_DEP_3) | instskip(NEXT) | instid1(VALU_DEP_4)
	v_add_f32_e32 v1, v1, v140
	v_add_f32_e32 v2, v2, v76
	v_mul_f32_e32 v76, v128, v100
	v_fma_f32 v4, v125, v97, -v4
	s_delay_alu instid0(VALU_DEP_3) | instskip(SKIP_1) | instid1(VALU_DEP_4)
	v_dual_add_f32 v1, v1, v141 :: v_dual_add_f32 v2, v2, v75
	v_mul_f32_e32 v75, v130, v102
	v_fma_f32 v76, v127, v99, -v76
	s_delay_alu instid0(VALU_DEP_3) | instskip(NEXT) | instid1(VALU_DEP_3)
	v_dual_add_f32 v1, v1, v142 :: v_dual_add_f32 v2, v2, v4
	v_fma_f32 v4, v129, v101, -v75
	s_delay_alu instid0(VALU_DEP_2) | instskip(NEXT) | instid1(VALU_DEP_1)
	v_add_f32_e32 v2, v2, v76
	v_add_f32_e32 v2, v2, v4
	s_wait_loadcnt 0x0
	s_delay_alu instid0(VALU_DEP_1) | instskip(NEXT) | instid1(VALU_DEP_1)
	v_dual_add_f32 v4, v1, v143 :: v_dual_sub_f32 v1, v131, v2
	v_sub_f32_e32 v2, v132, v4
	scratch_store_b64 off, v[1:2], off offset:160
	v_cmpx_lt_u32_e32 19, v0
	s_cbranch_execz .LBB34_185
; %bb.184:
	scratch_load_b64 v[1:2], off, off offset:152
	v_mov_b32_e32 v75, 0
	s_delay_alu instid0(VALU_DEP_1)
	v_mov_b32_e32 v76, v75
	scratch_store_b64 off, v[75:76], off offset:152
	s_wait_loadcnt 0x0
	ds_store_b64 v3, v[1:2]
.LBB34_185:
	s_wait_alu 0xfffe
	s_or_b32 exec_lo, exec_lo, s0
	s_wait_storecnt_dscnt 0x0
	s_barrier_signal -1
	s_barrier_wait -1
	global_inv scope:SCOPE_SE
	s_clause 0x8
	scratch_load_b128 v[75:78], off, off offset:160
	scratch_load_b128 v[79:82], off, off offset:176
	;; [unrolled: 1-line block ×7, first 2 shown]
	scratch_load_b64 v[131:132], off, off offset:272
	scratch_load_b64 v[133:134], off, off offset:152
	v_mov_b32_e32 v1, 0
	ds_load_b128 v[103:106], v1 offset:448
	ds_load_b128 v[107:110], v1 offset:464
	;; [unrolled: 1-line block ×7, first 2 shown]
	ds_load_b64 v[135:136], v1 offset:560
	s_mov_b32 s0, exec_lo
	s_wait_loadcnt_dscnt 0x807
	v_mul_f32_e32 v2, v103, v76
	v_mul_f32_e32 v76, v104, v76
	s_wait_loadcnt_dscnt 0x706
	v_dual_mul_f32 v4, v105, v78 :: v_dual_mul_f32 v137, v107, v80
	v_mul_f32_e32 v78, v106, v78
	s_wait_loadcnt_dscnt 0x605
	v_dual_mul_f32 v138, v109, v82 :: v_dual_mul_f32 v139, v111, v84
	v_fma_f32 v76, v103, v75, -v76
	v_fmac_f32_e32 v2, v104, v75
	v_dual_mul_f32 v75, v108, v80 :: v_dual_fmac_f32 v4, v106, v77
	v_fmac_f32_e32 v137, v108, v79
	v_fma_f32 v77, v105, v77, -v78
	v_dual_add_f32 v76, 0, v76 :: v_dual_fmac_f32 v139, v112, v83
	v_mul_f32_e32 v78, v110, v82
	v_fma_f32 v75, v107, v79, -v75
	s_wait_loadcnt_dscnt 0x504
	v_dual_mul_f32 v140, v113, v86 :: v_dual_mul_f32 v141, v115, v88
	v_add_f32_e32 v76, v76, v77
	v_add_f32_e32 v2, 0, v2
	v_fma_f32 v77, v109, v81, -v78
	s_wait_loadcnt_dscnt 0x302
	v_dual_mul_f32 v144, v121, v94 :: v_dual_mul_f32 v145, v123, v96
	s_delay_alu instid0(VALU_DEP_3) | instskip(SKIP_2) | instid1(VALU_DEP_4)
	v_dual_add_f32 v75, v76, v75 :: v_dual_add_f32 v2, v2, v4
	v_fmac_f32_e32 v141, v116, v87
	v_mul_f32_e32 v4, v112, v84
	v_dual_mul_f32 v76, v114, v86 :: v_dual_fmac_f32 v145, v124, v95
	s_wait_loadcnt_dscnt 0x201
	v_dual_add_f32 v75, v75, v77 :: v_dual_mul_f32 v148, v129, v102
	s_wait_loadcnt_dscnt 0x100
	v_mul_f32_e32 v149, v135, v132
	v_fma_f32 v4, v111, v83, -v4
	v_mul_f32_e32 v77, v116, v88
	v_fma_f32 v76, v113, v85, -v76
	s_delay_alu instid0(VALU_DEP_4) | instskip(NEXT) | instid1(VALU_DEP_4)
	v_dual_add_f32 v2, v2, v137 :: v_dual_fmac_f32 v149, v136, v131
	v_dual_add_f32 v4, v75, v4 :: v_dual_mul_f32 v75, v118, v90
	s_delay_alu instid0(VALU_DEP_4) | instskip(SKIP_1) | instid1(VALU_DEP_3)
	v_fma_f32 v77, v115, v87, -v77
	v_dual_mul_f32 v142, v117, v90 :: v_dual_mul_f32 v143, v119, v92
	v_add_f32_e32 v4, v4, v76
	v_mul_f32_e32 v76, v120, v92
	v_fma_f32 v75, v117, v89, -v75
	s_delay_alu instid0(VALU_DEP_4) | instskip(NEXT) | instid1(VALU_DEP_4)
	v_dual_fmac_f32 v138, v110, v81 :: v_dual_fmac_f32 v143, v120, v91
	v_dual_add_f32 v4, v4, v77 :: v_dual_mul_f32 v77, v122, v94
	s_delay_alu instid0(VALU_DEP_4) | instskip(SKIP_1) | instid1(VALU_DEP_3)
	v_fma_f32 v76, v119, v91, -v76
	v_dual_mul_f32 v146, v125, v98 :: v_dual_mul_f32 v147, v127, v100
	v_add_f32_e32 v4, v4, v75
	v_mul_f32_e32 v75, v124, v96
	v_fma_f32 v77, v121, v93, -v77
	v_add_f32_e32 v2, v2, v138
	v_dual_fmac_f32 v140, v114, v85 :: v_dual_fmac_f32 v147, v128, v99
	v_add_f32_e32 v4, v4, v76
	v_mul_f32_e32 v76, v126, v98
	v_fma_f32 v75, v123, v95, -v75
	v_fmac_f32_e32 v142, v118, v89
	v_fmac_f32_e32 v144, v122, v93
	v_add_f32_e32 v4, v4, v77
	v_mul_f32_e32 v77, v128, v100
	v_fma_f32 v76, v125, v97, -v76
	v_fmac_f32_e32 v146, v126, v97
	v_fmac_f32_e32 v148, v130, v101
	v_dual_add_f32 v4, v4, v75 :: v_dual_mul_f32 v75, v130, v102
	v_fma_f32 v77, v127, v99, -v77
	s_delay_alu instid0(VALU_DEP_2) | instskip(SKIP_1) | instid1(VALU_DEP_4)
	v_add_f32_e32 v4, v4, v76
	v_mul_f32_e32 v76, v136, v132
	v_fma_f32 v75, v129, v101, -v75
	s_delay_alu instid0(VALU_DEP_3) | instskip(NEXT) | instid1(VALU_DEP_3)
	v_add_f32_e32 v4, v4, v77
	v_fma_f32 v76, v135, v131, -v76
	s_delay_alu instid0(VALU_DEP_2) | instskip(NEXT) | instid1(VALU_DEP_1)
	v_add_f32_e32 v4, v4, v75
	v_add_f32_e32 v4, v4, v76
	s_wait_loadcnt 0x0
	s_delay_alu instid0(VALU_DEP_1) | instskip(NEXT) | instid1(VALU_DEP_1)
	v_dual_add_f32 v2, v2, v139 :: v_dual_sub_f32 v75, v133, v4
	v_add_f32_e32 v2, v2, v140
	s_delay_alu instid0(VALU_DEP_1) | instskip(NEXT) | instid1(VALU_DEP_1)
	v_add_f32_e32 v2, v2, v141
	v_add_f32_e32 v2, v2, v142
	s_delay_alu instid0(VALU_DEP_1) | instskip(NEXT) | instid1(VALU_DEP_1)
	v_add_f32_e32 v2, v2, v143
	;; [unrolled: 3-line block ×5, first 2 shown]
	v_sub_f32_e32 v76, v134, v2
	scratch_store_b64 off, v[75:76], off offset:152
	v_cmpx_lt_u32_e32 18, v0
	s_cbranch_execz .LBB34_187
; %bb.186:
	scratch_load_b64 v[75:76], off, off offset:144
	v_mov_b32_e32 v2, v1
	scratch_store_b64 off, v[1:2], off offset:144
	s_wait_loadcnt 0x0
	ds_store_b64 v3, v[75:76]
.LBB34_187:
	s_wait_alu 0xfffe
	s_or_b32 exec_lo, exec_lo, s0
	s_wait_storecnt_dscnt 0x0
	s_barrier_signal -1
	s_barrier_wait -1
	global_inv scope:SCOPE_SE
	s_clause 0x8
	scratch_load_b128 v[75:78], off, off offset:152
	scratch_load_b128 v[79:82], off, off offset:168
	;; [unrolled: 1-line block ×8, first 2 shown]
	scratch_load_b64 v[139:140], off, off offset:144
	ds_load_2addr_b64 v[107:110], v1 offset0:55 offset1:56
	ds_load_2addr_b64 v[111:114], v1 offset0:57 offset1:58
	;; [unrolled: 1-line block ×8, first 2 shown]
	s_mov_b32 s0, exec_lo
	s_wait_loadcnt_dscnt 0x807
	v_dual_mul_f32 v1, v107, v76 :: v_dual_mul_f32 v2, v109, v78
	v_mul_f32_e32 v76, v108, v76
	v_mul_f32_e32 v78, v110, v78
	s_wait_loadcnt_dscnt 0x605
	v_dual_mul_f32 v142, v115, v84 :: v_dual_mul_f32 v143, v117, v86
	s_wait_loadcnt_dscnt 0x100
	v_dual_fmac_f32 v1, v108, v75 :: v_dual_mul_f32 v152, v135, v104
	v_mul_f32_e32 v153, v137, v106
	v_fma_f32 v76, v107, v75, -v76
	v_mul_f32_e32 v75, v112, v80
	v_dual_mul_f32 v4, v111, v80 :: v_dual_mul_f32 v141, v113, v82
	s_delay_alu instid0(VALU_DEP_3) | instskip(NEXT) | instid1(VALU_DEP_3)
	v_dual_add_f32 v1, 0, v1 :: v_dual_add_f32 v76, 0, v76
	v_fma_f32 v75, v111, v79, -v75
	v_fmac_f32_e32 v2, v110, v77
	v_fma_f32 v77, v109, v77, -v78
	v_dual_fmac_f32 v142, v116, v83 :: v_dual_fmac_f32 v141, v114, v81
	v_dual_mul_f32 v144, v119, v88 :: v_dual_mul_f32 v145, v121, v90
	s_delay_alu instid0(VALU_DEP_3) | instskip(SKIP_2) | instid1(VALU_DEP_4)
	v_add_f32_e32 v76, v76, v77
	v_dual_fmac_f32 v143, v118, v85 :: v_dual_mul_f32 v146, v123, v92
	v_mul_f32_e32 v147, v125, v94
	v_fmac_f32_e32 v145, v122, v89
	s_delay_alu instid0(VALU_DEP_4) | instskip(SKIP_4) | instid1(VALU_DEP_4)
	v_add_f32_e32 v75, v76, v75
	v_dual_fmac_f32 v4, v112, v79 :: v_dual_add_f32 v1, v1, v2
	v_mul_f32_e32 v78, v114, v82
	v_mul_f32_e32 v2, v116, v84
	;; [unrolled: 1-line block ×3, first 2 shown]
	v_dual_fmac_f32 v144, v120, v87 :: v_dual_add_f32 v1, v1, v4
	s_delay_alu instid0(VALU_DEP_4)
	v_fma_f32 v77, v113, v81, -v78
	v_mul_f32_e32 v4, v118, v86
	v_fma_f32 v2, v115, v83, -v2
	v_fma_f32 v76, v119, v87, -v76
	v_add_f32_e32 v1, v1, v141
	v_add_f32_e32 v75, v75, v77
	v_fma_f32 v4, v117, v85, -v4
	v_fmac_f32_e32 v146, v124, v91
	v_dual_mul_f32 v148, v127, v96 :: v_dual_mul_f32 v149, v129, v98
	v_add_f32_e32 v1, v1, v142
	v_add_f32_e32 v2, v75, v2
	v_mul_f32_e32 v75, v122, v90
	s_delay_alu instid0(VALU_DEP_4) | instskip(SKIP_2) | instid1(VALU_DEP_4)
	v_dual_fmac_f32 v147, v126, v93 :: v_dual_fmac_f32 v148, v128, v95
	v_fmac_f32_e32 v149, v130, v97
	v_add_f32_e32 v1, v1, v143
	v_fma_f32 v75, v121, v89, -v75
	v_dual_mul_f32 v150, v131, v100 :: v_dual_mul_f32 v151, v133, v102
	s_delay_alu instid0(VALU_DEP_3) | instskip(SKIP_2) | instid1(VALU_DEP_4)
	v_dual_fmac_f32 v152, v136, v103 :: v_dual_add_f32 v1, v1, v144
	v_add_f32_e32 v2, v2, v4
	v_mul_f32_e32 v4, v124, v92
	v_dual_fmac_f32 v150, v132, v99 :: v_dual_fmac_f32 v151, v134, v101
	s_delay_alu instid0(VALU_DEP_3) | instskip(SKIP_1) | instid1(VALU_DEP_4)
	v_dual_add_f32 v1, v1, v145 :: v_dual_add_f32 v2, v2, v76
	v_mul_f32_e32 v76, v126, v94
	v_fma_f32 v4, v123, v91, -v4
	v_fmac_f32_e32 v153, v138, v105
	s_delay_alu instid0(VALU_DEP_4) | instskip(SKIP_2) | instid1(VALU_DEP_3)
	v_dual_add_f32 v1, v1, v146 :: v_dual_add_f32 v2, v2, v75
	v_mul_f32_e32 v75, v128, v96
	v_fma_f32 v76, v125, v93, -v76
	v_dual_add_f32 v1, v1, v147 :: v_dual_add_f32 v2, v2, v4
	v_mul_f32_e32 v4, v130, v98
	s_delay_alu instid0(VALU_DEP_4) | instskip(NEXT) | instid1(VALU_DEP_3)
	v_fma_f32 v75, v127, v95, -v75
	v_add_f32_e32 v1, v1, v148
	s_delay_alu instid0(VALU_DEP_4) | instskip(SKIP_2) | instid1(VALU_DEP_3)
	v_add_f32_e32 v2, v2, v76
	v_mul_f32_e32 v76, v132, v100
	v_fma_f32 v4, v129, v97, -v4
	v_dual_add_f32 v1, v1, v149 :: v_dual_add_f32 v2, v2, v75
	v_mul_f32_e32 v75, v134, v102
	s_delay_alu instid0(VALU_DEP_4) | instskip(NEXT) | instid1(VALU_DEP_3)
	v_fma_f32 v76, v131, v99, -v76
	v_dual_add_f32 v1, v1, v150 :: v_dual_add_f32 v2, v2, v4
	v_mul_f32_e32 v4, v136, v104
	s_delay_alu instid0(VALU_DEP_4) | instskip(NEXT) | instid1(VALU_DEP_3)
	;; [unrolled: 4-line block ×3, first 2 shown]
	v_fma_f32 v4, v135, v103, -v4
	v_dual_add_f32 v1, v1, v152 :: v_dual_add_f32 v2, v2, v75
	s_delay_alu instid0(VALU_DEP_3) | instskip(NEXT) | instid1(VALU_DEP_2)
	v_fma_f32 v75, v137, v105, -v76
	v_add_f32_e32 v2, v2, v4
	s_delay_alu instid0(VALU_DEP_3) | instskip(NEXT) | instid1(VALU_DEP_2)
	v_add_f32_e32 v4, v1, v153
	v_add_f32_e32 v2, v2, v75
	s_wait_loadcnt 0x0
	s_delay_alu instid0(VALU_DEP_1)
	v_dual_sub_f32 v1, v139, v2 :: v_dual_sub_f32 v2, v140, v4
	scratch_store_b64 off, v[1:2], off offset:144
	v_cmpx_lt_u32_e32 17, v0
	s_cbranch_execz .LBB34_189
; %bb.188:
	scratch_load_b64 v[1:2], off, off offset:136
	v_mov_b32_e32 v75, 0
	s_delay_alu instid0(VALU_DEP_1)
	v_mov_b32_e32 v76, v75
	scratch_store_b64 off, v[75:76], off offset:136
	s_wait_loadcnt 0x0
	ds_store_b64 v3, v[1:2]
.LBB34_189:
	s_wait_alu 0xfffe
	s_or_b32 exec_lo, exec_lo, s0
	s_wait_storecnt_dscnt 0x0
	s_barrier_signal -1
	s_barrier_wait -1
	global_inv scope:SCOPE_SE
	s_clause 0x9
	scratch_load_b128 v[75:78], off, off offset:144
	scratch_load_b128 v[79:82], off, off offset:160
	;; [unrolled: 1-line block ×8, first 2 shown]
	scratch_load_b64 v[139:140], off, off offset:272
	scratch_load_b64 v[141:142], off, off offset:136
	v_mov_b32_e32 v1, 0
	ds_load_b128 v[107:110], v1 offset:432
	ds_load_b128 v[111:114], v1 offset:448
	;; [unrolled: 1-line block ×8, first 2 shown]
	ds_load_b64 v[143:144], v1 offset:560
	s_mov_b32 s0, exec_lo
	s_wait_loadcnt_dscnt 0x908
	v_mul_f32_e32 v2, v107, v76
	v_mul_f32_e32 v76, v108, v76
	s_wait_loadcnt_dscnt 0x807
	v_dual_mul_f32 v4, v109, v78 :: v_dual_mul_f32 v145, v111, v80
	v_mul_f32_e32 v78, v110, v78
	s_wait_loadcnt_dscnt 0x706
	v_dual_mul_f32 v146, v113, v82 :: v_dual_mul_f32 v147, v115, v84
	v_fma_f32 v76, v107, v75, -v76
	v_fmac_f32_e32 v2, v108, v75
	v_dual_mul_f32 v75, v112, v80 :: v_dual_fmac_f32 v4, v110, v77
	v_fmac_f32_e32 v145, v112, v79
	v_fma_f32 v77, v109, v77, -v78
	v_dual_add_f32 v76, 0, v76 :: v_dual_fmac_f32 v147, v116, v83
	v_mul_f32_e32 v78, v114, v82
	v_fma_f32 v75, v111, v79, -v75
	s_wait_loadcnt_dscnt 0x605
	v_dual_mul_f32 v148, v117, v86 :: v_dual_mul_f32 v149, v119, v88
	v_add_f32_e32 v76, v76, v77
	v_add_f32_e32 v2, 0, v2
	v_fma_f32 v77, v113, v81, -v78
	s_wait_loadcnt_dscnt 0x403
	v_dual_mul_f32 v152, v125, v94 :: v_dual_mul_f32 v153, v127, v96
	s_delay_alu instid0(VALU_DEP_3) | instskip(SKIP_2) | instid1(VALU_DEP_4)
	v_dual_add_f32 v75, v76, v75 :: v_dual_add_f32 v2, v2, v4
	v_fmac_f32_e32 v149, v120, v87
	v_mul_f32_e32 v4, v116, v84
	v_dual_mul_f32 v76, v118, v86 :: v_dual_fmac_f32 v153, v128, v95
	s_delay_alu instid0(VALU_DEP_4) | instskip(SKIP_1) | instid1(VALU_DEP_4)
	v_add_f32_e32 v75, v75, v77
	v_mul_f32_e32 v77, v120, v88
	v_fma_f32 v4, v115, v83, -v4
	s_delay_alu instid0(VALU_DEP_4) | instskip(SKIP_2) | instid1(VALU_DEP_4)
	v_fma_f32 v76, v117, v85, -v76
	v_add_f32_e32 v2, v2, v145
	v_dual_mul_f32 v150, v121, v90 :: v_dual_mul_f32 v151, v123, v92
	v_dual_add_f32 v4, v75, v4 :: v_dual_mul_f32 v75, v122, v90
	v_fma_f32 v77, v119, v87, -v77
	s_delay_alu instid0(VALU_DEP_3) | instskip(NEXT) | instid1(VALU_DEP_3)
	v_dual_fmac_f32 v146, v114, v81 :: v_dual_fmac_f32 v151, v124, v91
	v_add_f32_e32 v4, v4, v76
	v_mul_f32_e32 v76, v124, v92
	v_fma_f32 v75, v121, v89, -v75
	s_wait_loadcnt_dscnt 0x302
	v_dual_mul_f32 v154, v129, v98 :: v_dual_mul_f32 v155, v131, v100
	v_dual_add_f32 v4, v4, v77 :: v_dual_mul_f32 v77, v126, v94
	v_fma_f32 v76, v123, v91, -v76
	s_delay_alu instid0(VALU_DEP_3) | instskip(NEXT) | instid1(VALU_DEP_3)
	v_dual_fmac_f32 v148, v118, v85 :: v_dual_fmac_f32 v155, v132, v99
	v_add_f32_e32 v4, v4, v75
	v_mul_f32_e32 v75, v128, v96
	v_fma_f32 v77, v125, v93, -v77
	v_add_f32_e32 v2, v2, v146
	s_wait_loadcnt_dscnt 0x201
	v_dual_mul_f32 v156, v133, v102 :: v_dual_mul_f32 v157, v135, v104
	v_add_f32_e32 v4, v4, v76
	v_mul_f32_e32 v76, v130, v98
	v_fma_f32 v75, v127, v95, -v75
	s_wait_loadcnt_dscnt 0x100
	v_dual_mul_f32 v158, v137, v106 :: v_dual_mul_f32 v159, v143, v140
	v_add_f32_e32 v4, v4, v77
	v_mul_f32_e32 v77, v132, v100
	v_fma_f32 v76, v129, v97, -v76
	v_add_f32_e32 v2, v2, v147
	v_dual_fmac_f32 v150, v122, v89 :: v_dual_fmac_f32 v159, v144, v139
	v_dual_add_f32 v4, v4, v75 :: v_dual_mul_f32 v75, v134, v102
	v_fma_f32 v77, v131, v99, -v77
	v_dual_fmac_f32 v157, v136, v103 :: v_dual_fmac_f32 v152, v126, v93
	s_delay_alu instid0(VALU_DEP_3)
	v_add_f32_e32 v4, v4, v76
	v_mul_f32_e32 v76, v136, v104
	v_fma_f32 v75, v133, v101, -v75
	v_fmac_f32_e32 v154, v130, v97
	v_fmac_f32_e32 v156, v134, v101
	v_dual_add_f32 v4, v4, v77 :: v_dual_mul_f32 v77, v138, v106
	v_fma_f32 v76, v135, v103, -v76
	v_fmac_f32_e32 v158, v138, v105
	s_delay_alu instid0(VALU_DEP_3) | instskip(SKIP_3) | instid1(VALU_DEP_4)
	v_add_f32_e32 v4, v4, v75
	v_mul_f32_e32 v75, v144, v140
	v_fma_f32 v77, v137, v105, -v77
	v_add_f32_e32 v2, v2, v148
	v_add_f32_e32 v4, v4, v76
	s_delay_alu instid0(VALU_DEP_4) | instskip(NEXT) | instid1(VALU_DEP_2)
	v_fma_f32 v75, v143, v139, -v75
	v_add_f32_e32 v4, v4, v77
	s_delay_alu instid0(VALU_DEP_1) | instskip(SKIP_1) | instid1(VALU_DEP_1)
	v_add_f32_e32 v4, v4, v75
	s_wait_loadcnt 0x0
	v_dual_add_f32 v2, v2, v149 :: v_dual_sub_f32 v75, v141, v4
	s_delay_alu instid0(VALU_DEP_1) | instskip(NEXT) | instid1(VALU_DEP_1)
	v_add_f32_e32 v2, v2, v150
	v_add_f32_e32 v2, v2, v151
	s_delay_alu instid0(VALU_DEP_1) | instskip(NEXT) | instid1(VALU_DEP_1)
	v_add_f32_e32 v2, v2, v152
	v_add_f32_e32 v2, v2, v153
	;; [unrolled: 3-line block ×5, first 2 shown]
	s_delay_alu instid0(VALU_DEP_1)
	v_sub_f32_e32 v76, v142, v2
	scratch_store_b64 off, v[75:76], off offset:136
	v_cmpx_lt_u32_e32 16, v0
	s_cbranch_execz .LBB34_191
; %bb.190:
	scratch_load_b64 v[75:76], off, off offset:128
	v_mov_b32_e32 v2, v1
	scratch_store_b64 off, v[1:2], off offset:128
	s_wait_loadcnt 0x0
	ds_store_b64 v3, v[75:76]
.LBB34_191:
	s_wait_alu 0xfffe
	s_or_b32 exec_lo, exec_lo, s0
	s_wait_storecnt_dscnt 0x0
	s_barrier_signal -1
	s_barrier_wait -1
	global_inv scope:SCOPE_SE
	s_clause 0x9
	scratch_load_b128 v[75:78], off, off offset:136
	scratch_load_b128 v[79:82], off, off offset:152
	;; [unrolled: 1-line block ×9, first 2 shown]
	scratch_load_b64 v[147:148], off, off offset:128
	ds_load_2addr_b64 v[111:114], v1 offset0:53 offset1:54
	ds_load_2addr_b64 v[115:118], v1 offset0:55 offset1:56
	;; [unrolled: 1-line block ×9, first 2 shown]
	s_mov_b32 s0, exec_lo
	s_wait_loadcnt_dscnt 0x908
	v_dual_mul_f32 v1, v111, v76 :: v_dual_mul_f32 v2, v113, v78
	v_mul_f32_e32 v76, v112, v76
	v_mul_f32_e32 v78, v114, v78
	s_wait_loadcnt_dscnt 0x706
	v_dual_mul_f32 v150, v119, v84 :: v_dual_mul_f32 v151, v121, v86
	v_dual_fmac_f32 v1, v112, v75 :: v_dual_mul_f32 v4, v115, v80
	s_wait_loadcnt_dscnt 0x100
	v_dual_mul_f32 v149, v117, v82 :: v_dual_mul_f32 v162, v143, v108
	v_mul_f32_e32 v163, v145, v110
	v_fma_f32 v76, v111, v75, -v76
	v_mul_f32_e32 v75, v116, v80
	v_dual_add_f32 v1, 0, v1 :: v_dual_fmac_f32 v150, v120, v83
	v_dual_mul_f32 v152, v123, v88 :: v_dual_mul_f32 v153, v125, v90
	s_delay_alu instid0(VALU_DEP_4) | instskip(NEXT) | instid1(VALU_DEP_4)
	v_add_f32_e32 v76, 0, v76
	v_fma_f32 v75, v115, v79, -v75
	v_fmac_f32_e32 v2, v114, v77
	v_fma_f32 v77, v113, v77, -v78
	v_fmac_f32_e32 v149, v118, v81
	v_dual_fmac_f32 v151, v122, v85 :: v_dual_mul_f32 v154, v127, v92
	s_delay_alu instid0(VALU_DEP_3) | instskip(SKIP_1) | instid1(VALU_DEP_3)
	v_dual_mul_f32 v155, v129, v94 :: v_dual_add_f32 v76, v76, v77
	v_dual_fmac_f32 v153, v126, v89 :: v_dual_mul_f32 v156, v131, v96
	v_dual_mul_f32 v157, v133, v98 :: v_dual_fmac_f32 v154, v128, v91
	s_delay_alu instid0(VALU_DEP_3) | instskip(SKIP_4) | instid1(VALU_DEP_4)
	v_add_f32_e32 v75, v76, v75
	v_dual_fmac_f32 v4, v116, v79 :: v_dual_add_f32 v1, v1, v2
	v_mul_f32_e32 v78, v118, v82
	v_mul_f32_e32 v2, v120, v84
	;; [unrolled: 1-line block ×3, first 2 shown]
	v_dual_fmac_f32 v152, v124, v87 :: v_dual_add_f32 v1, v1, v4
	s_delay_alu instid0(VALU_DEP_4)
	v_fma_f32 v77, v117, v81, -v78
	v_mul_f32_e32 v4, v122, v86
	v_fma_f32 v2, v119, v83, -v2
	v_fma_f32 v76, v123, v87, -v76
	v_add_f32_e32 v1, v1, v149
	v_add_f32_e32 v75, v75, v77
	v_fma_f32 v4, v121, v85, -v4
	v_dual_fmac_f32 v155, v130, v93 :: v_dual_fmac_f32 v156, v132, v95
	v_fmac_f32_e32 v157, v134, v97
	v_add_f32_e32 v1, v1, v150
	v_add_f32_e32 v2, v75, v2
	v_dual_mul_f32 v75, v126, v90 :: v_dual_mul_f32 v158, v135, v100
	v_mul_f32_e32 v159, v137, v102
	s_delay_alu instid0(VALU_DEP_4) | instskip(SKIP_1) | instid1(VALU_DEP_4)
	v_dual_add_f32 v1, v1, v151 :: v_dual_mul_f32 v160, v139, v104
	v_mul_f32_e32 v161, v141, v106
	v_fma_f32 v75, v125, v89, -v75
	s_delay_alu instid0(VALU_DEP_4) | instskip(NEXT) | instid1(VALU_DEP_4)
	v_dual_fmac_f32 v158, v136, v99 :: v_dual_fmac_f32 v159, v138, v101
	v_add_f32_e32 v1, v1, v152
	v_add_f32_e32 v2, v2, v4
	v_mul_f32_e32 v4, v128, v92
	v_dual_fmac_f32 v160, v140, v103 :: v_dual_fmac_f32 v163, v146, v109
	s_delay_alu instid0(VALU_DEP_3) | instskip(NEXT) | instid1(VALU_DEP_3)
	v_dual_add_f32 v1, v1, v153 :: v_dual_add_f32 v2, v2, v76
	v_fma_f32 v4, v127, v91, -v4
	v_mul_f32_e32 v76, v130, v94
	s_delay_alu instid0(VALU_DEP_3) | instskip(NEXT) | instid1(VALU_DEP_4)
	v_dual_fmac_f32 v162, v144, v107 :: v_dual_add_f32 v1, v1, v154
	v_dual_add_f32 v2, v2, v75 :: v_dual_mul_f32 v75, v132, v96
	s_delay_alu instid0(VALU_DEP_3) | instskip(SKIP_1) | instid1(VALU_DEP_3)
	v_fma_f32 v76, v129, v93, -v76
	v_fmac_f32_e32 v161, v142, v105
	v_dual_add_f32 v1, v1, v155 :: v_dual_add_f32 v2, v2, v4
	v_mul_f32_e32 v4, v134, v98
	v_fma_f32 v75, v131, v95, -v75
	s_delay_alu instid0(VALU_DEP_3) | instskip(NEXT) | instid1(VALU_DEP_4)
	v_add_f32_e32 v1, v1, v156
	v_add_f32_e32 v2, v2, v76
	v_mul_f32_e32 v76, v136, v100
	v_fma_f32 v4, v133, v97, -v4
	s_delay_alu instid0(VALU_DEP_3) | instskip(SKIP_1) | instid1(VALU_DEP_4)
	v_dual_add_f32 v1, v1, v157 :: v_dual_add_f32 v2, v2, v75
	v_mul_f32_e32 v75, v138, v102
	v_fma_f32 v76, v135, v99, -v76
	s_delay_alu instid0(VALU_DEP_3) | instskip(SKIP_1) | instid1(VALU_DEP_4)
	v_dual_add_f32 v1, v1, v158 :: v_dual_add_f32 v2, v2, v4
	v_mul_f32_e32 v4, v140, v104
	v_fma_f32 v75, v137, v101, -v75
	s_delay_alu instid0(VALU_DEP_3) | instskip(NEXT) | instid1(VALU_DEP_3)
	v_add_f32_e32 v1, v1, v159
	v_fma_f32 v4, v139, v103, -v4
	s_delay_alu instid0(VALU_DEP_2) | instskip(SKIP_1) | instid1(VALU_DEP_2)
	v_add_f32_e32 v1, v1, v160
	v_add_f32_e32 v2, v2, v76
	v_dual_mul_f32 v76, v142, v106 :: v_dual_add_f32 v1, v1, v161
	s_delay_alu instid0(VALU_DEP_2) | instskip(NEXT) | instid1(VALU_DEP_2)
	v_dual_add_f32 v2, v2, v75 :: v_dual_mul_f32 v75, v144, v108
	v_fma_f32 v76, v141, v105, -v76
	s_delay_alu instid0(VALU_DEP_2) | instskip(SKIP_1) | instid1(VALU_DEP_4)
	v_dual_add_f32 v1, v1, v162 :: v_dual_add_f32 v2, v2, v4
	v_mul_f32_e32 v4, v146, v110
	v_fma_f32 v75, v143, v107, -v75
	s_delay_alu instid0(VALU_DEP_3) | instskip(NEXT) | instid1(VALU_DEP_3)
	v_add_f32_e32 v2, v2, v76
	v_fma_f32 v4, v145, v109, -v4
	s_delay_alu instid0(VALU_DEP_2) | instskip(NEXT) | instid1(VALU_DEP_1)
	v_add_f32_e32 v2, v2, v75
	v_add_f32_e32 v2, v2, v4
	s_wait_loadcnt 0x0
	s_delay_alu instid0(VALU_DEP_1) | instskip(NEXT) | instid1(VALU_DEP_1)
	v_dual_add_f32 v4, v1, v163 :: v_dual_sub_f32 v1, v147, v2
	v_sub_f32_e32 v2, v148, v4
	scratch_store_b64 off, v[1:2], off offset:128
	v_cmpx_lt_u32_e32 15, v0
	s_cbranch_execz .LBB34_193
; %bb.192:
	scratch_load_b64 v[1:2], off, off offset:120
	v_mov_b32_e32 v75, 0
	s_delay_alu instid0(VALU_DEP_1)
	v_mov_b32_e32 v76, v75
	scratch_store_b64 off, v[75:76], off offset:120
	s_wait_loadcnt 0x0
	ds_store_b64 v3, v[1:2]
.LBB34_193:
	s_wait_alu 0xfffe
	s_or_b32 exec_lo, exec_lo, s0
	s_wait_storecnt_dscnt 0x0
	s_barrier_signal -1
	s_barrier_wait -1
	global_inv scope:SCOPE_SE
	s_clause 0xa
	scratch_load_b128 v[75:78], off, off offset:128
	scratch_load_b128 v[79:82], off, off offset:144
	;; [unrolled: 1-line block ×9, first 2 shown]
	scratch_load_b64 v[147:148], off, off offset:272
	scratch_load_b64 v[149:150], off, off offset:120
	v_mov_b32_e32 v1, 0
	ds_load_b128 v[111:114], v1 offset:416
	ds_load_b128 v[115:118], v1 offset:432
	;; [unrolled: 1-line block ×9, first 2 shown]
	ds_load_b64 v[151:152], v1 offset:560
	s_mov_b32 s0, exec_lo
	s_wait_loadcnt_dscnt 0xa09
	v_mul_f32_e32 v2, v111, v76
	v_mul_f32_e32 v76, v112, v76
	s_wait_loadcnt_dscnt 0x908
	v_dual_mul_f32 v4, v113, v78 :: v_dual_mul_f32 v153, v115, v80
	v_mul_f32_e32 v78, v114, v78
	s_wait_loadcnt_dscnt 0x807
	v_dual_mul_f32 v154, v117, v82 :: v_dual_mul_f32 v155, v119, v84
	v_fma_f32 v76, v111, v75, -v76
	v_fmac_f32_e32 v2, v112, v75
	v_dual_mul_f32 v75, v116, v80 :: v_dual_fmac_f32 v4, v114, v77
	v_fmac_f32_e32 v153, v116, v79
	v_fma_f32 v77, v113, v77, -v78
	v_dual_add_f32 v76, 0, v76 :: v_dual_fmac_f32 v155, v120, v83
	v_mul_f32_e32 v78, v118, v82
	v_fma_f32 v75, v115, v79, -v75
	s_wait_loadcnt_dscnt 0x706
	v_dual_mul_f32 v156, v121, v86 :: v_dual_mul_f32 v157, v123, v88
	v_add_f32_e32 v76, v76, v77
	v_add_f32_e32 v2, 0, v2
	v_fma_f32 v77, v117, v81, -v78
	s_wait_loadcnt_dscnt 0x504
	v_dual_mul_f32 v160, v129, v94 :: v_dual_mul_f32 v161, v131, v96
	s_delay_alu instid0(VALU_DEP_3) | instskip(SKIP_2) | instid1(VALU_DEP_4)
	v_dual_add_f32 v75, v76, v75 :: v_dual_add_f32 v2, v2, v4
	v_fmac_f32_e32 v157, v124, v87
	v_mul_f32_e32 v4, v120, v84
	v_dual_mul_f32 v76, v122, v86 :: v_dual_fmac_f32 v161, v132, v95
	s_delay_alu instid0(VALU_DEP_4) | instskip(SKIP_1) | instid1(VALU_DEP_4)
	v_add_f32_e32 v75, v75, v77
	v_mul_f32_e32 v77, v124, v88
	v_fma_f32 v4, v119, v83, -v4
	s_delay_alu instid0(VALU_DEP_4) | instskip(SKIP_2) | instid1(VALU_DEP_4)
	v_fma_f32 v76, v121, v85, -v76
	v_add_f32_e32 v2, v2, v153
	v_dual_mul_f32 v158, v125, v90 :: v_dual_mul_f32 v159, v127, v92
	v_dual_add_f32 v4, v75, v4 :: v_dual_mul_f32 v75, v126, v90
	v_fma_f32 v77, v123, v87, -v77
	s_delay_alu instid0(VALU_DEP_3) | instskip(NEXT) | instid1(VALU_DEP_3)
	v_dual_fmac_f32 v154, v118, v81 :: v_dual_fmac_f32 v159, v128, v91
	v_add_f32_e32 v4, v4, v76
	v_mul_f32_e32 v76, v128, v92
	v_fma_f32 v75, v125, v89, -v75
	s_wait_loadcnt_dscnt 0x403
	v_dual_mul_f32 v162, v133, v98 :: v_dual_mul_f32 v163, v135, v100
	v_dual_add_f32 v4, v4, v77 :: v_dual_mul_f32 v77, v130, v94
	v_fma_f32 v76, v127, v91, -v76
	s_delay_alu instid0(VALU_DEP_3) | instskip(NEXT) | instid1(VALU_DEP_3)
	v_dual_fmac_f32 v156, v122, v85 :: v_dual_fmac_f32 v163, v136, v99
	v_add_f32_e32 v4, v4, v75
	v_mul_f32_e32 v75, v132, v96
	v_fma_f32 v77, v129, v93, -v77
	v_add_f32_e32 v2, v2, v154
	s_wait_loadcnt_dscnt 0x302
	v_dual_mul_f32 v164, v137, v102 :: v_dual_mul_f32 v165, v139, v104
	v_add_f32_e32 v4, v4, v76
	v_mul_f32_e32 v76, v134, v98
	v_fma_f32 v75, v131, v95, -v75
	s_wait_loadcnt_dscnt 0x201
	v_dual_mul_f32 v166, v141, v106 :: v_dual_mul_f32 v167, v143, v108
	v_add_f32_e32 v4, v4, v77
	v_mul_f32_e32 v77, v136, v100
	v_fma_f32 v76, v133, v97, -v76
	v_add_f32_e32 v2, v2, v155
	v_dual_fmac_f32 v158, v126, v89 :: v_dual_fmac_f32 v167, v144, v107
	v_dual_add_f32 v4, v4, v75 :: v_dual_mul_f32 v75, v138, v102
	v_fma_f32 v77, v135, v99, -v77
	v_dual_fmac_f32 v165, v140, v103 :: v_dual_mul_f32 v168, v145, v110
	s_wait_loadcnt_dscnt 0x100
	v_mul_f32_e32 v169, v151, v148
	v_add_f32_e32 v4, v4, v76
	v_mul_f32_e32 v76, v140, v104
	v_fma_f32 v75, v137, v101, -v75
	v_fmac_f32_e32 v162, v134, v97
	v_fmac_f32_e32 v164, v138, v101
	v_dual_add_f32 v4, v4, v77 :: v_dual_mul_f32 v77, v142, v106
	v_fma_f32 v76, v139, v103, -v76
	v_dual_fmac_f32 v169, v152, v147 :: v_dual_fmac_f32 v166, v142, v105
	s_delay_alu instid0(VALU_DEP_3)
	v_add_f32_e32 v4, v4, v75
	v_mul_f32_e32 v75, v144, v108
	v_fma_f32 v77, v141, v105, -v77
	v_add_f32_e32 v2, v2, v156
	v_fmac_f32_e32 v168, v146, v109
	v_add_f32_e32 v4, v4, v76
	v_mul_f32_e32 v76, v146, v110
	v_fma_f32 v75, v143, v107, -v75
	v_add_f32_e32 v2, v2, v157
	s_delay_alu instid0(VALU_DEP_4) | instskip(SKIP_2) | instid1(VALU_DEP_4)
	v_add_f32_e32 v4, v4, v77
	v_mul_f32_e32 v77, v152, v148
	v_fma_f32 v76, v145, v109, -v76
	v_add_f32_e32 v2, v2, v158
	s_delay_alu instid0(VALU_DEP_4) | instskip(NEXT) | instid1(VALU_DEP_4)
	v_add_f32_e32 v4, v4, v75
	v_fma_f32 v75, v151, v147, -v77
	s_delay_alu instid0(VALU_DEP_3) | instskip(NEXT) | instid1(VALU_DEP_3)
	v_add_f32_e32 v2, v2, v159
	v_add_f32_e32 v4, v4, v76
	s_delay_alu instid0(VALU_DEP_1) | instskip(SKIP_1) | instid1(VALU_DEP_1)
	v_add_f32_e32 v4, v4, v75
	s_wait_loadcnt 0x0
	v_dual_fmac_f32 v160, v130, v93 :: v_dual_sub_f32 v75, v149, v4
	s_delay_alu instid0(VALU_DEP_1) | instskip(NEXT) | instid1(VALU_DEP_1)
	v_add_f32_e32 v2, v2, v160
	v_add_f32_e32 v2, v2, v161
	s_delay_alu instid0(VALU_DEP_1) | instskip(NEXT) | instid1(VALU_DEP_1)
	v_add_f32_e32 v2, v2, v162
	v_add_f32_e32 v2, v2, v163
	;; [unrolled: 3-line block ×5, first 2 shown]
	s_delay_alu instid0(VALU_DEP_1)
	v_sub_f32_e32 v76, v150, v2
	scratch_store_b64 off, v[75:76], off offset:120
	v_cmpx_lt_u32_e32 14, v0
	s_cbranch_execz .LBB34_195
; %bb.194:
	scratch_load_b64 v[75:76], off, off offset:112
	v_mov_b32_e32 v2, v1
	scratch_store_b64 off, v[1:2], off offset:112
	s_wait_loadcnt 0x0
	ds_store_b64 v3, v[75:76]
.LBB34_195:
	s_wait_alu 0xfffe
	s_or_b32 exec_lo, exec_lo, s0
	s_wait_storecnt_dscnt 0x0
	s_barrier_signal -1
	s_barrier_wait -1
	global_inv scope:SCOPE_SE
	s_clause 0xa
	scratch_load_b128 v[75:78], off, off offset:120
	scratch_load_b128 v[79:82], off, off offset:136
	;; [unrolled: 1-line block ×10, first 2 shown]
	scratch_load_b64 v[155:156], off, off offset:112
	ds_load_2addr_b64 v[115:118], v1 offset0:51 offset1:52
	ds_load_2addr_b64 v[119:122], v1 offset0:53 offset1:54
	ds_load_2addr_b64 v[123:126], v1 offset0:55 offset1:56
	ds_load_2addr_b64 v[127:130], v1 offset0:57 offset1:58
	ds_load_2addr_b64 v[131:134], v1 offset0:59 offset1:60
	ds_load_2addr_b64 v[135:138], v1 offset0:61 offset1:62
	ds_load_2addr_b64 v[139:142], v1 offset0:63 offset1:64
	ds_load_2addr_b64 v[143:146], v1 offset0:65 offset1:66
	ds_load_2addr_b64 v[147:150], v1 offset0:67 offset1:68
	ds_load_2addr_b64 v[151:154], v1 offset0:69 offset1:70
	s_mov_b32 s0, exec_lo
	s_wait_loadcnt_dscnt 0xa09
	v_dual_mul_f32 v1, v115, v76 :: v_dual_mul_f32 v2, v117, v78
	v_mul_f32_e32 v76, v116, v76
	v_mul_f32_e32 v78, v118, v78
	s_wait_loadcnt_dscnt 0x807
	v_dual_mul_f32 v158, v123, v84 :: v_dual_mul_f32 v159, v125, v86
	v_dual_fmac_f32 v1, v116, v75 :: v_dual_mul_f32 v4, v119, v80
	s_wait_loadcnt_dscnt 0x100
	v_dual_mul_f32 v157, v121, v82 :: v_dual_mul_f32 v172, v151, v112
	v_mul_f32_e32 v173, v153, v114
	v_fma_f32 v76, v115, v75, -v76
	v_mul_f32_e32 v75, v120, v80
	v_dual_add_f32 v1, 0, v1 :: v_dual_fmac_f32 v158, v124, v83
	v_dual_mul_f32 v160, v127, v88 :: v_dual_mul_f32 v161, v129, v90
	s_delay_alu instid0(VALU_DEP_4) | instskip(NEXT) | instid1(VALU_DEP_4)
	v_add_f32_e32 v76, 0, v76
	v_fma_f32 v75, v119, v79, -v75
	v_fmac_f32_e32 v2, v118, v77
	v_fma_f32 v77, v117, v77, -v78
	v_fmac_f32_e32 v157, v122, v81
	v_dual_fmac_f32 v159, v126, v85 :: v_dual_mul_f32 v162, v131, v92
	s_delay_alu instid0(VALU_DEP_3) | instskip(SKIP_1) | instid1(VALU_DEP_3)
	v_dual_mul_f32 v163, v133, v94 :: v_dual_add_f32 v76, v76, v77
	v_dual_fmac_f32 v161, v130, v89 :: v_dual_mul_f32 v164, v135, v96
	v_dual_mul_f32 v165, v137, v98 :: v_dual_fmac_f32 v162, v132, v91
	s_delay_alu instid0(VALU_DEP_3) | instskip(SKIP_4) | instid1(VALU_DEP_4)
	v_add_f32_e32 v75, v76, v75
	v_dual_fmac_f32 v4, v120, v79 :: v_dual_add_f32 v1, v1, v2
	v_mul_f32_e32 v78, v122, v82
	v_mul_f32_e32 v2, v124, v84
	;; [unrolled: 1-line block ×3, first 2 shown]
	v_dual_fmac_f32 v160, v128, v87 :: v_dual_add_f32 v1, v1, v4
	s_delay_alu instid0(VALU_DEP_4)
	v_fma_f32 v77, v121, v81, -v78
	v_mul_f32_e32 v4, v126, v86
	v_fma_f32 v2, v123, v83, -v2
	v_fma_f32 v76, v127, v87, -v76
	v_add_f32_e32 v1, v1, v157
	v_add_f32_e32 v75, v75, v77
	v_fma_f32 v4, v125, v85, -v4
	v_dual_fmac_f32 v163, v134, v93 :: v_dual_fmac_f32 v164, v136, v95
	v_fmac_f32_e32 v165, v138, v97
	v_add_f32_e32 v1, v1, v158
	v_add_f32_e32 v2, v75, v2
	v_dual_mul_f32 v75, v130, v90 :: v_dual_mul_f32 v166, v139, v100
	v_mul_f32_e32 v167, v141, v102
	s_delay_alu instid0(VALU_DEP_4) | instskip(SKIP_1) | instid1(VALU_DEP_4)
	v_dual_add_f32 v1, v1, v159 :: v_dual_mul_f32 v168, v143, v104
	v_mul_f32_e32 v169, v145, v106
	v_fma_f32 v75, v129, v89, -v75
	s_delay_alu instid0(VALU_DEP_4) | instskip(NEXT) | instid1(VALU_DEP_4)
	v_dual_fmac_f32 v166, v140, v99 :: v_dual_fmac_f32 v167, v142, v101
	v_add_f32_e32 v1, v1, v160
	v_add_f32_e32 v2, v2, v4
	v_mul_f32_e32 v4, v132, v92
	v_dual_mul_f32 v170, v147, v108 :: v_dual_mul_f32 v171, v149, v110
	s_delay_alu instid0(VALU_DEP_3) | instskip(NEXT) | instid1(VALU_DEP_3)
	v_dual_add_f32 v1, v1, v161 :: v_dual_add_f32 v2, v2, v76
	v_fma_f32 v4, v131, v91, -v4
	v_mul_f32_e32 v76, v134, v94
	s_delay_alu instid0(VALU_DEP_4) | instskip(NEXT) | instid1(VALU_DEP_4)
	v_dual_fmac_f32 v168, v144, v103 :: v_dual_fmac_f32 v171, v150, v109
	v_dual_add_f32 v1, v1, v162 :: v_dual_add_f32 v2, v2, v75
	v_mul_f32_e32 v75, v136, v96
	s_delay_alu instid0(VALU_DEP_4) | instskip(SKIP_1) | instid1(VALU_DEP_4)
	v_fma_f32 v76, v133, v93, -v76
	v_fmac_f32_e32 v170, v148, v107
	v_dual_add_f32 v1, v1, v163 :: v_dual_add_f32 v2, v2, v4
	v_mul_f32_e32 v4, v138, v98
	v_fma_f32 v75, v135, v95, -v75
	v_fmac_f32_e32 v169, v146, v105
	s_delay_alu instid0(VALU_DEP_4) | instskip(SKIP_3) | instid1(VALU_DEP_4)
	v_add_f32_e32 v1, v1, v164
	v_add_f32_e32 v2, v2, v76
	v_mul_f32_e32 v76, v140, v100
	v_fma_f32 v4, v137, v97, -v4
	v_dual_fmac_f32 v172, v152, v111 :: v_dual_add_f32 v1, v1, v165
	s_delay_alu instid0(VALU_DEP_4) | instskip(SKIP_3) | instid1(VALU_DEP_4)
	v_add_f32_e32 v2, v2, v75
	v_mul_f32_e32 v75, v142, v102
	v_fma_f32 v76, v139, v99, -v76
	v_fmac_f32_e32 v173, v154, v113
	v_dual_add_f32 v1, v1, v166 :: v_dual_add_f32 v2, v2, v4
	v_mul_f32_e32 v4, v144, v104
	v_fma_f32 v75, v141, v101, -v75
	s_delay_alu instid0(VALU_DEP_3) | instskip(NEXT) | instid1(VALU_DEP_3)
	v_add_f32_e32 v1, v1, v167
	v_fma_f32 v4, v143, v103, -v4
	s_delay_alu instid0(VALU_DEP_2) | instskip(SKIP_1) | instid1(VALU_DEP_2)
	v_add_f32_e32 v1, v1, v168
	v_add_f32_e32 v2, v2, v76
	v_dual_mul_f32 v76, v146, v106 :: v_dual_add_f32 v1, v1, v169
	s_delay_alu instid0(VALU_DEP_2) | instskip(NEXT) | instid1(VALU_DEP_2)
	v_dual_add_f32 v2, v2, v75 :: v_dual_mul_f32 v75, v148, v108
	v_fma_f32 v76, v145, v105, -v76
	s_delay_alu instid0(VALU_DEP_2) | instskip(SKIP_1) | instid1(VALU_DEP_4)
	v_dual_add_f32 v1, v1, v170 :: v_dual_add_f32 v2, v2, v4
	v_mul_f32_e32 v4, v150, v110
	v_fma_f32 v75, v147, v107, -v75
	s_delay_alu instid0(VALU_DEP_3) | instskip(SKIP_1) | instid1(VALU_DEP_4)
	v_dual_add_f32 v1, v1, v171 :: v_dual_add_f32 v2, v2, v76
	v_mul_f32_e32 v76, v152, v112
	v_fma_f32 v4, v149, v109, -v4
	s_delay_alu instid0(VALU_DEP_3) | instskip(SKIP_1) | instid1(VALU_DEP_4)
	v_dual_add_f32 v1, v1, v172 :: v_dual_add_f32 v2, v2, v75
	v_mul_f32_e32 v75, v154, v114
	v_fma_f32 v76, v151, v111, -v76
	s_delay_alu instid0(VALU_DEP_3) | instskip(NEXT) | instid1(VALU_DEP_3)
	v_add_f32_e32 v2, v2, v4
	v_fma_f32 v4, v153, v113, -v75
	s_delay_alu instid0(VALU_DEP_2) | instskip(NEXT) | instid1(VALU_DEP_1)
	v_add_f32_e32 v2, v2, v76
	v_add_f32_e32 v2, v2, v4
	s_wait_loadcnt 0x0
	s_delay_alu instid0(VALU_DEP_1) | instskip(NEXT) | instid1(VALU_DEP_1)
	v_dual_add_f32 v4, v1, v173 :: v_dual_sub_f32 v1, v155, v2
	v_sub_f32_e32 v2, v156, v4
	scratch_store_b64 off, v[1:2], off offset:112
	v_cmpx_lt_u32_e32 13, v0
	s_cbranch_execz .LBB34_197
; %bb.196:
	scratch_load_b64 v[1:2], off, off offset:104
	v_mov_b32_e32 v75, 0
	s_delay_alu instid0(VALU_DEP_1)
	v_mov_b32_e32 v76, v75
	scratch_store_b64 off, v[75:76], off offset:104
	s_wait_loadcnt 0x0
	ds_store_b64 v3, v[1:2]
.LBB34_197:
	s_wait_alu 0xfffe
	s_or_b32 exec_lo, exec_lo, s0
	s_wait_storecnt_dscnt 0x0
	s_barrier_signal -1
	s_barrier_wait -1
	global_inv scope:SCOPE_SE
	s_clause 0xb
	scratch_load_b128 v[75:78], off, off offset:112
	scratch_load_b128 v[79:82], off, off offset:128
	;; [unrolled: 1-line block ×10, first 2 shown]
	scratch_load_b64 v[155:156], off, off offset:272
	scratch_load_b64 v[157:158], off, off offset:104
	v_mov_b32_e32 v1, 0
	ds_load_b128 v[115:118], v1 offset:400
	ds_load_b128 v[119:122], v1 offset:416
	;; [unrolled: 1-line block ×10, first 2 shown]
	ds_load_b64 v[159:160], v1 offset:560
	s_mov_b32 s0, exec_lo
	s_wait_loadcnt_dscnt 0xb0a
	v_mul_f32_e32 v2, v115, v76
	v_mul_f32_e32 v76, v116, v76
	s_wait_loadcnt_dscnt 0xa09
	v_dual_mul_f32 v4, v117, v78 :: v_dual_mul_f32 v161, v119, v80
	v_mul_f32_e32 v78, v118, v78
	s_wait_loadcnt_dscnt 0x908
	v_dual_mul_f32 v162, v121, v82 :: v_dual_mul_f32 v163, v123, v84
	v_fma_f32 v76, v115, v75, -v76
	v_fmac_f32_e32 v2, v116, v75
	v_dual_mul_f32 v75, v120, v80 :: v_dual_fmac_f32 v4, v118, v77
	v_fmac_f32_e32 v161, v120, v79
	v_fma_f32 v77, v117, v77, -v78
	v_dual_add_f32 v76, 0, v76 :: v_dual_fmac_f32 v163, v124, v83
	v_mul_f32_e32 v78, v122, v82
	v_fma_f32 v75, v119, v79, -v75
	s_wait_loadcnt_dscnt 0x807
	v_dual_mul_f32 v164, v125, v86 :: v_dual_mul_f32 v165, v127, v88
	v_add_f32_e32 v76, v76, v77
	v_add_f32_e32 v2, 0, v2
	v_fma_f32 v77, v121, v81, -v78
	s_wait_loadcnt_dscnt 0x605
	v_dual_mul_f32 v168, v133, v94 :: v_dual_mul_f32 v169, v135, v96
	s_delay_alu instid0(VALU_DEP_3) | instskip(SKIP_2) | instid1(VALU_DEP_4)
	v_dual_add_f32 v75, v76, v75 :: v_dual_add_f32 v2, v2, v4
	v_fmac_f32_e32 v165, v128, v87
	v_mul_f32_e32 v4, v124, v84
	v_dual_mul_f32 v76, v126, v86 :: v_dual_fmac_f32 v169, v136, v95
	s_delay_alu instid0(VALU_DEP_4) | instskip(SKIP_1) | instid1(VALU_DEP_4)
	v_add_f32_e32 v75, v75, v77
	v_mul_f32_e32 v77, v128, v88
	v_fma_f32 v4, v123, v83, -v4
	s_delay_alu instid0(VALU_DEP_4) | instskip(SKIP_2) | instid1(VALU_DEP_4)
	v_fma_f32 v76, v125, v85, -v76
	v_add_f32_e32 v2, v2, v161
	v_dual_mul_f32 v166, v129, v90 :: v_dual_mul_f32 v167, v131, v92
	v_dual_add_f32 v4, v75, v4 :: v_dual_mul_f32 v75, v130, v90
	v_fma_f32 v77, v127, v87, -v77
	s_delay_alu instid0(VALU_DEP_3) | instskip(NEXT) | instid1(VALU_DEP_3)
	v_dual_fmac_f32 v162, v122, v81 :: v_dual_fmac_f32 v167, v132, v91
	v_add_f32_e32 v4, v4, v76
	v_mul_f32_e32 v76, v132, v92
	v_fma_f32 v75, v129, v89, -v75
	s_wait_loadcnt_dscnt 0x504
	v_dual_mul_f32 v170, v137, v98 :: v_dual_mul_f32 v171, v139, v100
	v_dual_add_f32 v4, v4, v77 :: v_dual_mul_f32 v77, v134, v94
	v_fma_f32 v76, v131, v91, -v76
	s_delay_alu instid0(VALU_DEP_3) | instskip(NEXT) | instid1(VALU_DEP_3)
	v_dual_fmac_f32 v164, v126, v85 :: v_dual_fmac_f32 v171, v140, v99
	v_add_f32_e32 v4, v4, v75
	v_mul_f32_e32 v75, v136, v96
	v_fma_f32 v77, v133, v93, -v77
	v_add_f32_e32 v2, v2, v162
	s_wait_loadcnt_dscnt 0x403
	v_dual_mul_f32 v172, v141, v102 :: v_dual_mul_f32 v173, v143, v104
	v_add_f32_e32 v4, v4, v76
	v_mul_f32_e32 v76, v138, v98
	v_fma_f32 v75, v135, v95, -v75
	s_wait_loadcnt_dscnt 0x302
	v_dual_mul_f32 v174, v145, v106 :: v_dual_mul_f32 v175, v147, v108
	v_add_f32_e32 v4, v4, v77
	v_mul_f32_e32 v77, v140, v100
	v_fma_f32 v76, v137, v97, -v76
	v_add_f32_e32 v2, v2, v163
	v_dual_fmac_f32 v166, v130, v89 :: v_dual_fmac_f32 v175, v148, v107
	v_dual_add_f32 v4, v4, v75 :: v_dual_mul_f32 v75, v142, v102
	v_fma_f32 v77, v139, v99, -v77
	v_dual_fmac_f32 v173, v144, v103 :: v_dual_mul_f32 v176, v149, v110
	s_wait_loadcnt_dscnt 0x201
	v_mul_f32_e32 v177, v151, v112
	v_add_f32_e32 v4, v4, v76
	v_mul_f32_e32 v76, v144, v104
	v_fma_f32 v75, v141, v101, -v75
	s_wait_loadcnt_dscnt 0x100
	v_dual_mul_f32 v178, v153, v114 :: v_dual_mul_f32 v179, v159, v156
	v_dual_add_f32 v4, v4, v77 :: v_dual_mul_f32 v77, v146, v106
	v_fma_f32 v76, v143, v103, -v76
	s_delay_alu instid0(VALU_DEP_3) | instskip(NEXT) | instid1(VALU_DEP_3)
	v_dual_fmac_f32 v168, v134, v93 :: v_dual_fmac_f32 v179, v160, v155
	v_add_f32_e32 v4, v4, v75
	v_mul_f32_e32 v75, v148, v108
	v_fma_f32 v77, v145, v105, -v77
	v_dual_add_f32 v2, v2, v164 :: v_dual_fmac_f32 v177, v152, v111
	s_delay_alu instid0(VALU_DEP_4) | instskip(SKIP_2) | instid1(VALU_DEP_4)
	v_add_f32_e32 v4, v4, v76
	v_mul_f32_e32 v76, v150, v110
	v_fma_f32 v75, v147, v107, -v75
	v_add_f32_e32 v2, v2, v165
	v_fmac_f32_e32 v170, v138, v97
	v_add_f32_e32 v4, v4, v77
	v_mul_f32_e32 v77, v152, v112
	v_fma_f32 v76, v149, v109, -v76
	v_add_f32_e32 v2, v2, v166
	v_fmac_f32_e32 v172, v142, v101
	v_dual_add_f32 v4, v4, v75 :: v_dual_mul_f32 v75, v154, v114
	v_fma_f32 v77, v151, v111, -v77
	v_fmac_f32_e32 v174, v146, v105
	v_fmac_f32_e32 v176, v150, v109
	s_delay_alu instid0(VALU_DEP_4) | instskip(SKIP_3) | instid1(VALU_DEP_4)
	v_add_f32_e32 v4, v4, v76
	v_mul_f32_e32 v76, v160, v156
	v_fma_f32 v75, v153, v113, -v75
	v_fmac_f32_e32 v178, v154, v113
	v_add_f32_e32 v4, v4, v77
	s_delay_alu instid0(VALU_DEP_4) | instskip(NEXT) | instid1(VALU_DEP_2)
	v_fma_f32 v76, v159, v155, -v76
	v_add_f32_e32 v4, v4, v75
	s_delay_alu instid0(VALU_DEP_1) | instskip(SKIP_1) | instid1(VALU_DEP_1)
	v_add_f32_e32 v4, v4, v76
	s_wait_loadcnt 0x0
	v_dual_add_f32 v2, v2, v167 :: v_dual_sub_f32 v75, v157, v4
	s_delay_alu instid0(VALU_DEP_1) | instskip(NEXT) | instid1(VALU_DEP_1)
	v_add_f32_e32 v2, v2, v168
	v_add_f32_e32 v2, v2, v169
	s_delay_alu instid0(VALU_DEP_1) | instskip(NEXT) | instid1(VALU_DEP_1)
	v_add_f32_e32 v2, v2, v170
	v_add_f32_e32 v2, v2, v171
	;; [unrolled: 3-line block ×6, first 2 shown]
	s_delay_alu instid0(VALU_DEP_1)
	v_sub_f32_e32 v76, v158, v2
	scratch_store_b64 off, v[75:76], off offset:104
	v_cmpx_lt_u32_e32 12, v0
	s_cbranch_execz .LBB34_199
; %bb.198:
	scratch_load_b64 v[75:76], off, off offset:96
	v_mov_b32_e32 v2, v1
	scratch_store_b64 off, v[1:2], off offset:96
	s_wait_loadcnt 0x0
	ds_store_b64 v3, v[75:76]
.LBB34_199:
	s_wait_alu 0xfffe
	s_or_b32 exec_lo, exec_lo, s0
	s_wait_storecnt_dscnt 0x0
	s_barrier_signal -1
	s_barrier_wait -1
	global_inv scope:SCOPE_SE
	s_clause 0xb
	scratch_load_b128 v[75:78], off, off offset:104
	scratch_load_b128 v[79:82], off, off offset:120
	scratch_load_b128 v[83:86], off, off offset:136
	scratch_load_b128 v[87:90], off, off offset:152
	scratch_load_b128 v[91:94], off, off offset:168
	scratch_load_b128 v[95:98], off, off offset:184
	scratch_load_b128 v[99:102], off, off offset:200
	scratch_load_b128 v[103:106], off, off offset:216
	scratch_load_b128 v[107:110], off, off offset:232
	scratch_load_b128 v[111:114], off, off offset:248
	scratch_load_b128 v[115:118], off, off offset:264
	scratch_load_b64 v[163:164], off, off offset:96
	ds_load_2addr_b64 v[119:122], v1 offset0:49 offset1:50
	ds_load_2addr_b64 v[123:126], v1 offset0:51 offset1:52
	;; [unrolled: 1-line block ×11, first 2 shown]
	s_mov_b32 s0, exec_lo
	s_wait_loadcnt_dscnt 0xb0a
	v_dual_mul_f32 v1, v119, v76 :: v_dual_mul_f32 v2, v121, v78
	v_mul_f32_e32 v76, v120, v76
	v_mul_f32_e32 v78, v122, v78
	s_wait_loadcnt_dscnt 0x908
	v_dual_mul_f32 v166, v127, v84 :: v_dual_mul_f32 v167, v129, v86
	v_dual_fmac_f32 v1, v120, v75 :: v_dual_mul_f32 v4, v123, v80
	s_delay_alu instid0(VALU_DEP_2)
	v_dual_mul_f32 v165, v125, v82 :: v_dual_fmac_f32 v166, v128, v83
	s_wait_loadcnt_dscnt 0x100
	v_dual_mul_f32 v182, v159, v116 :: v_dual_mul_f32 v183, v161, v118
	v_fma_f32 v76, v119, v75, -v76
	v_mul_f32_e32 v75, v124, v80
	v_dual_add_f32 v1, 0, v1 :: v_dual_mul_f32 v168, v131, v88
	s_delay_alu instid0(VALU_DEP_3) | instskip(NEXT) | instid1(VALU_DEP_3)
	v_dual_mul_f32 v169, v133, v90 :: v_dual_add_f32 v76, 0, v76
	v_fma_f32 v75, v123, v79, -v75
	v_fmac_f32_e32 v2, v122, v77
	v_fma_f32 v77, v121, v77, -v78
	v_fmac_f32_e32 v165, v126, v81
	v_dual_fmac_f32 v167, v130, v85 :: v_dual_mul_f32 v170, v135, v92
	s_delay_alu instid0(VALU_DEP_3) | instskip(SKIP_1) | instid1(VALU_DEP_3)
	v_dual_mul_f32 v171, v137, v94 :: v_dual_add_f32 v76, v76, v77
	v_dual_fmac_f32 v169, v134, v89 :: v_dual_mul_f32 v172, v139, v96
	v_dual_mul_f32 v173, v141, v98 :: v_dual_fmac_f32 v170, v136, v91
	s_delay_alu instid0(VALU_DEP_3) | instskip(SKIP_4) | instid1(VALU_DEP_4)
	v_add_f32_e32 v75, v76, v75
	v_dual_fmac_f32 v4, v124, v79 :: v_dual_add_f32 v1, v1, v2
	v_mul_f32_e32 v78, v126, v82
	v_mul_f32_e32 v2, v128, v84
	;; [unrolled: 1-line block ×3, first 2 shown]
	v_dual_fmac_f32 v168, v132, v87 :: v_dual_add_f32 v1, v1, v4
	s_delay_alu instid0(VALU_DEP_4)
	v_fma_f32 v77, v125, v81, -v78
	v_mul_f32_e32 v4, v130, v86
	v_fma_f32 v2, v127, v83, -v2
	v_fma_f32 v76, v131, v87, -v76
	v_add_f32_e32 v1, v1, v165
	v_add_f32_e32 v75, v75, v77
	v_fma_f32 v4, v129, v85, -v4
	v_dual_fmac_f32 v172, v140, v95 :: v_dual_fmac_f32 v173, v142, v97
	s_delay_alu instid0(VALU_DEP_4) | instskip(NEXT) | instid1(VALU_DEP_4)
	v_add_f32_e32 v1, v1, v166
	v_add_f32_e32 v2, v75, v2
	v_mul_f32_e32 v75, v134, v90
	v_dual_fmac_f32 v171, v138, v93 :: v_dual_mul_f32 v174, v143, v100
	v_mul_f32_e32 v175, v145, v102
	v_add_f32_e32 v1, v1, v167
	s_delay_alu instid0(VALU_DEP_4) | instskip(SKIP_1) | instid1(VALU_DEP_4)
	v_fma_f32 v75, v133, v89, -v75
	v_dual_mul_f32 v176, v147, v104 :: v_dual_mul_f32 v177, v149, v106
	v_dual_fmac_f32 v174, v144, v99 :: v_dual_fmac_f32 v175, v146, v101
	s_delay_alu instid0(VALU_DEP_4) | instskip(SKIP_3) | instid1(VALU_DEP_3)
	v_add_f32_e32 v1, v1, v168
	v_add_f32_e32 v2, v2, v4
	v_mul_f32_e32 v4, v136, v92
	v_dual_mul_f32 v178, v151, v108 :: v_dual_mul_f32 v179, v153, v110
	v_dual_add_f32 v1, v1, v169 :: v_dual_add_f32 v2, v2, v76
	s_delay_alu instid0(VALU_DEP_3) | instskip(SKIP_1) | instid1(VALU_DEP_4)
	v_fma_f32 v4, v135, v91, -v4
	v_mul_f32_e32 v76, v138, v94
	v_dual_fmac_f32 v176, v148, v103 :: v_dual_fmac_f32 v179, v154, v109
	s_delay_alu instid0(VALU_DEP_4) | instskip(SKIP_1) | instid1(VALU_DEP_4)
	v_dual_add_f32 v1, v1, v170 :: v_dual_add_f32 v2, v2, v75
	v_mul_f32_e32 v75, v140, v96
	v_fma_f32 v76, v137, v93, -v76
	v_fmac_f32_e32 v178, v152, v107
	s_delay_alu instid0(VALU_DEP_4) | instskip(SKIP_3) | instid1(VALU_DEP_4)
	v_dual_add_f32 v1, v1, v171 :: v_dual_add_f32 v2, v2, v4
	v_mul_f32_e32 v4, v142, v98
	v_fma_f32 v75, v139, v95, -v75
	v_fmac_f32_e32 v177, v150, v105
	v_add_f32_e32 v1, v1, v172
	v_add_f32_e32 v2, v2, v76
	v_fma_f32 v4, v141, v97, -v4
	v_mul_f32_e32 v76, v144, v100
	v_dual_mul_f32 v180, v155, v112 :: v_dual_mul_f32 v181, v157, v114
	s_delay_alu instid0(VALU_DEP_4) | instskip(SKIP_1) | instid1(VALU_DEP_4)
	v_dual_add_f32 v1, v1, v173 :: v_dual_add_f32 v2, v2, v75
	v_mul_f32_e32 v75, v146, v102
	v_fma_f32 v76, v143, v99, -v76
	s_delay_alu instid0(VALU_DEP_4) | instskip(NEXT) | instid1(VALU_DEP_4)
	v_dual_fmac_f32 v180, v156, v111 :: v_dual_fmac_f32 v181, v158, v113
	v_dual_add_f32 v1, v1, v174 :: v_dual_add_f32 v2, v2, v4
	v_mul_f32_e32 v4, v148, v104
	v_fma_f32 v75, v145, v101, -v75
	v_fmac_f32_e32 v182, v160, v115
	s_delay_alu instid0(VALU_DEP_4) | instskip(SKIP_2) | instid1(VALU_DEP_3)
	v_add_f32_e32 v1, v1, v175
	v_fmac_f32_e32 v183, v162, v117
	v_fma_f32 v4, v147, v103, -v4
	v_add_f32_e32 v1, v1, v176
	v_add_f32_e32 v2, v2, v76
	s_delay_alu instid0(VALU_DEP_2) | instskip(NEXT) | instid1(VALU_DEP_2)
	v_dual_mul_f32 v76, v150, v106 :: v_dual_add_f32 v1, v1, v177
	v_dual_add_f32 v2, v2, v75 :: v_dual_mul_f32 v75, v152, v108
	s_delay_alu instid0(VALU_DEP_2) | instskip(NEXT) | instid1(VALU_DEP_2)
	v_fma_f32 v76, v149, v105, -v76
	v_dual_add_f32 v1, v1, v178 :: v_dual_add_f32 v2, v2, v4
	v_mul_f32_e32 v4, v154, v110
	s_delay_alu instid0(VALU_DEP_4) | instskip(NEXT) | instid1(VALU_DEP_3)
	v_fma_f32 v75, v151, v107, -v75
	v_add_f32_e32 v1, v1, v179
	s_delay_alu instid0(VALU_DEP_3) | instskip(NEXT) | instid1(VALU_DEP_2)
	v_fma_f32 v4, v153, v109, -v4
	v_add_f32_e32 v1, v1, v180
	v_add_f32_e32 v2, v2, v76
	s_delay_alu instid0(VALU_DEP_2) | instskip(NEXT) | instid1(VALU_DEP_2)
	v_dual_mul_f32 v76, v156, v112 :: v_dual_add_f32 v1, v1, v181
	v_add_f32_e32 v2, v2, v75
	v_mul_f32_e32 v75, v158, v114
	s_delay_alu instid0(VALU_DEP_3) | instskip(NEXT) | instid1(VALU_DEP_3)
	v_fma_f32 v76, v155, v111, -v76
	v_dual_add_f32 v1, v1, v182 :: v_dual_add_f32 v2, v2, v4
	v_mul_f32_e32 v4, v160, v116
	s_delay_alu instid0(VALU_DEP_4) | instskip(NEXT) | instid1(VALU_DEP_3)
	v_fma_f32 v75, v157, v113, -v75
	v_add_f32_e32 v2, v2, v76
	v_mul_f32_e32 v76, v162, v118
	s_delay_alu instid0(VALU_DEP_4) | instskip(NEXT) | instid1(VALU_DEP_3)
	v_fma_f32 v4, v159, v115, -v4
	v_add_f32_e32 v2, v2, v75
	s_delay_alu instid0(VALU_DEP_3) | instskip(NEXT) | instid1(VALU_DEP_2)
	v_fma_f32 v75, v161, v117, -v76
	v_add_f32_e32 v2, v2, v4
	v_add_f32_e32 v4, v1, v183
	s_delay_alu instid0(VALU_DEP_2) | instskip(SKIP_1) | instid1(VALU_DEP_1)
	v_add_f32_e32 v2, v2, v75
	s_wait_loadcnt 0x0
	v_dual_sub_f32 v1, v163, v2 :: v_dual_sub_f32 v2, v164, v4
	scratch_store_b64 off, v[1:2], off offset:96
	v_cmpx_lt_u32_e32 11, v0
	s_cbranch_execz .LBB34_201
; %bb.200:
	scratch_load_b64 v[1:2], off, off offset:88
	v_mov_b32_e32 v75, 0
	s_delay_alu instid0(VALU_DEP_1)
	v_mov_b32_e32 v76, v75
	scratch_store_b64 off, v[75:76], off offset:88
	s_wait_loadcnt 0x0
	ds_store_b64 v3, v[1:2]
.LBB34_201:
	s_wait_alu 0xfffe
	s_or_b32 exec_lo, exec_lo, s0
	s_wait_storecnt_dscnt 0x0
	s_barrier_signal -1
	s_barrier_wait -1
	global_inv scope:SCOPE_SE
	s_clause 0xc
	scratch_load_b128 v[75:78], off, off offset:96
	scratch_load_b128 v[79:82], off, off offset:112
	;; [unrolled: 1-line block ×11, first 2 shown]
	scratch_load_b64 v[163:164], off, off offset:272
	scratch_load_b64 v[165:166], off, off offset:88
	v_mov_b32_e32 v1, 0
	ds_load_b128 v[119:122], v1 offset:384
	ds_load_b128 v[123:126], v1 offset:400
	;; [unrolled: 1-line block ×11, first 2 shown]
	ds_load_b64 v[167:168], v1 offset:560
	s_mov_b32 s0, exec_lo
	s_wait_loadcnt_dscnt 0xc0b
	v_mul_f32_e32 v2, v119, v76
	v_mul_f32_e32 v76, v120, v76
	s_wait_loadcnt_dscnt 0xb0a
	v_dual_mul_f32 v4, v121, v78 :: v_dual_mul_f32 v169, v123, v80
	v_mul_f32_e32 v78, v122, v78
	s_wait_loadcnt_dscnt 0xa09
	v_dual_mul_f32 v170, v125, v82 :: v_dual_mul_f32 v171, v127, v84
	v_fma_f32 v76, v119, v75, -v76
	v_fmac_f32_e32 v2, v120, v75
	v_dual_mul_f32 v75, v124, v80 :: v_dual_fmac_f32 v4, v122, v77
	v_fmac_f32_e32 v169, v124, v79
	v_fma_f32 v77, v121, v77, -v78
	v_dual_add_f32 v76, 0, v76 :: v_dual_fmac_f32 v171, v128, v83
	v_mul_f32_e32 v78, v126, v82
	v_fma_f32 v75, v123, v79, -v75
	s_wait_loadcnt_dscnt 0x908
	v_dual_mul_f32 v172, v129, v86 :: v_dual_mul_f32 v173, v131, v88
	v_add_f32_e32 v76, v76, v77
	v_add_f32_e32 v2, 0, v2
	v_fma_f32 v77, v125, v81, -v78
	s_wait_loadcnt_dscnt 0x706
	v_dual_mul_f32 v176, v137, v94 :: v_dual_mul_f32 v177, v139, v96
	s_delay_alu instid0(VALU_DEP_3) | instskip(SKIP_2) | instid1(VALU_DEP_4)
	v_dual_add_f32 v75, v76, v75 :: v_dual_add_f32 v2, v2, v4
	v_fmac_f32_e32 v173, v132, v87
	v_mul_f32_e32 v4, v128, v84
	v_dual_mul_f32 v76, v130, v86 :: v_dual_fmac_f32 v177, v140, v95
	s_delay_alu instid0(VALU_DEP_4) | instskip(SKIP_1) | instid1(VALU_DEP_4)
	v_add_f32_e32 v75, v75, v77
	v_mul_f32_e32 v77, v132, v88
	v_fma_f32 v4, v127, v83, -v4
	s_delay_alu instid0(VALU_DEP_4) | instskip(SKIP_2) | instid1(VALU_DEP_4)
	v_fma_f32 v76, v129, v85, -v76
	v_add_f32_e32 v2, v2, v169
	v_dual_mul_f32 v174, v133, v90 :: v_dual_mul_f32 v175, v135, v92
	v_dual_add_f32 v4, v75, v4 :: v_dual_mul_f32 v75, v134, v90
	v_fma_f32 v77, v131, v87, -v77
	s_wait_loadcnt_dscnt 0x100
	v_dual_mul_f32 v188, v161, v118 :: v_dual_mul_f32 v189, v167, v164
	s_delay_alu instid0(VALU_DEP_3) | instskip(SKIP_3) | instid1(VALU_DEP_4)
	v_add_f32_e32 v4, v4, v76
	v_mul_f32_e32 v76, v136, v92
	v_fma_f32 v75, v133, v89, -v75
	v_dual_fmac_f32 v170, v126, v81 :: v_dual_fmac_f32 v175, v136, v91
	v_dual_add_f32 v4, v4, v77 :: v_dual_mul_f32 v77, v138, v94
	s_delay_alu instid0(VALU_DEP_4) | instskip(SKIP_1) | instid1(VALU_DEP_3)
	v_fma_f32 v76, v135, v91, -v76
	v_dual_fmac_f32 v189, v168, v163 :: v_dual_mul_f32 v178, v141, v98
	v_dual_mul_f32 v179, v143, v100 :: v_dual_add_f32 v4, v4, v75
	v_mul_f32_e32 v75, v140, v96
	v_fma_f32 v77, v137, v93, -v77
	v_add_f32_e32 v2, v2, v170
	s_delay_alu instid0(VALU_DEP_4) | instskip(SKIP_4) | instid1(VALU_DEP_4)
	v_dual_fmac_f32 v172, v130, v85 :: v_dual_fmac_f32 v179, v144, v99
	v_add_f32_e32 v4, v4, v76
	v_mul_f32_e32 v76, v142, v98
	v_fma_f32 v75, v139, v95, -v75
	v_dual_mul_f32 v180, v145, v102 :: v_dual_mul_f32 v181, v147, v104
	v_add_f32_e32 v4, v4, v77
	v_mul_f32_e32 v77, v144, v100
	v_fma_f32 v76, v141, v97, -v76
	v_add_f32_e32 v2, v2, v171
	v_dual_mul_f32 v182, v149, v106 :: v_dual_mul_f32 v183, v151, v108
	v_dual_add_f32 v4, v4, v75 :: v_dual_mul_f32 v75, v146, v102
	v_fma_f32 v77, v143, v99, -v77
	v_dual_fmac_f32 v181, v148, v103 :: v_dual_fmac_f32 v174, v134, v89
	s_delay_alu instid0(VALU_DEP_4) | instskip(NEXT) | instid1(VALU_DEP_4)
	v_fmac_f32_e32 v183, v152, v107
	v_add_f32_e32 v4, v4, v76
	v_mul_f32_e32 v76, v148, v104
	v_fma_f32 v75, v145, v101, -v75
	v_dual_mul_f32 v184, v153, v110 :: v_dual_mul_f32 v185, v155, v112
	s_delay_alu instid0(VALU_DEP_4) | instskip(NEXT) | instid1(VALU_DEP_4)
	v_dual_add_f32 v4, v4, v77 :: v_dual_mul_f32 v77, v150, v106
	v_fma_f32 v76, v147, v103, -v76
	v_dual_mul_f32 v186, v157, v114 :: v_dual_mul_f32 v187, v159, v116
	s_delay_alu instid0(VALU_DEP_3)
	v_add_f32_e32 v4, v4, v75
	v_mul_f32_e32 v75, v152, v108
	v_fma_f32 v77, v149, v105, -v77
	v_add_f32_e32 v2, v2, v172
	v_dual_fmac_f32 v176, v138, v93 :: v_dual_fmac_f32 v187, v160, v115
	v_add_f32_e32 v4, v4, v76
	v_mul_f32_e32 v76, v154, v110
	v_fma_f32 v75, v151, v107, -v75
	v_dual_add_f32 v2, v2, v173 :: v_dual_fmac_f32 v185, v156, v111
	s_delay_alu instid0(VALU_DEP_4) | instskip(SKIP_2) | instid1(VALU_DEP_4)
	v_add_f32_e32 v4, v4, v77
	v_mul_f32_e32 v77, v156, v112
	v_fma_f32 v76, v153, v109, -v76
	v_add_f32_e32 v2, v2, v174
	v_fmac_f32_e32 v180, v146, v101
	v_dual_add_f32 v4, v4, v75 :: v_dual_mul_f32 v75, v158, v114
	v_fma_f32 v77, v155, v111, -v77
	s_delay_alu instid0(VALU_DEP_4) | instskip(SKIP_1) | instid1(VALU_DEP_4)
	v_add_f32_e32 v2, v2, v175
	v_fmac_f32_e32 v182, v150, v105
	v_add_f32_e32 v4, v4, v76
	v_mul_f32_e32 v76, v160, v116
	v_fma_f32 v75, v157, v113, -v75
	v_fmac_f32_e32 v184, v154, v109
	v_fmac_f32_e32 v186, v158, v113
	v_dual_add_f32 v4, v4, v77 :: v_dual_mul_f32 v77, v162, v118
	v_fma_f32 v76, v159, v115, -v76
	v_fmac_f32_e32 v188, v162, v117
	s_delay_alu instid0(VALU_DEP_3) | instskip(SKIP_3) | instid1(VALU_DEP_4)
	v_add_f32_e32 v4, v4, v75
	v_mul_f32_e32 v75, v168, v164
	v_fma_f32 v77, v161, v117, -v77
	v_add_f32_e32 v2, v2, v176
	v_add_f32_e32 v4, v4, v76
	s_delay_alu instid0(VALU_DEP_4) | instskip(NEXT) | instid1(VALU_DEP_3)
	v_fma_f32 v75, v167, v163, -v75
	v_add_f32_e32 v2, v2, v177
	s_delay_alu instid0(VALU_DEP_3) | instskip(NEXT) | instid1(VALU_DEP_1)
	v_add_f32_e32 v4, v4, v77
	v_add_f32_e32 v4, v4, v75
	s_wait_loadcnt 0x0
	s_delay_alu instid0(VALU_DEP_1) | instskip(NEXT) | instid1(VALU_DEP_1)
	v_dual_fmac_f32 v178, v142, v97 :: v_dual_sub_f32 v75, v165, v4
	v_add_f32_e32 v2, v2, v178
	s_delay_alu instid0(VALU_DEP_1) | instskip(NEXT) | instid1(VALU_DEP_1)
	v_add_f32_e32 v2, v2, v179
	v_add_f32_e32 v2, v2, v180
	s_delay_alu instid0(VALU_DEP_1) | instskip(NEXT) | instid1(VALU_DEP_1)
	v_add_f32_e32 v2, v2, v181
	;; [unrolled: 3-line block ×6, first 2 shown]
	v_sub_f32_e32 v76, v166, v2
	scratch_store_b64 off, v[75:76], off offset:88
	v_cmpx_lt_u32_e32 10, v0
	s_cbranch_execz .LBB34_203
; %bb.202:
	scratch_load_b64 v[75:76], off, off offset:80
	v_mov_b32_e32 v2, v1
	scratch_store_b64 off, v[1:2], off offset:80
	s_wait_loadcnt 0x0
	ds_store_b64 v3, v[75:76]
.LBB34_203:
	s_wait_alu 0xfffe
	s_or_b32 exec_lo, exec_lo, s0
	s_wait_storecnt_dscnt 0x0
	s_barrier_signal -1
	s_barrier_wait -1
	global_inv scope:SCOPE_SE
	s_clause 0xc
	scratch_load_b128 v[75:78], off, off offset:88
	scratch_load_b128 v[79:82], off, off offset:104
	scratch_load_b128 v[83:86], off, off offset:120
	scratch_load_b128 v[87:90], off, off offset:136
	scratch_load_b128 v[91:94], off, off offset:152
	scratch_load_b128 v[95:98], off, off offset:168
	scratch_load_b128 v[99:102], off, off offset:184
	scratch_load_b128 v[103:106], off, off offset:200
	scratch_load_b128 v[107:110], off, off offset:216
	scratch_load_b128 v[111:114], off, off offset:232
	scratch_load_b128 v[115:118], off, off offset:248
	scratch_load_b128 v[119:122], off, off offset:264
	scratch_load_b64 v[171:172], off, off offset:80
	ds_load_2addr_b64 v[123:126], v1 offset0:47 offset1:48
	ds_load_2addr_b64 v[127:130], v1 offset0:49 offset1:50
	;; [unrolled: 1-line block ×12, first 2 shown]
	s_mov_b32 s0, exec_lo
	s_wait_loadcnt_dscnt 0xc0b
	v_dual_mul_f32 v1, v123, v76 :: v_dual_mul_f32 v2, v125, v78
	v_mul_f32_e32 v76, v124, v76
	v_mul_f32_e32 v78, v126, v78
	s_wait_loadcnt_dscnt 0xa09
	v_dual_mul_f32 v174, v131, v84 :: v_dual_mul_f32 v175, v133, v86
	v_dual_mul_f32 v4, v127, v80 :: v_dual_mul_f32 v173, v129, v82
	v_fmac_f32_e32 v1, v124, v75
	s_delay_alu instid0(VALU_DEP_3)
	v_fmac_f32_e32 v174, v132, v83
	s_wait_loadcnt_dscnt 0x908
	v_dual_mul_f32 v176, v135, v88 :: v_dual_mul_f32 v177, v137, v90
	s_wait_loadcnt_dscnt 0x100
	v_dual_mul_f32 v192, v167, v120 :: v_dual_mul_f32 v193, v169, v122
	v_fma_f32 v76, v123, v75, -v76
	v_mul_f32_e32 v75, v128, v80
	v_dual_add_f32 v1, 0, v1 :: v_dual_mul_f32 v178, v139, v92
	s_delay_alu instid0(VALU_DEP_3) | instskip(NEXT) | instid1(VALU_DEP_3)
	v_dual_mul_f32 v179, v141, v94 :: v_dual_add_f32 v76, 0, v76
	v_fma_f32 v75, v127, v79, -v75
	v_fmac_f32_e32 v2, v126, v77
	v_fma_f32 v77, v125, v77, -v78
	v_fmac_f32_e32 v173, v130, v81
	v_fmac_f32_e32 v175, v134, v85
	v_dual_fmac_f32 v177, v138, v89 :: v_dual_fmac_f32 v178, v140, v91
	s_delay_alu instid0(VALU_DEP_4) | instskip(SKIP_2) | instid1(VALU_DEP_3)
	v_add_f32_e32 v76, v76, v77
	v_dual_mul_f32 v180, v143, v96 :: v_dual_mul_f32 v181, v145, v98
	v_dual_mul_f32 v182, v147, v100 :: v_dual_mul_f32 v183, v149, v102
	v_add_f32_e32 v75, v76, v75
	v_dual_fmac_f32 v4, v128, v79 :: v_dual_add_f32 v1, v1, v2
	v_mul_f32_e32 v78, v130, v82
	v_mul_f32_e32 v2, v132, v84
	;; [unrolled: 1-line block ×3, first 2 shown]
	s_delay_alu instid0(VALU_DEP_4) | instskip(NEXT) | instid1(VALU_DEP_4)
	v_dual_fmac_f32 v176, v136, v87 :: v_dual_add_f32 v1, v1, v4
	v_fma_f32 v77, v129, v81, -v78
	v_mul_f32_e32 v4, v134, v86
	v_fma_f32 v2, v131, v83, -v2
	v_fma_f32 v76, v135, v87, -v76
	v_add_f32_e32 v1, v1, v173
	v_add_f32_e32 v75, v75, v77
	v_fma_f32 v4, v133, v85, -v4
	v_dual_fmac_f32 v179, v142, v93 :: v_dual_fmac_f32 v180, v144, v95
	v_fmac_f32_e32 v181, v146, v97
	v_add_f32_e32 v1, v1, v174
	v_add_f32_e32 v2, v75, v2
	v_dual_mul_f32 v75, v138, v90 :: v_dual_fmac_f32 v182, v148, v99
	v_fmac_f32_e32 v183, v150, v101
	s_delay_alu instid0(VALU_DEP_4) | instskip(SKIP_1) | instid1(VALU_DEP_4)
	v_dual_add_f32 v1, v1, v175 :: v_dual_mul_f32 v184, v151, v104
	v_mul_f32_e32 v185, v153, v106
	v_fma_f32 v75, v137, v89, -v75
	v_dual_mul_f32 v186, v155, v108 :: v_dual_mul_f32 v187, v157, v110
	s_delay_alu instid0(VALU_DEP_4) | instskip(SKIP_2) | instid1(VALU_DEP_4)
	v_add_f32_e32 v1, v1, v176
	v_add_f32_e32 v2, v2, v4
	v_mul_f32_e32 v4, v140, v92
	v_dual_fmac_f32 v184, v152, v103 :: v_dual_fmac_f32 v187, v158, v109
	s_delay_alu instid0(VALU_DEP_3) | instskip(NEXT) | instid1(VALU_DEP_3)
	v_dual_add_f32 v1, v1, v177 :: v_dual_add_f32 v2, v2, v76
	v_fma_f32 v4, v139, v91, -v4
	v_mul_f32_e32 v76, v142, v94
	s_delay_alu instid0(VALU_DEP_3) | instskip(NEXT) | instid1(VALU_DEP_4)
	v_dual_fmac_f32 v186, v156, v107 :: v_dual_add_f32 v1, v1, v178
	v_dual_add_f32 v2, v2, v75 :: v_dual_mul_f32 v75, v144, v96
	s_delay_alu instid0(VALU_DEP_3) | instskip(SKIP_1) | instid1(VALU_DEP_3)
	v_fma_f32 v76, v141, v93, -v76
	v_dual_mul_f32 v188, v159, v112 :: v_dual_mul_f32 v189, v161, v114
	v_dual_add_f32 v2, v2, v4 :: v_dual_add_f32 v1, v1, v179
	v_mul_f32_e32 v4, v146, v98
	v_fma_f32 v75, v143, v95, -v75
	s_delay_alu instid0(VALU_DEP_4)
	v_dual_fmac_f32 v185, v154, v105 :: v_dual_fmac_f32 v188, v160, v111
	v_fmac_f32_e32 v189, v162, v113
	v_add_f32_e32 v1, v1, v180
	v_add_f32_e32 v2, v2, v76
	v_fma_f32 v4, v145, v97, -v4
	v_mul_f32_e32 v76, v148, v100
	v_dual_mul_f32 v190, v163, v116 :: v_dual_mul_f32 v191, v165, v118
	s_delay_alu instid0(VALU_DEP_4) | instskip(SKIP_1) | instid1(VALU_DEP_4)
	v_dual_add_f32 v1, v1, v181 :: v_dual_add_f32 v2, v2, v75
	v_mul_f32_e32 v75, v150, v102
	v_fma_f32 v76, v147, v99, -v76
	s_delay_alu instid0(VALU_DEP_4) | instskip(NEXT) | instid1(VALU_DEP_4)
	v_dual_fmac_f32 v190, v164, v115 :: v_dual_fmac_f32 v193, v170, v121
	v_dual_add_f32 v1, v1, v182 :: v_dual_add_f32 v2, v2, v4
	v_mul_f32_e32 v4, v152, v104
	v_fma_f32 v75, v149, v101, -v75
	v_fmac_f32_e32 v192, v168, v119
	s_delay_alu instid0(VALU_DEP_4) | instskip(SKIP_2) | instid1(VALU_DEP_3)
	v_add_f32_e32 v1, v1, v183
	v_fmac_f32_e32 v191, v166, v117
	v_fma_f32 v4, v151, v103, -v4
	v_add_f32_e32 v1, v1, v184
	v_add_f32_e32 v2, v2, v76
	s_delay_alu instid0(VALU_DEP_2) | instskip(NEXT) | instid1(VALU_DEP_2)
	v_dual_mul_f32 v76, v154, v106 :: v_dual_add_f32 v1, v1, v185
	v_dual_add_f32 v2, v2, v75 :: v_dual_mul_f32 v75, v156, v108
	s_delay_alu instid0(VALU_DEP_2) | instskip(NEXT) | instid1(VALU_DEP_2)
	v_fma_f32 v76, v153, v105, -v76
	v_dual_add_f32 v1, v1, v186 :: v_dual_add_f32 v2, v2, v4
	v_mul_f32_e32 v4, v158, v110
	s_delay_alu instid0(VALU_DEP_4) | instskip(NEXT) | instid1(VALU_DEP_3)
	v_fma_f32 v75, v155, v107, -v75
	v_add_f32_e32 v1, v1, v187
	s_delay_alu instid0(VALU_DEP_3) | instskip(NEXT) | instid1(VALU_DEP_2)
	v_fma_f32 v4, v157, v109, -v4
	v_add_f32_e32 v1, v1, v188
	v_add_f32_e32 v2, v2, v76
	s_delay_alu instid0(VALU_DEP_2) | instskip(NEXT) | instid1(VALU_DEP_2)
	v_dual_mul_f32 v76, v160, v112 :: v_dual_add_f32 v1, v1, v189
	v_add_f32_e32 v2, v2, v75
	v_mul_f32_e32 v75, v162, v114
	s_delay_alu instid0(VALU_DEP_3) | instskip(NEXT) | instid1(VALU_DEP_3)
	v_fma_f32 v76, v159, v111, -v76
	v_dual_add_f32 v1, v1, v190 :: v_dual_add_f32 v2, v2, v4
	v_mul_f32_e32 v4, v164, v116
	s_delay_alu instid0(VALU_DEP_4) | instskip(NEXT) | instid1(VALU_DEP_3)
	v_fma_f32 v75, v161, v113, -v75
	v_dual_add_f32 v1, v1, v191 :: v_dual_add_f32 v2, v2, v76
	v_mul_f32_e32 v76, v166, v118
	s_delay_alu instid0(VALU_DEP_4) | instskip(NEXT) | instid1(VALU_DEP_3)
	v_fma_f32 v4, v163, v115, -v4
	v_dual_add_f32 v1, v1, v192 :: v_dual_add_f32 v2, v2, v75
	v_mul_f32_e32 v75, v168, v120
	s_delay_alu instid0(VALU_DEP_4) | instskip(NEXT) | instid1(VALU_DEP_3)
	v_fma_f32 v76, v165, v117, -v76
	v_add_f32_e32 v2, v2, v4
	v_mul_f32_e32 v4, v170, v122
	s_delay_alu instid0(VALU_DEP_4) | instskip(NEXT) | instid1(VALU_DEP_3)
	v_fma_f32 v75, v167, v119, -v75
	v_add_f32_e32 v2, v2, v76
	s_delay_alu instid0(VALU_DEP_3) | instskip(NEXT) | instid1(VALU_DEP_2)
	v_fma_f32 v4, v169, v121, -v4
	v_add_f32_e32 v2, v2, v75
	s_delay_alu instid0(VALU_DEP_1) | instskip(SKIP_1) | instid1(VALU_DEP_1)
	v_add_f32_e32 v2, v2, v4
	s_wait_loadcnt 0x0
	v_dual_add_f32 v4, v1, v193 :: v_dual_sub_f32 v1, v171, v2
	s_delay_alu instid0(VALU_DEP_1)
	v_sub_f32_e32 v2, v172, v4
	scratch_store_b64 off, v[1:2], off offset:80
	v_cmpx_lt_u32_e32 9, v0
	s_cbranch_execz .LBB34_205
; %bb.204:
	scratch_load_b64 v[1:2], off, off offset:72
	v_mov_b32_e32 v75, 0
	s_delay_alu instid0(VALU_DEP_1)
	v_mov_b32_e32 v76, v75
	scratch_store_b64 off, v[75:76], off offset:72
	s_wait_loadcnt 0x0
	ds_store_b64 v3, v[1:2]
.LBB34_205:
	s_wait_alu 0xfffe
	s_or_b32 exec_lo, exec_lo, s0
	s_wait_storecnt_dscnt 0x0
	s_barrier_signal -1
	s_barrier_wait -1
	global_inv scope:SCOPE_SE
	s_clause 0xd
	scratch_load_b128 v[75:78], off, off offset:80
	scratch_load_b128 v[79:82], off, off offset:96
	;; [unrolled: 1-line block ×12, first 2 shown]
	scratch_load_b64 v[171:172], off, off offset:272
	scratch_load_b64 v[173:174], off, off offset:72
	v_mov_b32_e32 v1, 0
	ds_load_b128 v[123:126], v1 offset:368
	ds_load_b128 v[127:130], v1 offset:384
	;; [unrolled: 1-line block ×12, first 2 shown]
	ds_load_b64 v[175:176], v1 offset:560
	s_mov_b32 s0, exec_lo
	s_wait_loadcnt_dscnt 0xd0c
	v_mul_f32_e32 v2, v123, v76
	v_mul_f32_e32 v76, v124, v76
	s_wait_loadcnt_dscnt 0xc0b
	v_dual_mul_f32 v4, v125, v78 :: v_dual_mul_f32 v177, v127, v80
	v_mul_f32_e32 v78, v126, v78
	s_wait_loadcnt_dscnt 0xb0a
	v_dual_mul_f32 v178, v129, v82 :: v_dual_mul_f32 v179, v131, v84
	v_fma_f32 v76, v123, v75, -v76
	v_fmac_f32_e32 v2, v124, v75
	v_dual_mul_f32 v75, v128, v80 :: v_dual_fmac_f32 v4, v126, v77
	v_fmac_f32_e32 v177, v128, v79
	v_fma_f32 v77, v125, v77, -v78
	v_dual_add_f32 v76, 0, v76 :: v_dual_fmac_f32 v179, v132, v83
	v_mul_f32_e32 v78, v130, v82
	v_fma_f32 v75, v127, v79, -v75
	s_wait_loadcnt_dscnt 0xa09
	v_dual_mul_f32 v180, v133, v86 :: v_dual_mul_f32 v181, v135, v88
	v_add_f32_e32 v76, v76, v77
	v_add_f32_e32 v2, 0, v2
	v_fma_f32 v77, v129, v81, -v78
	s_wait_loadcnt_dscnt 0x807
	v_dual_mul_f32 v184, v141, v94 :: v_dual_mul_f32 v185, v143, v96
	s_delay_alu instid0(VALU_DEP_3) | instskip(SKIP_2) | instid1(VALU_DEP_4)
	v_dual_add_f32 v75, v76, v75 :: v_dual_add_f32 v2, v2, v4
	v_fmac_f32_e32 v181, v136, v87
	v_mul_f32_e32 v4, v132, v84
	v_dual_mul_f32 v76, v134, v86 :: v_dual_fmac_f32 v185, v144, v95
	s_delay_alu instid0(VALU_DEP_4) | instskip(SKIP_1) | instid1(VALU_DEP_4)
	v_add_f32_e32 v75, v75, v77
	v_mul_f32_e32 v77, v136, v88
	v_fma_f32 v4, v131, v83, -v4
	s_delay_alu instid0(VALU_DEP_4) | instskip(SKIP_2) | instid1(VALU_DEP_4)
	v_fma_f32 v76, v133, v85, -v76
	v_add_f32_e32 v2, v2, v177
	v_dual_mul_f32 v182, v137, v90 :: v_dual_mul_f32 v183, v139, v92
	v_dual_add_f32 v4, v75, v4 :: v_dual_mul_f32 v75, v138, v90
	v_fma_f32 v77, v135, v87, -v77
	s_wait_loadcnt_dscnt 0x201
	v_dual_mul_f32 v196, v165, v118 :: v_dual_mul_f32 v197, v167, v120
	s_delay_alu instid0(VALU_DEP_3) | instskip(SKIP_3) | instid1(VALU_DEP_4)
	v_add_f32_e32 v4, v4, v76
	v_mul_f32_e32 v76, v140, v92
	v_fma_f32 v75, v137, v89, -v75
	v_dual_fmac_f32 v178, v130, v81 :: v_dual_fmac_f32 v183, v140, v91
	v_dual_add_f32 v4, v4, v77 :: v_dual_mul_f32 v77, v142, v94
	s_delay_alu instid0(VALU_DEP_4) | instskip(SKIP_1) | instid1(VALU_DEP_3)
	v_fma_f32 v76, v139, v91, -v76
	v_dual_fmac_f32 v197, v168, v119 :: v_dual_mul_f32 v186, v145, v98
	v_dual_mul_f32 v187, v147, v100 :: v_dual_add_f32 v4, v4, v75
	v_mul_f32_e32 v75, v144, v96
	v_fma_f32 v77, v141, v93, -v77
	v_add_f32_e32 v2, v2, v178
	s_delay_alu instid0(VALU_DEP_4) | instskip(SKIP_4) | instid1(VALU_DEP_4)
	v_dual_fmac_f32 v180, v134, v85 :: v_dual_fmac_f32 v187, v148, v99
	v_add_f32_e32 v4, v4, v76
	v_mul_f32_e32 v76, v146, v98
	v_fma_f32 v75, v143, v95, -v75
	v_dual_mul_f32 v188, v149, v102 :: v_dual_mul_f32 v189, v151, v104
	v_add_f32_e32 v4, v4, v77
	v_mul_f32_e32 v77, v148, v100
	v_fma_f32 v76, v145, v97, -v76
	v_add_f32_e32 v2, v2, v179
	v_dual_mul_f32 v190, v153, v106 :: v_dual_mul_f32 v191, v155, v108
	v_dual_add_f32 v4, v4, v75 :: v_dual_mul_f32 v75, v150, v102
	v_fma_f32 v77, v147, v99, -v77
	v_dual_fmac_f32 v189, v152, v103 :: v_dual_fmac_f32 v182, v138, v89
	s_delay_alu instid0(VALU_DEP_4) | instskip(NEXT) | instid1(VALU_DEP_4)
	v_fmac_f32_e32 v191, v156, v107
	v_add_f32_e32 v4, v4, v76
	v_mul_f32_e32 v76, v152, v104
	v_fma_f32 v75, v149, v101, -v75
	v_dual_mul_f32 v192, v157, v110 :: v_dual_mul_f32 v193, v159, v112
	s_delay_alu instid0(VALU_DEP_4) | instskip(NEXT) | instid1(VALU_DEP_4)
	v_dual_add_f32 v4, v4, v77 :: v_dual_mul_f32 v77, v154, v106
	v_fma_f32 v76, v151, v103, -v76
	v_dual_mul_f32 v194, v161, v114 :: v_dual_mul_f32 v195, v163, v116
	s_delay_alu instid0(VALU_DEP_3) | instskip(SKIP_3) | instid1(VALU_DEP_4)
	v_add_f32_e32 v4, v4, v75
	v_mul_f32_e32 v75, v156, v108
	v_fma_f32 v77, v153, v105, -v77
	v_dual_add_f32 v2, v2, v180 :: v_dual_fmac_f32 v193, v160, v111
	v_add_f32_e32 v4, v4, v76
	v_mul_f32_e32 v76, v158, v110
	v_fma_f32 v75, v155, v107, -v75
	s_delay_alu instid0(VALU_DEP_4)
	v_add_f32_e32 v2, v2, v181
	v_dual_fmac_f32 v184, v142, v93 :: v_dual_fmac_f32 v195, v164, v115
	v_add_f32_e32 v4, v4, v77
	v_mul_f32_e32 v77, v160, v112
	v_fma_f32 v76, v157, v109, -v76
	v_add_f32_e32 v2, v2, v182
	v_fmac_f32_e32 v186, v146, v97
	v_dual_add_f32 v4, v4, v75 :: v_dual_mul_f32 v75, v162, v114
	v_fma_f32 v77, v159, v111, -v77
	s_delay_alu instid0(VALU_DEP_4)
	v_add_f32_e32 v2, v2, v183
	s_wait_loadcnt_dscnt 0x100
	v_dual_mul_f32 v198, v169, v122 :: v_dual_mul_f32 v199, v175, v172
	v_add_f32_e32 v4, v4, v76
	v_mul_f32_e32 v76, v164, v116
	v_fma_f32 v75, v161, v113, -v75
	s_delay_alu instid0(VALU_DEP_4) | instskip(NEXT) | instid1(VALU_DEP_4)
	v_dual_fmac_f32 v188, v150, v101 :: v_dual_fmac_f32 v199, v176, v171
	v_dual_add_f32 v4, v4, v77 :: v_dual_mul_f32 v77, v166, v118
	s_delay_alu instid0(VALU_DEP_4) | instskip(SKIP_2) | instid1(VALU_DEP_4)
	v_fma_f32 v76, v163, v115, -v76
	v_fmac_f32_e32 v190, v154, v105
	v_fmac_f32_e32 v192, v158, v109
	v_add_f32_e32 v4, v4, v75
	v_mul_f32_e32 v75, v168, v120
	v_fma_f32 v77, v165, v117, -v77
	v_add_f32_e32 v2, v2, v184
	v_fmac_f32_e32 v194, v162, v113
	v_add_f32_e32 v4, v4, v76
	v_mul_f32_e32 v76, v170, v122
	v_fma_f32 v75, v167, v119, -v75
	v_fmac_f32_e32 v196, v166, v117
	v_fmac_f32_e32 v198, v170, v121
	v_add_f32_e32 v4, v4, v77
	v_mul_f32_e32 v77, v176, v172
	v_fma_f32 v76, v169, v121, -v76
	s_delay_alu instid0(VALU_DEP_3) | instskip(NEXT) | instid1(VALU_DEP_3)
	v_add_f32_e32 v4, v4, v75
	v_fma_f32 v75, v175, v171, -v77
	s_delay_alu instid0(VALU_DEP_2) | instskip(NEXT) | instid1(VALU_DEP_1)
	v_add_f32_e32 v4, v4, v76
	v_add_f32_e32 v4, v4, v75
	s_wait_loadcnt 0x0
	s_delay_alu instid0(VALU_DEP_1) | instskip(NEXT) | instid1(VALU_DEP_1)
	v_dual_add_f32 v2, v2, v185 :: v_dual_sub_f32 v75, v173, v4
	v_add_f32_e32 v2, v2, v186
	s_delay_alu instid0(VALU_DEP_1) | instskip(NEXT) | instid1(VALU_DEP_1)
	v_add_f32_e32 v2, v2, v187
	v_add_f32_e32 v2, v2, v188
	s_delay_alu instid0(VALU_DEP_1) | instskip(NEXT) | instid1(VALU_DEP_1)
	v_add_f32_e32 v2, v2, v189
	;; [unrolled: 3-line block ×7, first 2 shown]
	v_sub_f32_e32 v76, v174, v2
	scratch_store_b64 off, v[75:76], off offset:72
	v_cmpx_lt_u32_e32 8, v0
	s_cbranch_execz .LBB34_207
; %bb.206:
	scratch_load_b64 v[75:76], off, off offset:64
	v_mov_b32_e32 v2, v1
	scratch_store_b64 off, v[1:2], off offset:64
	s_wait_loadcnt 0x0
	ds_store_b64 v3, v[75:76]
.LBB34_207:
	s_wait_alu 0xfffe
	s_or_b32 exec_lo, exec_lo, s0
	s_wait_storecnt_dscnt 0x0
	s_barrier_signal -1
	s_barrier_wait -1
	global_inv scope:SCOPE_SE
	s_clause 0xd
	scratch_load_b128 v[75:78], off, off offset:72
	scratch_load_b128 v[79:82], off, off offset:88
	;; [unrolled: 1-line block ×13, first 2 shown]
	scratch_load_b64 v[179:180], off, off offset:64
	ds_load_2addr_b64 v[127:130], v1 offset0:45 offset1:46
	ds_load_2addr_b64 v[131:134], v1 offset0:47 offset1:48
	;; [unrolled: 1-line block ×13, first 2 shown]
	s_mov_b32 s0, exec_lo
	s_wait_loadcnt_dscnt 0xd0c
	v_dual_mul_f32 v1, v127, v76 :: v_dual_mul_f32 v2, v129, v78
	v_mul_f32_e32 v76, v128, v76
	v_mul_f32_e32 v78, v130, v78
	s_wait_loadcnt_dscnt 0xb0a
	v_dual_mul_f32 v182, v135, v84 :: v_dual_mul_f32 v183, v137, v86
	v_dual_mul_f32 v4, v131, v80 :: v_dual_mul_f32 v181, v133, v82
	v_fmac_f32_e32 v1, v128, v75
	s_delay_alu instid0(VALU_DEP_3)
	v_fmac_f32_e32 v182, v136, v83
	s_wait_loadcnt_dscnt 0xa09
	v_dual_mul_f32 v184, v139, v88 :: v_dual_mul_f32 v185, v141, v90
	s_wait_loadcnt_dscnt 0x100
	v_dual_mul_f32 v202, v175, v124 :: v_dual_mul_f32 v203, v177, v126
	v_fma_f32 v76, v127, v75, -v76
	v_mul_f32_e32 v75, v132, v80
	v_dual_add_f32 v1, 0, v1 :: v_dual_mul_f32 v186, v143, v92
	s_delay_alu instid0(VALU_DEP_3) | instskip(NEXT) | instid1(VALU_DEP_3)
	v_dual_mul_f32 v187, v145, v94 :: v_dual_add_f32 v76, 0, v76
	v_fma_f32 v75, v131, v79, -v75
	v_fmac_f32_e32 v2, v130, v77
	v_fma_f32 v77, v129, v77, -v78
	v_fmac_f32_e32 v181, v134, v81
	v_fmac_f32_e32 v183, v138, v85
	v_dual_fmac_f32 v185, v142, v89 :: v_dual_fmac_f32 v186, v144, v91
	s_delay_alu instid0(VALU_DEP_4) | instskip(SKIP_2) | instid1(VALU_DEP_3)
	v_add_f32_e32 v76, v76, v77
	v_dual_mul_f32 v188, v147, v96 :: v_dual_mul_f32 v189, v149, v98
	v_dual_mul_f32 v190, v151, v100 :: v_dual_mul_f32 v191, v153, v102
	v_add_f32_e32 v75, v76, v75
	v_dual_fmac_f32 v4, v132, v79 :: v_dual_add_f32 v1, v1, v2
	v_mul_f32_e32 v78, v134, v82
	v_mul_f32_e32 v2, v136, v84
	;; [unrolled: 1-line block ×3, first 2 shown]
	s_delay_alu instid0(VALU_DEP_4) | instskip(NEXT) | instid1(VALU_DEP_4)
	v_dual_fmac_f32 v184, v140, v87 :: v_dual_add_f32 v1, v1, v4
	v_fma_f32 v77, v133, v81, -v78
	v_mul_f32_e32 v4, v138, v86
	v_fma_f32 v2, v135, v83, -v2
	v_fma_f32 v76, v139, v87, -v76
	v_add_f32_e32 v1, v1, v181
	v_add_f32_e32 v75, v75, v77
	v_fma_f32 v4, v137, v85, -v4
	v_dual_fmac_f32 v188, v148, v95 :: v_dual_fmac_f32 v189, v150, v97
	s_delay_alu instid0(VALU_DEP_4) | instskip(NEXT) | instid1(VALU_DEP_4)
	v_add_f32_e32 v1, v1, v182
	v_add_f32_e32 v2, v75, v2
	v_mul_f32_e32 v75, v142, v90
	v_dual_fmac_f32 v187, v146, v93 :: v_dual_fmac_f32 v190, v152, v99
	v_fmac_f32_e32 v191, v154, v101
	v_add_f32_e32 v1, v1, v183
	s_delay_alu instid0(VALU_DEP_4) | instskip(SKIP_2) | instid1(VALU_DEP_4)
	v_fma_f32 v75, v141, v89, -v75
	v_dual_mul_f32 v192, v155, v104 :: v_dual_mul_f32 v193, v157, v106
	v_dual_mul_f32 v194, v159, v108 :: v_dual_mul_f32 v195, v161, v110
	v_add_f32_e32 v1, v1, v184
	v_add_f32_e32 v2, v2, v4
	v_mul_f32_e32 v4, v144, v92
	s_delay_alu instid0(VALU_DEP_4) | instskip(NEXT) | instid1(VALU_DEP_3)
	v_dual_fmac_f32 v192, v156, v103 :: v_dual_fmac_f32 v195, v162, v109
	v_dual_add_f32 v1, v1, v185 :: v_dual_add_f32 v2, v2, v76
	s_delay_alu instid0(VALU_DEP_3) | instskip(SKIP_1) | instid1(VALU_DEP_3)
	v_fma_f32 v4, v143, v91, -v4
	v_mul_f32_e32 v76, v146, v94
	v_dual_fmac_f32 v194, v160, v107 :: v_dual_add_f32 v1, v1, v186
	s_delay_alu instid0(VALU_DEP_4) | instskip(NEXT) | instid1(VALU_DEP_3)
	v_dual_add_f32 v2, v2, v75 :: v_dual_mul_f32 v75, v148, v96
	v_fma_f32 v76, v145, v93, -v76
	v_dual_mul_f32 v196, v163, v112 :: v_dual_mul_f32 v197, v165, v114
	s_delay_alu instid0(VALU_DEP_3) | instskip(SKIP_2) | instid1(VALU_DEP_4)
	v_dual_add_f32 v2, v2, v4 :: v_dual_add_f32 v1, v1, v187
	v_mul_f32_e32 v4, v150, v98
	v_fma_f32 v75, v147, v95, -v75
	v_dual_fmac_f32 v193, v158, v105 :: v_dual_fmac_f32 v196, v164, v111
	v_fmac_f32_e32 v197, v166, v113
	v_add_f32_e32 v1, v1, v188
	v_add_f32_e32 v2, v2, v76
	v_fma_f32 v4, v149, v97, -v4
	v_mul_f32_e32 v76, v152, v100
	v_dual_mul_f32 v198, v167, v116 :: v_dual_mul_f32 v199, v169, v118
	s_delay_alu instid0(VALU_DEP_4) | instskip(SKIP_1) | instid1(VALU_DEP_4)
	v_dual_add_f32 v1, v1, v189 :: v_dual_add_f32 v2, v2, v75
	v_mul_f32_e32 v75, v154, v102
	v_fma_f32 v76, v151, v99, -v76
	v_dual_mul_f32 v200, v171, v120 :: v_dual_mul_f32 v201, v173, v122
	s_delay_alu instid0(VALU_DEP_4) | instskip(SKIP_2) | instid1(VALU_DEP_4)
	v_dual_add_f32 v1, v1, v190 :: v_dual_add_f32 v2, v2, v4
	v_mul_f32_e32 v4, v156, v104
	v_fma_f32 v75, v153, v101, -v75
	v_dual_fmac_f32 v198, v168, v115 :: v_dual_fmac_f32 v201, v174, v121
	s_delay_alu instid0(VALU_DEP_4) | instskip(NEXT) | instid1(VALU_DEP_4)
	v_add_f32_e32 v1, v1, v191
	v_fma_f32 v4, v155, v103, -v4
	v_dual_fmac_f32 v200, v172, v119 :: v_dual_fmac_f32 v199, v170, v117
	s_delay_alu instid0(VALU_DEP_3) | instskip(SKIP_3) | instid1(VALU_DEP_3)
	v_dual_fmac_f32 v202, v176, v123 :: v_dual_add_f32 v1, v1, v192
	v_add_f32_e32 v2, v2, v76
	v_mul_f32_e32 v76, v158, v106
	v_fmac_f32_e32 v203, v178, v125
	v_dual_add_f32 v1, v1, v193 :: v_dual_add_f32 v2, v2, v75
	v_mul_f32_e32 v75, v160, v108
	s_delay_alu instid0(VALU_DEP_4) | instskip(NEXT) | instid1(VALU_DEP_3)
	v_fma_f32 v76, v157, v105, -v76
	v_dual_add_f32 v1, v1, v194 :: v_dual_add_f32 v2, v2, v4
	v_mul_f32_e32 v4, v162, v110
	s_delay_alu instid0(VALU_DEP_4) | instskip(NEXT) | instid1(VALU_DEP_3)
	v_fma_f32 v75, v159, v107, -v75
	v_add_f32_e32 v1, v1, v195
	s_delay_alu instid0(VALU_DEP_3) | instskip(NEXT) | instid1(VALU_DEP_2)
	v_fma_f32 v4, v161, v109, -v4
	v_add_f32_e32 v1, v1, v196
	v_add_f32_e32 v2, v2, v76
	s_delay_alu instid0(VALU_DEP_2) | instskip(NEXT) | instid1(VALU_DEP_2)
	v_dual_mul_f32 v76, v164, v112 :: v_dual_add_f32 v1, v1, v197
	v_add_f32_e32 v2, v2, v75
	v_mul_f32_e32 v75, v166, v114
	s_delay_alu instid0(VALU_DEP_3) | instskip(NEXT) | instid1(VALU_DEP_3)
	v_fma_f32 v76, v163, v111, -v76
	v_dual_add_f32 v1, v1, v198 :: v_dual_add_f32 v2, v2, v4
	v_mul_f32_e32 v4, v168, v116
	s_delay_alu instid0(VALU_DEP_4) | instskip(NEXT) | instid1(VALU_DEP_3)
	v_fma_f32 v75, v165, v113, -v75
	v_add_f32_e32 v1, v1, v199
	s_delay_alu instid0(VALU_DEP_3) | instskip(NEXT) | instid1(VALU_DEP_2)
	v_fma_f32 v4, v167, v115, -v4
	v_add_f32_e32 v1, v1, v200
	v_add_f32_e32 v2, v2, v76
	s_delay_alu instid0(VALU_DEP_2) | instskip(NEXT) | instid1(VALU_DEP_2)
	v_dual_mul_f32 v76, v170, v118 :: v_dual_add_f32 v1, v1, v201
	v_dual_add_f32 v2, v2, v75 :: v_dual_mul_f32 v75, v172, v120
	s_delay_alu instid0(VALU_DEP_2) | instskip(NEXT) | instid1(VALU_DEP_2)
	v_fma_f32 v76, v169, v117, -v76
	v_dual_add_f32 v1, v1, v202 :: v_dual_add_f32 v2, v2, v4
	v_mul_f32_e32 v4, v174, v122
	s_delay_alu instid0(VALU_DEP_4) | instskip(NEXT) | instid1(VALU_DEP_3)
	v_fma_f32 v75, v171, v119, -v75
	v_add_f32_e32 v2, v2, v76
	v_mul_f32_e32 v76, v176, v124
	s_delay_alu instid0(VALU_DEP_4) | instskip(NEXT) | instid1(VALU_DEP_3)
	v_fma_f32 v4, v173, v121, -v4
	v_add_f32_e32 v2, v2, v75
	;; [unrolled: 4-line block ×3, first 2 shown]
	s_delay_alu instid0(VALU_DEP_3) | instskip(NEXT) | instid1(VALU_DEP_2)
	v_fma_f32 v4, v177, v125, -v75
	v_add_f32_e32 v2, v2, v76
	s_delay_alu instid0(VALU_DEP_1) | instskip(SKIP_1) | instid1(VALU_DEP_1)
	v_add_f32_e32 v2, v2, v4
	s_wait_loadcnt 0x0
	v_dual_add_f32 v4, v1, v203 :: v_dual_sub_f32 v1, v179, v2
	s_delay_alu instid0(VALU_DEP_1)
	v_sub_f32_e32 v2, v180, v4
	scratch_store_b64 off, v[1:2], off offset:64
	v_cmpx_lt_u32_e32 7, v0
	s_cbranch_execz .LBB34_209
; %bb.208:
	scratch_load_b64 v[1:2], off, off offset:56
	v_mov_b32_e32 v75, 0
	s_delay_alu instid0(VALU_DEP_1)
	v_mov_b32_e32 v76, v75
	scratch_store_b64 off, v[75:76], off offset:56
	s_wait_loadcnt 0x0
	ds_store_b64 v3, v[1:2]
.LBB34_209:
	s_wait_alu 0xfffe
	s_or_b32 exec_lo, exec_lo, s0
	s_wait_storecnt_dscnt 0x0
	s_barrier_signal -1
	s_barrier_wait -1
	global_inv scope:SCOPE_SE
	s_clause 0xe
	scratch_load_b128 v[75:78], off, off offset:64
	scratch_load_b128 v[79:82], off, off offset:80
	;; [unrolled: 1-line block ×13, first 2 shown]
	scratch_load_b64 v[179:180], off, off offset:272
	scratch_load_b64 v[181:182], off, off offset:56
	v_mov_b32_e32 v1, 0
	ds_load_b128 v[127:130], v1 offset:352
	ds_load_b128 v[131:134], v1 offset:368
	;; [unrolled: 1-line block ×13, first 2 shown]
	ds_load_b64 v[183:184], v1 offset:560
	s_mov_b32 s0, exec_lo
	s_wait_loadcnt_dscnt 0xe0d
	v_mul_f32_e32 v2, v127, v76
	v_mul_f32_e32 v76, v128, v76
	s_wait_loadcnt_dscnt 0xd0c
	v_dual_mul_f32 v4, v129, v78 :: v_dual_mul_f32 v185, v131, v80
	v_mul_f32_e32 v78, v130, v78
	s_wait_loadcnt_dscnt 0xc0b
	v_dual_mul_f32 v186, v133, v82 :: v_dual_mul_f32 v187, v135, v84
	v_fma_f32 v76, v127, v75, -v76
	v_fmac_f32_e32 v2, v128, v75
	v_dual_mul_f32 v75, v132, v80 :: v_dual_fmac_f32 v4, v130, v77
	v_fmac_f32_e32 v185, v132, v79
	v_fma_f32 v77, v129, v77, -v78
	v_dual_add_f32 v76, 0, v76 :: v_dual_fmac_f32 v187, v136, v83
	v_mul_f32_e32 v78, v134, v82
	v_fma_f32 v75, v131, v79, -v75
	s_wait_loadcnt_dscnt 0xb0a
	v_dual_mul_f32 v188, v137, v86 :: v_dual_mul_f32 v189, v139, v88
	v_add_f32_e32 v76, v76, v77
	v_add_f32_e32 v2, 0, v2
	v_fma_f32 v77, v133, v81, -v78
	s_wait_loadcnt_dscnt 0x908
	v_dual_mul_f32 v192, v145, v94 :: v_dual_mul_f32 v193, v147, v96
	s_delay_alu instid0(VALU_DEP_3) | instskip(SKIP_2) | instid1(VALU_DEP_4)
	v_dual_add_f32 v75, v76, v75 :: v_dual_add_f32 v2, v2, v4
	v_fmac_f32_e32 v189, v140, v87
	v_mul_f32_e32 v4, v136, v84
	v_dual_mul_f32 v76, v138, v86 :: v_dual_fmac_f32 v193, v148, v95
	s_delay_alu instid0(VALU_DEP_4) | instskip(SKIP_1) | instid1(VALU_DEP_4)
	v_add_f32_e32 v75, v75, v77
	v_mul_f32_e32 v77, v140, v88
	v_fma_f32 v4, v135, v83, -v4
	s_delay_alu instid0(VALU_DEP_4) | instskip(SKIP_2) | instid1(VALU_DEP_4)
	v_fma_f32 v76, v137, v85, -v76
	v_add_f32_e32 v2, v2, v185
	v_dual_mul_f32 v190, v141, v90 :: v_dual_mul_f32 v191, v143, v92
	v_dual_add_f32 v4, v75, v4 :: v_dual_mul_f32 v75, v142, v90
	v_fma_f32 v77, v139, v87, -v77
	s_wait_loadcnt_dscnt 0x302
	v_dual_mul_f32 v204, v169, v118 :: v_dual_mul_f32 v205, v171, v120
	s_delay_alu instid0(VALU_DEP_3) | instskip(SKIP_3) | instid1(VALU_DEP_4)
	v_add_f32_e32 v4, v4, v76
	v_mul_f32_e32 v76, v144, v92
	v_fma_f32 v75, v141, v89, -v75
	v_dual_fmac_f32 v186, v134, v81 :: v_dual_fmac_f32 v191, v144, v91
	v_dual_add_f32 v4, v4, v77 :: v_dual_mul_f32 v77, v146, v94
	s_delay_alu instid0(VALU_DEP_4) | instskip(SKIP_1) | instid1(VALU_DEP_3)
	v_fma_f32 v76, v143, v91, -v76
	v_dual_fmac_f32 v205, v172, v119 :: v_dual_mul_f32 v194, v149, v98
	v_dual_mul_f32 v195, v151, v100 :: v_dual_add_f32 v4, v4, v75
	v_mul_f32_e32 v75, v148, v96
	v_fma_f32 v77, v145, v93, -v77
	v_add_f32_e32 v2, v2, v186
	s_delay_alu instid0(VALU_DEP_4) | instskip(SKIP_4) | instid1(VALU_DEP_4)
	v_dual_fmac_f32 v188, v138, v85 :: v_dual_fmac_f32 v195, v152, v99
	v_add_f32_e32 v4, v4, v76
	v_mul_f32_e32 v76, v150, v98
	v_fma_f32 v75, v147, v95, -v75
	v_dual_mul_f32 v196, v153, v102 :: v_dual_mul_f32 v197, v155, v104
	v_add_f32_e32 v4, v4, v77
	v_mul_f32_e32 v77, v152, v100
	v_fma_f32 v76, v149, v97, -v76
	v_add_f32_e32 v2, v2, v187
	v_dual_mul_f32 v198, v157, v106 :: v_dual_mul_f32 v199, v159, v108
	v_dual_add_f32 v4, v4, v75 :: v_dual_mul_f32 v75, v154, v102
	v_fma_f32 v77, v151, v99, -v77
	v_dual_fmac_f32 v197, v156, v103 :: v_dual_fmac_f32 v190, v142, v89
	s_delay_alu instid0(VALU_DEP_4) | instskip(NEXT) | instid1(VALU_DEP_4)
	v_fmac_f32_e32 v199, v160, v107
	v_add_f32_e32 v4, v4, v76
	v_mul_f32_e32 v76, v156, v104
	v_fma_f32 v75, v153, v101, -v75
	v_dual_mul_f32 v200, v161, v110 :: v_dual_mul_f32 v201, v163, v112
	s_delay_alu instid0(VALU_DEP_4) | instskip(NEXT) | instid1(VALU_DEP_4)
	v_dual_add_f32 v4, v4, v77 :: v_dual_mul_f32 v77, v158, v106
	v_fma_f32 v76, v155, v103, -v76
	s_delay_alu instid0(VALU_DEP_3) | instskip(NEXT) | instid1(VALU_DEP_3)
	v_dual_fmac_f32 v194, v150, v97 :: v_dual_fmac_f32 v201, v164, v111
	v_add_f32_e32 v4, v4, v75
	v_mul_f32_e32 v75, v160, v108
	v_fma_f32 v77, v157, v105, -v77
	v_add_f32_e32 v2, v2, v188
	v_dual_mul_f32 v202, v165, v114 :: v_dual_mul_f32 v203, v167, v116
	v_add_f32_e32 v4, v4, v76
	v_mul_f32_e32 v76, v162, v110
	v_fma_f32 v75, v159, v107, -v75
	v_add_f32_e32 v2, v2, v189
	v_dual_fmac_f32 v192, v146, v93 :: v_dual_fmac_f32 v203, v168, v115
	v_add_f32_e32 v4, v4, v77
	v_mul_f32_e32 v77, v164, v112
	v_fma_f32 v76, v161, v109, -v76
	v_add_f32_e32 v2, v2, v190
	s_wait_loadcnt_dscnt 0x201
	v_dual_mul_f32 v206, v173, v122 :: v_dual_mul_f32 v207, v175, v124
	v_dual_add_f32 v4, v4, v75 :: v_dual_mul_f32 v75, v166, v114
	v_fma_f32 v77, v163, v111, -v77
	v_add_f32_e32 v2, v2, v191
	s_wait_loadcnt_dscnt 0x100
	v_dual_mul_f32 v208, v177, v126 :: v_dual_mul_f32 v209, v183, v180
	v_add_f32_e32 v4, v4, v76
	v_mul_f32_e32 v76, v168, v116
	v_fma_f32 v75, v165, v113, -v75
	v_fmac_f32_e32 v207, v176, v123
	v_fmac_f32_e32 v209, v184, v179
	v_dual_add_f32 v4, v4, v77 :: v_dual_mul_f32 v77, v170, v118
	v_fma_f32 v76, v167, v115, -v76
	v_fmac_f32_e32 v196, v154, v101
	v_fmac_f32_e32 v198, v158, v105
	s_delay_alu instid0(VALU_DEP_4)
	v_add_f32_e32 v4, v4, v75
	v_mul_f32_e32 v75, v172, v120
	v_fma_f32 v77, v169, v117, -v77
	v_add_f32_e32 v2, v2, v192
	v_fmac_f32_e32 v200, v162, v109
	v_add_f32_e32 v4, v4, v76
	v_mul_f32_e32 v76, v174, v122
	v_fma_f32 v75, v171, v119, -v75
	v_add_f32_e32 v2, v2, v193
	v_fmac_f32_e32 v202, v166, v113
	v_add_f32_e32 v4, v4, v77
	v_mul_f32_e32 v77, v176, v124
	v_fma_f32 v76, v173, v121, -v76
	v_fmac_f32_e32 v204, v170, v117
	v_fmac_f32_e32 v206, v174, v121
	v_dual_add_f32 v4, v4, v75 :: v_dual_mul_f32 v75, v178, v126
	v_fma_f32 v77, v175, v123, -v77
	v_fmac_f32_e32 v208, v178, v125
	s_delay_alu instid0(VALU_DEP_3) | instskip(SKIP_2) | instid1(VALU_DEP_3)
	v_add_f32_e32 v4, v4, v76
	v_mul_f32_e32 v76, v184, v180
	v_fma_f32 v75, v177, v125, -v75
	v_add_f32_e32 v4, v4, v77
	s_delay_alu instid0(VALU_DEP_3) | instskip(NEXT) | instid1(VALU_DEP_2)
	v_fma_f32 v76, v183, v179, -v76
	v_add_f32_e32 v4, v4, v75
	s_delay_alu instid0(VALU_DEP_1) | instskip(SKIP_1) | instid1(VALU_DEP_1)
	v_add_f32_e32 v4, v4, v76
	s_wait_loadcnt 0x0
	v_dual_add_f32 v2, v2, v194 :: v_dual_sub_f32 v75, v181, v4
	s_delay_alu instid0(VALU_DEP_1) | instskip(NEXT) | instid1(VALU_DEP_1)
	v_add_f32_e32 v2, v2, v195
	v_add_f32_e32 v2, v2, v196
	s_delay_alu instid0(VALU_DEP_1) | instskip(NEXT) | instid1(VALU_DEP_1)
	v_add_f32_e32 v2, v2, v197
	v_add_f32_e32 v2, v2, v198
	;; [unrolled: 3-line block ×7, first 2 shown]
	s_delay_alu instid0(VALU_DEP_1) | instskip(NEXT) | instid1(VALU_DEP_1)
	v_add_f32_e32 v2, v2, v209
	v_sub_f32_e32 v76, v182, v2
	scratch_store_b64 off, v[75:76], off offset:56
	v_cmpx_lt_u32_e32 6, v0
	s_cbranch_execz .LBB34_211
; %bb.210:
	scratch_load_b64 v[75:76], off, off offset:48
	v_mov_b32_e32 v2, v1
	scratch_store_b64 off, v[1:2], off offset:48
	s_wait_loadcnt 0x0
	ds_store_b64 v3, v[75:76]
.LBB34_211:
	s_wait_alu 0xfffe
	s_or_b32 exec_lo, exec_lo, s0
	s_wait_storecnt_dscnt 0x0
	s_barrier_signal -1
	s_barrier_wait -1
	global_inv scope:SCOPE_SE
	s_clause 0xe
	scratch_load_b128 v[75:78], off, off offset:56
	scratch_load_b128 v[79:82], off, off offset:72
	;; [unrolled: 1-line block ×14, first 2 shown]
	scratch_load_b64 v[187:188], off, off offset:48
	ds_load_2addr_b64 v[131:134], v1 offset0:43 offset1:44
	ds_load_2addr_b64 v[135:138], v1 offset0:45 offset1:46
	;; [unrolled: 1-line block ×14, first 2 shown]
	s_mov_b32 s0, exec_lo
	s_wait_loadcnt_dscnt 0xe0d
	v_dual_mul_f32 v1, v131, v76 :: v_dual_mul_f32 v2, v133, v78
	v_mul_f32_e32 v76, v132, v76
	v_mul_f32_e32 v78, v134, v78
	s_wait_loadcnt_dscnt 0xc0b
	v_dual_mul_f32 v190, v139, v84 :: v_dual_mul_f32 v191, v141, v86
	v_dual_mul_f32 v4, v135, v80 :: v_dual_mul_f32 v189, v137, v82
	s_wait_loadcnt_dscnt 0xb0a
	v_dual_mul_f32 v192, v143, v88 :: v_dual_mul_f32 v193, v145, v90
	v_fmac_f32_e32 v1, v132, v75
	v_fmac_f32_e32 v190, v140, v83
	s_wait_loadcnt_dscnt 0xa09
	v_dual_mul_f32 v194, v147, v92 :: v_dual_mul_f32 v195, v149, v94
	s_wait_loadcnt_dscnt 0x100
	v_dual_mul_f32 v212, v183, v128 :: v_dual_mul_f32 v213, v185, v130
	v_fma_f32 v76, v131, v75, -v76
	v_mul_f32_e32 v75, v136, v80
	v_add_f32_e32 v1, 0, v1
	v_dual_fmac_f32 v193, v146, v89 :: v_dual_fmac_f32 v194, v148, v91
	s_delay_alu instid0(VALU_DEP_4) | instskip(NEXT) | instid1(VALU_DEP_4)
	v_add_f32_e32 v76, 0, v76
	v_fma_f32 v75, v135, v79, -v75
	v_fmac_f32_e32 v2, v134, v77
	v_fma_f32 v77, v133, v77, -v78
	v_fmac_f32_e32 v189, v138, v81
	v_dual_fmac_f32 v191, v142, v85 :: v_dual_mul_f32 v196, v151, v96
	s_delay_alu instid0(VALU_DEP_3) | instskip(SKIP_1) | instid1(VALU_DEP_2)
	v_dual_mul_f32 v197, v153, v98 :: v_dual_add_f32 v76, v76, v77
	v_dual_mul_f32 v198, v155, v100 :: v_dual_mul_f32 v199, v157, v102
	v_dual_fmac_f32 v196, v152, v95 :: v_dual_fmac_f32 v197, v154, v97
	s_delay_alu instid0(VALU_DEP_3) | instskip(SKIP_4) | instid1(VALU_DEP_4)
	v_add_f32_e32 v75, v76, v75
	v_dual_fmac_f32 v4, v136, v79 :: v_dual_add_f32 v1, v1, v2
	v_mul_f32_e32 v78, v138, v82
	v_mul_f32_e32 v2, v140, v84
	;; [unrolled: 1-line block ×3, first 2 shown]
	v_dual_fmac_f32 v192, v144, v87 :: v_dual_add_f32 v1, v1, v4
	s_delay_alu instid0(VALU_DEP_4)
	v_fma_f32 v77, v137, v81, -v78
	v_mul_f32_e32 v4, v142, v86
	v_fma_f32 v2, v139, v83, -v2
	v_fma_f32 v76, v143, v87, -v76
	v_add_f32_e32 v1, v1, v189
	v_add_f32_e32 v75, v75, v77
	v_fma_f32 v4, v141, v85, -v4
	v_dual_fmac_f32 v195, v150, v93 :: v_dual_fmac_f32 v198, v156, v99
	v_fmac_f32_e32 v199, v158, v101
	v_add_f32_e32 v1, v1, v190
	v_add_f32_e32 v2, v75, v2
	v_dual_mul_f32 v75, v146, v90 :: v_dual_mul_f32 v200, v159, v104
	v_mul_f32_e32 v201, v161, v106
	s_delay_alu instid0(VALU_DEP_4) | instskip(SKIP_1) | instid1(VALU_DEP_4)
	v_dual_add_f32 v1, v1, v191 :: v_dual_mul_f32 v202, v163, v108
	v_mul_f32_e32 v203, v165, v110
	v_fma_f32 v75, v145, v89, -v75
	s_delay_alu instid0(VALU_DEP_3) | instskip(SKIP_1) | instid1(VALU_DEP_4)
	v_dual_fmac_f32 v200, v160, v103 :: v_dual_add_f32 v1, v1, v192
	v_add_f32_e32 v2, v2, v4
	v_dual_mul_f32 v4, v148, v92 :: v_dual_fmac_f32 v203, v166, v109
	s_delay_alu instid0(VALU_DEP_3) | instskip(NEXT) | instid1(VALU_DEP_3)
	v_dual_fmac_f32 v202, v164, v107 :: v_dual_add_f32 v1, v1, v193
	v_add_f32_e32 v2, v2, v76
	s_delay_alu instid0(VALU_DEP_3) | instskip(SKIP_2) | instid1(VALU_DEP_4)
	v_fma_f32 v4, v147, v91, -v4
	v_mul_f32_e32 v76, v150, v94
	v_dual_mul_f32 v204, v167, v112 :: v_dual_mul_f32 v205, v169, v114
	v_dual_add_f32 v1, v1, v194 :: v_dual_add_f32 v2, v2, v75
	v_mul_f32_e32 v75, v152, v96
	s_delay_alu instid0(VALU_DEP_4) | instskip(NEXT) | instid1(VALU_DEP_4)
	v_fma_f32 v76, v149, v93, -v76
	v_dual_fmac_f32 v204, v168, v111 :: v_dual_fmac_f32 v205, v170, v113
	s_delay_alu instid0(VALU_DEP_4)
	v_dual_add_f32 v2, v2, v4 :: v_dual_add_f32 v1, v1, v195
	v_mul_f32_e32 v4, v154, v98
	v_fma_f32 v75, v151, v95, -v75
	v_dual_fmac_f32 v201, v162, v105 :: v_dual_mul_f32 v206, v171, v116
	v_mul_f32_e32 v207, v173, v118
	v_add_f32_e32 v1, v1, v196
	v_add_f32_e32 v2, v2, v76
	v_fma_f32 v4, v153, v97, -v4
	v_mul_f32_e32 v76, v156, v100
	v_dual_mul_f32 v208, v175, v120 :: v_dual_mul_f32 v209, v177, v122
	s_delay_alu instid0(VALU_DEP_4) | instskip(SKIP_1) | instid1(VALU_DEP_4)
	v_dual_add_f32 v1, v1, v197 :: v_dual_add_f32 v2, v2, v75
	v_mul_f32_e32 v75, v158, v102
	v_fma_f32 v76, v155, v99, -v76
	s_delay_alu instid0(VALU_DEP_4) | instskip(NEXT) | instid1(VALU_DEP_4)
	v_dual_fmac_f32 v206, v172, v115 :: v_dual_fmac_f32 v209, v178, v121
	v_dual_add_f32 v1, v1, v198 :: v_dual_add_f32 v2, v2, v4
	v_mul_f32_e32 v4, v160, v104
	v_fma_f32 v75, v157, v101, -v75
	v_dual_mul_f32 v210, v179, v124 :: v_dual_mul_f32 v211, v181, v126
	s_delay_alu instid0(VALU_DEP_4) | instskip(NEXT) | instid1(VALU_DEP_4)
	v_add_f32_e32 v1, v1, v199
	v_fma_f32 v4, v159, v103, -v4
	v_fmac_f32_e32 v208, v176, v119
	s_delay_alu instid0(VALU_DEP_4) | instskip(NEXT) | instid1(VALU_DEP_4)
	v_dual_fmac_f32 v212, v184, v127 :: v_dual_fmac_f32 v211, v182, v125
	v_add_f32_e32 v1, v1, v200
	v_add_f32_e32 v2, v2, v76
	v_mul_f32_e32 v76, v162, v106
	v_dual_fmac_f32 v207, v174, v117 :: v_dual_fmac_f32 v210, v180, v123
	s_delay_alu instid0(VALU_DEP_3) | instskip(SKIP_1) | instid1(VALU_DEP_4)
	v_dual_add_f32 v1, v1, v201 :: v_dual_add_f32 v2, v2, v75
	v_mul_f32_e32 v75, v164, v108
	v_fma_f32 v76, v161, v105, -v76
	v_fmac_f32_e32 v213, v186, v129
	s_delay_alu instid0(VALU_DEP_4) | instskip(SKIP_2) | instid1(VALU_DEP_3)
	v_dual_add_f32 v1, v1, v202 :: v_dual_add_f32 v2, v2, v4
	v_mul_f32_e32 v4, v166, v110
	v_fma_f32 v75, v163, v107, -v75
	v_add_f32_e32 v1, v1, v203
	s_delay_alu instid0(VALU_DEP_3) | instskip(NEXT) | instid1(VALU_DEP_2)
	v_fma_f32 v4, v165, v109, -v4
	v_add_f32_e32 v1, v1, v204
	v_add_f32_e32 v2, v2, v76
	s_delay_alu instid0(VALU_DEP_2) | instskip(NEXT) | instid1(VALU_DEP_2)
	v_dual_mul_f32 v76, v168, v112 :: v_dual_add_f32 v1, v1, v205
	v_add_f32_e32 v2, v2, v75
	v_mul_f32_e32 v75, v170, v114
	s_delay_alu instid0(VALU_DEP_3) | instskip(NEXT) | instid1(VALU_DEP_3)
	v_fma_f32 v76, v167, v111, -v76
	v_dual_add_f32 v1, v1, v206 :: v_dual_add_f32 v2, v2, v4
	v_mul_f32_e32 v4, v172, v116
	s_delay_alu instid0(VALU_DEP_4) | instskip(NEXT) | instid1(VALU_DEP_3)
	v_fma_f32 v75, v169, v113, -v75
	v_add_f32_e32 v1, v1, v207
	s_delay_alu instid0(VALU_DEP_3) | instskip(NEXT) | instid1(VALU_DEP_2)
	v_fma_f32 v4, v171, v115, -v4
	v_add_f32_e32 v1, v1, v208
	v_add_f32_e32 v2, v2, v76
	s_delay_alu instid0(VALU_DEP_2) | instskip(NEXT) | instid1(VALU_DEP_2)
	v_dual_mul_f32 v76, v174, v118 :: v_dual_add_f32 v1, v1, v209
	v_dual_add_f32 v2, v2, v75 :: v_dual_mul_f32 v75, v176, v120
	s_delay_alu instid0(VALU_DEP_2) | instskip(NEXT) | instid1(VALU_DEP_2)
	v_fma_f32 v76, v173, v117, -v76
	v_dual_add_f32 v1, v1, v210 :: v_dual_add_f32 v2, v2, v4
	s_delay_alu instid0(VALU_DEP_3) | instskip(NEXT) | instid1(VALU_DEP_2)
	v_fma_f32 v75, v175, v119, -v75
	v_dual_add_f32 v1, v1, v211 :: v_dual_mul_f32 v4, v178, v122
	s_delay_alu instid0(VALU_DEP_3) | instskip(SKIP_1) | instid1(VALU_DEP_3)
	v_add_f32_e32 v2, v2, v76
	v_mul_f32_e32 v76, v180, v124
	v_add_f32_e32 v1, v1, v212
	s_delay_alu instid0(VALU_DEP_4) | instskip(NEXT) | instid1(VALU_DEP_4)
	v_fma_f32 v4, v177, v121, -v4
	v_add_f32_e32 v2, v2, v75
	v_mul_f32_e32 v75, v182, v126
	v_fma_f32 v76, v179, v123, -v76
	s_delay_alu instid0(VALU_DEP_3) | instskip(SKIP_1) | instid1(VALU_DEP_4)
	v_add_f32_e32 v2, v2, v4
	v_mul_f32_e32 v4, v184, v128
	v_fma_f32 v75, v181, v125, -v75
	s_delay_alu instid0(VALU_DEP_3) | instskip(SKIP_1) | instid1(VALU_DEP_4)
	v_add_f32_e32 v2, v2, v76
	v_mul_f32_e32 v76, v186, v130
	v_fma_f32 v4, v183, v127, -v4
	s_delay_alu instid0(VALU_DEP_3) | instskip(NEXT) | instid1(VALU_DEP_3)
	v_add_f32_e32 v2, v2, v75
	v_fma_f32 v75, v185, v129, -v76
	s_delay_alu instid0(VALU_DEP_2) | instskip(SKIP_1) | instid1(VALU_DEP_2)
	v_add_f32_e32 v2, v2, v4
	v_add_f32_e32 v4, v1, v213
	;; [unrolled: 1-line block ×3, first 2 shown]
	s_wait_loadcnt 0x0
	s_delay_alu instid0(VALU_DEP_1)
	v_dual_sub_f32 v1, v187, v2 :: v_dual_sub_f32 v2, v188, v4
	scratch_store_b64 off, v[1:2], off offset:48
	v_cmpx_lt_u32_e32 5, v0
	s_cbranch_execz .LBB34_213
; %bb.212:
	scratch_load_b64 v[1:2], off, off offset:40
	v_mov_b32_e32 v75, 0
	s_delay_alu instid0(VALU_DEP_1)
	v_mov_b32_e32 v76, v75
	scratch_store_b64 off, v[75:76], off offset:40
	s_wait_loadcnt 0x0
	ds_store_b64 v3, v[1:2]
.LBB34_213:
	s_wait_alu 0xfffe
	s_or_b32 exec_lo, exec_lo, s0
	s_wait_storecnt_dscnt 0x0
	s_barrier_signal -1
	s_barrier_wait -1
	global_inv scope:SCOPE_SE
	s_clause 0xf
	scratch_load_b128 v[75:78], off, off offset:48
	scratch_load_b128 v[79:82], off, off offset:64
	;; [unrolled: 1-line block ×14, first 2 shown]
	scratch_load_b64 v[187:188], off, off offset:272
	scratch_load_b64 v[189:190], off, off offset:40
	v_mov_b32_e32 v1, 0
	ds_load_b128 v[131:134], v1 offset:336
	ds_load_b128 v[135:138], v1 offset:352
	ds_load_b128 v[139:142], v1 offset:368
	ds_load_b128 v[143:146], v1 offset:384
	ds_load_b128 v[147:150], v1 offset:400
	ds_load_b128 v[151:154], v1 offset:416
	ds_load_b128 v[155:158], v1 offset:432
	ds_load_b128 v[159:162], v1 offset:448
	ds_load_b128 v[163:166], v1 offset:464
	ds_load_b128 v[167:170], v1 offset:480
	ds_load_b128 v[171:174], v1 offset:496
	ds_load_b128 v[175:178], v1 offset:512
	ds_load_b128 v[179:182], v1 offset:528
	ds_load_b128 v[183:186], v1 offset:544
	ds_load_b64 v[191:192], v1 offset:560
	s_mov_b32 s0, exec_lo
	s_wait_loadcnt_dscnt 0xf0e
	v_mul_f32_e32 v2, v131, v76
	v_mul_f32_e32 v76, v132, v76
	s_wait_loadcnt_dscnt 0xe0d
	v_dual_mul_f32 v4, v133, v78 :: v_dual_mul_f32 v193, v135, v80
	v_mul_f32_e32 v78, v134, v78
	s_wait_loadcnt_dscnt 0xd0c
	v_dual_mul_f32 v194, v137, v82 :: v_dual_mul_f32 v195, v139, v84
	v_fma_f32 v76, v131, v75, -v76
	v_fmac_f32_e32 v2, v132, v75
	v_dual_mul_f32 v75, v136, v80 :: v_dual_fmac_f32 v4, v134, v77
	v_fmac_f32_e32 v193, v136, v79
	v_fma_f32 v77, v133, v77, -v78
	v_dual_add_f32 v76, 0, v76 :: v_dual_fmac_f32 v195, v140, v83
	v_mul_f32_e32 v78, v138, v82
	v_fma_f32 v75, v135, v79, -v75
	s_wait_loadcnt_dscnt 0xc0b
	v_dual_mul_f32 v196, v141, v86 :: v_dual_mul_f32 v197, v143, v88
	v_add_f32_e32 v76, v76, v77
	v_add_f32_e32 v2, 0, v2
	v_fma_f32 v77, v137, v81, -v78
	s_wait_loadcnt_dscnt 0xa09
	v_dual_mul_f32 v200, v149, v94 :: v_dual_mul_f32 v201, v151, v96
	s_delay_alu instid0(VALU_DEP_3) | instskip(SKIP_2) | instid1(VALU_DEP_4)
	v_dual_add_f32 v75, v76, v75 :: v_dual_add_f32 v2, v2, v4
	v_fmac_f32_e32 v197, v144, v87
	v_mul_f32_e32 v4, v140, v84
	v_dual_mul_f32 v76, v142, v86 :: v_dual_fmac_f32 v201, v152, v95
	s_delay_alu instid0(VALU_DEP_4) | instskip(SKIP_1) | instid1(VALU_DEP_4)
	v_add_f32_e32 v75, v75, v77
	v_mul_f32_e32 v77, v144, v88
	v_fma_f32 v4, v139, v83, -v4
	s_delay_alu instid0(VALU_DEP_4) | instskip(SKIP_2) | instid1(VALU_DEP_4)
	v_fma_f32 v76, v141, v85, -v76
	v_add_f32_e32 v2, v2, v193
	v_dual_mul_f32 v198, v145, v90 :: v_dual_mul_f32 v199, v147, v92
	v_dual_add_f32 v4, v75, v4 :: v_dual_mul_f32 v75, v146, v90
	v_fma_f32 v77, v143, v87, -v77
	s_wait_loadcnt_dscnt 0x403
	v_dual_mul_f32 v212, v173, v118 :: v_dual_mul_f32 v213, v175, v120
	s_delay_alu instid0(VALU_DEP_3) | instskip(SKIP_3) | instid1(VALU_DEP_4)
	v_add_f32_e32 v4, v4, v76
	v_mul_f32_e32 v76, v148, v92
	v_fma_f32 v75, v145, v89, -v75
	v_dual_fmac_f32 v194, v138, v81 :: v_dual_fmac_f32 v199, v148, v91
	v_dual_add_f32 v4, v4, v77 :: v_dual_mul_f32 v77, v150, v94
	s_delay_alu instid0(VALU_DEP_4) | instskip(SKIP_1) | instid1(VALU_DEP_3)
	v_fma_f32 v76, v147, v91, -v76
	v_dual_fmac_f32 v213, v176, v119 :: v_dual_mul_f32 v202, v153, v98
	v_dual_mul_f32 v203, v155, v100 :: v_dual_add_f32 v4, v4, v75
	v_mul_f32_e32 v75, v152, v96
	v_fma_f32 v77, v149, v93, -v77
	v_add_f32_e32 v2, v2, v194
	s_delay_alu instid0(VALU_DEP_4) | instskip(SKIP_4) | instid1(VALU_DEP_4)
	v_dual_fmac_f32 v196, v142, v85 :: v_dual_fmac_f32 v203, v156, v99
	v_add_f32_e32 v4, v4, v76
	v_mul_f32_e32 v76, v154, v98
	v_fma_f32 v75, v151, v95, -v75
	v_dual_mul_f32 v204, v157, v102 :: v_dual_mul_f32 v205, v159, v104
	v_add_f32_e32 v4, v4, v77
	v_mul_f32_e32 v77, v156, v100
	v_fma_f32 v76, v153, v97, -v76
	v_add_f32_e32 v2, v2, v195
	v_dual_mul_f32 v206, v161, v106 :: v_dual_mul_f32 v207, v163, v108
	v_dual_add_f32 v4, v4, v75 :: v_dual_mul_f32 v75, v158, v102
	v_fma_f32 v77, v155, v99, -v77
	v_dual_fmac_f32 v205, v160, v103 :: v_dual_fmac_f32 v198, v146, v89
	s_delay_alu instid0(VALU_DEP_4) | instskip(NEXT) | instid1(VALU_DEP_4)
	v_fmac_f32_e32 v207, v164, v107
	v_add_f32_e32 v4, v4, v76
	v_mul_f32_e32 v76, v160, v104
	v_fma_f32 v75, v157, v101, -v75
	v_dual_mul_f32 v208, v165, v110 :: v_dual_mul_f32 v209, v167, v112
	s_delay_alu instid0(VALU_DEP_4) | instskip(NEXT) | instid1(VALU_DEP_4)
	v_dual_add_f32 v4, v4, v77 :: v_dual_mul_f32 v77, v162, v106
	v_fma_f32 v76, v159, v103, -v76
	s_delay_alu instid0(VALU_DEP_3) | instskip(NEXT) | instid1(VALU_DEP_3)
	v_dual_fmac_f32 v202, v154, v97 :: v_dual_fmac_f32 v209, v168, v111
	v_add_f32_e32 v4, v4, v75
	v_mul_f32_e32 v75, v164, v108
	v_fma_f32 v77, v161, v105, -v77
	v_add_f32_e32 v2, v2, v196
	v_dual_mul_f32 v210, v169, v114 :: v_dual_mul_f32 v211, v171, v116
	v_add_f32_e32 v4, v4, v76
	v_mul_f32_e32 v76, v166, v110
	v_fma_f32 v75, v163, v107, -v75
	v_add_f32_e32 v2, v2, v197
	v_dual_fmac_f32 v200, v150, v93 :: v_dual_fmac_f32 v211, v172, v115
	v_add_f32_e32 v4, v4, v77
	v_mul_f32_e32 v77, v168, v112
	v_fma_f32 v76, v165, v109, -v76
	v_add_f32_e32 v2, v2, v198
	s_wait_loadcnt_dscnt 0x302
	v_dual_mul_f32 v214, v177, v122 :: v_dual_mul_f32 v215, v179, v124
	v_dual_add_f32 v4, v4, v75 :: v_dual_mul_f32 v75, v170, v114
	v_fma_f32 v77, v167, v111, -v77
	v_add_f32_e32 v2, v2, v199
	s_wait_loadcnt_dscnt 0x201
	v_dual_mul_f32 v216, v181, v126 :: v_dual_mul_f32 v217, v183, v128
	v_add_f32_e32 v4, v4, v76
	v_mul_f32_e32 v76, v172, v116
	v_fma_f32 v75, v169, v113, -v75
	v_fmac_f32_e32 v215, v180, v123
	v_fmac_f32_e32 v217, v184, v127
	v_dual_add_f32 v4, v4, v77 :: v_dual_mul_f32 v77, v174, v118
	v_fma_f32 v76, v171, v115, -v76
	s_wait_loadcnt_dscnt 0x100
	v_dual_mul_f32 v218, v185, v130 :: v_dual_mul_f32 v219, v191, v188
	s_delay_alu instid0(VALU_DEP_3)
	v_add_f32_e32 v4, v4, v75
	v_mul_f32_e32 v75, v176, v120
	v_fma_f32 v77, v173, v117, -v77
	v_add_f32_e32 v2, v2, v200
	v_dual_fmac_f32 v204, v158, v101 :: v_dual_fmac_f32 v219, v192, v187
	v_add_f32_e32 v4, v4, v76
	v_mul_f32_e32 v76, v178, v122
	v_fma_f32 v75, v175, v119, -v75
	v_add_f32_e32 v2, v2, v201
	v_fmac_f32_e32 v206, v162, v105
	v_add_f32_e32 v4, v4, v77
	v_mul_f32_e32 v77, v180, v124
	v_fma_f32 v76, v177, v121, -v76
	v_add_f32_e32 v2, v2, v202
	v_fmac_f32_e32 v208, v166, v109
	v_dual_add_f32 v4, v4, v75 :: v_dual_mul_f32 v75, v182, v126
	v_fma_f32 v77, v179, v123, -v77
	v_fmac_f32_e32 v210, v170, v113
	v_fmac_f32_e32 v212, v174, v117
	s_delay_alu instid0(VALU_DEP_4)
	v_add_f32_e32 v4, v4, v76
	v_mul_f32_e32 v76, v184, v128
	v_fma_f32 v75, v181, v125, -v75
	v_fmac_f32_e32 v214, v178, v121
	v_fmac_f32_e32 v216, v182, v125
	v_dual_add_f32 v4, v4, v77 :: v_dual_mul_f32 v77, v186, v130
	v_fma_f32 v76, v183, v127, -v76
	v_fmac_f32_e32 v218, v186, v129
	s_delay_alu instid0(VALU_DEP_3) | instskip(SKIP_2) | instid1(VALU_DEP_3)
	v_add_f32_e32 v4, v4, v75
	v_mul_f32_e32 v75, v192, v188
	v_fma_f32 v77, v185, v129, -v77
	v_add_f32_e32 v4, v4, v76
	s_delay_alu instid0(VALU_DEP_3) | instskip(NEXT) | instid1(VALU_DEP_2)
	v_fma_f32 v75, v191, v187, -v75
	v_add_f32_e32 v4, v4, v77
	s_delay_alu instid0(VALU_DEP_1) | instskip(SKIP_1) | instid1(VALU_DEP_1)
	v_add_f32_e32 v4, v4, v75
	s_wait_loadcnt 0x0
	v_dual_add_f32 v2, v2, v203 :: v_dual_sub_f32 v75, v189, v4
	s_delay_alu instid0(VALU_DEP_1) | instskip(NEXT) | instid1(VALU_DEP_1)
	v_add_f32_e32 v2, v2, v204
	v_add_f32_e32 v2, v2, v205
	s_delay_alu instid0(VALU_DEP_1) | instskip(NEXT) | instid1(VALU_DEP_1)
	v_add_f32_e32 v2, v2, v206
	v_add_f32_e32 v2, v2, v207
	s_delay_alu instid0(VALU_DEP_1) | instskip(NEXT) | instid1(VALU_DEP_1)
	v_add_f32_e32 v2, v2, v208
	v_add_f32_e32 v2, v2, v209
	s_delay_alu instid0(VALU_DEP_1) | instskip(NEXT) | instid1(VALU_DEP_1)
	v_add_f32_e32 v2, v2, v210
	v_add_f32_e32 v2, v2, v211
	s_delay_alu instid0(VALU_DEP_1) | instskip(NEXT) | instid1(VALU_DEP_1)
	v_add_f32_e32 v2, v2, v212
	v_add_f32_e32 v2, v2, v213
	s_delay_alu instid0(VALU_DEP_1) | instskip(NEXT) | instid1(VALU_DEP_1)
	v_add_f32_e32 v2, v2, v214
	v_add_f32_e32 v2, v2, v215
	s_delay_alu instid0(VALU_DEP_1) | instskip(NEXT) | instid1(VALU_DEP_1)
	v_add_f32_e32 v2, v2, v216
	v_add_f32_e32 v2, v2, v217
	s_delay_alu instid0(VALU_DEP_1) | instskip(NEXT) | instid1(VALU_DEP_1)
	v_add_f32_e32 v2, v2, v218
	v_add_f32_e32 v2, v2, v219
	s_delay_alu instid0(VALU_DEP_1)
	v_sub_f32_e32 v76, v190, v2
	scratch_store_b64 off, v[75:76], off offset:40
	v_cmpx_lt_u32_e32 4, v0
	s_cbranch_execz .LBB34_215
; %bb.214:
	scratch_load_b64 v[75:76], off, off offset:32
	v_mov_b32_e32 v2, v1
	scratch_store_b64 off, v[1:2], off offset:32
	s_wait_loadcnt 0x0
	ds_store_b64 v3, v[75:76]
.LBB34_215:
	s_wait_alu 0xfffe
	s_or_b32 exec_lo, exec_lo, s0
	s_wait_storecnt_dscnt 0x0
	s_barrier_signal -1
	s_barrier_wait -1
	global_inv scope:SCOPE_SE
	s_clause 0xf
	scratch_load_b128 v[75:78], off, off offset:40
	scratch_load_b128 v[79:82], off, off offset:56
	;; [unrolled: 1-line block ×15, first 2 shown]
	scratch_load_b64 v[195:196], off, off offset:32
	ds_load_2addr_b64 v[135:138], v1 offset0:41 offset1:42
	ds_load_2addr_b64 v[139:142], v1 offset0:43 offset1:44
	;; [unrolled: 1-line block ×15, first 2 shown]
	s_mov_b32 s0, exec_lo
	s_wait_loadcnt_dscnt 0xf0e
	v_dual_mul_f32 v1, v135, v76 :: v_dual_mul_f32 v2, v137, v78
	v_mul_f32_e32 v76, v136, v76
	v_mul_f32_e32 v78, v138, v78
	s_wait_loadcnt_dscnt 0xd0c
	v_dual_mul_f32 v198, v143, v84 :: v_dual_mul_f32 v199, v145, v86
	v_dual_mul_f32 v4, v139, v80 :: v_dual_mul_f32 v197, v141, v82
	s_wait_loadcnt_dscnt 0xc0b
	v_dual_mul_f32 v200, v147, v88 :: v_dual_mul_f32 v201, v149, v90
	v_fmac_f32_e32 v1, v136, v75
	v_fmac_f32_e32 v198, v144, v83
	s_wait_loadcnt_dscnt 0xb0a
	v_dual_mul_f32 v202, v151, v92 :: v_dual_mul_f32 v203, v153, v94
	s_wait_loadcnt_dscnt 0x100
	v_dual_mul_f32 v222, v191, v132 :: v_dual_mul_f32 v223, v193, v134
	v_fma_f32 v76, v135, v75, -v76
	v_mul_f32_e32 v75, v140, v80
	v_add_f32_e32 v1, 0, v1
	v_dual_fmac_f32 v201, v150, v89 :: v_dual_fmac_f32 v202, v152, v91
	s_delay_alu instid0(VALU_DEP_4) | instskip(NEXT) | instid1(VALU_DEP_4)
	v_add_f32_e32 v76, 0, v76
	v_fma_f32 v75, v139, v79, -v75
	v_fmac_f32_e32 v2, v138, v77
	v_fma_f32 v77, v137, v77, -v78
	v_fmac_f32_e32 v197, v142, v81
	v_dual_fmac_f32 v199, v146, v85 :: v_dual_mul_f32 v204, v155, v96
	s_delay_alu instid0(VALU_DEP_3) | instskip(SKIP_1) | instid1(VALU_DEP_2)
	v_dual_mul_f32 v205, v157, v98 :: v_dual_add_f32 v76, v76, v77
	v_dual_mul_f32 v206, v159, v100 :: v_dual_mul_f32 v207, v161, v102
	v_dual_fmac_f32 v204, v156, v95 :: v_dual_fmac_f32 v205, v158, v97
	s_delay_alu instid0(VALU_DEP_3) | instskip(SKIP_4) | instid1(VALU_DEP_4)
	v_add_f32_e32 v75, v76, v75
	v_dual_fmac_f32 v4, v140, v79 :: v_dual_add_f32 v1, v1, v2
	v_mul_f32_e32 v78, v142, v82
	v_mul_f32_e32 v2, v144, v84
	;; [unrolled: 1-line block ×3, first 2 shown]
	v_dual_fmac_f32 v200, v148, v87 :: v_dual_add_f32 v1, v1, v4
	s_delay_alu instid0(VALU_DEP_4)
	v_fma_f32 v77, v141, v81, -v78
	v_mul_f32_e32 v4, v146, v86
	v_fma_f32 v2, v143, v83, -v2
	v_fma_f32 v76, v147, v87, -v76
	v_add_f32_e32 v1, v1, v197
	v_add_f32_e32 v75, v75, v77
	v_fma_f32 v4, v145, v85, -v4
	v_dual_fmac_f32 v206, v160, v99 :: v_dual_fmac_f32 v207, v162, v101
	s_delay_alu instid0(VALU_DEP_4) | instskip(NEXT) | instid1(VALU_DEP_4)
	v_add_f32_e32 v1, v1, v198
	v_add_f32_e32 v2, v75, v2
	v_mul_f32_e32 v75, v150, v90
	v_dual_fmac_f32 v203, v154, v93 :: v_dual_mul_f32 v208, v163, v104
	v_mul_f32_e32 v209, v165, v106
	v_add_f32_e32 v1, v1, v199
	s_delay_alu instid0(VALU_DEP_4) | instskip(SKIP_1) | instid1(VALU_DEP_3)
	v_fma_f32 v75, v149, v89, -v75
	v_dual_mul_f32 v210, v167, v108 :: v_dual_mul_f32 v211, v169, v110
	v_dual_fmac_f32 v208, v164, v103 :: v_dual_add_f32 v1, v1, v200
	v_add_f32_e32 v2, v2, v4
	s_delay_alu instid0(VALU_DEP_3) | instskip(NEXT) | instid1(VALU_DEP_3)
	v_dual_mul_f32 v4, v152, v92 :: v_dual_fmac_f32 v211, v170, v109
	v_dual_fmac_f32 v210, v168, v107 :: v_dual_add_f32 v1, v1, v201
	s_delay_alu instid0(VALU_DEP_3) | instskip(NEXT) | instid1(VALU_DEP_3)
	v_add_f32_e32 v2, v2, v76
	v_fma_f32 v4, v151, v91, -v4
	v_mul_f32_e32 v76, v154, v94
	v_dual_mul_f32 v212, v171, v112 :: v_dual_mul_f32 v213, v173, v114
	s_delay_alu instid0(VALU_DEP_4) | instskip(SKIP_1) | instid1(VALU_DEP_4)
	v_dual_add_f32 v1, v1, v202 :: v_dual_add_f32 v2, v2, v75
	v_mul_f32_e32 v75, v156, v96
	v_fma_f32 v76, v153, v93, -v76
	s_delay_alu instid0(VALU_DEP_4) | instskip(NEXT) | instid1(VALU_DEP_4)
	v_dual_fmac_f32 v212, v172, v111 :: v_dual_fmac_f32 v213, v174, v113
	v_dual_add_f32 v2, v2, v4 :: v_dual_add_f32 v1, v1, v203
	v_mul_f32_e32 v4, v158, v98
	v_fma_f32 v75, v155, v95, -v75
	v_dual_fmac_f32 v209, v166, v105 :: v_dual_mul_f32 v214, v175, v116
	v_mul_f32_e32 v215, v177, v118
	v_add_f32_e32 v1, v1, v204
	v_add_f32_e32 v2, v2, v76
	v_fma_f32 v4, v157, v97, -v4
	v_mul_f32_e32 v76, v160, v100
	v_dual_mul_f32 v216, v179, v120 :: v_dual_mul_f32 v217, v181, v122
	s_delay_alu instid0(VALU_DEP_4) | instskip(SKIP_1) | instid1(VALU_DEP_4)
	v_dual_add_f32 v1, v1, v205 :: v_dual_add_f32 v2, v2, v75
	v_mul_f32_e32 v75, v162, v102
	v_fma_f32 v76, v159, v99, -v76
	s_delay_alu instid0(VALU_DEP_4) | instskip(NEXT) | instid1(VALU_DEP_4)
	v_dual_fmac_f32 v214, v176, v115 :: v_dual_fmac_f32 v217, v182, v121
	v_dual_add_f32 v1, v1, v206 :: v_dual_add_f32 v2, v2, v4
	v_mul_f32_e32 v4, v164, v104
	v_fma_f32 v75, v161, v101, -v75
	v_fmac_f32_e32 v216, v180, v119
	s_delay_alu instid0(VALU_DEP_4) | instskip(SKIP_3) | instid1(VALU_DEP_4)
	v_dual_add_f32 v1, v1, v207 :: v_dual_mul_f32 v218, v183, v124
	v_mul_f32_e32 v219, v185, v126
	v_fma_f32 v4, v163, v103, -v4
	v_dual_mul_f32 v220, v187, v128 :: v_dual_mul_f32 v221, v189, v130
	v_add_f32_e32 v1, v1, v208
	v_add_f32_e32 v2, v2, v76
	v_mul_f32_e32 v76, v166, v106
	v_fmac_f32_e32 v215, v178, v117
	v_dual_fmac_f32 v219, v186, v125 :: v_dual_fmac_f32 v220, v188, v127
	s_delay_alu instid0(VALU_DEP_4) | instskip(SKIP_3) | instid1(VALU_DEP_4)
	v_dual_add_f32 v1, v1, v209 :: v_dual_add_f32 v2, v2, v75
	v_mul_f32_e32 v75, v168, v108
	v_fma_f32 v76, v165, v105, -v76
	v_dual_fmac_f32 v221, v190, v129 :: v_dual_fmac_f32 v222, v192, v131
	v_dual_add_f32 v1, v1, v210 :: v_dual_add_f32 v2, v2, v4
	v_mul_f32_e32 v4, v170, v110
	v_fma_f32 v75, v167, v107, -v75
	v_fmac_f32_e32 v218, v184, v123
	s_delay_alu instid0(VALU_DEP_4) | instskip(SKIP_2) | instid1(VALU_DEP_3)
	v_add_f32_e32 v1, v1, v211
	v_fmac_f32_e32 v223, v194, v133
	v_fma_f32 v4, v169, v109, -v4
	v_add_f32_e32 v1, v1, v212
	v_add_f32_e32 v2, v2, v76
	s_delay_alu instid0(VALU_DEP_2) | instskip(NEXT) | instid1(VALU_DEP_2)
	v_dual_mul_f32 v76, v172, v112 :: v_dual_add_f32 v1, v1, v213
	v_add_f32_e32 v2, v2, v75
	v_mul_f32_e32 v75, v174, v114
	s_delay_alu instid0(VALU_DEP_3) | instskip(NEXT) | instid1(VALU_DEP_3)
	v_fma_f32 v76, v171, v111, -v76
	v_dual_add_f32 v1, v1, v214 :: v_dual_add_f32 v2, v2, v4
	v_mul_f32_e32 v4, v176, v116
	s_delay_alu instid0(VALU_DEP_4) | instskip(NEXT) | instid1(VALU_DEP_3)
	v_fma_f32 v75, v173, v113, -v75
	v_add_f32_e32 v1, v1, v215
	s_delay_alu instid0(VALU_DEP_3) | instskip(NEXT) | instid1(VALU_DEP_2)
	v_fma_f32 v4, v175, v115, -v4
	v_add_f32_e32 v1, v1, v216
	v_add_f32_e32 v2, v2, v76
	s_delay_alu instid0(VALU_DEP_2) | instskip(NEXT) | instid1(VALU_DEP_2)
	v_dual_mul_f32 v76, v178, v118 :: v_dual_add_f32 v1, v1, v217
	v_dual_add_f32 v2, v2, v75 :: v_dual_mul_f32 v75, v180, v120
	s_delay_alu instid0(VALU_DEP_2) | instskip(NEXT) | instid1(VALU_DEP_2)
	v_fma_f32 v76, v177, v117, -v76
	v_dual_add_f32 v1, v1, v218 :: v_dual_add_f32 v2, v2, v4
	v_mul_f32_e32 v4, v182, v122
	s_delay_alu instid0(VALU_DEP_4) | instskip(NEXT) | instid1(VALU_DEP_3)
	v_fma_f32 v75, v179, v119, -v75
	v_add_f32_e32 v1, v1, v219
	s_delay_alu instid0(VALU_DEP_3) | instskip(NEXT) | instid1(VALU_DEP_2)
	v_fma_f32 v4, v181, v121, -v4
	v_add_f32_e32 v1, v1, v220
	v_add_f32_e32 v2, v2, v76
	s_delay_alu instid0(VALU_DEP_2) | instskip(NEXT) | instid1(VALU_DEP_2)
	v_dual_mul_f32 v76, v184, v124 :: v_dual_add_f32 v1, v1, v221
	v_add_f32_e32 v2, v2, v75
	v_mul_f32_e32 v75, v186, v126
	s_delay_alu instid0(VALU_DEP_3) | instskip(NEXT) | instid1(VALU_DEP_3)
	v_fma_f32 v76, v183, v123, -v76
	v_dual_add_f32 v1, v1, v222 :: v_dual_add_f32 v2, v2, v4
	v_mul_f32_e32 v4, v188, v128
	s_delay_alu instid0(VALU_DEP_4) | instskip(NEXT) | instid1(VALU_DEP_3)
	v_fma_f32 v75, v185, v125, -v75
	v_add_f32_e32 v2, v2, v76
	v_mul_f32_e32 v76, v190, v130
	s_delay_alu instid0(VALU_DEP_4) | instskip(NEXT) | instid1(VALU_DEP_3)
	v_fma_f32 v4, v187, v127, -v4
	v_dual_add_f32 v2, v2, v75 :: v_dual_mul_f32 v75, v192, v132
	s_delay_alu instid0(VALU_DEP_3) | instskip(NEXT) | instid1(VALU_DEP_2)
	v_fma_f32 v76, v189, v129, -v76
	v_add_f32_e32 v2, v2, v4
	v_mul_f32_e32 v4, v194, v134
	s_delay_alu instid0(VALU_DEP_4) | instskip(NEXT) | instid1(VALU_DEP_3)
	v_fma_f32 v75, v191, v131, -v75
	v_add_f32_e32 v2, v2, v76
	s_delay_alu instid0(VALU_DEP_3) | instskip(NEXT) | instid1(VALU_DEP_2)
	v_fma_f32 v4, v193, v133, -v4
	v_add_f32_e32 v2, v2, v75
	s_delay_alu instid0(VALU_DEP_1) | instskip(SKIP_1) | instid1(VALU_DEP_1)
	v_add_f32_e32 v2, v2, v4
	s_wait_loadcnt 0x0
	v_dual_add_f32 v4, v1, v223 :: v_dual_sub_f32 v1, v195, v2
	s_delay_alu instid0(VALU_DEP_1)
	v_sub_f32_e32 v2, v196, v4
	scratch_store_b64 off, v[1:2], off offset:32
	v_cmpx_lt_u32_e32 3, v0
	s_cbranch_execz .LBB34_217
; %bb.216:
	scratch_load_b64 v[1:2], off, off offset:24
	v_mov_b32_e32 v75, 0
	s_delay_alu instid0(VALU_DEP_1)
	v_mov_b32_e32 v76, v75
	scratch_store_b64 off, v[75:76], off offset:24
	s_wait_loadcnt 0x0
	ds_store_b64 v3, v[1:2]
.LBB34_217:
	s_wait_alu 0xfffe
	s_or_b32 exec_lo, exec_lo, s0
	s_wait_storecnt_dscnt 0x0
	s_barrier_signal -1
	s_barrier_wait -1
	global_inv scope:SCOPE_SE
	s_clause 0x10
	scratch_load_b128 v[75:78], off, off offset:32
	scratch_load_b128 v[79:82], off, off offset:48
	;; [unrolled: 1-line block ×15, first 2 shown]
	scratch_load_b64 v[195:196], off, off offset:272
	scratch_load_b64 v[197:198], off, off offset:24
	v_mov_b32_e32 v1, 0
	ds_load_b128 v[135:138], v1 offset:320
	ds_load_b128 v[139:142], v1 offset:336
	;; [unrolled: 1-line block ×15, first 2 shown]
	ds_load_b64 v[199:200], v1 offset:560
	s_mov_b32 s0, exec_lo
	s_wait_loadcnt_dscnt 0x100f
	v_mul_f32_e32 v2, v135, v76
	v_mul_f32_e32 v76, v136, v76
	s_wait_loadcnt_dscnt 0xf0e
	v_dual_mul_f32 v4, v137, v78 :: v_dual_mul_f32 v201, v139, v80
	v_mul_f32_e32 v78, v138, v78
	s_wait_loadcnt_dscnt 0xe0d
	v_dual_mul_f32 v202, v141, v82 :: v_dual_mul_f32 v203, v143, v84
	v_fma_f32 v76, v135, v75, -v76
	v_fmac_f32_e32 v2, v136, v75
	v_dual_mul_f32 v75, v140, v80 :: v_dual_fmac_f32 v4, v138, v77
	v_fmac_f32_e32 v201, v140, v79
	v_fma_f32 v77, v137, v77, -v78
	v_dual_add_f32 v76, 0, v76 :: v_dual_fmac_f32 v203, v144, v83
	v_mul_f32_e32 v78, v142, v82
	v_fma_f32 v75, v139, v79, -v75
	s_wait_loadcnt_dscnt 0xd0c
	v_dual_mul_f32 v204, v145, v86 :: v_dual_mul_f32 v205, v147, v88
	v_add_f32_e32 v76, v76, v77
	v_add_f32_e32 v2, 0, v2
	v_fma_f32 v77, v141, v81, -v78
	s_wait_loadcnt_dscnt 0xb0a
	v_dual_mul_f32 v208, v153, v94 :: v_dual_mul_f32 v209, v155, v96
	s_delay_alu instid0(VALU_DEP_3) | instskip(SKIP_2) | instid1(VALU_DEP_4)
	v_dual_add_f32 v75, v76, v75 :: v_dual_add_f32 v2, v2, v4
	v_fmac_f32_e32 v205, v148, v87
	v_mul_f32_e32 v4, v144, v84
	v_dual_mul_f32 v76, v146, v86 :: v_dual_fmac_f32 v209, v156, v95
	s_delay_alu instid0(VALU_DEP_4) | instskip(SKIP_1) | instid1(VALU_DEP_4)
	v_add_f32_e32 v75, v75, v77
	v_mul_f32_e32 v77, v148, v88
	v_fma_f32 v4, v143, v83, -v4
	s_delay_alu instid0(VALU_DEP_4) | instskip(SKIP_2) | instid1(VALU_DEP_4)
	v_fma_f32 v76, v145, v85, -v76
	v_add_f32_e32 v2, v2, v201
	v_dual_mul_f32 v206, v149, v90 :: v_dual_mul_f32 v207, v151, v92
	v_dual_add_f32 v4, v75, v4 :: v_dual_mul_f32 v75, v150, v90
	v_fma_f32 v77, v147, v87, -v77
	s_wait_loadcnt_dscnt 0x504
	v_dual_mul_f32 v220, v177, v118 :: v_dual_mul_f32 v221, v179, v120
	s_delay_alu instid0(VALU_DEP_3) | instskip(SKIP_3) | instid1(VALU_DEP_4)
	v_add_f32_e32 v4, v4, v76
	v_mul_f32_e32 v76, v152, v92
	v_fma_f32 v75, v149, v89, -v75
	v_dual_fmac_f32 v202, v142, v81 :: v_dual_fmac_f32 v207, v152, v91
	v_dual_add_f32 v4, v4, v77 :: v_dual_mul_f32 v77, v154, v94
	s_delay_alu instid0(VALU_DEP_4) | instskip(SKIP_1) | instid1(VALU_DEP_3)
	v_fma_f32 v76, v151, v91, -v76
	v_dual_fmac_f32 v221, v180, v119 :: v_dual_mul_f32 v210, v157, v98
	v_dual_mul_f32 v211, v159, v100 :: v_dual_add_f32 v4, v4, v75
	v_mul_f32_e32 v75, v156, v96
	v_fma_f32 v77, v153, v93, -v77
	v_add_f32_e32 v2, v2, v202
	s_delay_alu instid0(VALU_DEP_4) | instskip(SKIP_4) | instid1(VALU_DEP_4)
	v_dual_fmac_f32 v204, v146, v85 :: v_dual_fmac_f32 v211, v160, v99
	v_add_f32_e32 v4, v4, v76
	v_mul_f32_e32 v76, v158, v98
	v_fma_f32 v75, v155, v95, -v75
	v_dual_mul_f32 v212, v161, v102 :: v_dual_mul_f32 v213, v163, v104
	v_add_f32_e32 v4, v4, v77
	v_mul_f32_e32 v77, v160, v100
	v_fma_f32 v76, v157, v97, -v76
	v_add_f32_e32 v2, v2, v203
	v_dual_mul_f32 v214, v165, v106 :: v_dual_mul_f32 v215, v167, v108
	v_dual_add_f32 v4, v4, v75 :: v_dual_mul_f32 v75, v162, v102
	v_fma_f32 v77, v159, v99, -v77
	v_dual_fmac_f32 v213, v164, v103 :: v_dual_fmac_f32 v206, v150, v89
	s_delay_alu instid0(VALU_DEP_4) | instskip(NEXT) | instid1(VALU_DEP_4)
	v_fmac_f32_e32 v215, v168, v107
	v_add_f32_e32 v4, v4, v76
	v_mul_f32_e32 v76, v164, v104
	v_fma_f32 v75, v161, v101, -v75
	v_dual_mul_f32 v216, v169, v110 :: v_dual_mul_f32 v217, v171, v112
	s_delay_alu instid0(VALU_DEP_4) | instskip(NEXT) | instid1(VALU_DEP_4)
	v_dual_add_f32 v4, v4, v77 :: v_dual_mul_f32 v77, v166, v106
	v_fma_f32 v76, v163, v103, -v76
	s_delay_alu instid0(VALU_DEP_3) | instskip(NEXT) | instid1(VALU_DEP_3)
	v_dual_fmac_f32 v210, v158, v97 :: v_dual_fmac_f32 v217, v172, v111
	v_add_f32_e32 v4, v4, v75
	v_mul_f32_e32 v75, v168, v108
	v_fma_f32 v77, v165, v105, -v77
	v_add_f32_e32 v2, v2, v204
	v_dual_mul_f32 v218, v173, v114 :: v_dual_mul_f32 v219, v175, v116
	v_add_f32_e32 v4, v4, v76
	v_mul_f32_e32 v76, v170, v110
	v_fma_f32 v75, v167, v107, -v75
	v_add_f32_e32 v2, v2, v205
	v_dual_fmac_f32 v208, v154, v93 :: v_dual_fmac_f32 v219, v176, v115
	v_add_f32_e32 v4, v4, v77
	v_mul_f32_e32 v77, v172, v112
	v_fma_f32 v76, v169, v109, -v76
	v_add_f32_e32 v2, v2, v206
	s_wait_loadcnt_dscnt 0x403
	v_dual_mul_f32 v222, v181, v122 :: v_dual_mul_f32 v223, v183, v124
	v_dual_add_f32 v4, v4, v75 :: v_dual_mul_f32 v75, v174, v114
	v_fma_f32 v77, v171, v111, -v77
	v_add_f32_e32 v2, v2, v207
	s_wait_loadcnt_dscnt 0x302
	v_dual_mul_f32 v224, v185, v126 :: v_dual_mul_f32 v225, v187, v128
	v_add_f32_e32 v4, v4, v76
	v_mul_f32_e32 v76, v176, v116
	v_fma_f32 v75, v173, v113, -v75
	v_fmac_f32_e32 v223, v184, v123
	v_fmac_f32_e32 v225, v188, v127
	v_dual_add_f32 v4, v4, v77 :: v_dual_mul_f32 v77, v178, v118
	v_fma_f32 v76, v175, v115, -v76
	s_wait_loadcnt_dscnt 0x201
	v_dual_mul_f32 v226, v189, v130 :: v_dual_mul_f32 v227, v191, v132
	s_delay_alu instid0(VALU_DEP_3)
	v_add_f32_e32 v4, v4, v75
	v_mul_f32_e32 v75, v180, v120
	v_fma_f32 v77, v177, v117, -v77
	v_add_f32_e32 v2, v2, v208
	v_dual_fmac_f32 v212, v162, v101 :: v_dual_fmac_f32 v227, v192, v131
	v_add_f32_e32 v4, v4, v76
	v_mul_f32_e32 v76, v182, v122
	v_fma_f32 v75, v179, v119, -v75
	v_add_f32_e32 v2, v2, v209
	s_wait_loadcnt_dscnt 0x100
	v_dual_mul_f32 v228, v193, v134 :: v_dual_mul_f32 v229, v199, v196
	v_add_f32_e32 v4, v4, v77
	v_mul_f32_e32 v77, v184, v124
	v_fma_f32 v76, v181, v121, -v76
	v_add_f32_e32 v2, v2, v210
	v_fmac_f32_e32 v216, v170, v109
	v_dual_add_f32 v4, v4, v75 :: v_dual_mul_f32 v75, v186, v126
	v_fma_f32 v77, v183, v123, -v77
	v_dual_fmac_f32 v218, v174, v113 :: v_dual_fmac_f32 v229, v200, v195
	s_delay_alu instid0(VALU_DEP_3)
	v_add_f32_e32 v4, v4, v76
	v_mul_f32_e32 v76, v188, v128
	v_fma_f32 v75, v185, v125, -v75
	v_fmac_f32_e32 v220, v178, v117
	v_fmac_f32_e32 v222, v182, v121
	v_dual_add_f32 v4, v4, v77 :: v_dual_mul_f32 v77, v190, v130
	v_fma_f32 v76, v187, v127, -v76
	v_fmac_f32_e32 v224, v186, v125
	v_fmac_f32_e32 v226, v190, v129
	s_delay_alu instid0(VALU_DEP_4)
	v_add_f32_e32 v4, v4, v75
	v_mul_f32_e32 v75, v192, v132
	v_fma_f32 v77, v189, v129, -v77
	v_add_f32_e32 v2, v2, v211
	v_fmac_f32_e32 v228, v194, v133
	v_add_f32_e32 v4, v4, v76
	v_mul_f32_e32 v76, v194, v134
	v_fma_f32 v75, v191, v131, -v75
	s_delay_alu instid0(VALU_DEP_3) | instskip(SKIP_1) | instid1(VALU_DEP_4)
	v_add_f32_e32 v4, v4, v77
	v_mul_f32_e32 v77, v200, v196
	v_fma_f32 v76, v193, v133, -v76
	v_add_f32_e32 v2, v2, v212
	s_delay_alu instid0(VALU_DEP_4) | instskip(NEXT) | instid1(VALU_DEP_4)
	v_add_f32_e32 v4, v4, v75
	v_fma_f32 v75, v199, v195, -v77
	s_delay_alu instid0(VALU_DEP_3) | instskip(NEXT) | instid1(VALU_DEP_3)
	v_add_f32_e32 v2, v2, v213
	v_add_f32_e32 v4, v4, v76
	s_delay_alu instid0(VALU_DEP_1) | instskip(SKIP_1) | instid1(VALU_DEP_1)
	v_add_f32_e32 v4, v4, v75
	s_wait_loadcnt 0x0
	v_dual_fmac_f32 v214, v166, v105 :: v_dual_sub_f32 v75, v197, v4
	s_delay_alu instid0(VALU_DEP_1) | instskip(NEXT) | instid1(VALU_DEP_1)
	v_add_f32_e32 v2, v2, v214
	v_add_f32_e32 v2, v2, v215
	s_delay_alu instid0(VALU_DEP_1) | instskip(NEXT) | instid1(VALU_DEP_1)
	v_add_f32_e32 v2, v2, v216
	v_add_f32_e32 v2, v2, v217
	;; [unrolled: 3-line block ×8, first 2 shown]
	s_delay_alu instid0(VALU_DEP_1)
	v_sub_f32_e32 v76, v198, v2
	scratch_store_b64 off, v[75:76], off offset:24
	v_cmpx_lt_u32_e32 2, v0
	s_cbranch_execz .LBB34_219
; %bb.218:
	scratch_load_b64 v[75:76], off, off offset:16
	v_mov_b32_e32 v2, v1
	scratch_store_b64 off, v[1:2], off offset:16
	s_wait_loadcnt 0x0
	ds_store_b64 v3, v[75:76]
.LBB34_219:
	s_wait_alu 0xfffe
	s_or_b32 exec_lo, exec_lo, s0
	s_wait_storecnt_dscnt 0x0
	s_barrier_signal -1
	s_barrier_wait -1
	global_inv scope:SCOPE_SE
	s_clause 0x10
	scratch_load_b128 v[75:78], off, off offset:24
	scratch_load_b128 v[79:82], off, off offset:40
	;; [unrolled: 1-line block ×16, first 2 shown]
	scratch_load_b64 v[203:204], off, off offset:16
	ds_load_2addr_b64 v[139:142], v1 offset0:39 offset1:40
	ds_load_2addr_b64 v[143:146], v1 offset0:41 offset1:42
	;; [unrolled: 1-line block ×16, first 2 shown]
	s_mov_b32 s0, exec_lo
	s_wait_loadcnt_dscnt 0x100f
	v_dual_mul_f32 v1, v139, v76 :: v_dual_mul_f32 v2, v141, v78
	v_mul_f32_e32 v76, v140, v76
	v_mul_f32_e32 v78, v142, v78
	s_wait_loadcnt_dscnt 0xe0d
	v_dual_mul_f32 v206, v147, v84 :: v_dual_mul_f32 v207, v149, v86
	v_dual_mul_f32 v4, v143, v80 :: v_dual_mul_f32 v205, v145, v82
	s_wait_loadcnt_dscnt 0xd0c
	v_dual_mul_f32 v208, v151, v88 :: v_dual_mul_f32 v209, v153, v90
	s_delay_alu instid0(VALU_DEP_3)
	v_fmac_f32_e32 v206, v148, v83
	s_wait_loadcnt_dscnt 0xc0b
	v_dual_fmac_f32 v1, v140, v75 :: v_dual_mul_f32 v210, v155, v92
	v_mul_f32_e32 v211, v157, v94
	s_wait_loadcnt_dscnt 0x100
	v_dual_fmac_f32 v209, v154, v89 :: v_dual_mul_f32 v232, v199, v136
	v_mul_f32_e32 v233, v201, v138
	v_fma_f32 v76, v139, v75, -v76
	v_mul_f32_e32 v75, v144, v80
	v_dual_add_f32 v1, 0, v1 :: v_dual_fmac_f32 v210, v156, v91
	v_dual_mul_f32 v212, v159, v96 :: v_dual_mul_f32 v213, v161, v98
	s_delay_alu instid0(VALU_DEP_4) | instskip(NEXT) | instid1(VALU_DEP_4)
	v_add_f32_e32 v76, 0, v76
	v_fma_f32 v75, v143, v79, -v75
	v_fmac_f32_e32 v2, v142, v77
	v_fma_f32 v77, v141, v77, -v78
	v_fmac_f32_e32 v205, v146, v81
	v_dual_fmac_f32 v207, v150, v85 :: v_dual_fmac_f32 v212, v160, v95
	v_fmac_f32_e32 v213, v162, v97
	s_delay_alu instid0(VALU_DEP_4) | instskip(SKIP_2) | instid1(VALU_DEP_3)
	v_add_f32_e32 v76, v76, v77
	v_dual_mul_f32 v214, v163, v100 :: v_dual_mul_f32 v215, v165, v102
	v_dual_mul_f32 v216, v167, v104 :: v_dual_mul_f32 v217, v169, v106
	v_add_f32_e32 v75, v76, v75
	v_dual_fmac_f32 v4, v144, v79 :: v_dual_add_f32 v1, v1, v2
	v_mul_f32_e32 v78, v146, v82
	v_mul_f32_e32 v2, v148, v84
	;; [unrolled: 1-line block ×3, first 2 shown]
	s_delay_alu instid0(VALU_DEP_4) | instskip(NEXT) | instid1(VALU_DEP_4)
	v_dual_fmac_f32 v208, v152, v87 :: v_dual_add_f32 v1, v1, v4
	v_fma_f32 v77, v145, v81, -v78
	v_mul_f32_e32 v4, v150, v86
	v_fma_f32 v2, v147, v83, -v2
	v_fma_f32 v76, v151, v87, -v76
	v_add_f32_e32 v1, v1, v205
	v_add_f32_e32 v75, v75, v77
	v_fma_f32 v4, v149, v85, -v4
	v_dual_fmac_f32 v211, v158, v93 :: v_dual_fmac_f32 v214, v164, v99
	v_fmac_f32_e32 v215, v166, v101
	v_add_f32_e32 v1, v1, v206
	v_add_f32_e32 v2, v75, v2
	v_dual_mul_f32 v75, v154, v90 :: v_dual_mul_f32 v218, v171, v108
	v_mul_f32_e32 v219, v173, v110
	s_delay_alu instid0(VALU_DEP_4) | instskip(SKIP_1) | instid1(VALU_DEP_4)
	v_add_f32_e32 v1, v1, v207
	v_fmac_f32_e32 v216, v168, v103
	v_fma_f32 v75, v153, v89, -v75
	s_delay_alu instid0(VALU_DEP_4) | instskip(NEXT) | instid1(VALU_DEP_4)
	v_dual_fmac_f32 v218, v172, v107 :: v_dual_fmac_f32 v219, v174, v109
	v_add_f32_e32 v1, v1, v208
	v_add_f32_e32 v2, v2, v4
	v_mul_f32_e32 v4, v156, v92
	v_dual_mul_f32 v220, v175, v112 :: v_dual_mul_f32 v221, v177, v114
	s_delay_alu instid0(VALU_DEP_3) | instskip(NEXT) | instid1(VALU_DEP_3)
	v_dual_add_f32 v1, v1, v209 :: v_dual_add_f32 v2, v2, v76
	v_fma_f32 v4, v155, v91, -v4
	v_mul_f32_e32 v76, v158, v94
	s_delay_alu instid0(VALU_DEP_4) | instskip(NEXT) | instid1(VALU_DEP_4)
	v_dual_fmac_f32 v220, v176, v111 :: v_dual_fmac_f32 v221, v178, v113
	v_dual_add_f32 v1, v1, v210 :: v_dual_add_f32 v2, v2, v75
	v_mul_f32_e32 v75, v160, v96
	s_delay_alu instid0(VALU_DEP_4) | instskip(SKIP_1) | instid1(VALU_DEP_4)
	v_fma_f32 v76, v157, v93, -v76
	v_dual_mul_f32 v222, v179, v116 :: v_dual_mul_f32 v223, v181, v118
	v_dual_add_f32 v2, v2, v4 :: v_dual_add_f32 v1, v1, v211
	v_mul_f32_e32 v4, v162, v98
	v_fma_f32 v75, v159, v95, -v75
	v_dual_fmac_f32 v217, v170, v105 :: v_dual_mul_f32 v224, v183, v120
	v_mul_f32_e32 v225, v185, v122
	v_add_f32_e32 v1, v1, v212
	v_add_f32_e32 v2, v2, v76
	v_fma_f32 v4, v161, v97, -v4
	v_mul_f32_e32 v76, v164, v100
	v_dual_fmac_f32 v222, v180, v115 :: v_dual_fmac_f32 v225, v186, v121
	s_delay_alu instid0(VALU_DEP_4) | instskip(SKIP_1) | instid1(VALU_DEP_4)
	v_dual_add_f32 v1, v1, v213 :: v_dual_add_f32 v2, v2, v75
	v_mul_f32_e32 v75, v166, v102
	v_fma_f32 v76, v163, v99, -v76
	s_delay_alu instid0(VALU_DEP_3) | instskip(NEXT) | instid1(VALU_DEP_4)
	v_dual_fmac_f32 v224, v184, v119 :: v_dual_add_f32 v1, v1, v214
	v_add_f32_e32 v2, v2, v4
	v_mul_f32_e32 v4, v168, v104
	v_fma_f32 v75, v165, v101, -v75
	v_dual_mul_f32 v226, v187, v124 :: v_dual_mul_f32 v227, v189, v126
	v_add_f32_e32 v1, v1, v215
	s_delay_alu instid0(VALU_DEP_4) | instskip(SKIP_1) | instid1(VALU_DEP_4)
	v_fma_f32 v4, v167, v103, -v4
	v_dual_mul_f32 v228, v191, v128 :: v_dual_mul_f32 v229, v193, v130
	v_fmac_f32_e32 v227, v190, v125
	s_delay_alu instid0(VALU_DEP_4) | instskip(SKIP_4) | instid1(VALU_DEP_4)
	v_add_f32_e32 v1, v1, v216
	v_add_f32_e32 v2, v2, v76
	v_mul_f32_e32 v76, v170, v106
	v_dual_fmac_f32 v223, v182, v117 :: v_dual_mul_f32 v230, v195, v132
	v_mul_f32_e32 v231, v197, v134
	v_dual_add_f32 v1, v1, v217 :: v_dual_add_f32 v2, v2, v75
	v_mul_f32_e32 v75, v172, v108
	v_fma_f32 v76, v169, v105, -v76
	s_delay_alu instid0(VALU_DEP_3) | instskip(NEXT) | instid1(VALU_DEP_4)
	v_dual_fmac_f32 v228, v192, v127 :: v_dual_add_f32 v1, v1, v218
	v_add_f32_e32 v2, v2, v4
	v_mul_f32_e32 v4, v174, v110
	v_fma_f32 v75, v171, v107, -v75
	v_dual_fmac_f32 v229, v194, v129 :: v_dual_fmac_f32 v230, v196, v131
	v_add_f32_e32 v1, v1, v219
	s_delay_alu instid0(VALU_DEP_4) | instskip(SKIP_2) | instid1(VALU_DEP_4)
	v_fma_f32 v4, v173, v109, -v4
	v_fmac_f32_e32 v232, v200, v135
	v_dual_fmac_f32 v226, v188, v123 :: v_dual_fmac_f32 v231, v198, v133
	v_add_f32_e32 v1, v1, v220
	v_add_f32_e32 v2, v2, v76
	v_dual_mul_f32 v76, v176, v112 :: v_dual_fmac_f32 v233, v202, v137
	s_delay_alu instid0(VALU_DEP_2) | instskip(SKIP_1) | instid1(VALU_DEP_3)
	v_dual_add_f32 v1, v1, v221 :: v_dual_add_f32 v2, v2, v75
	v_mul_f32_e32 v75, v178, v114
	v_fma_f32 v76, v175, v111, -v76
	s_delay_alu instid0(VALU_DEP_3) | instskip(SKIP_1) | instid1(VALU_DEP_4)
	v_dual_add_f32 v1, v1, v222 :: v_dual_add_f32 v2, v2, v4
	v_mul_f32_e32 v4, v180, v116
	v_fma_f32 v75, v177, v113, -v75
	s_delay_alu instid0(VALU_DEP_3) | instskip(NEXT) | instid1(VALU_DEP_3)
	v_add_f32_e32 v1, v1, v223
	v_fma_f32 v4, v179, v115, -v4
	s_delay_alu instid0(VALU_DEP_2) | instskip(SKIP_1) | instid1(VALU_DEP_2)
	v_add_f32_e32 v1, v1, v224
	v_add_f32_e32 v2, v2, v76
	v_dual_mul_f32 v76, v182, v118 :: v_dual_add_f32 v1, v1, v225
	s_delay_alu instid0(VALU_DEP_2) | instskip(NEXT) | instid1(VALU_DEP_2)
	v_dual_add_f32 v2, v2, v75 :: v_dual_mul_f32 v75, v184, v120
	v_fma_f32 v76, v181, v117, -v76
	s_delay_alu instid0(VALU_DEP_2) | instskip(SKIP_1) | instid1(VALU_DEP_4)
	v_dual_add_f32 v1, v1, v226 :: v_dual_add_f32 v2, v2, v4
	v_mul_f32_e32 v4, v186, v122
	v_fma_f32 v75, v183, v119, -v75
	s_delay_alu instid0(VALU_DEP_3) | instskip(NEXT) | instid1(VALU_DEP_3)
	v_add_f32_e32 v1, v1, v227
	v_fma_f32 v4, v185, v121, -v4
	s_delay_alu instid0(VALU_DEP_2) | instskip(SKIP_1) | instid1(VALU_DEP_2)
	v_add_f32_e32 v1, v1, v228
	v_add_f32_e32 v2, v2, v76
	v_dual_mul_f32 v76, v188, v124 :: v_dual_add_f32 v1, v1, v229
	s_delay_alu instid0(VALU_DEP_2) | instskip(SKIP_1) | instid1(VALU_DEP_3)
	v_add_f32_e32 v2, v2, v75
	v_mul_f32_e32 v75, v190, v126
	v_fma_f32 v76, v187, v123, -v76
	s_delay_alu instid0(VALU_DEP_3) | instskip(SKIP_1) | instid1(VALU_DEP_4)
	v_dual_add_f32 v1, v1, v230 :: v_dual_add_f32 v2, v2, v4
	v_mul_f32_e32 v4, v192, v128
	v_fma_f32 v75, v189, v125, -v75
	s_delay_alu instid0(VALU_DEP_3) | instskip(SKIP_1) | instid1(VALU_DEP_4)
	v_dual_add_f32 v1, v1, v231 :: v_dual_add_f32 v2, v2, v76
	v_mul_f32_e32 v76, v194, v130
	v_fma_f32 v4, v191, v127, -v4
	s_delay_alu instid0(VALU_DEP_3) | instskip(SKIP_1) | instid1(VALU_DEP_4)
	v_dual_add_f32 v1, v1, v232 :: v_dual_add_f32 v2, v2, v75
	v_mul_f32_e32 v75, v196, v132
	v_fma_f32 v76, v193, v129, -v76
	s_delay_alu instid0(VALU_DEP_3) | instskip(SKIP_1) | instid1(VALU_DEP_4)
	v_add_f32_e32 v2, v2, v4
	v_mul_f32_e32 v4, v198, v134
	v_fma_f32 v75, v195, v131, -v75
	s_delay_alu instid0(VALU_DEP_3) | instskip(SKIP_1) | instid1(VALU_DEP_4)
	v_add_f32_e32 v2, v2, v76
	;; [unrolled: 4-line block ×3, first 2 shown]
	v_mul_f32_e32 v75, v202, v138
	v_fma_f32 v76, v199, v135, -v76
	s_delay_alu instid0(VALU_DEP_3) | instskip(NEXT) | instid1(VALU_DEP_3)
	v_add_f32_e32 v2, v2, v4
	v_fma_f32 v4, v201, v137, -v75
	s_delay_alu instid0(VALU_DEP_2) | instskip(NEXT) | instid1(VALU_DEP_1)
	v_add_f32_e32 v2, v2, v76
	v_add_f32_e32 v2, v2, v4
	s_wait_loadcnt 0x0
	s_delay_alu instid0(VALU_DEP_1) | instskip(NEXT) | instid1(VALU_DEP_1)
	v_dual_add_f32 v4, v1, v233 :: v_dual_sub_f32 v1, v203, v2
	v_sub_f32_e32 v2, v204, v4
	scratch_store_b64 off, v[1:2], off offset:16
	v_cmpx_lt_u32_e32 1, v0
	s_cbranch_execz .LBB34_221
; %bb.220:
	scratch_load_b64 v[1:2], off, off offset:8
	v_mov_b32_e32 v75, 0
	s_delay_alu instid0(VALU_DEP_1)
	v_mov_b32_e32 v76, v75
	scratch_store_b64 off, v[75:76], off offset:8
	s_wait_loadcnt 0x0
	ds_store_b64 v3, v[1:2]
.LBB34_221:
	s_wait_alu 0xfffe
	s_or_b32 exec_lo, exec_lo, s0
	s_wait_storecnt_dscnt 0x0
	s_barrier_signal -1
	s_barrier_wait -1
	global_inv scope:SCOPE_SE
	s_clause 0x11
	scratch_load_b128 v[75:78], off, off offset:16
	scratch_load_b128 v[79:82], off, off offset:32
	;; [unrolled: 1-line block ×16, first 2 shown]
	scratch_load_b64 v[203:204], off, off offset:272
	scratch_load_b64 v[205:206], off, off offset:8
	v_mov_b32_e32 v1, 0
	ds_load_b128 v[139:142], v1 offset:304
	ds_load_b128 v[143:146], v1 offset:320
	;; [unrolled: 1-line block ×16, first 2 shown]
	ds_load_b64 v[207:208], v1 offset:560
	s_mov_b32 s0, exec_lo
	s_wait_loadcnt_dscnt 0x1110
	v_mul_f32_e32 v2, v139, v76
	v_mul_f32_e32 v76, v140, v76
	s_wait_loadcnt_dscnt 0x100f
	v_dual_mul_f32 v4, v141, v78 :: v_dual_mul_f32 v209, v143, v80
	v_mul_f32_e32 v78, v142, v78
	s_wait_loadcnt_dscnt 0xf0e
	v_dual_mul_f32 v210, v145, v82 :: v_dual_mul_f32 v211, v147, v84
	v_fma_f32 v76, v139, v75, -v76
	v_fmac_f32_e32 v2, v140, v75
	v_dual_mul_f32 v75, v144, v80 :: v_dual_fmac_f32 v4, v142, v77
	v_fmac_f32_e32 v209, v144, v79
	v_fma_f32 v77, v141, v77, -v78
	v_dual_add_f32 v76, 0, v76 :: v_dual_fmac_f32 v211, v148, v83
	v_mul_f32_e32 v78, v146, v82
	v_fma_f32 v75, v143, v79, -v75
	s_wait_loadcnt_dscnt 0xe0d
	v_dual_mul_f32 v212, v149, v86 :: v_dual_mul_f32 v213, v151, v88
	v_add_f32_e32 v76, v76, v77
	v_add_f32_e32 v2, 0, v2
	v_fma_f32 v77, v145, v81, -v78
	s_wait_loadcnt_dscnt 0xc0b
	v_dual_mul_f32 v216, v157, v94 :: v_dual_mul_f32 v217, v159, v96
	s_delay_alu instid0(VALU_DEP_3) | instskip(SKIP_2) | instid1(VALU_DEP_4)
	v_dual_add_f32 v75, v76, v75 :: v_dual_add_f32 v2, v2, v4
	v_fmac_f32_e32 v213, v152, v87
	v_mul_f32_e32 v4, v148, v84
	v_dual_mul_f32 v76, v150, v86 :: v_dual_fmac_f32 v217, v160, v95
	s_delay_alu instid0(VALU_DEP_4) | instskip(SKIP_1) | instid1(VALU_DEP_4)
	v_add_f32_e32 v75, v75, v77
	v_mul_f32_e32 v77, v152, v88
	v_fma_f32 v4, v147, v83, -v4
	s_delay_alu instid0(VALU_DEP_4) | instskip(SKIP_2) | instid1(VALU_DEP_4)
	v_fma_f32 v76, v149, v85, -v76
	v_add_f32_e32 v2, v2, v209
	v_dual_mul_f32 v214, v153, v90 :: v_dual_mul_f32 v215, v155, v92
	v_dual_add_f32 v4, v75, v4 :: v_dual_mul_f32 v75, v154, v90
	v_fma_f32 v77, v151, v87, -v77
	s_wait_loadcnt_dscnt 0x605
	v_dual_mul_f32 v228, v181, v118 :: v_dual_mul_f32 v229, v183, v120
	s_delay_alu instid0(VALU_DEP_3) | instskip(SKIP_3) | instid1(VALU_DEP_4)
	v_add_f32_e32 v4, v4, v76
	v_mul_f32_e32 v76, v156, v92
	v_fma_f32 v75, v153, v89, -v75
	v_dual_fmac_f32 v210, v146, v81 :: v_dual_fmac_f32 v215, v156, v91
	v_dual_add_f32 v4, v4, v77 :: v_dual_mul_f32 v77, v158, v94
	s_delay_alu instid0(VALU_DEP_4) | instskip(SKIP_1) | instid1(VALU_DEP_3)
	v_fma_f32 v76, v155, v91, -v76
	v_dual_fmac_f32 v229, v184, v119 :: v_dual_mul_f32 v218, v161, v98
	v_dual_mul_f32 v219, v163, v100 :: v_dual_add_f32 v4, v4, v75
	v_mul_f32_e32 v75, v160, v96
	v_fma_f32 v77, v157, v93, -v77
	v_add_f32_e32 v2, v2, v210
	s_delay_alu instid0(VALU_DEP_4) | instskip(SKIP_4) | instid1(VALU_DEP_4)
	v_dual_fmac_f32 v212, v150, v85 :: v_dual_fmac_f32 v219, v164, v99
	v_add_f32_e32 v4, v4, v76
	v_mul_f32_e32 v76, v162, v98
	v_fma_f32 v75, v159, v95, -v75
	v_dual_mul_f32 v220, v165, v102 :: v_dual_mul_f32 v221, v167, v104
	v_add_f32_e32 v4, v4, v77
	v_mul_f32_e32 v77, v164, v100
	v_fma_f32 v76, v161, v97, -v76
	v_add_f32_e32 v2, v2, v211
	v_dual_mul_f32 v222, v169, v106 :: v_dual_mul_f32 v223, v171, v108
	v_dual_add_f32 v4, v4, v75 :: v_dual_mul_f32 v75, v166, v102
	v_fma_f32 v77, v163, v99, -v77
	v_dual_fmac_f32 v221, v168, v103 :: v_dual_fmac_f32 v214, v154, v89
	s_delay_alu instid0(VALU_DEP_4) | instskip(NEXT) | instid1(VALU_DEP_4)
	v_fmac_f32_e32 v223, v172, v107
	v_add_f32_e32 v4, v4, v76
	v_mul_f32_e32 v76, v168, v104
	v_fma_f32 v75, v165, v101, -v75
	v_dual_mul_f32 v224, v173, v110 :: v_dual_mul_f32 v225, v175, v112
	s_delay_alu instid0(VALU_DEP_4) | instskip(NEXT) | instid1(VALU_DEP_4)
	v_dual_add_f32 v4, v4, v77 :: v_dual_mul_f32 v77, v170, v106
	v_fma_f32 v76, v167, v103, -v76
	s_delay_alu instid0(VALU_DEP_3) | instskip(NEXT) | instid1(VALU_DEP_3)
	v_dual_fmac_f32 v218, v162, v97 :: v_dual_fmac_f32 v225, v176, v111
	v_add_f32_e32 v4, v4, v75
	v_mul_f32_e32 v75, v172, v108
	v_fma_f32 v77, v169, v105, -v77
	v_add_f32_e32 v2, v2, v212
	v_dual_mul_f32 v226, v177, v114 :: v_dual_mul_f32 v227, v179, v116
	v_add_f32_e32 v4, v4, v76
	v_mul_f32_e32 v76, v174, v110
	v_fma_f32 v75, v171, v107, -v75
	v_add_f32_e32 v2, v2, v213
	v_dual_fmac_f32 v216, v158, v93 :: v_dual_fmac_f32 v227, v180, v115
	v_add_f32_e32 v4, v4, v77
	v_mul_f32_e32 v77, v176, v112
	v_fma_f32 v76, v173, v109, -v76
	v_add_f32_e32 v2, v2, v214
	s_wait_loadcnt_dscnt 0x504
	v_dual_mul_f32 v230, v185, v122 :: v_dual_mul_f32 v231, v187, v124
	v_dual_add_f32 v4, v4, v75 :: v_dual_mul_f32 v75, v178, v114
	v_fma_f32 v77, v175, v111, -v77
	v_add_f32_e32 v2, v2, v215
	s_wait_loadcnt_dscnt 0x403
	v_dual_mul_f32 v232, v189, v126 :: v_dual_mul_f32 v233, v191, v128
	v_add_f32_e32 v4, v4, v76
	v_mul_f32_e32 v76, v180, v116
	v_fma_f32 v75, v177, v113, -v75
	v_fmac_f32_e32 v231, v188, v123
	v_fmac_f32_e32 v233, v192, v127
	v_dual_add_f32 v4, v4, v77 :: v_dual_mul_f32 v77, v182, v118
	v_fma_f32 v76, v179, v115, -v76
	s_wait_loadcnt_dscnt 0x302
	v_dual_mul_f32 v234, v193, v130 :: v_dual_mul_f32 v235, v195, v132
	s_delay_alu instid0(VALU_DEP_3)
	v_add_f32_e32 v4, v4, v75
	v_mul_f32_e32 v75, v184, v120
	v_fma_f32 v77, v181, v117, -v77
	v_add_f32_e32 v2, v2, v216
	v_dual_fmac_f32 v220, v166, v101 :: v_dual_fmac_f32 v235, v196, v131
	v_add_f32_e32 v4, v4, v76
	v_mul_f32_e32 v76, v186, v122
	v_fma_f32 v75, v183, v119, -v75
	v_add_f32_e32 v2, v2, v217
	s_wait_loadcnt_dscnt 0x201
	v_dual_mul_f32 v236, v197, v134 :: v_dual_mul_f32 v237, v199, v136
	v_add_f32_e32 v4, v4, v77
	v_mul_f32_e32 v77, v188, v124
	v_fma_f32 v76, v185, v121, -v76
	v_add_f32_e32 v2, v2, v218
	s_wait_loadcnt_dscnt 0x100
	v_dual_mul_f32 v238, v201, v138 :: v_dual_mul_f32 v239, v207, v204
	v_dual_add_f32 v4, v4, v75 :: v_dual_mul_f32 v75, v190, v126
	v_fma_f32 v77, v187, v123, -v77
	s_delay_alu instid0(VALU_DEP_3) | instskip(NEXT) | instid1(VALU_DEP_3)
	v_dual_fmac_f32 v222, v170, v105 :: v_dual_fmac_f32 v239, v208, v203
	v_add_f32_e32 v4, v4, v76
	v_mul_f32_e32 v76, v192, v128
	v_fma_f32 v75, v189, v125, -v75
	v_dual_fmac_f32 v237, v200, v135 :: v_dual_fmac_f32 v224, v174, v109
	s_delay_alu instid0(VALU_DEP_4) | instskip(NEXT) | instid1(VALU_DEP_4)
	v_dual_add_f32 v4, v4, v77 :: v_dual_mul_f32 v77, v194, v130
	v_fma_f32 v76, v191, v127, -v76
	v_fmac_f32_e32 v226, v178, v113
	v_fmac_f32_e32 v228, v182, v117
	s_delay_alu instid0(VALU_DEP_4)
	v_add_f32_e32 v4, v4, v75
	v_mul_f32_e32 v75, v196, v132
	v_fma_f32 v77, v193, v129, -v77
	v_add_f32_e32 v2, v2, v219
	v_fmac_f32_e32 v230, v186, v121
	v_add_f32_e32 v4, v4, v76
	v_mul_f32_e32 v76, v198, v134
	v_fma_f32 v75, v195, v131, -v75
	v_fmac_f32_e32 v232, v190, v125
	v_fmac_f32_e32 v234, v194, v129
	v_add_f32_e32 v4, v4, v77
	v_mul_f32_e32 v77, v200, v136
	v_fma_f32 v76, v197, v133, -v76
	v_add_f32_e32 v2, v2, v220
	v_fmac_f32_e32 v236, v198, v133
	v_dual_add_f32 v4, v4, v75 :: v_dual_mul_f32 v75, v202, v138
	v_fma_f32 v77, v199, v135, -v77
	v_fmac_f32_e32 v238, v202, v137
	s_delay_alu instid0(VALU_DEP_3) | instskip(SKIP_2) | instid1(VALU_DEP_3)
	v_add_f32_e32 v4, v4, v76
	v_mul_f32_e32 v76, v208, v204
	v_fma_f32 v75, v201, v137, -v75
	v_add_f32_e32 v4, v4, v77
	s_delay_alu instid0(VALU_DEP_3) | instskip(NEXT) | instid1(VALU_DEP_2)
	v_fma_f32 v76, v207, v203, -v76
	v_add_f32_e32 v4, v4, v75
	s_delay_alu instid0(VALU_DEP_1) | instskip(SKIP_1) | instid1(VALU_DEP_1)
	v_add_f32_e32 v4, v4, v76
	s_wait_loadcnt 0x0
	v_dual_add_f32 v2, v2, v221 :: v_dual_sub_f32 v75, v205, v4
	s_delay_alu instid0(VALU_DEP_1) | instskip(NEXT) | instid1(VALU_DEP_1)
	v_add_f32_e32 v2, v2, v222
	v_add_f32_e32 v2, v2, v223
	s_delay_alu instid0(VALU_DEP_1) | instskip(NEXT) | instid1(VALU_DEP_1)
	v_add_f32_e32 v2, v2, v224
	v_add_f32_e32 v2, v2, v225
	;; [unrolled: 3-line block ×9, first 2 shown]
	s_delay_alu instid0(VALU_DEP_1)
	v_sub_f32_e32 v76, v206, v2
	scratch_store_b64 off, v[75:76], off offset:8
	v_cmpx_ne_u32_e32 0, v0
	s_cbranch_execz .LBB34_223
; %bb.222:
	scratch_load_b64 v[75:76], off, off
	v_mov_b32_e32 v2, v1
	scratch_store_b64 off, v[1:2], off
	s_wait_loadcnt 0x0
	ds_store_b64 v3, v[75:76]
.LBB34_223:
	s_wait_alu 0xfffe
	s_or_b32 exec_lo, exec_lo, s0
	s_wait_storecnt_dscnt 0x0
	s_barrier_signal -1
	s_barrier_wait -1
	global_inv scope:SCOPE_SE
	s_clause 0x11
	scratch_load_b128 v[75:78], off, off offset:8
	scratch_load_b128 v[79:82], off, off offset:24
	scratch_load_b128 v[83:86], off, off offset:40
	scratch_load_b128 v[87:90], off, off offset:56
	scratch_load_b128 v[91:94], off, off offset:72
	scratch_load_b128 v[95:98], off, off offset:88
	scratch_load_b128 v[99:102], off, off offset:104
	scratch_load_b128 v[103:106], off, off offset:120
	scratch_load_b128 v[107:110], off, off offset:136
	scratch_load_b128 v[111:114], off, off offset:152
	scratch_load_b128 v[115:118], off, off offset:168
	scratch_load_b128 v[119:122], off, off offset:184
	scratch_load_b128 v[123:126], off, off offset:200
	scratch_load_b128 v[127:130], off, off offset:216
	scratch_load_b128 v[131:134], off, off offset:232
	scratch_load_b128 v[135:138], off, off offset:248
	scratch_load_b128 v[139:142], off, off offset:264
	scratch_load_b64 v[207:208], off, off
	ds_load_2addr_b64 v[143:146], v1 offset0:37 offset1:38
	ds_load_2addr_b64 v[147:150], v1 offset0:39 offset1:40
	;; [unrolled: 1-line block ×17, first 2 shown]
	s_and_b32 vcc_lo, exec_lo, s18
	s_wait_loadcnt_dscnt 0x1110
	v_dual_mul_f32 v4, v143, v76 :: v_dual_mul_f32 v209, v145, v78
	v_mul_f32_e32 v76, v144, v76
	v_mul_f32_e32 v78, v146, v78
	s_wait_loadcnt_dscnt 0x100f
	v_dual_mul_f32 v210, v147, v80 :: v_dual_mul_f32 v211, v149, v82
	v_fmac_f32_e32 v4, v144, v75
	s_wait_loadcnt_dscnt 0xd0c
	v_dual_mul_f32 v216, v159, v92 :: v_dual_mul_f32 v217, v161, v94
	v_dual_mul_f32 v212, v151, v84 :: v_dual_mul_f32 v213, v153, v86
	v_fmac_f32_e32 v211, v150, v81
	v_dual_fmac_f32 v209, v146, v77 :: v_dual_fmac_f32 v210, v148, v79
	v_dual_mul_f32 v214, v155, v88 :: v_dual_mul_f32 v215, v157, v90
	s_wait_loadcnt_dscnt 0x100
	v_dual_mul_f32 v240, v0, v140 :: v_dual_mul_f32 v241, v2, v142
	v_fma_f32 v76, v143, v75, -v76
	v_mul_f32_e32 v75, v148, v80
	v_fma_f32 v77, v145, v77, -v78
	v_mul_f32_e32 v78, v150, v82
	v_dual_mul_f32 v218, v163, v96 :: v_dual_mul_f32 v219, v165, v98
	s_delay_alu instid0(VALU_DEP_4) | instskip(SKIP_1) | instid1(VALU_DEP_4)
	v_fma_f32 v75, v147, v79, -v75
	v_fmac_f32_e32 v213, v154, v85
	v_fma_f32 v78, v149, v81, -v78
	v_add_f32_e32 v76, 0, v76
	v_dual_mul_f32 v224, v175, v108 :: v_dual_mul_f32 v225, v177, v110
	v_dual_mul_f32 v220, v167, v100 :: v_dual_mul_f32 v221, v169, v102
	s_delay_alu instid0(VALU_DEP_3)
	v_add_f32_e32 v76, v76, v77
	v_add_f32_e32 v4, 0, v4
	v_mul_f32_e32 v77, v152, v84
	v_dual_fmac_f32 v217, v162, v93 :: v_dual_mul_f32 v226, v179, v112
	v_mul_f32_e32 v227, v181, v114
	v_add_f32_e32 v75, v76, v75
	s_delay_alu instid0(VALU_DEP_4) | instskip(SKIP_2) | instid1(VALU_DEP_4)
	v_fma_f32 v77, v151, v83, -v77
	v_dual_mul_f32 v222, v171, v104 :: v_dual_mul_f32 v223, v173, v106
	v_fmac_f32_e32 v215, v158, v89
	v_add_f32_e32 v75, v75, v78
	v_mul_f32_e32 v76, v154, v86
	v_dual_mul_f32 v78, v156, v88 :: v_dual_fmac_f32 v219, v166, v97
	v_dual_fmac_f32 v218, v164, v95 :: v_dual_fmac_f32 v223, v174, v105
	s_delay_alu instid0(VALU_DEP_4) | instskip(NEXT) | instid1(VALU_DEP_4)
	v_add_f32_e32 v75, v75, v77
	v_fma_f32 v76, v153, v85, -v76
	v_dual_add_f32 v4, v4, v209 :: v_dual_mul_f32 v77, v158, v90
	v_fma_f32 v78, v155, v87, -v78
	v_dual_mul_f32 v232, v191, v124 :: v_dual_mul_f32 v233, v193, v126
	s_delay_alu instid0(VALU_DEP_3) | instskip(SKIP_3) | instid1(VALU_DEP_4)
	v_dual_add_f32 v75, v75, v76 :: v_dual_add_f32 v4, v4, v210
	v_fmac_f32_e32 v212, v152, v83
	v_mul_f32_e32 v76, v160, v92
	v_fma_f32 v77, v157, v89, -v77
	v_dual_add_f32 v75, v75, v78 :: v_dual_add_f32 v4, v4, v211
	v_mul_f32_e32 v78, v162, v94
	s_delay_alu instid0(VALU_DEP_4) | instskip(SKIP_1) | instid1(VALU_DEP_4)
	v_fma_f32 v76, v159, v91, -v76
	v_fmac_f32_e32 v225, v178, v109
	v_dual_add_f32 v75, v75, v77 :: v_dual_fmac_f32 v214, v156, v87
	v_mul_f32_e32 v77, v164, v96
	v_fma_f32 v78, v161, v93, -v78
	v_dual_mul_f32 v228, v183, v116 :: v_dual_mul_f32 v229, v185, v118
	s_delay_alu instid0(VALU_DEP_4) | instskip(SKIP_3) | instid1(VALU_DEP_3)
	v_add_f32_e32 v75, v75, v76
	v_add_f32_e32 v4, v4, v212
	v_fma_f32 v77, v163, v95, -v77
	v_dual_mul_f32 v230, v187, v120 :: v_dual_mul_f32 v231, v189, v122
	v_dual_add_f32 v75, v75, v78 :: v_dual_add_f32 v4, v4, v213
	v_fmac_f32_e32 v216, v160, v91
	v_mul_f32_e32 v78, v168, v100
	v_dual_mul_f32 v234, v195, v128 :: v_dual_mul_f32 v235, v197, v130
	s_delay_alu instid0(VALU_DEP_4) | instskip(SKIP_1) | instid1(VALU_DEP_4)
	v_add_f32_e32 v75, v75, v77
	v_mul_f32_e32 v77, v170, v102
	v_fma_f32 v78, v167, v99, -v78
	v_fmac_f32_e32 v221, v170, v101
	v_dual_fmac_f32 v227, v182, v113 :: v_dual_fmac_f32 v228, v184, v115
	v_fmac_f32_e32 v235, v198, v129
	v_fma_f32 v77, v169, v101, -v77
	v_mul_f32_e32 v76, v166, v98
	v_fmac_f32_e32 v240, v1, v139
	v_dual_mul_f32 v236, v199, v132 :: v_dual_mul_f32 v237, v201, v134
	v_fmac_f32_e32 v230, v188, v119
	s_delay_alu instid0(VALU_DEP_4) | instskip(SKIP_3) | instid1(VALU_DEP_3)
	v_fma_f32 v76, v165, v97, -v76
	v_add_f32_e32 v4, v4, v214
	v_dual_mul_f32 v238, v203, v136 :: v_dual_mul_f32 v239, v205, v138
	v_fmac_f32_e32 v237, v202, v133
	v_dual_add_f32 v75, v75, v76 :: v_dual_add_f32 v4, v4, v215
	v_mul_f32_e32 v76, v172, v104
	s_delay_alu instid0(VALU_DEP_4) | instskip(NEXT) | instid1(VALU_DEP_3)
	v_dual_fmac_f32 v232, v192, v123 :: v_dual_fmac_f32 v239, v206, v137
	v_dual_add_f32 v75, v75, v78 :: v_dual_add_f32 v4, v4, v216
	v_mul_f32_e32 v78, v174, v106
	s_delay_alu instid0(VALU_DEP_4) | instskip(NEXT) | instid1(VALU_DEP_3)
	v_fma_f32 v76, v171, v103, -v76
	v_dual_fmac_f32 v236, v200, v131 :: v_dual_add_f32 v75, v75, v77
	s_delay_alu instid0(VALU_DEP_4) | instskip(SKIP_2) | instid1(VALU_DEP_4)
	v_add_f32_e32 v4, v4, v217
	v_mul_f32_e32 v77, v176, v108
	v_fma_f32 v78, v173, v105, -v78
	v_dual_fmac_f32 v238, v204, v135 :: v_dual_add_f32 v75, v75, v76
	v_fmac_f32_e32 v220, v168, v99
	s_delay_alu instid0(VALU_DEP_4)
	v_fma_f32 v77, v175, v107, -v77
	v_fmac_f32_e32 v233, v194, v125
	v_fmac_f32_e32 v229, v186, v117
	v_add_f32_e32 v75, v75, v78
	v_add_f32_e32 v4, v4, v218
	v_dual_mul_f32 v78, v180, v112 :: v_dual_fmac_f32 v231, v190, v121
	v_fmac_f32_e32 v241, v3, v141
	s_delay_alu instid0(VALU_DEP_3) | instskip(SKIP_1) | instid1(VALU_DEP_4)
	v_dual_add_f32 v75, v75, v77 :: v_dual_add_f32 v4, v4, v219
	v_mul_f32_e32 v77, v182, v114
	v_fma_f32 v78, v179, v111, -v78
	v_fmac_f32_e32 v234, v196, v127
	s_delay_alu instid0(VALU_DEP_3) | instskip(SKIP_1) | instid1(VALU_DEP_1)
	v_fma_f32 v77, v181, v113, -v77
	v_mul_f32_e32 v76, v178, v110
	v_fma_f32 v76, v177, v109, -v76
	s_delay_alu instid0(VALU_DEP_1) | instskip(SKIP_1) | instid1(VALU_DEP_2)
	v_dual_fmac_f32 v222, v172, v103 :: v_dual_add_f32 v75, v75, v76
	v_add_f32_e32 v4, v4, v220
	v_dual_mul_f32 v76, v184, v116 :: v_dual_add_f32 v75, v75, v78
	v_mul_f32_e32 v78, v186, v118
	s_delay_alu instid0(VALU_DEP_2) | instskip(NEXT) | instid1(VALU_DEP_3)
	v_fma_f32 v76, v183, v115, -v76
	v_add_f32_e32 v75, v75, v77
	v_add_f32_e32 v4, v4, v221
	v_mul_f32_e32 v77, v188, v120
	v_fma_f32 v78, v185, v117, -v78
	s_delay_alu instid0(VALU_DEP_3) | instskip(SKIP_3) | instid1(VALU_DEP_4)
	v_dual_add_f32 v75, v75, v76 :: v_dual_add_f32 v4, v4, v222
	v_fmac_f32_e32 v224, v176, v107
	v_mul_f32_e32 v76, v190, v122
	v_fma_f32 v77, v187, v119, -v77
	v_dual_add_f32 v75, v75, v78 :: v_dual_add_f32 v4, v4, v223
	v_mul_f32_e32 v78, v192, v124
	s_delay_alu instid0(VALU_DEP_4) | instskip(NEXT) | instid1(VALU_DEP_3)
	v_fma_f32 v76, v189, v121, -v76
	v_dual_add_f32 v75, v75, v77 :: v_dual_add_f32 v4, v4, v224
	v_dual_mul_f32 v77, v194, v126 :: v_dual_fmac_f32 v226, v180, v111
	s_delay_alu instid0(VALU_DEP_4) | instskip(NEXT) | instid1(VALU_DEP_3)
	v_fma_f32 v78, v191, v123, -v78
	v_dual_add_f32 v75, v75, v76 :: v_dual_add_f32 v4, v4, v225
	v_mul_f32_e32 v76, v196, v128
	s_delay_alu instid0(VALU_DEP_4) | instskip(NEXT) | instid1(VALU_DEP_3)
	v_fma_f32 v77, v193, v125, -v77
	v_add_f32_e32 v75, v75, v78
	s_delay_alu instid0(VALU_DEP_4) | instskip(SKIP_2) | instid1(VALU_DEP_3)
	v_add_f32_e32 v4, v4, v226
	v_mul_f32_e32 v78, v198, v130
	v_fma_f32 v76, v195, v127, -v76
	v_dual_add_f32 v75, v75, v77 :: v_dual_add_f32 v4, v4, v227
	v_mul_f32_e32 v77, v200, v132
	s_delay_alu instid0(VALU_DEP_4) | instskip(NEXT) | instid1(VALU_DEP_3)
	v_fma_f32 v78, v197, v129, -v78
	v_add_f32_e32 v75, v75, v76
	s_delay_alu instid0(VALU_DEP_4) | instskip(SKIP_2) | instid1(VALU_DEP_3)
	v_add_f32_e32 v4, v4, v228
	v_mul_f32_e32 v76, v202, v134
	v_fma_f32 v77, v199, v131, -v77
	v_dual_add_f32 v75, v75, v78 :: v_dual_add_f32 v4, v4, v229
	v_mul_f32_e32 v78, v204, v136
	s_delay_alu instid0(VALU_DEP_4) | instskip(NEXT) | instid1(VALU_DEP_3)
	v_fma_f32 v76, v201, v133, -v76
	v_add_f32_e32 v75, v75, v77
	v_mul_f32_e32 v77, v206, v138
	v_add_f32_e32 v4, v4, v230
	v_fma_f32 v78, v203, v135, -v78
	s_delay_alu instid0(VALU_DEP_4) | instskip(SKIP_1) | instid1(VALU_DEP_4)
	v_add_f32_e32 v75, v75, v76
	v_mul_f32_e32 v76, v1, v140
	v_add_f32_e32 v4, v4, v231
	v_fma_f32 v77, v205, v137, -v77
	s_delay_alu instid0(VALU_DEP_4) | instskip(SKIP_1) | instid1(VALU_DEP_4)
	v_add_f32_e32 v75, v75, v78
	v_mul_f32_e32 v78, v3, v142
	v_add_f32_e32 v4, v4, v232
	v_fma_f32 v0, v0, v139, -v76
	s_delay_alu instid0(VALU_DEP_4) | instskip(NEXT) | instid1(VALU_DEP_4)
	v_add_f32_e32 v1, v75, v77
	v_fma_f32 v2, v2, v141, -v78
	s_delay_alu instid0(VALU_DEP_4) | instskip(NEXT) | instid1(VALU_DEP_3)
	v_add_f32_e32 v4, v4, v233
	v_add_f32_e32 v0, v1, v0
	s_delay_alu instid0(VALU_DEP_2) | instskip(NEXT) | instid1(VALU_DEP_2)
	v_add_f32_e32 v4, v4, v234
	v_add_f32_e32 v0, v0, v2
	s_delay_alu instid0(VALU_DEP_2) | instskip(SKIP_1) | instid1(VALU_DEP_2)
	v_add_f32_e32 v4, v4, v235
	s_wait_loadcnt 0x0
	v_sub_f32_e32 v0, v207, v0
	s_delay_alu instid0(VALU_DEP_2) | instskip(NEXT) | instid1(VALU_DEP_1)
	v_add_f32_e32 v4, v4, v236
	v_add_f32_e32 v4, v4, v237
	s_delay_alu instid0(VALU_DEP_1) | instskip(NEXT) | instid1(VALU_DEP_1)
	v_add_f32_e32 v4, v4, v238
	v_add_f32_e32 v4, v4, v239
	s_delay_alu instid0(VALU_DEP_1) | instskip(NEXT) | instid1(VALU_DEP_1)
	v_add_f32_e32 v1, v4, v240
	v_add_f32_e32 v1, v1, v241
	s_delay_alu instid0(VALU_DEP_1)
	v_sub_f32_e32 v1, v208, v1
	scratch_store_b64 off, v[0:1], off
	s_wait_alu 0xfffe
	s_cbranch_vccz .LBB34_292
; %bb.224:
	v_mov_b32_e32 v0, 0
	global_load_b32 v1, v0, s[2:3] offset:132
	s_wait_loadcnt 0x0
	v_cmp_ne_u32_e32 vcc_lo, 34, v1
	s_cbranch_vccz .LBB34_226
; %bb.225:
	v_lshlrev_b32_e32 v1, 3, v1
	s_delay_alu instid0(VALU_DEP_1)
	v_mov_b32_e32 v75, v1
	scratch_load_b64 v[1:2], v75, off offset:-8
	scratch_load_b64 v[3:4], off, off offset:264
	s_wait_loadcnt 0x1
	scratch_store_b64 off, v[1:2], off offset:264
	s_wait_loadcnt 0x0
	scratch_store_b64 v75, v[3:4], off offset:-8
.LBB34_226:
	global_load_b32 v0, v0, s[2:3] offset:128
	s_wait_loadcnt 0x0
	v_cmp_eq_u32_e32 vcc_lo, 33, v0
	s_cbranch_vccnz .LBB34_228
; %bb.227:
	v_lshlrev_b32_e32 v0, 3, v0
	s_delay_alu instid0(VALU_DEP_1)
	v_mov_b32_e32 v4, v0
	scratch_load_b64 v[0:1], v4, off offset:-8
	scratch_load_b64 v[2:3], off, off offset:256
	s_wait_loadcnt 0x1
	scratch_store_b64 off, v[0:1], off offset:256
	s_wait_loadcnt 0x0
	scratch_store_b64 v4, v[2:3], off offset:-8
.LBB34_228:
	v_mov_b32_e32 v0, 0
	global_load_b32 v1, v0, s[2:3] offset:124
	s_wait_loadcnt 0x0
	v_cmp_eq_u32_e32 vcc_lo, 32, v1
	s_cbranch_vccnz .LBB34_230
; %bb.229:
	v_lshlrev_b32_e32 v1, 3, v1
	s_delay_alu instid0(VALU_DEP_1)
	v_mov_b32_e32 v75, v1
	scratch_load_b64 v[1:2], v75, off offset:-8
	scratch_load_b64 v[3:4], off, off offset:248
	s_wait_loadcnt 0x1
	scratch_store_b64 off, v[1:2], off offset:248
	s_wait_loadcnt 0x0
	scratch_store_b64 v75, v[3:4], off offset:-8
.LBB34_230:
	global_load_b32 v0, v0, s[2:3] offset:120
	s_wait_loadcnt 0x0
	v_cmp_eq_u32_e32 vcc_lo, 31, v0
	s_cbranch_vccnz .LBB34_232
; %bb.231:
	v_lshlrev_b32_e32 v0, 3, v0
	s_delay_alu instid0(VALU_DEP_1)
	v_mov_b32_e32 v4, v0
	scratch_load_b64 v[0:1], v4, off offset:-8
	scratch_load_b64 v[2:3], off, off offset:240
	s_wait_loadcnt 0x1
	scratch_store_b64 off, v[0:1], off offset:240
	s_wait_loadcnt 0x0
	scratch_store_b64 v4, v[2:3], off offset:-8
.LBB34_232:
	v_mov_b32_e32 v0, 0
	global_load_b32 v1, v0, s[2:3] offset:116
	s_wait_loadcnt 0x0
	v_cmp_eq_u32_e32 vcc_lo, 30, v1
	s_cbranch_vccnz .LBB34_234
; %bb.233:
	v_lshlrev_b32_e32 v1, 3, v1
	s_delay_alu instid0(VALU_DEP_1)
	v_mov_b32_e32 v75, v1
	scratch_load_b64 v[1:2], v75, off offset:-8
	scratch_load_b64 v[3:4], off, off offset:232
	s_wait_loadcnt 0x1
	scratch_store_b64 off, v[1:2], off offset:232
	s_wait_loadcnt 0x0
	scratch_store_b64 v75, v[3:4], off offset:-8
.LBB34_234:
	;; [unrolled: 31-line block ×16, first 2 shown]
	global_load_b32 v0, v0, s[2:3]
	s_wait_loadcnt 0x0
	v_cmp_eq_u32_e32 vcc_lo, 1, v0
	s_cbranch_vccnz .LBB34_292
; %bb.291:
	v_lshlrev_b32_e32 v0, 3, v0
	s_delay_alu instid0(VALU_DEP_1)
	v_mov_b32_e32 v4, v0
	scratch_load_b64 v[0:1], v4, off offset:-8
	scratch_load_b64 v[2:3], off, off
	s_wait_loadcnt 0x1
	scratch_store_b64 off, v[0:1], off
	s_wait_loadcnt 0x0
	scratch_store_b64 v4, v[2:3], off offset:-8
.LBB34_292:
	s_clause 0x11
	scratch_load_b128 v[0:3], off, off
	scratch_load_b128 v[75:78], off, off offset:16
	scratch_load_b128 v[79:82], off, off offset:32
	;; [unrolled: 1-line block ×16, first 2 shown]
	scratch_load_b64 v[139:140], off, off offset:272
	s_wait_loadcnt 0x11
	s_clause 0x1
	global_store_b64 v[5:6], v[0:1], off
	global_store_b64 v[7:8], v[2:3], off
	s_wait_loadcnt 0x10
	s_clause 0x1
	global_store_b64 v[9:10], v[75:76], off
	global_store_b64 v[11:12], v[77:78], off
	;; [unrolled: 4-line block ×17, first 2 shown]
	s_wait_loadcnt 0x0
	global_store_b64 v[73:74], v[139:140], off
	s_nop 0
	s_sendmsg sendmsg(MSG_DEALLOC_VGPRS)
	s_endpgm
	.section	.rodata,"a",@progbits
	.p2align	6, 0x0
	.amdhsa_kernel _ZN9rocsolver6v33100L18getri_kernel_smallILi35E19rocblas_complex_numIfEPS3_EEvT1_iilPiilS6_bb
		.amdhsa_group_segment_fixed_size 568
		.amdhsa_private_segment_fixed_size 288
		.amdhsa_kernarg_size 60
		.amdhsa_user_sgpr_count 2
		.amdhsa_user_sgpr_dispatch_ptr 0
		.amdhsa_user_sgpr_queue_ptr 0
		.amdhsa_user_sgpr_kernarg_segment_ptr 1
		.amdhsa_user_sgpr_dispatch_id 0
		.amdhsa_user_sgpr_private_segment_size 0
		.amdhsa_wavefront_size32 1
		.amdhsa_uses_dynamic_stack 0
		.amdhsa_enable_private_segment 1
		.amdhsa_system_sgpr_workgroup_id_x 1
		.amdhsa_system_sgpr_workgroup_id_y 0
		.amdhsa_system_sgpr_workgroup_id_z 0
		.amdhsa_system_sgpr_workgroup_info 0
		.amdhsa_system_vgpr_workitem_id 0
		.amdhsa_next_free_vgpr 242
		.amdhsa_next_free_sgpr 19
		.amdhsa_reserve_vcc 1
		.amdhsa_float_round_mode_32 0
		.amdhsa_float_round_mode_16_64 0
		.amdhsa_float_denorm_mode_32 3
		.amdhsa_float_denorm_mode_16_64 3
		.amdhsa_fp16_overflow 0
		.amdhsa_workgroup_processor_mode 1
		.amdhsa_memory_ordered 1
		.amdhsa_forward_progress 1
		.amdhsa_inst_pref_size 255
		.amdhsa_round_robin_scheduling 0
		.amdhsa_exception_fp_ieee_invalid_op 0
		.amdhsa_exception_fp_denorm_src 0
		.amdhsa_exception_fp_ieee_div_zero 0
		.amdhsa_exception_fp_ieee_overflow 0
		.amdhsa_exception_fp_ieee_underflow 0
		.amdhsa_exception_fp_ieee_inexact 0
		.amdhsa_exception_int_div_zero 0
	.end_amdhsa_kernel
	.section	.text._ZN9rocsolver6v33100L18getri_kernel_smallILi35E19rocblas_complex_numIfEPS3_EEvT1_iilPiilS6_bb,"axG",@progbits,_ZN9rocsolver6v33100L18getri_kernel_smallILi35E19rocblas_complex_numIfEPS3_EEvT1_iilPiilS6_bb,comdat
.Lfunc_end34:
	.size	_ZN9rocsolver6v33100L18getri_kernel_smallILi35E19rocblas_complex_numIfEPS3_EEvT1_iilPiilS6_bb, .Lfunc_end34-_ZN9rocsolver6v33100L18getri_kernel_smallILi35E19rocblas_complex_numIfEPS3_EEvT1_iilPiilS6_bb
                                        ; -- End function
	.set _ZN9rocsolver6v33100L18getri_kernel_smallILi35E19rocblas_complex_numIfEPS3_EEvT1_iilPiilS6_bb.num_vgpr, 242
	.set _ZN9rocsolver6v33100L18getri_kernel_smallILi35E19rocblas_complex_numIfEPS3_EEvT1_iilPiilS6_bb.num_agpr, 0
	.set _ZN9rocsolver6v33100L18getri_kernel_smallILi35E19rocblas_complex_numIfEPS3_EEvT1_iilPiilS6_bb.numbered_sgpr, 19
	.set _ZN9rocsolver6v33100L18getri_kernel_smallILi35E19rocblas_complex_numIfEPS3_EEvT1_iilPiilS6_bb.num_named_barrier, 0
	.set _ZN9rocsolver6v33100L18getri_kernel_smallILi35E19rocblas_complex_numIfEPS3_EEvT1_iilPiilS6_bb.private_seg_size, 288
	.set _ZN9rocsolver6v33100L18getri_kernel_smallILi35E19rocblas_complex_numIfEPS3_EEvT1_iilPiilS6_bb.uses_vcc, 1
	.set _ZN9rocsolver6v33100L18getri_kernel_smallILi35E19rocblas_complex_numIfEPS3_EEvT1_iilPiilS6_bb.uses_flat_scratch, 1
	.set _ZN9rocsolver6v33100L18getri_kernel_smallILi35E19rocblas_complex_numIfEPS3_EEvT1_iilPiilS6_bb.has_dyn_sized_stack, 0
	.set _ZN9rocsolver6v33100L18getri_kernel_smallILi35E19rocblas_complex_numIfEPS3_EEvT1_iilPiilS6_bb.has_recursion, 0
	.set _ZN9rocsolver6v33100L18getri_kernel_smallILi35E19rocblas_complex_numIfEPS3_EEvT1_iilPiilS6_bb.has_indirect_call, 0
	.section	.AMDGPU.csdata,"",@progbits
; Kernel info:
; codeLenInByte = 46620
; TotalNumSgprs: 21
; NumVgprs: 242
; ScratchSize: 288
; MemoryBound: 0
; FloatMode: 240
; IeeeMode: 1
; LDSByteSize: 568 bytes/workgroup (compile time only)
; SGPRBlocks: 0
; VGPRBlocks: 30
; NumSGPRsForWavesPerEU: 21
; NumVGPRsForWavesPerEU: 242
; Occupancy: 5
; WaveLimiterHint : 1
; COMPUTE_PGM_RSRC2:SCRATCH_EN: 1
; COMPUTE_PGM_RSRC2:USER_SGPR: 2
; COMPUTE_PGM_RSRC2:TRAP_HANDLER: 0
; COMPUTE_PGM_RSRC2:TGID_X_EN: 1
; COMPUTE_PGM_RSRC2:TGID_Y_EN: 0
; COMPUTE_PGM_RSRC2:TGID_Z_EN: 0
; COMPUTE_PGM_RSRC2:TIDIG_COMP_CNT: 0
	.section	.text._ZN9rocsolver6v33100L18getri_kernel_smallILi36E19rocblas_complex_numIfEPS3_EEvT1_iilPiilS6_bb,"axG",@progbits,_ZN9rocsolver6v33100L18getri_kernel_smallILi36E19rocblas_complex_numIfEPS3_EEvT1_iilPiilS6_bb,comdat
	.globl	_ZN9rocsolver6v33100L18getri_kernel_smallILi36E19rocblas_complex_numIfEPS3_EEvT1_iilPiilS6_bb ; -- Begin function _ZN9rocsolver6v33100L18getri_kernel_smallILi36E19rocblas_complex_numIfEPS3_EEvT1_iilPiilS6_bb
	.p2align	8
	.type	_ZN9rocsolver6v33100L18getri_kernel_smallILi36E19rocblas_complex_numIfEPS3_EEvT1_iilPiilS6_bb,@function
_ZN9rocsolver6v33100L18getri_kernel_smallILi36E19rocblas_complex_numIfEPS3_EEvT1_iilPiilS6_bb: ; @_ZN9rocsolver6v33100L18getri_kernel_smallILi36E19rocblas_complex_numIfEPS3_EEvT1_iilPiilS6_bb
; %bb.0:
	s_mov_b32 s2, exec_lo
	v_cmpx_gt_u32_e32 36, v0
	s_cbranch_execz .LBB35_158
; %bb.1:
	s_clause 0x2
	s_load_b32 s2, s[0:1], 0x38
	s_load_b128 s[12:15], s[0:1], 0x10
	s_load_b128 s[4:7], s[0:1], 0x28
	s_mov_b32 s16, ttmp9
	s_wait_kmcnt 0x0
	s_bitcmp1_b32 s2, 8
	s_cselect_b32 s18, -1, 0
	s_bfe_u32 s2, s2, 0x10008
	s_ashr_i32 s17, ttmp9, 31
	s_cmp_eq_u32 s2, 0
                                        ; implicit-def: $sgpr2_sgpr3
	s_cbranch_scc1 .LBB35_3
; %bb.2:
	s_load_b32 s2, s[0:1], 0x20
	s_mul_u64 s[4:5], s[4:5], s[16:17]
	s_delay_alu instid0(SALU_CYCLE_1) | instskip(NEXT) | instid1(SALU_CYCLE_1)
	s_lshl_b64 s[4:5], s[4:5], 2
	s_add_nc_u64 s[4:5], s[14:15], s[4:5]
	s_wait_kmcnt 0x0
	s_ashr_i32 s3, s2, 31
	s_delay_alu instid0(SALU_CYCLE_1) | instskip(NEXT) | instid1(SALU_CYCLE_1)
	s_lshl_b64 s[2:3], s[2:3], 2
	s_add_nc_u64 s[2:3], s[4:5], s[2:3]
.LBB35_3:
	s_clause 0x1
	s_load_b128 s[8:11], s[0:1], 0x0
	s_load_b32 s4, s[0:1], 0x38
	s_mul_u64 s[0:1], s[12:13], s[16:17]
	v_lshlrev_b32_e32 v79, 3, v0
	s_lshl_b64 s[0:1], s[0:1], 3
	s_wait_kmcnt 0x0
	v_add3_u32 v3, s11, s11, v0
	s_ashr_i32 s13, s10, 31
	s_mov_b32 s12, s10
	s_add_nc_u64 s[0:1], s[8:9], s[0:1]
	s_lshl_b64 s[12:13], s[12:13], 3
	v_add_nc_u32_e32 v9, s11, v3
	v_ashrrev_i32_e32 v4, 31, v3
	s_add_nc_u64 s[0:1], s[0:1], s[12:13]
	s_ashr_i32 s9, s11, 31
	v_add_co_u32 v5, s5, s0, v79
	v_add_nc_u32_e32 v11, s11, v9
	s_mov_b32 s8, s11
	v_lshlrev_b64_e32 v[3:4], 3, v[3:4]
	v_add_co_ci_u32_e64 v6, null, s1, 0, s5
	s_delay_alu instid0(VALU_DEP_3)
	v_add_nc_u32_e32 v15, s11, v11
	v_ashrrev_i32_e32 v10, 31, v9
	s_lshl_b64 s[8:9], s[8:9], 3
	v_ashrrev_i32_e32 v12, 31, v11
	v_add_co_u32 v7, vcc_lo, v5, s8
	v_add_nc_u32_e32 v17, s11, v15
	v_ashrrev_i32_e32 v16, 31, v15
	v_add_co_ci_u32_e64 v8, null, s9, v6, vcc_lo
	v_lshlrev_b64_e32 v[13:14], 3, v[9:10]
	s_delay_alu instid0(VALU_DEP_4)
	v_add_nc_u32_e32 v19, s11, v17
	v_add_co_u32 v9, vcc_lo, s0, v3
	v_ashrrev_i32_e32 v18, 31, v17
	s_wait_alu 0xfffd
	v_add_co_ci_u32_e64 v10, null, s1, v4, vcc_lo
	v_add_nc_u32_e32 v21, s11, v19
	v_lshlrev_b64_e32 v[3:4], 3, v[11:12]
	v_ashrrev_i32_e32 v20, 31, v19
	v_lshlrev_b64_e32 v[15:16], 3, v[15:16]
	v_add_co_u32 v11, vcc_lo, s0, v13
	v_add_nc_u32_e32 v23, s11, v21
	v_ashrrev_i32_e32 v22, 31, v21
	v_lshlrev_b64_e32 v[17:18], 3, v[17:18]
	s_wait_alu 0xfffd
	v_add_co_ci_u32_e64 v12, null, s1, v14, vcc_lo
	v_ashrrev_i32_e32 v24, 31, v23
	v_add_co_u32 v13, vcc_lo, s0, v3
	v_lshlrev_b64_e32 v[19:20], 3, v[19:20]
	s_wait_alu 0xfffd
	v_add_co_ci_u32_e64 v14, null, s1, v4, vcc_lo
	v_add_co_u32 v15, vcc_lo, s0, v15
	v_lshlrev_b64_e32 v[21:22], 3, v[21:22]
	v_add_nc_u32_e32 v26, s11, v23
	s_wait_alu 0xfffd
	v_add_co_ci_u32_e64 v16, null, s1, v16, vcc_lo
	v_add_co_u32 v17, vcc_lo, s0, v17
	v_lshlrev_b64_e32 v[24:25], 3, v[23:24]
	s_wait_alu 0xfffd
	v_add_co_ci_u32_e64 v18, null, s1, v18, vcc_lo
	v_add_co_u32 v19, vcc_lo, s0, v19
	v_ashrrev_i32_e32 v27, 31, v26
	v_add_nc_u32_e32 v28, s11, v26
	s_wait_alu 0xfffd
	v_add_co_ci_u32_e64 v20, null, s1, v20, vcc_lo
	v_add_co_u32 v21, vcc_lo, s0, v21
	s_wait_alu 0xfffd
	v_add_co_ci_u32_e64 v22, null, s1, v22, vcc_lo
	v_add_co_u32 v23, vcc_lo, s0, v24
	s_wait_alu 0xfffd
	v_add_co_ci_u32_e64 v24, null, s1, v25, vcc_lo
	v_lshlrev_b64_e32 v[25:26], 3, v[26:27]
	v_add_nc_u32_e32 v27, s11, v28
	v_ashrrev_i32_e32 v29, 31, v28
	s_clause 0x8
	global_load_b64 v[1:2], v79, s[0:1]
	global_load_b64 v[3:4], v[7:8], off
	global_load_b64 v[80:81], v[9:10], off
	;; [unrolled: 1-line block ×8, first 2 shown]
	v_add_nc_u32_e32 v31, s11, v27
	v_lshlrev_b64_e32 v[29:30], 3, v[28:29]
	v_ashrrev_i32_e32 v28, 31, v27
	v_add_co_u32 v25, vcc_lo, s0, v25
	s_delay_alu instid0(VALU_DEP_4)
	v_add_nc_u32_e32 v33, s11, v31
	s_wait_alu 0xfffd
	v_add_co_ci_u32_e64 v26, null, s1, v26, vcc_lo
	v_lshlrev_b64_e32 v[35:36], 3, v[27:28]
	v_add_co_u32 v27, vcc_lo, s0, v29
	v_add_nc_u32_e32 v37, s11, v33
	s_wait_alu 0xfffd
	v_add_co_ci_u32_e64 v28, null, s1, v30, vcc_lo
	s_delay_alu instid0(VALU_DEP_4) | instskip(NEXT) | instid1(VALU_DEP_3)
	v_add_co_u32 v29, vcc_lo, s0, v35
	v_add_nc_u32_e32 v35, s11, v37
	v_ashrrev_i32_e32 v32, 31, v31
	v_ashrrev_i32_e32 v34, 31, v33
	;; [unrolled: 1-line block ×3, first 2 shown]
	s_wait_alu 0xfffd
	v_add_co_ci_u32_e64 v30, null, s1, v36, vcc_lo
	v_add_nc_u32_e32 v39, s11, v35
	v_lshlrev_b64_e32 v[31:32], 3, v[31:32]
	v_ashrrev_i32_e32 v36, 31, v35
	v_lshlrev_b64_e32 v[33:34], 3, v[33:34]
	v_lshlrev_b64_e32 v[37:38], 3, v[37:38]
	v_add_nc_u32_e32 v43, s11, v39
	v_ashrrev_i32_e32 v40, 31, v39
	v_add_co_u32 v31, vcc_lo, s0, v31
	v_lshlrev_b64_e32 v[41:42], 3, v[35:36]
	s_wait_alu 0xfffd
	v_add_co_ci_u32_e64 v32, null, s1, v32, vcc_lo
	v_add_co_u32 v33, vcc_lo, s0, v33
	v_ashrrev_i32_e32 v44, 31, v43
	v_add_nc_u32_e32 v45, s11, v43
	s_wait_alu 0xfffd
	v_add_co_ci_u32_e64 v34, null, s1, v34, vcc_lo
	v_add_co_u32 v35, vcc_lo, s0, v37
	s_wait_alu 0xfffd
	v_add_co_ci_u32_e64 v36, null, s1, v38, vcc_lo
	v_add_co_u32 v37, vcc_lo, s0, v41
	s_wait_alu 0xfffd
	v_add_co_ci_u32_e64 v38, null, s1, v42, vcc_lo
	v_lshlrev_b64_e32 v[41:42], 3, v[43:44]
	v_add_nc_u32_e32 v43, s11, v45
	v_ashrrev_i32_e32 v46, 31, v45
	v_lshlrev_b64_e32 v[39:40], 3, v[39:40]
	s_clause 0x7
	global_load_b64 v[94:95], v[23:24], off
	global_load_b64 v[96:97], v[25:26], off
	;; [unrolled: 1-line block ×8, first 2 shown]
	v_add_nc_u32_e32 v47, s11, v43
	v_ashrrev_i32_e32 v44, 31, v43
	v_lshlrev_b64_e32 v[45:46], 3, v[45:46]
	v_add_co_u32 v39, vcc_lo, s0, v39
	s_delay_alu instid0(VALU_DEP_4) | instskip(NEXT) | instid1(VALU_DEP_4)
	v_add_nc_u32_e32 v51, s11, v47
	v_lshlrev_b64_e32 v[49:50], 3, v[43:44]
	s_wait_alu 0xfffd
	v_add_co_ci_u32_e64 v40, null, s1, v40, vcc_lo
	v_add_co_u32 v41, vcc_lo, s0, v41
	v_ashrrev_i32_e32 v52, 31, v51
	v_add_nc_u32_e32 v53, s11, v51
	s_wait_alu 0xfffd
	v_add_co_ci_u32_e64 v42, null, s1, v42, vcc_lo
	v_add_co_u32 v43, vcc_lo, s0, v45
	s_wait_alu 0xfffd
	v_add_co_ci_u32_e64 v44, null, s1, v46, vcc_lo
	v_add_co_u32 v45, vcc_lo, s0, v49
	s_wait_alu 0xfffd
	v_add_co_ci_u32_e64 v46, null, s1, v50, vcc_lo
	v_lshlrev_b64_e32 v[49:50], 3, v[51:52]
	v_add_nc_u32_e32 v51, s11, v53
	v_ashrrev_i32_e32 v48, 31, v47
	v_ashrrev_i32_e32 v54, 31, v53
	s_clause 0x3
	global_load_b64 v[110:111], v[39:40], off
	global_load_b64 v[112:113], v[41:42], off
	;; [unrolled: 1-line block ×4, first 2 shown]
	s_bitcmp0_b32 s4, 0
	v_add_nc_u32_e32 v55, s11, v51
	v_lshlrev_b64_e32 v[47:48], 3, v[47:48]
	v_ashrrev_i32_e32 v52, 31, v51
	v_lshlrev_b64_e32 v[53:54], 3, v[53:54]
	s_delay_alu instid0(VALU_DEP_4) | instskip(SKIP_3) | instid1(VALU_DEP_4)
	v_add_nc_u32_e32 v59, s11, v55
	v_ashrrev_i32_e32 v56, 31, v55
	v_add_co_u32 v47, vcc_lo, s0, v47
	v_lshlrev_b64_e32 v[57:58], 3, v[51:52]
	v_add_nc_u32_e32 v61, s11, v59
	s_wait_alu 0xfffd
	v_add_co_ci_u32_e64 v48, null, s1, v48, vcc_lo
	v_add_co_u32 v49, vcc_lo, s0, v49
	v_ashrrev_i32_e32 v60, 31, v59
	v_ashrrev_i32_e32 v62, 31, v61
	s_wait_alu 0xfffd
	v_add_co_ci_u32_e64 v50, null, s1, v50, vcc_lo
	v_add_co_u32 v51, vcc_lo, s0, v53
	s_wait_alu 0xfffd
	v_add_co_ci_u32_e64 v52, null, s1, v54, vcc_lo
	v_add_co_u32 v53, vcc_lo, s0, v57
	s_wait_alu 0xfffd
	v_add_co_ci_u32_e64 v54, null, s1, v58, vcc_lo
	v_lshlrev_b64_e32 v[57:58], 3, v[59:60]
	v_lshlrev_b64_e32 v[59:60], 3, v[61:62]
	v_add_nc_u32_e32 v61, s11, v61
	v_lshlrev_b64_e32 v[55:56], 3, v[55:56]
	s_clause 0x3
	global_load_b64 v[118:119], v[47:48], off
	global_load_b64 v[120:121], v[49:50], off
	;; [unrolled: 1-line block ×4, first 2 shown]
	v_add_nc_u32_e32 v63, s11, v61
	v_ashrrev_i32_e32 v62, 31, v61
	v_add_co_u32 v55, vcc_lo, s0, v55
	s_wait_alu 0xfffd
	v_add_co_ci_u32_e64 v56, null, s1, v56, vcc_lo
	v_add_nc_u32_e32 v65, s11, v63
	v_ashrrev_i32_e32 v64, 31, v63
	v_lshlrev_b64_e32 v[61:62], 3, v[61:62]
	v_add_co_u32 v57, vcc_lo, s0, v57
	s_delay_alu instid0(VALU_DEP_4)
	v_add_nc_u32_e32 v67, s11, v65
	v_ashrrev_i32_e32 v66, 31, v65
	v_lshlrev_b64_e32 v[63:64], 3, v[63:64]
	s_wait_alu 0xfffd
	v_add_co_ci_u32_e64 v58, null, s1, v58, vcc_lo
	v_add_nc_u32_e32 v69, s11, v67
	v_ashrrev_i32_e32 v68, 31, v67
	v_add_co_u32 v59, vcc_lo, s0, v59
	v_lshlrev_b64_e32 v[65:66], 3, v[65:66]
	s_delay_alu instid0(VALU_DEP_4)
	v_add_nc_u32_e32 v71, s11, v69
	v_ashrrev_i32_e32 v70, 31, v69
	s_wait_alu 0xfffd
	v_add_co_ci_u32_e64 v60, null, s1, v60, vcc_lo
	v_add_co_u32 v61, vcc_lo, s0, v61
	v_add_nc_u32_e32 v73, s11, v71
	v_ashrrev_i32_e32 v72, 31, v71
	v_lshlrev_b64_e32 v[67:68], 3, v[67:68]
	s_wait_alu 0xfffd
	v_add_co_ci_u32_e64 v62, null, s1, v62, vcc_lo
	v_add_nc_u32_e32 v75, s11, v73
	v_ashrrev_i32_e32 v74, 31, v73
	v_add_co_u32 v63, vcc_lo, s0, v63
	v_lshlrev_b64_e32 v[69:70], 3, v[69:70]
	s_delay_alu instid0(VALU_DEP_4)
	v_ashrrev_i32_e32 v76, 31, v75
	s_wait_alu 0xfffd
	v_add_co_ci_u32_e64 v64, null, s1, v64, vcc_lo
	v_add_co_u32 v65, vcc_lo, s0, v65
	v_lshlrev_b64_e32 v[71:72], 3, v[71:72]
	s_wait_alu 0xfffd
	v_add_co_ci_u32_e64 v66, null, s1, v66, vcc_lo
	v_add_co_u32 v67, vcc_lo, s0, v67
	v_lshlrev_b64_e32 v[73:74], 3, v[73:74]
	;; [unrolled: 4-line block ×3, first 2 shown]
	s_wait_alu 0xfffd
	v_add_co_ci_u32_e64 v70, null, s1, v70, vcc_lo
	v_add_co_u32 v71, vcc_lo, s0, v71
	s_wait_alu 0xfffd
	v_add_co_ci_u32_e64 v72, null, s1, v72, vcc_lo
	v_add_co_u32 v73, vcc_lo, s0, v73
	s_wait_alu 0xfffd
	v_add_co_ci_u32_e64 v74, null, s1, v74, vcc_lo
	v_add_co_u32 v75, vcc_lo, s0, v75
	s_clause 0x3
	global_load_b64 v[126:127], v[55:56], off
	global_load_b64 v[128:129], v[57:58], off
	;; [unrolled: 1-line block ×4, first 2 shown]
	s_wait_alu 0xfffd
	v_add_co_ci_u32_e64 v76, null, s1, v76, vcc_lo
	s_clause 0x6
	global_load_b64 v[134:135], v[63:64], off
	global_load_b64 v[136:137], v[65:66], off
	;; [unrolled: 1-line block ×7, first 2 shown]
	s_mov_b32 s1, -1
	s_wait_loadcnt 0x22
	scratch_store_b128 off, v[1:4], off
	s_wait_loadcnt 0x20
	scratch_store_b128 off, v[80:83], off offset:16
	s_wait_loadcnt 0x1e
	scratch_store_b128 off, v[84:87], off offset:32
	;; [unrolled: 2-line block ×17, first 2 shown]
	s_cbranch_scc1 .LBB35_156
; %bb.4:
	v_cmp_eq_u32_e64 s0, 0, v0
	s_and_saveexec_b32 s1, s0
; %bb.5:
	v_mov_b32_e32 v1, 0
	ds_store_b32 v1, v1 offset:576
; %bb.6:
	s_wait_alu 0xfffe
	s_or_b32 exec_lo, exec_lo, s1
	s_wait_storecnt_dscnt 0x0
	s_barrier_signal -1
	s_barrier_wait -1
	global_inv scope:SCOPE_SE
	scratch_load_b64 v[1:2], v79, off
	s_wait_loadcnt 0x0
	v_cmp_eq_f32_e32 vcc_lo, 0, v1
	v_cmp_eq_f32_e64 s1, 0, v2
	s_and_b32 s1, vcc_lo, s1
	s_wait_alu 0xfffe
	s_and_saveexec_b32 s4, s1
	s_cbranch_execz .LBB35_10
; %bb.7:
	v_mov_b32_e32 v1, 0
	s_mov_b32 s5, 0
	ds_load_b32 v2, v1 offset:576
	s_wait_dscnt 0x0
	v_readfirstlane_b32 s1, v2
	v_add_nc_u32_e32 v2, 1, v0
	s_cmp_eq_u32 s1, 0
	s_delay_alu instid0(VALU_DEP_1)
	v_cmp_gt_i32_e32 vcc_lo, s1, v2
	s_cselect_b32 s8, -1, 0
	s_wait_alu 0xfffe
	s_or_b32 s8, s8, vcc_lo
	s_wait_alu 0xfffe
	s_and_b32 exec_lo, exec_lo, s8
	s_cbranch_execz .LBB35_10
; %bb.8:
	v_mov_b32_e32 v3, s1
.LBB35_9:                               ; =>This Inner Loop Header: Depth=1
	ds_cmpstore_rtn_b32 v3, v1, v2, v3 offset:576
	s_wait_dscnt 0x0
	v_cmp_ne_u32_e32 vcc_lo, 0, v3
	v_cmp_le_i32_e64 s1, v3, v2
	s_and_b32 s1, vcc_lo, s1
	s_wait_alu 0xfffe
	s_and_b32 s1, exec_lo, s1
	s_wait_alu 0xfffe
	s_or_b32 s5, s1, s5
	s_wait_alu 0xfffe
	s_and_not1_b32 exec_lo, exec_lo, s5
	s_cbranch_execnz .LBB35_9
.LBB35_10:
	s_wait_alu 0xfffe
	s_or_b32 exec_lo, exec_lo, s4
	v_mov_b32_e32 v1, 0
	s_barrier_signal -1
	s_barrier_wait -1
	global_inv scope:SCOPE_SE
	ds_load_b32 v2, v1 offset:576
	s_and_saveexec_b32 s1, s0
	s_cbranch_execz .LBB35_12
; %bb.11:
	s_lshl_b64 s[4:5], s[16:17], 2
	s_wait_alu 0xfffe
	s_add_nc_u64 s[4:5], s[6:7], s[4:5]
	s_wait_dscnt 0x0
	global_store_b32 v1, v2, s[4:5]
.LBB35_12:
	s_wait_alu 0xfffe
	s_or_b32 exec_lo, exec_lo, s1
	s_wait_dscnt 0x0
	v_cmp_ne_u32_e32 vcc_lo, 0, v2
	s_mov_b32 s1, 0
	s_cbranch_vccnz .LBB35_156
; %bb.13:
	v_mov_b32_e32 v80, v79
                                        ; implicit-def: $vgpr3
                                        ; implicit-def: $vgpr77
	scratch_load_b64 v[1:2], v80, off
	s_wait_loadcnt 0x0
	v_cmp_ngt_f32_e64 s1, |v1|, |v2|
	s_wait_alu 0xfffe
	s_and_saveexec_b32 s4, s1
	s_wait_alu 0xfffe
	s_xor_b32 s1, exec_lo, s4
	s_cbranch_execz .LBB35_15
; %bb.14:
	v_div_scale_f32 v3, null, v2, v2, v1
	v_div_scale_f32 v78, vcc_lo, v1, v2, v1
	s_delay_alu instid0(VALU_DEP_2) | instskip(NEXT) | instid1(TRANS32_DEP_1)
	v_rcp_f32_e32 v4, v3
	v_fma_f32 v77, -v3, v4, 1.0
	s_delay_alu instid0(VALU_DEP_1) | instskip(NEXT) | instid1(VALU_DEP_1)
	v_fmac_f32_e32 v4, v77, v4
	v_mul_f32_e32 v77, v78, v4
	s_delay_alu instid0(VALU_DEP_1) | instskip(NEXT) | instid1(VALU_DEP_1)
	v_fma_f32 v81, -v3, v77, v78
	v_fmac_f32_e32 v77, v81, v4
	s_delay_alu instid0(VALU_DEP_1) | instskip(SKIP_1) | instid1(VALU_DEP_1)
	v_fma_f32 v3, -v3, v77, v78
	s_wait_alu 0xfffd
	v_div_fmas_f32 v3, v3, v4, v77
	s_delay_alu instid0(VALU_DEP_1) | instskip(NEXT) | instid1(VALU_DEP_1)
	v_div_fixup_f32 v3, v3, v2, v1
	v_fmac_f32_e32 v2, v1, v3
	s_delay_alu instid0(VALU_DEP_1) | instskip(NEXT) | instid1(VALU_DEP_1)
	v_div_scale_f32 v1, null, v2, v2, 1.0
	v_rcp_f32_e32 v4, v1
	s_delay_alu instid0(TRANS32_DEP_1) | instskip(NEXT) | instid1(VALU_DEP_1)
	v_fma_f32 v77, -v1, v4, 1.0
	v_fmac_f32_e32 v4, v77, v4
	v_div_scale_f32 v77, vcc_lo, 1.0, v2, 1.0
	s_delay_alu instid0(VALU_DEP_1) | instskip(NEXT) | instid1(VALU_DEP_1)
	v_mul_f32_e32 v78, v77, v4
	v_fma_f32 v81, -v1, v78, v77
	s_delay_alu instid0(VALU_DEP_1) | instskip(NEXT) | instid1(VALU_DEP_1)
	v_fmac_f32_e32 v78, v81, v4
	v_fma_f32 v1, -v1, v78, v77
	s_wait_alu 0xfffd
	s_delay_alu instid0(VALU_DEP_1) | instskip(NEXT) | instid1(VALU_DEP_1)
	v_div_fmas_f32 v1, v1, v4, v78
	v_div_fixup_f32 v1, v1, v2, 1.0
	s_delay_alu instid0(VALU_DEP_1) | instskip(SKIP_1) | instid1(VALU_DEP_2)
	v_mul_f32_e32 v3, v3, v1
	v_xor_b32_e32 v4, 0x80000000, v1
                                        ; implicit-def: $vgpr1_vgpr2
	v_xor_b32_e32 v77, 0x80000000, v3
.LBB35_15:
	s_wait_alu 0xfffe
	s_and_not1_saveexec_b32 s1, s1
	s_cbranch_execz .LBB35_17
; %bb.16:
	v_div_scale_f32 v3, null, v1, v1, v2
	v_div_scale_f32 v78, vcc_lo, v2, v1, v2
	s_delay_alu instid0(VALU_DEP_2) | instskip(NEXT) | instid1(TRANS32_DEP_1)
	v_rcp_f32_e32 v4, v3
	v_fma_f32 v77, -v3, v4, 1.0
	s_delay_alu instid0(VALU_DEP_1) | instskip(NEXT) | instid1(VALU_DEP_1)
	v_fmac_f32_e32 v4, v77, v4
	v_mul_f32_e32 v77, v78, v4
	s_delay_alu instid0(VALU_DEP_1) | instskip(NEXT) | instid1(VALU_DEP_1)
	v_fma_f32 v81, -v3, v77, v78
	v_fmac_f32_e32 v77, v81, v4
	s_delay_alu instid0(VALU_DEP_1) | instskip(SKIP_1) | instid1(VALU_DEP_1)
	v_fma_f32 v3, -v3, v77, v78
	s_wait_alu 0xfffd
	v_div_fmas_f32 v3, v3, v4, v77
	s_delay_alu instid0(VALU_DEP_1) | instskip(NEXT) | instid1(VALU_DEP_1)
	v_div_fixup_f32 v4, v3, v1, v2
	v_fmac_f32_e32 v1, v2, v4
	s_delay_alu instid0(VALU_DEP_1) | instskip(SKIP_1) | instid1(VALU_DEP_2)
	v_div_scale_f32 v2, null, v1, v1, 1.0
	v_div_scale_f32 v78, vcc_lo, 1.0, v1, 1.0
	v_rcp_f32_e32 v3, v2
	s_delay_alu instid0(TRANS32_DEP_1) | instskip(NEXT) | instid1(VALU_DEP_1)
	v_fma_f32 v77, -v2, v3, 1.0
	v_fmac_f32_e32 v3, v77, v3
	s_delay_alu instid0(VALU_DEP_1) | instskip(NEXT) | instid1(VALU_DEP_1)
	v_mul_f32_e32 v77, v78, v3
	v_fma_f32 v81, -v2, v77, v78
	s_delay_alu instid0(VALU_DEP_1) | instskip(NEXT) | instid1(VALU_DEP_1)
	v_fmac_f32_e32 v77, v81, v3
	v_fma_f32 v2, -v2, v77, v78
	s_wait_alu 0xfffd
	s_delay_alu instid0(VALU_DEP_1) | instskip(NEXT) | instid1(VALU_DEP_1)
	v_div_fmas_f32 v2, v2, v3, v77
	v_div_fixup_f32 v3, v2, v1, 1.0
	s_delay_alu instid0(VALU_DEP_1)
	v_xor_b32_e32 v77, 0x80000000, v3
	v_mul_f32_e64 v4, v4, -v3
.LBB35_17:
	s_wait_alu 0xfffe
	s_or_b32 exec_lo, exec_lo, s1
	scratch_store_b64 v80, v[3:4], off
	scratch_load_b64 v[2:3], off, off offset:8
	v_xor_b32_e32 v78, 0x80000000, v4
	v_add_nc_u32_e32 v1, 0x120, v79
	s_wait_loadcnt 0x0
	ds_store_2addr_b64 v79, v[77:78], v[2:3] offset1:36
	s_wait_storecnt_dscnt 0x0
	s_barrier_signal -1
	s_barrier_wait -1
	global_inv scope:SCOPE_SE
	s_and_saveexec_b32 s1, s0
	s_cbranch_execz .LBB35_19
; %bb.18:
	scratch_load_b64 v[2:3], v80, off
	ds_load_b64 v[77:78], v1
	v_mov_b32_e32 v4, 0
	ds_load_b64 v[81:82], v4 offset:8
	s_wait_loadcnt_dscnt 0x1
	v_mul_f32_e32 v4, v77, v3
	v_mul_f32_e32 v3, v78, v3
	s_delay_alu instid0(VALU_DEP_2) | instskip(NEXT) | instid1(VALU_DEP_2)
	v_fmac_f32_e32 v4, v78, v2
	v_fma_f32 v2, v77, v2, -v3
	s_delay_alu instid0(VALU_DEP_2) | instskip(NEXT) | instid1(VALU_DEP_2)
	v_add_f32_e32 v4, 0, v4
	v_add_f32_e32 v2, 0, v2
	s_wait_dscnt 0x0
	s_delay_alu instid0(VALU_DEP_2) | instskip(NEXT) | instid1(VALU_DEP_2)
	v_mul_f32_e32 v77, v4, v82
	v_mul_f32_e32 v3, v2, v82
	s_delay_alu instid0(VALU_DEP_1) | instskip(NEXT) | instid1(VALU_DEP_3)
	v_fmac_f32_e32 v3, v4, v81
	v_fma_f32 v2, v2, v81, -v77
	scratch_store_b64 off, v[2:3], off offset:8
.LBB35_19:
	s_wait_alu 0xfffe
	s_or_b32 exec_lo, exec_lo, s1
	s_wait_loadcnt 0x0
	s_wait_storecnt 0x0
	s_barrier_signal -1
	s_barrier_wait -1
	global_inv scope:SCOPE_SE
	scratch_load_b64 v[2:3], off, off offset:16
	s_mov_b32 s1, exec_lo
	s_wait_loadcnt 0x0
	ds_store_b64 v1, v[2:3]
	s_wait_dscnt 0x0
	s_barrier_signal -1
	s_barrier_wait -1
	global_inv scope:SCOPE_SE
	v_cmpx_gt_u32_e32 2, v0
	s_cbranch_execz .LBB35_23
; %bb.20:
	scratch_load_b64 v[2:3], v80, off
	ds_load_b64 v[77:78], v1
	s_wait_loadcnt_dscnt 0x0
	v_mul_f32_e32 v4, v78, v3
	v_mul_f32_e32 v81, v77, v3
	s_delay_alu instid0(VALU_DEP_2) | instskip(NEXT) | instid1(VALU_DEP_2)
	v_fma_f32 v3, v77, v2, -v4
	v_fmac_f32_e32 v81, v78, v2
	s_delay_alu instid0(VALU_DEP_1)
	v_dual_add_f32 v3, 0, v3 :: v_dual_add_f32 v2, 0, v81
	s_and_saveexec_b32 s4, s0
	s_cbranch_execz .LBB35_22
; %bb.21:
	scratch_load_b64 v[77:78], off, off offset:8
	v_mov_b32_e32 v4, 0
	ds_load_b64 v[81:82], v4 offset:296
	s_wait_loadcnt_dscnt 0x0
	v_mul_f32_e32 v4, v81, v78
	v_mul_f32_e32 v78, v82, v78
	s_delay_alu instid0(VALU_DEP_2) | instskip(NEXT) | instid1(VALU_DEP_2)
	v_fmac_f32_e32 v4, v82, v77
	v_fma_f32 v77, v81, v77, -v78
	s_delay_alu instid0(VALU_DEP_1)
	v_dual_add_f32 v2, v2, v4 :: v_dual_add_f32 v3, v3, v77
.LBB35_22:
	s_wait_alu 0xfffe
	s_or_b32 exec_lo, exec_lo, s4
	v_mov_b32_e32 v4, 0
	ds_load_b64 v[77:78], v4 offset:16
	s_wait_dscnt 0x0
	v_mul_f32_e32 v81, v2, v78
	v_mul_f32_e32 v4, v3, v78
	s_delay_alu instid0(VALU_DEP_2) | instskip(NEXT) | instid1(VALU_DEP_2)
	v_fma_f32 v3, v3, v77, -v81
	v_fmac_f32_e32 v4, v2, v77
	scratch_store_b64 off, v[3:4], off offset:16
.LBB35_23:
	s_wait_alu 0xfffe
	s_or_b32 exec_lo, exec_lo, s1
	s_wait_loadcnt 0x0
	s_wait_storecnt 0x0
	s_barrier_signal -1
	s_barrier_wait -1
	global_inv scope:SCOPE_SE
	scratch_load_b64 v[3:4], off, off offset:24
	v_add_nc_u32_e32 v2, -1, v0
	s_mov_b32 s0, exec_lo
	s_wait_loadcnt 0x0
	ds_store_b64 v1, v[3:4]
	s_wait_dscnt 0x0
	s_barrier_signal -1
	s_barrier_wait -1
	global_inv scope:SCOPE_SE
	v_cmpx_gt_u32_e32 3, v0
	s_cbranch_execz .LBB35_27
; %bb.24:
	v_dual_mov_b32 v3, 0 :: v_dual_add_nc_u32 v4, -1, v0
	v_dual_mov_b32 v78, v79 :: v_dual_add_nc_u32 v77, 0x120, v79
	v_mov_b32_e32 v81, 0
	s_mov_b32 s1, 0
.LBB35_25:                              ; =>This Inner Loop Header: Depth=1
	scratch_load_b64 v[82:83], v78, off
	ds_load_b64 v[84:85], v77
	v_add_nc_u32_e32 v4, 1, v4
	v_add_nc_u32_e32 v77, 8, v77
	s_delay_alu instid0(VALU_DEP_2)
	v_cmp_lt_u32_e32 vcc_lo, 1, v4
	s_wait_alu 0xfffe
	s_or_b32 s1, vcc_lo, s1
	s_wait_loadcnt_dscnt 0x0
	v_mul_f32_e32 v86, v85, v83
	v_mul_f32_e32 v83, v84, v83
	s_delay_alu instid0(VALU_DEP_2) | instskip(NEXT) | instid1(VALU_DEP_2)
	v_fma_f32 v84, v84, v82, -v86
	v_fmac_f32_e32 v83, v85, v82
	s_delay_alu instid0(VALU_DEP_2) | instskip(NEXT) | instid1(VALU_DEP_2)
	v_dual_add_f32 v81, v81, v84 :: v_dual_add_nc_u32 v78, 8, v78
	v_add_f32_e32 v3, v3, v83
	s_wait_alu 0xfffe
	s_and_not1_b32 exec_lo, exec_lo, s1
	s_cbranch_execnz .LBB35_25
; %bb.26:
	s_or_b32 exec_lo, exec_lo, s1
	v_mov_b32_e32 v4, 0
	ds_load_b64 v[77:78], v4 offset:24
	s_wait_dscnt 0x0
	v_mul_f32_e32 v4, v3, v78
	v_mul_f32_e32 v82, v81, v78
	s_delay_alu instid0(VALU_DEP_2) | instskip(NEXT) | instid1(VALU_DEP_2)
	v_fma_f32 v81, v81, v77, -v4
	v_fmac_f32_e32 v82, v3, v77
	scratch_store_b64 off, v[81:82], off offset:24
.LBB35_27:
	s_wait_alu 0xfffe
	s_or_b32 exec_lo, exec_lo, s0
	s_wait_loadcnt 0x0
	s_wait_storecnt 0x0
	s_barrier_signal -1
	s_barrier_wait -1
	global_inv scope:SCOPE_SE
	scratch_load_b64 v[3:4], off, off offset:32
	s_mov_b32 s0, exec_lo
	s_wait_loadcnt 0x0
	ds_store_b64 v1, v[3:4]
	s_wait_dscnt 0x0
	s_barrier_signal -1
	s_barrier_wait -1
	global_inv scope:SCOPE_SE
	v_cmpx_gt_u32_e32 4, v0
	s_cbranch_execz .LBB35_31
; %bb.28:
	v_dual_mov_b32 v3, 0 :: v_dual_add_nc_u32 v4, -1, v0
	v_dual_mov_b32 v78, v79 :: v_dual_add_nc_u32 v77, 0x120, v79
	v_mov_b32_e32 v81, 0
	s_mov_b32 s1, 0
.LBB35_29:                              ; =>This Inner Loop Header: Depth=1
	scratch_load_b64 v[82:83], v78, off
	ds_load_b64 v[84:85], v77
	v_add_nc_u32_e32 v4, 1, v4
	v_add_nc_u32_e32 v77, 8, v77
	s_delay_alu instid0(VALU_DEP_2)
	v_cmp_lt_u32_e32 vcc_lo, 2, v4
	s_wait_alu 0xfffe
	s_or_b32 s1, vcc_lo, s1
	s_wait_loadcnt_dscnt 0x0
	v_mul_f32_e32 v86, v85, v83
	v_mul_f32_e32 v83, v84, v83
	s_delay_alu instid0(VALU_DEP_2) | instskip(NEXT) | instid1(VALU_DEP_2)
	v_fma_f32 v84, v84, v82, -v86
	v_fmac_f32_e32 v83, v85, v82
	s_delay_alu instid0(VALU_DEP_2) | instskip(NEXT) | instid1(VALU_DEP_2)
	v_dual_add_f32 v81, v81, v84 :: v_dual_add_nc_u32 v78, 8, v78
	v_add_f32_e32 v3, v3, v83
	s_wait_alu 0xfffe
	s_and_not1_b32 exec_lo, exec_lo, s1
	s_cbranch_execnz .LBB35_29
; %bb.30:
	s_or_b32 exec_lo, exec_lo, s1
	v_mov_b32_e32 v4, 0
	ds_load_b64 v[77:78], v4 offset:32
	s_wait_dscnt 0x0
	v_mul_f32_e32 v4, v3, v78
	v_mul_f32_e32 v82, v81, v78
	s_delay_alu instid0(VALU_DEP_2) | instskip(NEXT) | instid1(VALU_DEP_2)
	v_fma_f32 v81, v81, v77, -v4
	v_fmac_f32_e32 v82, v3, v77
	scratch_store_b64 off, v[81:82], off offset:32
.LBB35_31:
	s_wait_alu 0xfffe
	s_or_b32 exec_lo, exec_lo, s0
	s_wait_loadcnt 0x0
	s_wait_storecnt 0x0
	s_barrier_signal -1
	s_barrier_wait -1
	global_inv scope:SCOPE_SE
	scratch_load_b64 v[3:4], off, off offset:40
	;; [unrolled: 55-line block ×19, first 2 shown]
	s_mov_b32 s0, exec_lo
	s_wait_loadcnt 0x0
	ds_store_b64 v1, v[3:4]
	s_wait_dscnt 0x0
	s_barrier_signal -1
	s_barrier_wait -1
	global_inv scope:SCOPE_SE
	v_cmpx_gt_u32_e32 22, v0
	s_cbranch_execz .LBB35_103
; %bb.100:
	v_dual_mov_b32 v3, 0 :: v_dual_add_nc_u32 v4, -1, v0
	v_dual_mov_b32 v78, v79 :: v_dual_add_nc_u32 v77, 0x120, v79
	v_mov_b32_e32 v81, 0
	s_mov_b32 s1, 0
.LBB35_101:                             ; =>This Inner Loop Header: Depth=1
	scratch_load_b64 v[82:83], v78, off
	ds_load_b64 v[84:85], v77
	v_add_nc_u32_e32 v4, 1, v4
	v_add_nc_u32_e32 v77, 8, v77
	s_delay_alu instid0(VALU_DEP_2)
	v_cmp_lt_u32_e32 vcc_lo, 20, v4
	s_wait_alu 0xfffe
	s_or_b32 s1, vcc_lo, s1
	s_wait_loadcnt_dscnt 0x0
	v_mul_f32_e32 v86, v85, v83
	v_mul_f32_e32 v83, v84, v83
	s_delay_alu instid0(VALU_DEP_2) | instskip(NEXT) | instid1(VALU_DEP_2)
	v_fma_f32 v84, v84, v82, -v86
	v_fmac_f32_e32 v83, v85, v82
	s_delay_alu instid0(VALU_DEP_2) | instskip(NEXT) | instid1(VALU_DEP_2)
	v_dual_add_f32 v81, v81, v84 :: v_dual_add_nc_u32 v78, 8, v78
	v_add_f32_e32 v3, v3, v83
	s_wait_alu 0xfffe
	s_and_not1_b32 exec_lo, exec_lo, s1
	s_cbranch_execnz .LBB35_101
; %bb.102:
	s_or_b32 exec_lo, exec_lo, s1
	v_mov_b32_e32 v4, 0
	ds_load_b64 v[77:78], v4 offset:176
	s_wait_dscnt 0x0
	v_mul_f32_e32 v4, v3, v78
	v_mul_f32_e32 v82, v81, v78
	s_delay_alu instid0(VALU_DEP_2) | instskip(NEXT) | instid1(VALU_DEP_2)
	v_fma_f32 v81, v81, v77, -v4
	v_fmac_f32_e32 v82, v3, v77
	scratch_store_b64 off, v[81:82], off offset:176
.LBB35_103:
	s_wait_alu 0xfffe
	s_or_b32 exec_lo, exec_lo, s0
	s_wait_loadcnt 0x0
	s_wait_storecnt 0x0
	s_barrier_signal -1
	s_barrier_wait -1
	global_inv scope:SCOPE_SE
	scratch_load_b64 v[3:4], off, off offset:184
	s_mov_b32 s0, exec_lo
	s_wait_loadcnt 0x0
	ds_store_b64 v1, v[3:4]
	s_wait_dscnt 0x0
	s_barrier_signal -1
	s_barrier_wait -1
	global_inv scope:SCOPE_SE
	v_cmpx_gt_u32_e32 23, v0
	s_cbranch_execz .LBB35_107
; %bb.104:
	v_dual_mov_b32 v3, 0 :: v_dual_add_nc_u32 v4, -1, v0
	v_dual_mov_b32 v78, v79 :: v_dual_add_nc_u32 v77, 0x120, v79
	v_mov_b32_e32 v81, 0
	s_mov_b32 s1, 0
.LBB35_105:                             ; =>This Inner Loop Header: Depth=1
	scratch_load_b64 v[82:83], v78, off
	ds_load_b64 v[84:85], v77
	v_add_nc_u32_e32 v4, 1, v4
	v_add_nc_u32_e32 v77, 8, v77
	s_delay_alu instid0(VALU_DEP_2)
	v_cmp_lt_u32_e32 vcc_lo, 21, v4
	s_wait_alu 0xfffe
	s_or_b32 s1, vcc_lo, s1
	s_wait_loadcnt_dscnt 0x0
	v_mul_f32_e32 v86, v85, v83
	v_mul_f32_e32 v83, v84, v83
	s_delay_alu instid0(VALU_DEP_2) | instskip(NEXT) | instid1(VALU_DEP_2)
	v_fma_f32 v84, v84, v82, -v86
	v_fmac_f32_e32 v83, v85, v82
	s_delay_alu instid0(VALU_DEP_2) | instskip(NEXT) | instid1(VALU_DEP_2)
	v_dual_add_f32 v81, v81, v84 :: v_dual_add_nc_u32 v78, 8, v78
	v_add_f32_e32 v3, v3, v83
	s_wait_alu 0xfffe
	s_and_not1_b32 exec_lo, exec_lo, s1
	s_cbranch_execnz .LBB35_105
; %bb.106:
	s_or_b32 exec_lo, exec_lo, s1
	v_mov_b32_e32 v4, 0
	ds_load_b64 v[77:78], v4 offset:184
	s_wait_dscnt 0x0
	v_mul_f32_e32 v4, v3, v78
	v_mul_f32_e32 v82, v81, v78
	s_delay_alu instid0(VALU_DEP_2) | instskip(NEXT) | instid1(VALU_DEP_2)
	v_fma_f32 v81, v81, v77, -v4
	v_fmac_f32_e32 v82, v3, v77
	scratch_store_b64 off, v[81:82], off offset:184
.LBB35_107:
	s_wait_alu 0xfffe
	s_or_b32 exec_lo, exec_lo, s0
	s_wait_loadcnt 0x0
	s_wait_storecnt 0x0
	s_barrier_signal -1
	s_barrier_wait -1
	global_inv scope:SCOPE_SE
	scratch_load_b64 v[3:4], off, off offset:192
	;; [unrolled: 55-line block ×12, first 2 shown]
	s_mov_b32 s0, exec_lo
	s_wait_loadcnt 0x0
	ds_store_b64 v1, v[3:4]
	s_wait_dscnt 0x0
	s_barrier_signal -1
	s_barrier_wait -1
	global_inv scope:SCOPE_SE
	v_cmpx_gt_u32_e32 34, v0
	s_cbranch_execz .LBB35_151
; %bb.148:
	v_dual_mov_b32 v3, 0 :: v_dual_add_nc_u32 v4, -1, v0
	v_dual_mov_b32 v78, v79 :: v_dual_add_nc_u32 v77, 0x120, v79
	v_mov_b32_e32 v79, 0
	s_mov_b32 s1, 0
.LBB35_149:                             ; =>This Inner Loop Header: Depth=1
	scratch_load_b64 v[81:82], v78, off
	ds_load_b64 v[83:84], v77
	v_add_nc_u32_e32 v78, 8, v78
	v_add_nc_u32_e32 v4, 1, v4
	;; [unrolled: 1-line block ×3, first 2 shown]
	s_delay_alu instid0(VALU_DEP_2)
	v_cmp_lt_u32_e32 vcc_lo, 32, v4
	s_wait_alu 0xfffe
	s_or_b32 s1, vcc_lo, s1
	s_wait_loadcnt_dscnt 0x0
	v_mul_f32_e32 v85, v84, v82
	v_mul_f32_e32 v82, v83, v82
	s_delay_alu instid0(VALU_DEP_2) | instskip(NEXT) | instid1(VALU_DEP_1)
	v_fma_f32 v83, v83, v81, -v85
	v_dual_fmac_f32 v82, v84, v81 :: v_dual_add_f32 v79, v79, v83
	s_delay_alu instid0(VALU_DEP_1)
	v_add_f32_e32 v3, v3, v82
	s_wait_alu 0xfffe
	s_and_not1_b32 exec_lo, exec_lo, s1
	s_cbranch_execnz .LBB35_149
; %bb.150:
	s_or_b32 exec_lo, exec_lo, s1
	v_mov_b32_e32 v4, 0
	ds_load_b64 v[77:78], v4 offset:272
	s_wait_dscnt 0x0
	v_mul_f32_e32 v4, v3, v78
	v_mul_f32_e32 v82, v79, v78
	s_delay_alu instid0(VALU_DEP_2) | instskip(NEXT) | instid1(VALU_DEP_2)
	v_fma_f32 v81, v79, v77, -v4
	v_fmac_f32_e32 v82, v3, v77
	scratch_store_b64 off, v[81:82], off offset:272
.LBB35_151:
	s_wait_alu 0xfffe
	s_or_b32 exec_lo, exec_lo, s0
	s_wait_loadcnt 0x0
	s_wait_storecnt 0x0
	s_barrier_signal -1
	s_barrier_wait -1
	global_inv scope:SCOPE_SE
	scratch_load_b64 v[3:4], off, off offset:280
	s_mov_b32 s0, exec_lo
	s_wait_loadcnt 0x0
	ds_store_b64 v1, v[3:4]
	s_wait_dscnt 0x0
	s_barrier_signal -1
	s_barrier_wait -1
	global_inv scope:SCOPE_SE
	v_cmpx_ne_u32_e32 35, v0
	s_cbranch_execz .LBB35_155
; %bb.152:
	v_dual_mov_b32 v3, 0 :: v_dual_mov_b32 v4, 0
	s_mov_b32 s1, 0
.LBB35_153:                             ; =>This Inner Loop Header: Depth=1
	scratch_load_b64 v[77:78], v80, off
	ds_load_b64 v[81:82], v1
	v_add_nc_u32_e32 v2, 1, v2
	v_add_nc_u32_e32 v1, 8, v1
	;; [unrolled: 1-line block ×3, first 2 shown]
	s_delay_alu instid0(VALU_DEP_3)
	v_cmp_lt_u32_e32 vcc_lo, 33, v2
	s_wait_alu 0xfffe
	s_or_b32 s1, vcc_lo, s1
	s_wait_loadcnt_dscnt 0x0
	v_mul_f32_e32 v79, v82, v78
	v_mul_f32_e32 v78, v81, v78
	s_delay_alu instid0(VALU_DEP_2) | instskip(NEXT) | instid1(VALU_DEP_2)
	v_fma_f32 v79, v81, v77, -v79
	v_fmac_f32_e32 v78, v82, v77
	s_delay_alu instid0(VALU_DEP_1)
	v_dual_add_f32 v4, v4, v79 :: v_dual_add_f32 v3, v3, v78
	s_wait_alu 0xfffe
	s_and_not1_b32 exec_lo, exec_lo, s1
	s_cbranch_execnz .LBB35_153
; %bb.154:
	s_or_b32 exec_lo, exec_lo, s1
	v_mov_b32_e32 v1, 0
	ds_load_b64 v[1:2], v1 offset:280
	s_wait_dscnt 0x0
	v_mul_f32_e32 v77, v3, v2
	v_mul_f32_e32 v78, v4, v2
	s_delay_alu instid0(VALU_DEP_2) | instskip(NEXT) | instid1(VALU_DEP_2)
	v_fma_f32 v77, v4, v1, -v77
	v_fmac_f32_e32 v78, v3, v1
	scratch_store_b64 off, v[77:78], off offset:280
.LBB35_155:
	s_wait_alu 0xfffe
	s_or_b32 exec_lo, exec_lo, s0
	s_mov_b32 s1, -1
	s_wait_loadcnt 0x0
	s_wait_storecnt 0x0
	s_barrier_signal -1
	s_barrier_wait -1
	global_inv scope:SCOPE_SE
.LBB35_156:
	s_wait_alu 0xfffe
	s_and_b32 vcc_lo, exec_lo, s1
	s_wait_alu 0xfffe
	s_cbranch_vccz .LBB35_158
; %bb.157:
	v_mov_b32_e32 v1, 0
	s_lshl_b64 s[0:1], s[16:17], 2
	s_wait_alu 0xfffe
	s_add_nc_u64 s[0:1], s[6:7], s[0:1]
	global_load_b32 v1, v1, s[0:1]
	s_wait_loadcnt 0x0
	v_cmp_ne_u32_e32 vcc_lo, 0, v1
	s_cbranch_vccz .LBB35_159
.LBB35_158:
	s_nop 0
	s_sendmsg sendmsg(MSG_DEALLOC_VGPRS)
	s_endpgm
.LBB35_159:
	v_lshl_add_u32 v3, v0, 3, 0x120
	s_mov_b32 s0, exec_lo
	v_cmpx_eq_u32_e32 35, v0
	s_cbranch_execz .LBB35_161
; %bb.160:
	scratch_load_b64 v[1:2], off, off offset:272
	v_mov_b32_e32 v77, 0
	s_delay_alu instid0(VALU_DEP_1)
	v_mov_b32_e32 v78, v77
	scratch_store_b64 off, v[77:78], off offset:272
	s_wait_loadcnt 0x0
	ds_store_b64 v3, v[1:2]
.LBB35_161:
	s_wait_alu 0xfffe
	s_or_b32 exec_lo, exec_lo, s0
	s_wait_storecnt_dscnt 0x0
	s_barrier_signal -1
	s_barrier_wait -1
	global_inv scope:SCOPE_SE
	s_clause 0x1
	scratch_load_b64 v[77:78], off, off offset:280
	scratch_load_b64 v[79:80], off, off offset:272
	v_mov_b32_e32 v1, 0
	s_mov_b32 s0, exec_lo
	ds_load_b64 v[81:82], v1 offset:568
	s_wait_loadcnt_dscnt 0x100
	v_mul_f32_e32 v2, v82, v78
	v_mul_f32_e32 v4, v81, v78
	s_delay_alu instid0(VALU_DEP_2) | instskip(NEXT) | instid1(VALU_DEP_1)
	v_fma_f32 v2, v81, v77, -v2
	v_add_f32_e32 v2, 0, v2
	s_wait_loadcnt 0x0
	s_delay_alu instid0(VALU_DEP_1) | instskip(NEXT) | instid1(VALU_DEP_1)
	v_dual_fmac_f32 v4, v82, v77 :: v_dual_sub_f32 v77, v79, v2
	v_add_f32_e32 v4, 0, v4
	s_delay_alu instid0(VALU_DEP_1)
	v_sub_f32_e32 v78, v80, v4
	scratch_store_b64 off, v[77:78], off offset:272
	v_cmpx_lt_u32_e32 33, v0
	s_cbranch_execz .LBB35_163
; %bb.162:
	scratch_load_b64 v[77:78], off, off offset:264
	v_mov_b32_e32 v2, v1
	scratch_store_b64 off, v[1:2], off offset:264
	s_wait_loadcnt 0x0
	ds_store_b64 v3, v[77:78]
.LBB35_163:
	s_wait_alu 0xfffe
	s_or_b32 exec_lo, exec_lo, s0
	s_wait_storecnt_dscnt 0x0
	s_barrier_signal -1
	s_barrier_wait -1
	global_inv scope:SCOPE_SE
	s_clause 0x1
	scratch_load_b128 v[77:80], off, off offset:272
	scratch_load_b64 v[85:86], off, off offset:264
	ds_load_b128 v[81:84], v1 offset:560
	s_mov_b32 s0, exec_lo
	s_wait_loadcnt_dscnt 0x100
	v_dual_mul_f32 v1, v82, v78 :: v_dual_mul_f32 v4, v83, v80
	s_delay_alu instid0(VALU_DEP_1) | instskip(NEXT) | instid1(VALU_DEP_1)
	v_fma_f32 v1, v81, v77, -v1
	v_dual_mul_f32 v2, v81, v78 :: v_dual_add_f32 v1, 0, v1
	v_mul_f32_e32 v78, v84, v80
	s_delay_alu instid0(VALU_DEP_2) | instskip(NEXT) | instid1(VALU_DEP_2)
	v_fmac_f32_e32 v2, v82, v77
	v_fma_f32 v77, v83, v79, -v78
	s_delay_alu instid0(VALU_DEP_1) | instskip(SKIP_1) | instid1(VALU_DEP_1)
	v_dual_add_f32 v2, 0, v2 :: v_dual_add_f32 v1, v1, v77
	s_wait_loadcnt 0x0
	v_dual_fmac_f32 v4, v84, v79 :: v_dual_sub_f32 v1, v85, v1
	s_delay_alu instid0(VALU_DEP_1) | instskip(NEXT) | instid1(VALU_DEP_1)
	v_add_f32_e32 v2, v2, v4
	v_sub_f32_e32 v2, v86, v2
	scratch_store_b64 off, v[1:2], off offset:264
	v_cmpx_lt_u32_e32 32, v0
	s_cbranch_execz .LBB35_165
; %bb.164:
	scratch_load_b64 v[1:2], off, off offset:256
	v_mov_b32_e32 v77, 0
	s_delay_alu instid0(VALU_DEP_1)
	v_mov_b32_e32 v78, v77
	scratch_store_b64 off, v[77:78], off offset:256
	s_wait_loadcnt 0x0
	ds_store_b64 v3, v[1:2]
.LBB35_165:
	s_wait_alu 0xfffe
	s_or_b32 exec_lo, exec_lo, s0
	s_wait_storecnt_dscnt 0x0
	s_barrier_signal -1
	s_barrier_wait -1
	global_inv scope:SCOPE_SE
	s_clause 0x2
	scratch_load_b128 v[77:80], off, off offset:264
	scratch_load_b64 v[85:86], off, off offset:280
	scratch_load_b64 v[87:88], off, off offset:256
	v_mov_b32_e32 v1, 0
	ds_load_2addr_b64 v[81:84], v1 offset0:69 offset1:70
	ds_load_b64 v[89:90], v1 offset:568
	s_mov_b32 s0, exec_lo
	s_wait_loadcnt_dscnt 0x201
	v_mul_f32_e32 v2, v82, v78
	s_wait_loadcnt_dscnt 0x100
	v_mul_f32_e32 v91, v89, v86
	v_mul_f32_e32 v4, v81, v78
	;; [unrolled: 1-line block ×4, first 2 shown]
	v_fma_f32 v2, v81, v77, -v2
	v_fmac_f32_e32 v91, v90, v85
	v_fmac_f32_e32 v4, v82, v77
	v_dual_mul_f32 v77, v90, v86 :: v_dual_fmac_f32 v78, v84, v79
	v_fma_f32 v79, v83, v79, -v80
	v_add_f32_e32 v2, 0, v2
	s_delay_alu instid0(VALU_DEP_3) | instskip(NEXT) | instid1(VALU_DEP_2)
	v_fma_f32 v77, v89, v85, -v77
	v_add_f32_e32 v2, v2, v79
	s_delay_alu instid0(VALU_DEP_1) | instskip(SKIP_1) | instid1(VALU_DEP_1)
	v_add_f32_e32 v2, v2, v77
	s_wait_loadcnt 0x0
	v_dual_sub_f32 v77, v87, v2 :: v_dual_add_f32 v4, 0, v4
	s_delay_alu instid0(VALU_DEP_1) | instskip(NEXT) | instid1(VALU_DEP_1)
	v_add_f32_e32 v4, v4, v78
	v_add_f32_e32 v4, v4, v91
	s_delay_alu instid0(VALU_DEP_1)
	v_sub_f32_e32 v78, v88, v4
	scratch_store_b64 off, v[77:78], off offset:256
	v_cmpx_lt_u32_e32 31, v0
	s_cbranch_execz .LBB35_167
; %bb.166:
	scratch_load_b64 v[77:78], off, off offset:248
	v_mov_b32_e32 v2, v1
	scratch_store_b64 off, v[1:2], off offset:248
	s_wait_loadcnt 0x0
	ds_store_b64 v3, v[77:78]
.LBB35_167:
	s_wait_alu 0xfffe
	s_or_b32 exec_lo, exec_lo, s0
	s_wait_storecnt_dscnt 0x0
	s_barrier_signal -1
	s_barrier_wait -1
	global_inv scope:SCOPE_SE
	s_clause 0x2
	scratch_load_b128 v[77:80], off, off offset:256
	scratch_load_b128 v[81:84], off, off offset:272
	scratch_load_b64 v[93:94], off, off offset:248
	ds_load_b128 v[85:88], v1 offset:544
	ds_load_b128 v[89:92], v1 offset:560
	s_mov_b32 s0, exec_lo
	s_wait_loadcnt_dscnt 0x201
	v_dual_mul_f32 v1, v85, v78 :: v_dual_mul_f32 v4, v87, v80
	s_wait_loadcnt_dscnt 0x100
	v_dual_mul_f32 v2, v86, v78 :: v_dual_mul_f32 v95, v91, v84
	s_delay_alu instid0(VALU_DEP_2) | instskip(SKIP_1) | instid1(VALU_DEP_3)
	v_dual_mul_f32 v78, v89, v82 :: v_dual_fmac_f32 v1, v86, v77
	v_mul_f32_e32 v80, v88, v80
	v_fma_f32 v2, v85, v77, -v2
	v_dual_mul_f32 v77, v90, v82 :: v_dual_fmac_f32 v4, v88, v79
	s_delay_alu instid0(VALU_DEP_4) | instskip(NEXT) | instid1(VALU_DEP_4)
	v_add_f32_e32 v1, 0, v1
	v_fma_f32 v79, v87, v79, -v80
	s_delay_alu instid0(VALU_DEP_4) | instskip(SKIP_4) | instid1(VALU_DEP_2)
	v_add_f32_e32 v2, 0, v2
	v_dual_fmac_f32 v78, v90, v81 :: v_dual_fmac_f32 v95, v92, v83
	v_fma_f32 v77, v89, v81, -v77
	v_add_f32_e32 v1, v1, v4
	v_mul_f32_e32 v80, v92, v84
	v_dual_add_f32 v2, v2, v79 :: v_dual_add_f32 v1, v1, v78
	s_delay_alu instid0(VALU_DEP_2) | instskip(NEXT) | instid1(VALU_DEP_2)
	v_fma_f32 v4, v91, v83, -v80
	v_add_f32_e32 v2, v2, v77
	s_delay_alu instid0(VALU_DEP_1) | instskip(NEXT) | instid1(VALU_DEP_4)
	v_add_f32_e32 v2, v2, v4
	v_add_f32_e32 v4, v1, v95
	s_wait_loadcnt 0x0
	s_delay_alu instid0(VALU_DEP_1)
	v_dual_sub_f32 v1, v93, v2 :: v_dual_sub_f32 v2, v94, v4
	scratch_store_b64 off, v[1:2], off offset:248
	v_cmpx_lt_u32_e32 30, v0
	s_cbranch_execz .LBB35_169
; %bb.168:
	scratch_load_b64 v[1:2], off, off offset:240
	v_mov_b32_e32 v77, 0
	s_delay_alu instid0(VALU_DEP_1)
	v_mov_b32_e32 v78, v77
	scratch_store_b64 off, v[77:78], off offset:240
	s_wait_loadcnt 0x0
	ds_store_b64 v3, v[1:2]
.LBB35_169:
	s_wait_alu 0xfffe
	s_or_b32 exec_lo, exec_lo, s0
	s_wait_storecnt_dscnt 0x0
	s_barrier_signal -1
	s_barrier_wait -1
	global_inv scope:SCOPE_SE
	s_clause 0x3
	scratch_load_b128 v[77:80], off, off offset:248
	scratch_load_b128 v[81:84], off, off offset:264
	scratch_load_b64 v[93:94], off, off offset:280
	scratch_load_b64 v[95:96], off, off offset:240
	v_mov_b32_e32 v1, 0
	ds_load_2addr_b64 v[85:88], v1 offset0:67 offset1:68
	ds_load_2addr_b64 v[89:92], v1 offset0:69 offset1:70
	ds_load_b64 v[97:98], v1 offset:568
	s_mov_b32 s0, exec_lo
	s_wait_loadcnt_dscnt 0x302
	v_mul_f32_e32 v2, v85, v78
	v_mul_f32_e32 v78, v86, v78
	s_wait_loadcnt_dscnt 0x201
	v_dual_mul_f32 v4, v87, v80 :: v_dual_mul_f32 v99, v89, v82
	v_mul_f32_e32 v80, v88, v80
	s_wait_loadcnt_dscnt 0x100
	v_dual_mul_f32 v100, v91, v84 :: v_dual_mul_f32 v101, v97, v94
	v_fma_f32 v78, v85, v77, -v78
	v_fmac_f32_e32 v2, v86, v77
	v_dual_mul_f32 v77, v90, v82 :: v_dual_fmac_f32 v4, v88, v79
	v_fmac_f32_e32 v99, v90, v81
	v_fma_f32 v79, v87, v79, -v80
	v_dual_add_f32 v78, 0, v78 :: v_dual_fmac_f32 v101, v98, v93
	s_delay_alu instid0(VALU_DEP_4) | instskip(SKIP_2) | instid1(VALU_DEP_4)
	v_fma_f32 v77, v89, v81, -v77
	v_mul_f32_e32 v80, v92, v84
	v_fmac_f32_e32 v100, v92, v83
	v_add_f32_e32 v78, v78, v79
	v_add_f32_e32 v2, 0, v2
	s_delay_alu instid0(VALU_DEP_4) | instskip(NEXT) | instid1(VALU_DEP_3)
	v_fma_f32 v79, v91, v83, -v80
	v_add_f32_e32 v77, v78, v77
	s_delay_alu instid0(VALU_DEP_3) | instskip(NEXT) | instid1(VALU_DEP_2)
	v_add_f32_e32 v2, v2, v4
	v_dual_mul_f32 v4, v98, v94 :: v_dual_add_f32 v77, v77, v79
	s_delay_alu instid0(VALU_DEP_2) | instskip(NEXT) | instid1(VALU_DEP_2)
	v_add_f32_e32 v2, v2, v99
	v_fma_f32 v4, v97, v93, -v4
	s_delay_alu instid0(VALU_DEP_2) | instskip(NEXT) | instid1(VALU_DEP_2)
	v_add_f32_e32 v2, v2, v100
	v_add_f32_e32 v4, v77, v4
	s_wait_loadcnt 0x0
	s_delay_alu instid0(VALU_DEP_1) | instskip(NEXT) | instid1(VALU_DEP_1)
	v_dual_add_f32 v2, v2, v101 :: v_dual_sub_f32 v77, v95, v4
	v_sub_f32_e32 v78, v96, v2
	scratch_store_b64 off, v[77:78], off offset:240
	v_cmpx_lt_u32_e32 29, v0
	s_cbranch_execz .LBB35_171
; %bb.170:
	scratch_load_b64 v[77:78], off, off offset:232
	v_mov_b32_e32 v2, v1
	scratch_store_b64 off, v[1:2], off offset:232
	s_wait_loadcnt 0x0
	ds_store_b64 v3, v[77:78]
.LBB35_171:
	s_wait_alu 0xfffe
	s_or_b32 exec_lo, exec_lo, s0
	s_wait_storecnt_dscnt 0x0
	s_barrier_signal -1
	s_barrier_wait -1
	global_inv scope:SCOPE_SE
	s_clause 0x3
	scratch_load_b128 v[77:80], off, off offset:240
	scratch_load_b128 v[81:84], off, off offset:256
	;; [unrolled: 1-line block ×3, first 2 shown]
	scratch_load_b64 v[101:102], off, off offset:232
	ds_load_b128 v[89:92], v1 offset:528
	ds_load_b128 v[93:96], v1 offset:544
	;; [unrolled: 1-line block ×3, first 2 shown]
	s_mov_b32 s0, exec_lo
	s_wait_loadcnt_dscnt 0x302
	v_dual_mul_f32 v1, v89, v78 :: v_dual_mul_f32 v2, v91, v80
	s_wait_loadcnt_dscnt 0x100
	v_dual_mul_f32 v78, v90, v78 :: v_dual_mul_f32 v105, v99, v88
	s_delay_alu instid0(VALU_DEP_2) | instskip(SKIP_1) | instid1(VALU_DEP_3)
	v_dual_mul_f32 v104, v97, v86 :: v_dual_fmac_f32 v1, v90, v77
	v_mul_f32_e32 v80, v92, v80
	v_fma_f32 v78, v89, v77, -v78
	v_dual_mul_f32 v4, v93, v82 :: v_dual_mul_f32 v103, v95, v84
	v_dual_mul_f32 v77, v94, v82 :: v_dual_fmac_f32 v2, v92, v79
	v_add_f32_e32 v1, 0, v1
	v_fma_f32 v79, v91, v79, -v80
	s_delay_alu instid0(VALU_DEP_4) | instskip(NEXT) | instid1(VALU_DEP_3)
	v_dual_add_f32 v78, 0, v78 :: v_dual_fmac_f32 v103, v96, v83
	v_dual_mul_f32 v80, v96, v84 :: v_dual_add_f32 v1, v1, v2
	v_fma_f32 v77, v93, v81, -v77
	s_delay_alu instid0(VALU_DEP_3) | instskip(SKIP_1) | instid1(VALU_DEP_4)
	v_add_f32_e32 v78, v78, v79
	v_dual_fmac_f32 v104, v98, v85 :: v_dual_fmac_f32 v105, v100, v87
	v_fma_f32 v79, v95, v83, -v80
	s_delay_alu instid0(VALU_DEP_3) | instskip(NEXT) | instid1(VALU_DEP_1)
	v_add_f32_e32 v77, v78, v77
	v_dual_fmac_f32 v4, v94, v81 :: v_dual_add_f32 v77, v77, v79
	s_delay_alu instid0(VALU_DEP_1) | instskip(NEXT) | instid1(VALU_DEP_1)
	v_dual_add_f32 v1, v1, v4 :: v_dual_mul_f32 v2, v98, v86
	v_dual_mul_f32 v4, v100, v88 :: v_dual_add_f32 v1, v1, v103
	s_delay_alu instid0(VALU_DEP_2) | instskip(NEXT) | instid1(VALU_DEP_2)
	v_fma_f32 v2, v97, v85, -v2
	v_fma_f32 v4, v99, v87, -v4
	s_delay_alu instid0(VALU_DEP_3) | instskip(NEXT) | instid1(VALU_DEP_3)
	v_add_f32_e32 v1, v1, v104
	v_add_f32_e32 v2, v77, v2
	s_delay_alu instid0(VALU_DEP_1) | instskip(NEXT) | instid1(VALU_DEP_3)
	v_add_f32_e32 v2, v2, v4
	v_add_f32_e32 v4, v1, v105
	s_wait_loadcnt 0x0
	s_delay_alu instid0(VALU_DEP_1)
	v_dual_sub_f32 v1, v101, v2 :: v_dual_sub_f32 v2, v102, v4
	scratch_store_b64 off, v[1:2], off offset:232
	v_cmpx_lt_u32_e32 28, v0
	s_cbranch_execz .LBB35_173
; %bb.172:
	scratch_load_b64 v[1:2], off, off offset:224
	v_mov_b32_e32 v77, 0
	s_delay_alu instid0(VALU_DEP_1)
	v_mov_b32_e32 v78, v77
	scratch_store_b64 off, v[77:78], off offset:224
	s_wait_loadcnt 0x0
	ds_store_b64 v3, v[1:2]
.LBB35_173:
	s_wait_alu 0xfffe
	s_or_b32 exec_lo, exec_lo, s0
	s_wait_storecnt_dscnt 0x0
	s_barrier_signal -1
	s_barrier_wait -1
	global_inv scope:SCOPE_SE
	s_clause 0x4
	scratch_load_b128 v[77:80], off, off offset:232
	scratch_load_b128 v[81:84], off, off offset:248
	scratch_load_b128 v[85:88], off, off offset:264
	scratch_load_b64 v[101:102], off, off offset:280
	scratch_load_b64 v[103:104], off, off offset:224
	v_mov_b32_e32 v1, 0
	ds_load_2addr_b64 v[89:92], v1 offset0:65 offset1:66
	ds_load_2addr_b64 v[93:96], v1 offset0:67 offset1:68
	;; [unrolled: 1-line block ×3, first 2 shown]
	ds_load_b64 v[105:106], v1 offset:568
	s_mov_b32 s0, exec_lo
	s_wait_loadcnt_dscnt 0x403
	v_mul_f32_e32 v2, v89, v78
	v_mul_f32_e32 v78, v90, v78
	s_wait_loadcnt_dscnt 0x302
	v_dual_mul_f32 v4, v91, v80 :: v_dual_mul_f32 v107, v93, v82
	v_mul_f32_e32 v80, v92, v80
	s_wait_loadcnt_dscnt 0x201
	v_dual_mul_f32 v108, v95, v84 :: v_dual_mul_f32 v109, v97, v86
	v_fma_f32 v78, v89, v77, -v78
	v_fmac_f32_e32 v2, v90, v77
	v_dual_mul_f32 v77, v94, v82 :: v_dual_fmac_f32 v4, v92, v79
	v_fmac_f32_e32 v107, v94, v81
	v_fma_f32 v79, v91, v79, -v80
	v_dual_add_f32 v78, 0, v78 :: v_dual_fmac_f32 v109, v98, v85
	s_delay_alu instid0(VALU_DEP_4)
	v_fma_f32 v77, v93, v81, -v77
	v_mul_f32_e32 v80, v96, v84
	s_wait_loadcnt_dscnt 0x100
	v_dual_mul_f32 v110, v99, v88 :: v_dual_mul_f32 v111, v105, v102
	v_add_f32_e32 v78, v78, v79
	v_add_f32_e32 v2, 0, v2
	v_fmac_f32_e32 v108, v96, v83
	v_fma_f32 v79, v95, v83, -v80
	v_fmac_f32_e32 v111, v106, v101
	v_add_f32_e32 v77, v78, v77
	v_add_f32_e32 v2, v2, v4
	v_mul_f32_e32 v4, v98, v86
	v_mul_f32_e32 v78, v100, v88
	v_fmac_f32_e32 v110, v100, v87
	v_add_f32_e32 v77, v77, v79
	v_add_f32_e32 v2, v2, v107
	v_fma_f32 v4, v97, v85, -v4
	v_mul_f32_e32 v79, v106, v102
	v_fma_f32 v78, v99, v87, -v78
	s_delay_alu instid0(VALU_DEP_4) | instskip(NEXT) | instid1(VALU_DEP_4)
	v_add_f32_e32 v2, v2, v108
	v_add_f32_e32 v4, v77, v4
	s_delay_alu instid0(VALU_DEP_4) | instskip(NEXT) | instid1(VALU_DEP_3)
	v_fma_f32 v77, v105, v101, -v79
	v_add_f32_e32 v2, v2, v109
	s_delay_alu instid0(VALU_DEP_3) | instskip(NEXT) | instid1(VALU_DEP_2)
	v_add_f32_e32 v4, v4, v78
	v_add_f32_e32 v2, v2, v110
	s_delay_alu instid0(VALU_DEP_2) | instskip(SKIP_1) | instid1(VALU_DEP_1)
	v_add_f32_e32 v4, v4, v77
	s_wait_loadcnt 0x0
	v_dual_add_f32 v2, v2, v111 :: v_dual_sub_f32 v77, v103, v4
	s_delay_alu instid0(VALU_DEP_1)
	v_sub_f32_e32 v78, v104, v2
	scratch_store_b64 off, v[77:78], off offset:224
	v_cmpx_lt_u32_e32 27, v0
	s_cbranch_execz .LBB35_175
; %bb.174:
	scratch_load_b64 v[77:78], off, off offset:216
	v_mov_b32_e32 v2, v1
	scratch_store_b64 off, v[1:2], off offset:216
	s_wait_loadcnt 0x0
	ds_store_b64 v3, v[77:78]
.LBB35_175:
	s_wait_alu 0xfffe
	s_or_b32 exec_lo, exec_lo, s0
	s_wait_storecnt_dscnt 0x0
	s_barrier_signal -1
	s_barrier_wait -1
	global_inv scope:SCOPE_SE
	s_clause 0x4
	scratch_load_b128 v[77:80], off, off offset:224
	scratch_load_b128 v[81:84], off, off offset:240
	;; [unrolled: 1-line block ×4, first 2 shown]
	scratch_load_b64 v[109:110], off, off offset:216
	ds_load_b128 v[93:96], v1 offset:512
	ds_load_b128 v[97:100], v1 offset:528
	;; [unrolled: 1-line block ×4, first 2 shown]
	s_mov_b32 s0, exec_lo
	s_wait_loadcnt_dscnt 0x403
	v_dual_mul_f32 v1, v93, v78 :: v_dual_mul_f32 v2, v95, v80
	s_wait_loadcnt_dscnt 0x100
	v_dual_mul_f32 v78, v94, v78 :: v_dual_mul_f32 v115, v107, v92
	s_delay_alu instid0(VALU_DEP_2) | instskip(SKIP_1) | instid1(VALU_DEP_3)
	v_dual_mul_f32 v114, v105, v90 :: v_dual_fmac_f32 v1, v94, v77
	v_mul_f32_e32 v80, v96, v80
	v_fma_f32 v78, v93, v77, -v78
	v_dual_mul_f32 v4, v97, v82 :: v_dual_mul_f32 v111, v99, v84
	v_dual_mul_f32 v77, v98, v82 :: v_dual_fmac_f32 v2, v96, v79
	v_add_f32_e32 v1, 0, v1
	v_fma_f32 v79, v95, v79, -v80
	s_delay_alu instid0(VALU_DEP_4) | instskip(NEXT) | instid1(VALU_DEP_3)
	v_dual_add_f32 v78, 0, v78 :: v_dual_fmac_f32 v111, v100, v83
	v_dual_mul_f32 v80, v100, v84 :: v_dual_add_f32 v1, v1, v2
	v_fma_f32 v77, v97, v81, -v77
	s_delay_alu instid0(VALU_DEP_3) | instskip(SKIP_1) | instid1(VALU_DEP_4)
	v_add_f32_e32 v78, v78, v79
	v_dual_mul_f32 v112, v101, v86 :: v_dual_mul_f32 v113, v103, v88
	v_fma_f32 v79, v99, v83, -v80
	v_dual_fmac_f32 v114, v106, v89 :: v_dual_fmac_f32 v115, v108, v91
	s_delay_alu instid0(VALU_DEP_4) | instskip(SKIP_2) | instid1(VALU_DEP_3)
	v_add_f32_e32 v77, v78, v77
	v_fmac_f32_e32 v4, v98, v81
	v_dual_fmac_f32 v112, v102, v85 :: v_dual_fmac_f32 v113, v104, v87
	v_add_f32_e32 v77, v77, v79
	s_delay_alu instid0(VALU_DEP_3) | instskip(NEXT) | instid1(VALU_DEP_1)
	v_dual_add_f32 v1, v1, v4 :: v_dual_mul_f32 v2, v102, v86
	v_dual_mul_f32 v4, v104, v88 :: v_dual_add_f32 v1, v1, v111
	s_delay_alu instid0(VALU_DEP_2) | instskip(SKIP_1) | instid1(VALU_DEP_3)
	v_fma_f32 v2, v101, v85, -v2
	v_mul_f32_e32 v78, v106, v90
	v_fma_f32 v4, v103, v87, -v4
	s_delay_alu instid0(VALU_DEP_4) | instskip(NEXT) | instid1(VALU_DEP_4)
	v_add_f32_e32 v1, v1, v112
	v_dual_add_f32 v2, v77, v2 :: v_dual_mul_f32 v77, v108, v92
	s_delay_alu instid0(VALU_DEP_4) | instskip(NEXT) | instid1(VALU_DEP_2)
	v_fma_f32 v78, v105, v89, -v78
	v_dual_add_f32 v1, v1, v113 :: v_dual_add_f32 v2, v2, v4
	s_delay_alu instid0(VALU_DEP_3) | instskip(NEXT) | instid1(VALU_DEP_2)
	v_fma_f32 v4, v107, v91, -v77
	v_add_f32_e32 v2, v2, v78
	s_delay_alu instid0(VALU_DEP_1) | instskip(NEXT) | instid1(VALU_DEP_1)
	v_dual_add_f32 v1, v1, v114 :: v_dual_add_f32 v2, v2, v4
	v_add_f32_e32 v4, v1, v115
	s_wait_loadcnt 0x0
	s_delay_alu instid0(VALU_DEP_1)
	v_dual_sub_f32 v1, v109, v2 :: v_dual_sub_f32 v2, v110, v4
	scratch_store_b64 off, v[1:2], off offset:216
	v_cmpx_lt_u32_e32 26, v0
	s_cbranch_execz .LBB35_177
; %bb.176:
	scratch_load_b64 v[1:2], off, off offset:208
	v_mov_b32_e32 v77, 0
	s_delay_alu instid0(VALU_DEP_1)
	v_mov_b32_e32 v78, v77
	scratch_store_b64 off, v[77:78], off offset:208
	s_wait_loadcnt 0x0
	ds_store_b64 v3, v[1:2]
.LBB35_177:
	s_wait_alu 0xfffe
	s_or_b32 exec_lo, exec_lo, s0
	s_wait_storecnt_dscnt 0x0
	s_barrier_signal -1
	s_barrier_wait -1
	global_inv scope:SCOPE_SE
	s_clause 0x5
	scratch_load_b128 v[77:80], off, off offset:216
	scratch_load_b128 v[81:84], off, off offset:232
	;; [unrolled: 1-line block ×4, first 2 shown]
	scratch_load_b64 v[109:110], off, off offset:280
	scratch_load_b64 v[111:112], off, off offset:208
	v_mov_b32_e32 v1, 0
	ds_load_2addr_b64 v[93:96], v1 offset0:63 offset1:64
	ds_load_2addr_b64 v[97:100], v1 offset0:65 offset1:66
	;; [unrolled: 1-line block ×4, first 2 shown]
	ds_load_b64 v[113:114], v1 offset:568
	s_mov_b32 s0, exec_lo
	s_wait_loadcnt_dscnt 0x504
	v_mul_f32_e32 v2, v93, v78
	v_mul_f32_e32 v78, v94, v78
	s_wait_loadcnt_dscnt 0x403
	v_dual_mul_f32 v4, v95, v80 :: v_dual_mul_f32 v115, v97, v82
	v_mul_f32_e32 v80, v96, v80
	s_wait_loadcnt_dscnt 0x302
	v_dual_mul_f32 v116, v99, v84 :: v_dual_mul_f32 v117, v101, v86
	v_fma_f32 v78, v93, v77, -v78
	v_fmac_f32_e32 v2, v94, v77
	v_dual_mul_f32 v77, v98, v82 :: v_dual_fmac_f32 v4, v96, v79
	v_fmac_f32_e32 v115, v98, v81
	v_fma_f32 v79, v95, v79, -v80
	v_dual_add_f32 v78, 0, v78 :: v_dual_fmac_f32 v117, v102, v85
	s_delay_alu instid0(VALU_DEP_4)
	v_fma_f32 v77, v97, v81, -v77
	v_mul_f32_e32 v80, v100, v84
	s_wait_loadcnt_dscnt 0x201
	v_dual_mul_f32 v118, v103, v88 :: v_dual_mul_f32 v119, v105, v90
	v_add_f32_e32 v78, v78, v79
	v_add_f32_e32 v2, 0, v2
	v_fmac_f32_e32 v116, v100, v83
	v_fma_f32 v79, v99, v83, -v80
	s_wait_loadcnt_dscnt 0x100
	v_dual_mul_f32 v120, v107, v92 :: v_dual_mul_f32 v121, v113, v110
	v_add_f32_e32 v77, v78, v77
	v_add_f32_e32 v2, v2, v4
	v_mul_f32_e32 v4, v102, v86
	s_delay_alu instid0(VALU_DEP_4) | instskip(NEXT) | instid1(VALU_DEP_4)
	v_dual_mul_f32 v78, v104, v88 :: v_dual_fmac_f32 v121, v114, v109
	v_add_f32_e32 v77, v77, v79
	s_delay_alu instid0(VALU_DEP_4) | instskip(NEXT) | instid1(VALU_DEP_4)
	v_add_f32_e32 v2, v2, v115
	v_fma_f32 v4, v101, v85, -v4
	v_fmac_f32_e32 v119, v106, v89
	v_dual_mul_f32 v79, v106, v90 :: v_dual_fmac_f32 v118, v104, v87
	s_delay_alu instid0(VALU_DEP_4)
	v_add_f32_e32 v2, v2, v116
	v_fma_f32 v78, v103, v87, -v78
	v_add_f32_e32 v4, v77, v4
	v_mul_f32_e32 v77, v108, v92
	v_fma_f32 v79, v105, v89, -v79
	v_add_f32_e32 v2, v2, v117
	v_fmac_f32_e32 v120, v108, v91
	v_add_f32_e32 v4, v4, v78
	v_mul_f32_e32 v78, v114, v110
	v_fma_f32 v77, v107, v91, -v77
	v_add_f32_e32 v2, v2, v118
	s_delay_alu instid0(VALU_DEP_4) | instskip(NEXT) | instid1(VALU_DEP_4)
	v_add_f32_e32 v4, v4, v79
	v_fma_f32 v78, v113, v109, -v78
	s_delay_alu instid0(VALU_DEP_3) | instskip(NEXT) | instid1(VALU_DEP_3)
	v_add_f32_e32 v2, v2, v119
	v_add_f32_e32 v4, v4, v77
	s_delay_alu instid0(VALU_DEP_2) | instskip(NEXT) | instid1(VALU_DEP_2)
	v_add_f32_e32 v2, v2, v120
	v_add_f32_e32 v4, v4, v78
	s_wait_loadcnt 0x0
	s_delay_alu instid0(VALU_DEP_1) | instskip(NEXT) | instid1(VALU_DEP_1)
	v_dual_add_f32 v2, v2, v121 :: v_dual_sub_f32 v77, v111, v4
	v_sub_f32_e32 v78, v112, v2
	scratch_store_b64 off, v[77:78], off offset:208
	v_cmpx_lt_u32_e32 25, v0
	s_cbranch_execz .LBB35_179
; %bb.178:
	scratch_load_b64 v[77:78], off, off offset:200
	v_mov_b32_e32 v2, v1
	scratch_store_b64 off, v[1:2], off offset:200
	s_wait_loadcnt 0x0
	ds_store_b64 v3, v[77:78]
.LBB35_179:
	s_wait_alu 0xfffe
	s_or_b32 exec_lo, exec_lo, s0
	s_wait_storecnt_dscnt 0x0
	s_barrier_signal -1
	s_barrier_wait -1
	global_inv scope:SCOPE_SE
	s_clause 0x5
	scratch_load_b128 v[77:80], off, off offset:208
	scratch_load_b128 v[81:84], off, off offset:224
	;; [unrolled: 1-line block ×5, first 2 shown]
	scratch_load_b64 v[117:118], off, off offset:200
	ds_load_b128 v[97:100], v1 offset:496
	ds_load_b128 v[101:104], v1 offset:512
	ds_load_b128 v[105:108], v1 offset:528
	ds_load_b128 v[109:112], v1 offset:544
	ds_load_b128 v[113:116], v1 offset:560
	s_mov_b32 s0, exec_lo
	s_wait_loadcnt_dscnt 0x504
	v_dual_mul_f32 v1, v97, v78 :: v_dual_mul_f32 v2, v99, v80
	v_mul_f32_e32 v78, v98, v78
	v_mul_f32_e32 v80, v100, v80
	s_wait_loadcnt_dscnt 0x100
	s_delay_alu instid0(VALU_DEP_3)
	v_dual_mul_f32 v124, v113, v94 :: v_dual_fmac_f32 v1, v98, v77
	v_mul_f32_e32 v125, v115, v96
	v_fma_f32 v78, v97, v77, -v78
	v_dual_mul_f32 v4, v101, v82 :: v_dual_mul_f32 v119, v103, v84
	v_dual_mul_f32 v77, v102, v82 :: v_dual_fmac_f32 v2, v100, v79
	v_add_f32_e32 v1, 0, v1
	v_fma_f32 v79, v99, v79, -v80
	s_delay_alu instid0(VALU_DEP_4) | instskip(NEXT) | instid1(VALU_DEP_3)
	v_dual_add_f32 v78, 0, v78 :: v_dual_fmac_f32 v119, v104, v83
	v_dual_mul_f32 v80, v104, v84 :: v_dual_add_f32 v1, v1, v2
	v_fma_f32 v77, v101, v81, -v77
	s_delay_alu instid0(VALU_DEP_3) | instskip(SKIP_1) | instid1(VALU_DEP_4)
	v_add_f32_e32 v78, v78, v79
	v_dual_mul_f32 v120, v105, v86 :: v_dual_mul_f32 v121, v107, v88
	v_fma_f32 v79, v103, v83, -v80
	v_dual_mul_f32 v122, v109, v90 :: v_dual_mul_f32 v123, v111, v92
	s_delay_alu instid0(VALU_DEP_4) | instskip(SKIP_2) | instid1(VALU_DEP_4)
	v_add_f32_e32 v77, v78, v77
	v_fmac_f32_e32 v4, v102, v81
	v_dual_fmac_f32 v120, v106, v85 :: v_dual_fmac_f32 v121, v108, v87
	v_dual_fmac_f32 v122, v110, v89 :: v_dual_fmac_f32 v123, v112, v91
	s_delay_alu instid0(VALU_DEP_4) | instskip(NEXT) | instid1(VALU_DEP_4)
	v_add_f32_e32 v77, v77, v79
	v_dual_add_f32 v1, v1, v4 :: v_dual_mul_f32 v2, v106, v86
	v_mul_f32_e32 v4, v108, v88
	v_fmac_f32_e32 v125, v116, v95
	s_delay_alu instid0(VALU_DEP_3) | instskip(NEXT) | instid1(VALU_DEP_4)
	v_add_f32_e32 v1, v1, v119
	v_fma_f32 v2, v105, v85, -v2
	v_mul_f32_e32 v78, v110, v90
	v_fma_f32 v4, v107, v87, -v4
	s_delay_alu instid0(VALU_DEP_4) | instskip(NEXT) | instid1(VALU_DEP_4)
	v_add_f32_e32 v1, v1, v120
	v_dual_add_f32 v2, v77, v2 :: v_dual_mul_f32 v77, v112, v92
	s_delay_alu instid0(VALU_DEP_4) | instskip(NEXT) | instid1(VALU_DEP_2)
	v_fma_f32 v78, v109, v89, -v78
	v_dual_add_f32 v1, v1, v121 :: v_dual_add_f32 v2, v2, v4
	s_delay_alu instid0(VALU_DEP_3) | instskip(NEXT) | instid1(VALU_DEP_2)
	v_fma_f32 v77, v111, v91, -v77
	v_add_f32_e32 v1, v1, v122
	s_delay_alu instid0(VALU_DEP_3) | instskip(SKIP_1) | instid1(VALU_DEP_3)
	v_add_f32_e32 v2, v2, v78
	v_mul_f32_e32 v78, v116, v96
	v_dual_mul_f32 v4, v114, v94 :: v_dual_add_f32 v1, v1, v123
	s_delay_alu instid0(VALU_DEP_3) | instskip(NEXT) | instid1(VALU_DEP_3)
	v_add_f32_e32 v2, v2, v77
	v_fma_f32 v77, v115, v95, -v78
	s_delay_alu instid0(VALU_DEP_3) | instskip(NEXT) | instid1(VALU_DEP_1)
	v_fma_f32 v4, v113, v93, -v4
	v_add_f32_e32 v2, v2, v4
	s_delay_alu instid0(VALU_DEP_1) | instskip(SKIP_1) | instid1(VALU_DEP_1)
	v_add_f32_e32 v2, v2, v77
	v_fmac_f32_e32 v124, v114, v93
	v_add_f32_e32 v1, v1, v124
	s_delay_alu instid0(VALU_DEP_1) | instskip(SKIP_1) | instid1(VALU_DEP_1)
	v_add_f32_e32 v4, v1, v125
	s_wait_loadcnt 0x0
	v_dual_sub_f32 v1, v117, v2 :: v_dual_sub_f32 v2, v118, v4
	scratch_store_b64 off, v[1:2], off offset:200
	v_cmpx_lt_u32_e32 24, v0
	s_cbranch_execz .LBB35_181
; %bb.180:
	scratch_load_b64 v[1:2], off, off offset:192
	v_mov_b32_e32 v77, 0
	s_delay_alu instid0(VALU_DEP_1)
	v_mov_b32_e32 v78, v77
	scratch_store_b64 off, v[77:78], off offset:192
	s_wait_loadcnt 0x0
	ds_store_b64 v3, v[1:2]
.LBB35_181:
	s_wait_alu 0xfffe
	s_or_b32 exec_lo, exec_lo, s0
	s_wait_storecnt_dscnt 0x0
	s_barrier_signal -1
	s_barrier_wait -1
	global_inv scope:SCOPE_SE
	s_clause 0x6
	scratch_load_b128 v[77:80], off, off offset:200
	scratch_load_b128 v[81:84], off, off offset:216
	;; [unrolled: 1-line block ×5, first 2 shown]
	scratch_load_b64 v[117:118], off, off offset:280
	scratch_load_b64 v[119:120], off, off offset:192
	v_mov_b32_e32 v1, 0
	ds_load_2addr_b64 v[97:100], v1 offset0:61 offset1:62
	ds_load_2addr_b64 v[101:104], v1 offset0:63 offset1:64
	;; [unrolled: 1-line block ×5, first 2 shown]
	ds_load_b64 v[121:122], v1 offset:568
	s_mov_b32 s0, exec_lo
	s_wait_loadcnt_dscnt 0x605
	v_mul_f32_e32 v2, v97, v78
	v_mul_f32_e32 v78, v98, v78
	s_wait_loadcnt_dscnt 0x504
	v_dual_mul_f32 v4, v99, v80 :: v_dual_mul_f32 v123, v101, v82
	v_mul_f32_e32 v80, v100, v80
	s_wait_loadcnt_dscnt 0x403
	v_dual_mul_f32 v124, v103, v84 :: v_dual_mul_f32 v125, v105, v86
	v_fma_f32 v78, v97, v77, -v78
	v_fmac_f32_e32 v2, v98, v77
	v_dual_mul_f32 v77, v102, v82 :: v_dual_fmac_f32 v4, v100, v79
	v_fmac_f32_e32 v123, v102, v81
	v_fma_f32 v79, v99, v79, -v80
	v_dual_add_f32 v78, 0, v78 :: v_dual_fmac_f32 v125, v106, v85
	v_mul_f32_e32 v80, v104, v84
	v_fma_f32 v77, v101, v81, -v77
	s_wait_loadcnt_dscnt 0x201
	v_dual_mul_f32 v128, v111, v92 :: v_dual_mul_f32 v129, v113, v94
	v_add_f32_e32 v78, v78, v79
	v_add_f32_e32 v2, 0, v2
	v_fma_f32 v79, v103, v83, -v80
	s_wait_loadcnt_dscnt 0x100
	v_dual_mul_f32 v130, v115, v96 :: v_dual_mul_f32 v131, v121, v118
	v_add_f32_e32 v77, v78, v77
	v_add_f32_e32 v2, v2, v4
	v_mul_f32_e32 v4, v106, v86
	v_dual_mul_f32 v78, v108, v88 :: v_dual_fmac_f32 v129, v114, v93
	s_delay_alu instid0(VALU_DEP_4) | instskip(SKIP_1) | instid1(VALU_DEP_4)
	v_add_f32_e32 v77, v77, v79
	v_mul_f32_e32 v79, v110, v90
	v_fma_f32 v4, v105, v85, -v4
	s_delay_alu instid0(VALU_DEP_4) | instskip(SKIP_2) | instid1(VALU_DEP_4)
	v_fma_f32 v78, v107, v87, -v78
	v_dual_fmac_f32 v131, v122, v117 :: v_dual_mul_f32 v126, v107, v88
	v_mul_f32_e32 v127, v109, v90
	v_add_f32_e32 v4, v77, v4
	v_mul_f32_e32 v77, v112, v92
	v_fma_f32 v79, v109, v89, -v79
	v_fmac_f32_e32 v126, v108, v87
	v_dual_fmac_f32 v124, v104, v83 :: v_dual_fmac_f32 v127, v110, v89
	v_add_f32_e32 v4, v4, v78
	v_mul_f32_e32 v78, v114, v94
	v_fma_f32 v77, v111, v91, -v77
	v_fmac_f32_e32 v128, v112, v91
	v_fmac_f32_e32 v130, v116, v95
	v_add_f32_e32 v4, v4, v79
	v_mul_f32_e32 v79, v116, v96
	v_fma_f32 v78, v113, v93, -v78
	s_delay_alu instid0(VALU_DEP_3) | instskip(NEXT) | instid1(VALU_DEP_3)
	v_dual_add_f32 v4, v4, v77 :: v_dual_mul_f32 v77, v122, v118
	v_fma_f32 v79, v115, v95, -v79
	s_delay_alu instid0(VALU_DEP_2) | instskip(NEXT) | instid1(VALU_DEP_3)
	v_add_f32_e32 v4, v4, v78
	v_fma_f32 v77, v121, v117, -v77
	s_delay_alu instid0(VALU_DEP_2) | instskip(NEXT) | instid1(VALU_DEP_1)
	v_add_f32_e32 v4, v4, v79
	v_add_f32_e32 v4, v4, v77
	s_wait_loadcnt 0x0
	s_delay_alu instid0(VALU_DEP_1) | instskip(NEXT) | instid1(VALU_DEP_1)
	v_dual_add_f32 v2, v2, v123 :: v_dual_sub_f32 v77, v119, v4
	v_add_f32_e32 v2, v2, v124
	s_delay_alu instid0(VALU_DEP_1) | instskip(NEXT) | instid1(VALU_DEP_1)
	v_add_f32_e32 v2, v2, v125
	v_add_f32_e32 v2, v2, v126
	s_delay_alu instid0(VALU_DEP_1) | instskip(NEXT) | instid1(VALU_DEP_1)
	v_add_f32_e32 v2, v2, v127
	;; [unrolled: 3-line block ×4, first 2 shown]
	v_sub_f32_e32 v78, v120, v2
	scratch_store_b64 off, v[77:78], off offset:192
	v_cmpx_lt_u32_e32 23, v0
	s_cbranch_execz .LBB35_183
; %bb.182:
	scratch_load_b64 v[77:78], off, off offset:184
	v_mov_b32_e32 v2, v1
	scratch_store_b64 off, v[1:2], off offset:184
	s_wait_loadcnt 0x0
	ds_store_b64 v3, v[77:78]
.LBB35_183:
	s_wait_alu 0xfffe
	s_or_b32 exec_lo, exec_lo, s0
	s_wait_storecnt_dscnt 0x0
	s_barrier_signal -1
	s_barrier_wait -1
	global_inv scope:SCOPE_SE
	s_clause 0x6
	scratch_load_b128 v[77:80], off, off offset:192
	scratch_load_b128 v[81:84], off, off offset:208
	;; [unrolled: 1-line block ×6, first 2 shown]
	scratch_load_b64 v[125:126], off, off offset:184
	ds_load_b128 v[101:104], v1 offset:480
	ds_load_b128 v[105:108], v1 offset:496
	ds_load_b128 v[109:112], v1 offset:512
	ds_load_b128 v[113:116], v1 offset:528
	ds_load_b128 v[117:120], v1 offset:544
	ds_load_b128 v[121:124], v1 offset:560
	s_mov_b32 s0, exec_lo
	s_wait_loadcnt_dscnt 0x605
	v_dual_mul_f32 v1, v101, v78 :: v_dual_mul_f32 v2, v103, v80
	v_mul_f32_e32 v78, v102, v78
	v_mul_f32_e32 v80, v104, v80
	s_wait_loadcnt_dscnt 0x504
	v_dual_mul_f32 v4, v105, v82 :: v_dual_mul_f32 v127, v107, v84
	s_wait_loadcnt_dscnt 0x100
	v_dual_mul_f32 v134, v121, v98 :: v_dual_fmac_f32 v1, v102, v77
	v_mul_f32_e32 v135, v123, v100
	v_fma_f32 v78, v101, v77, -v78
	v_dual_mul_f32 v77, v106, v82 :: v_dual_fmac_f32 v2, v104, v79
	s_delay_alu instid0(VALU_DEP_4) | instskip(SKIP_1) | instid1(VALU_DEP_4)
	v_add_f32_e32 v1, 0, v1
	v_fma_f32 v79, v103, v79, -v80
	v_dual_add_f32 v78, 0, v78 :: v_dual_fmac_f32 v127, v108, v83
	s_delay_alu instid0(VALU_DEP_3) | instskip(SKIP_1) | instid1(VALU_DEP_3)
	v_dual_mul_f32 v80, v108, v84 :: v_dual_add_f32 v1, v1, v2
	v_fma_f32 v77, v105, v81, -v77
	v_add_f32_e32 v78, v78, v79
	v_dual_mul_f32 v128, v109, v86 :: v_dual_mul_f32 v129, v111, v88
	s_delay_alu instid0(VALU_DEP_4) | instskip(SKIP_1) | instid1(VALU_DEP_4)
	v_fma_f32 v79, v107, v83, -v80
	v_dual_mul_f32 v130, v113, v90 :: v_dual_mul_f32 v131, v115, v92
	v_add_f32_e32 v77, v78, v77
	v_fmac_f32_e32 v4, v106, v81
	v_dual_fmac_f32 v128, v110, v85 :: v_dual_fmac_f32 v129, v112, v87
	s_delay_alu instid0(VALU_DEP_4) | instskip(NEXT) | instid1(VALU_DEP_4)
	v_dual_fmac_f32 v130, v114, v89 :: v_dual_fmac_f32 v131, v116, v91
	v_add_f32_e32 v77, v77, v79
	s_delay_alu instid0(VALU_DEP_4) | instskip(SKIP_2) | instid1(VALU_DEP_3)
	v_dual_add_f32 v1, v1, v4 :: v_dual_mul_f32 v2, v110, v86
	v_mul_f32_e32 v4, v112, v88
	v_dual_mul_f32 v132, v117, v94 :: v_dual_mul_f32 v133, v119, v96
	v_add_f32_e32 v1, v1, v127
	s_delay_alu instid0(VALU_DEP_4) | instskip(SKIP_3) | instid1(VALU_DEP_4)
	v_fma_f32 v2, v109, v85, -v2
	v_mul_f32_e32 v78, v114, v90
	v_fma_f32 v4, v111, v87, -v4
	v_dual_fmac_f32 v132, v118, v93 :: v_dual_fmac_f32 v135, v124, v99
	v_dual_add_f32 v2, v77, v2 :: v_dual_mul_f32 v77, v116, v92
	v_add_f32_e32 v1, v1, v128
	v_fma_f32 v78, v113, v89, -v78
	s_delay_alu instid0(VALU_DEP_3) | instskip(NEXT) | instid1(VALU_DEP_4)
	v_dual_fmac_f32 v133, v120, v95 :: v_dual_add_f32 v2, v2, v4
	v_fma_f32 v77, v115, v91, -v77
	s_delay_alu instid0(VALU_DEP_2) | instskip(NEXT) | instid1(VALU_DEP_1)
	v_dual_add_f32 v1, v1, v129 :: v_dual_add_f32 v2, v2, v78
	v_dual_mul_f32 v78, v120, v96 :: v_dual_add_f32 v1, v1, v130
	v_mul_f32_e32 v4, v118, v94
	s_delay_alu instid0(VALU_DEP_2) | instskip(NEXT) | instid1(VALU_DEP_3)
	v_fma_f32 v78, v119, v95, -v78
	v_add_f32_e32 v1, v1, v131
	s_delay_alu instid0(VALU_DEP_3) | instskip(SKIP_2) | instid1(VALU_DEP_4)
	v_fma_f32 v4, v117, v93, -v4
	v_add_f32_e32 v2, v2, v77
	v_mul_f32_e32 v77, v122, v98
	v_add_f32_e32 v1, v1, v132
	s_delay_alu instid0(VALU_DEP_3) | instskip(SKIP_1) | instid1(VALU_DEP_4)
	v_add_f32_e32 v2, v2, v4
	v_mul_f32_e32 v4, v124, v100
	v_fma_f32 v77, v121, v97, -v77
	s_delay_alu instid0(VALU_DEP_3) | instskip(NEXT) | instid1(VALU_DEP_3)
	v_dual_add_f32 v1, v1, v133 :: v_dual_add_f32 v2, v2, v78
	v_fma_f32 v4, v123, v99, -v4
	s_delay_alu instid0(VALU_DEP_2) | instskip(NEXT) | instid1(VALU_DEP_1)
	v_add_f32_e32 v2, v2, v77
	v_add_f32_e32 v2, v2, v4
	v_fmac_f32_e32 v134, v122, v97
	s_delay_alu instid0(VALU_DEP_1) | instskip(NEXT) | instid1(VALU_DEP_1)
	v_add_f32_e32 v1, v1, v134
	v_add_f32_e32 v4, v1, v135
	s_wait_loadcnt 0x0
	s_delay_alu instid0(VALU_DEP_1)
	v_dual_sub_f32 v1, v125, v2 :: v_dual_sub_f32 v2, v126, v4
	scratch_store_b64 off, v[1:2], off offset:184
	v_cmpx_lt_u32_e32 22, v0
	s_cbranch_execz .LBB35_185
; %bb.184:
	scratch_load_b64 v[1:2], off, off offset:176
	v_mov_b32_e32 v77, 0
	s_delay_alu instid0(VALU_DEP_1)
	v_mov_b32_e32 v78, v77
	scratch_store_b64 off, v[77:78], off offset:176
	s_wait_loadcnt 0x0
	ds_store_b64 v3, v[1:2]
.LBB35_185:
	s_wait_alu 0xfffe
	s_or_b32 exec_lo, exec_lo, s0
	s_wait_storecnt_dscnt 0x0
	s_barrier_signal -1
	s_barrier_wait -1
	global_inv scope:SCOPE_SE
	s_clause 0x7
	scratch_load_b128 v[77:80], off, off offset:184
	scratch_load_b128 v[81:84], off, off offset:200
	;; [unrolled: 1-line block ×6, first 2 shown]
	scratch_load_b64 v[125:126], off, off offset:280
	scratch_load_b64 v[127:128], off, off offset:176
	v_mov_b32_e32 v1, 0
	ds_load_2addr_b64 v[101:104], v1 offset0:59 offset1:60
	ds_load_2addr_b64 v[105:108], v1 offset0:61 offset1:62
	;; [unrolled: 1-line block ×6, first 2 shown]
	ds_load_b64 v[129:130], v1 offset:568
	s_mov_b32 s0, exec_lo
	s_wait_loadcnt_dscnt 0x706
	v_mul_f32_e32 v2, v101, v78
	v_mul_f32_e32 v78, v102, v78
	s_wait_loadcnt_dscnt 0x605
	v_dual_mul_f32 v4, v103, v80 :: v_dual_mul_f32 v131, v105, v82
	v_mul_f32_e32 v80, v104, v80
	s_wait_loadcnt_dscnt 0x504
	v_dual_mul_f32 v132, v107, v84 :: v_dual_mul_f32 v133, v109, v86
	v_fma_f32 v78, v101, v77, -v78
	v_fmac_f32_e32 v2, v102, v77
	v_dual_mul_f32 v77, v106, v82 :: v_dual_fmac_f32 v4, v104, v79
	v_fmac_f32_e32 v131, v106, v81
	v_fma_f32 v79, v103, v79, -v80
	v_dual_add_f32 v78, 0, v78 :: v_dual_fmac_f32 v133, v110, v85
	v_mul_f32_e32 v80, v108, v84
	v_fma_f32 v77, v105, v81, -v77
	s_wait_loadcnt_dscnt 0x302
	v_dual_mul_f32 v136, v115, v92 :: v_dual_mul_f32 v137, v117, v94
	v_add_f32_e32 v78, v78, v79
	v_add_f32_e32 v2, 0, v2
	v_fma_f32 v79, v107, v83, -v80
	s_wait_loadcnt_dscnt 0x201
	v_dual_mul_f32 v138, v119, v96 :: v_dual_mul_f32 v139, v121, v98
	v_add_f32_e32 v77, v78, v77
	v_add_f32_e32 v2, v2, v4
	v_mul_f32_e32 v4, v110, v86
	v_dual_mul_f32 v78, v112, v88 :: v_dual_fmac_f32 v137, v118, v93
	s_delay_alu instid0(VALU_DEP_4) | instskip(SKIP_1) | instid1(VALU_DEP_4)
	v_add_f32_e32 v77, v77, v79
	v_mul_f32_e32 v79, v114, v90
	v_fma_f32 v4, v109, v85, -v4
	s_delay_alu instid0(VALU_DEP_4)
	v_fma_f32 v78, v111, v87, -v78
	s_wait_loadcnt_dscnt 0x100
	v_dual_mul_f32 v140, v123, v100 :: v_dual_mul_f32 v141, v129, v126
	v_fma_f32 v79, v113, v89, -v79
	v_dual_add_f32 v4, v77, v4 :: v_dual_fmac_f32 v139, v122, v97
	v_mul_f32_e32 v77, v116, v92
	s_delay_alu instid0(VALU_DEP_4) | instskip(SKIP_1) | instid1(VALU_DEP_4)
	v_dual_fmac_f32 v141, v130, v125 :: v_dual_mul_f32 v134, v111, v88
	v_mul_f32_e32 v135, v113, v90
	v_add_f32_e32 v4, v4, v78
	v_mul_f32_e32 v78, v118, v94
	v_fma_f32 v77, v115, v91, -v77
	v_fmac_f32_e32 v134, v112, v87
	v_fmac_f32_e32 v136, v116, v91
	v_add_f32_e32 v4, v4, v79
	v_mul_f32_e32 v79, v120, v96
	v_fma_f32 v78, v117, v93, -v78
	v_dual_fmac_f32 v132, v108, v83 :: v_dual_fmac_f32 v135, v114, v89
	s_delay_alu instid0(VALU_DEP_4) | instskip(NEXT) | instid1(VALU_DEP_4)
	v_dual_add_f32 v4, v4, v77 :: v_dual_mul_f32 v77, v122, v98
	v_fma_f32 v79, v119, v95, -v79
	v_fmac_f32_e32 v138, v120, v95
	v_fmac_f32_e32 v140, v124, v99
	s_delay_alu instid0(VALU_DEP_4) | instskip(SKIP_2) | instid1(VALU_DEP_3)
	v_add_f32_e32 v4, v4, v78
	v_mul_f32_e32 v78, v124, v100
	v_fma_f32 v77, v121, v97, -v77
	v_dual_add_f32 v4, v4, v79 :: v_dual_mul_f32 v79, v130, v126
	s_delay_alu instid0(VALU_DEP_3) | instskip(NEXT) | instid1(VALU_DEP_2)
	v_fma_f32 v78, v123, v99, -v78
	v_add_f32_e32 v4, v4, v77
	s_delay_alu instid0(VALU_DEP_3) | instskip(NEXT) | instid1(VALU_DEP_2)
	v_fma_f32 v77, v129, v125, -v79
	v_add_f32_e32 v4, v4, v78
	s_delay_alu instid0(VALU_DEP_1) | instskip(SKIP_1) | instid1(VALU_DEP_1)
	v_add_f32_e32 v4, v4, v77
	s_wait_loadcnt 0x0
	v_dual_add_f32 v2, v2, v131 :: v_dual_sub_f32 v77, v127, v4
	s_delay_alu instid0(VALU_DEP_1) | instskip(NEXT) | instid1(VALU_DEP_1)
	v_add_f32_e32 v2, v2, v132
	v_add_f32_e32 v2, v2, v133
	s_delay_alu instid0(VALU_DEP_1) | instskip(NEXT) | instid1(VALU_DEP_1)
	v_add_f32_e32 v2, v2, v134
	v_add_f32_e32 v2, v2, v135
	;; [unrolled: 3-line block ×5, first 2 shown]
	s_delay_alu instid0(VALU_DEP_1)
	v_sub_f32_e32 v78, v128, v2
	scratch_store_b64 off, v[77:78], off offset:176
	v_cmpx_lt_u32_e32 21, v0
	s_cbranch_execz .LBB35_187
; %bb.186:
	scratch_load_b64 v[77:78], off, off offset:168
	v_mov_b32_e32 v2, v1
	scratch_store_b64 off, v[1:2], off offset:168
	s_wait_loadcnt 0x0
	ds_store_b64 v3, v[77:78]
.LBB35_187:
	s_wait_alu 0xfffe
	s_or_b32 exec_lo, exec_lo, s0
	s_wait_storecnt_dscnt 0x0
	s_barrier_signal -1
	s_barrier_wait -1
	global_inv scope:SCOPE_SE
	s_clause 0x7
	scratch_load_b128 v[77:80], off, off offset:176
	scratch_load_b128 v[81:84], off, off offset:192
	;; [unrolled: 1-line block ×7, first 2 shown]
	scratch_load_b64 v[133:134], off, off offset:168
	ds_load_b128 v[105:108], v1 offset:464
	ds_load_b128 v[109:112], v1 offset:480
	ds_load_b128 v[113:116], v1 offset:496
	ds_load_b128 v[117:120], v1 offset:512
	ds_load_b128 v[121:124], v1 offset:528
	ds_load_b128 v[125:128], v1 offset:544
	ds_load_b128 v[129:132], v1 offset:560
	s_mov_b32 s0, exec_lo
	s_wait_loadcnt_dscnt 0x706
	v_dual_mul_f32 v1, v105, v78 :: v_dual_mul_f32 v2, v107, v80
	v_mul_f32_e32 v78, v106, v78
	v_mul_f32_e32 v80, v108, v80
	s_wait_loadcnt_dscnt 0x605
	v_dual_mul_f32 v4, v109, v82 :: v_dual_mul_f32 v135, v111, v84
	s_wait_loadcnt_dscnt 0x100
	v_dual_mul_f32 v144, v129, v102 :: v_dual_fmac_f32 v1, v106, v77
	v_mul_f32_e32 v145, v131, v104
	v_fma_f32 v78, v105, v77, -v78
	v_dual_mul_f32 v77, v110, v82 :: v_dual_fmac_f32 v2, v108, v79
	s_delay_alu instid0(VALU_DEP_4) | instskip(SKIP_1) | instid1(VALU_DEP_4)
	v_add_f32_e32 v1, 0, v1
	v_fma_f32 v79, v107, v79, -v80
	v_dual_add_f32 v78, 0, v78 :: v_dual_fmac_f32 v135, v112, v83
	s_delay_alu instid0(VALU_DEP_3) | instskip(SKIP_1) | instid1(VALU_DEP_3)
	v_dual_mul_f32 v80, v112, v84 :: v_dual_add_f32 v1, v1, v2
	v_fma_f32 v77, v109, v81, -v77
	v_add_f32_e32 v78, v78, v79
	v_dual_mul_f32 v136, v113, v86 :: v_dual_mul_f32 v137, v115, v88
	s_delay_alu instid0(VALU_DEP_4) | instskip(SKIP_1) | instid1(VALU_DEP_4)
	v_fma_f32 v79, v111, v83, -v80
	v_dual_mul_f32 v138, v117, v90 :: v_dual_mul_f32 v139, v119, v92
	v_add_f32_e32 v77, v78, v77
	v_fmac_f32_e32 v4, v110, v81
	v_dual_fmac_f32 v136, v114, v85 :: v_dual_fmac_f32 v137, v116, v87
	s_delay_alu instid0(VALU_DEP_4) | instskip(NEXT) | instid1(VALU_DEP_4)
	v_dual_fmac_f32 v138, v118, v89 :: v_dual_fmac_f32 v139, v120, v91
	v_add_f32_e32 v77, v77, v79
	s_delay_alu instid0(VALU_DEP_4) | instskip(SKIP_2) | instid1(VALU_DEP_3)
	v_dual_add_f32 v1, v1, v4 :: v_dual_mul_f32 v2, v114, v86
	v_mul_f32_e32 v4, v116, v88
	v_dual_mul_f32 v140, v121, v94 :: v_dual_mul_f32 v141, v123, v96
	v_add_f32_e32 v1, v1, v135
	s_delay_alu instid0(VALU_DEP_4) | instskip(SKIP_3) | instid1(VALU_DEP_4)
	v_fma_f32 v2, v113, v85, -v2
	v_mul_f32_e32 v78, v118, v90
	v_fma_f32 v4, v115, v87, -v4
	v_dual_mul_f32 v142, v125, v98 :: v_dual_mul_f32 v143, v127, v100
	v_dual_add_f32 v2, v77, v2 :: v_dual_mul_f32 v77, v120, v92
	v_add_f32_e32 v1, v1, v136
	v_fma_f32 v78, v117, v89, -v78
	s_delay_alu instid0(VALU_DEP_4) | instskip(NEXT) | instid1(VALU_DEP_3)
	v_dual_fmac_f32 v140, v122, v93 :: v_dual_fmac_f32 v143, v128, v99
	v_dual_add_f32 v2, v2, v4 :: v_dual_add_f32 v1, v1, v137
	v_fma_f32 v77, v119, v91, -v77
	v_dual_fmac_f32 v141, v124, v95 :: v_dual_fmac_f32 v142, v126, v97
	s_delay_alu instid0(VALU_DEP_3) | instskip(NEXT) | instid1(VALU_DEP_4)
	v_add_f32_e32 v2, v2, v78
	v_dual_add_f32 v1, v1, v138 :: v_dual_mul_f32 v78, v124, v96
	v_dual_mul_f32 v4, v122, v94 :: v_dual_fmac_f32 v145, v132, v103
	s_delay_alu instid0(VALU_DEP_2) | instskip(NEXT) | instid1(VALU_DEP_2)
	v_dual_add_f32 v1, v1, v139 :: v_dual_add_f32 v2, v2, v77
	v_fma_f32 v4, v121, v93, -v4
	v_mul_f32_e32 v77, v126, v98
	v_fma_f32 v78, v123, v95, -v78
	s_delay_alu instid0(VALU_DEP_4) | instskip(NEXT) | instid1(VALU_DEP_4)
	v_add_f32_e32 v1, v1, v140
	v_add_f32_e32 v2, v2, v4
	v_mul_f32_e32 v4, v128, v100
	v_fma_f32 v77, v125, v97, -v77
	s_delay_alu instid0(VALU_DEP_3) | instskip(SKIP_1) | instid1(VALU_DEP_4)
	v_dual_add_f32 v1, v1, v141 :: v_dual_add_f32 v2, v2, v78
	v_mul_f32_e32 v78, v130, v102
	v_fma_f32 v4, v127, v99, -v4
	s_delay_alu instid0(VALU_DEP_3) | instskip(NEXT) | instid1(VALU_DEP_4)
	v_dual_add_f32 v2, v2, v77 :: v_dual_mul_f32 v77, v132, v104
	v_add_f32_e32 v1, v1, v142
	s_delay_alu instid0(VALU_DEP_4) | instskip(NEXT) | instid1(VALU_DEP_3)
	v_fma_f32 v78, v129, v101, -v78
	v_add_f32_e32 v2, v2, v4
	s_delay_alu instid0(VALU_DEP_4) | instskip(NEXT) | instid1(VALU_DEP_2)
	v_fma_f32 v4, v131, v103, -v77
	v_dual_add_f32 v1, v1, v143 :: v_dual_add_f32 v2, v2, v78
	s_delay_alu instid0(VALU_DEP_1) | instskip(SKIP_1) | instid1(VALU_DEP_1)
	v_add_f32_e32 v2, v2, v4
	v_fmac_f32_e32 v144, v130, v101
	v_add_f32_e32 v1, v1, v144
	s_delay_alu instid0(VALU_DEP_1) | instskip(SKIP_1) | instid1(VALU_DEP_1)
	v_add_f32_e32 v4, v1, v145
	s_wait_loadcnt 0x0
	v_dual_sub_f32 v1, v133, v2 :: v_dual_sub_f32 v2, v134, v4
	scratch_store_b64 off, v[1:2], off offset:168
	v_cmpx_lt_u32_e32 20, v0
	s_cbranch_execz .LBB35_189
; %bb.188:
	scratch_load_b64 v[1:2], off, off offset:160
	v_mov_b32_e32 v77, 0
	s_delay_alu instid0(VALU_DEP_1)
	v_mov_b32_e32 v78, v77
	scratch_store_b64 off, v[77:78], off offset:160
	s_wait_loadcnt 0x0
	ds_store_b64 v3, v[1:2]
.LBB35_189:
	s_wait_alu 0xfffe
	s_or_b32 exec_lo, exec_lo, s0
	s_wait_storecnt_dscnt 0x0
	s_barrier_signal -1
	s_barrier_wait -1
	global_inv scope:SCOPE_SE
	s_clause 0x8
	scratch_load_b128 v[77:80], off, off offset:168
	scratch_load_b128 v[81:84], off, off offset:184
	;; [unrolled: 1-line block ×7, first 2 shown]
	scratch_load_b64 v[133:134], off, off offset:280
	scratch_load_b64 v[135:136], off, off offset:160
	v_mov_b32_e32 v1, 0
	ds_load_2addr_b64 v[105:108], v1 offset0:57 offset1:58
	ds_load_2addr_b64 v[109:112], v1 offset0:59 offset1:60
	ds_load_2addr_b64 v[113:116], v1 offset0:61 offset1:62
	ds_load_2addr_b64 v[117:120], v1 offset0:63 offset1:64
	ds_load_2addr_b64 v[121:124], v1 offset0:65 offset1:66
	ds_load_2addr_b64 v[125:128], v1 offset0:67 offset1:68
	ds_load_2addr_b64 v[129:132], v1 offset0:69 offset1:70
	ds_load_b64 v[137:138], v1 offset:568
	s_mov_b32 s0, exec_lo
	s_wait_loadcnt_dscnt 0x807
	v_mul_f32_e32 v2, v105, v78
	v_mul_f32_e32 v78, v106, v78
	s_wait_loadcnt_dscnt 0x706
	v_dual_mul_f32 v4, v107, v80 :: v_dual_mul_f32 v139, v109, v82
	v_mul_f32_e32 v80, v108, v80
	s_wait_loadcnt_dscnt 0x605
	v_dual_mul_f32 v140, v111, v84 :: v_dual_mul_f32 v141, v113, v86
	v_fma_f32 v78, v105, v77, -v78
	v_fmac_f32_e32 v2, v106, v77
	v_dual_mul_f32 v77, v110, v82 :: v_dual_fmac_f32 v4, v108, v79
	v_fmac_f32_e32 v139, v110, v81
	v_fma_f32 v79, v107, v79, -v80
	v_dual_add_f32 v78, 0, v78 :: v_dual_fmac_f32 v141, v114, v85
	v_mul_f32_e32 v80, v112, v84
	v_fma_f32 v77, v109, v81, -v77
	s_wait_loadcnt_dscnt 0x403
	v_dual_mul_f32 v144, v119, v92 :: v_dual_mul_f32 v145, v121, v94
	v_add_f32_e32 v78, v78, v79
	v_add_f32_e32 v2, 0, v2
	v_fma_f32 v79, v111, v83, -v80
	s_wait_loadcnt_dscnt 0x302
	v_dual_mul_f32 v146, v123, v96 :: v_dual_mul_f32 v147, v125, v98
	v_add_f32_e32 v77, v78, v77
	v_add_f32_e32 v2, v2, v4
	v_mul_f32_e32 v4, v114, v86
	v_dual_mul_f32 v78, v116, v88 :: v_dual_fmac_f32 v145, v122, v93
	s_delay_alu instid0(VALU_DEP_4) | instskip(SKIP_1) | instid1(VALU_DEP_4)
	v_add_f32_e32 v77, v77, v79
	v_mul_f32_e32 v79, v118, v90
	v_fma_f32 v4, v113, v85, -v4
	s_delay_alu instid0(VALU_DEP_4)
	v_fma_f32 v78, v115, v87, -v78
	s_wait_loadcnt_dscnt 0x201
	v_dual_mul_f32 v148, v127, v100 :: v_dual_mul_f32 v149, v129, v102
	v_fma_f32 v79, v117, v89, -v79
	v_dual_add_f32 v4, v77, v4 :: v_dual_fmac_f32 v147, v126, v97
	v_mul_f32_e32 v77, v120, v92
	s_wait_loadcnt_dscnt 0x100
	v_dual_mul_f32 v150, v131, v104 :: v_dual_mul_f32 v151, v137, v134
	s_delay_alu instid0(VALU_DEP_3) | instskip(SKIP_3) | instid1(VALU_DEP_4)
	v_dual_add_f32 v4, v4, v78 :: v_dual_fmac_f32 v149, v130, v101
	v_mul_f32_e32 v78, v122, v94
	v_fma_f32 v77, v119, v91, -v77
	v_dual_mul_f32 v142, v115, v88 :: v_dual_mul_f32 v143, v117, v90
	v_dual_add_f32 v4, v4, v79 :: v_dual_fmac_f32 v151, v138, v133
	v_mul_f32_e32 v79, v124, v96
	v_fma_f32 v78, v121, v93, -v78
	s_delay_alu instid0(VALU_DEP_4) | instskip(NEXT) | instid1(VALU_DEP_4)
	v_fmac_f32_e32 v142, v116, v87
	v_dual_add_f32 v4, v4, v77 :: v_dual_mul_f32 v77, v126, v98
	s_delay_alu instid0(VALU_DEP_4) | instskip(SKIP_2) | instid1(VALU_DEP_4)
	v_fma_f32 v79, v123, v95, -v79
	v_fmac_f32_e32 v144, v120, v91
	v_dual_fmac_f32 v140, v112, v83 :: v_dual_fmac_f32 v143, v118, v89
	v_add_f32_e32 v4, v4, v78
	v_mul_f32_e32 v78, v128, v100
	v_fma_f32 v77, v125, v97, -v77
	v_fmac_f32_e32 v146, v124, v95
	v_fmac_f32_e32 v148, v128, v99
	v_dual_add_f32 v4, v4, v79 :: v_dual_mul_f32 v79, v130, v102
	v_fma_f32 v78, v127, v99, -v78
	v_fmac_f32_e32 v150, v132, v103
	s_delay_alu instid0(VALU_DEP_3) | instskip(SKIP_2) | instid1(VALU_DEP_3)
	v_add_f32_e32 v4, v4, v77
	v_mul_f32_e32 v77, v132, v104
	v_fma_f32 v79, v129, v101, -v79
	v_add_f32_e32 v4, v4, v78
	v_mul_f32_e32 v78, v138, v134
	s_delay_alu instid0(VALU_DEP_4) | instskip(NEXT) | instid1(VALU_DEP_3)
	v_fma_f32 v77, v131, v103, -v77
	v_add_f32_e32 v4, v4, v79
	s_delay_alu instid0(VALU_DEP_3) | instskip(NEXT) | instid1(VALU_DEP_2)
	v_fma_f32 v78, v137, v133, -v78
	v_add_f32_e32 v4, v4, v77
	s_delay_alu instid0(VALU_DEP_1) | instskip(SKIP_1) | instid1(VALU_DEP_1)
	v_add_f32_e32 v4, v4, v78
	s_wait_loadcnt 0x0
	v_dual_add_f32 v2, v2, v139 :: v_dual_sub_f32 v77, v135, v4
	s_delay_alu instid0(VALU_DEP_1) | instskip(NEXT) | instid1(VALU_DEP_1)
	v_add_f32_e32 v2, v2, v140
	v_add_f32_e32 v2, v2, v141
	s_delay_alu instid0(VALU_DEP_1) | instskip(NEXT) | instid1(VALU_DEP_1)
	v_add_f32_e32 v2, v2, v142
	v_add_f32_e32 v2, v2, v143
	;; [unrolled: 3-line block ×6, first 2 shown]
	s_delay_alu instid0(VALU_DEP_1)
	v_sub_f32_e32 v78, v136, v2
	scratch_store_b64 off, v[77:78], off offset:160
	v_cmpx_lt_u32_e32 19, v0
	s_cbranch_execz .LBB35_191
; %bb.190:
	scratch_load_b64 v[77:78], off, off offset:152
	v_mov_b32_e32 v2, v1
	scratch_store_b64 off, v[1:2], off offset:152
	s_wait_loadcnt 0x0
	ds_store_b64 v3, v[77:78]
.LBB35_191:
	s_wait_alu 0xfffe
	s_or_b32 exec_lo, exec_lo, s0
	s_wait_storecnt_dscnt 0x0
	s_barrier_signal -1
	s_barrier_wait -1
	global_inv scope:SCOPE_SE
	s_clause 0x8
	scratch_load_b128 v[77:80], off, off offset:160
	scratch_load_b128 v[81:84], off, off offset:176
	;; [unrolled: 1-line block ×8, first 2 shown]
	scratch_load_b64 v[141:142], off, off offset:152
	ds_load_b128 v[109:112], v1 offset:448
	ds_load_b128 v[113:116], v1 offset:464
	;; [unrolled: 1-line block ×8, first 2 shown]
	s_mov_b32 s0, exec_lo
	s_wait_loadcnt_dscnt 0x807
	v_dual_mul_f32 v1, v109, v78 :: v_dual_mul_f32 v2, v111, v80
	v_mul_f32_e32 v78, v110, v78
	v_mul_f32_e32 v80, v112, v80
	s_wait_loadcnt_dscnt 0x706
	v_dual_mul_f32 v4, v113, v82 :: v_dual_mul_f32 v143, v115, v84
	s_wait_loadcnt_dscnt 0x100
	v_dual_fmac_f32 v1, v110, v77 :: v_dual_mul_f32 v154, v137, v106
	v_mul_f32_e32 v155, v139, v108
	v_fma_f32 v78, v109, v77, -v78
	v_dual_mul_f32 v77, v114, v82 :: v_dual_fmac_f32 v2, v112, v79
	s_delay_alu instid0(VALU_DEP_4) | instskip(SKIP_1) | instid1(VALU_DEP_4)
	v_add_f32_e32 v1, 0, v1
	v_fma_f32 v79, v111, v79, -v80
	v_dual_add_f32 v78, 0, v78 :: v_dual_fmac_f32 v143, v116, v83
	s_delay_alu instid0(VALU_DEP_3) | instskip(SKIP_1) | instid1(VALU_DEP_3)
	v_dual_mul_f32 v80, v116, v84 :: v_dual_add_f32 v1, v1, v2
	v_fma_f32 v77, v113, v81, -v77
	v_add_f32_e32 v78, v78, v79
	v_dual_mul_f32 v144, v117, v86 :: v_dual_mul_f32 v145, v119, v88
	s_delay_alu instid0(VALU_DEP_4) | instskip(SKIP_1) | instid1(VALU_DEP_4)
	v_fma_f32 v79, v115, v83, -v80
	v_dual_mul_f32 v146, v121, v90 :: v_dual_mul_f32 v147, v123, v92
	v_add_f32_e32 v77, v78, v77
	v_fmac_f32_e32 v4, v114, v81
	v_dual_fmac_f32 v144, v118, v85 :: v_dual_fmac_f32 v145, v120, v87
	s_delay_alu instid0(VALU_DEP_4) | instskip(NEXT) | instid1(VALU_DEP_4)
	v_dual_fmac_f32 v146, v122, v89 :: v_dual_fmac_f32 v147, v124, v91
	v_add_f32_e32 v77, v77, v79
	s_delay_alu instid0(VALU_DEP_4) | instskip(SKIP_2) | instid1(VALU_DEP_3)
	v_dual_add_f32 v1, v1, v4 :: v_dual_mul_f32 v2, v118, v86
	v_mul_f32_e32 v4, v120, v88
	v_dual_mul_f32 v148, v125, v94 :: v_dual_mul_f32 v149, v127, v96
	v_add_f32_e32 v1, v1, v143
	s_delay_alu instid0(VALU_DEP_4) | instskip(SKIP_3) | instid1(VALU_DEP_4)
	v_fma_f32 v2, v117, v85, -v2
	v_mul_f32_e32 v78, v122, v90
	v_fma_f32 v4, v119, v87, -v4
	v_dual_mul_f32 v150, v129, v98 :: v_dual_mul_f32 v151, v131, v100
	v_dual_add_f32 v2, v77, v2 :: v_dual_mul_f32 v77, v124, v92
	v_add_f32_e32 v1, v1, v144
	v_fma_f32 v78, v121, v89, -v78
	s_delay_alu instid0(VALU_DEP_4) | instskip(NEXT) | instid1(VALU_DEP_3)
	v_dual_fmac_f32 v148, v126, v93 :: v_dual_fmac_f32 v151, v132, v99
	v_dual_add_f32 v2, v2, v4 :: v_dual_add_f32 v1, v1, v145
	v_fma_f32 v77, v123, v91, -v77
	v_dual_fmac_f32 v149, v128, v95 :: v_dual_fmac_f32 v150, v130, v97
	s_delay_alu instid0(VALU_DEP_3) | instskip(NEXT) | instid1(VALU_DEP_4)
	v_add_f32_e32 v2, v2, v78
	v_dual_add_f32 v1, v1, v146 :: v_dual_mul_f32 v78, v128, v96
	v_mul_f32_e32 v4, v126, v94
	v_dual_mul_f32 v152, v133, v102 :: v_dual_mul_f32 v153, v135, v104
	s_delay_alu instid0(VALU_DEP_3) | instskip(NEXT) | instid1(VALU_DEP_3)
	v_dual_add_f32 v1, v1, v147 :: v_dual_add_f32 v2, v2, v77
	v_fma_f32 v4, v125, v93, -v4
	v_mul_f32_e32 v77, v130, v98
	v_fma_f32 v78, v127, v95, -v78
	s_delay_alu instid0(VALU_DEP_4) | instskip(NEXT) | instid1(VALU_DEP_4)
	v_dual_add_f32 v1, v1, v148 :: v_dual_fmac_f32 v152, v134, v101
	v_dual_fmac_f32 v155, v140, v107 :: v_dual_add_f32 v2, v2, v4
	v_mul_f32_e32 v4, v132, v100
	v_fma_f32 v77, v129, v97, -v77
	s_delay_alu instid0(VALU_DEP_4) | instskip(NEXT) | instid1(VALU_DEP_4)
	v_add_f32_e32 v1, v1, v149
	v_dual_fmac_f32 v153, v136, v103 :: v_dual_add_f32 v2, v2, v78
	v_mul_f32_e32 v78, v134, v102
	v_fma_f32 v4, v131, v99, -v4
	v_fmac_f32_e32 v154, v138, v105
	s_delay_alu instid0(VALU_DEP_4) | instskip(SKIP_2) | instid1(VALU_DEP_3)
	v_dual_add_f32 v2, v2, v77 :: v_dual_mul_f32 v77, v136, v104
	v_add_f32_e32 v1, v1, v150
	v_fma_f32 v78, v133, v101, -v78
	v_fma_f32 v77, v135, v103, -v77
	s_delay_alu instid0(VALU_DEP_3) | instskip(NEXT) | instid1(VALU_DEP_1)
	v_add_f32_e32 v1, v1, v151
	v_add_f32_e32 v1, v1, v152
	;; [unrolled: 1-line block ×3, first 2 shown]
	s_delay_alu instid0(VALU_DEP_2) | instskip(NEXT) | instid1(VALU_DEP_2)
	v_dual_mul_f32 v4, v138, v106 :: v_dual_add_f32 v1, v1, v153
	v_add_f32_e32 v2, v2, v78
	v_mul_f32_e32 v78, v140, v108
	s_delay_alu instid0(VALU_DEP_3) | instskip(NEXT) | instid1(VALU_DEP_3)
	v_fma_f32 v4, v137, v105, -v4
	v_dual_add_f32 v1, v1, v154 :: v_dual_add_f32 v2, v2, v77
	s_delay_alu instid0(VALU_DEP_3) | instskip(NEXT) | instid1(VALU_DEP_2)
	v_fma_f32 v77, v139, v107, -v78
	v_add_f32_e32 v2, v2, v4
	s_delay_alu instid0(VALU_DEP_3) | instskip(NEXT) | instid1(VALU_DEP_2)
	v_add_f32_e32 v4, v1, v155
	v_add_f32_e32 v2, v2, v77
	s_wait_loadcnt 0x0
	s_delay_alu instid0(VALU_DEP_1)
	v_dual_sub_f32 v1, v141, v2 :: v_dual_sub_f32 v2, v142, v4
	scratch_store_b64 off, v[1:2], off offset:152
	v_cmpx_lt_u32_e32 18, v0
	s_cbranch_execz .LBB35_193
; %bb.192:
	scratch_load_b64 v[1:2], off, off offset:144
	v_mov_b32_e32 v77, 0
	s_delay_alu instid0(VALU_DEP_1)
	v_mov_b32_e32 v78, v77
	scratch_store_b64 off, v[77:78], off offset:144
	s_wait_loadcnt 0x0
	ds_store_b64 v3, v[1:2]
.LBB35_193:
	s_wait_alu 0xfffe
	s_or_b32 exec_lo, exec_lo, s0
	s_wait_storecnt_dscnt 0x0
	s_barrier_signal -1
	s_barrier_wait -1
	global_inv scope:SCOPE_SE
	s_clause 0x9
	scratch_load_b128 v[77:80], off, off offset:152
	scratch_load_b128 v[81:84], off, off offset:168
	scratch_load_b128 v[85:88], off, off offset:184
	scratch_load_b128 v[89:92], off, off offset:200
	scratch_load_b128 v[93:96], off, off offset:216
	scratch_load_b128 v[97:100], off, off offset:232
	scratch_load_b128 v[101:104], off, off offset:248
	scratch_load_b128 v[105:108], off, off offset:264
	scratch_load_b64 v[141:142], off, off offset:280
	scratch_load_b64 v[143:144], off, off offset:144
	v_mov_b32_e32 v1, 0
	ds_load_2addr_b64 v[109:112], v1 offset0:55 offset1:56
	ds_load_2addr_b64 v[113:116], v1 offset0:57 offset1:58
	ds_load_2addr_b64 v[117:120], v1 offset0:59 offset1:60
	ds_load_2addr_b64 v[121:124], v1 offset0:61 offset1:62
	ds_load_2addr_b64 v[125:128], v1 offset0:63 offset1:64
	ds_load_2addr_b64 v[129:132], v1 offset0:65 offset1:66
	ds_load_2addr_b64 v[133:136], v1 offset0:67 offset1:68
	ds_load_2addr_b64 v[137:140], v1 offset0:69 offset1:70
	ds_load_b64 v[145:146], v1 offset:568
	s_mov_b32 s0, exec_lo
	s_wait_loadcnt_dscnt 0x908
	v_mul_f32_e32 v2, v109, v78
	v_mul_f32_e32 v78, v110, v78
	s_wait_loadcnt_dscnt 0x807
	v_dual_mul_f32 v4, v111, v80 :: v_dual_mul_f32 v147, v113, v82
	v_mul_f32_e32 v80, v112, v80
	s_wait_loadcnt_dscnt 0x706
	v_dual_mul_f32 v148, v115, v84 :: v_dual_mul_f32 v149, v117, v86
	v_fma_f32 v78, v109, v77, -v78
	v_fmac_f32_e32 v2, v110, v77
	v_dual_mul_f32 v77, v114, v82 :: v_dual_fmac_f32 v4, v112, v79
	v_fmac_f32_e32 v147, v114, v81
	v_fma_f32 v79, v111, v79, -v80
	v_dual_add_f32 v78, 0, v78 :: v_dual_fmac_f32 v149, v118, v85
	v_mul_f32_e32 v80, v116, v84
	v_fma_f32 v77, v113, v81, -v77
	s_wait_loadcnt_dscnt 0x504
	v_dual_mul_f32 v152, v123, v92 :: v_dual_mul_f32 v153, v125, v94
	v_add_f32_e32 v78, v78, v79
	v_add_f32_e32 v2, 0, v2
	v_fma_f32 v79, v115, v83, -v80
	s_wait_loadcnt_dscnt 0x403
	v_dual_mul_f32 v154, v127, v96 :: v_dual_mul_f32 v155, v129, v98
	v_add_f32_e32 v77, v78, v77
	v_add_f32_e32 v2, v2, v4
	v_mul_f32_e32 v4, v118, v86
	v_dual_mul_f32 v78, v120, v88 :: v_dual_fmac_f32 v153, v126, v93
	s_delay_alu instid0(VALU_DEP_4) | instskip(SKIP_1) | instid1(VALU_DEP_4)
	v_add_f32_e32 v77, v77, v79
	v_mul_f32_e32 v79, v122, v90
	v_fma_f32 v4, v117, v85, -v4
	s_delay_alu instid0(VALU_DEP_4)
	v_fma_f32 v78, v119, v87, -v78
	s_wait_loadcnt_dscnt 0x302
	v_dual_mul_f32 v156, v131, v100 :: v_dual_mul_f32 v157, v133, v102
	v_fma_f32 v79, v121, v89, -v79
	v_dual_add_f32 v4, v77, v4 :: v_dual_fmac_f32 v155, v130, v97
	v_mul_f32_e32 v77, v124, v92
	s_wait_loadcnt_dscnt 0x201
	v_dual_mul_f32 v158, v135, v104 :: v_dual_mul_f32 v159, v137, v106
	s_delay_alu instid0(VALU_DEP_3) | instskip(SKIP_3) | instid1(VALU_DEP_4)
	v_dual_add_f32 v4, v4, v78 :: v_dual_fmac_f32 v157, v134, v101
	v_mul_f32_e32 v78, v126, v94
	v_fma_f32 v77, v123, v91, -v77
	v_dual_mul_f32 v150, v119, v88 :: v_dual_mul_f32 v151, v121, v90
	v_dual_add_f32 v4, v4, v79 :: v_dual_fmac_f32 v159, v138, v105
	v_mul_f32_e32 v79, v128, v96
	v_fma_f32 v78, v125, v93, -v78
	s_delay_alu instid0(VALU_DEP_4) | instskip(NEXT) | instid1(VALU_DEP_4)
	v_fmac_f32_e32 v150, v120, v87
	v_dual_add_f32 v4, v4, v77 :: v_dual_mul_f32 v77, v130, v98
	s_delay_alu instid0(VALU_DEP_4) | instskip(SKIP_2) | instid1(VALU_DEP_4)
	v_fma_f32 v79, v127, v95, -v79
	v_fmac_f32_e32 v152, v124, v91
	v_add_f32_e32 v2, v2, v147
	v_add_f32_e32 v4, v4, v78
	v_mul_f32_e32 v78, v132, v100
	v_fma_f32 v77, v129, v97, -v77
	v_dual_fmac_f32 v148, v116, v83 :: v_dual_fmac_f32 v151, v122, v89
	s_delay_alu instid0(VALU_DEP_4) | instskip(NEXT) | instid1(VALU_DEP_4)
	v_dual_add_f32 v4, v4, v79 :: v_dual_mul_f32 v79, v134, v102
	v_fma_f32 v78, v131, v99, -v78
	s_wait_loadcnt_dscnt 0x100
	v_dual_mul_f32 v160, v139, v108 :: v_dual_mul_f32 v161, v145, v142
	s_delay_alu instid0(VALU_DEP_3) | instskip(SKIP_2) | instid1(VALU_DEP_4)
	v_add_f32_e32 v4, v4, v77
	v_mul_f32_e32 v77, v136, v104
	v_fma_f32 v79, v133, v101, -v79
	v_dual_fmac_f32 v154, v128, v95 :: v_dual_fmac_f32 v161, v146, v141
	s_delay_alu instid0(VALU_DEP_4)
	v_add_f32_e32 v4, v4, v78
	v_mul_f32_e32 v78, v138, v106
	v_fma_f32 v77, v135, v103, -v77
	v_fmac_f32_e32 v156, v132, v99
	v_fmac_f32_e32 v158, v136, v103
	v_add_f32_e32 v4, v4, v79
	v_mul_f32_e32 v79, v140, v108
	v_fma_f32 v78, v137, v105, -v78
	v_add_f32_e32 v2, v2, v148
	v_fmac_f32_e32 v160, v140, v107
	v_dual_add_f32 v4, v4, v77 :: v_dual_mul_f32 v77, v146, v142
	v_fma_f32 v79, v139, v107, -v79
	s_delay_alu instid0(VALU_DEP_2) | instskip(NEXT) | instid1(VALU_DEP_3)
	v_add_f32_e32 v4, v4, v78
	v_fma_f32 v77, v145, v141, -v77
	s_delay_alu instid0(VALU_DEP_2) | instskip(NEXT) | instid1(VALU_DEP_1)
	v_add_f32_e32 v4, v4, v79
	v_add_f32_e32 v4, v4, v77
	s_wait_loadcnt 0x0
	s_delay_alu instid0(VALU_DEP_1) | instskip(NEXT) | instid1(VALU_DEP_1)
	v_dual_add_f32 v2, v2, v149 :: v_dual_sub_f32 v77, v143, v4
	v_add_f32_e32 v2, v2, v150
	s_delay_alu instid0(VALU_DEP_1) | instskip(NEXT) | instid1(VALU_DEP_1)
	v_add_f32_e32 v2, v2, v151
	v_add_f32_e32 v2, v2, v152
	s_delay_alu instid0(VALU_DEP_1) | instskip(NEXT) | instid1(VALU_DEP_1)
	v_add_f32_e32 v2, v2, v153
	;; [unrolled: 3-line block ×6, first 2 shown]
	v_sub_f32_e32 v78, v144, v2
	scratch_store_b64 off, v[77:78], off offset:144
	v_cmpx_lt_u32_e32 17, v0
	s_cbranch_execz .LBB35_195
; %bb.194:
	scratch_load_b64 v[77:78], off, off offset:136
	v_mov_b32_e32 v2, v1
	scratch_store_b64 off, v[1:2], off offset:136
	s_wait_loadcnt 0x0
	ds_store_b64 v3, v[77:78]
.LBB35_195:
	s_wait_alu 0xfffe
	s_or_b32 exec_lo, exec_lo, s0
	s_wait_storecnt_dscnt 0x0
	s_barrier_signal -1
	s_barrier_wait -1
	global_inv scope:SCOPE_SE
	s_clause 0x9
	scratch_load_b128 v[77:80], off, off offset:144
	scratch_load_b128 v[81:84], off, off offset:160
	;; [unrolled: 1-line block ×9, first 2 shown]
	scratch_load_b64 v[149:150], off, off offset:136
	ds_load_b128 v[113:116], v1 offset:432
	ds_load_b128 v[117:120], v1 offset:448
	;; [unrolled: 1-line block ×9, first 2 shown]
	s_mov_b32 s0, exec_lo
	s_wait_loadcnt_dscnt 0x908
	v_dual_mul_f32 v1, v113, v78 :: v_dual_mul_f32 v2, v115, v80
	v_mul_f32_e32 v78, v114, v78
	v_mul_f32_e32 v80, v116, v80
	s_wait_loadcnt_dscnt 0x807
	v_dual_mul_f32 v4, v117, v82 :: v_dual_mul_f32 v151, v119, v84
	v_dual_fmac_f32 v1, v114, v77 :: v_dual_fmac_f32 v2, v116, v79
	s_wait_loadcnt_dscnt 0x100
	v_dual_mul_f32 v164, v145, v110 :: v_dual_mul_f32 v165, v147, v112
	v_fma_f32 v78, v113, v77, -v78
	v_mul_f32_e32 v77, v118, v82
	v_fma_f32 v79, v115, v79, -v80
	v_dual_add_f32 v1, 0, v1 :: v_dual_mul_f32 v80, v120, v84
	s_delay_alu instid0(VALU_DEP_4) | instskip(NEXT) | instid1(VALU_DEP_4)
	v_dual_add_f32 v78, 0, v78 :: v_dual_fmac_f32 v151, v120, v83
	v_fma_f32 v77, v117, v81, -v77
	s_delay_alu instid0(VALU_DEP_3) | instskip(SKIP_1) | instid1(VALU_DEP_4)
	v_add_f32_e32 v1, v1, v2
	v_dual_mul_f32 v152, v121, v86 :: v_dual_mul_f32 v153, v123, v88
	v_add_f32_e32 v78, v78, v79
	v_fma_f32 v79, v119, v83, -v80
	v_dual_mul_f32 v154, v125, v90 :: v_dual_mul_f32 v155, v127, v92
	s_delay_alu instid0(VALU_DEP_4) | instskip(NEXT) | instid1(VALU_DEP_4)
	v_dual_fmac_f32 v152, v122, v85 :: v_dual_fmac_f32 v153, v124, v87
	v_add_f32_e32 v77, v78, v77
	v_fmac_f32_e32 v4, v118, v81
	s_delay_alu instid0(VALU_DEP_4) | instskip(SKIP_1) | instid1(VALU_DEP_4)
	v_dual_fmac_f32 v154, v126, v89 :: v_dual_fmac_f32 v155, v128, v91
	v_dual_mul_f32 v156, v129, v94 :: v_dual_mul_f32 v157, v131, v96
	v_add_f32_e32 v77, v77, v79
	s_delay_alu instid0(VALU_DEP_4) | instskip(SKIP_2) | instid1(VALU_DEP_3)
	v_dual_add_f32 v1, v1, v4 :: v_dual_mul_f32 v2, v122, v86
	v_mul_f32_e32 v4, v124, v88
	v_dual_mul_f32 v158, v133, v98 :: v_dual_mul_f32 v159, v135, v100
	v_add_f32_e32 v1, v1, v151
	s_delay_alu instid0(VALU_DEP_4) | instskip(SKIP_3) | instid1(VALU_DEP_4)
	v_fma_f32 v2, v121, v85, -v2
	v_mul_f32_e32 v78, v126, v90
	v_fma_f32 v4, v123, v87, -v4
	v_dual_fmac_f32 v156, v130, v93 :: v_dual_fmac_f32 v159, v136, v99
	v_dual_add_f32 v2, v77, v2 :: v_dual_mul_f32 v77, v128, v92
	v_add_f32_e32 v1, v1, v152
	v_fma_f32 v78, v125, v89, -v78
	s_delay_alu instid0(VALU_DEP_3) | instskip(NEXT) | instid1(VALU_DEP_4)
	v_dual_fmac_f32 v157, v132, v95 :: v_dual_add_f32 v2, v2, v4
	v_fma_f32 v77, v127, v91, -v77
	s_delay_alu instid0(VALU_DEP_4) | instskip(SKIP_3) | instid1(VALU_DEP_4)
	v_add_f32_e32 v1, v1, v153
	v_fmac_f32_e32 v158, v134, v97
	v_dual_mul_f32 v160, v137, v102 :: v_dual_mul_f32 v161, v139, v104
	v_add_f32_e32 v2, v2, v78
	v_dual_add_f32 v1, v1, v154 :: v_dual_mul_f32 v78, v132, v96
	v_mul_f32_e32 v4, v130, v94
	v_dual_mul_f32 v162, v141, v106 :: v_dual_mul_f32 v163, v143, v108
	s_delay_alu instid0(VALU_DEP_3) | instskip(NEXT) | instid1(VALU_DEP_3)
	v_dual_add_f32 v1, v1, v155 :: v_dual_add_f32 v2, v2, v77
	v_fma_f32 v4, v129, v93, -v4
	v_mul_f32_e32 v77, v134, v98
	v_fma_f32 v78, v131, v95, -v78
	s_delay_alu instid0(VALU_DEP_4) | instskip(NEXT) | instid1(VALU_DEP_4)
	v_dual_add_f32 v1, v1, v156 :: v_dual_fmac_f32 v160, v138, v101
	v_dual_fmac_f32 v163, v144, v107 :: v_dual_add_f32 v2, v2, v4
	v_mul_f32_e32 v4, v136, v100
	v_fma_f32 v77, v133, v97, -v77
	s_delay_alu instid0(VALU_DEP_4) | instskip(NEXT) | instid1(VALU_DEP_4)
	v_add_f32_e32 v1, v1, v157
	v_dual_fmac_f32 v161, v140, v103 :: v_dual_add_f32 v2, v2, v78
	v_mul_f32_e32 v78, v138, v102
	v_fma_f32 v4, v135, v99, -v4
	v_dual_fmac_f32 v162, v142, v105 :: v_dual_fmac_f32 v165, v148, v111
	s_delay_alu instid0(VALU_DEP_4) | instskip(SKIP_3) | instid1(VALU_DEP_4)
	v_dual_add_f32 v2, v2, v77 :: v_dual_mul_f32 v77, v140, v104
	v_add_f32_e32 v1, v1, v158
	v_fma_f32 v78, v137, v101, -v78
	v_fmac_f32_e32 v164, v146, v109
	v_fma_f32 v77, v139, v103, -v77
	s_delay_alu instid0(VALU_DEP_4) | instskip(NEXT) | instid1(VALU_DEP_1)
	v_add_f32_e32 v1, v1, v159
	v_add_f32_e32 v1, v1, v160
	s_delay_alu instid0(VALU_DEP_1) | instskip(NEXT) | instid1(VALU_DEP_1)
	v_dual_add_f32 v2, v2, v4 :: v_dual_add_f32 v1, v1, v161
	v_add_f32_e32 v2, v2, v78
	s_delay_alu instid0(VALU_DEP_2) | instskip(NEXT) | instid1(VALU_DEP_2)
	v_dual_mul_f32 v78, v144, v108 :: v_dual_add_f32 v1, v1, v162
	v_add_f32_e32 v2, v2, v77
	v_mul_f32_e32 v4, v142, v106
	v_mul_f32_e32 v77, v146, v110
	s_delay_alu instid0(VALU_DEP_4) | instskip(SKIP_1) | instid1(VALU_DEP_4)
	v_fma_f32 v78, v143, v107, -v78
	v_add_f32_e32 v1, v1, v163
	v_fma_f32 v4, v141, v105, -v4
	s_delay_alu instid0(VALU_DEP_4) | instskip(NEXT) | instid1(VALU_DEP_3)
	v_fma_f32 v77, v145, v109, -v77
	v_add_f32_e32 v1, v1, v164
	s_delay_alu instid0(VALU_DEP_3) | instskip(SKIP_1) | instid1(VALU_DEP_2)
	v_add_f32_e32 v2, v2, v4
	v_mul_f32_e32 v4, v148, v112
	v_add_f32_e32 v2, v2, v78
	s_delay_alu instid0(VALU_DEP_2) | instskip(NEXT) | instid1(VALU_DEP_2)
	v_fma_f32 v4, v147, v111, -v4
	v_add_f32_e32 v2, v2, v77
	s_delay_alu instid0(VALU_DEP_1) | instskip(SKIP_2) | instid1(VALU_DEP_1)
	v_add_f32_e32 v2, v2, v4
	v_add_f32_e32 v4, v1, v165
	s_wait_loadcnt 0x0
	v_dual_sub_f32 v1, v149, v2 :: v_dual_sub_f32 v2, v150, v4
	scratch_store_b64 off, v[1:2], off offset:136
	v_cmpx_lt_u32_e32 16, v0
	s_cbranch_execz .LBB35_197
; %bb.196:
	scratch_load_b64 v[1:2], off, off offset:128
	v_mov_b32_e32 v77, 0
	s_delay_alu instid0(VALU_DEP_1)
	v_mov_b32_e32 v78, v77
	scratch_store_b64 off, v[77:78], off offset:128
	s_wait_loadcnt 0x0
	ds_store_b64 v3, v[1:2]
.LBB35_197:
	s_wait_alu 0xfffe
	s_or_b32 exec_lo, exec_lo, s0
	s_wait_storecnt_dscnt 0x0
	s_barrier_signal -1
	s_barrier_wait -1
	global_inv scope:SCOPE_SE
	s_clause 0xa
	scratch_load_b128 v[77:80], off, off offset:136
	scratch_load_b128 v[81:84], off, off offset:152
	;; [unrolled: 1-line block ×9, first 2 shown]
	scratch_load_b64 v[149:150], off, off offset:280
	scratch_load_b64 v[151:152], off, off offset:128
	v_mov_b32_e32 v1, 0
	ds_load_2addr_b64 v[113:116], v1 offset0:53 offset1:54
	ds_load_2addr_b64 v[117:120], v1 offset0:55 offset1:56
	;; [unrolled: 1-line block ×9, first 2 shown]
	ds_load_b64 v[153:154], v1 offset:568
	s_mov_b32 s0, exec_lo
	s_wait_loadcnt_dscnt 0xa09
	v_mul_f32_e32 v2, v113, v78
	v_mul_f32_e32 v78, v114, v78
	s_wait_loadcnt_dscnt 0x908
	v_dual_mul_f32 v4, v115, v80 :: v_dual_mul_f32 v155, v117, v82
	v_mul_f32_e32 v80, v116, v80
	s_wait_loadcnt_dscnt 0x807
	v_dual_mul_f32 v156, v119, v84 :: v_dual_mul_f32 v157, v121, v86
	v_fma_f32 v78, v113, v77, -v78
	v_fmac_f32_e32 v2, v114, v77
	v_dual_mul_f32 v77, v118, v82 :: v_dual_fmac_f32 v4, v116, v79
	v_fmac_f32_e32 v155, v118, v81
	v_fma_f32 v79, v115, v79, -v80
	v_dual_add_f32 v78, 0, v78 :: v_dual_fmac_f32 v157, v122, v85
	v_mul_f32_e32 v80, v120, v84
	v_fma_f32 v77, v117, v81, -v77
	s_wait_loadcnt_dscnt 0x605
	v_dual_mul_f32 v160, v127, v92 :: v_dual_mul_f32 v161, v129, v94
	v_add_f32_e32 v78, v78, v79
	v_add_f32_e32 v2, 0, v2
	v_fma_f32 v79, v119, v83, -v80
	s_wait_loadcnt_dscnt 0x504
	v_dual_mul_f32 v162, v131, v96 :: v_dual_mul_f32 v163, v133, v98
	v_add_f32_e32 v77, v78, v77
	v_add_f32_e32 v2, v2, v4
	v_mul_f32_e32 v4, v122, v86
	v_dual_mul_f32 v78, v124, v88 :: v_dual_fmac_f32 v161, v130, v93
	s_delay_alu instid0(VALU_DEP_4) | instskip(SKIP_1) | instid1(VALU_DEP_4)
	v_add_f32_e32 v77, v77, v79
	v_mul_f32_e32 v79, v126, v90
	v_fma_f32 v4, v121, v85, -v4
	s_delay_alu instid0(VALU_DEP_4)
	v_fma_f32 v78, v123, v87, -v78
	s_wait_loadcnt_dscnt 0x403
	v_dual_mul_f32 v164, v135, v100 :: v_dual_mul_f32 v165, v137, v102
	v_fma_f32 v79, v125, v89, -v79
	v_dual_add_f32 v4, v77, v4 :: v_dual_fmac_f32 v163, v134, v97
	v_mul_f32_e32 v77, v128, v92
	s_wait_loadcnt_dscnt 0x302
	v_dual_mul_f32 v166, v139, v104 :: v_dual_mul_f32 v167, v141, v106
	s_delay_alu instid0(VALU_DEP_3) | instskip(SKIP_3) | instid1(VALU_DEP_4)
	v_dual_add_f32 v4, v4, v78 :: v_dual_fmac_f32 v165, v138, v101
	v_mul_f32_e32 v78, v130, v94
	v_fma_f32 v77, v127, v91, -v77
	v_dual_mul_f32 v158, v123, v88 :: v_dual_mul_f32 v159, v125, v90
	v_dual_add_f32 v4, v4, v79 :: v_dual_fmac_f32 v167, v142, v105
	v_mul_f32_e32 v79, v132, v96
	v_fma_f32 v78, v129, v93, -v78
	s_wait_loadcnt_dscnt 0x100
	v_dual_mul_f32 v170, v147, v112 :: v_dual_mul_f32 v171, v153, v150
	v_add_f32_e32 v4, v4, v77
	v_dual_fmac_f32 v158, v124, v87 :: v_dual_mul_f32 v77, v134, v98
	v_fma_f32 v79, v131, v95, -v79
	s_delay_alu instid0(VALU_DEP_3) | instskip(SKIP_1) | instid1(VALU_DEP_4)
	v_dual_fmac_f32 v171, v154, v149 :: v_dual_add_f32 v4, v4, v78
	v_mul_f32_e32 v78, v136, v100
	v_fma_f32 v77, v133, v97, -v77
	v_fmac_f32_e32 v160, v128, v91
	v_add_f32_e32 v2, v2, v155
	v_dual_add_f32 v4, v4, v79 :: v_dual_mul_f32 v79, v138, v102
	v_fma_f32 v78, v135, v99, -v78
	v_dual_fmac_f32 v156, v120, v83 :: v_dual_fmac_f32 v159, v126, v89
	s_delay_alu instid0(VALU_DEP_3) | instskip(SKIP_3) | instid1(VALU_DEP_4)
	v_add_f32_e32 v4, v4, v77
	v_mul_f32_e32 v77, v140, v104
	v_fma_f32 v79, v137, v101, -v79
	v_dual_mul_f32 v168, v143, v108 :: v_dual_mul_f32 v169, v145, v110
	v_add_f32_e32 v4, v4, v78
	v_mul_f32_e32 v78, v142, v106
	v_fma_f32 v77, v139, v103, -v77
	s_delay_alu instid0(VALU_DEP_4) | instskip(NEXT) | instid1(VALU_DEP_4)
	v_dual_fmac_f32 v162, v132, v95 :: v_dual_fmac_f32 v169, v146, v109
	v_add_f32_e32 v4, v4, v79
	v_mul_f32_e32 v79, v144, v108
	v_fma_f32 v78, v141, v105, -v78
	v_add_f32_e32 v2, v2, v156
	v_fmac_f32_e32 v164, v136, v99
	v_dual_add_f32 v4, v4, v77 :: v_dual_mul_f32 v77, v146, v110
	v_fma_f32 v79, v143, v107, -v79
	v_fmac_f32_e32 v166, v140, v103
	v_fmac_f32_e32 v168, v144, v107
	s_delay_alu instid0(VALU_DEP_4) | instskip(SKIP_3) | instid1(VALU_DEP_4)
	v_add_f32_e32 v4, v4, v78
	v_mul_f32_e32 v78, v148, v112
	v_fma_f32 v77, v145, v109, -v77
	v_fmac_f32_e32 v170, v148, v111
	v_dual_add_f32 v4, v4, v79 :: v_dual_mul_f32 v79, v154, v150
	s_delay_alu instid0(VALU_DEP_4) | instskip(NEXT) | instid1(VALU_DEP_2)
	v_fma_f32 v78, v147, v111, -v78
	v_add_f32_e32 v4, v4, v77
	s_delay_alu instid0(VALU_DEP_3) | instskip(NEXT) | instid1(VALU_DEP_2)
	v_fma_f32 v77, v153, v149, -v79
	v_add_f32_e32 v4, v4, v78
	s_delay_alu instid0(VALU_DEP_1) | instskip(SKIP_1) | instid1(VALU_DEP_1)
	v_add_f32_e32 v4, v4, v77
	s_wait_loadcnt 0x0
	v_dual_add_f32 v2, v2, v157 :: v_dual_sub_f32 v77, v151, v4
	s_delay_alu instid0(VALU_DEP_1) | instskip(NEXT) | instid1(VALU_DEP_1)
	v_add_f32_e32 v2, v2, v158
	v_add_f32_e32 v2, v2, v159
	s_delay_alu instid0(VALU_DEP_1) | instskip(NEXT) | instid1(VALU_DEP_1)
	v_add_f32_e32 v2, v2, v160
	v_add_f32_e32 v2, v2, v161
	;; [unrolled: 3-line block ×7, first 2 shown]
	s_delay_alu instid0(VALU_DEP_1)
	v_sub_f32_e32 v78, v152, v2
	scratch_store_b64 off, v[77:78], off offset:128
	v_cmpx_lt_u32_e32 15, v0
	s_cbranch_execz .LBB35_199
; %bb.198:
	scratch_load_b64 v[77:78], off, off offset:120
	v_mov_b32_e32 v2, v1
	scratch_store_b64 off, v[1:2], off offset:120
	s_wait_loadcnt 0x0
	ds_store_b64 v3, v[77:78]
.LBB35_199:
	s_wait_alu 0xfffe
	s_or_b32 exec_lo, exec_lo, s0
	s_wait_storecnt_dscnt 0x0
	s_barrier_signal -1
	s_barrier_wait -1
	global_inv scope:SCOPE_SE
	s_clause 0xa
	scratch_load_b128 v[77:80], off, off offset:128
	scratch_load_b128 v[81:84], off, off offset:144
	;; [unrolled: 1-line block ×10, first 2 shown]
	scratch_load_b64 v[157:158], off, off offset:120
	ds_load_b128 v[117:120], v1 offset:416
	ds_load_b128 v[121:124], v1 offset:432
	;; [unrolled: 1-line block ×10, first 2 shown]
	s_mov_b32 s0, exec_lo
	s_wait_loadcnt_dscnt 0xa09
	v_dual_mul_f32 v1, v117, v78 :: v_dual_mul_f32 v2, v119, v80
	v_mul_f32_e32 v78, v118, v78
	v_mul_f32_e32 v80, v120, v80
	s_wait_loadcnt_dscnt 0x908
	v_dual_mul_f32 v4, v121, v82 :: v_dual_mul_f32 v159, v123, v84
	v_dual_fmac_f32 v1, v118, v77 :: v_dual_fmac_f32 v2, v120, v79
	s_wait_loadcnt_dscnt 0x807
	v_dual_mul_f32 v160, v125, v86 :: v_dual_mul_f32 v161, v127, v88
	s_wait_loadcnt_dscnt 0x100
	v_dual_mul_f32 v174, v153, v114 :: v_dual_mul_f32 v175, v155, v116
	v_fma_f32 v78, v117, v77, -v78
	v_mul_f32_e32 v77, v122, v82
	v_fma_f32 v79, v119, v79, -v80
	v_dual_add_f32 v1, 0, v1 :: v_dual_mul_f32 v80, v124, v84
	s_delay_alu instid0(VALU_DEP_4) | instskip(NEXT) | instid1(VALU_DEP_4)
	v_dual_add_f32 v78, 0, v78 :: v_dual_fmac_f32 v159, v124, v83
	v_fma_f32 v77, v121, v81, -v77
	s_delay_alu instid0(VALU_DEP_3) | instskip(SKIP_1) | instid1(VALU_DEP_4)
	v_dual_add_f32 v1, v1, v2 :: v_dual_fmac_f32 v160, v126, v85
	v_fmac_f32_e32 v161, v128, v87
	v_add_f32_e32 v78, v78, v79
	v_fma_f32 v79, v123, v83, -v80
	v_dual_mul_f32 v162, v129, v90 :: v_dual_mul_f32 v163, v131, v92
	v_dual_mul_f32 v164, v133, v94 :: v_dual_mul_f32 v165, v135, v96
	s_delay_alu instid0(VALU_DEP_4) | instskip(SKIP_1) | instid1(VALU_DEP_4)
	v_add_f32_e32 v77, v78, v77
	v_fmac_f32_e32 v4, v122, v81
	v_dual_fmac_f32 v162, v130, v89 :: v_dual_fmac_f32 v163, v132, v91
	v_dual_mul_f32 v166, v137, v98 :: v_dual_mul_f32 v167, v139, v100
	s_delay_alu instid0(VALU_DEP_4) | instskip(NEXT) | instid1(VALU_DEP_4)
	v_add_f32_e32 v77, v77, v79
	v_dual_add_f32 v1, v1, v4 :: v_dual_mul_f32 v2, v126, v86
	v_mul_f32_e32 v4, v128, v88
	s_delay_alu instid0(VALU_DEP_4) | instskip(NEXT) | instid1(VALU_DEP_3)
	v_dual_fmac_f32 v164, v134, v93 :: v_dual_fmac_f32 v167, v140, v99
	v_add_f32_e32 v1, v1, v159
	s_delay_alu instid0(VALU_DEP_4)
	v_fma_f32 v2, v125, v85, -v2
	v_mul_f32_e32 v78, v130, v90
	v_fma_f32 v4, v127, v87, -v4
	v_fmac_f32_e32 v165, v136, v95
	v_add_f32_e32 v1, v1, v160
	v_dual_add_f32 v2, v77, v2 :: v_dual_mul_f32 v77, v132, v92
	v_fma_f32 v78, v129, v89, -v78
	v_fmac_f32_e32 v166, v138, v97
	s_delay_alu instid0(VALU_DEP_3) | instskip(NEXT) | instid1(VALU_DEP_4)
	v_dual_add_f32 v1, v1, v161 :: v_dual_add_f32 v2, v2, v4
	v_fma_f32 v77, v131, v91, -v77
	v_dual_mul_f32 v168, v141, v102 :: v_dual_mul_f32 v169, v143, v104
	s_delay_alu instid0(VALU_DEP_3) | instskip(NEXT) | instid1(VALU_DEP_4)
	v_add_f32_e32 v1, v1, v162
	v_add_f32_e32 v2, v2, v78
	v_mul_f32_e32 v78, v136, v96
	v_mul_f32_e32 v4, v134, v94
	v_dual_mul_f32 v170, v145, v106 :: v_dual_mul_f32 v171, v147, v108
	s_delay_alu instid0(VALU_DEP_4) | instskip(NEXT) | instid1(VALU_DEP_3)
	v_dual_add_f32 v1, v1, v163 :: v_dual_add_f32 v2, v2, v77
	v_fma_f32 v4, v133, v93, -v4
	v_mul_f32_e32 v77, v138, v98
	v_fma_f32 v78, v135, v95, -v78
	s_delay_alu instid0(VALU_DEP_4) | instskip(NEXT) | instid1(VALU_DEP_4)
	v_dual_add_f32 v1, v1, v164 :: v_dual_fmac_f32 v168, v142, v101
	v_dual_fmac_f32 v171, v148, v107 :: v_dual_add_f32 v2, v2, v4
	v_mul_f32_e32 v4, v140, v100
	v_fma_f32 v77, v137, v97, -v77
	s_delay_alu instid0(VALU_DEP_4) | instskip(NEXT) | instid1(VALU_DEP_4)
	v_add_f32_e32 v1, v1, v165
	v_dual_fmac_f32 v169, v144, v103 :: v_dual_add_f32 v2, v2, v78
	v_mul_f32_e32 v78, v142, v102
	v_fma_f32 v4, v139, v99, -v4
	v_fmac_f32_e32 v170, v146, v105
	v_dual_mul_f32 v172, v149, v110 :: v_dual_mul_f32 v173, v151, v112
	v_dual_add_f32 v2, v2, v77 :: v_dual_mul_f32 v77, v144, v104
	v_add_f32_e32 v1, v1, v166
	v_fma_f32 v78, v141, v101, -v78
	s_delay_alu instid0(VALU_DEP_4) | instskip(NEXT) | instid1(VALU_DEP_4)
	v_dual_fmac_f32 v173, v152, v111 :: v_dual_fmac_f32 v172, v150, v109
	v_fma_f32 v77, v143, v103, -v77
	s_delay_alu instid0(VALU_DEP_4) | instskip(SKIP_1) | instid1(VALU_DEP_2)
	v_dual_add_f32 v1, v1, v167 :: v_dual_fmac_f32 v174, v154, v113
	v_fmac_f32_e32 v175, v156, v115
	v_add_f32_e32 v1, v1, v168
	s_delay_alu instid0(VALU_DEP_1) | instskip(NEXT) | instid1(VALU_DEP_1)
	v_dual_add_f32 v2, v2, v4 :: v_dual_add_f32 v1, v1, v169
	v_add_f32_e32 v2, v2, v78
	s_delay_alu instid0(VALU_DEP_2) | instskip(NEXT) | instid1(VALU_DEP_2)
	v_dual_mul_f32 v78, v148, v108 :: v_dual_add_f32 v1, v1, v170
	v_add_f32_e32 v2, v2, v77
	v_mul_f32_e32 v4, v146, v106
	v_mul_f32_e32 v77, v150, v110
	s_delay_alu instid0(VALU_DEP_4) | instskip(SKIP_1) | instid1(VALU_DEP_4)
	v_fma_f32 v78, v147, v107, -v78
	v_add_f32_e32 v1, v1, v171
	v_fma_f32 v4, v145, v105, -v4
	s_delay_alu instid0(VALU_DEP_4) | instskip(NEXT) | instid1(VALU_DEP_3)
	v_fma_f32 v77, v149, v109, -v77
	v_add_f32_e32 v1, v1, v172
	s_delay_alu instid0(VALU_DEP_1) | instskip(SKIP_1) | instid1(VALU_DEP_2)
	v_dual_add_f32 v2, v2, v4 :: v_dual_add_f32 v1, v1, v173
	v_mul_f32_e32 v4, v152, v112
	v_add_f32_e32 v2, v2, v78
	v_mul_f32_e32 v78, v154, v114
	s_delay_alu instid0(VALU_DEP_4) | instskip(NEXT) | instid1(VALU_DEP_4)
	v_add_f32_e32 v1, v1, v174
	v_fma_f32 v4, v151, v111, -v4
	s_delay_alu instid0(VALU_DEP_4) | instskip(NEXT) | instid1(VALU_DEP_4)
	v_dual_add_f32 v2, v2, v77 :: v_dual_mul_f32 v77, v156, v116
	v_fma_f32 v78, v153, v113, -v78
	s_delay_alu instid0(VALU_DEP_2) | instskip(NEXT) | instid1(VALU_DEP_3)
	v_add_f32_e32 v2, v2, v4
	v_fma_f32 v4, v155, v115, -v77
	s_delay_alu instid0(VALU_DEP_2) | instskip(NEXT) | instid1(VALU_DEP_1)
	v_add_f32_e32 v2, v2, v78
	v_add_f32_e32 v2, v2, v4
	;; [unrolled: 1-line block ×3, first 2 shown]
	s_wait_loadcnt 0x0
	s_delay_alu instid0(VALU_DEP_1)
	v_dual_sub_f32 v1, v157, v2 :: v_dual_sub_f32 v2, v158, v4
	scratch_store_b64 off, v[1:2], off offset:120
	v_cmpx_lt_u32_e32 14, v0
	s_cbranch_execz .LBB35_201
; %bb.200:
	scratch_load_b64 v[1:2], off, off offset:112
	v_mov_b32_e32 v77, 0
	s_delay_alu instid0(VALU_DEP_1)
	v_mov_b32_e32 v78, v77
	scratch_store_b64 off, v[77:78], off offset:112
	s_wait_loadcnt 0x0
	ds_store_b64 v3, v[1:2]
.LBB35_201:
	s_wait_alu 0xfffe
	s_or_b32 exec_lo, exec_lo, s0
	s_wait_storecnt_dscnt 0x0
	s_barrier_signal -1
	s_barrier_wait -1
	global_inv scope:SCOPE_SE
	s_clause 0xb
	scratch_load_b128 v[77:80], off, off offset:120
	scratch_load_b128 v[81:84], off, off offset:136
	scratch_load_b128 v[85:88], off, off offset:152
	scratch_load_b128 v[89:92], off, off offset:168
	scratch_load_b128 v[93:96], off, off offset:184
	scratch_load_b128 v[97:100], off, off offset:200
	scratch_load_b128 v[101:104], off, off offset:216
	scratch_load_b128 v[105:108], off, off offset:232
	scratch_load_b128 v[109:112], off, off offset:248
	scratch_load_b128 v[113:116], off, off offset:264
	scratch_load_b64 v[157:158], off, off offset:280
	scratch_load_b64 v[159:160], off, off offset:112
	v_mov_b32_e32 v1, 0
	ds_load_2addr_b64 v[117:120], v1 offset0:51 offset1:52
	ds_load_2addr_b64 v[121:124], v1 offset0:53 offset1:54
	;; [unrolled: 1-line block ×10, first 2 shown]
	ds_load_b64 v[161:162], v1 offset:568
	s_mov_b32 s0, exec_lo
	s_wait_loadcnt_dscnt 0xb0a
	v_mul_f32_e32 v2, v117, v78
	v_mul_f32_e32 v78, v118, v78
	s_wait_loadcnt_dscnt 0xa09
	v_dual_mul_f32 v4, v119, v80 :: v_dual_mul_f32 v163, v121, v82
	v_mul_f32_e32 v80, v120, v80
	s_wait_loadcnt_dscnt 0x908
	v_dual_mul_f32 v164, v123, v84 :: v_dual_mul_f32 v165, v125, v86
	v_fma_f32 v78, v117, v77, -v78
	v_fmac_f32_e32 v2, v118, v77
	v_dual_mul_f32 v77, v122, v82 :: v_dual_fmac_f32 v4, v120, v79
	v_fmac_f32_e32 v163, v122, v81
	v_fma_f32 v79, v119, v79, -v80
	v_dual_add_f32 v78, 0, v78 :: v_dual_fmac_f32 v165, v126, v85
	v_mul_f32_e32 v80, v124, v84
	v_fma_f32 v77, v121, v81, -v77
	s_wait_loadcnt_dscnt 0x706
	v_dual_mul_f32 v168, v131, v92 :: v_dual_mul_f32 v169, v133, v94
	v_add_f32_e32 v78, v78, v79
	v_add_f32_e32 v2, 0, v2
	v_fma_f32 v79, v123, v83, -v80
	s_wait_loadcnt_dscnt 0x605
	v_dual_mul_f32 v170, v135, v96 :: v_dual_mul_f32 v171, v137, v98
	v_add_f32_e32 v77, v78, v77
	v_add_f32_e32 v2, v2, v4
	v_mul_f32_e32 v4, v126, v86
	v_dual_mul_f32 v78, v128, v88 :: v_dual_fmac_f32 v169, v134, v93
	s_delay_alu instid0(VALU_DEP_4) | instskip(SKIP_1) | instid1(VALU_DEP_4)
	v_add_f32_e32 v77, v77, v79
	v_mul_f32_e32 v79, v130, v90
	v_fma_f32 v4, v125, v85, -v4
	s_delay_alu instid0(VALU_DEP_4)
	v_fma_f32 v78, v127, v87, -v78
	s_wait_loadcnt_dscnt 0x504
	v_dual_mul_f32 v172, v139, v100 :: v_dual_mul_f32 v173, v141, v102
	v_fma_f32 v79, v129, v89, -v79
	v_dual_add_f32 v4, v77, v4 :: v_dual_fmac_f32 v171, v138, v97
	v_mul_f32_e32 v77, v132, v92
	s_wait_loadcnt_dscnt 0x403
	v_dual_mul_f32 v174, v143, v104 :: v_dual_mul_f32 v175, v145, v106
	s_delay_alu instid0(VALU_DEP_3) | instskip(SKIP_3) | instid1(VALU_DEP_4)
	v_dual_add_f32 v4, v4, v78 :: v_dual_fmac_f32 v173, v142, v101
	v_mul_f32_e32 v78, v134, v94
	v_fma_f32 v77, v131, v91, -v77
	v_dual_mul_f32 v166, v127, v88 :: v_dual_mul_f32 v167, v129, v90
	v_dual_add_f32 v4, v4, v79 :: v_dual_fmac_f32 v175, v146, v105
	v_mul_f32_e32 v79, v136, v96
	v_fma_f32 v78, v133, v93, -v78
	s_wait_loadcnt_dscnt 0x201
	v_dual_mul_f32 v178, v151, v112 :: v_dual_mul_f32 v179, v153, v114
	v_add_f32_e32 v4, v4, v77
	v_dual_fmac_f32 v166, v128, v87 :: v_dual_mul_f32 v77, v138, v98
	v_fma_f32 v79, v135, v95, -v79
	s_wait_loadcnt_dscnt 0x100
	v_dual_mul_f32 v180, v155, v116 :: v_dual_mul_f32 v181, v161, v158
	v_dual_add_f32 v4, v4, v78 :: v_dual_fmac_f32 v179, v154, v113
	v_mul_f32_e32 v78, v140, v100
	v_fma_f32 v77, v137, v97, -v77
	v_fmac_f32_e32 v168, v132, v91
	s_delay_alu instid0(VALU_DEP_4) | instskip(SKIP_3) | instid1(VALU_DEP_4)
	v_dual_add_f32 v4, v4, v79 :: v_dual_fmac_f32 v181, v162, v157
	v_mul_f32_e32 v79, v142, v102
	v_fma_f32 v78, v139, v99, -v78
	v_add_f32_e32 v2, v2, v163
	v_add_f32_e32 v4, v4, v77
	v_mul_f32_e32 v77, v144, v104
	v_fma_f32 v79, v141, v101, -v79
	v_dual_fmac_f32 v164, v124, v83 :: v_dual_fmac_f32 v167, v130, v89
	s_delay_alu instid0(VALU_DEP_4) | instskip(SKIP_3) | instid1(VALU_DEP_4)
	v_add_f32_e32 v4, v4, v78
	v_mul_f32_e32 v78, v146, v106
	v_fma_f32 v77, v143, v103, -v77
	v_dual_mul_f32 v176, v147, v108 :: v_dual_mul_f32 v177, v149, v110
	v_add_f32_e32 v4, v4, v79
	v_mul_f32_e32 v79, v148, v108
	v_fma_f32 v78, v145, v105, -v78
	v_add_f32_e32 v2, v2, v164
	v_dual_fmac_f32 v170, v136, v95 :: v_dual_fmac_f32 v177, v150, v109
	v_dual_add_f32 v4, v4, v77 :: v_dual_mul_f32 v77, v150, v110
	v_fma_f32 v79, v147, v107, -v79
	s_delay_alu instid0(VALU_DEP_4) | instskip(SKIP_1) | instid1(VALU_DEP_4)
	v_add_f32_e32 v2, v2, v165
	v_fmac_f32_e32 v172, v140, v99
	v_add_f32_e32 v4, v4, v78
	v_mul_f32_e32 v78, v152, v112
	v_fma_f32 v77, v149, v109, -v77
	v_fmac_f32_e32 v174, v144, v103
	v_fmac_f32_e32 v176, v148, v107
	v_dual_add_f32 v4, v4, v79 :: v_dual_mul_f32 v79, v154, v114
	v_fma_f32 v78, v151, v111, -v78
	v_fmac_f32_e32 v178, v152, v111
	v_fmac_f32_e32 v180, v156, v115
	s_delay_alu instid0(VALU_DEP_4) | instskip(SKIP_2) | instid1(VALU_DEP_3)
	v_add_f32_e32 v4, v4, v77
	v_mul_f32_e32 v77, v156, v116
	v_fma_f32 v79, v153, v113, -v79
	v_add_f32_e32 v4, v4, v78
	v_mul_f32_e32 v78, v162, v158
	s_delay_alu instid0(VALU_DEP_4) | instskip(NEXT) | instid1(VALU_DEP_3)
	v_fma_f32 v77, v155, v115, -v77
	v_add_f32_e32 v4, v4, v79
	s_delay_alu instid0(VALU_DEP_3) | instskip(NEXT) | instid1(VALU_DEP_2)
	v_fma_f32 v78, v161, v157, -v78
	v_add_f32_e32 v4, v4, v77
	s_delay_alu instid0(VALU_DEP_1) | instskip(SKIP_1) | instid1(VALU_DEP_1)
	v_add_f32_e32 v4, v4, v78
	s_wait_loadcnt 0x0
	v_dual_add_f32 v2, v2, v166 :: v_dual_sub_f32 v77, v159, v4
	s_delay_alu instid0(VALU_DEP_1) | instskip(NEXT) | instid1(VALU_DEP_1)
	v_add_f32_e32 v2, v2, v167
	v_add_f32_e32 v2, v2, v168
	s_delay_alu instid0(VALU_DEP_1) | instskip(NEXT) | instid1(VALU_DEP_1)
	v_add_f32_e32 v2, v2, v169
	v_add_f32_e32 v2, v2, v170
	;; [unrolled: 3-line block ×7, first 2 shown]
	s_delay_alu instid0(VALU_DEP_1) | instskip(NEXT) | instid1(VALU_DEP_1)
	v_add_f32_e32 v2, v2, v181
	v_sub_f32_e32 v78, v160, v2
	scratch_store_b64 off, v[77:78], off offset:112
	v_cmpx_lt_u32_e32 13, v0
	s_cbranch_execz .LBB35_203
; %bb.202:
	scratch_load_b64 v[77:78], off, off offset:104
	v_mov_b32_e32 v2, v1
	scratch_store_b64 off, v[1:2], off offset:104
	s_wait_loadcnt 0x0
	ds_store_b64 v3, v[77:78]
.LBB35_203:
	s_wait_alu 0xfffe
	s_or_b32 exec_lo, exec_lo, s0
	s_wait_storecnt_dscnt 0x0
	s_barrier_signal -1
	s_barrier_wait -1
	global_inv scope:SCOPE_SE
	s_clause 0xb
	scratch_load_b128 v[77:80], off, off offset:112
	scratch_load_b128 v[81:84], off, off offset:128
	scratch_load_b128 v[85:88], off, off offset:144
	scratch_load_b128 v[89:92], off, off offset:160
	scratch_load_b128 v[93:96], off, off offset:176
	scratch_load_b128 v[97:100], off, off offset:192
	scratch_load_b128 v[101:104], off, off offset:208
	scratch_load_b128 v[105:108], off, off offset:224
	scratch_load_b128 v[109:112], off, off offset:240
	scratch_load_b128 v[113:116], off, off offset:256
	scratch_load_b128 v[117:120], off, off offset:272
	scratch_load_b64 v[165:166], off, off offset:104
	ds_load_b128 v[121:124], v1 offset:400
	ds_load_b128 v[125:128], v1 offset:416
	;; [unrolled: 1-line block ×11, first 2 shown]
	s_mov_b32 s0, exec_lo
	s_wait_loadcnt_dscnt 0xb0a
	v_dual_mul_f32 v1, v121, v78 :: v_dual_mul_f32 v2, v123, v80
	v_mul_f32_e32 v78, v122, v78
	v_mul_f32_e32 v80, v124, v80
	s_wait_loadcnt_dscnt 0xa09
	v_dual_mul_f32 v4, v125, v82 :: v_dual_mul_f32 v167, v127, v84
	v_dual_fmac_f32 v1, v122, v77 :: v_dual_fmac_f32 v2, v124, v79
	s_wait_loadcnt_dscnt 0x908
	v_dual_mul_f32 v168, v129, v86 :: v_dual_mul_f32 v169, v131, v88
	s_wait_loadcnt_dscnt 0x100
	v_dual_mul_f32 v184, v161, v118 :: v_dual_mul_f32 v185, v163, v120
	v_fma_f32 v78, v121, v77, -v78
	v_mul_f32_e32 v77, v126, v82
	v_fma_f32 v79, v123, v79, -v80
	v_dual_add_f32 v1, 0, v1 :: v_dual_mul_f32 v80, v128, v84
	s_delay_alu instid0(VALU_DEP_4) | instskip(NEXT) | instid1(VALU_DEP_4)
	v_dual_add_f32 v78, 0, v78 :: v_dual_fmac_f32 v167, v128, v83
	v_fma_f32 v77, v125, v81, -v77
	s_delay_alu instid0(VALU_DEP_3) | instskip(SKIP_1) | instid1(VALU_DEP_4)
	v_dual_add_f32 v1, v1, v2 :: v_dual_fmac_f32 v168, v130, v85
	v_fmac_f32_e32 v169, v132, v87
	v_add_f32_e32 v78, v78, v79
	v_fma_f32 v79, v127, v83, -v80
	v_dual_mul_f32 v170, v133, v90 :: v_dual_mul_f32 v171, v135, v92
	v_dual_mul_f32 v172, v137, v94 :: v_dual_mul_f32 v173, v139, v96
	s_delay_alu instid0(VALU_DEP_4) | instskip(SKIP_1) | instid1(VALU_DEP_4)
	v_add_f32_e32 v77, v78, v77
	v_fmac_f32_e32 v4, v126, v81
	v_dual_fmac_f32 v170, v134, v89 :: v_dual_fmac_f32 v171, v136, v91
	v_dual_mul_f32 v174, v141, v98 :: v_dual_mul_f32 v175, v143, v100
	s_delay_alu instid0(VALU_DEP_4) | instskip(NEXT) | instid1(VALU_DEP_4)
	v_add_f32_e32 v77, v77, v79
	v_dual_add_f32 v1, v1, v4 :: v_dual_mul_f32 v2, v130, v86
	v_mul_f32_e32 v4, v132, v88
	s_delay_alu instid0(VALU_DEP_4) | instskip(NEXT) | instid1(VALU_DEP_3)
	v_dual_fmac_f32 v172, v138, v93 :: v_dual_fmac_f32 v175, v144, v99
	v_add_f32_e32 v1, v1, v167
	s_delay_alu instid0(VALU_DEP_4) | instskip(SKIP_2) | instid1(VALU_DEP_4)
	v_fma_f32 v2, v129, v85, -v2
	v_mul_f32_e32 v78, v134, v90
	v_fma_f32 v4, v131, v87, -v4
	v_dual_fmac_f32 v174, v142, v97 :: v_dual_add_f32 v1, v1, v168
	s_delay_alu instid0(VALU_DEP_4) | instskip(NEXT) | instid1(VALU_DEP_4)
	v_dual_add_f32 v2, v77, v2 :: v_dual_mul_f32 v77, v136, v92
	v_fma_f32 v78, v133, v89, -v78
	v_fmac_f32_e32 v173, v140, v95
	s_delay_alu instid0(VALU_DEP_3) | instskip(NEXT) | instid1(VALU_DEP_4)
	v_dual_add_f32 v1, v1, v169 :: v_dual_add_f32 v2, v2, v4
	v_fma_f32 v77, v135, v91, -v77
	v_dual_mul_f32 v176, v145, v102 :: v_dual_mul_f32 v177, v147, v104
	s_delay_alu instid0(VALU_DEP_3) | instskip(NEXT) | instid1(VALU_DEP_4)
	v_add_f32_e32 v1, v1, v170
	v_add_f32_e32 v2, v2, v78
	v_mul_f32_e32 v78, v140, v96
	v_mul_f32_e32 v4, v138, v94
	v_dual_mul_f32 v178, v149, v106 :: v_dual_mul_f32 v179, v151, v108
	s_delay_alu instid0(VALU_DEP_4) | instskip(NEXT) | instid1(VALU_DEP_3)
	v_dual_add_f32 v1, v1, v171 :: v_dual_add_f32 v2, v2, v77
	v_fma_f32 v4, v137, v93, -v4
	v_mul_f32_e32 v77, v142, v98
	v_fma_f32 v78, v139, v95, -v78
	s_delay_alu instid0(VALU_DEP_4) | instskip(NEXT) | instid1(VALU_DEP_4)
	v_dual_add_f32 v1, v1, v172 :: v_dual_fmac_f32 v176, v146, v101
	v_dual_fmac_f32 v179, v152, v107 :: v_dual_add_f32 v2, v2, v4
	v_mul_f32_e32 v4, v144, v100
	v_fma_f32 v77, v141, v97, -v77
	s_delay_alu instid0(VALU_DEP_4) | instskip(NEXT) | instid1(VALU_DEP_4)
	v_add_f32_e32 v1, v1, v173
	v_dual_fmac_f32 v177, v148, v103 :: v_dual_add_f32 v2, v2, v78
	v_mul_f32_e32 v78, v146, v102
	v_fma_f32 v4, v143, v99, -v4
	v_fmac_f32_e32 v178, v150, v105
	v_dual_mul_f32 v180, v153, v110 :: v_dual_mul_f32 v181, v155, v112
	v_dual_add_f32 v2, v2, v77 :: v_dual_mul_f32 v77, v148, v104
	v_add_f32_e32 v1, v1, v174
	v_fma_f32 v78, v145, v101, -v78
	s_delay_alu instid0(VALU_DEP_4) | instskip(SKIP_1) | instid1(VALU_DEP_4)
	v_dual_fmac_f32 v181, v156, v111 :: v_dual_mul_f32 v182, v157, v114
	v_mul_f32_e32 v183, v159, v116
	v_add_f32_e32 v1, v1, v175
	v_fma_f32 v77, v147, v103, -v77
	v_fmac_f32_e32 v180, v154, v109
	v_fmac_f32_e32 v184, v162, v117
	s_delay_alu instid0(VALU_DEP_4) | instskip(SKIP_2) | instid1(VALU_DEP_2)
	v_dual_fmac_f32 v182, v158, v113 :: v_dual_add_f32 v1, v1, v176
	v_dual_add_f32 v2, v2, v4 :: v_dual_fmac_f32 v183, v160, v115
	v_fmac_f32_e32 v185, v164, v119
	v_dual_add_f32 v1, v1, v177 :: v_dual_add_f32 v2, v2, v78
	s_delay_alu instid0(VALU_DEP_1) | instskip(NEXT) | instid1(VALU_DEP_2)
	v_dual_mul_f32 v78, v152, v108 :: v_dual_add_f32 v1, v1, v178
	v_add_f32_e32 v2, v2, v77
	v_mul_f32_e32 v4, v150, v106
	v_mul_f32_e32 v77, v154, v110
	s_delay_alu instid0(VALU_DEP_4) | instskip(SKIP_1) | instid1(VALU_DEP_4)
	v_fma_f32 v78, v151, v107, -v78
	v_add_f32_e32 v1, v1, v179
	v_fma_f32 v4, v149, v105, -v4
	s_delay_alu instid0(VALU_DEP_4) | instskip(NEXT) | instid1(VALU_DEP_3)
	v_fma_f32 v77, v153, v109, -v77
	v_add_f32_e32 v1, v1, v180
	s_delay_alu instid0(VALU_DEP_1) | instskip(SKIP_1) | instid1(VALU_DEP_2)
	v_dual_add_f32 v2, v2, v4 :: v_dual_add_f32 v1, v1, v181
	v_mul_f32_e32 v4, v156, v112
	v_add_f32_e32 v2, v2, v78
	s_delay_alu instid0(VALU_DEP_3) | instskip(SKIP_1) | instid1(VALU_DEP_4)
	v_add_f32_e32 v1, v1, v182
	v_mul_f32_e32 v78, v158, v114
	v_fma_f32 v4, v155, v111, -v4
	s_delay_alu instid0(VALU_DEP_4) | instskip(NEXT) | instid1(VALU_DEP_4)
	v_dual_add_f32 v2, v2, v77 :: v_dual_mul_f32 v77, v160, v116
	v_add_f32_e32 v1, v1, v183
	s_delay_alu instid0(VALU_DEP_4) | instskip(NEXT) | instid1(VALU_DEP_3)
	v_fma_f32 v78, v157, v113, -v78
	v_add_f32_e32 v2, v2, v4
	s_delay_alu instid0(VALU_DEP_3) | instskip(SKIP_1) | instid1(VALU_DEP_3)
	v_dual_mul_f32 v4, v162, v118 :: v_dual_add_f32 v1, v1, v184
	v_fma_f32 v77, v159, v115, -v77
	v_add_f32_e32 v2, v2, v78
	v_mul_f32_e32 v78, v164, v120
	s_delay_alu instid0(VALU_DEP_4) | instskip(NEXT) | instid1(VALU_DEP_3)
	v_fma_f32 v4, v161, v117, -v4
	v_add_f32_e32 v2, v2, v77
	s_delay_alu instid0(VALU_DEP_3) | instskip(NEXT) | instid1(VALU_DEP_2)
	v_fma_f32 v77, v163, v119, -v78
	v_add_f32_e32 v2, v2, v4
	v_add_f32_e32 v4, v1, v185
	s_delay_alu instid0(VALU_DEP_2) | instskip(SKIP_1) | instid1(VALU_DEP_1)
	v_add_f32_e32 v2, v2, v77
	s_wait_loadcnt 0x0
	v_dual_sub_f32 v1, v165, v2 :: v_dual_sub_f32 v2, v166, v4
	scratch_store_b64 off, v[1:2], off offset:104
	v_cmpx_lt_u32_e32 12, v0
	s_cbranch_execz .LBB35_205
; %bb.204:
	scratch_load_b64 v[1:2], off, off offset:96
	v_mov_b32_e32 v77, 0
	s_delay_alu instid0(VALU_DEP_1)
	v_mov_b32_e32 v78, v77
	scratch_store_b64 off, v[77:78], off offset:96
	s_wait_loadcnt 0x0
	ds_store_b64 v3, v[1:2]
.LBB35_205:
	s_wait_alu 0xfffe
	s_or_b32 exec_lo, exec_lo, s0
	s_wait_storecnt_dscnt 0x0
	s_barrier_signal -1
	s_barrier_wait -1
	global_inv scope:SCOPE_SE
	s_clause 0xc
	scratch_load_b128 v[77:80], off, off offset:104
	scratch_load_b128 v[81:84], off, off offset:120
	;; [unrolled: 1-line block ×11, first 2 shown]
	scratch_load_b64 v[165:166], off, off offset:280
	scratch_load_b64 v[167:168], off, off offset:96
	v_mov_b32_e32 v1, 0
	ds_load_2addr_b64 v[121:124], v1 offset0:49 offset1:50
	ds_load_2addr_b64 v[125:128], v1 offset0:51 offset1:52
	;; [unrolled: 1-line block ×11, first 2 shown]
	ds_load_b64 v[169:170], v1 offset:568
	s_mov_b32 s0, exec_lo
	s_wait_loadcnt_dscnt 0xc0b
	v_mul_f32_e32 v2, v121, v78
	v_mul_f32_e32 v78, v122, v78
	s_wait_loadcnt_dscnt 0xb0a
	v_dual_mul_f32 v4, v123, v80 :: v_dual_mul_f32 v171, v125, v82
	v_mul_f32_e32 v80, v124, v80
	s_wait_loadcnt_dscnt 0xa09
	v_dual_mul_f32 v172, v127, v84 :: v_dual_mul_f32 v173, v129, v86
	v_fma_f32 v78, v121, v77, -v78
	v_fmac_f32_e32 v2, v122, v77
	v_dual_mul_f32 v77, v126, v82 :: v_dual_fmac_f32 v4, v124, v79
	v_fmac_f32_e32 v171, v126, v81
	v_fma_f32 v79, v123, v79, -v80
	v_dual_add_f32 v78, 0, v78 :: v_dual_fmac_f32 v173, v130, v85
	v_mul_f32_e32 v80, v128, v84
	v_fma_f32 v77, v125, v81, -v77
	s_wait_loadcnt_dscnt 0x807
	v_dual_mul_f32 v176, v135, v92 :: v_dual_mul_f32 v177, v137, v94
	v_add_f32_e32 v78, v78, v79
	v_add_f32_e32 v2, 0, v2
	v_fma_f32 v79, v127, v83, -v80
	s_wait_loadcnt_dscnt 0x706
	v_dual_mul_f32 v178, v139, v96 :: v_dual_mul_f32 v179, v141, v98
	v_add_f32_e32 v77, v78, v77
	v_add_f32_e32 v2, v2, v4
	v_mul_f32_e32 v4, v130, v86
	v_dual_mul_f32 v78, v132, v88 :: v_dual_fmac_f32 v177, v138, v93
	s_delay_alu instid0(VALU_DEP_4) | instskip(SKIP_1) | instid1(VALU_DEP_4)
	v_add_f32_e32 v77, v77, v79
	v_mul_f32_e32 v79, v134, v90
	v_fma_f32 v4, v129, v85, -v4
	s_delay_alu instid0(VALU_DEP_4)
	v_fma_f32 v78, v131, v87, -v78
	s_wait_loadcnt_dscnt 0x605
	v_dual_mul_f32 v180, v143, v100 :: v_dual_mul_f32 v181, v145, v102
	v_fma_f32 v79, v133, v89, -v79
	v_dual_add_f32 v4, v77, v4 :: v_dual_fmac_f32 v179, v142, v97
	v_mul_f32_e32 v77, v136, v92
	s_wait_loadcnt_dscnt 0x504
	v_dual_mul_f32 v182, v147, v104 :: v_dual_mul_f32 v183, v149, v106
	s_delay_alu instid0(VALU_DEP_3) | instskip(SKIP_3) | instid1(VALU_DEP_4)
	v_dual_add_f32 v4, v4, v78 :: v_dual_fmac_f32 v181, v146, v101
	v_mul_f32_e32 v78, v138, v94
	v_fma_f32 v77, v135, v91, -v77
	v_dual_mul_f32 v174, v131, v88 :: v_dual_mul_f32 v175, v133, v90
	v_dual_add_f32 v4, v4, v79 :: v_dual_fmac_f32 v183, v150, v105
	v_mul_f32_e32 v79, v140, v96
	v_fma_f32 v78, v137, v93, -v78
	s_wait_loadcnt_dscnt 0x302
	v_dual_mul_f32 v186, v155, v112 :: v_dual_mul_f32 v187, v157, v114
	v_add_f32_e32 v4, v4, v77
	v_dual_fmac_f32 v174, v132, v87 :: v_dual_mul_f32 v77, v142, v98
	v_fma_f32 v79, v139, v95, -v79
	s_wait_loadcnt_dscnt 0x201
	v_dual_mul_f32 v188, v159, v116 :: v_dual_mul_f32 v189, v161, v118
	v_dual_add_f32 v4, v4, v78 :: v_dual_fmac_f32 v187, v158, v113
	v_mul_f32_e32 v78, v144, v100
	v_fma_f32 v77, v141, v97, -v77
	v_fmac_f32_e32 v176, v136, v91
	s_delay_alu instid0(VALU_DEP_4)
	v_dual_add_f32 v4, v4, v79 :: v_dual_fmac_f32 v189, v162, v117
	v_mul_f32_e32 v79, v146, v102
	v_fma_f32 v78, v143, v99, -v78
	s_wait_loadcnt_dscnt 0x100
	v_dual_mul_f32 v190, v163, v120 :: v_dual_mul_f32 v191, v169, v166
	v_add_f32_e32 v4, v4, v77
	v_mul_f32_e32 v77, v148, v104
	v_fma_f32 v79, v145, v101, -v79
	v_add_f32_e32 v2, v2, v171
	s_delay_alu instid0(VALU_DEP_4) | instskip(SKIP_3) | instid1(VALU_DEP_4)
	v_dual_fmac_f32 v191, v170, v165 :: v_dual_add_f32 v4, v4, v78
	v_mul_f32_e32 v78, v150, v106
	v_fma_f32 v77, v147, v103, -v77
	v_dual_fmac_f32 v172, v128, v83 :: v_dual_fmac_f32 v175, v134, v89
	v_add_f32_e32 v4, v4, v79
	v_mul_f32_e32 v79, v152, v108
	v_fma_f32 v78, v149, v105, -v78
	s_delay_alu instid0(VALU_DEP_4) | instskip(SKIP_3) | instid1(VALU_DEP_4)
	v_add_f32_e32 v2, v2, v172
	v_dual_mul_f32 v184, v151, v108 :: v_dual_mul_f32 v185, v153, v110
	v_dual_add_f32 v4, v4, v77 :: v_dual_mul_f32 v77, v154, v110
	v_fma_f32 v79, v151, v107, -v79
	v_add_f32_e32 v2, v2, v173
	s_delay_alu instid0(VALU_DEP_4) | instskip(NEXT) | instid1(VALU_DEP_4)
	v_dual_fmac_f32 v178, v140, v95 :: v_dual_fmac_f32 v185, v154, v109
	v_add_f32_e32 v4, v4, v78
	v_mul_f32_e32 v78, v156, v112
	v_fma_f32 v77, v153, v109, -v77
	v_fmac_f32_e32 v180, v144, v99
	v_fmac_f32_e32 v182, v148, v103
	v_dual_add_f32 v4, v4, v79 :: v_dual_mul_f32 v79, v158, v114
	v_fma_f32 v78, v155, v111, -v78
	v_fmac_f32_e32 v184, v152, v107
	v_fmac_f32_e32 v186, v156, v111
	s_delay_alu instid0(VALU_DEP_4) | instskip(SKIP_3) | instid1(VALU_DEP_4)
	v_add_f32_e32 v4, v4, v77
	v_dual_mul_f32 v77, v160, v116 :: v_dual_add_f32 v2, v2, v174
	v_fma_f32 v79, v157, v113, -v79
	v_fmac_f32_e32 v188, v160, v115
	v_add_f32_e32 v4, v4, v78
	s_delay_alu instid0(VALU_DEP_4) | instskip(SKIP_2) | instid1(VALU_DEP_4)
	v_fma_f32 v77, v159, v115, -v77
	v_mul_f32_e32 v78, v162, v118
	v_fmac_f32_e32 v190, v164, v119
	v_add_f32_e32 v4, v4, v79
	v_dual_mul_f32 v79, v164, v120 :: v_dual_add_f32 v2, v2, v175
	s_delay_alu instid0(VALU_DEP_4) | instskip(NEXT) | instid1(VALU_DEP_3)
	v_fma_f32 v78, v161, v117, -v78
	v_dual_add_f32 v4, v4, v77 :: v_dual_mul_f32 v77, v170, v166
	s_delay_alu instid0(VALU_DEP_3) | instskip(NEXT) | instid1(VALU_DEP_4)
	v_add_f32_e32 v2, v2, v176
	v_fma_f32 v79, v163, v119, -v79
	s_delay_alu instid0(VALU_DEP_3) | instskip(NEXT) | instid1(VALU_DEP_4)
	v_add_f32_e32 v4, v4, v78
	v_fma_f32 v77, v169, v165, -v77
	s_delay_alu instid0(VALU_DEP_4) | instskip(NEXT) | instid1(VALU_DEP_3)
	v_add_f32_e32 v2, v2, v177
	v_add_f32_e32 v4, v4, v79
	s_delay_alu instid0(VALU_DEP_2) | instskip(NEXT) | instid1(VALU_DEP_2)
	v_add_f32_e32 v2, v2, v178
	v_add_f32_e32 v4, v4, v77
	s_wait_loadcnt 0x0
	s_delay_alu instid0(VALU_DEP_1) | instskip(NEXT) | instid1(VALU_DEP_1)
	v_dual_add_f32 v2, v2, v179 :: v_dual_sub_f32 v77, v167, v4
	v_add_f32_e32 v2, v2, v180
	s_delay_alu instid0(VALU_DEP_1) | instskip(NEXT) | instid1(VALU_DEP_1)
	v_add_f32_e32 v2, v2, v181
	v_add_f32_e32 v2, v2, v182
	s_delay_alu instid0(VALU_DEP_1) | instskip(NEXT) | instid1(VALU_DEP_1)
	v_add_f32_e32 v2, v2, v183
	;; [unrolled: 3-line block ×6, first 2 shown]
	v_sub_f32_e32 v78, v168, v2
	scratch_store_b64 off, v[77:78], off offset:96
	v_cmpx_lt_u32_e32 11, v0
	s_cbranch_execz .LBB35_207
; %bb.206:
	scratch_load_b64 v[77:78], off, off offset:88
	v_mov_b32_e32 v2, v1
	scratch_store_b64 off, v[1:2], off offset:88
	s_wait_loadcnt 0x0
	ds_store_b64 v3, v[77:78]
.LBB35_207:
	s_wait_alu 0xfffe
	s_or_b32 exec_lo, exec_lo, s0
	s_wait_storecnt_dscnt 0x0
	s_barrier_signal -1
	s_barrier_wait -1
	global_inv scope:SCOPE_SE
	s_clause 0xc
	scratch_load_b128 v[77:80], off, off offset:96
	scratch_load_b128 v[81:84], off, off offset:112
	scratch_load_b128 v[85:88], off, off offset:128
	scratch_load_b128 v[89:92], off, off offset:144
	scratch_load_b128 v[93:96], off, off offset:160
	scratch_load_b128 v[97:100], off, off offset:176
	scratch_load_b128 v[101:104], off, off offset:192
	scratch_load_b128 v[105:108], off, off offset:208
	scratch_load_b128 v[109:112], off, off offset:224
	scratch_load_b128 v[113:116], off, off offset:240
	scratch_load_b128 v[117:120], off, off offset:256
	scratch_load_b128 v[121:124], off, off offset:272
	scratch_load_b64 v[173:174], off, off offset:88
	ds_load_b128 v[125:128], v1 offset:384
	ds_load_b128 v[129:132], v1 offset:400
	;; [unrolled: 1-line block ×12, first 2 shown]
	s_mov_b32 s0, exec_lo
	s_wait_loadcnt_dscnt 0xc0b
	v_dual_mul_f32 v1, v125, v78 :: v_dual_mul_f32 v2, v127, v80
	v_mul_f32_e32 v78, v126, v78
	v_mul_f32_e32 v80, v128, v80
	s_wait_loadcnt_dscnt 0xb0a
	v_dual_mul_f32 v4, v129, v82 :: v_dual_mul_f32 v175, v131, v84
	s_wait_loadcnt_dscnt 0xa09
	v_dual_mul_f32 v176, v133, v86 :: v_dual_mul_f32 v177, v135, v88
	v_dual_fmac_f32 v1, v126, v77 :: v_dual_fmac_f32 v2, v128, v79
	s_wait_loadcnt_dscnt 0x908
	v_dual_mul_f32 v178, v137, v90 :: v_dual_mul_f32 v179, v139, v92
	s_wait_loadcnt_dscnt 0x100
	v_dual_mul_f32 v194, v169, v122 :: v_dual_mul_f32 v195, v171, v124
	v_fma_f32 v78, v125, v77, -v78
	v_mul_f32_e32 v77, v130, v82
	v_fma_f32 v79, v127, v79, -v80
	v_dual_add_f32 v1, 0, v1 :: v_dual_mul_f32 v80, v132, v84
	s_delay_alu instid0(VALU_DEP_4) | instskip(NEXT) | instid1(VALU_DEP_4)
	v_dual_add_f32 v78, 0, v78 :: v_dual_fmac_f32 v175, v132, v83
	v_fma_f32 v77, v129, v81, -v77
	s_delay_alu instid0(VALU_DEP_3) | instskip(SKIP_1) | instid1(VALU_DEP_4)
	v_dual_add_f32 v1, v1, v2 :: v_dual_fmac_f32 v176, v134, v85
	v_fmac_f32_e32 v177, v136, v87
	v_add_f32_e32 v78, v78, v79
	v_fma_f32 v79, v131, v83, -v80
	v_dual_fmac_f32 v178, v138, v89 :: v_dual_fmac_f32 v179, v140, v91
	v_dual_mul_f32 v180, v141, v94 :: v_dual_mul_f32 v181, v143, v96
	s_delay_alu instid0(VALU_DEP_4) | instskip(SKIP_2) | instid1(VALU_DEP_3)
	v_add_f32_e32 v77, v78, v77
	v_fmac_f32_e32 v4, v130, v81
	v_dual_mul_f32 v182, v145, v98 :: v_dual_mul_f32 v183, v147, v100
	v_dual_fmac_f32 v180, v142, v93 :: v_dual_add_f32 v77, v77, v79
	s_delay_alu instid0(VALU_DEP_3) | instskip(SKIP_1) | instid1(VALU_DEP_4)
	v_dual_add_f32 v1, v1, v4 :: v_dual_mul_f32 v2, v134, v86
	v_mul_f32_e32 v4, v136, v88
	v_dual_fmac_f32 v183, v148, v99 :: v_dual_fmac_f32 v182, v146, v97
	s_delay_alu instid0(VALU_DEP_3) | instskip(NEXT) | instid1(VALU_DEP_4)
	v_add_f32_e32 v1, v1, v175
	v_fma_f32 v2, v133, v85, -v2
	v_mul_f32_e32 v78, v138, v90
	v_fma_f32 v4, v135, v87, -v4
	v_dual_mul_f32 v184, v149, v102 :: v_dual_mul_f32 v185, v151, v104
	s_delay_alu instid0(VALU_DEP_4) | instskip(SKIP_2) | instid1(VALU_DEP_3)
	v_dual_add_f32 v2, v77, v2 :: v_dual_mul_f32 v77, v140, v92
	v_add_f32_e32 v1, v1, v176
	v_fma_f32 v78, v137, v89, -v78
	v_dual_fmac_f32 v181, v144, v95 :: v_dual_add_f32 v2, v2, v4
	s_delay_alu instid0(VALU_DEP_4) | instskip(NEXT) | instid1(VALU_DEP_4)
	v_fma_f32 v77, v139, v91, -v77
	v_add_f32_e32 v1, v1, v177
	v_dual_mul_f32 v186, v153, v106 :: v_dual_mul_f32 v187, v155, v108
	s_delay_alu instid0(VALU_DEP_4) | instskip(NEXT) | instid1(VALU_DEP_3)
	v_add_f32_e32 v2, v2, v78
	v_dual_mul_f32 v78, v144, v96 :: v_dual_add_f32 v1, v1, v178
	v_mul_f32_e32 v4, v142, v94
	s_delay_alu instid0(VALU_DEP_4) | instskip(NEXT) | instid1(VALU_DEP_3)
	v_dual_fmac_f32 v184, v150, v101 :: v_dual_fmac_f32 v187, v156, v107
	v_fma_f32 v78, v143, v95, -v78
	s_delay_alu instid0(VALU_DEP_4) | instskip(NEXT) | instid1(VALU_DEP_4)
	v_add_f32_e32 v1, v1, v179
	v_fma_f32 v4, v141, v93, -v4
	v_add_f32_e32 v2, v2, v77
	v_mul_f32_e32 v77, v146, v98
	v_fmac_f32_e32 v185, v152, v103
	v_add_f32_e32 v1, v1, v180
	v_dual_mul_f32 v188, v157, v110 :: v_dual_mul_f32 v189, v159, v112
	v_add_f32_e32 v2, v2, v4
	v_mul_f32_e32 v4, v148, v100
	v_fma_f32 v77, v145, v97, -v77
	v_add_f32_e32 v1, v1, v181
	v_fmac_f32_e32 v186, v154, v105
	v_add_f32_e32 v2, v2, v78
	v_mul_f32_e32 v78, v150, v102
	v_fma_f32 v4, v147, v99, -v4
	v_dual_fmac_f32 v188, v158, v109 :: v_dual_fmac_f32 v189, v160, v111
	s_delay_alu instid0(VALU_DEP_4) | instskip(SKIP_3) | instid1(VALU_DEP_4)
	v_dual_add_f32 v2, v2, v77 :: v_dual_mul_f32 v77, v152, v104
	v_add_f32_e32 v1, v1, v182
	v_fma_f32 v78, v149, v101, -v78
	v_dual_mul_f32 v190, v161, v114 :: v_dual_mul_f32 v191, v163, v116
	v_fma_f32 v77, v151, v103, -v77
	s_delay_alu instid0(VALU_DEP_4) | instskip(SKIP_2) | instid1(VALU_DEP_3)
	v_add_f32_e32 v1, v1, v183
	v_dual_mul_f32 v192, v165, v118 :: v_dual_mul_f32 v193, v167, v120
	v_fmac_f32_e32 v194, v170, v121
	v_dual_fmac_f32 v190, v162, v113 :: v_dual_add_f32 v1, v1, v184
	v_add_f32_e32 v2, v2, v4
	s_delay_alu instid0(VALU_DEP_4) | instskip(SKIP_1) | instid1(VALU_DEP_3)
	v_dual_fmac_f32 v192, v166, v117 :: v_dual_fmac_f32 v191, v164, v115
	v_fmac_f32_e32 v193, v168, v119
	v_dual_add_f32 v1, v1, v185 :: v_dual_add_f32 v2, v2, v78
	v_mul_f32_e32 v78, v156, v108
	v_fmac_f32_e32 v195, v172, v123
	s_delay_alu instid0(VALU_DEP_3) | instskip(SKIP_3) | instid1(VALU_DEP_4)
	v_dual_add_f32 v1, v1, v186 :: v_dual_add_f32 v2, v2, v77
	v_mul_f32_e32 v4, v154, v106
	v_mul_f32_e32 v77, v158, v110
	v_fma_f32 v78, v155, v107, -v78
	v_add_f32_e32 v1, v1, v187
	s_delay_alu instid0(VALU_DEP_4) | instskip(NEXT) | instid1(VALU_DEP_4)
	v_fma_f32 v4, v153, v105, -v4
	v_fma_f32 v77, v157, v109, -v77
	s_delay_alu instid0(VALU_DEP_3) | instskip(NEXT) | instid1(VALU_DEP_1)
	v_add_f32_e32 v1, v1, v188
	v_dual_add_f32 v2, v2, v4 :: v_dual_add_f32 v1, v1, v189
	v_mul_f32_e32 v4, v160, v112
	s_delay_alu instid0(VALU_DEP_2) | instskip(NEXT) | instid1(VALU_DEP_3)
	v_add_f32_e32 v2, v2, v78
	v_add_f32_e32 v1, v1, v190
	v_mul_f32_e32 v78, v162, v114
	s_delay_alu instid0(VALU_DEP_4) | instskip(NEXT) | instid1(VALU_DEP_4)
	v_fma_f32 v4, v159, v111, -v4
	v_dual_add_f32 v2, v2, v77 :: v_dual_mul_f32 v77, v164, v116
	s_delay_alu instid0(VALU_DEP_4) | instskip(NEXT) | instid1(VALU_DEP_4)
	v_add_f32_e32 v1, v1, v191
	v_fma_f32 v78, v161, v113, -v78
	s_delay_alu instid0(VALU_DEP_3) | instskip(NEXT) | instid1(VALU_DEP_3)
	v_fma_f32 v77, v163, v115, -v77
	v_add_f32_e32 v1, v1, v192
	v_add_f32_e32 v2, v2, v4
	s_delay_alu instid0(VALU_DEP_2) | instskip(NEXT) | instid1(VALU_DEP_2)
	v_dual_mul_f32 v4, v166, v118 :: v_dual_add_f32 v1, v1, v193
	v_add_f32_e32 v2, v2, v78
	v_mul_f32_e32 v78, v168, v120
	s_delay_alu instid0(VALU_DEP_3) | instskip(NEXT) | instid1(VALU_DEP_3)
	v_fma_f32 v4, v165, v117, -v4
	v_dual_add_f32 v1, v1, v194 :: v_dual_add_f32 v2, v2, v77
	v_mul_f32_e32 v77, v170, v122
	s_delay_alu instid0(VALU_DEP_4) | instskip(NEXT) | instid1(VALU_DEP_3)
	v_fma_f32 v78, v167, v119, -v78
	v_add_f32_e32 v2, v2, v4
	v_mul_f32_e32 v4, v172, v124
	s_delay_alu instid0(VALU_DEP_4) | instskip(NEXT) | instid1(VALU_DEP_3)
	v_fma_f32 v77, v169, v121, -v77
	v_add_f32_e32 v2, v2, v78
	s_delay_alu instid0(VALU_DEP_3) | instskip(NEXT) | instid1(VALU_DEP_2)
	v_fma_f32 v4, v171, v123, -v4
	v_add_f32_e32 v2, v2, v77
	s_delay_alu instid0(VALU_DEP_1) | instskip(SKIP_2) | instid1(VALU_DEP_1)
	v_add_f32_e32 v2, v2, v4
	v_add_f32_e32 v4, v1, v195
	s_wait_loadcnt 0x0
	v_dual_sub_f32 v1, v173, v2 :: v_dual_sub_f32 v2, v174, v4
	scratch_store_b64 off, v[1:2], off offset:88
	v_cmpx_lt_u32_e32 10, v0
	s_cbranch_execz .LBB35_209
; %bb.208:
	scratch_load_b64 v[1:2], off, off offset:80
	v_mov_b32_e32 v77, 0
	s_delay_alu instid0(VALU_DEP_1)
	v_mov_b32_e32 v78, v77
	scratch_store_b64 off, v[77:78], off offset:80
	s_wait_loadcnt 0x0
	ds_store_b64 v3, v[1:2]
.LBB35_209:
	s_wait_alu 0xfffe
	s_or_b32 exec_lo, exec_lo, s0
	s_wait_storecnt_dscnt 0x0
	s_barrier_signal -1
	s_barrier_wait -1
	global_inv scope:SCOPE_SE
	s_clause 0xd
	scratch_load_b128 v[77:80], off, off offset:88
	scratch_load_b128 v[81:84], off, off offset:104
	;; [unrolled: 1-line block ×12, first 2 shown]
	scratch_load_b64 v[173:174], off, off offset:280
	scratch_load_b64 v[175:176], off, off offset:80
	v_mov_b32_e32 v1, 0
	ds_load_2addr_b64 v[125:128], v1 offset0:47 offset1:48
	ds_load_2addr_b64 v[129:132], v1 offset0:49 offset1:50
	;; [unrolled: 1-line block ×12, first 2 shown]
	ds_load_b64 v[177:178], v1 offset:568
	s_mov_b32 s0, exec_lo
	s_wait_loadcnt_dscnt 0xd0c
	v_mul_f32_e32 v2, v125, v78
	v_mul_f32_e32 v78, v126, v78
	s_wait_loadcnt_dscnt 0xc0b
	v_dual_mul_f32 v4, v127, v80 :: v_dual_mul_f32 v179, v129, v82
	v_mul_f32_e32 v80, v128, v80
	s_wait_loadcnt_dscnt 0xb0a
	v_dual_mul_f32 v180, v131, v84 :: v_dual_mul_f32 v181, v133, v86
	v_fma_f32 v78, v125, v77, -v78
	v_fmac_f32_e32 v2, v126, v77
	v_dual_mul_f32 v77, v130, v82 :: v_dual_fmac_f32 v4, v128, v79
	v_fmac_f32_e32 v179, v130, v81
	v_fma_f32 v79, v127, v79, -v80
	v_dual_add_f32 v78, 0, v78 :: v_dual_fmac_f32 v181, v134, v85
	v_mul_f32_e32 v80, v132, v84
	v_fma_f32 v77, v129, v81, -v77
	s_wait_loadcnt_dscnt 0x908
	v_dual_mul_f32 v184, v139, v92 :: v_dual_mul_f32 v185, v141, v94
	v_add_f32_e32 v78, v78, v79
	v_add_f32_e32 v2, 0, v2
	v_fma_f32 v79, v131, v83, -v80
	s_wait_loadcnt_dscnt 0x807
	v_dual_mul_f32 v186, v143, v96 :: v_dual_mul_f32 v187, v145, v98
	v_add_f32_e32 v77, v78, v77
	v_add_f32_e32 v2, v2, v4
	v_mul_f32_e32 v4, v134, v86
	v_dual_mul_f32 v78, v136, v88 :: v_dual_fmac_f32 v185, v142, v93
	s_delay_alu instid0(VALU_DEP_4) | instskip(SKIP_1) | instid1(VALU_DEP_4)
	v_add_f32_e32 v77, v77, v79
	v_mul_f32_e32 v79, v138, v90
	v_fma_f32 v4, v133, v85, -v4
	s_delay_alu instid0(VALU_DEP_4)
	v_fma_f32 v78, v135, v87, -v78
	s_wait_loadcnt_dscnt 0x706
	v_dual_mul_f32 v188, v147, v100 :: v_dual_mul_f32 v189, v149, v102
	v_fma_f32 v79, v137, v89, -v79
	v_dual_add_f32 v4, v77, v4 :: v_dual_fmac_f32 v187, v146, v97
	v_mul_f32_e32 v77, v140, v92
	s_wait_loadcnt_dscnt 0x605
	v_dual_mul_f32 v190, v151, v104 :: v_dual_mul_f32 v191, v153, v106
	s_delay_alu instid0(VALU_DEP_3) | instskip(SKIP_3) | instid1(VALU_DEP_4)
	v_dual_add_f32 v4, v4, v78 :: v_dual_fmac_f32 v189, v150, v101
	v_mul_f32_e32 v78, v142, v94
	v_fma_f32 v77, v139, v91, -v77
	v_dual_mul_f32 v182, v135, v88 :: v_dual_mul_f32 v183, v137, v90
	v_dual_add_f32 v4, v4, v79 :: v_dual_fmac_f32 v191, v154, v105
	v_mul_f32_e32 v79, v144, v96
	v_fma_f32 v78, v141, v93, -v78
	s_wait_loadcnt_dscnt 0x403
	v_dual_mul_f32 v194, v159, v112 :: v_dual_mul_f32 v195, v161, v114
	v_add_f32_e32 v4, v4, v77
	v_dual_fmac_f32 v182, v136, v87 :: v_dual_mul_f32 v77, v146, v98
	v_fma_f32 v79, v143, v95, -v79
	s_wait_loadcnt_dscnt 0x302
	v_dual_mul_f32 v196, v163, v116 :: v_dual_mul_f32 v197, v165, v118
	v_dual_add_f32 v4, v4, v78 :: v_dual_fmac_f32 v195, v162, v113
	v_mul_f32_e32 v78, v148, v100
	v_fma_f32 v77, v145, v97, -v77
	v_fmac_f32_e32 v184, v140, v91
	s_delay_alu instid0(VALU_DEP_4)
	v_dual_add_f32 v4, v4, v79 :: v_dual_fmac_f32 v197, v166, v117
	v_mul_f32_e32 v79, v150, v102
	v_fma_f32 v78, v147, v99, -v78
	s_wait_loadcnt_dscnt 0x201
	v_dual_mul_f32 v198, v167, v120 :: v_dual_mul_f32 v199, v169, v122
	v_add_f32_e32 v4, v4, v77
	v_mul_f32_e32 v77, v152, v104
	v_fma_f32 v79, v149, v101, -v79
	v_add_f32_e32 v2, v2, v179
	s_delay_alu instid0(VALU_DEP_4) | instskip(SKIP_3) | instid1(VALU_DEP_4)
	v_dual_fmac_f32 v199, v170, v121 :: v_dual_add_f32 v4, v4, v78
	v_mul_f32_e32 v78, v154, v106
	v_fma_f32 v77, v151, v103, -v77
	v_dual_fmac_f32 v180, v132, v83 :: v_dual_fmac_f32 v183, v138, v89
	v_add_f32_e32 v4, v4, v79
	v_mul_f32_e32 v79, v156, v108
	v_fma_f32 v78, v153, v105, -v78
	s_delay_alu instid0(VALU_DEP_4) | instskip(SKIP_3) | instid1(VALU_DEP_4)
	v_add_f32_e32 v2, v2, v180
	v_dual_mul_f32 v192, v155, v108 :: v_dual_mul_f32 v193, v157, v110
	v_dual_add_f32 v4, v4, v77 :: v_dual_mul_f32 v77, v158, v110
	v_fma_f32 v79, v155, v107, -v79
	v_add_f32_e32 v2, v2, v181
	s_delay_alu instid0(VALU_DEP_4) | instskip(NEXT) | instid1(VALU_DEP_4)
	v_dual_fmac_f32 v186, v144, v95 :: v_dual_fmac_f32 v193, v158, v109
	v_add_f32_e32 v4, v4, v78
	v_mul_f32_e32 v78, v160, v112
	v_fma_f32 v77, v157, v109, -v77
	v_fmac_f32_e32 v188, v148, v99
	s_wait_loadcnt_dscnt 0x100
	v_dual_mul_f32 v200, v171, v124 :: v_dual_mul_f32 v201, v177, v174
	v_dual_add_f32 v4, v4, v79 :: v_dual_mul_f32 v79, v162, v114
	v_fma_f32 v78, v159, v111, -v78
	s_delay_alu instid0(VALU_DEP_3) | instskip(NEXT) | instid1(VALU_DEP_3)
	v_dual_fmac_f32 v190, v152, v103 :: v_dual_fmac_f32 v201, v178, v173
	v_add_f32_e32 v4, v4, v77
	v_dual_mul_f32 v77, v164, v116 :: v_dual_add_f32 v2, v2, v182
	v_fma_f32 v79, v161, v113, -v79
	v_fmac_f32_e32 v192, v156, v107
	s_delay_alu instid0(VALU_DEP_4) | instskip(NEXT) | instid1(VALU_DEP_4)
	v_add_f32_e32 v4, v4, v78
	v_fma_f32 v77, v163, v115, -v77
	v_fmac_f32_e32 v194, v160, v111
	v_mul_f32_e32 v78, v166, v118
	v_fmac_f32_e32 v196, v164, v115
	v_add_f32_e32 v4, v4, v79
	v_dual_mul_f32 v79, v168, v120 :: v_dual_add_f32 v2, v2, v183
	s_delay_alu instid0(VALU_DEP_4) | instskip(SKIP_1) | instid1(VALU_DEP_4)
	v_fma_f32 v78, v165, v117, -v78
	v_fmac_f32_e32 v198, v168, v119
	v_dual_add_f32 v4, v4, v77 :: v_dual_mul_f32 v77, v170, v122
	s_delay_alu instid0(VALU_DEP_4) | instskip(SKIP_2) | instid1(VALU_DEP_4)
	v_add_f32_e32 v2, v2, v184
	v_fma_f32 v79, v167, v119, -v79
	v_fmac_f32_e32 v200, v172, v123
	v_add_f32_e32 v4, v4, v78
	v_mul_f32_e32 v78, v172, v124
	v_add_f32_e32 v2, v2, v185
	v_fma_f32 v77, v169, v121, -v77
	s_delay_alu instid0(VALU_DEP_4) | instskip(NEXT) | instid1(VALU_DEP_3)
	v_dual_add_f32 v4, v4, v79 :: v_dual_mul_f32 v79, v178, v174
	v_add_f32_e32 v2, v2, v186
	v_fma_f32 v78, v171, v123, -v78
	s_delay_alu instid0(VALU_DEP_3) | instskip(NEXT) | instid1(VALU_DEP_4)
	v_add_f32_e32 v4, v4, v77
	v_fma_f32 v77, v177, v173, -v79
	s_delay_alu instid0(VALU_DEP_4) | instskip(NEXT) | instid1(VALU_DEP_3)
	v_add_f32_e32 v2, v2, v187
	v_add_f32_e32 v4, v4, v78
	s_delay_alu instid0(VALU_DEP_2) | instskip(NEXT) | instid1(VALU_DEP_2)
	v_add_f32_e32 v2, v2, v188
	v_add_f32_e32 v4, v4, v77
	s_wait_loadcnt 0x0
	s_delay_alu instid0(VALU_DEP_1) | instskip(NEXT) | instid1(VALU_DEP_1)
	v_dual_add_f32 v2, v2, v189 :: v_dual_sub_f32 v77, v175, v4
	v_add_f32_e32 v2, v2, v190
	s_delay_alu instid0(VALU_DEP_1) | instskip(NEXT) | instid1(VALU_DEP_1)
	v_add_f32_e32 v2, v2, v191
	v_add_f32_e32 v2, v2, v192
	s_delay_alu instid0(VALU_DEP_1) | instskip(NEXT) | instid1(VALU_DEP_1)
	v_add_f32_e32 v2, v2, v193
	;; [unrolled: 3-line block ×6, first 2 shown]
	v_sub_f32_e32 v78, v176, v2
	scratch_store_b64 off, v[77:78], off offset:80
	v_cmpx_lt_u32_e32 9, v0
	s_cbranch_execz .LBB35_211
; %bb.210:
	scratch_load_b64 v[77:78], off, off offset:72
	v_mov_b32_e32 v2, v1
	scratch_store_b64 off, v[1:2], off offset:72
	s_wait_loadcnt 0x0
	ds_store_b64 v3, v[77:78]
.LBB35_211:
	s_wait_alu 0xfffe
	s_or_b32 exec_lo, exec_lo, s0
	s_wait_storecnt_dscnt 0x0
	s_barrier_signal -1
	s_barrier_wait -1
	global_inv scope:SCOPE_SE
	s_clause 0xd
	scratch_load_b128 v[77:80], off, off offset:80
	scratch_load_b128 v[81:84], off, off offset:96
	;; [unrolled: 1-line block ×13, first 2 shown]
	scratch_load_b64 v[181:182], off, off offset:72
	ds_load_b128 v[129:132], v1 offset:368
	ds_load_b128 v[133:136], v1 offset:384
	;; [unrolled: 1-line block ×13, first 2 shown]
	s_mov_b32 s0, exec_lo
	s_wait_loadcnt_dscnt 0xd0c
	v_dual_mul_f32 v1, v129, v78 :: v_dual_mul_f32 v2, v131, v80
	v_mul_f32_e32 v78, v130, v78
	v_mul_f32_e32 v80, v132, v80
	s_wait_loadcnt_dscnt 0xc0b
	v_dual_mul_f32 v4, v133, v82 :: v_dual_mul_f32 v183, v135, v84
	s_wait_loadcnt_dscnt 0xb0a
	v_dual_mul_f32 v184, v137, v86 :: v_dual_mul_f32 v185, v139, v88
	v_dual_fmac_f32 v1, v130, v77 :: v_dual_fmac_f32 v2, v132, v79
	s_wait_loadcnt_dscnt 0xa09
	v_dual_mul_f32 v186, v141, v90 :: v_dual_mul_f32 v187, v143, v92
	s_wait_loadcnt_dscnt 0x100
	v_dual_mul_f32 v204, v177, v126 :: v_dual_mul_f32 v205, v179, v128
	v_fma_f32 v78, v129, v77, -v78
	v_mul_f32_e32 v77, v134, v82
	v_fma_f32 v79, v131, v79, -v80
	v_dual_add_f32 v1, 0, v1 :: v_dual_mul_f32 v80, v136, v84
	s_delay_alu instid0(VALU_DEP_4) | instskip(NEXT) | instid1(VALU_DEP_4)
	v_dual_add_f32 v78, 0, v78 :: v_dual_fmac_f32 v183, v136, v83
	v_fma_f32 v77, v133, v81, -v77
	s_delay_alu instid0(VALU_DEP_3) | instskip(SKIP_1) | instid1(VALU_DEP_4)
	v_dual_add_f32 v1, v1, v2 :: v_dual_fmac_f32 v184, v138, v85
	v_fmac_f32_e32 v185, v140, v87
	v_add_f32_e32 v78, v78, v79
	v_fma_f32 v79, v135, v83, -v80
	v_dual_fmac_f32 v186, v142, v89 :: v_dual_fmac_f32 v187, v144, v91
	v_dual_mul_f32 v188, v145, v94 :: v_dual_mul_f32 v189, v147, v96
	s_delay_alu instid0(VALU_DEP_4) | instskip(SKIP_2) | instid1(VALU_DEP_3)
	v_add_f32_e32 v77, v78, v77
	v_fmac_f32_e32 v4, v134, v81
	v_dual_mul_f32 v190, v149, v98 :: v_dual_mul_f32 v191, v151, v100
	v_dual_fmac_f32 v188, v146, v93 :: v_dual_add_f32 v77, v77, v79
	s_delay_alu instid0(VALU_DEP_3) | instskip(SKIP_1) | instid1(VALU_DEP_4)
	v_dual_add_f32 v1, v1, v4 :: v_dual_mul_f32 v2, v138, v86
	v_mul_f32_e32 v4, v140, v88
	v_dual_fmac_f32 v191, v152, v99 :: v_dual_fmac_f32 v190, v150, v97
	s_delay_alu instid0(VALU_DEP_3) | instskip(NEXT) | instid1(VALU_DEP_4)
	v_add_f32_e32 v1, v1, v183
	v_fma_f32 v2, v137, v85, -v2
	v_mul_f32_e32 v78, v142, v90
	v_fma_f32 v4, v139, v87, -v4
	v_dual_mul_f32 v192, v153, v102 :: v_dual_mul_f32 v193, v155, v104
	s_delay_alu instid0(VALU_DEP_4) | instskip(SKIP_2) | instid1(VALU_DEP_3)
	v_dual_add_f32 v2, v77, v2 :: v_dual_mul_f32 v77, v144, v92
	v_add_f32_e32 v1, v1, v184
	v_fma_f32 v78, v141, v89, -v78
	v_dual_fmac_f32 v189, v148, v95 :: v_dual_add_f32 v2, v2, v4
	s_delay_alu instid0(VALU_DEP_4) | instskip(NEXT) | instid1(VALU_DEP_4)
	v_fma_f32 v77, v143, v91, -v77
	v_add_f32_e32 v1, v1, v185
	v_dual_mul_f32 v194, v157, v106 :: v_dual_mul_f32 v195, v159, v108
	s_delay_alu instid0(VALU_DEP_4) | instskip(NEXT) | instid1(VALU_DEP_3)
	v_add_f32_e32 v2, v2, v78
	v_dual_mul_f32 v78, v148, v96 :: v_dual_add_f32 v1, v1, v186
	v_mul_f32_e32 v4, v146, v94
	s_delay_alu instid0(VALU_DEP_4) | instskip(NEXT) | instid1(VALU_DEP_3)
	v_dual_fmac_f32 v192, v154, v101 :: v_dual_fmac_f32 v195, v160, v107
	v_fma_f32 v78, v147, v95, -v78
	s_delay_alu instid0(VALU_DEP_4) | instskip(NEXT) | instid1(VALU_DEP_4)
	v_add_f32_e32 v1, v1, v187
	v_fma_f32 v4, v145, v93, -v4
	v_add_f32_e32 v2, v2, v77
	v_mul_f32_e32 v77, v150, v98
	v_fmac_f32_e32 v193, v156, v103
	v_add_f32_e32 v1, v1, v188
	v_dual_mul_f32 v196, v161, v110 :: v_dual_mul_f32 v197, v163, v112
	v_add_f32_e32 v2, v2, v4
	v_mul_f32_e32 v4, v152, v100
	v_fma_f32 v77, v149, v97, -v77
	v_add_f32_e32 v1, v1, v189
	v_fmac_f32_e32 v196, v162, v109
	v_add_f32_e32 v2, v2, v78
	v_mul_f32_e32 v78, v154, v102
	v_fma_f32 v4, v151, v99, -v4
	v_fmac_f32_e32 v194, v158, v105
	v_dual_mul_f32 v198, v165, v114 :: v_dual_mul_f32 v199, v167, v116
	v_dual_add_f32 v2, v2, v77 :: v_dual_mul_f32 v77, v156, v104
	v_add_f32_e32 v1, v1, v190
	v_fma_f32 v78, v153, v101, -v78
	v_dual_fmac_f32 v197, v164, v111 :: v_dual_mul_f32 v200, v169, v118
	v_mul_f32_e32 v201, v171, v120
	s_delay_alu instid0(VALU_DEP_4) | instskip(SKIP_2) | instid1(VALU_DEP_3)
	v_add_f32_e32 v1, v1, v191
	v_fma_f32 v77, v155, v103, -v77
	v_dual_mul_f32 v202, v173, v122 :: v_dual_mul_f32 v203, v175, v124
	v_dual_fmac_f32 v204, v178, v125 :: v_dual_add_f32 v1, v1, v192
	v_add_f32_e32 v2, v2, v4
	v_fmac_f32_e32 v198, v166, v113
	s_delay_alu instid0(VALU_DEP_4) | instskip(SKIP_1) | instid1(VALU_DEP_4)
	v_fmac_f32_e32 v202, v174, v121
	v_fmac_f32_e32 v200, v170, v117
	v_dual_add_f32 v1, v1, v193 :: v_dual_add_f32 v2, v2, v78
	v_mul_f32_e32 v78, v160, v108
	v_fmac_f32_e32 v199, v168, v115
	v_fmac_f32_e32 v201, v172, v119
	s_delay_alu instid0(VALU_DEP_4) | instskip(SKIP_3) | instid1(VALU_DEP_4)
	v_dual_add_f32 v1, v1, v194 :: v_dual_add_f32 v2, v2, v77
	v_mul_f32_e32 v4, v158, v106
	v_mul_f32_e32 v77, v162, v110
	v_fma_f32 v78, v159, v107, -v78
	v_add_f32_e32 v1, v1, v195
	v_fmac_f32_e32 v203, v176, v123
	v_fma_f32 v4, v157, v105, -v4
	v_fma_f32 v77, v161, v109, -v77
	v_fmac_f32_e32 v205, v180, v127
	v_add_f32_e32 v1, v1, v196
	s_delay_alu instid0(VALU_DEP_1) | instskip(SKIP_1) | instid1(VALU_DEP_2)
	v_dual_add_f32 v2, v2, v4 :: v_dual_add_f32 v1, v1, v197
	v_mul_f32_e32 v4, v164, v112
	v_add_f32_e32 v2, v2, v78
	s_delay_alu instid0(VALU_DEP_3) | instskip(SKIP_1) | instid1(VALU_DEP_4)
	v_add_f32_e32 v1, v1, v198
	v_mul_f32_e32 v78, v166, v114
	v_fma_f32 v4, v163, v111, -v4
	s_delay_alu instid0(VALU_DEP_4) | instskip(NEXT) | instid1(VALU_DEP_4)
	v_dual_add_f32 v2, v2, v77 :: v_dual_mul_f32 v77, v168, v116
	v_add_f32_e32 v1, v1, v199
	s_delay_alu instid0(VALU_DEP_4) | instskip(NEXT) | instid1(VALU_DEP_3)
	v_fma_f32 v78, v165, v113, -v78
	v_fma_f32 v77, v167, v115, -v77
	s_delay_alu instid0(VALU_DEP_3) | instskip(SKIP_1) | instid1(VALU_DEP_2)
	v_add_f32_e32 v1, v1, v200
	v_add_f32_e32 v2, v2, v4
	v_dual_mul_f32 v4, v170, v118 :: v_dual_add_f32 v1, v1, v201
	s_delay_alu instid0(VALU_DEP_2) | instskip(SKIP_1) | instid1(VALU_DEP_3)
	v_add_f32_e32 v2, v2, v78
	v_mul_f32_e32 v78, v172, v120
	v_fma_f32 v4, v169, v117, -v4
	s_delay_alu instid0(VALU_DEP_3) | instskip(SKIP_1) | instid1(VALU_DEP_4)
	v_dual_add_f32 v1, v1, v202 :: v_dual_add_f32 v2, v2, v77
	v_mul_f32_e32 v77, v174, v122
	v_fma_f32 v78, v171, v119, -v78
	s_delay_alu instid0(VALU_DEP_3) | instskip(SKIP_1) | instid1(VALU_DEP_4)
	v_dual_add_f32 v1, v1, v203 :: v_dual_add_f32 v2, v2, v4
	;; [unrolled: 4-line block ×3, first 2 shown]
	v_mul_f32_e32 v78, v178, v126
	v_fma_f32 v4, v175, v123, -v4
	s_delay_alu instid0(VALU_DEP_3) | instskip(NEXT) | instid1(VALU_DEP_3)
	v_dual_add_f32 v2, v2, v77 :: v_dual_mul_f32 v77, v180, v128
	v_fma_f32 v78, v177, v125, -v78
	s_delay_alu instid0(VALU_DEP_2) | instskip(NEXT) | instid1(VALU_DEP_3)
	v_add_f32_e32 v2, v2, v4
	v_fma_f32 v4, v179, v127, -v77
	s_delay_alu instid0(VALU_DEP_2) | instskip(NEXT) | instid1(VALU_DEP_1)
	v_add_f32_e32 v2, v2, v78
	v_add_f32_e32 v2, v2, v4
	;; [unrolled: 1-line block ×3, first 2 shown]
	s_wait_loadcnt 0x0
	s_delay_alu instid0(VALU_DEP_1)
	v_dual_sub_f32 v1, v181, v2 :: v_dual_sub_f32 v2, v182, v4
	scratch_store_b64 off, v[1:2], off offset:72
	v_cmpx_lt_u32_e32 8, v0
	s_cbranch_execz .LBB35_213
; %bb.212:
	scratch_load_b64 v[1:2], off, off offset:64
	v_mov_b32_e32 v77, 0
	s_delay_alu instid0(VALU_DEP_1)
	v_mov_b32_e32 v78, v77
	scratch_store_b64 off, v[77:78], off offset:64
	s_wait_loadcnt 0x0
	ds_store_b64 v3, v[1:2]
.LBB35_213:
	s_wait_alu 0xfffe
	s_or_b32 exec_lo, exec_lo, s0
	s_wait_storecnt_dscnt 0x0
	s_barrier_signal -1
	s_barrier_wait -1
	global_inv scope:SCOPE_SE
	s_clause 0xe
	scratch_load_b128 v[77:80], off, off offset:72
	scratch_load_b128 v[81:84], off, off offset:88
	;; [unrolled: 1-line block ×13, first 2 shown]
	scratch_load_b64 v[181:182], off, off offset:280
	scratch_load_b64 v[183:184], off, off offset:64
	v_mov_b32_e32 v1, 0
	ds_load_2addr_b64 v[129:132], v1 offset0:45 offset1:46
	ds_load_2addr_b64 v[133:136], v1 offset0:47 offset1:48
	;; [unrolled: 1-line block ×13, first 2 shown]
	ds_load_b64 v[185:186], v1 offset:568
	s_mov_b32 s0, exec_lo
	s_wait_loadcnt_dscnt 0xe0d
	v_mul_f32_e32 v2, v129, v78
	v_mul_f32_e32 v78, v130, v78
	s_wait_loadcnt_dscnt 0xd0c
	v_dual_mul_f32 v4, v131, v80 :: v_dual_mul_f32 v187, v133, v82
	v_mul_f32_e32 v80, v132, v80
	s_wait_loadcnt_dscnt 0xc0b
	v_dual_mul_f32 v188, v135, v84 :: v_dual_mul_f32 v189, v137, v86
	v_fma_f32 v78, v129, v77, -v78
	v_fmac_f32_e32 v2, v130, v77
	v_dual_mul_f32 v77, v134, v82 :: v_dual_fmac_f32 v4, v132, v79
	v_fmac_f32_e32 v187, v134, v81
	v_fma_f32 v79, v131, v79, -v80
	v_dual_add_f32 v78, 0, v78 :: v_dual_fmac_f32 v189, v138, v85
	v_mul_f32_e32 v80, v136, v84
	v_fma_f32 v77, v133, v81, -v77
	s_wait_loadcnt_dscnt 0xa09
	v_dual_mul_f32 v192, v143, v92 :: v_dual_mul_f32 v193, v145, v94
	v_add_f32_e32 v78, v78, v79
	v_add_f32_e32 v2, 0, v2
	v_fma_f32 v79, v135, v83, -v80
	s_wait_loadcnt_dscnt 0x908
	v_dual_mul_f32 v194, v147, v96 :: v_dual_mul_f32 v195, v149, v98
	v_add_f32_e32 v77, v78, v77
	v_add_f32_e32 v2, v2, v4
	v_mul_f32_e32 v4, v138, v86
	v_dual_mul_f32 v78, v140, v88 :: v_dual_fmac_f32 v193, v146, v93
	s_delay_alu instid0(VALU_DEP_4) | instskip(SKIP_1) | instid1(VALU_DEP_4)
	v_add_f32_e32 v77, v77, v79
	v_mul_f32_e32 v79, v142, v90
	v_fma_f32 v4, v137, v85, -v4
	s_delay_alu instid0(VALU_DEP_4)
	v_fma_f32 v78, v139, v87, -v78
	s_wait_loadcnt_dscnt 0x807
	v_dual_mul_f32 v196, v151, v100 :: v_dual_mul_f32 v197, v153, v102
	v_fma_f32 v79, v141, v89, -v79
	v_dual_add_f32 v4, v77, v4 :: v_dual_fmac_f32 v195, v150, v97
	v_mul_f32_e32 v77, v144, v92
	s_wait_loadcnt_dscnt 0x706
	v_dual_mul_f32 v198, v155, v104 :: v_dual_mul_f32 v199, v157, v106
	s_delay_alu instid0(VALU_DEP_3) | instskip(SKIP_3) | instid1(VALU_DEP_4)
	v_dual_add_f32 v4, v4, v78 :: v_dual_fmac_f32 v197, v154, v101
	v_mul_f32_e32 v78, v146, v94
	v_fma_f32 v77, v143, v91, -v77
	v_dual_mul_f32 v190, v139, v88 :: v_dual_mul_f32 v191, v141, v90
	v_dual_add_f32 v4, v4, v79 :: v_dual_fmac_f32 v199, v158, v105
	v_mul_f32_e32 v79, v148, v96
	v_fma_f32 v78, v145, v93, -v78
	s_wait_loadcnt_dscnt 0x504
	v_dual_mul_f32 v202, v163, v112 :: v_dual_mul_f32 v203, v165, v114
	v_add_f32_e32 v4, v4, v77
	v_dual_fmac_f32 v190, v140, v87 :: v_dual_mul_f32 v77, v150, v98
	v_fma_f32 v79, v147, v95, -v79
	s_wait_loadcnt_dscnt 0x403
	v_dual_mul_f32 v204, v167, v116 :: v_dual_mul_f32 v205, v169, v118
	v_dual_add_f32 v4, v4, v78 :: v_dual_fmac_f32 v203, v166, v113
	v_mul_f32_e32 v78, v152, v100
	v_fma_f32 v77, v149, v97, -v77
	v_fmac_f32_e32 v192, v144, v91
	s_delay_alu instid0(VALU_DEP_4)
	v_dual_add_f32 v4, v4, v79 :: v_dual_fmac_f32 v205, v170, v117
	v_mul_f32_e32 v79, v154, v102
	v_fma_f32 v78, v151, v99, -v78
	s_wait_loadcnt_dscnt 0x302
	v_dual_mul_f32 v206, v171, v120 :: v_dual_mul_f32 v207, v173, v122
	v_add_f32_e32 v4, v4, v77
	v_mul_f32_e32 v77, v156, v104
	v_fma_f32 v79, v153, v101, -v79
	s_wait_loadcnt_dscnt 0x100
	v_dual_mul_f32 v210, v179, v128 :: v_dual_mul_f32 v211, v185, v182
	v_dual_add_f32 v4, v4, v78 :: v_dual_fmac_f32 v207, v174, v121
	v_mul_f32_e32 v78, v158, v106
	v_fma_f32 v77, v155, v103, -v77
	v_add_f32_e32 v2, v2, v187
	s_delay_alu instid0(VALU_DEP_4) | instskip(SKIP_3) | instid1(VALU_DEP_4)
	v_dual_add_f32 v4, v4, v79 :: v_dual_fmac_f32 v211, v186, v181
	v_mul_f32_e32 v79, v160, v108
	v_fma_f32 v78, v157, v105, -v78
	v_dual_fmac_f32 v188, v136, v83 :: v_dual_fmac_f32 v191, v142, v89
	v_dual_add_f32 v4, v4, v77 :: v_dual_mul_f32 v77, v162, v110
	s_delay_alu instid0(VALU_DEP_4) | instskip(NEXT) | instid1(VALU_DEP_3)
	v_fma_f32 v79, v159, v107, -v79
	v_add_f32_e32 v2, v2, v188
	v_fmac_f32_e32 v196, v152, v99
	s_delay_alu instid0(VALU_DEP_4)
	v_add_f32_e32 v4, v4, v78
	v_mul_f32_e32 v78, v164, v112
	v_fma_f32 v77, v161, v109, -v77
	v_add_f32_e32 v2, v2, v189
	v_dual_mul_f32 v200, v159, v108 :: v_dual_mul_f32 v201, v161, v110
	v_dual_add_f32 v4, v4, v79 :: v_dual_mul_f32 v79, v166, v114
	v_fma_f32 v78, v163, v111, -v78
	s_delay_alu instid0(VALU_DEP_3) | instskip(NEXT) | instid1(VALU_DEP_3)
	v_dual_fmac_f32 v194, v148, v95 :: v_dual_fmac_f32 v201, v162, v109
	v_add_f32_e32 v4, v4, v77
	v_mul_f32_e32 v77, v168, v116
	v_fma_f32 v79, v165, v113, -v79
	v_add_f32_e32 v2, v2, v190
	v_dual_mul_f32 v208, v175, v124 :: v_dual_mul_f32 v209, v177, v126
	v_add_f32_e32 v4, v4, v78
	v_mul_f32_e32 v78, v170, v118
	v_fma_f32 v77, v167, v115, -v77
	s_delay_alu instid0(VALU_DEP_4) | instskip(NEXT) | instid1(VALU_DEP_4)
	v_dual_fmac_f32 v198, v156, v103 :: v_dual_fmac_f32 v209, v178, v125
	v_add_f32_e32 v4, v4, v79
	v_mul_f32_e32 v79, v172, v120
	v_fma_f32 v78, v169, v117, -v78
	v_fmac_f32_e32 v200, v160, v107
	v_fmac_f32_e32 v202, v164, v111
	v_dual_add_f32 v4, v4, v77 :: v_dual_mul_f32 v77, v174, v122
	v_fma_f32 v79, v171, v119, -v79
	v_fmac_f32_e32 v204, v168, v115
	v_fmac_f32_e32 v206, v172, v119
	s_delay_alu instid0(VALU_DEP_4)
	v_add_f32_e32 v4, v4, v78
	v_mul_f32_e32 v78, v176, v124
	v_fma_f32 v77, v173, v121, -v77
	v_fmac_f32_e32 v208, v176, v123
	v_fmac_f32_e32 v210, v180, v127
	v_dual_add_f32 v4, v4, v79 :: v_dual_mul_f32 v79, v178, v126
	v_fma_f32 v78, v175, v123, -v78
	s_delay_alu instid0(VALU_DEP_2) | instskip(SKIP_1) | instid1(VALU_DEP_4)
	v_add_f32_e32 v4, v4, v77
	v_mul_f32_e32 v77, v180, v128
	v_fma_f32 v79, v177, v125, -v79
	s_delay_alu instid0(VALU_DEP_3) | instskip(SKIP_1) | instid1(VALU_DEP_4)
	v_add_f32_e32 v4, v4, v78
	v_mul_f32_e32 v78, v186, v182
	v_fma_f32 v77, v179, v127, -v77
	s_delay_alu instid0(VALU_DEP_3) | instskip(NEXT) | instid1(VALU_DEP_3)
	v_add_f32_e32 v4, v4, v79
	v_fma_f32 v78, v185, v181, -v78
	s_delay_alu instid0(VALU_DEP_2) | instskip(NEXT) | instid1(VALU_DEP_1)
	v_add_f32_e32 v4, v4, v77
	v_add_f32_e32 v4, v4, v78
	s_wait_loadcnt 0x0
	s_delay_alu instid0(VALU_DEP_1) | instskip(NEXT) | instid1(VALU_DEP_1)
	v_dual_add_f32 v2, v2, v191 :: v_dual_sub_f32 v77, v183, v4
	v_add_f32_e32 v2, v2, v192
	s_delay_alu instid0(VALU_DEP_1) | instskip(NEXT) | instid1(VALU_DEP_1)
	v_add_f32_e32 v2, v2, v193
	v_add_f32_e32 v2, v2, v194
	s_delay_alu instid0(VALU_DEP_1) | instskip(NEXT) | instid1(VALU_DEP_1)
	v_add_f32_e32 v2, v2, v195
	v_add_f32_e32 v2, v2, v196
	s_delay_alu instid0(VALU_DEP_1) | instskip(NEXT) | instid1(VALU_DEP_1)
	v_add_f32_e32 v2, v2, v197
	v_add_f32_e32 v2, v2, v198
	s_delay_alu instid0(VALU_DEP_1) | instskip(NEXT) | instid1(VALU_DEP_1)
	v_add_f32_e32 v2, v2, v199
	v_add_f32_e32 v2, v2, v200
	s_delay_alu instid0(VALU_DEP_1) | instskip(NEXT) | instid1(VALU_DEP_1)
	v_add_f32_e32 v2, v2, v201
	v_add_f32_e32 v2, v2, v202
	s_delay_alu instid0(VALU_DEP_1) | instskip(NEXT) | instid1(VALU_DEP_1)
	v_add_f32_e32 v2, v2, v203
	v_add_f32_e32 v2, v2, v204
	s_delay_alu instid0(VALU_DEP_1) | instskip(NEXT) | instid1(VALU_DEP_1)
	v_add_f32_e32 v2, v2, v205
	v_add_f32_e32 v2, v2, v206
	s_delay_alu instid0(VALU_DEP_1) | instskip(NEXT) | instid1(VALU_DEP_1)
	v_add_f32_e32 v2, v2, v207
	v_add_f32_e32 v2, v2, v208
	s_delay_alu instid0(VALU_DEP_1) | instskip(NEXT) | instid1(VALU_DEP_1)
	v_add_f32_e32 v2, v2, v209
	v_add_f32_e32 v2, v2, v210
	s_delay_alu instid0(VALU_DEP_1) | instskip(NEXT) | instid1(VALU_DEP_1)
	v_add_f32_e32 v2, v2, v211
	v_sub_f32_e32 v78, v184, v2
	scratch_store_b64 off, v[77:78], off offset:64
	v_cmpx_lt_u32_e32 7, v0
	s_cbranch_execz .LBB35_215
; %bb.214:
	scratch_load_b64 v[77:78], off, off offset:56
	v_mov_b32_e32 v2, v1
	scratch_store_b64 off, v[1:2], off offset:56
	s_wait_loadcnt 0x0
	ds_store_b64 v3, v[77:78]
.LBB35_215:
	s_wait_alu 0xfffe
	s_or_b32 exec_lo, exec_lo, s0
	s_wait_storecnt_dscnt 0x0
	s_barrier_signal -1
	s_barrier_wait -1
	global_inv scope:SCOPE_SE
	s_clause 0xe
	scratch_load_b128 v[77:80], off, off offset:64
	scratch_load_b128 v[81:84], off, off offset:80
	scratch_load_b128 v[85:88], off, off offset:96
	scratch_load_b128 v[89:92], off, off offset:112
	scratch_load_b128 v[93:96], off, off offset:128
	scratch_load_b128 v[97:100], off, off offset:144
	scratch_load_b128 v[101:104], off, off offset:160
	scratch_load_b128 v[105:108], off, off offset:176
	scratch_load_b128 v[109:112], off, off offset:192
	scratch_load_b128 v[113:116], off, off offset:208
	scratch_load_b128 v[117:120], off, off offset:224
	scratch_load_b128 v[121:124], off, off offset:240
	scratch_load_b128 v[125:128], off, off offset:256
	scratch_load_b128 v[129:132], off, off offset:272
	scratch_load_b64 v[189:190], off, off offset:56
	ds_load_b128 v[133:136], v1 offset:352
	ds_load_b128 v[137:140], v1 offset:368
	;; [unrolled: 1-line block ×14, first 2 shown]
	s_mov_b32 s0, exec_lo
	s_wait_loadcnt_dscnt 0xe0d
	v_dual_mul_f32 v1, v133, v78 :: v_dual_mul_f32 v2, v135, v80
	v_mul_f32_e32 v78, v134, v78
	v_mul_f32_e32 v80, v136, v80
	s_wait_loadcnt_dscnt 0xd0c
	v_dual_mul_f32 v4, v137, v82 :: v_dual_mul_f32 v191, v139, v84
	s_wait_loadcnt_dscnt 0xc0b
	v_dual_mul_f32 v192, v141, v86 :: v_dual_mul_f32 v193, v143, v88
	;; [unrolled: 2-line block ×3, first 2 shown]
	v_dual_fmac_f32 v1, v134, v77 :: v_dual_fmac_f32 v2, v136, v79
	s_delay_alu instid0(VALU_DEP_3)
	v_dual_fmac_f32 v192, v142, v85 :: v_dual_fmac_f32 v193, v144, v87
	s_wait_loadcnt_dscnt 0x100
	v_dual_mul_f32 v214, v185, v130 :: v_dual_mul_f32 v215, v187, v132
	v_fma_f32 v78, v133, v77, -v78
	v_mul_f32_e32 v77, v138, v82
	v_fma_f32 v79, v135, v79, -v80
	v_dual_add_f32 v1, 0, v1 :: v_dual_mul_f32 v80, v140, v84
	s_delay_alu instid0(VALU_DEP_4) | instskip(NEXT) | instid1(VALU_DEP_4)
	v_dual_add_f32 v78, 0, v78 :: v_dual_fmac_f32 v191, v140, v83
	v_fma_f32 v77, v137, v81, -v77
	s_delay_alu instid0(VALU_DEP_3) | instskip(SKIP_1) | instid1(VALU_DEP_4)
	v_dual_add_f32 v1, v1, v2 :: v_dual_fmac_f32 v194, v146, v89
	v_fmac_f32_e32 v195, v148, v91
	v_add_f32_e32 v78, v78, v79
	v_fma_f32 v79, v139, v83, -v80
	v_dual_mul_f32 v196, v149, v94 :: v_dual_mul_f32 v197, v151, v96
	v_dual_mul_f32 v198, v153, v98 :: v_dual_mul_f32 v199, v155, v100
	s_delay_alu instid0(VALU_DEP_4) | instskip(SKIP_1) | instid1(VALU_DEP_4)
	v_add_f32_e32 v77, v78, v77
	v_fmac_f32_e32 v4, v138, v81
	v_fmac_f32_e32 v196, v150, v93
	s_delay_alu instid0(VALU_DEP_4) | instskip(NEXT) | instid1(VALU_DEP_4)
	v_dual_fmac_f32 v198, v154, v97 :: v_dual_fmac_f32 v199, v156, v99
	v_add_f32_e32 v77, v77, v79
	s_delay_alu instid0(VALU_DEP_4) | instskip(SKIP_2) | instid1(VALU_DEP_3)
	v_dual_add_f32 v1, v1, v4 :: v_dual_mul_f32 v2, v142, v86
	v_mul_f32_e32 v4, v144, v88
	v_dual_mul_f32 v200, v157, v102 :: v_dual_mul_f32 v201, v159, v104
	v_add_f32_e32 v1, v1, v191
	s_delay_alu instid0(VALU_DEP_4) | instskip(SKIP_3) | instid1(VALU_DEP_4)
	v_fma_f32 v2, v141, v85, -v2
	v_mul_f32_e32 v78, v146, v90
	v_fma_f32 v4, v143, v87, -v4
	v_dual_mul_f32 v202, v161, v106 :: v_dual_mul_f32 v203, v163, v108
	v_dual_add_f32 v2, v77, v2 :: v_dual_mul_f32 v77, v148, v92
	v_add_f32_e32 v1, v1, v192
	v_fma_f32 v78, v145, v89, -v78
	s_delay_alu instid0(VALU_DEP_3) | instskip(NEXT) | instid1(VALU_DEP_4)
	v_dual_fmac_f32 v197, v152, v95 :: v_dual_add_f32 v2, v2, v4
	v_fma_f32 v77, v147, v91, -v77
	s_delay_alu instid0(VALU_DEP_4) | instskip(SKIP_1) | instid1(VALU_DEP_4)
	v_add_f32_e32 v1, v1, v193
	v_dual_fmac_f32 v200, v158, v101 :: v_dual_fmac_f32 v203, v164, v107
	v_add_f32_e32 v2, v2, v78
	s_delay_alu instid0(VALU_DEP_3) | instskip(SKIP_2) | instid1(VALU_DEP_3)
	v_dual_mul_f32 v78, v152, v96 :: v_dual_add_f32 v1, v1, v194
	v_dual_mul_f32 v4, v150, v94 :: v_dual_fmac_f32 v201, v160, v103
	v_dual_mul_f32 v204, v165, v110 :: v_dual_mul_f32 v205, v167, v112
	v_add_f32_e32 v1, v1, v195
	s_delay_alu instid0(VALU_DEP_3) | instskip(SKIP_4) | instid1(VALU_DEP_4)
	v_fma_f32 v4, v149, v93, -v4
	v_add_f32_e32 v2, v2, v77
	v_mul_f32_e32 v77, v154, v98
	v_fma_f32 v78, v151, v95, -v78
	v_dual_add_f32 v1, v1, v196 :: v_dual_fmac_f32 v204, v166, v109
	v_add_f32_e32 v2, v2, v4
	v_mul_f32_e32 v4, v156, v100
	v_fma_f32 v77, v153, v97, -v77
	s_delay_alu instid0(VALU_DEP_4)
	v_add_f32_e32 v1, v1, v197
	v_dual_mul_f32 v206, v169, v114 :: v_dual_mul_f32 v207, v171, v116
	v_add_f32_e32 v2, v2, v78
	v_mul_f32_e32 v78, v158, v102
	v_fma_f32 v4, v155, v99, -v4
	v_dual_fmac_f32 v202, v162, v105 :: v_dual_fmac_f32 v205, v168, v111
	s_delay_alu instid0(VALU_DEP_4) | instskip(SKIP_3) | instid1(VALU_DEP_4)
	v_dual_add_f32 v2, v2, v77 :: v_dual_mul_f32 v77, v160, v104
	v_add_f32_e32 v1, v1, v198
	v_fma_f32 v78, v157, v101, -v78
	v_dual_mul_f32 v208, v173, v118 :: v_dual_mul_f32 v209, v175, v120
	v_fma_f32 v77, v159, v103, -v77
	s_delay_alu instid0(VALU_DEP_4) | instskip(SKIP_2) | instid1(VALU_DEP_3)
	v_add_f32_e32 v1, v1, v199
	v_dual_mul_f32 v210, v177, v122 :: v_dual_mul_f32 v211, v179, v124
	v_dual_mul_f32 v212, v181, v126 :: v_dual_mul_f32 v213, v183, v128
	v_add_f32_e32 v1, v1, v200
	v_add_f32_e32 v2, v2, v4
	v_fmac_f32_e32 v206, v170, v113
	s_delay_alu instid0(VALU_DEP_4) | instskip(SKIP_1) | instid1(VALU_DEP_4)
	v_fmac_f32_e32 v212, v182, v125
	v_fmac_f32_e32 v210, v178, v121
	v_dual_add_f32 v1, v1, v201 :: v_dual_add_f32 v2, v2, v78
	v_mul_f32_e32 v78, v164, v108
	v_dual_fmac_f32 v207, v172, v115 :: v_dual_fmac_f32 v208, v174, v117
	s_delay_alu instid0(VALU_DEP_3) | instskip(SKIP_3) | instid1(VALU_DEP_4)
	v_dual_add_f32 v1, v1, v202 :: v_dual_add_f32 v2, v2, v77
	v_mul_f32_e32 v4, v162, v106
	v_mul_f32_e32 v77, v166, v110
	v_fma_f32 v78, v163, v107, -v78
	v_add_f32_e32 v1, v1, v203
	v_fmac_f32_e32 v209, v176, v119
	v_fma_f32 v4, v161, v105, -v4
	v_fma_f32 v77, v165, v109, -v77
	s_delay_alu instid0(VALU_DEP_4) | instskip(NEXT) | instid1(VALU_DEP_3)
	v_dual_fmac_f32 v214, v186, v129 :: v_dual_add_f32 v1, v1, v204
	v_dual_fmac_f32 v211, v180, v123 :: v_dual_add_f32 v2, v2, v4
	v_fmac_f32_e32 v213, v184, v127
	v_fmac_f32_e32 v215, v188, v131
	s_delay_alu instid0(VALU_DEP_4) | instskip(NEXT) | instid1(VALU_DEP_4)
	v_dual_add_f32 v1, v1, v205 :: v_dual_mul_f32 v4, v168, v112
	v_add_f32_e32 v2, v2, v78
	s_delay_alu instid0(VALU_DEP_2) | instskip(SKIP_1) | instid1(VALU_DEP_4)
	v_add_f32_e32 v1, v1, v206
	v_mul_f32_e32 v78, v170, v114
	v_fma_f32 v4, v167, v111, -v4
	s_delay_alu instid0(VALU_DEP_4) | instskip(NEXT) | instid1(VALU_DEP_4)
	v_dual_add_f32 v2, v2, v77 :: v_dual_mul_f32 v77, v172, v116
	v_add_f32_e32 v1, v1, v207
	s_delay_alu instid0(VALU_DEP_4) | instskip(NEXT) | instid1(VALU_DEP_3)
	v_fma_f32 v78, v169, v113, -v78
	v_fma_f32 v77, v171, v115, -v77
	s_delay_alu instid0(VALU_DEP_3) | instskip(SKIP_1) | instid1(VALU_DEP_2)
	v_add_f32_e32 v1, v1, v208
	v_add_f32_e32 v2, v2, v4
	v_dual_mul_f32 v4, v174, v118 :: v_dual_add_f32 v1, v1, v209
	s_delay_alu instid0(VALU_DEP_2) | instskip(SKIP_1) | instid1(VALU_DEP_3)
	v_add_f32_e32 v2, v2, v78
	v_mul_f32_e32 v78, v176, v120
	v_fma_f32 v4, v173, v117, -v4
	s_delay_alu instid0(VALU_DEP_3) | instskip(SKIP_1) | instid1(VALU_DEP_4)
	v_dual_add_f32 v1, v1, v210 :: v_dual_add_f32 v2, v2, v77
	v_mul_f32_e32 v77, v178, v122
	v_fma_f32 v78, v175, v119, -v78
	s_delay_alu instid0(VALU_DEP_3) | instskip(NEXT) | instid1(VALU_DEP_3)
	v_dual_add_f32 v1, v1, v211 :: v_dual_add_f32 v2, v2, v4
	v_fma_f32 v77, v177, v121, -v77
	s_delay_alu instid0(VALU_DEP_2) | instskip(SKIP_1) | instid1(VALU_DEP_4)
	v_add_f32_e32 v1, v1, v212
	v_mul_f32_e32 v4, v180, v124
	v_add_f32_e32 v2, v2, v78
	s_delay_alu instid0(VALU_DEP_3) | instskip(NEXT) | instid1(VALU_DEP_3)
	v_dual_mul_f32 v78, v182, v126 :: v_dual_add_f32 v1, v1, v213
	v_fma_f32 v4, v179, v123, -v4
	s_delay_alu instid0(VALU_DEP_3) | instskip(NEXT) | instid1(VALU_DEP_3)
	v_dual_add_f32 v2, v2, v77 :: v_dual_mul_f32 v77, v184, v128
	v_fma_f32 v78, v181, v125, -v78
	s_delay_alu instid0(VALU_DEP_2) | instskip(SKIP_1) | instid1(VALU_DEP_4)
	v_dual_add_f32 v1, v1, v214 :: v_dual_add_f32 v2, v2, v4
	v_mul_f32_e32 v4, v186, v130
	v_fma_f32 v77, v183, v127, -v77
	s_delay_alu instid0(VALU_DEP_3) | instskip(SKIP_1) | instid1(VALU_DEP_4)
	v_add_f32_e32 v2, v2, v78
	v_mul_f32_e32 v78, v188, v132
	v_fma_f32 v4, v185, v129, -v4
	s_delay_alu instid0(VALU_DEP_3) | instskip(NEXT) | instid1(VALU_DEP_3)
	v_add_f32_e32 v2, v2, v77
	v_fma_f32 v77, v187, v131, -v78
	s_delay_alu instid0(VALU_DEP_2) | instskip(SKIP_1) | instid1(VALU_DEP_2)
	v_add_f32_e32 v2, v2, v4
	v_add_f32_e32 v4, v1, v215
	;; [unrolled: 1-line block ×3, first 2 shown]
	s_wait_loadcnt 0x0
	s_delay_alu instid0(VALU_DEP_1)
	v_dual_sub_f32 v1, v189, v2 :: v_dual_sub_f32 v2, v190, v4
	scratch_store_b64 off, v[1:2], off offset:56
	v_cmpx_lt_u32_e32 6, v0
	s_cbranch_execz .LBB35_217
; %bb.216:
	scratch_load_b64 v[1:2], off, off offset:48
	v_mov_b32_e32 v77, 0
	s_delay_alu instid0(VALU_DEP_1)
	v_mov_b32_e32 v78, v77
	scratch_store_b64 off, v[77:78], off offset:48
	s_wait_loadcnt 0x0
	ds_store_b64 v3, v[1:2]
.LBB35_217:
	s_wait_alu 0xfffe
	s_or_b32 exec_lo, exec_lo, s0
	s_wait_storecnt_dscnt 0x0
	s_barrier_signal -1
	s_barrier_wait -1
	global_inv scope:SCOPE_SE
	s_clause 0xf
	scratch_load_b128 v[77:80], off, off offset:56
	scratch_load_b128 v[81:84], off, off offset:72
	scratch_load_b128 v[85:88], off, off offset:88
	scratch_load_b128 v[89:92], off, off offset:104
	scratch_load_b128 v[93:96], off, off offset:120
	scratch_load_b128 v[97:100], off, off offset:136
	scratch_load_b128 v[101:104], off, off offset:152
	scratch_load_b128 v[105:108], off, off offset:168
	scratch_load_b128 v[109:112], off, off offset:184
	scratch_load_b128 v[113:116], off, off offset:200
	scratch_load_b128 v[117:120], off, off offset:216
	scratch_load_b128 v[121:124], off, off offset:232
	scratch_load_b128 v[125:128], off, off offset:248
	scratch_load_b128 v[129:132], off, off offset:264
	scratch_load_b64 v[189:190], off, off offset:280
	scratch_load_b64 v[191:192], off, off offset:48
	v_mov_b32_e32 v1, 0
	ds_load_2addr_b64 v[133:136], v1 offset0:43 offset1:44
	ds_load_2addr_b64 v[137:140], v1 offset0:45 offset1:46
	;; [unrolled: 1-line block ×14, first 2 shown]
	ds_load_b64 v[193:194], v1 offset:568
	s_mov_b32 s0, exec_lo
	s_wait_loadcnt_dscnt 0xf0e
	v_mul_f32_e32 v2, v133, v78
	v_mul_f32_e32 v78, v134, v78
	s_wait_loadcnt_dscnt 0xe0d
	v_dual_mul_f32 v4, v135, v80 :: v_dual_mul_f32 v195, v137, v82
	v_mul_f32_e32 v80, v136, v80
	s_wait_loadcnt_dscnt 0xd0c
	v_dual_mul_f32 v196, v139, v84 :: v_dual_mul_f32 v197, v141, v86
	v_fma_f32 v78, v133, v77, -v78
	v_fmac_f32_e32 v2, v134, v77
	v_dual_mul_f32 v77, v138, v82 :: v_dual_fmac_f32 v4, v136, v79
	v_fmac_f32_e32 v195, v138, v81
	v_fma_f32 v79, v135, v79, -v80
	v_dual_add_f32 v78, 0, v78 :: v_dual_fmac_f32 v197, v142, v85
	v_mul_f32_e32 v80, v140, v84
	v_fma_f32 v77, v137, v81, -v77
	s_wait_loadcnt_dscnt 0xb0a
	v_dual_mul_f32 v200, v147, v92 :: v_dual_mul_f32 v201, v149, v94
	v_add_f32_e32 v78, v78, v79
	v_add_f32_e32 v2, 0, v2
	v_fma_f32 v79, v139, v83, -v80
	s_wait_loadcnt_dscnt 0xa09
	v_dual_mul_f32 v202, v151, v96 :: v_dual_mul_f32 v203, v153, v98
	v_add_f32_e32 v77, v78, v77
	v_add_f32_e32 v2, v2, v4
	v_mul_f32_e32 v4, v142, v86
	v_dual_mul_f32 v78, v144, v88 :: v_dual_fmac_f32 v201, v150, v93
	s_delay_alu instid0(VALU_DEP_4) | instskip(SKIP_1) | instid1(VALU_DEP_4)
	v_add_f32_e32 v77, v77, v79
	v_mul_f32_e32 v79, v146, v90
	v_fma_f32 v4, v141, v85, -v4
	s_delay_alu instid0(VALU_DEP_4)
	v_fma_f32 v78, v143, v87, -v78
	s_wait_loadcnt_dscnt 0x908
	v_dual_mul_f32 v204, v155, v100 :: v_dual_mul_f32 v205, v157, v102
	v_fma_f32 v79, v145, v89, -v79
	v_dual_add_f32 v4, v77, v4 :: v_dual_fmac_f32 v203, v154, v97
	v_mul_f32_e32 v77, v148, v92
	s_wait_loadcnt_dscnt 0x807
	v_dual_mul_f32 v206, v159, v104 :: v_dual_mul_f32 v207, v161, v106
	s_delay_alu instid0(VALU_DEP_3) | instskip(SKIP_3) | instid1(VALU_DEP_4)
	v_dual_add_f32 v4, v4, v78 :: v_dual_fmac_f32 v205, v158, v101
	v_mul_f32_e32 v78, v150, v94
	v_fma_f32 v77, v147, v91, -v77
	v_dual_mul_f32 v198, v143, v88 :: v_dual_mul_f32 v199, v145, v90
	v_dual_add_f32 v4, v4, v79 :: v_dual_fmac_f32 v207, v162, v105
	v_mul_f32_e32 v79, v152, v96
	v_fma_f32 v78, v149, v93, -v78
	s_wait_loadcnt_dscnt 0x605
	v_dual_mul_f32 v210, v167, v112 :: v_dual_mul_f32 v211, v169, v114
	v_add_f32_e32 v4, v4, v77
	v_dual_fmac_f32 v198, v144, v87 :: v_dual_mul_f32 v77, v154, v98
	v_fma_f32 v79, v151, v95, -v79
	s_wait_loadcnt_dscnt 0x504
	v_dual_mul_f32 v212, v171, v116 :: v_dual_mul_f32 v213, v173, v118
	v_dual_add_f32 v4, v4, v78 :: v_dual_fmac_f32 v211, v170, v113
	v_mul_f32_e32 v78, v156, v100
	v_fma_f32 v77, v153, v97, -v77
	v_fmac_f32_e32 v200, v148, v91
	s_delay_alu instid0(VALU_DEP_4)
	v_dual_add_f32 v4, v4, v79 :: v_dual_fmac_f32 v213, v174, v117
	v_mul_f32_e32 v79, v158, v102
	v_fma_f32 v78, v155, v99, -v78
	s_wait_loadcnt_dscnt 0x403
	v_dual_mul_f32 v214, v175, v120 :: v_dual_mul_f32 v215, v177, v122
	v_add_f32_e32 v4, v4, v77
	v_mul_f32_e32 v77, v160, v104
	v_fma_f32 v79, v157, v101, -v79
	s_wait_loadcnt_dscnt 0x201
	v_dual_mul_f32 v218, v183, v128 :: v_dual_mul_f32 v219, v185, v130
	v_dual_add_f32 v4, v4, v78 :: v_dual_fmac_f32 v215, v178, v121
	v_mul_f32_e32 v78, v162, v106
	v_fma_f32 v77, v159, v103, -v77
	v_add_f32_e32 v2, v2, v195
	s_delay_alu instid0(VALU_DEP_4) | instskip(SKIP_3) | instid1(VALU_DEP_4)
	v_dual_add_f32 v4, v4, v79 :: v_dual_fmac_f32 v219, v186, v129
	v_mul_f32_e32 v79, v164, v108
	v_fma_f32 v78, v161, v105, -v78
	v_dual_fmac_f32 v196, v140, v83 :: v_dual_fmac_f32 v199, v146, v89
	v_dual_add_f32 v4, v4, v77 :: v_dual_mul_f32 v77, v166, v110
	s_delay_alu instid0(VALU_DEP_4) | instskip(NEXT) | instid1(VALU_DEP_3)
	v_fma_f32 v79, v163, v107, -v79
	v_add_f32_e32 v2, v2, v196
	v_fmac_f32_e32 v204, v156, v99
	s_delay_alu instid0(VALU_DEP_4)
	v_add_f32_e32 v4, v4, v78
	v_mul_f32_e32 v78, v168, v112
	v_fma_f32 v77, v165, v109, -v77
	v_add_f32_e32 v2, v2, v197
	v_dual_mul_f32 v208, v163, v108 :: v_dual_mul_f32 v209, v165, v110
	v_dual_add_f32 v4, v4, v79 :: v_dual_mul_f32 v79, v170, v114
	v_fma_f32 v78, v167, v111, -v78
	s_delay_alu instid0(VALU_DEP_3) | instskip(NEXT) | instid1(VALU_DEP_3)
	v_dual_fmac_f32 v202, v152, v95 :: v_dual_fmac_f32 v209, v166, v109
	v_add_f32_e32 v4, v4, v77
	v_mul_f32_e32 v77, v172, v116
	v_fma_f32 v79, v169, v113, -v79
	v_add_f32_e32 v2, v2, v198
	v_dual_mul_f32 v216, v179, v124 :: v_dual_mul_f32 v217, v181, v126
	v_add_f32_e32 v4, v4, v78
	v_mul_f32_e32 v78, v174, v118
	v_fma_f32 v77, v171, v115, -v77
	s_delay_alu instid0(VALU_DEP_4) | instskip(NEXT) | instid1(VALU_DEP_4)
	v_dual_fmac_f32 v206, v160, v103 :: v_dual_fmac_f32 v217, v182, v125
	v_add_f32_e32 v4, v4, v79
	v_mul_f32_e32 v79, v176, v120
	v_fma_f32 v78, v173, v117, -v78
	v_add_f32_e32 v2, v2, v199
	s_wait_loadcnt_dscnt 0x100
	v_dual_mul_f32 v220, v187, v132 :: v_dual_mul_f32 v221, v193, v190
	v_dual_add_f32 v4, v4, v77 :: v_dual_mul_f32 v77, v178, v122
	v_fma_f32 v79, v175, v119, -v79
	s_delay_alu instid0(VALU_DEP_3) | instskip(NEXT) | instid1(VALU_DEP_3)
	v_dual_fmac_f32 v208, v164, v107 :: v_dual_fmac_f32 v221, v194, v189
	v_add_f32_e32 v4, v4, v78
	v_mul_f32_e32 v78, v180, v124
	v_fma_f32 v77, v177, v121, -v77
	v_fmac_f32_e32 v210, v168, v111
	v_fmac_f32_e32 v212, v172, v115
	v_dual_add_f32 v4, v4, v79 :: v_dual_mul_f32 v79, v182, v126
	v_fma_f32 v78, v179, v123, -v78
	v_fmac_f32_e32 v214, v176, v119
	v_fmac_f32_e32 v216, v180, v123
	s_delay_alu instid0(VALU_DEP_4)
	v_add_f32_e32 v4, v4, v77
	v_mul_f32_e32 v77, v184, v128
	v_fma_f32 v79, v181, v125, -v79
	v_fmac_f32_e32 v218, v184, v127
	v_fmac_f32_e32 v220, v188, v131
	v_add_f32_e32 v4, v4, v78
	v_mul_f32_e32 v78, v186, v130
	v_fma_f32 v77, v183, v127, -v77
	s_delay_alu instid0(VALU_DEP_3) | instskip(SKIP_1) | instid1(VALU_DEP_4)
	v_add_f32_e32 v4, v4, v79
	v_mul_f32_e32 v79, v188, v132
	v_fma_f32 v78, v185, v129, -v78
	v_add_f32_e32 v2, v2, v200
	s_delay_alu instid0(VALU_DEP_4) | instskip(NEXT) | instid1(VALU_DEP_4)
	v_dual_add_f32 v4, v4, v77 :: v_dual_mul_f32 v77, v194, v190
	v_fma_f32 v79, v187, v131, -v79
	s_delay_alu instid0(VALU_DEP_2) | instskip(NEXT) | instid1(VALU_DEP_3)
	v_add_f32_e32 v4, v4, v78
	v_fma_f32 v77, v193, v189, -v77
	s_delay_alu instid0(VALU_DEP_2) | instskip(NEXT) | instid1(VALU_DEP_1)
	v_add_f32_e32 v4, v4, v79
	v_add_f32_e32 v4, v4, v77
	s_wait_loadcnt 0x0
	s_delay_alu instid0(VALU_DEP_1) | instskip(NEXT) | instid1(VALU_DEP_1)
	v_dual_add_f32 v2, v2, v201 :: v_dual_sub_f32 v77, v191, v4
	v_add_f32_e32 v2, v2, v202
	s_delay_alu instid0(VALU_DEP_1) | instskip(NEXT) | instid1(VALU_DEP_1)
	v_add_f32_e32 v2, v2, v203
	v_add_f32_e32 v2, v2, v204
	s_delay_alu instid0(VALU_DEP_1) | instskip(NEXT) | instid1(VALU_DEP_1)
	v_add_f32_e32 v2, v2, v205
	;; [unrolled: 3-line block ×10, first 2 shown]
	v_sub_f32_e32 v78, v192, v2
	scratch_store_b64 off, v[77:78], off offset:48
	v_cmpx_lt_u32_e32 5, v0
	s_cbranch_execz .LBB35_219
; %bb.218:
	scratch_load_b64 v[77:78], off, off offset:40
	v_mov_b32_e32 v2, v1
	scratch_store_b64 off, v[1:2], off offset:40
	s_wait_loadcnt 0x0
	ds_store_b64 v3, v[77:78]
.LBB35_219:
	s_wait_alu 0xfffe
	s_or_b32 exec_lo, exec_lo, s0
	s_wait_storecnt_dscnt 0x0
	s_barrier_signal -1
	s_barrier_wait -1
	global_inv scope:SCOPE_SE
	s_clause 0xf
	scratch_load_b128 v[77:80], off, off offset:48
	scratch_load_b128 v[81:84], off, off offset:64
	;; [unrolled: 1-line block ×15, first 2 shown]
	scratch_load_b64 v[197:198], off, off offset:40
	ds_load_b128 v[137:140], v1 offset:336
	ds_load_b128 v[141:144], v1 offset:352
	;; [unrolled: 1-line block ×15, first 2 shown]
	s_mov_b32 s0, exec_lo
	s_wait_loadcnt_dscnt 0xf0e
	v_dual_mul_f32 v1, v137, v78 :: v_dual_mul_f32 v2, v139, v80
	v_mul_f32_e32 v78, v138, v78
	v_mul_f32_e32 v80, v140, v80
	s_wait_loadcnt_dscnt 0xe0d
	v_dual_mul_f32 v4, v141, v82 :: v_dual_mul_f32 v199, v143, v84
	s_wait_loadcnt_dscnt 0xd0c
	v_dual_mul_f32 v200, v145, v86 :: v_dual_mul_f32 v201, v147, v88
	;; [unrolled: 2-line block ×3, first 2 shown]
	v_dual_fmac_f32 v1, v138, v77 :: v_dual_fmac_f32 v2, v140, v79
	s_delay_alu instid0(VALU_DEP_3)
	v_dual_fmac_f32 v200, v146, v85 :: v_dual_fmac_f32 v201, v148, v87
	s_wait_loadcnt_dscnt 0x100
	v_dual_mul_f32 v224, v193, v134 :: v_dual_mul_f32 v225, v195, v136
	v_fma_f32 v78, v137, v77, -v78
	v_mul_f32_e32 v77, v142, v82
	v_fma_f32 v79, v139, v79, -v80
	v_dual_add_f32 v1, 0, v1 :: v_dual_mul_f32 v80, v144, v84
	s_delay_alu instid0(VALU_DEP_4) | instskip(NEXT) | instid1(VALU_DEP_4)
	v_dual_add_f32 v78, 0, v78 :: v_dual_fmac_f32 v199, v144, v83
	v_fma_f32 v77, v141, v81, -v77
	s_delay_alu instid0(VALU_DEP_3) | instskip(SKIP_1) | instid1(VALU_DEP_4)
	v_dual_add_f32 v1, v1, v2 :: v_dual_fmac_f32 v202, v150, v89
	v_fmac_f32_e32 v203, v152, v91
	v_add_f32_e32 v78, v78, v79
	v_fma_f32 v79, v143, v83, -v80
	v_dual_mul_f32 v204, v153, v94 :: v_dual_mul_f32 v205, v155, v96
	v_dual_mul_f32 v206, v157, v98 :: v_dual_mul_f32 v207, v159, v100
	s_delay_alu instid0(VALU_DEP_4) | instskip(SKIP_1) | instid1(VALU_DEP_4)
	v_add_f32_e32 v77, v78, v77
	v_fmac_f32_e32 v4, v142, v81
	v_fmac_f32_e32 v204, v154, v93
	s_delay_alu instid0(VALU_DEP_4) | instskip(NEXT) | instid1(VALU_DEP_4)
	v_dual_fmac_f32 v206, v158, v97 :: v_dual_fmac_f32 v207, v160, v99
	v_add_f32_e32 v77, v77, v79
	s_delay_alu instid0(VALU_DEP_4) | instskip(SKIP_2) | instid1(VALU_DEP_3)
	v_dual_add_f32 v1, v1, v4 :: v_dual_mul_f32 v2, v146, v86
	v_mul_f32_e32 v4, v148, v88
	v_dual_mul_f32 v208, v161, v102 :: v_dual_mul_f32 v209, v163, v104
	v_add_f32_e32 v1, v1, v199
	s_delay_alu instid0(VALU_DEP_4) | instskip(SKIP_3) | instid1(VALU_DEP_4)
	v_fma_f32 v2, v145, v85, -v2
	v_mul_f32_e32 v78, v150, v90
	v_fma_f32 v4, v147, v87, -v4
	v_dual_mul_f32 v210, v165, v106 :: v_dual_mul_f32 v211, v167, v108
	v_dual_add_f32 v2, v77, v2 :: v_dual_mul_f32 v77, v152, v92
	v_add_f32_e32 v1, v1, v200
	v_fma_f32 v78, v149, v89, -v78
	s_delay_alu instid0(VALU_DEP_3) | instskip(NEXT) | instid1(VALU_DEP_4)
	v_dual_fmac_f32 v205, v156, v95 :: v_dual_add_f32 v2, v2, v4
	v_fma_f32 v77, v151, v91, -v77
	s_delay_alu instid0(VALU_DEP_4) | instskip(SKIP_1) | instid1(VALU_DEP_4)
	v_add_f32_e32 v1, v1, v201
	v_dual_fmac_f32 v208, v162, v101 :: v_dual_fmac_f32 v211, v168, v107
	v_add_f32_e32 v2, v2, v78
	s_delay_alu instid0(VALU_DEP_3) | instskip(SKIP_2) | instid1(VALU_DEP_3)
	v_dual_mul_f32 v78, v156, v96 :: v_dual_add_f32 v1, v1, v202
	v_mul_f32_e32 v4, v154, v94
	v_dual_mul_f32 v212, v169, v110 :: v_dual_mul_f32 v213, v171, v112
	v_fma_f32 v78, v155, v95, -v78
	s_delay_alu instid0(VALU_DEP_4) | instskip(NEXT) | instid1(VALU_DEP_4)
	v_add_f32_e32 v1, v1, v203
	v_fma_f32 v4, v153, v93, -v4
	v_add_f32_e32 v2, v2, v77
	v_mul_f32_e32 v77, v158, v98
	v_fmac_f32_e32 v209, v164, v103
	v_dual_add_f32 v1, v1, v204 :: v_dual_fmac_f32 v212, v170, v109
	s_delay_alu instid0(VALU_DEP_4) | instskip(SKIP_2) | instid1(VALU_DEP_4)
	v_add_f32_e32 v2, v2, v4
	v_mul_f32_e32 v4, v160, v100
	v_fma_f32 v77, v157, v97, -v77
	v_add_f32_e32 v1, v1, v205
	v_dual_mul_f32 v214, v173, v114 :: v_dual_mul_f32 v215, v175, v116
	v_add_f32_e32 v2, v2, v78
	v_mul_f32_e32 v78, v162, v102
	v_fma_f32 v4, v159, v99, -v4
	v_fmac_f32_e32 v210, v166, v105
	v_dual_mul_f32 v216, v177, v118 :: v_dual_mul_f32 v217, v179, v120
	v_dual_add_f32 v2, v2, v77 :: v_dual_mul_f32 v77, v164, v104
	v_add_f32_e32 v1, v1, v206
	v_fma_f32 v78, v161, v101, -v78
	v_dual_fmac_f32 v213, v172, v111 :: v_dual_mul_f32 v218, v181, v122
	v_mul_f32_e32 v219, v183, v124
	s_delay_alu instid0(VALU_DEP_4) | instskip(SKIP_3) | instid1(VALU_DEP_4)
	v_add_f32_e32 v1, v1, v207
	v_fma_f32 v77, v163, v103, -v77
	v_dual_mul_f32 v220, v185, v126 :: v_dual_mul_f32 v221, v187, v128
	v_dual_mul_f32 v222, v189, v130 :: v_dual_mul_f32 v223, v191, v132
	v_add_f32_e32 v1, v1, v208
	v_add_f32_e32 v2, v2, v4
	v_fmac_f32_e32 v214, v174, v113
	v_fmac_f32_e32 v220, v186, v125
	;; [unrolled: 1-line block ×3, first 2 shown]
	s_delay_alu instid0(VALU_DEP_4) | instskip(SKIP_2) | instid1(VALU_DEP_3)
	v_dual_add_f32 v1, v1, v209 :: v_dual_add_f32 v2, v2, v78
	v_mul_f32_e32 v78, v168, v108
	v_dual_fmac_f32 v215, v176, v115 :: v_dual_fmac_f32 v216, v178, v117
	v_dual_add_f32 v1, v1, v210 :: v_dual_add_f32 v2, v2, v77
	v_mul_f32_e32 v4, v166, v106
	v_mul_f32_e32 v77, v170, v110
	v_fma_f32 v78, v167, v107, -v78
	s_delay_alu instid0(VALU_DEP_4) | instskip(SKIP_3) | instid1(VALU_DEP_4)
	v_add_f32_e32 v1, v1, v211
	v_fmac_f32_e32 v217, v180, v119
	v_fma_f32 v4, v165, v105, -v4
	v_fma_f32 v77, v169, v109, -v77
	v_dual_fmac_f32 v222, v190, v129 :: v_dual_add_f32 v1, v1, v212
	s_delay_alu instid0(VALU_DEP_3) | instskip(SKIP_1) | instid1(VALU_DEP_3)
	v_dual_fmac_f32 v219, v184, v123 :: v_dual_add_f32 v2, v2, v4
	v_dual_fmac_f32 v224, v194, v133 :: v_dual_fmac_f32 v221, v188, v127
	v_dual_add_f32 v1, v1, v213 :: v_dual_mul_f32 v4, v172, v112
	s_delay_alu instid0(VALU_DEP_3) | instskip(SKIP_1) | instid1(VALU_DEP_3)
	v_dual_add_f32 v2, v2, v78 :: v_dual_fmac_f32 v223, v192, v131
	v_fmac_f32_e32 v225, v196, v135
	v_add_f32_e32 v1, v1, v214
	v_mul_f32_e32 v78, v174, v114
	v_fma_f32 v4, v171, v111, -v4
	v_dual_add_f32 v2, v2, v77 :: v_dual_mul_f32 v77, v176, v116
	s_delay_alu instid0(VALU_DEP_4) | instskip(NEXT) | instid1(VALU_DEP_4)
	v_add_f32_e32 v1, v1, v215
	v_fma_f32 v78, v173, v113, -v78
	s_delay_alu instid0(VALU_DEP_3) | instskip(NEXT) | instid1(VALU_DEP_3)
	v_fma_f32 v77, v175, v115, -v77
	v_add_f32_e32 v1, v1, v216
	v_add_f32_e32 v2, v2, v4
	s_delay_alu instid0(VALU_DEP_2) | instskip(NEXT) | instid1(VALU_DEP_2)
	v_dual_mul_f32 v4, v178, v118 :: v_dual_add_f32 v1, v1, v217
	v_add_f32_e32 v2, v2, v78
	v_mul_f32_e32 v78, v180, v120
	s_delay_alu instid0(VALU_DEP_3) | instskip(NEXT) | instid1(VALU_DEP_3)
	v_fma_f32 v4, v177, v117, -v4
	v_dual_add_f32 v1, v1, v218 :: v_dual_add_f32 v2, v2, v77
	v_mul_f32_e32 v77, v182, v122
	s_delay_alu instid0(VALU_DEP_4) | instskip(NEXT) | instid1(VALU_DEP_3)
	v_fma_f32 v78, v179, v119, -v78
	v_dual_add_f32 v1, v1, v219 :: v_dual_add_f32 v2, v2, v4
	s_delay_alu instid0(VALU_DEP_3) | instskip(NEXT) | instid1(VALU_DEP_2)
	v_fma_f32 v77, v181, v121, -v77
	v_add_f32_e32 v1, v1, v220
	v_mul_f32_e32 v4, v184, v124
	s_delay_alu instid0(VALU_DEP_4) | instskip(NEXT) | instid1(VALU_DEP_3)
	v_add_f32_e32 v2, v2, v78
	v_dual_mul_f32 v78, v186, v126 :: v_dual_add_f32 v1, v1, v221
	s_delay_alu instid0(VALU_DEP_3) | instskip(NEXT) | instid1(VALU_DEP_3)
	v_fma_f32 v4, v183, v123, -v4
	v_dual_add_f32 v2, v2, v77 :: v_dual_mul_f32 v77, v188, v128
	s_delay_alu instid0(VALU_DEP_3) | instskip(NEXT) | instid1(VALU_DEP_2)
	v_fma_f32 v78, v185, v125, -v78
	v_dual_add_f32 v1, v1, v222 :: v_dual_add_f32 v2, v2, v4
	s_delay_alu instid0(VALU_DEP_3) | instskip(NEXT) | instid1(VALU_DEP_2)
	v_fma_f32 v77, v187, v127, -v77
	v_dual_add_f32 v1, v1, v223 :: v_dual_mul_f32 v4, v190, v130
	s_delay_alu instid0(VALU_DEP_3) | instskip(SKIP_1) | instid1(VALU_DEP_3)
	v_add_f32_e32 v2, v2, v78
	v_mul_f32_e32 v78, v192, v132
	v_add_f32_e32 v1, v1, v224
	s_delay_alu instid0(VALU_DEP_4) | instskip(NEXT) | instid1(VALU_DEP_4)
	v_fma_f32 v4, v189, v129, -v4
	v_add_f32_e32 v2, v2, v77
	v_mul_f32_e32 v77, v194, v134
	v_fma_f32 v78, v191, v131, -v78
	s_delay_alu instid0(VALU_DEP_3) | instskip(SKIP_1) | instid1(VALU_DEP_4)
	v_add_f32_e32 v2, v2, v4
	v_mul_f32_e32 v4, v196, v136
	v_fma_f32 v77, v193, v133, -v77
	s_delay_alu instid0(VALU_DEP_3) | instskip(NEXT) | instid1(VALU_DEP_3)
	v_add_f32_e32 v2, v2, v78
	v_fma_f32 v4, v195, v135, -v4
	s_delay_alu instid0(VALU_DEP_2) | instskip(NEXT) | instid1(VALU_DEP_1)
	v_add_f32_e32 v2, v2, v77
	v_add_f32_e32 v2, v2, v4
	;; [unrolled: 1-line block ×3, first 2 shown]
	s_wait_loadcnt 0x0
	s_delay_alu instid0(VALU_DEP_1)
	v_dual_sub_f32 v1, v197, v2 :: v_dual_sub_f32 v2, v198, v4
	scratch_store_b64 off, v[1:2], off offset:40
	v_cmpx_lt_u32_e32 4, v0
	s_cbranch_execz .LBB35_221
; %bb.220:
	scratch_load_b64 v[1:2], off, off offset:32
	v_mov_b32_e32 v77, 0
	s_delay_alu instid0(VALU_DEP_1)
	v_mov_b32_e32 v78, v77
	scratch_store_b64 off, v[77:78], off offset:32
	s_wait_loadcnt 0x0
	ds_store_b64 v3, v[1:2]
.LBB35_221:
	s_wait_alu 0xfffe
	s_or_b32 exec_lo, exec_lo, s0
	s_wait_storecnt_dscnt 0x0
	s_barrier_signal -1
	s_barrier_wait -1
	global_inv scope:SCOPE_SE
	s_clause 0x10
	scratch_load_b128 v[77:80], off, off offset:40
	scratch_load_b128 v[81:84], off, off offset:56
	;; [unrolled: 1-line block ×15, first 2 shown]
	scratch_load_b64 v[197:198], off, off offset:280
	scratch_load_b64 v[199:200], off, off offset:32
	v_mov_b32_e32 v1, 0
	ds_load_2addr_b64 v[137:140], v1 offset0:41 offset1:42
	ds_load_2addr_b64 v[141:144], v1 offset0:43 offset1:44
	ds_load_2addr_b64 v[145:148], v1 offset0:45 offset1:46
	ds_load_2addr_b64 v[149:152], v1 offset0:47 offset1:48
	ds_load_2addr_b64 v[153:156], v1 offset0:49 offset1:50
	ds_load_2addr_b64 v[157:160], v1 offset0:51 offset1:52
	ds_load_2addr_b64 v[161:164], v1 offset0:53 offset1:54
	ds_load_2addr_b64 v[165:168], v1 offset0:55 offset1:56
	ds_load_2addr_b64 v[169:172], v1 offset0:57 offset1:58
	ds_load_2addr_b64 v[173:176], v1 offset0:59 offset1:60
	ds_load_2addr_b64 v[177:180], v1 offset0:61 offset1:62
	ds_load_2addr_b64 v[181:184], v1 offset0:63 offset1:64
	ds_load_2addr_b64 v[185:188], v1 offset0:65 offset1:66
	ds_load_2addr_b64 v[189:192], v1 offset0:67 offset1:68
	ds_load_2addr_b64 v[193:196], v1 offset0:69 offset1:70
	ds_load_b64 v[201:202], v1 offset:568
	s_mov_b32 s0, exec_lo
	s_wait_loadcnt_dscnt 0x100f
	v_mul_f32_e32 v2, v137, v78
	v_mul_f32_e32 v78, v138, v78
	s_wait_loadcnt_dscnt 0xf0e
	v_dual_mul_f32 v4, v139, v80 :: v_dual_mul_f32 v203, v141, v82
	v_mul_f32_e32 v80, v140, v80
	s_wait_loadcnt_dscnt 0xe0d
	v_dual_mul_f32 v204, v143, v84 :: v_dual_mul_f32 v205, v145, v86
	v_fma_f32 v78, v137, v77, -v78
	v_fmac_f32_e32 v2, v138, v77
	v_dual_mul_f32 v77, v142, v82 :: v_dual_fmac_f32 v4, v140, v79
	v_fmac_f32_e32 v203, v142, v81
	v_fma_f32 v79, v139, v79, -v80
	v_dual_add_f32 v78, 0, v78 :: v_dual_fmac_f32 v205, v146, v85
	v_mul_f32_e32 v80, v144, v84
	v_fma_f32 v77, v141, v81, -v77
	s_wait_loadcnt_dscnt 0xc0b
	v_dual_mul_f32 v208, v151, v92 :: v_dual_mul_f32 v209, v153, v94
	v_add_f32_e32 v78, v78, v79
	v_add_f32_e32 v2, 0, v2
	v_fma_f32 v79, v143, v83, -v80
	s_wait_loadcnt_dscnt 0xb0a
	v_dual_mul_f32 v210, v155, v96 :: v_dual_mul_f32 v211, v157, v98
	v_add_f32_e32 v77, v78, v77
	v_add_f32_e32 v2, v2, v4
	v_mul_f32_e32 v4, v146, v86
	v_dual_mul_f32 v78, v148, v88 :: v_dual_fmac_f32 v209, v154, v93
	s_delay_alu instid0(VALU_DEP_4) | instskip(SKIP_1) | instid1(VALU_DEP_4)
	v_add_f32_e32 v77, v77, v79
	v_mul_f32_e32 v79, v150, v90
	v_fma_f32 v4, v145, v85, -v4
	s_delay_alu instid0(VALU_DEP_4)
	v_fma_f32 v78, v147, v87, -v78
	s_wait_loadcnt_dscnt 0xa09
	v_dual_mul_f32 v212, v159, v100 :: v_dual_mul_f32 v213, v161, v102
	v_fma_f32 v79, v149, v89, -v79
	v_dual_add_f32 v4, v77, v4 :: v_dual_fmac_f32 v211, v158, v97
	v_mul_f32_e32 v77, v152, v92
	s_wait_loadcnt_dscnt 0x908
	v_dual_mul_f32 v214, v163, v104 :: v_dual_mul_f32 v215, v165, v106
	s_delay_alu instid0(VALU_DEP_3) | instskip(SKIP_3) | instid1(VALU_DEP_4)
	v_dual_add_f32 v4, v4, v78 :: v_dual_fmac_f32 v213, v162, v101
	v_mul_f32_e32 v78, v154, v94
	v_fma_f32 v77, v151, v91, -v77
	v_dual_mul_f32 v206, v147, v88 :: v_dual_mul_f32 v207, v149, v90
	v_dual_add_f32 v4, v4, v79 :: v_dual_fmac_f32 v215, v166, v105
	v_mul_f32_e32 v79, v156, v96
	v_fma_f32 v78, v153, v93, -v78
	s_wait_loadcnt_dscnt 0x706
	v_dual_mul_f32 v218, v171, v112 :: v_dual_mul_f32 v219, v173, v114
	v_add_f32_e32 v4, v4, v77
	v_dual_fmac_f32 v206, v148, v87 :: v_dual_mul_f32 v77, v158, v98
	v_fma_f32 v79, v155, v95, -v79
	s_wait_loadcnt_dscnt 0x605
	v_dual_mul_f32 v220, v175, v116 :: v_dual_mul_f32 v221, v177, v118
	v_dual_add_f32 v4, v4, v78 :: v_dual_fmac_f32 v219, v174, v113
	v_mul_f32_e32 v78, v160, v100
	v_fma_f32 v77, v157, v97, -v77
	v_fmac_f32_e32 v208, v152, v91
	s_delay_alu instid0(VALU_DEP_4)
	v_dual_add_f32 v4, v4, v79 :: v_dual_fmac_f32 v221, v178, v117
	v_mul_f32_e32 v79, v162, v102
	v_fma_f32 v78, v159, v99, -v78
	s_wait_loadcnt_dscnt 0x504
	v_dual_mul_f32 v222, v179, v120 :: v_dual_mul_f32 v223, v181, v122
	v_add_f32_e32 v4, v4, v77
	v_mul_f32_e32 v77, v164, v104
	v_fma_f32 v79, v161, v101, -v79
	s_wait_loadcnt_dscnt 0x302
	v_dual_mul_f32 v226, v187, v128 :: v_dual_mul_f32 v227, v189, v130
	v_dual_add_f32 v4, v4, v78 :: v_dual_fmac_f32 v223, v182, v121
	v_mul_f32_e32 v78, v166, v106
	v_fma_f32 v77, v163, v103, -v77
	v_add_f32_e32 v2, v2, v203
	s_delay_alu instid0(VALU_DEP_4)
	v_dual_add_f32 v4, v4, v79 :: v_dual_fmac_f32 v227, v190, v129
	v_mul_f32_e32 v79, v168, v108
	v_fma_f32 v78, v165, v105, -v78
	s_wait_loadcnt_dscnt 0x100
	v_dual_mul_f32 v230, v195, v136 :: v_dual_mul_f32 v231, v201, v198
	v_dual_add_f32 v4, v4, v77 :: v_dual_mul_f32 v77, v170, v110
	v_fma_f32 v79, v167, v107, -v79
	v_dual_fmac_f32 v204, v144, v83 :: v_dual_fmac_f32 v207, v150, v89
	s_delay_alu instid0(VALU_DEP_3) | instskip(SKIP_2) | instid1(VALU_DEP_4)
	v_dual_add_f32 v4, v4, v78 :: v_dual_fmac_f32 v231, v202, v197
	v_mul_f32_e32 v78, v172, v112
	v_fma_f32 v77, v169, v109, -v77
	v_add_f32_e32 v2, v2, v204
	s_delay_alu instid0(VALU_DEP_4) | instskip(NEXT) | instid1(VALU_DEP_4)
	v_dual_add_f32 v4, v4, v79 :: v_dual_mul_f32 v79, v174, v114
	v_fma_f32 v78, v171, v111, -v78
	v_fmac_f32_e32 v212, v160, v99
	s_delay_alu instid0(VALU_DEP_4) | instskip(NEXT) | instid1(VALU_DEP_4)
	v_add_f32_e32 v2, v2, v205
	v_add_f32_e32 v4, v4, v77
	v_mul_f32_e32 v77, v176, v116
	v_fma_f32 v79, v173, v113, -v79
	v_dual_mul_f32 v216, v167, v108 :: v_dual_mul_f32 v217, v169, v110
	s_delay_alu instid0(VALU_DEP_4)
	v_add_f32_e32 v4, v4, v78
	v_mul_f32_e32 v78, v178, v118
	v_fma_f32 v77, v175, v115, -v77
	v_add_f32_e32 v2, v2, v206
	v_dual_fmac_f32 v210, v156, v95 :: v_dual_fmac_f32 v217, v170, v109
	v_add_f32_e32 v4, v4, v79
	v_mul_f32_e32 v79, v180, v120
	v_fma_f32 v78, v177, v117, -v78
	v_add_f32_e32 v2, v2, v207
	v_dual_mul_f32 v224, v183, v124 :: v_dual_mul_f32 v225, v185, v126
	v_dual_add_f32 v4, v4, v77 :: v_dual_mul_f32 v77, v182, v122
	v_fma_f32 v79, v179, v119, -v79
	s_delay_alu instid0(VALU_DEP_3) | instskip(NEXT) | instid1(VALU_DEP_3)
	v_dual_fmac_f32 v214, v164, v103 :: v_dual_fmac_f32 v225, v186, v125
	v_add_f32_e32 v4, v4, v78
	v_mul_f32_e32 v78, v184, v124
	v_fma_f32 v77, v181, v121, -v77
	v_dual_mul_f32 v228, v191, v132 :: v_dual_mul_f32 v229, v193, v134
	s_delay_alu instid0(VALU_DEP_4) | instskip(NEXT) | instid1(VALU_DEP_4)
	v_dual_add_f32 v4, v4, v79 :: v_dual_mul_f32 v79, v186, v126
	v_fma_f32 v78, v183, v123, -v78
	s_delay_alu instid0(VALU_DEP_3) | instskip(NEXT) | instid1(VALU_DEP_3)
	v_dual_fmac_f32 v216, v168, v107 :: v_dual_fmac_f32 v229, v194, v133
	v_add_f32_e32 v4, v4, v77
	v_mul_f32_e32 v77, v188, v128
	v_fma_f32 v79, v185, v125, -v79
	v_fmac_f32_e32 v218, v172, v111
	v_fmac_f32_e32 v220, v176, v115
	v_add_f32_e32 v4, v4, v78
	v_mul_f32_e32 v78, v190, v130
	v_fma_f32 v77, v187, v127, -v77
	v_fmac_f32_e32 v222, v180, v119
	v_fmac_f32_e32 v224, v184, v123
	v_add_f32_e32 v4, v4, v79
	v_mul_f32_e32 v79, v192, v132
	v_fma_f32 v78, v189, v129, -v78
	v_add_f32_e32 v2, v2, v208
	v_fmac_f32_e32 v226, v188, v127
	v_dual_add_f32 v4, v4, v77 :: v_dual_mul_f32 v77, v194, v134
	v_fma_f32 v79, v191, v131, -v79
	v_fmac_f32_e32 v228, v192, v131
	v_fmac_f32_e32 v230, v196, v135
	s_delay_alu instid0(VALU_DEP_4) | instskip(SKIP_2) | instid1(VALU_DEP_3)
	v_add_f32_e32 v4, v4, v78
	v_mul_f32_e32 v78, v196, v136
	v_fma_f32 v77, v193, v133, -v77
	v_dual_add_f32 v4, v4, v79 :: v_dual_mul_f32 v79, v202, v198
	s_delay_alu instid0(VALU_DEP_3) | instskip(NEXT) | instid1(VALU_DEP_2)
	v_fma_f32 v78, v195, v135, -v78
	v_add_f32_e32 v4, v4, v77
	s_delay_alu instid0(VALU_DEP_3) | instskip(NEXT) | instid1(VALU_DEP_2)
	v_fma_f32 v77, v201, v197, -v79
	v_add_f32_e32 v4, v4, v78
	s_delay_alu instid0(VALU_DEP_1) | instskip(SKIP_1) | instid1(VALU_DEP_1)
	v_add_f32_e32 v4, v4, v77
	s_wait_loadcnt 0x0
	v_dual_add_f32 v2, v2, v209 :: v_dual_sub_f32 v77, v199, v4
	s_delay_alu instid0(VALU_DEP_1) | instskip(NEXT) | instid1(VALU_DEP_1)
	v_add_f32_e32 v2, v2, v210
	v_add_f32_e32 v2, v2, v211
	s_delay_alu instid0(VALU_DEP_1) | instskip(NEXT) | instid1(VALU_DEP_1)
	v_add_f32_e32 v2, v2, v212
	v_add_f32_e32 v2, v2, v213
	;; [unrolled: 3-line block ×11, first 2 shown]
	s_delay_alu instid0(VALU_DEP_1)
	v_sub_f32_e32 v78, v200, v2
	scratch_store_b64 off, v[77:78], off offset:32
	v_cmpx_lt_u32_e32 3, v0
	s_cbranch_execz .LBB35_223
; %bb.222:
	scratch_load_b64 v[77:78], off, off offset:24
	v_mov_b32_e32 v2, v1
	scratch_store_b64 off, v[1:2], off offset:24
	s_wait_loadcnt 0x0
	ds_store_b64 v3, v[77:78]
.LBB35_223:
	s_wait_alu 0xfffe
	s_or_b32 exec_lo, exec_lo, s0
	s_wait_storecnt_dscnt 0x0
	s_barrier_signal -1
	s_barrier_wait -1
	global_inv scope:SCOPE_SE
	s_clause 0x10
	scratch_load_b128 v[77:80], off, off offset:32
	scratch_load_b128 v[81:84], off, off offset:48
	;; [unrolled: 1-line block ×16, first 2 shown]
	scratch_load_b64 v[205:206], off, off offset:24
	ds_load_b128 v[141:144], v1 offset:320
	ds_load_b128 v[145:148], v1 offset:336
	;; [unrolled: 1-line block ×16, first 2 shown]
	s_mov_b32 s0, exec_lo
	s_wait_loadcnt_dscnt 0x100f
	v_dual_mul_f32 v1, v141, v78 :: v_dual_mul_f32 v2, v143, v80
	v_mul_f32_e32 v78, v142, v78
	v_mul_f32_e32 v80, v144, v80
	s_wait_loadcnt_dscnt 0xf0e
	v_dual_mul_f32 v4, v145, v82 :: v_dual_mul_f32 v207, v147, v84
	s_wait_loadcnt_dscnt 0xe0d
	v_dual_mul_f32 v208, v149, v86 :: v_dual_mul_f32 v209, v151, v88
	;; [unrolled: 2-line block ×4, first 2 shown]
	v_dual_fmac_f32 v1, v142, v77 :: v_dual_fmac_f32 v2, v144, v79
	v_dual_fmac_f32 v208, v150, v85 :: v_dual_fmac_f32 v209, v152, v87
	s_wait_loadcnt_dscnt 0x100
	v_dual_mul_f32 v234, v201, v138 :: v_dual_mul_f32 v235, v203, v140
	v_fma_f32 v78, v141, v77, -v78
	v_mul_f32_e32 v77, v146, v82
	v_fma_f32 v79, v143, v79, -v80
	v_dual_add_f32 v1, 0, v1 :: v_dual_mul_f32 v80, v148, v84
	s_delay_alu instid0(VALU_DEP_4) | instskip(NEXT) | instid1(VALU_DEP_4)
	v_dual_add_f32 v78, 0, v78 :: v_dual_fmac_f32 v207, v148, v83
	v_fma_f32 v77, v145, v81, -v77
	s_delay_alu instid0(VALU_DEP_3) | instskip(SKIP_1) | instid1(VALU_DEP_4)
	v_dual_add_f32 v1, v1, v2 :: v_dual_fmac_f32 v210, v154, v89
	v_fmac_f32_e32 v211, v156, v91
	v_add_f32_e32 v78, v78, v79
	v_fma_f32 v79, v147, v83, -v80
	v_dual_mul_f32 v214, v161, v98 :: v_dual_mul_f32 v215, v163, v100
	v_fmac_f32_e32 v212, v158, v93
	s_delay_alu instid0(VALU_DEP_4) | instskip(SKIP_1) | instid1(VALU_DEP_4)
	v_add_f32_e32 v77, v78, v77
	v_fmac_f32_e32 v4, v146, v81
	v_dual_fmac_f32 v214, v162, v97 :: v_dual_fmac_f32 v215, v164, v99
	v_dual_mul_f32 v216, v165, v102 :: v_dual_mul_f32 v217, v167, v104
	s_delay_alu instid0(VALU_DEP_4) | instskip(NEXT) | instid1(VALU_DEP_4)
	v_add_f32_e32 v77, v77, v79
	v_dual_add_f32 v1, v1, v4 :: v_dual_mul_f32 v2, v150, v86
	v_mul_f32_e32 v4, v152, v88
	v_dual_mul_f32 v218, v169, v106 :: v_dual_mul_f32 v219, v171, v108
	s_delay_alu instid0(VALU_DEP_3) | instskip(NEXT) | instid1(VALU_DEP_4)
	v_add_f32_e32 v1, v1, v207
	v_fma_f32 v2, v149, v85, -v2
	v_mul_f32_e32 v78, v154, v90
	v_fma_f32 v4, v151, v87, -v4
	v_dual_fmac_f32 v216, v166, v101 :: v_dual_fmac_f32 v219, v172, v107
	s_delay_alu instid0(VALU_DEP_4) | instskip(SKIP_2) | instid1(VALU_DEP_3)
	v_dual_add_f32 v2, v77, v2 :: v_dual_mul_f32 v77, v156, v92
	v_add_f32_e32 v1, v1, v208
	v_fma_f32 v78, v153, v89, -v78
	v_dual_fmac_f32 v213, v160, v95 :: v_dual_add_f32 v2, v2, v4
	s_delay_alu instid0(VALU_DEP_4) | instskip(NEXT) | instid1(VALU_DEP_4)
	v_fma_f32 v77, v155, v91, -v77
	v_add_f32_e32 v1, v1, v209
	v_dual_mul_f32 v220, v173, v110 :: v_dual_mul_f32 v221, v175, v112
	s_delay_alu instid0(VALU_DEP_4) | instskip(NEXT) | instid1(VALU_DEP_3)
	v_add_f32_e32 v2, v2, v78
	v_dual_mul_f32 v78, v160, v96 :: v_dual_add_f32 v1, v1, v210
	v_dual_mul_f32 v4, v158, v94 :: v_dual_fmac_f32 v217, v168, v103
	s_delay_alu instid0(VALU_DEP_4) | instskip(NEXT) | instid1(VALU_DEP_3)
	v_fmac_f32_e32 v220, v174, v109
	v_fma_f32 v78, v159, v95, -v78
	s_delay_alu instid0(VALU_DEP_4) | instskip(NEXT) | instid1(VALU_DEP_4)
	v_add_f32_e32 v1, v1, v211
	v_fma_f32 v4, v157, v93, -v4
	v_add_f32_e32 v2, v2, v77
	v_mul_f32_e32 v77, v162, v98
	v_dual_mul_f32 v222, v177, v114 :: v_dual_mul_f32 v223, v179, v116
	v_add_f32_e32 v1, v1, v212
	s_delay_alu instid0(VALU_DEP_4) | instskip(SKIP_3) | instid1(VALU_DEP_4)
	v_add_f32_e32 v2, v2, v4
	v_mul_f32_e32 v4, v164, v100
	v_fma_f32 v77, v161, v97, -v77
	v_dual_mul_f32 v224, v181, v118 :: v_dual_mul_f32 v225, v183, v120
	v_dual_add_f32 v1, v1, v213 :: v_dual_add_f32 v2, v2, v78
	v_mul_f32_e32 v78, v166, v102
	v_fma_f32 v4, v163, v99, -v4
	v_dual_fmac_f32 v218, v170, v105 :: v_dual_fmac_f32 v221, v176, v111
	s_delay_alu instid0(VALU_DEP_4) | instskip(SKIP_3) | instid1(VALU_DEP_4)
	v_dual_add_f32 v2, v2, v77 :: v_dual_mul_f32 v77, v168, v104
	v_add_f32_e32 v1, v1, v214
	v_fma_f32 v78, v165, v101, -v78
	v_dual_mul_f32 v226, v185, v122 :: v_dual_mul_f32 v227, v187, v124
	v_fma_f32 v77, v167, v103, -v77
	s_delay_alu instid0(VALU_DEP_4) | instskip(SKIP_2) | instid1(VALU_DEP_3)
	v_add_f32_e32 v1, v1, v215
	v_dual_mul_f32 v228, v189, v126 :: v_dual_mul_f32 v229, v191, v128
	v_dual_mul_f32 v230, v193, v130 :: v_dual_mul_f32 v231, v195, v132
	v_add_f32_e32 v1, v1, v216
	v_add_f32_e32 v2, v2, v4
	v_fmac_f32_e32 v222, v178, v113
	v_fmac_f32_e32 v228, v190, v125
	;; [unrolled: 1-line block ×3, first 2 shown]
	s_delay_alu instid0(VALU_DEP_4) | instskip(SKIP_2) | instid1(VALU_DEP_3)
	v_dual_add_f32 v1, v1, v217 :: v_dual_add_f32 v2, v2, v78
	v_mul_f32_e32 v78, v172, v108
	v_dual_fmac_f32 v223, v180, v115 :: v_dual_fmac_f32 v224, v182, v117
	v_dual_add_f32 v1, v1, v218 :: v_dual_add_f32 v2, v2, v77
	v_mul_f32_e32 v4, v170, v106
	v_mul_f32_e32 v77, v174, v110
	v_fma_f32 v78, v171, v107, -v78
	s_delay_alu instid0(VALU_DEP_4)
	v_add_f32_e32 v1, v1, v219
	v_fmac_f32_e32 v225, v184, v119
	v_fma_f32 v4, v169, v105, -v4
	v_fma_f32 v77, v173, v109, -v77
	v_dual_fmac_f32 v230, v194, v129 :: v_dual_fmac_f32 v235, v204, v139
	v_add_f32_e32 v1, v1, v220
	s_delay_alu instid0(VALU_DEP_4) | instskip(SKIP_1) | instid1(VALU_DEP_3)
	v_dual_add_f32 v2, v2, v4 :: v_dual_fmac_f32 v227, v188, v123
	v_dual_mul_f32 v232, v197, v134 :: v_dual_mul_f32 v233, v199, v136
	v_dual_add_f32 v1, v1, v221 :: v_dual_mul_f32 v4, v176, v112
	s_delay_alu instid0(VALU_DEP_3) | instskip(NEXT) | instid1(VALU_DEP_3)
	v_add_f32_e32 v2, v2, v78
	v_fmac_f32_e32 v232, v198, v133
	s_delay_alu instid0(VALU_DEP_3) | instskip(SKIP_3) | instid1(VALU_DEP_4)
	v_dual_fmac_f32 v234, v202, v137 :: v_dual_add_f32 v1, v1, v222
	v_mul_f32_e32 v78, v178, v114
	v_fma_f32 v4, v175, v111, -v4
	v_dual_add_f32 v2, v2, v77 :: v_dual_mul_f32 v77, v180, v116
	v_add_f32_e32 v1, v1, v223
	s_delay_alu instid0(VALU_DEP_4)
	v_fma_f32 v78, v177, v113, -v78
	v_fmac_f32_e32 v229, v192, v127
	v_fmac_f32_e32 v231, v196, v131
	v_fma_f32 v77, v179, v115, -v77
	v_add_f32_e32 v1, v1, v224
	v_add_f32_e32 v2, v2, v4
	v_dual_mul_f32 v4, v182, v118 :: v_dual_fmac_f32 v233, v200, v135
	s_delay_alu instid0(VALU_DEP_2) | instskip(SKIP_1) | instid1(VALU_DEP_3)
	v_dual_add_f32 v1, v1, v225 :: v_dual_add_f32 v2, v2, v78
	v_mul_f32_e32 v78, v184, v120
	v_fma_f32 v4, v181, v117, -v4
	s_delay_alu instid0(VALU_DEP_3) | instskip(SKIP_1) | instid1(VALU_DEP_4)
	v_dual_add_f32 v1, v1, v226 :: v_dual_add_f32 v2, v2, v77
	v_mul_f32_e32 v77, v186, v122
	v_fma_f32 v78, v183, v119, -v78
	s_delay_alu instid0(VALU_DEP_3) | instskip(NEXT) | instid1(VALU_DEP_3)
	v_dual_add_f32 v1, v1, v227 :: v_dual_add_f32 v2, v2, v4
	v_fma_f32 v77, v185, v121, -v77
	s_delay_alu instid0(VALU_DEP_2) | instskip(SKIP_1) | instid1(VALU_DEP_4)
	v_add_f32_e32 v1, v1, v228
	v_mul_f32_e32 v4, v188, v124
	v_add_f32_e32 v2, v2, v78
	s_delay_alu instid0(VALU_DEP_3) | instskip(NEXT) | instid1(VALU_DEP_3)
	v_dual_mul_f32 v78, v190, v126 :: v_dual_add_f32 v1, v1, v229
	v_fma_f32 v4, v187, v123, -v4
	s_delay_alu instid0(VALU_DEP_3) | instskip(NEXT) | instid1(VALU_DEP_3)
	v_dual_add_f32 v2, v2, v77 :: v_dual_mul_f32 v77, v192, v128
	v_fma_f32 v78, v189, v125, -v78
	s_delay_alu instid0(VALU_DEP_2) | instskip(NEXT) | instid1(VALU_DEP_3)
	v_dual_add_f32 v1, v1, v230 :: v_dual_add_f32 v2, v2, v4
	v_fma_f32 v77, v191, v127, -v77
	s_delay_alu instid0(VALU_DEP_2) | instskip(NEXT) | instid1(VALU_DEP_3)
	v_dual_add_f32 v1, v1, v231 :: v_dual_mul_f32 v4, v194, v130
	v_add_f32_e32 v2, v2, v78
	v_mul_f32_e32 v78, v196, v132
	s_delay_alu instid0(VALU_DEP_3) | instskip(NEXT) | instid1(VALU_DEP_4)
	v_add_f32_e32 v1, v1, v232
	v_fma_f32 v4, v193, v129, -v4
	s_delay_alu instid0(VALU_DEP_2) | instskip(SKIP_3) | instid1(VALU_DEP_3)
	v_add_f32_e32 v1, v1, v233
	v_add_f32_e32 v2, v2, v77
	v_mul_f32_e32 v77, v198, v134
	v_fma_f32 v78, v195, v131, -v78
	v_dual_add_f32 v1, v1, v234 :: v_dual_add_f32 v2, v2, v4
	v_mul_f32_e32 v4, v200, v136
	s_delay_alu instid0(VALU_DEP_4) | instskip(NEXT) | instid1(VALU_DEP_3)
	v_fma_f32 v77, v197, v133, -v77
	v_add_f32_e32 v2, v2, v78
	v_mul_f32_e32 v78, v202, v138
	s_delay_alu instid0(VALU_DEP_4) | instskip(NEXT) | instid1(VALU_DEP_3)
	v_fma_f32 v4, v199, v135, -v4
	v_dual_add_f32 v2, v2, v77 :: v_dual_mul_f32 v77, v204, v140
	s_delay_alu instid0(VALU_DEP_3) | instskip(NEXT) | instid1(VALU_DEP_2)
	v_fma_f32 v78, v201, v137, -v78
	v_add_f32_e32 v2, v2, v4
	s_delay_alu instid0(VALU_DEP_3) | instskip(NEXT) | instid1(VALU_DEP_2)
	v_fma_f32 v4, v203, v139, -v77
	v_add_f32_e32 v2, v2, v78
	s_delay_alu instid0(VALU_DEP_1) | instskip(SKIP_2) | instid1(VALU_DEP_1)
	v_add_f32_e32 v2, v2, v4
	v_add_f32_e32 v4, v1, v235
	s_wait_loadcnt 0x0
	v_dual_sub_f32 v1, v205, v2 :: v_dual_sub_f32 v2, v206, v4
	scratch_store_b64 off, v[1:2], off offset:24
	v_cmpx_lt_u32_e32 2, v0
	s_cbranch_execz .LBB35_225
; %bb.224:
	scratch_load_b64 v[1:2], off, off offset:16
	v_mov_b32_e32 v77, 0
	s_delay_alu instid0(VALU_DEP_1)
	v_mov_b32_e32 v78, v77
	scratch_store_b64 off, v[77:78], off offset:16
	s_wait_loadcnt 0x0
	ds_store_b64 v3, v[1:2]
.LBB35_225:
	s_wait_alu 0xfffe
	s_or_b32 exec_lo, exec_lo, s0
	s_wait_storecnt_dscnt 0x0
	s_barrier_signal -1
	s_barrier_wait -1
	global_inv scope:SCOPE_SE
	s_clause 0x11
	scratch_load_b128 v[77:80], off, off offset:24
	scratch_load_b128 v[81:84], off, off offset:40
	;; [unrolled: 1-line block ×16, first 2 shown]
	scratch_load_b64 v[205:206], off, off offset:280
	scratch_load_b64 v[207:208], off, off offset:16
	v_mov_b32_e32 v1, 0
	ds_load_2addr_b64 v[141:144], v1 offset0:39 offset1:40
	ds_load_2addr_b64 v[145:148], v1 offset0:41 offset1:42
	;; [unrolled: 1-line block ×16, first 2 shown]
	ds_load_b64 v[209:210], v1 offset:568
	s_mov_b32 s0, exec_lo
	s_wait_loadcnt_dscnt 0x1110
	v_mul_f32_e32 v2, v141, v78
	v_mul_f32_e32 v78, v142, v78
	s_wait_loadcnt_dscnt 0x100f
	v_dual_mul_f32 v4, v143, v80 :: v_dual_mul_f32 v211, v145, v82
	v_mul_f32_e32 v80, v144, v80
	s_wait_loadcnt_dscnt 0xf0e
	v_dual_mul_f32 v212, v147, v84 :: v_dual_mul_f32 v213, v149, v86
	v_fma_f32 v78, v141, v77, -v78
	v_fmac_f32_e32 v2, v142, v77
	v_dual_mul_f32 v77, v146, v82 :: v_dual_fmac_f32 v4, v144, v79
	v_fmac_f32_e32 v211, v146, v81
	v_fma_f32 v79, v143, v79, -v80
	v_dual_add_f32 v78, 0, v78 :: v_dual_fmac_f32 v213, v150, v85
	v_mul_f32_e32 v80, v148, v84
	v_fma_f32 v77, v145, v81, -v77
	s_wait_loadcnt_dscnt 0xd0c
	v_dual_mul_f32 v216, v155, v92 :: v_dual_mul_f32 v217, v157, v94
	v_add_f32_e32 v78, v78, v79
	v_add_f32_e32 v2, 0, v2
	v_fma_f32 v79, v147, v83, -v80
	s_wait_loadcnt_dscnt 0xc0b
	v_dual_mul_f32 v218, v159, v96 :: v_dual_mul_f32 v219, v161, v98
	v_add_f32_e32 v77, v78, v77
	v_add_f32_e32 v2, v2, v4
	v_mul_f32_e32 v4, v150, v86
	v_dual_mul_f32 v78, v152, v88 :: v_dual_fmac_f32 v217, v158, v93
	s_delay_alu instid0(VALU_DEP_4) | instskip(SKIP_1) | instid1(VALU_DEP_4)
	v_add_f32_e32 v77, v77, v79
	v_mul_f32_e32 v79, v154, v90
	v_fma_f32 v4, v149, v85, -v4
	s_delay_alu instid0(VALU_DEP_4)
	v_fma_f32 v78, v151, v87, -v78
	s_wait_loadcnt_dscnt 0xb0a
	v_dual_mul_f32 v220, v163, v100 :: v_dual_mul_f32 v221, v165, v102
	v_fma_f32 v79, v153, v89, -v79
	v_dual_add_f32 v4, v77, v4 :: v_dual_fmac_f32 v219, v162, v97
	v_mul_f32_e32 v77, v156, v92
	s_wait_loadcnt_dscnt 0xa09
	v_dual_mul_f32 v222, v167, v104 :: v_dual_mul_f32 v223, v169, v106
	s_delay_alu instid0(VALU_DEP_3) | instskip(SKIP_3) | instid1(VALU_DEP_4)
	v_dual_add_f32 v4, v4, v78 :: v_dual_fmac_f32 v221, v166, v101
	v_mul_f32_e32 v78, v158, v94
	v_fma_f32 v77, v155, v91, -v77
	v_dual_mul_f32 v214, v151, v88 :: v_dual_mul_f32 v215, v153, v90
	v_dual_add_f32 v4, v4, v79 :: v_dual_fmac_f32 v223, v170, v105
	v_mul_f32_e32 v79, v160, v96
	v_fma_f32 v78, v157, v93, -v78
	s_wait_loadcnt_dscnt 0x807
	v_dual_mul_f32 v226, v175, v112 :: v_dual_mul_f32 v227, v177, v114
	v_add_f32_e32 v4, v4, v77
	v_dual_fmac_f32 v214, v152, v87 :: v_dual_mul_f32 v77, v162, v98
	v_fma_f32 v79, v159, v95, -v79
	s_wait_loadcnt_dscnt 0x706
	v_dual_mul_f32 v228, v179, v116 :: v_dual_mul_f32 v229, v181, v118
	v_dual_add_f32 v4, v4, v78 :: v_dual_fmac_f32 v227, v178, v113
	v_mul_f32_e32 v78, v164, v100
	v_fma_f32 v77, v161, v97, -v77
	v_fmac_f32_e32 v216, v156, v91
	s_delay_alu instid0(VALU_DEP_4)
	v_dual_add_f32 v4, v4, v79 :: v_dual_fmac_f32 v229, v182, v117
	v_mul_f32_e32 v79, v166, v102
	v_fma_f32 v78, v163, v99, -v78
	s_wait_loadcnt_dscnt 0x605
	v_dual_mul_f32 v230, v183, v120 :: v_dual_mul_f32 v231, v185, v122
	v_add_f32_e32 v4, v4, v77
	v_mul_f32_e32 v77, v168, v104
	v_fma_f32 v79, v165, v101, -v79
	s_wait_loadcnt_dscnt 0x403
	v_dual_mul_f32 v234, v191, v128 :: v_dual_mul_f32 v235, v193, v130
	v_dual_add_f32 v4, v4, v78 :: v_dual_fmac_f32 v231, v186, v121
	v_mul_f32_e32 v78, v170, v106
	v_fma_f32 v77, v167, v103, -v77
	v_add_f32_e32 v2, v2, v211
	s_delay_alu instid0(VALU_DEP_4)
	v_dual_add_f32 v4, v4, v79 :: v_dual_fmac_f32 v235, v194, v129
	v_mul_f32_e32 v79, v172, v108
	v_fma_f32 v78, v169, v105, -v78
	s_wait_loadcnt_dscnt 0x201
	v_dual_mul_f32 v238, v199, v136 :: v_dual_mul_f32 v239, v201, v138
	v_dual_add_f32 v4, v4, v77 :: v_dual_mul_f32 v77, v174, v110
	v_fma_f32 v79, v171, v107, -v79
	s_wait_loadcnt_dscnt 0x100
	v_dual_mul_f32 v240, v203, v140 :: v_dual_mul_f32 v241, v209, v206
	s_delay_alu instid0(VALU_DEP_3) | instskip(SKIP_3) | instid1(VALU_DEP_4)
	v_dual_add_f32 v4, v4, v78 :: v_dual_fmac_f32 v239, v202, v137
	v_dual_fmac_f32 v212, v148, v83 :: v_dual_fmac_f32 v215, v154, v89
	v_mul_f32_e32 v78, v176, v112
	v_fma_f32 v77, v173, v109, -v77
	v_dual_add_f32 v4, v4, v79 :: v_dual_fmac_f32 v241, v210, v205
	s_delay_alu instid0(VALU_DEP_4) | instskip(SKIP_2) | instid1(VALU_DEP_4)
	v_add_f32_e32 v2, v2, v212
	v_mul_f32_e32 v79, v178, v114
	v_fma_f32 v78, v175, v111, -v78
	v_add_f32_e32 v4, v4, v77
	s_delay_alu instid0(VALU_DEP_4) | instskip(NEXT) | instid1(VALU_DEP_4)
	v_dual_mul_f32 v77, v180, v116 :: v_dual_add_f32 v2, v2, v213
	v_fma_f32 v79, v177, v113, -v79
	v_fmac_f32_e32 v220, v164, v99
	s_delay_alu instid0(VALU_DEP_4)
	v_add_f32_e32 v4, v4, v78
	v_mul_f32_e32 v78, v182, v118
	v_fma_f32 v77, v179, v115, -v77
	v_add_f32_e32 v2, v2, v214
	v_dual_mul_f32 v224, v171, v108 :: v_dual_mul_f32 v225, v173, v110
	v_add_f32_e32 v4, v4, v79
	v_mul_f32_e32 v79, v184, v120
	v_fma_f32 v78, v181, v117, -v78
	v_add_f32_e32 v2, v2, v215
	v_dual_fmac_f32 v218, v160, v95 :: v_dual_fmac_f32 v225, v174, v109
	v_dual_add_f32 v4, v4, v77 :: v_dual_mul_f32 v77, v186, v122
	v_fma_f32 v79, v183, v119, -v79
	v_dual_mul_f32 v232, v187, v124 :: v_dual_mul_f32 v233, v189, v126
	s_delay_alu instid0(VALU_DEP_3) | instskip(SKIP_2) | instid1(VALU_DEP_4)
	v_add_f32_e32 v4, v4, v78
	v_mul_f32_e32 v78, v188, v124
	v_fma_f32 v77, v185, v121, -v77
	v_dual_fmac_f32 v222, v168, v103 :: v_dual_fmac_f32 v233, v190, v125
	s_delay_alu instid0(VALU_DEP_4) | instskip(NEXT) | instid1(VALU_DEP_4)
	v_dual_add_f32 v4, v4, v79 :: v_dual_mul_f32 v79, v190, v126
	v_fma_f32 v78, v187, v123, -v78
	v_dual_mul_f32 v236, v195, v132 :: v_dual_mul_f32 v237, v197, v134
	s_delay_alu instid0(VALU_DEP_3) | instskip(SKIP_2) | instid1(VALU_DEP_4)
	v_add_f32_e32 v4, v4, v77
	v_mul_f32_e32 v77, v192, v128
	v_fma_f32 v79, v189, v125, -v79
	v_dual_fmac_f32 v224, v172, v107 :: v_dual_fmac_f32 v237, v198, v133
	s_delay_alu instid0(VALU_DEP_4)
	v_add_f32_e32 v4, v4, v78
	v_mul_f32_e32 v78, v194, v130
	v_fma_f32 v77, v191, v127, -v77
	v_fmac_f32_e32 v226, v176, v111
	v_fmac_f32_e32 v228, v180, v115
	v_add_f32_e32 v4, v4, v79
	v_mul_f32_e32 v79, v196, v132
	v_fma_f32 v78, v193, v129, -v78
	v_add_f32_e32 v2, v2, v216
	v_fmac_f32_e32 v230, v184, v119
	v_dual_add_f32 v4, v4, v77 :: v_dual_mul_f32 v77, v198, v134
	v_fma_f32 v79, v195, v131, -v79
	s_delay_alu instid0(VALU_DEP_4) | instskip(SKIP_1) | instid1(VALU_DEP_4)
	v_add_f32_e32 v2, v2, v217
	v_fmac_f32_e32 v232, v188, v123
	v_add_f32_e32 v4, v4, v78
	v_mul_f32_e32 v78, v200, v136
	v_fma_f32 v77, v197, v133, -v77
	v_fmac_f32_e32 v234, v192, v127
	v_fmac_f32_e32 v236, v196, v131
	v_dual_add_f32 v4, v4, v79 :: v_dual_mul_f32 v79, v202, v138
	v_fma_f32 v78, v199, v135, -v78
	v_fmac_f32_e32 v238, v200, v135
	v_fmac_f32_e32 v240, v204, v139
	s_delay_alu instid0(VALU_DEP_4) | instskip(SKIP_2) | instid1(VALU_DEP_3)
	v_add_f32_e32 v4, v4, v77
	v_mul_f32_e32 v77, v204, v140
	v_fma_f32 v79, v201, v137, -v79
	v_add_f32_e32 v4, v4, v78
	v_mul_f32_e32 v78, v210, v206
	s_delay_alu instid0(VALU_DEP_4) | instskip(NEXT) | instid1(VALU_DEP_3)
	v_fma_f32 v77, v203, v139, -v77
	v_add_f32_e32 v4, v4, v79
	s_delay_alu instid0(VALU_DEP_3) | instskip(NEXT) | instid1(VALU_DEP_2)
	v_fma_f32 v78, v209, v205, -v78
	v_add_f32_e32 v4, v4, v77
	s_delay_alu instid0(VALU_DEP_1) | instskip(SKIP_1) | instid1(VALU_DEP_1)
	v_add_f32_e32 v4, v4, v78
	s_wait_loadcnt 0x0
	v_dual_add_f32 v2, v2, v218 :: v_dual_sub_f32 v77, v207, v4
	s_delay_alu instid0(VALU_DEP_1) | instskip(NEXT) | instid1(VALU_DEP_1)
	v_add_f32_e32 v2, v2, v219
	v_add_f32_e32 v2, v2, v220
	s_delay_alu instid0(VALU_DEP_1) | instskip(NEXT) | instid1(VALU_DEP_1)
	v_add_f32_e32 v2, v2, v221
	v_add_f32_e32 v2, v2, v222
	;; [unrolled: 3-line block ×11, first 2 shown]
	s_delay_alu instid0(VALU_DEP_1) | instskip(NEXT) | instid1(VALU_DEP_1)
	v_add_f32_e32 v2, v2, v241
	v_sub_f32_e32 v78, v208, v2
	scratch_store_b64 off, v[77:78], off offset:16
	v_cmpx_lt_u32_e32 1, v0
	s_cbranch_execz .LBB35_227
; %bb.226:
	scratch_load_b64 v[77:78], off, off offset:8
	v_mov_b32_e32 v2, v1
	scratch_store_b64 off, v[1:2], off offset:8
	s_wait_loadcnt 0x0
	ds_store_b64 v3, v[77:78]
.LBB35_227:
	s_wait_alu 0xfffe
	s_or_b32 exec_lo, exec_lo, s0
	s_wait_storecnt_dscnt 0x0
	s_barrier_signal -1
	s_barrier_wait -1
	global_inv scope:SCOPE_SE
	s_clause 0x11
	scratch_load_b128 v[77:80], off, off offset:16
	scratch_load_b128 v[81:84], off, off offset:32
	;; [unrolled: 1-line block ×17, first 2 shown]
	scratch_load_b64 v[213:214], off, off offset:8
	ds_load_b128 v[145:148], v1 offset:304
	ds_load_b128 v[149:152], v1 offset:320
	;; [unrolled: 1-line block ×17, first 2 shown]
	s_mov_b32 s0, exec_lo
	s_wait_loadcnt_dscnt 0x1110
	v_dual_mul_f32 v1, v145, v78 :: v_dual_mul_f32 v2, v147, v80
	v_mul_f32_e32 v78, v146, v78
	v_mul_f32_e32 v80, v148, v80
	s_wait_loadcnt_dscnt 0x100f
	v_dual_mul_f32 v4, v149, v82 :: v_dual_mul_f32 v215, v151, v84
	s_wait_loadcnt_dscnt 0xf0e
	v_dual_mul_f32 v216, v153, v86 :: v_dual_mul_f32 v217, v155, v88
	;; [unrolled: 2-line block ×4, first 2 shown]
	v_dual_fmac_f32 v1, v146, v77 :: v_dual_fmac_f32 v2, v148, v79
	v_dual_fmac_f32 v216, v154, v85 :: v_dual_fmac_f32 v217, v156, v87
	s_wait_loadcnt_dscnt 0x100
	v_dual_mul_f32 v244, v209, v142 :: v_dual_mul_f32 v245, v211, v144
	v_fma_f32 v78, v145, v77, -v78
	v_mul_f32_e32 v77, v150, v82
	v_fma_f32 v79, v147, v79, -v80
	v_dual_add_f32 v1, 0, v1 :: v_dual_mul_f32 v80, v152, v84
	s_delay_alu instid0(VALU_DEP_4) | instskip(NEXT) | instid1(VALU_DEP_4)
	v_dual_add_f32 v78, 0, v78 :: v_dual_fmac_f32 v215, v152, v83
	v_fma_f32 v77, v149, v81, -v77
	s_delay_alu instid0(VALU_DEP_3) | instskip(SKIP_1) | instid1(VALU_DEP_4)
	v_dual_add_f32 v1, v1, v2 :: v_dual_fmac_f32 v218, v158, v89
	v_fmac_f32_e32 v219, v160, v91
	v_add_f32_e32 v78, v78, v79
	v_fma_f32 v79, v151, v83, -v80
	v_dual_mul_f32 v222, v165, v98 :: v_dual_mul_f32 v223, v167, v100
	v_fmac_f32_e32 v220, v162, v93
	s_delay_alu instid0(VALU_DEP_4) | instskip(SKIP_1) | instid1(VALU_DEP_4)
	v_add_f32_e32 v77, v78, v77
	v_fmac_f32_e32 v4, v150, v81
	v_dual_fmac_f32 v222, v166, v97 :: v_dual_fmac_f32 v223, v168, v99
	v_dual_mul_f32 v224, v169, v102 :: v_dual_mul_f32 v225, v171, v104
	s_delay_alu instid0(VALU_DEP_4) | instskip(NEXT) | instid1(VALU_DEP_4)
	v_add_f32_e32 v77, v77, v79
	v_dual_add_f32 v1, v1, v4 :: v_dual_mul_f32 v2, v154, v86
	v_mul_f32_e32 v4, v156, v88
	v_dual_mul_f32 v226, v173, v106 :: v_dual_mul_f32 v227, v175, v108
	s_delay_alu instid0(VALU_DEP_3) | instskip(NEXT) | instid1(VALU_DEP_4)
	v_add_f32_e32 v1, v1, v215
	v_fma_f32 v2, v153, v85, -v2
	v_mul_f32_e32 v78, v158, v90
	v_fma_f32 v4, v155, v87, -v4
	v_dual_fmac_f32 v224, v170, v101 :: v_dual_fmac_f32 v227, v176, v107
	s_delay_alu instid0(VALU_DEP_4) | instskip(SKIP_2) | instid1(VALU_DEP_3)
	v_dual_add_f32 v2, v77, v2 :: v_dual_mul_f32 v77, v160, v92
	v_add_f32_e32 v1, v1, v216
	v_fma_f32 v78, v157, v89, -v78
	v_dual_fmac_f32 v221, v164, v95 :: v_dual_add_f32 v2, v2, v4
	s_delay_alu instid0(VALU_DEP_4) | instskip(NEXT) | instid1(VALU_DEP_4)
	v_fma_f32 v77, v159, v91, -v77
	v_add_f32_e32 v1, v1, v217
	v_dual_mul_f32 v228, v177, v110 :: v_dual_mul_f32 v229, v179, v112
	s_delay_alu instid0(VALU_DEP_4) | instskip(NEXT) | instid1(VALU_DEP_3)
	v_add_f32_e32 v2, v2, v78
	v_dual_mul_f32 v78, v164, v96 :: v_dual_add_f32 v1, v1, v218
	v_mul_f32_e32 v4, v162, v94
	s_delay_alu instid0(VALU_DEP_4) | instskip(NEXT) | instid1(VALU_DEP_3)
	v_dual_fmac_f32 v228, v178, v109 :: v_dual_fmac_f32 v225, v172, v103
	v_fma_f32 v78, v163, v95, -v78
	s_delay_alu instid0(VALU_DEP_4) | instskip(NEXT) | instid1(VALU_DEP_4)
	v_add_f32_e32 v1, v1, v219
	v_fma_f32 v4, v161, v93, -v4
	v_add_f32_e32 v2, v2, v77
	v_mul_f32_e32 v77, v166, v98
	v_dual_mul_f32 v230, v181, v114 :: v_dual_mul_f32 v231, v183, v116
	v_add_f32_e32 v1, v1, v220
	s_delay_alu instid0(VALU_DEP_4) | instskip(SKIP_3) | instid1(VALU_DEP_4)
	v_add_f32_e32 v2, v2, v4
	v_mul_f32_e32 v4, v168, v100
	v_fma_f32 v77, v165, v97, -v77
	v_dual_mul_f32 v232, v185, v118 :: v_dual_mul_f32 v233, v187, v120
	v_dual_add_f32 v1, v1, v221 :: v_dual_add_f32 v2, v2, v78
	v_mul_f32_e32 v78, v170, v102
	v_fma_f32 v4, v167, v99, -v4
	v_fmac_f32_e32 v226, v174, v105
	v_dual_mul_f32 v234, v189, v122 :: v_dual_mul_f32 v235, v191, v124
	v_dual_add_f32 v2, v2, v77 :: v_dual_mul_f32 v77, v172, v104
	v_add_f32_e32 v1, v1, v222
	v_fma_f32 v78, v169, v101, -v78
	v_dual_fmac_f32 v229, v180, v111 :: v_dual_mul_f32 v236, v193, v126
	v_mul_f32_e32 v237, v195, v128
	s_delay_alu instid0(VALU_DEP_4) | instskip(SKIP_2) | instid1(VALU_DEP_3)
	v_add_f32_e32 v1, v1, v223
	v_fma_f32 v77, v171, v103, -v77
	v_dual_mul_f32 v238, v197, v130 :: v_dual_mul_f32 v239, v199, v132
	v_dual_fmac_f32 v236, v194, v125 :: v_dual_add_f32 v1, v1, v224
	v_add_f32_e32 v2, v2, v4
	v_fmac_f32_e32 v230, v182, v113
	v_fmac_f32_e32 v234, v190, v121
	;; [unrolled: 1-line block ×3, first 2 shown]
	s_delay_alu instid0(VALU_DEP_4) | instskip(SKIP_2) | instid1(VALU_DEP_3)
	v_dual_add_f32 v1, v1, v225 :: v_dual_add_f32 v2, v2, v78
	v_mul_f32_e32 v78, v176, v108
	v_dual_fmac_f32 v231, v184, v115 :: v_dual_mul_f32 v242, v205, v138
	v_dual_mul_f32 v243, v207, v140 :: v_dual_add_f32 v2, v2, v77
	s_delay_alu instid0(VALU_DEP_4)
	v_add_f32_e32 v1, v1, v226
	v_mul_f32_e32 v4, v174, v106
	v_mul_f32_e32 v77, v178, v110
	v_fma_f32 v78, v175, v107, -v78
	v_fmac_f32_e32 v233, v188, v119
	v_add_f32_e32 v1, v1, v227
	v_fma_f32 v4, v173, v105, -v4
	v_fma_f32 v77, v177, v109, -v77
	v_dual_fmac_f32 v238, v198, v129 :: v_dual_fmac_f32 v243, v208, v139
	s_delay_alu instid0(VALU_DEP_4) | instskip(NEXT) | instid1(VALU_DEP_4)
	v_add_f32_e32 v1, v1, v228
	v_dual_add_f32 v2, v2, v4 :: v_dual_fmac_f32 v235, v192, v123
	v_dual_mul_f32 v240, v201, v134 :: v_dual_mul_f32 v241, v203, v136
	s_delay_alu instid0(VALU_DEP_3) | instskip(NEXT) | instid1(VALU_DEP_3)
	v_dual_add_f32 v1, v1, v229 :: v_dual_mul_f32 v4, v180, v112
	v_add_f32_e32 v2, v2, v78
	s_delay_alu instid0(VALU_DEP_3) | instskip(NEXT) | instid1(VALU_DEP_3)
	v_dual_fmac_f32 v240, v202, v133 :: v_dual_fmac_f32 v245, v212, v143
	v_add_f32_e32 v1, v1, v230
	v_mul_f32_e32 v78, v182, v114
	v_fma_f32 v4, v179, v111, -v4
	v_dual_add_f32 v2, v2, v77 :: v_dual_mul_f32 v77, v184, v116
	s_delay_alu instid0(VALU_DEP_4) | instskip(NEXT) | instid1(VALU_DEP_4)
	v_add_f32_e32 v1, v1, v231
	v_fma_f32 v78, v181, v113, -v78
	v_dual_fmac_f32 v237, v196, v127 :: v_dual_fmac_f32 v242, v206, v137
	s_delay_alu instid0(VALU_DEP_4) | instskip(NEXT) | instid1(VALU_DEP_4)
	v_fma_f32 v77, v183, v115, -v77
	v_add_f32_e32 v1, v1, v232
	v_add_f32_e32 v2, v2, v4
	v_dual_mul_f32 v4, v186, v118 :: v_dual_fmac_f32 v239, v200, v131
	v_fmac_f32_e32 v244, v210, v141
	s_delay_alu instid0(VALU_DEP_3) | instskip(SKIP_1) | instid1(VALU_DEP_4)
	v_dual_add_f32 v1, v1, v233 :: v_dual_add_f32 v2, v2, v78
	v_mul_f32_e32 v78, v188, v120
	v_fma_f32 v4, v185, v117, -v4
	v_fmac_f32_e32 v241, v204, v135
	s_delay_alu instid0(VALU_DEP_4) | instskip(SKIP_2) | instid1(VALU_DEP_3)
	v_dual_add_f32 v1, v1, v234 :: v_dual_add_f32 v2, v2, v77
	v_mul_f32_e32 v77, v190, v122
	v_fma_f32 v78, v187, v119, -v78
	v_dual_add_f32 v1, v1, v235 :: v_dual_add_f32 v2, v2, v4
	s_delay_alu instid0(VALU_DEP_3) | instskip(NEXT) | instid1(VALU_DEP_2)
	v_fma_f32 v77, v189, v121, -v77
	v_add_f32_e32 v1, v1, v236
	v_mul_f32_e32 v4, v192, v124
	s_delay_alu instid0(VALU_DEP_4) | instskip(NEXT) | instid1(VALU_DEP_3)
	v_add_f32_e32 v2, v2, v78
	v_dual_mul_f32 v78, v194, v126 :: v_dual_add_f32 v1, v1, v237
	s_delay_alu instid0(VALU_DEP_3) | instskip(NEXT) | instid1(VALU_DEP_3)
	v_fma_f32 v4, v191, v123, -v4
	v_dual_add_f32 v2, v2, v77 :: v_dual_mul_f32 v77, v196, v128
	s_delay_alu instid0(VALU_DEP_3) | instskip(NEXT) | instid1(VALU_DEP_2)
	v_fma_f32 v78, v193, v125, -v78
	v_dual_add_f32 v1, v1, v238 :: v_dual_add_f32 v2, v2, v4
	s_delay_alu instid0(VALU_DEP_3) | instskip(NEXT) | instid1(VALU_DEP_2)
	v_fma_f32 v77, v195, v127, -v77
	v_dual_add_f32 v1, v1, v239 :: v_dual_mul_f32 v4, v198, v130
	s_delay_alu instid0(VALU_DEP_3) | instskip(SKIP_1) | instid1(VALU_DEP_3)
	v_add_f32_e32 v2, v2, v78
	v_mul_f32_e32 v78, v200, v132
	v_add_f32_e32 v1, v1, v240
	s_delay_alu instid0(VALU_DEP_4) | instskip(NEXT) | instid1(VALU_DEP_2)
	v_fma_f32 v4, v197, v129, -v4
	v_add_f32_e32 v1, v1, v241
	v_add_f32_e32 v2, v2, v77
	v_mul_f32_e32 v77, v202, v134
	v_fma_f32 v78, v199, v131, -v78
	s_delay_alu instid0(VALU_DEP_3) | instskip(SKIP_1) | instid1(VALU_DEP_4)
	v_dual_add_f32 v1, v1, v242 :: v_dual_add_f32 v2, v2, v4
	v_mul_f32_e32 v4, v204, v136
	v_fma_f32 v77, v201, v133, -v77
	s_delay_alu instid0(VALU_DEP_3) | instskip(SKIP_1) | instid1(VALU_DEP_4)
	v_dual_add_f32 v1, v1, v243 :: v_dual_add_f32 v2, v2, v78
	;; [unrolled: 4-line block ×3, first 2 shown]
	v_mul_f32_e32 v77, v208, v140
	v_fma_f32 v78, v205, v137, -v78
	s_delay_alu instid0(VALU_DEP_3) | instskip(SKIP_1) | instid1(VALU_DEP_4)
	v_add_f32_e32 v2, v2, v4
	v_mul_f32_e32 v4, v210, v142
	v_fma_f32 v77, v207, v139, -v77
	s_delay_alu instid0(VALU_DEP_3) | instskip(SKIP_1) | instid1(VALU_DEP_4)
	v_add_f32_e32 v2, v2, v78
	v_mul_f32_e32 v78, v212, v144
	v_fma_f32 v4, v209, v141, -v4
	s_delay_alu instid0(VALU_DEP_3) | instskip(NEXT) | instid1(VALU_DEP_3)
	v_add_f32_e32 v2, v2, v77
	v_fma_f32 v77, v211, v143, -v78
	s_delay_alu instid0(VALU_DEP_2) | instskip(SKIP_1) | instid1(VALU_DEP_2)
	v_add_f32_e32 v2, v2, v4
	v_add_f32_e32 v4, v1, v245
	;; [unrolled: 1-line block ×3, first 2 shown]
	s_wait_loadcnt 0x0
	s_delay_alu instid0(VALU_DEP_1)
	v_dual_sub_f32 v1, v213, v2 :: v_dual_sub_f32 v2, v214, v4
	scratch_store_b64 off, v[1:2], off offset:8
	v_cmpx_ne_u32_e32 0, v0
	s_cbranch_execz .LBB35_229
; %bb.228:
	scratch_load_b64 v[0:1], off, off
	v_mov_b32_e32 v77, 0
	s_delay_alu instid0(VALU_DEP_1)
	v_mov_b32_e32 v78, v77
	scratch_store_b64 off, v[77:78], off
	s_wait_loadcnt 0x0
	ds_store_b64 v3, v[0:1]
.LBB35_229:
	s_wait_alu 0xfffe
	s_or_b32 exec_lo, exec_lo, s0
	s_wait_storecnt_dscnt 0x0
	s_barrier_signal -1
	s_barrier_wait -1
	global_inv scope:SCOPE_SE
	s_clause 0x12
	scratch_load_b128 v[1:4], off, off offset:8
	scratch_load_b128 v[77:80], off, off offset:24
	;; [unrolled: 1-line block ×17, first 2 shown]
	scratch_load_b64 v[209:210], off, off offset:280
	scratch_load_b64 v[211:212], off, off
	v_mov_b32_e32 v0, 0
	ds_load_2addr_b64 v[141:144], v0 offset0:37 offset1:38
	ds_load_2addr_b64 v[145:148], v0 offset0:39 offset1:40
	;; [unrolled: 1-line block ×17, first 2 shown]
	ds_load_b64 v[213:214], v0 offset:568
	s_and_b32 vcc_lo, exec_lo, s18
	s_wait_loadcnt_dscnt 0x1211
	v_dual_mul_f32 v215, v141, v2 :: v_dual_mul_f32 v216, v143, v4
	s_wait_loadcnt_dscnt 0x1110
	v_dual_mul_f32 v217, v145, v78 :: v_dual_mul_f32 v4, v144, v4
	;; [unrolled: 2-line block ×3, first 2 shown]
	v_dual_fmac_f32 v215, v142, v1 :: v_dual_fmac_f32 v216, v144, v3
	s_delay_alu instid0(VALU_DEP_3) | instskip(SKIP_1) | instid1(VALU_DEP_4)
	v_fmac_f32_e32 v217, v146, v77
	v_fma_f32 v3, v143, v3, -v4
	v_dual_fmac_f32 v218, v148, v79 :: v_dual_fmac_f32 v219, v150, v81
	s_delay_alu instid0(VALU_DEP_4)
	v_add_f32_e32 v4, 0, v215
	v_mul_f32_e32 v2, v142, v2
	s_wait_loadcnt_dscnt 0xf0e
	v_dual_mul_f32 v220, v151, v84 :: v_dual_mul_f32 v221, v153, v86
	s_wait_loadcnt_dscnt 0xe0d
	v_dual_mul_f32 v222, v155, v88 :: v_dual_mul_f32 v223, v157, v90
	v_fma_f32 v2, v141, v1, -v2
	v_dual_mul_f32 v1, v146, v78 :: v_dual_mul_f32 v78, v148, v80
	v_dual_fmac_f32 v220, v152, v83 :: v_dual_fmac_f32 v221, v154, v85
	s_delay_alu instid0(VALU_DEP_3) | instskip(NEXT) | instid1(VALU_DEP_3)
	v_add_f32_e32 v2, 0, v2
	v_fma_f32 v1, v145, v77, -v1
	s_delay_alu instid0(VALU_DEP_4) | instskip(SKIP_1) | instid1(VALU_DEP_4)
	v_fma_f32 v77, v147, v79, -v78
	v_dual_fmac_f32 v222, v156, v87 :: v_dual_fmac_f32 v223, v158, v89
	v_add_f32_e32 v2, v2, v3
	s_wait_loadcnt_dscnt 0xd0c
	v_dual_mul_f32 v224, v159, v92 :: v_dual_mul_f32 v225, v161, v94
	s_wait_loadcnt_dscnt 0xc0b
	v_dual_mul_f32 v226, v163, v96 :: v_dual_mul_f32 v227, v165, v98
	v_add_f32_e32 v1, v2, v1
	v_add_f32_e32 v3, v4, v216
	v_dual_fmac_f32 v224, v160, v91 :: v_dual_fmac_f32 v225, v162, v93
	s_wait_loadcnt_dscnt 0xb0a
	v_dual_mul_f32 v228, v167, v100 :: v_dual_mul_f32 v229, v169, v102
	s_delay_alu instid0(VALU_DEP_3)
	v_dual_add_f32 v2, v3, v217 :: v_dual_mul_f32 v3, v152, v84
	v_add_f32_e32 v1, v1, v77
	v_dual_mul_f32 v77, v154, v86 :: v_dual_mul_f32 v230, v171, v104
	s_wait_loadcnt_dscnt 0xa09
	v_mul_f32_e32 v231, v173, v106
	v_fma_f32 v3, v151, v83, -v3
	v_mul_f32_e32 v4, v150, v82
	v_fma_f32 v77, v153, v85, -v77
	v_dual_fmac_f32 v229, v170, v101 :: v_dual_fmac_f32 v230, v172, v103
	s_wait_loadcnt_dscnt 0x908
	v_dual_mul_f32 v232, v175, v108 :: v_dual_mul_f32 v233, v177, v110
	v_fma_f32 v4, v149, v81, -v4
	v_add_f32_e32 v2, v2, v218
	s_delay_alu instid0(VALU_DEP_3) | instskip(SKIP_4) | instid1(VALU_DEP_3)
	v_dual_fmac_f32 v231, v174, v105 :: v_dual_fmac_f32 v232, v176, v107
	s_wait_loadcnt_dscnt 0x807
	v_dual_mul_f32 v234, v179, v112 :: v_dual_mul_f32 v235, v181, v114
	v_add_f32_e32 v1, v1, v4
	v_dual_mul_f32 v4, v156, v88 :: v_dual_fmac_f32 v233, v178, v109
	v_fmac_f32_e32 v234, v180, v111
	s_wait_loadcnt_dscnt 0x706
	v_dual_mul_f32 v236, v183, v116 :: v_dual_mul_f32 v237, v185, v118
	v_add_f32_e32 v1, v1, v3
	v_add_f32_e32 v2, v2, v219
	v_mul_f32_e32 v3, v158, v90
	v_fma_f32 v4, v155, v87, -v4
	s_wait_loadcnt_dscnt 0x605
	v_dual_mul_f32 v238, v187, v120 :: v_dual_mul_f32 v239, v189, v122
	v_add_f32_e32 v1, v1, v77
	v_fma_f32 v3, v157, v89, -v3
	v_mul_f32_e32 v77, v160, v92
	s_delay_alu instid0(VALU_DEP_4) | instskip(NEXT) | instid1(VALU_DEP_4)
	v_dual_fmac_f32 v235, v182, v113 :: v_dual_fmac_f32 v238, v188, v119
	v_add_f32_e32 v1, v1, v4
	v_add_f32_e32 v2, v2, v220
	v_mul_f32_e32 v4, v162, v94
	v_fma_f32 v77, v159, v91, -v77
	v_fmac_f32_e32 v226, v164, v95
	s_delay_alu instid0(VALU_DEP_4) | instskip(SKIP_3) | instid1(VALU_DEP_4)
	v_dual_add_f32 v1, v1, v3 :: v_dual_add_f32 v2, v2, v221
	v_mul_f32_e32 v3, v164, v96
	v_fma_f32 v4, v161, v93, -v4
	v_fmac_f32_e32 v227, v166, v97
	v_dual_add_f32 v1, v1, v77 :: v_dual_add_f32 v2, v2, v222
	s_delay_alu instid0(VALU_DEP_4) | instskip(SKIP_1) | instid1(VALU_DEP_3)
	v_fma_f32 v3, v163, v95, -v3
	v_dual_mul_f32 v77, v166, v98 :: v_dual_fmac_f32 v228, v168, v99
	v_dual_add_f32 v1, v1, v4 :: v_dual_add_f32 v2, v2, v223
	v_mul_f32_e32 v4, v168, v100
	s_delay_alu instid0(VALU_DEP_3) | instskip(SKIP_1) | instid1(VALU_DEP_4)
	v_fma_f32 v77, v165, v97, -v77
	v_fmac_f32_e32 v237, v186, v117
	v_dual_add_f32 v1, v1, v3 :: v_dual_add_f32 v2, v2, v224
	v_mul_f32_e32 v3, v170, v102
	v_fma_f32 v4, v167, v99, -v4
	s_wait_loadcnt_dscnt 0x504
	v_dual_mul_f32 v240, v191, v124 :: v_dual_mul_f32 v241, v193, v126
	v_add_f32_e32 v2, v2, v225
	v_add_f32_e32 v1, v1, v77
	v_mul_f32_e32 v77, v172, v104
	v_fma_f32 v3, v169, v101, -v3
	s_wait_loadcnt_dscnt 0x403
	v_dual_mul_f32 v242, v195, v128 :: v_dual_mul_f32 v243, v197, v130
	v_dual_add_f32 v2, v2, v226 :: v_dual_add_f32 v1, v1, v4
	v_mul_f32_e32 v4, v174, v106
	v_fma_f32 v77, v171, v103, -v77
	s_delay_alu instid0(VALU_DEP_4) | instskip(NEXT) | instid1(VALU_DEP_4)
	v_dual_fmac_f32 v239, v190, v121 :: v_dual_fmac_f32 v242, v196, v127
	v_add_f32_e32 v2, v2, v227
	v_add_f32_e32 v1, v1, v3
	v_mul_f32_e32 v3, v176, v108
	v_fma_f32 v4, v173, v105, -v4
	v_fmac_f32_e32 v236, v184, v115
	v_add_f32_e32 v2, v2, v228
	s_wait_loadcnt_dscnt 0x302
	v_dual_mul_f32 v244, v199, v132 :: v_dual_mul_f32 v245, v201, v134
	v_fma_f32 v3, v175, v107, -v3
	v_fmac_f32_e32 v241, v194, v125
	v_add_f32_e32 v2, v2, v229
	v_add_f32_e32 v1, v1, v77
	v_mul_f32_e32 v77, v178, v110
	v_dual_fmac_f32 v245, v202, v133 :: v_dual_mul_f32 v246, v203, v136
	s_wait_loadcnt_dscnt 0x201
	v_mul_f32_e32 v247, v205, v138
	v_dual_add_f32 v2, v2, v230 :: v_dual_add_f32 v1, v1, v4
	v_mul_f32_e32 v4, v180, v112
	v_fma_f32 v77, v177, v109, -v77
	v_dual_fmac_f32 v243, v198, v129 :: v_dual_fmac_f32 v246, v204, v135
	s_delay_alu instid0(VALU_DEP_4)
	v_add_f32_e32 v2, v2, v231
	v_add_f32_e32 v1, v1, v3
	v_mul_f32_e32 v3, v182, v114
	v_fma_f32 v4, v179, v111, -v4
	s_wait_loadcnt_dscnt 0x100
	v_dual_mul_f32 v248, v207, v140 :: v_dual_mul_f32 v249, v213, v210
	v_add_f32_e32 v2, v2, v232
	v_fma_f32 v3, v181, v113, -v3
	v_dual_fmac_f32 v240, v192, v123 :: v_dual_fmac_f32 v247, v206, v137
	s_delay_alu instid0(VALU_DEP_4) | instskip(NEXT) | instid1(VALU_DEP_4)
	v_fmac_f32_e32 v249, v214, v209
	v_add_f32_e32 v2, v2, v233
	v_add_f32_e32 v1, v1, v77
	v_mul_f32_e32 v77, v184, v116
	v_fmac_f32_e32 v244, v200, v131
	v_fmac_f32_e32 v248, v208, v139
	s_delay_alu instid0(VALU_DEP_4) | instskip(SKIP_2) | instid1(VALU_DEP_3)
	v_dual_add_f32 v2, v2, v234 :: v_dual_add_f32 v1, v1, v4
	v_mul_f32_e32 v4, v186, v118
	v_fma_f32 v77, v183, v115, -v77
	v_add_f32_e32 v2, v2, v235
	s_delay_alu instid0(VALU_DEP_4) | instskip(SKIP_2) | instid1(VALU_DEP_3)
	v_add_f32_e32 v1, v1, v3
	v_mul_f32_e32 v3, v188, v120
	v_fma_f32 v4, v185, v117, -v4
	v_dual_add_f32 v2, v2, v236 :: v_dual_add_f32 v1, v1, v77
	v_mul_f32_e32 v77, v190, v122
	s_delay_alu instid0(VALU_DEP_4) | instskip(NEXT) | instid1(VALU_DEP_3)
	v_fma_f32 v3, v187, v119, -v3
	v_add_f32_e32 v1, v1, v4
	v_mul_f32_e32 v4, v192, v124
	v_add_f32_e32 v2, v2, v237
	v_fma_f32 v77, v189, v121, -v77
	s_delay_alu instid0(VALU_DEP_3) | instskip(NEXT) | instid1(VALU_DEP_3)
	v_fma_f32 v4, v191, v123, -v4
	v_add_f32_e32 v2, v2, v238
	s_delay_alu instid0(VALU_DEP_1) | instskip(SKIP_2) | instid1(VALU_DEP_2)
	v_add_f32_e32 v2, v2, v239
	v_add_f32_e32 v1, v1, v3
	v_mul_f32_e32 v3, v194, v126
	v_dual_add_f32 v2, v2, v240 :: v_dual_add_f32 v1, v1, v77
	v_mul_f32_e32 v77, v196, v128
	s_delay_alu instid0(VALU_DEP_3) | instskip(NEXT) | instid1(VALU_DEP_3)
	v_fma_f32 v3, v193, v125, -v3
	v_dual_add_f32 v1, v1, v4 :: v_dual_mul_f32 v4, v198, v130
	s_delay_alu instid0(VALU_DEP_3) | instskip(NEXT) | instid1(VALU_DEP_2)
	v_fma_f32 v77, v195, v127, -v77
	v_add_f32_e32 v1, v1, v3
	s_delay_alu instid0(VALU_DEP_3) | instskip(NEXT) | instid1(VALU_DEP_2)
	v_fma_f32 v4, v197, v129, -v4
	v_add_f32_e32 v1, v1, v77
	v_mul_f32_e32 v77, v202, v134
	s_delay_alu instid0(VALU_DEP_2) | instskip(SKIP_2) | instid1(VALU_DEP_4)
	v_add_f32_e32 v1, v1, v4
	v_mul_f32_e32 v4, v204, v136
	v_add_f32_e32 v2, v2, v241
	v_fma_f32 v77, v201, v133, -v77
	s_delay_alu instid0(VALU_DEP_3) | instskip(NEXT) | instid1(VALU_DEP_3)
	v_fma_f32 v4, v203, v135, -v4
	v_dual_add_f32 v2, v2, v242 :: v_dual_mul_f32 v3, v200, v132
	s_delay_alu instid0(VALU_DEP_1) | instskip(NEXT) | instid1(VALU_DEP_2)
	v_add_f32_e32 v2, v2, v243
	v_fma_f32 v3, v199, v131, -v3
	s_delay_alu instid0(VALU_DEP_2) | instskip(NEXT) | instid1(VALU_DEP_1)
	v_add_f32_e32 v2, v2, v244
	v_dual_add_f32 v2, v2, v245 :: v_dual_add_f32 v1, v1, v3
	v_mul_f32_e32 v3, v206, v138
	s_delay_alu instid0(VALU_DEP_2) | instskip(SKIP_1) | instid1(VALU_DEP_3)
	v_dual_add_f32 v2, v2, v246 :: v_dual_add_f32 v1, v1, v77
	v_mul_f32_e32 v77, v208, v140
	v_fma_f32 v3, v205, v137, -v3
	s_delay_alu instid0(VALU_DEP_3) | instskip(NEXT) | instid1(VALU_DEP_3)
	v_add_f32_e32 v2, v2, v247
	v_fma_f32 v77, v207, v139, -v77
	s_delay_alu instid0(VALU_DEP_2) | instskip(SKIP_1) | instid1(VALU_DEP_1)
	v_add_f32_e32 v2, v2, v248
	v_dual_add_f32 v1, v1, v4 :: v_dual_mul_f32 v4, v214, v210
	v_dual_add_f32 v2, v2, v249 :: v_dual_add_f32 v1, v1, v3
	s_delay_alu instid0(VALU_DEP_2) | instskip(SKIP_1) | instid1(VALU_DEP_2)
	v_fma_f32 v3, v213, v209, -v4
	s_wait_loadcnt 0x0
	v_dual_sub_f32 v2, v212, v2 :: v_dual_add_f32 v1, v1, v77
	s_delay_alu instid0(VALU_DEP_1) | instskip(NEXT) | instid1(VALU_DEP_1)
	v_add_f32_e32 v1, v1, v3
	v_sub_f32_e32 v1, v211, v1
	scratch_store_b64 off, v[1:2], off
	s_wait_alu 0xfffe
	s_cbranch_vccz .LBB35_300
; %bb.230:
	global_load_b32 v0, v0, s[2:3] offset:136
	s_wait_loadcnt 0x0
	v_cmp_ne_u32_e32 vcc_lo, 35, v0
	s_cbranch_vccz .LBB35_232
; %bb.231:
	v_lshlrev_b32_e32 v0, 3, v0
	s_delay_alu instid0(VALU_DEP_1)
	v_mov_b32_e32 v4, v0
	scratch_load_b64 v[0:1], v4, off offset:-8
	scratch_load_b64 v[2:3], off, off offset:272
	s_wait_loadcnt 0x1
	scratch_store_b64 off, v[0:1], off offset:272
	s_wait_loadcnt 0x0
	scratch_store_b64 v4, v[2:3], off offset:-8
.LBB35_232:
	v_mov_b32_e32 v0, 0
	global_load_b32 v1, v0, s[2:3] offset:132
	s_wait_loadcnt 0x0
	v_cmp_eq_u32_e32 vcc_lo, 34, v1
	s_cbranch_vccnz .LBB35_234
; %bb.233:
	v_lshlrev_b32_e32 v1, 3, v1
	s_delay_alu instid0(VALU_DEP_1)
	v_mov_b32_e32 v77, v1
	scratch_load_b64 v[1:2], v77, off offset:-8
	scratch_load_b64 v[3:4], off, off offset:264
	s_wait_loadcnt 0x1
	scratch_store_b64 off, v[1:2], off offset:264
	s_wait_loadcnt 0x0
	scratch_store_b64 v77, v[3:4], off offset:-8
.LBB35_234:
	global_load_b32 v0, v0, s[2:3] offset:128
	s_wait_loadcnt 0x0
	v_cmp_eq_u32_e32 vcc_lo, 33, v0
	s_cbranch_vccnz .LBB35_236
; %bb.235:
	v_lshlrev_b32_e32 v0, 3, v0
	s_delay_alu instid0(VALU_DEP_1)
	v_mov_b32_e32 v4, v0
	scratch_load_b64 v[0:1], v4, off offset:-8
	scratch_load_b64 v[2:3], off, off offset:256
	s_wait_loadcnt 0x1
	scratch_store_b64 off, v[0:1], off offset:256
	s_wait_loadcnt 0x0
	scratch_store_b64 v4, v[2:3], off offset:-8
.LBB35_236:
	v_mov_b32_e32 v0, 0
	global_load_b32 v1, v0, s[2:3] offset:124
	s_wait_loadcnt 0x0
	v_cmp_eq_u32_e32 vcc_lo, 32, v1
	s_cbranch_vccnz .LBB35_238
; %bb.237:
	v_lshlrev_b32_e32 v1, 3, v1
	s_delay_alu instid0(VALU_DEP_1)
	v_mov_b32_e32 v77, v1
	scratch_load_b64 v[1:2], v77, off offset:-8
	scratch_load_b64 v[3:4], off, off offset:248
	s_wait_loadcnt 0x1
	scratch_store_b64 off, v[1:2], off offset:248
	s_wait_loadcnt 0x0
	scratch_store_b64 v77, v[3:4], off offset:-8
.LBB35_238:
	global_load_b32 v0, v0, s[2:3] offset:120
	s_wait_loadcnt 0x0
	v_cmp_eq_u32_e32 vcc_lo, 31, v0
	s_cbranch_vccnz .LBB35_240
; %bb.239:
	v_lshlrev_b32_e32 v0, 3, v0
	s_delay_alu instid0(VALU_DEP_1)
	v_mov_b32_e32 v4, v0
	scratch_load_b64 v[0:1], v4, off offset:-8
	scratch_load_b64 v[2:3], off, off offset:240
	s_wait_loadcnt 0x1
	scratch_store_b64 off, v[0:1], off offset:240
	s_wait_loadcnt 0x0
	scratch_store_b64 v4, v[2:3], off offset:-8
.LBB35_240:
	v_mov_b32_e32 v0, 0
	global_load_b32 v1, v0, s[2:3] offset:116
	s_wait_loadcnt 0x0
	v_cmp_eq_u32_e32 vcc_lo, 30, v1
	s_cbranch_vccnz .LBB35_242
; %bb.241:
	v_lshlrev_b32_e32 v1, 3, v1
	s_delay_alu instid0(VALU_DEP_1)
	v_mov_b32_e32 v77, v1
	scratch_load_b64 v[1:2], v77, off offset:-8
	scratch_load_b64 v[3:4], off, off offset:232
	s_wait_loadcnt 0x1
	scratch_store_b64 off, v[1:2], off offset:232
	s_wait_loadcnt 0x0
	scratch_store_b64 v77, v[3:4], off offset:-8
.LBB35_242:
	global_load_b32 v0, v0, s[2:3] offset:112
	s_wait_loadcnt 0x0
	v_cmp_eq_u32_e32 vcc_lo, 29, v0
	s_cbranch_vccnz .LBB35_244
; %bb.243:
	v_lshlrev_b32_e32 v0, 3, v0
	s_delay_alu instid0(VALU_DEP_1)
	v_mov_b32_e32 v4, v0
	scratch_load_b64 v[0:1], v4, off offset:-8
	scratch_load_b64 v[2:3], off, off offset:224
	s_wait_loadcnt 0x1
	scratch_store_b64 off, v[0:1], off offset:224
	s_wait_loadcnt 0x0
	scratch_store_b64 v4, v[2:3], off offset:-8
.LBB35_244:
	v_mov_b32_e32 v0, 0
	global_load_b32 v1, v0, s[2:3] offset:108
	s_wait_loadcnt 0x0
	v_cmp_eq_u32_e32 vcc_lo, 28, v1
	s_cbranch_vccnz .LBB35_246
; %bb.245:
	v_lshlrev_b32_e32 v1, 3, v1
	s_delay_alu instid0(VALU_DEP_1)
	v_mov_b32_e32 v77, v1
	scratch_load_b64 v[1:2], v77, off offset:-8
	scratch_load_b64 v[3:4], off, off offset:216
	s_wait_loadcnt 0x1
	scratch_store_b64 off, v[1:2], off offset:216
	s_wait_loadcnt 0x0
	scratch_store_b64 v77, v[3:4], off offset:-8
.LBB35_246:
	global_load_b32 v0, v0, s[2:3] offset:104
	s_wait_loadcnt 0x0
	v_cmp_eq_u32_e32 vcc_lo, 27, v0
	s_cbranch_vccnz .LBB35_248
; %bb.247:
	v_lshlrev_b32_e32 v0, 3, v0
	s_delay_alu instid0(VALU_DEP_1)
	v_mov_b32_e32 v4, v0
	scratch_load_b64 v[0:1], v4, off offset:-8
	scratch_load_b64 v[2:3], off, off offset:208
	s_wait_loadcnt 0x1
	scratch_store_b64 off, v[0:1], off offset:208
	s_wait_loadcnt 0x0
	scratch_store_b64 v4, v[2:3], off offset:-8
.LBB35_248:
	v_mov_b32_e32 v0, 0
	global_load_b32 v1, v0, s[2:3] offset:100
	s_wait_loadcnt 0x0
	v_cmp_eq_u32_e32 vcc_lo, 26, v1
	s_cbranch_vccnz .LBB35_250
; %bb.249:
	v_lshlrev_b32_e32 v1, 3, v1
	s_delay_alu instid0(VALU_DEP_1)
	v_mov_b32_e32 v77, v1
	scratch_load_b64 v[1:2], v77, off offset:-8
	scratch_load_b64 v[3:4], off, off offset:200
	s_wait_loadcnt 0x1
	scratch_store_b64 off, v[1:2], off offset:200
	s_wait_loadcnt 0x0
	scratch_store_b64 v77, v[3:4], off offset:-8
.LBB35_250:
	global_load_b32 v0, v0, s[2:3] offset:96
	s_wait_loadcnt 0x0
	v_cmp_eq_u32_e32 vcc_lo, 25, v0
	s_cbranch_vccnz .LBB35_252
; %bb.251:
	v_lshlrev_b32_e32 v0, 3, v0
	s_delay_alu instid0(VALU_DEP_1)
	v_mov_b32_e32 v4, v0
	scratch_load_b64 v[0:1], v4, off offset:-8
	scratch_load_b64 v[2:3], off, off offset:192
	s_wait_loadcnt 0x1
	scratch_store_b64 off, v[0:1], off offset:192
	s_wait_loadcnt 0x0
	scratch_store_b64 v4, v[2:3], off offset:-8
.LBB35_252:
	v_mov_b32_e32 v0, 0
	global_load_b32 v1, v0, s[2:3] offset:92
	s_wait_loadcnt 0x0
	v_cmp_eq_u32_e32 vcc_lo, 24, v1
	s_cbranch_vccnz .LBB35_254
; %bb.253:
	v_lshlrev_b32_e32 v1, 3, v1
	s_delay_alu instid0(VALU_DEP_1)
	v_mov_b32_e32 v77, v1
	scratch_load_b64 v[1:2], v77, off offset:-8
	scratch_load_b64 v[3:4], off, off offset:184
	s_wait_loadcnt 0x1
	scratch_store_b64 off, v[1:2], off offset:184
	s_wait_loadcnt 0x0
	scratch_store_b64 v77, v[3:4], off offset:-8
.LBB35_254:
	global_load_b32 v0, v0, s[2:3] offset:88
	s_wait_loadcnt 0x0
	v_cmp_eq_u32_e32 vcc_lo, 23, v0
	s_cbranch_vccnz .LBB35_256
; %bb.255:
	v_lshlrev_b32_e32 v0, 3, v0
	s_delay_alu instid0(VALU_DEP_1)
	v_mov_b32_e32 v4, v0
	scratch_load_b64 v[0:1], v4, off offset:-8
	scratch_load_b64 v[2:3], off, off offset:176
	s_wait_loadcnt 0x1
	scratch_store_b64 off, v[0:1], off offset:176
	s_wait_loadcnt 0x0
	scratch_store_b64 v4, v[2:3], off offset:-8
.LBB35_256:
	v_mov_b32_e32 v0, 0
	global_load_b32 v1, v0, s[2:3] offset:84
	s_wait_loadcnt 0x0
	v_cmp_eq_u32_e32 vcc_lo, 22, v1
	s_cbranch_vccnz .LBB35_258
; %bb.257:
	v_lshlrev_b32_e32 v1, 3, v1
	s_delay_alu instid0(VALU_DEP_1)
	v_mov_b32_e32 v77, v1
	scratch_load_b64 v[1:2], v77, off offset:-8
	scratch_load_b64 v[3:4], off, off offset:168
	s_wait_loadcnt 0x1
	scratch_store_b64 off, v[1:2], off offset:168
	s_wait_loadcnt 0x0
	scratch_store_b64 v77, v[3:4], off offset:-8
.LBB35_258:
	global_load_b32 v0, v0, s[2:3] offset:80
	s_wait_loadcnt 0x0
	v_cmp_eq_u32_e32 vcc_lo, 21, v0
	s_cbranch_vccnz .LBB35_260
; %bb.259:
	v_lshlrev_b32_e32 v0, 3, v0
	s_delay_alu instid0(VALU_DEP_1)
	v_mov_b32_e32 v4, v0
	scratch_load_b64 v[0:1], v4, off offset:-8
	scratch_load_b64 v[2:3], off, off offset:160
	s_wait_loadcnt 0x1
	scratch_store_b64 off, v[0:1], off offset:160
	s_wait_loadcnt 0x0
	scratch_store_b64 v4, v[2:3], off offset:-8
.LBB35_260:
	v_mov_b32_e32 v0, 0
	global_load_b32 v1, v0, s[2:3] offset:76
	s_wait_loadcnt 0x0
	v_cmp_eq_u32_e32 vcc_lo, 20, v1
	s_cbranch_vccnz .LBB35_262
; %bb.261:
	v_lshlrev_b32_e32 v1, 3, v1
	s_delay_alu instid0(VALU_DEP_1)
	v_mov_b32_e32 v77, v1
	scratch_load_b64 v[1:2], v77, off offset:-8
	scratch_load_b64 v[3:4], off, off offset:152
	s_wait_loadcnt 0x1
	scratch_store_b64 off, v[1:2], off offset:152
	s_wait_loadcnt 0x0
	scratch_store_b64 v77, v[3:4], off offset:-8
.LBB35_262:
	global_load_b32 v0, v0, s[2:3] offset:72
	s_wait_loadcnt 0x0
	v_cmp_eq_u32_e32 vcc_lo, 19, v0
	s_cbranch_vccnz .LBB35_264
; %bb.263:
	v_lshlrev_b32_e32 v0, 3, v0
	s_delay_alu instid0(VALU_DEP_1)
	v_mov_b32_e32 v4, v0
	scratch_load_b64 v[0:1], v4, off offset:-8
	scratch_load_b64 v[2:3], off, off offset:144
	s_wait_loadcnt 0x1
	scratch_store_b64 off, v[0:1], off offset:144
	s_wait_loadcnt 0x0
	scratch_store_b64 v4, v[2:3], off offset:-8
.LBB35_264:
	v_mov_b32_e32 v0, 0
	global_load_b32 v1, v0, s[2:3] offset:68
	s_wait_loadcnt 0x0
	v_cmp_eq_u32_e32 vcc_lo, 18, v1
	s_cbranch_vccnz .LBB35_266
; %bb.265:
	v_lshlrev_b32_e32 v1, 3, v1
	s_delay_alu instid0(VALU_DEP_1)
	v_mov_b32_e32 v77, v1
	scratch_load_b64 v[1:2], v77, off offset:-8
	scratch_load_b64 v[3:4], off, off offset:136
	s_wait_loadcnt 0x1
	scratch_store_b64 off, v[1:2], off offset:136
	s_wait_loadcnt 0x0
	scratch_store_b64 v77, v[3:4], off offset:-8
.LBB35_266:
	global_load_b32 v0, v0, s[2:3] offset:64
	s_wait_loadcnt 0x0
	v_cmp_eq_u32_e32 vcc_lo, 17, v0
	s_cbranch_vccnz .LBB35_268
; %bb.267:
	v_lshlrev_b32_e32 v0, 3, v0
	s_delay_alu instid0(VALU_DEP_1)
	v_mov_b32_e32 v4, v0
	scratch_load_b64 v[0:1], v4, off offset:-8
	scratch_load_b64 v[2:3], off, off offset:128
	s_wait_loadcnt 0x1
	scratch_store_b64 off, v[0:1], off offset:128
	s_wait_loadcnt 0x0
	scratch_store_b64 v4, v[2:3], off offset:-8
.LBB35_268:
	v_mov_b32_e32 v0, 0
	global_load_b32 v1, v0, s[2:3] offset:60
	s_wait_loadcnt 0x0
	v_cmp_eq_u32_e32 vcc_lo, 16, v1
	s_cbranch_vccnz .LBB35_270
; %bb.269:
	v_lshlrev_b32_e32 v1, 3, v1
	s_delay_alu instid0(VALU_DEP_1)
	v_mov_b32_e32 v77, v1
	scratch_load_b64 v[1:2], v77, off offset:-8
	scratch_load_b64 v[3:4], off, off offset:120
	s_wait_loadcnt 0x1
	scratch_store_b64 off, v[1:2], off offset:120
	s_wait_loadcnt 0x0
	scratch_store_b64 v77, v[3:4], off offset:-8
.LBB35_270:
	global_load_b32 v0, v0, s[2:3] offset:56
	s_wait_loadcnt 0x0
	v_cmp_eq_u32_e32 vcc_lo, 15, v0
	s_cbranch_vccnz .LBB35_272
; %bb.271:
	v_lshlrev_b32_e32 v0, 3, v0
	s_delay_alu instid0(VALU_DEP_1)
	v_mov_b32_e32 v4, v0
	scratch_load_b64 v[0:1], v4, off offset:-8
	scratch_load_b64 v[2:3], off, off offset:112
	s_wait_loadcnt 0x1
	scratch_store_b64 off, v[0:1], off offset:112
	s_wait_loadcnt 0x0
	scratch_store_b64 v4, v[2:3], off offset:-8
.LBB35_272:
	v_mov_b32_e32 v0, 0
	global_load_b32 v1, v0, s[2:3] offset:52
	s_wait_loadcnt 0x0
	v_cmp_eq_u32_e32 vcc_lo, 14, v1
	s_cbranch_vccnz .LBB35_274
; %bb.273:
	v_lshlrev_b32_e32 v1, 3, v1
	s_delay_alu instid0(VALU_DEP_1)
	v_mov_b32_e32 v77, v1
	scratch_load_b64 v[1:2], v77, off offset:-8
	scratch_load_b64 v[3:4], off, off offset:104
	s_wait_loadcnt 0x1
	scratch_store_b64 off, v[1:2], off offset:104
	s_wait_loadcnt 0x0
	scratch_store_b64 v77, v[3:4], off offset:-8
.LBB35_274:
	global_load_b32 v0, v0, s[2:3] offset:48
	s_wait_loadcnt 0x0
	v_cmp_eq_u32_e32 vcc_lo, 13, v0
	s_cbranch_vccnz .LBB35_276
; %bb.275:
	v_lshlrev_b32_e32 v0, 3, v0
	s_delay_alu instid0(VALU_DEP_1)
	v_mov_b32_e32 v4, v0
	scratch_load_b64 v[0:1], v4, off offset:-8
	scratch_load_b64 v[2:3], off, off offset:96
	s_wait_loadcnt 0x1
	scratch_store_b64 off, v[0:1], off offset:96
	s_wait_loadcnt 0x0
	scratch_store_b64 v4, v[2:3], off offset:-8
.LBB35_276:
	v_mov_b32_e32 v0, 0
	global_load_b32 v1, v0, s[2:3] offset:44
	s_wait_loadcnt 0x0
	v_cmp_eq_u32_e32 vcc_lo, 12, v1
	s_cbranch_vccnz .LBB35_278
; %bb.277:
	v_lshlrev_b32_e32 v1, 3, v1
	s_delay_alu instid0(VALU_DEP_1)
	v_mov_b32_e32 v77, v1
	scratch_load_b64 v[1:2], v77, off offset:-8
	scratch_load_b64 v[3:4], off, off offset:88
	s_wait_loadcnt 0x1
	scratch_store_b64 off, v[1:2], off offset:88
	s_wait_loadcnt 0x0
	scratch_store_b64 v77, v[3:4], off offset:-8
.LBB35_278:
	global_load_b32 v0, v0, s[2:3] offset:40
	s_wait_loadcnt 0x0
	v_cmp_eq_u32_e32 vcc_lo, 11, v0
	s_cbranch_vccnz .LBB35_280
; %bb.279:
	v_lshlrev_b32_e32 v0, 3, v0
	s_delay_alu instid0(VALU_DEP_1)
	v_mov_b32_e32 v4, v0
	scratch_load_b64 v[0:1], v4, off offset:-8
	scratch_load_b64 v[2:3], off, off offset:80
	s_wait_loadcnt 0x1
	scratch_store_b64 off, v[0:1], off offset:80
	s_wait_loadcnt 0x0
	scratch_store_b64 v4, v[2:3], off offset:-8
.LBB35_280:
	v_mov_b32_e32 v0, 0
	global_load_b32 v1, v0, s[2:3] offset:36
	s_wait_loadcnt 0x0
	v_cmp_eq_u32_e32 vcc_lo, 10, v1
	s_cbranch_vccnz .LBB35_282
; %bb.281:
	v_lshlrev_b32_e32 v1, 3, v1
	s_delay_alu instid0(VALU_DEP_1)
	v_mov_b32_e32 v77, v1
	scratch_load_b64 v[1:2], v77, off offset:-8
	scratch_load_b64 v[3:4], off, off offset:72
	s_wait_loadcnt 0x1
	scratch_store_b64 off, v[1:2], off offset:72
	s_wait_loadcnt 0x0
	scratch_store_b64 v77, v[3:4], off offset:-8
.LBB35_282:
	global_load_b32 v0, v0, s[2:3] offset:32
	s_wait_loadcnt 0x0
	v_cmp_eq_u32_e32 vcc_lo, 9, v0
	s_cbranch_vccnz .LBB35_284
; %bb.283:
	v_lshlrev_b32_e32 v0, 3, v0
	s_delay_alu instid0(VALU_DEP_1)
	v_mov_b32_e32 v4, v0
	scratch_load_b64 v[0:1], v4, off offset:-8
	scratch_load_b64 v[2:3], off, off offset:64
	s_wait_loadcnt 0x1
	scratch_store_b64 off, v[0:1], off offset:64
	s_wait_loadcnt 0x0
	scratch_store_b64 v4, v[2:3], off offset:-8
.LBB35_284:
	v_mov_b32_e32 v0, 0
	global_load_b32 v1, v0, s[2:3] offset:28
	s_wait_loadcnt 0x0
	v_cmp_eq_u32_e32 vcc_lo, 8, v1
	s_cbranch_vccnz .LBB35_286
; %bb.285:
	v_lshlrev_b32_e32 v1, 3, v1
	s_delay_alu instid0(VALU_DEP_1)
	v_mov_b32_e32 v77, v1
	scratch_load_b64 v[1:2], v77, off offset:-8
	scratch_load_b64 v[3:4], off, off offset:56
	s_wait_loadcnt 0x1
	scratch_store_b64 off, v[1:2], off offset:56
	s_wait_loadcnt 0x0
	scratch_store_b64 v77, v[3:4], off offset:-8
.LBB35_286:
	global_load_b32 v0, v0, s[2:3] offset:24
	s_wait_loadcnt 0x0
	v_cmp_eq_u32_e32 vcc_lo, 7, v0
	s_cbranch_vccnz .LBB35_288
; %bb.287:
	v_lshlrev_b32_e32 v0, 3, v0
	s_delay_alu instid0(VALU_DEP_1)
	v_mov_b32_e32 v4, v0
	scratch_load_b64 v[0:1], v4, off offset:-8
	scratch_load_b64 v[2:3], off, off offset:48
	s_wait_loadcnt 0x1
	scratch_store_b64 off, v[0:1], off offset:48
	s_wait_loadcnt 0x0
	scratch_store_b64 v4, v[2:3], off offset:-8
.LBB35_288:
	v_mov_b32_e32 v0, 0
	global_load_b32 v1, v0, s[2:3] offset:20
	s_wait_loadcnt 0x0
	v_cmp_eq_u32_e32 vcc_lo, 6, v1
	s_cbranch_vccnz .LBB35_290
; %bb.289:
	v_lshlrev_b32_e32 v1, 3, v1
	s_delay_alu instid0(VALU_DEP_1)
	v_mov_b32_e32 v77, v1
	scratch_load_b64 v[1:2], v77, off offset:-8
	scratch_load_b64 v[3:4], off, off offset:40
	s_wait_loadcnt 0x1
	scratch_store_b64 off, v[1:2], off offset:40
	s_wait_loadcnt 0x0
	scratch_store_b64 v77, v[3:4], off offset:-8
.LBB35_290:
	global_load_b32 v0, v0, s[2:3] offset:16
	s_wait_loadcnt 0x0
	v_cmp_eq_u32_e32 vcc_lo, 5, v0
	s_cbranch_vccnz .LBB35_292
; %bb.291:
	v_lshlrev_b32_e32 v0, 3, v0
	s_delay_alu instid0(VALU_DEP_1)
	v_mov_b32_e32 v4, v0
	scratch_load_b64 v[0:1], v4, off offset:-8
	scratch_load_b64 v[2:3], off, off offset:32
	s_wait_loadcnt 0x1
	scratch_store_b64 off, v[0:1], off offset:32
	s_wait_loadcnt 0x0
	scratch_store_b64 v4, v[2:3], off offset:-8
.LBB35_292:
	v_mov_b32_e32 v0, 0
	global_load_b32 v1, v0, s[2:3] offset:12
	s_wait_loadcnt 0x0
	v_cmp_eq_u32_e32 vcc_lo, 4, v1
	s_cbranch_vccnz .LBB35_294
; %bb.293:
	v_lshlrev_b32_e32 v1, 3, v1
	s_delay_alu instid0(VALU_DEP_1)
	v_mov_b32_e32 v77, v1
	scratch_load_b64 v[1:2], v77, off offset:-8
	scratch_load_b64 v[3:4], off, off offset:24
	s_wait_loadcnt 0x1
	scratch_store_b64 off, v[1:2], off offset:24
	s_wait_loadcnt 0x0
	scratch_store_b64 v77, v[3:4], off offset:-8
.LBB35_294:
	global_load_b32 v0, v0, s[2:3] offset:8
	s_wait_loadcnt 0x0
	v_cmp_eq_u32_e32 vcc_lo, 3, v0
	s_cbranch_vccnz .LBB35_296
; %bb.295:
	v_lshlrev_b32_e32 v0, 3, v0
	s_delay_alu instid0(VALU_DEP_1)
	v_mov_b32_e32 v4, v0
	scratch_load_b64 v[0:1], v4, off offset:-8
	scratch_load_b64 v[2:3], off, off offset:16
	s_wait_loadcnt 0x1
	scratch_store_b64 off, v[0:1], off offset:16
	s_wait_loadcnt 0x0
	scratch_store_b64 v4, v[2:3], off offset:-8
.LBB35_296:
	v_mov_b32_e32 v0, 0
	global_load_b32 v1, v0, s[2:3] offset:4
	s_wait_loadcnt 0x0
	v_cmp_eq_u32_e32 vcc_lo, 2, v1
	s_cbranch_vccnz .LBB35_298
; %bb.297:
	v_lshlrev_b32_e32 v1, 3, v1
	s_delay_alu instid0(VALU_DEP_1)
	v_mov_b32_e32 v77, v1
	scratch_load_b64 v[1:2], v77, off offset:-8
	scratch_load_b64 v[3:4], off, off offset:8
	s_wait_loadcnt 0x1
	scratch_store_b64 off, v[1:2], off offset:8
	s_wait_loadcnt 0x0
	scratch_store_b64 v77, v[3:4], off offset:-8
.LBB35_298:
	global_load_b32 v0, v0, s[2:3]
	s_wait_loadcnt 0x0
	v_cmp_eq_u32_e32 vcc_lo, 1, v0
	s_cbranch_vccnz .LBB35_300
; %bb.299:
	v_lshlrev_b32_e32 v0, 3, v0
	s_delay_alu instid0(VALU_DEP_1)
	v_mov_b32_e32 v4, v0
	scratch_load_b64 v[0:1], v4, off offset:-8
	scratch_load_b64 v[2:3], off, off
	s_wait_loadcnt 0x1
	scratch_store_b64 off, v[0:1], off
	s_wait_loadcnt 0x0
	scratch_store_b64 v4, v[2:3], off offset:-8
.LBB35_300:
	s_clause 0x11
	scratch_load_b128 v[0:3], off, off
	scratch_load_b128 v[77:80], off, off offset:16
	scratch_load_b128 v[81:84], off, off offset:32
	;; [unrolled: 1-line block ×17, first 2 shown]
	s_wait_loadcnt 0x11
	s_clause 0x1
	global_store_b64 v[5:6], v[0:1], off
	global_store_b64 v[7:8], v[2:3], off
	s_wait_loadcnt 0x10
	s_clause 0x1
	global_store_b64 v[9:10], v[77:78], off
	global_store_b64 v[11:12], v[79:80], off
	;; [unrolled: 4-line block ×18, first 2 shown]
	s_nop 0
	s_sendmsg sendmsg(MSG_DEALLOC_VGPRS)
	s_endpgm
	.section	.rodata,"a",@progbits
	.p2align	6, 0x0
	.amdhsa_kernel _ZN9rocsolver6v33100L18getri_kernel_smallILi36E19rocblas_complex_numIfEPS3_EEvT1_iilPiilS6_bb
		.amdhsa_group_segment_fixed_size 580
		.amdhsa_private_segment_fixed_size 304
		.amdhsa_kernarg_size 60
		.amdhsa_user_sgpr_count 2
		.amdhsa_user_sgpr_dispatch_ptr 0
		.amdhsa_user_sgpr_queue_ptr 0
		.amdhsa_user_sgpr_kernarg_segment_ptr 1
		.amdhsa_user_sgpr_dispatch_id 0
		.amdhsa_user_sgpr_private_segment_size 0
		.amdhsa_wavefront_size32 1
		.amdhsa_uses_dynamic_stack 0
		.amdhsa_enable_private_segment 1
		.amdhsa_system_sgpr_workgroup_id_x 1
		.amdhsa_system_sgpr_workgroup_id_y 0
		.amdhsa_system_sgpr_workgroup_id_z 0
		.amdhsa_system_sgpr_workgroup_info 0
		.amdhsa_system_vgpr_workitem_id 0
		.amdhsa_next_free_vgpr 250
		.amdhsa_next_free_sgpr 19
		.amdhsa_reserve_vcc 1
		.amdhsa_float_round_mode_32 0
		.amdhsa_float_round_mode_16_64 0
		.amdhsa_float_denorm_mode_32 3
		.amdhsa_float_denorm_mode_16_64 3
		.amdhsa_fp16_overflow 0
		.amdhsa_workgroup_processor_mode 1
		.amdhsa_memory_ordered 1
		.amdhsa_forward_progress 1
		.amdhsa_inst_pref_size 255
		.amdhsa_round_robin_scheduling 0
		.amdhsa_exception_fp_ieee_invalid_op 0
		.amdhsa_exception_fp_denorm_src 0
		.amdhsa_exception_fp_ieee_div_zero 0
		.amdhsa_exception_fp_ieee_overflow 0
		.amdhsa_exception_fp_ieee_underflow 0
		.amdhsa_exception_fp_ieee_inexact 0
		.amdhsa_exception_int_div_zero 0
	.end_amdhsa_kernel
	.section	.text._ZN9rocsolver6v33100L18getri_kernel_smallILi36E19rocblas_complex_numIfEPS3_EEvT1_iilPiilS6_bb,"axG",@progbits,_ZN9rocsolver6v33100L18getri_kernel_smallILi36E19rocblas_complex_numIfEPS3_EEvT1_iilPiilS6_bb,comdat
.Lfunc_end35:
	.size	_ZN9rocsolver6v33100L18getri_kernel_smallILi36E19rocblas_complex_numIfEPS3_EEvT1_iilPiilS6_bb, .Lfunc_end35-_ZN9rocsolver6v33100L18getri_kernel_smallILi36E19rocblas_complex_numIfEPS3_EEvT1_iilPiilS6_bb
                                        ; -- End function
	.set _ZN9rocsolver6v33100L18getri_kernel_smallILi36E19rocblas_complex_numIfEPS3_EEvT1_iilPiilS6_bb.num_vgpr, 250
	.set _ZN9rocsolver6v33100L18getri_kernel_smallILi36E19rocblas_complex_numIfEPS3_EEvT1_iilPiilS6_bb.num_agpr, 0
	.set _ZN9rocsolver6v33100L18getri_kernel_smallILi36E19rocblas_complex_numIfEPS3_EEvT1_iilPiilS6_bb.numbered_sgpr, 19
	.set _ZN9rocsolver6v33100L18getri_kernel_smallILi36E19rocblas_complex_numIfEPS3_EEvT1_iilPiilS6_bb.num_named_barrier, 0
	.set _ZN9rocsolver6v33100L18getri_kernel_smallILi36E19rocblas_complex_numIfEPS3_EEvT1_iilPiilS6_bb.private_seg_size, 304
	.set _ZN9rocsolver6v33100L18getri_kernel_smallILi36E19rocblas_complex_numIfEPS3_EEvT1_iilPiilS6_bb.uses_vcc, 1
	.set _ZN9rocsolver6v33100L18getri_kernel_smallILi36E19rocblas_complex_numIfEPS3_EEvT1_iilPiilS6_bb.uses_flat_scratch, 1
	.set _ZN9rocsolver6v33100L18getri_kernel_smallILi36E19rocblas_complex_numIfEPS3_EEvT1_iilPiilS6_bb.has_dyn_sized_stack, 0
	.set _ZN9rocsolver6v33100L18getri_kernel_smallILi36E19rocblas_complex_numIfEPS3_EEvT1_iilPiilS6_bb.has_recursion, 0
	.set _ZN9rocsolver6v33100L18getri_kernel_smallILi36E19rocblas_complex_numIfEPS3_EEvT1_iilPiilS6_bb.has_indirect_call, 0
	.section	.AMDGPU.csdata,"",@progbits
; Kernel info:
; codeLenInByte = 48980
; TotalNumSgprs: 21
; NumVgprs: 250
; ScratchSize: 304
; MemoryBound: 0
; FloatMode: 240
; IeeeMode: 1
; LDSByteSize: 580 bytes/workgroup (compile time only)
; SGPRBlocks: 0
; VGPRBlocks: 31
; NumSGPRsForWavesPerEU: 21
; NumVGPRsForWavesPerEU: 250
; Occupancy: 5
; WaveLimiterHint : 1
; COMPUTE_PGM_RSRC2:SCRATCH_EN: 1
; COMPUTE_PGM_RSRC2:USER_SGPR: 2
; COMPUTE_PGM_RSRC2:TRAP_HANDLER: 0
; COMPUTE_PGM_RSRC2:TGID_X_EN: 1
; COMPUTE_PGM_RSRC2:TGID_Y_EN: 0
; COMPUTE_PGM_RSRC2:TGID_Z_EN: 0
; COMPUTE_PGM_RSRC2:TIDIG_COMP_CNT: 0
	.section	.text._ZN9rocsolver6v33100L18getri_kernel_smallILi37E19rocblas_complex_numIfEPS3_EEvT1_iilPiilS6_bb,"axG",@progbits,_ZN9rocsolver6v33100L18getri_kernel_smallILi37E19rocblas_complex_numIfEPS3_EEvT1_iilPiilS6_bb,comdat
	.globl	_ZN9rocsolver6v33100L18getri_kernel_smallILi37E19rocblas_complex_numIfEPS3_EEvT1_iilPiilS6_bb ; -- Begin function _ZN9rocsolver6v33100L18getri_kernel_smallILi37E19rocblas_complex_numIfEPS3_EEvT1_iilPiilS6_bb
	.p2align	8
	.type	_ZN9rocsolver6v33100L18getri_kernel_smallILi37E19rocblas_complex_numIfEPS3_EEvT1_iilPiilS6_bb,@function
_ZN9rocsolver6v33100L18getri_kernel_smallILi37E19rocblas_complex_numIfEPS3_EEvT1_iilPiilS6_bb: ; @_ZN9rocsolver6v33100L18getri_kernel_smallILi37E19rocblas_complex_numIfEPS3_EEvT1_iilPiilS6_bb
; %bb.0:
	s_mov_b32 s2, exec_lo
	v_cmpx_gt_u32_e32 37, v0
	s_cbranch_execz .LBB36_162
; %bb.1:
	s_clause 0x2
	s_load_b32 s2, s[0:1], 0x38
	s_load_b128 s[12:15], s[0:1], 0x10
	s_load_b128 s[4:7], s[0:1], 0x28
	s_mov_b32 s16, ttmp9
	s_wait_kmcnt 0x0
	s_bitcmp1_b32 s2, 8
	s_cselect_b32 s18, -1, 0
	s_bfe_u32 s2, s2, 0x10008
	s_ashr_i32 s17, ttmp9, 31
	s_cmp_eq_u32 s2, 0
                                        ; implicit-def: $sgpr2_sgpr3
	s_cbranch_scc1 .LBB36_3
; %bb.2:
	s_load_b32 s2, s[0:1], 0x20
	s_mul_u64 s[4:5], s[4:5], s[16:17]
	s_delay_alu instid0(SALU_CYCLE_1) | instskip(NEXT) | instid1(SALU_CYCLE_1)
	s_lshl_b64 s[4:5], s[4:5], 2
	s_add_nc_u64 s[4:5], s[14:15], s[4:5]
	s_wait_kmcnt 0x0
	s_ashr_i32 s3, s2, 31
	s_delay_alu instid0(SALU_CYCLE_1) | instskip(NEXT) | instid1(SALU_CYCLE_1)
	s_lshl_b64 s[2:3], s[2:3], 2
	s_add_nc_u64 s[2:3], s[4:5], s[2:3]
.LBB36_3:
	s_clause 0x1
	s_load_b128 s[8:11], s[0:1], 0x0
	s_load_b32 s4, s[0:1], 0x38
	s_mul_u64 s[0:1], s[12:13], s[16:17]
	v_lshlrev_b32_e32 v7, 3, v0
	s_lshl_b64 s[0:1], s[0:1], 3
	s_wait_kmcnt 0x0
	v_add3_u32 v3, s11, s11, v0
	s_ashr_i32 s13, s10, 31
	s_mov_b32 s12, s10
	s_add_nc_u64 s[0:1], s[8:9], s[0:1]
	s_lshl_b64 s[12:13], s[12:13], 3
	v_add_nc_u32_e32 v5, s11, v3
	v_ashrrev_i32_e32 v4, 31, v3
	s_add_nc_u64 s[0:1], s[0:1], s[12:13]
	s_ashr_i32 s9, s11, 31
	v_add_co_u32 v24, s5, s0, v7
	v_add_nc_u32_e32 v8, s11, v5
	v_ashrrev_i32_e32 v6, 31, v5
	s_mov_b32 s8, s11
	v_lshlrev_b64_e32 v[3:4], 3, v[3:4]
	v_add_co_ci_u32_e64 v25, null, s1, 0, s5
	s_lshl_b64 s[8:9], s[8:9], 3
	v_add_nc_u32_e32 v10, s11, v8
	v_ashrrev_i32_e32 v9, 31, v8
	v_add_co_u32 v26, vcc_lo, v24, s8
	v_lshlrev_b64_e32 v[5:6], 3, v[5:6]
	v_add_co_ci_u32_e64 v27, null, s9, v25, vcc_lo
	v_add_co_u32 v28, vcc_lo, s0, v3
	v_ashrrev_i32_e32 v11, 31, v10
	s_wait_alu 0xfffd
	v_add_co_ci_u32_e64 v29, null, s1, v4, vcc_lo
	v_lshlrev_b64_e32 v[3:4], 3, v[8:9]
	v_add_nc_u32_e32 v8, s11, v10
	v_add_co_u32 v30, vcc_lo, s0, v5
	s_wait_alu 0xfffd
	v_add_co_ci_u32_e64 v31, null, s1, v6, vcc_lo
	v_lshlrev_b64_e32 v[5:6], 3, v[10:11]
	v_add_nc_u32_e32 v14, s11, v8
	v_add_co_u32 v32, vcc_lo, s0, v3
	v_ashrrev_i32_e32 v9, 31, v8
	s_wait_alu 0xfffd
	v_add_co_ci_u32_e64 v33, null, s1, v4, vcc_lo
	v_add_co_u32 v34, vcc_lo, s0, v5
	v_add_nc_u32_e32 v5, s11, v14
	v_ashrrev_i32_e32 v15, 31, v14
	v_lshlrev_b64_e32 v[16:17], 3, v[8:9]
	s_wait_alu 0xfffd
	v_add_co_ci_u32_e64 v35, null, s1, v6, vcc_lo
	v_add_nc_u32_e32 v18, s11, v5
	v_lshlrev_b64_e32 v[14:15], 3, v[14:15]
	v_ashrrev_i32_e32 v6, 31, v5
	v_add_co_u32 v36, vcc_lo, s0, v16
	s_delay_alu instid0(VALU_DEP_4) | instskip(SKIP_1) | instid1(VALU_DEP_4)
	v_ashrrev_i32_e32 v19, 31, v18
	v_add_nc_u32_e32 v16, s11, v18
	v_lshlrev_b64_e32 v[5:6], 3, v[5:6]
	s_wait_alu 0xfffd
	v_add_co_ci_u32_e64 v37, null, s1, v17, vcc_lo
	v_add_co_u32 v38, vcc_lo, s0, v14
	s_wait_alu 0xfffd
	v_add_co_ci_u32_e64 v39, null, s1, v15, vcc_lo
	v_lshlrev_b64_e32 v[14:15], 3, v[18:19]
	v_ashrrev_i32_e32 v17, 31, v16
	v_add_nc_u32_e32 v18, s11, v16
	v_add_co_u32 v40, vcc_lo, s0, v5
	s_wait_alu 0xfffd
	v_add_co_ci_u32_e64 v41, null, s1, v6, vcc_lo
	v_lshlrev_b64_e32 v[5:6], 3, v[16:17]
	v_ashrrev_i32_e32 v19, 31, v18
	v_add_nc_u32_e32 v16, s11, v18
	;; [unrolled: 6-line block ×25, first 2 shown]
	v_add_co_u32 v88, vcc_lo, s0, v5
	s_wait_alu 0xfffd
	v_add_co_ci_u32_e64 v89, null, s1, v6, vcc_lo
	v_lshlrev_b64_e32 v[5:6], 3, v[16:17]
	v_add_nc_u32_e32 v16, s11, v18
	v_ashrrev_i32_e32 v19, 31, v18
	v_add_co_u32 v90, vcc_lo, s0, v14
	s_wait_alu 0xfffd
	v_add_co_ci_u32_e64 v91, null, s1, v15, vcc_lo
	v_ashrrev_i32_e32 v17, 31, v16
	v_lshlrev_b64_e32 v[14:15], 3, v[18:19]
	v_add_co_u32 v92, vcc_lo, s0, v5
	s_wait_alu 0xfffd
	v_add_co_ci_u32_e64 v93, null, s1, v6, vcc_lo
	v_lshlrev_b64_e32 v[5:6], 3, v[16:17]
	s_delay_alu instid0(VALU_DEP_4)
	v_add_co_u32 v94, vcc_lo, s0, v14
	s_wait_alu 0xfffd
	v_add_co_ci_u32_e64 v95, null, s1, v15, vcc_lo
	global_load_b64 v[1:2], v7, s[0:1]
	v_add_co_u32 v96, vcc_lo, s0, v5
	s_clause 0x3
	global_load_b64 v[3:4], v[26:27], off
	global_load_b64 v[8:9], v[28:29], off
	;; [unrolled: 1-line block ×4, first 2 shown]
	s_wait_alu 0xfffd
	v_add_co_ci_u32_e64 v97, null, s1, v6, vcc_lo
	s_clause 0x1f
	global_load_b64 v[14:15], v[34:35], off
	global_load_b64 v[16:17], v[36:37], off
	;; [unrolled: 1-line block ×32, first 2 shown]
	s_bitcmp0_b32 s4, 0
	s_mov_b32 s1, -1
	s_wait_loadcnt 0x23
	scratch_store_b128 off, v[1:4], off
	s_wait_loadcnt 0x21
	scratch_store_b128 off, v[8:11], off offset:16
	s_wait_loadcnt 0x1f
	scratch_store_b128 off, v[12:15], off offset:32
	;; [unrolled: 2-line block ×17, first 2 shown]
	s_wait_loadcnt 0x0
	scratch_store_b64 off, v[5:6], off offset:288
	s_cbranch_scc1 .LBB36_160
; %bb.4:
	v_cmp_eq_u32_e64 s0, 0, v0
	s_and_saveexec_b32 s1, s0
; %bb.5:
	v_mov_b32_e32 v1, 0
	ds_store_b32 v1, v1 offset:296
; %bb.6:
	s_wait_alu 0xfffe
	s_or_b32 exec_lo, exec_lo, s1
	s_wait_storecnt_dscnt 0x0
	s_barrier_signal -1
	s_barrier_wait -1
	global_inv scope:SCOPE_SE
	scratch_load_b64 v[1:2], v7, off
	s_wait_loadcnt 0x0
	v_cmp_eq_f32_e32 vcc_lo, 0, v1
	v_cmp_eq_f32_e64 s1, 0, v2
	s_and_b32 s1, vcc_lo, s1
	s_wait_alu 0xfffe
	s_and_saveexec_b32 s4, s1
	s_cbranch_execz .LBB36_10
; %bb.7:
	v_mov_b32_e32 v1, 0
	s_mov_b32 s5, 0
	ds_load_b32 v2, v1 offset:296
	s_wait_dscnt 0x0
	v_readfirstlane_b32 s1, v2
	v_add_nc_u32_e32 v2, 1, v0
	s_cmp_eq_u32 s1, 0
	s_delay_alu instid0(VALU_DEP_1)
	v_cmp_gt_i32_e32 vcc_lo, s1, v2
	s_cselect_b32 s8, -1, 0
	s_wait_alu 0xfffe
	s_or_b32 s8, s8, vcc_lo
	s_wait_alu 0xfffe
	s_and_b32 exec_lo, exec_lo, s8
	s_cbranch_execz .LBB36_10
; %bb.8:
	v_mov_b32_e32 v3, s1
.LBB36_9:                               ; =>This Inner Loop Header: Depth=1
	ds_cmpstore_rtn_b32 v3, v1, v2, v3 offset:296
	s_wait_dscnt 0x0
	v_cmp_ne_u32_e32 vcc_lo, 0, v3
	v_cmp_le_i32_e64 s1, v3, v2
	s_and_b32 s1, vcc_lo, s1
	s_wait_alu 0xfffe
	s_and_b32 s1, exec_lo, s1
	s_wait_alu 0xfffe
	s_or_b32 s5, s1, s5
	s_wait_alu 0xfffe
	s_and_not1_b32 exec_lo, exec_lo, s5
	s_cbranch_execnz .LBB36_9
.LBB36_10:
	s_wait_alu 0xfffe
	s_or_b32 exec_lo, exec_lo, s4
	v_mov_b32_e32 v1, 0
	s_barrier_signal -1
	s_barrier_wait -1
	global_inv scope:SCOPE_SE
	ds_load_b32 v2, v1 offset:296
	s_and_saveexec_b32 s1, s0
	s_cbranch_execz .LBB36_12
; %bb.11:
	s_lshl_b64 s[4:5], s[16:17], 2
	s_wait_alu 0xfffe
	s_add_nc_u64 s[4:5], s[6:7], s[4:5]
	s_wait_dscnt 0x0
	global_store_b32 v1, v2, s[4:5]
.LBB36_12:
	s_wait_alu 0xfffe
	s_or_b32 exec_lo, exec_lo, s1
	s_wait_dscnt 0x0
	v_cmp_ne_u32_e32 vcc_lo, 0, v2
	s_mov_b32 s1, 0
	s_cbranch_vccnz .LBB36_160
; %bb.13:
	v_mov_b32_e32 v8, v7
                                        ; implicit-def: $vgpr3
                                        ; implicit-def: $vgpr5
	scratch_load_b64 v[1:2], v8, off
	s_wait_loadcnt 0x0
	v_cmp_ngt_f32_e64 s1, |v1|, |v2|
	s_wait_alu 0xfffe
	s_and_saveexec_b32 s4, s1
	s_wait_alu 0xfffe
	s_xor_b32 s1, exec_lo, s4
	s_cbranch_execz .LBB36_15
; %bb.14:
	v_div_scale_f32 v3, null, v2, v2, v1
	v_div_scale_f32 v6, vcc_lo, v1, v2, v1
	s_delay_alu instid0(VALU_DEP_2) | instskip(NEXT) | instid1(TRANS32_DEP_1)
	v_rcp_f32_e32 v4, v3
	v_fma_f32 v5, -v3, v4, 1.0
	s_delay_alu instid0(VALU_DEP_1) | instskip(NEXT) | instid1(VALU_DEP_1)
	v_fmac_f32_e32 v4, v5, v4
	v_mul_f32_e32 v5, v6, v4
	s_delay_alu instid0(VALU_DEP_1) | instskip(NEXT) | instid1(VALU_DEP_1)
	v_fma_f32 v9, -v3, v5, v6
	v_fmac_f32_e32 v5, v9, v4
	s_delay_alu instid0(VALU_DEP_1) | instskip(SKIP_1) | instid1(VALU_DEP_1)
	v_fma_f32 v3, -v3, v5, v6
	s_wait_alu 0xfffd
	v_div_fmas_f32 v3, v3, v4, v5
	s_delay_alu instid0(VALU_DEP_1) | instskip(NEXT) | instid1(VALU_DEP_1)
	v_div_fixup_f32 v3, v3, v2, v1
	v_fmac_f32_e32 v2, v1, v3
	s_delay_alu instid0(VALU_DEP_1) | instskip(NEXT) | instid1(VALU_DEP_1)
	v_div_scale_f32 v1, null, v2, v2, 1.0
	v_rcp_f32_e32 v4, v1
	s_delay_alu instid0(TRANS32_DEP_1) | instskip(NEXT) | instid1(VALU_DEP_1)
	v_fma_f32 v5, -v1, v4, 1.0
	v_fmac_f32_e32 v4, v5, v4
	v_div_scale_f32 v5, vcc_lo, 1.0, v2, 1.0
	s_delay_alu instid0(VALU_DEP_1) | instskip(NEXT) | instid1(VALU_DEP_1)
	v_mul_f32_e32 v6, v5, v4
	v_fma_f32 v9, -v1, v6, v5
	s_delay_alu instid0(VALU_DEP_1) | instskip(NEXT) | instid1(VALU_DEP_1)
	v_fmac_f32_e32 v6, v9, v4
	v_fma_f32 v1, -v1, v6, v5
	s_wait_alu 0xfffd
	s_delay_alu instid0(VALU_DEP_1) | instskip(NEXT) | instid1(VALU_DEP_1)
	v_div_fmas_f32 v1, v1, v4, v6
	v_div_fixup_f32 v1, v1, v2, 1.0
	s_delay_alu instid0(VALU_DEP_1) | instskip(SKIP_1) | instid1(VALU_DEP_2)
	v_mul_f32_e32 v3, v3, v1
	v_xor_b32_e32 v4, 0x80000000, v1
                                        ; implicit-def: $vgpr1_vgpr2
	v_xor_b32_e32 v5, 0x80000000, v3
.LBB36_15:
	s_wait_alu 0xfffe
	s_and_not1_saveexec_b32 s1, s1
	s_cbranch_execz .LBB36_17
; %bb.16:
	v_div_scale_f32 v3, null, v1, v1, v2
	v_div_scale_f32 v6, vcc_lo, v2, v1, v2
	s_delay_alu instid0(VALU_DEP_2) | instskip(NEXT) | instid1(TRANS32_DEP_1)
	v_rcp_f32_e32 v4, v3
	v_fma_f32 v5, -v3, v4, 1.0
	s_delay_alu instid0(VALU_DEP_1) | instskip(NEXT) | instid1(VALU_DEP_1)
	v_fmac_f32_e32 v4, v5, v4
	v_mul_f32_e32 v5, v6, v4
	s_delay_alu instid0(VALU_DEP_1) | instskip(NEXT) | instid1(VALU_DEP_1)
	v_fma_f32 v9, -v3, v5, v6
	v_fmac_f32_e32 v5, v9, v4
	s_delay_alu instid0(VALU_DEP_1) | instskip(SKIP_1) | instid1(VALU_DEP_1)
	v_fma_f32 v3, -v3, v5, v6
	s_wait_alu 0xfffd
	v_div_fmas_f32 v3, v3, v4, v5
	s_delay_alu instid0(VALU_DEP_1) | instskip(NEXT) | instid1(VALU_DEP_1)
	v_div_fixup_f32 v4, v3, v1, v2
	v_fmac_f32_e32 v1, v2, v4
	s_delay_alu instid0(VALU_DEP_1) | instskip(SKIP_1) | instid1(VALU_DEP_2)
	v_div_scale_f32 v2, null, v1, v1, 1.0
	v_div_scale_f32 v6, vcc_lo, 1.0, v1, 1.0
	v_rcp_f32_e32 v3, v2
	s_delay_alu instid0(TRANS32_DEP_1) | instskip(NEXT) | instid1(VALU_DEP_1)
	v_fma_f32 v5, -v2, v3, 1.0
	v_fmac_f32_e32 v3, v5, v3
	s_delay_alu instid0(VALU_DEP_1) | instskip(NEXT) | instid1(VALU_DEP_1)
	v_mul_f32_e32 v5, v6, v3
	v_fma_f32 v9, -v2, v5, v6
	s_delay_alu instid0(VALU_DEP_1) | instskip(NEXT) | instid1(VALU_DEP_1)
	v_fmac_f32_e32 v5, v9, v3
	v_fma_f32 v2, -v2, v5, v6
	s_wait_alu 0xfffd
	s_delay_alu instid0(VALU_DEP_1) | instskip(NEXT) | instid1(VALU_DEP_1)
	v_div_fmas_f32 v2, v2, v3, v5
	v_div_fixup_f32 v3, v2, v1, 1.0
	s_delay_alu instid0(VALU_DEP_1)
	v_xor_b32_e32 v5, 0x80000000, v3
	v_mul_f32_e64 v4, v4, -v3
.LBB36_17:
	s_wait_alu 0xfffe
	s_or_b32 exec_lo, exec_lo, s1
	scratch_store_b64 v8, v[3:4], off
	scratch_load_b64 v[2:3], off, off offset:8
	v_xor_b32_e32 v6, 0x80000000, v4
	v_add_nc_u32_e32 v1, 0x130, v7
	s_wait_loadcnt 0x0
	ds_store_2addr_b64 v7, v[5:6], v[2:3] offset1:38
	s_wait_storecnt_dscnt 0x0
	s_barrier_signal -1
	s_barrier_wait -1
	global_inv scope:SCOPE_SE
	s_and_saveexec_b32 s1, s0
	s_cbranch_execz .LBB36_19
; %bb.18:
	scratch_load_b64 v[2:3], v8, off
	ds_load_b64 v[4:5], v1
	v_mov_b32_e32 v6, 0
	ds_load_b64 v[9:10], v6 offset:8
	s_wait_loadcnt_dscnt 0x1
	v_mul_f32_e32 v6, v4, v3
	v_mul_f32_e32 v3, v5, v3
	s_delay_alu instid0(VALU_DEP_2) | instskip(NEXT) | instid1(VALU_DEP_2)
	v_fmac_f32_e32 v6, v5, v2
	v_fma_f32 v2, v4, v2, -v3
	s_delay_alu instid0(VALU_DEP_2) | instskip(NEXT) | instid1(VALU_DEP_2)
	v_add_f32_e32 v4, 0, v6
	v_add_f32_e32 v2, 0, v2
	s_wait_dscnt 0x0
	s_delay_alu instid0(VALU_DEP_2) | instskip(NEXT) | instid1(VALU_DEP_2)
	v_mul_f32_e32 v5, v4, v10
	v_mul_f32_e32 v3, v2, v10
	s_delay_alu instid0(VALU_DEP_2) | instskip(NEXT) | instid1(VALU_DEP_2)
	v_fma_f32 v2, v2, v9, -v5
	v_fmac_f32_e32 v3, v4, v9
	scratch_store_b64 off, v[2:3], off offset:8
.LBB36_19:
	s_wait_alu 0xfffe
	s_or_b32 exec_lo, exec_lo, s1
	s_wait_loadcnt 0x0
	s_wait_storecnt 0x0
	s_barrier_signal -1
	s_barrier_wait -1
	global_inv scope:SCOPE_SE
	scratch_load_b64 v[2:3], off, off offset:16
	s_mov_b32 s1, exec_lo
	s_wait_loadcnt 0x0
	ds_store_b64 v1, v[2:3]
	s_wait_dscnt 0x0
	s_barrier_signal -1
	s_barrier_wait -1
	global_inv scope:SCOPE_SE
	v_cmpx_gt_u32_e32 2, v0
	s_cbranch_execz .LBB36_23
; %bb.20:
	scratch_load_b64 v[2:3], v8, off
	ds_load_b64 v[4:5], v1
	s_wait_loadcnt_dscnt 0x0
	v_mul_f32_e32 v6, v5, v3
	v_mul_f32_e32 v9, v4, v3
	s_delay_alu instid0(VALU_DEP_2) | instskip(NEXT) | instid1(VALU_DEP_2)
	v_fma_f32 v3, v4, v2, -v6
	v_fmac_f32_e32 v9, v5, v2
	s_delay_alu instid0(VALU_DEP_1)
	v_dual_add_f32 v3, 0, v3 :: v_dual_add_f32 v2, 0, v9
	s_and_saveexec_b32 s4, s0
	s_cbranch_execz .LBB36_22
; %bb.21:
	scratch_load_b64 v[4:5], off, off offset:8
	v_mov_b32_e32 v6, 0
	ds_load_b64 v[9:10], v6 offset:312
	s_wait_loadcnt_dscnt 0x0
	v_mul_f32_e32 v6, v9, v5
	v_mul_f32_e32 v5, v10, v5
	s_delay_alu instid0(VALU_DEP_2) | instskip(NEXT) | instid1(VALU_DEP_2)
	v_fmac_f32_e32 v6, v10, v4
	v_fma_f32 v4, v9, v4, -v5
	s_delay_alu instid0(VALU_DEP_1)
	v_dual_add_f32 v2, v2, v6 :: v_dual_add_f32 v3, v3, v4
.LBB36_22:
	s_wait_alu 0xfffe
	s_or_b32 exec_lo, exec_lo, s4
	v_mov_b32_e32 v4, 0
	ds_load_b64 v[4:5], v4 offset:16
	s_wait_dscnt 0x0
	v_mul_f32_e32 v9, v2, v5
	v_mul_f32_e32 v6, v3, v5
	s_delay_alu instid0(VALU_DEP_2) | instskip(NEXT) | instid1(VALU_DEP_2)
	v_fma_f32 v5, v3, v4, -v9
	v_fmac_f32_e32 v6, v2, v4
	scratch_store_b64 off, v[5:6], off offset:16
.LBB36_23:
	s_wait_alu 0xfffe
	s_or_b32 exec_lo, exec_lo, s1
	s_wait_loadcnt 0x0
	s_wait_storecnt 0x0
	s_barrier_signal -1
	s_barrier_wait -1
	global_inv scope:SCOPE_SE
	scratch_load_b64 v[3:4], off, off offset:24
	v_add_nc_u32_e32 v2, -1, v0
	s_mov_b32 s0, exec_lo
	s_wait_loadcnt 0x0
	ds_store_b64 v1, v[3:4]
	s_wait_dscnt 0x0
	s_barrier_signal -1
	s_barrier_wait -1
	global_inv scope:SCOPE_SE
	v_cmpx_gt_u32_e32 3, v0
	s_cbranch_execz .LBB36_27
; %bb.24:
	v_dual_mov_b32 v3, 0 :: v_dual_add_nc_u32 v4, -1, v0
	v_dual_mov_b32 v6, v7 :: v_dual_add_nc_u32 v5, 0x130, v7
	v_mov_b32_e32 v9, 0
	s_mov_b32 s1, 0
.LBB36_25:                              ; =>This Inner Loop Header: Depth=1
	scratch_load_b64 v[10:11], v6, off
	ds_load_b64 v[12:13], v5
	v_add_nc_u32_e32 v4, 1, v4
	v_add_nc_u32_e32 v5, 8, v5
	s_delay_alu instid0(VALU_DEP_2)
	v_cmp_lt_u32_e32 vcc_lo, 1, v4
	s_wait_alu 0xfffe
	s_or_b32 s1, vcc_lo, s1
	s_wait_loadcnt_dscnt 0x0
	v_mul_f32_e32 v14, v13, v11
	v_mul_f32_e32 v11, v12, v11
	s_delay_alu instid0(VALU_DEP_2) | instskip(NEXT) | instid1(VALU_DEP_2)
	v_fma_f32 v12, v12, v10, -v14
	v_fmac_f32_e32 v11, v13, v10
	s_delay_alu instid0(VALU_DEP_2) | instskip(NEXT) | instid1(VALU_DEP_2)
	v_dual_add_f32 v9, v9, v12 :: v_dual_add_nc_u32 v6, 8, v6
	v_add_f32_e32 v3, v3, v11
	s_wait_alu 0xfffe
	s_and_not1_b32 exec_lo, exec_lo, s1
	s_cbranch_execnz .LBB36_25
; %bb.26:
	s_or_b32 exec_lo, exec_lo, s1
	v_mov_b32_e32 v4, 0
	ds_load_b64 v[4:5], v4 offset:24
	s_wait_dscnt 0x0
	v_mul_f32_e32 v10, v3, v5
	v_mul_f32_e32 v6, v9, v5
	s_delay_alu instid0(VALU_DEP_2) | instskip(NEXT) | instid1(VALU_DEP_2)
	v_fma_f32 v5, v9, v4, -v10
	v_fmac_f32_e32 v6, v3, v4
	scratch_store_b64 off, v[5:6], off offset:24
.LBB36_27:
	s_wait_alu 0xfffe
	s_or_b32 exec_lo, exec_lo, s0
	s_wait_loadcnt 0x0
	s_wait_storecnt 0x0
	s_barrier_signal -1
	s_barrier_wait -1
	global_inv scope:SCOPE_SE
	scratch_load_b64 v[3:4], off, off offset:32
	s_mov_b32 s0, exec_lo
	s_wait_loadcnt 0x0
	ds_store_b64 v1, v[3:4]
	s_wait_dscnt 0x0
	s_barrier_signal -1
	s_barrier_wait -1
	global_inv scope:SCOPE_SE
	v_cmpx_gt_u32_e32 4, v0
	s_cbranch_execz .LBB36_31
; %bb.28:
	v_dual_mov_b32 v3, 0 :: v_dual_add_nc_u32 v4, -1, v0
	v_dual_mov_b32 v6, v7 :: v_dual_add_nc_u32 v5, 0x130, v7
	v_mov_b32_e32 v9, 0
	s_mov_b32 s1, 0
.LBB36_29:                              ; =>This Inner Loop Header: Depth=1
	scratch_load_b64 v[10:11], v6, off
	ds_load_b64 v[12:13], v5
	v_add_nc_u32_e32 v4, 1, v4
	v_add_nc_u32_e32 v5, 8, v5
	s_delay_alu instid0(VALU_DEP_2)
	v_cmp_lt_u32_e32 vcc_lo, 2, v4
	s_wait_alu 0xfffe
	s_or_b32 s1, vcc_lo, s1
	s_wait_loadcnt_dscnt 0x0
	v_mul_f32_e32 v14, v13, v11
	v_mul_f32_e32 v11, v12, v11
	s_delay_alu instid0(VALU_DEP_2) | instskip(NEXT) | instid1(VALU_DEP_2)
	v_fma_f32 v12, v12, v10, -v14
	v_fmac_f32_e32 v11, v13, v10
	s_delay_alu instid0(VALU_DEP_2) | instskip(NEXT) | instid1(VALU_DEP_2)
	v_dual_add_f32 v9, v9, v12 :: v_dual_add_nc_u32 v6, 8, v6
	v_add_f32_e32 v3, v3, v11
	s_wait_alu 0xfffe
	s_and_not1_b32 exec_lo, exec_lo, s1
	s_cbranch_execnz .LBB36_29
; %bb.30:
	s_or_b32 exec_lo, exec_lo, s1
	v_mov_b32_e32 v4, 0
	ds_load_b64 v[4:5], v4 offset:32
	s_wait_dscnt 0x0
	v_mul_f32_e32 v10, v3, v5
	v_mul_f32_e32 v6, v9, v5
	s_delay_alu instid0(VALU_DEP_2) | instskip(NEXT) | instid1(VALU_DEP_2)
	v_fma_f32 v5, v9, v4, -v10
	v_fmac_f32_e32 v6, v3, v4
	scratch_store_b64 off, v[5:6], off offset:32
.LBB36_31:
	s_wait_alu 0xfffe
	s_or_b32 exec_lo, exec_lo, s0
	s_wait_loadcnt 0x0
	s_wait_storecnt 0x0
	s_barrier_signal -1
	s_barrier_wait -1
	global_inv scope:SCOPE_SE
	scratch_load_b64 v[3:4], off, off offset:40
	;; [unrolled: 55-line block ×19, first 2 shown]
	s_mov_b32 s0, exec_lo
	s_wait_loadcnt 0x0
	ds_store_b64 v1, v[3:4]
	s_wait_dscnt 0x0
	s_barrier_signal -1
	s_barrier_wait -1
	global_inv scope:SCOPE_SE
	v_cmpx_gt_u32_e32 22, v0
	s_cbranch_execz .LBB36_103
; %bb.100:
	v_dual_mov_b32 v3, 0 :: v_dual_add_nc_u32 v4, -1, v0
	v_dual_mov_b32 v6, v7 :: v_dual_add_nc_u32 v5, 0x130, v7
	v_mov_b32_e32 v9, 0
	s_mov_b32 s1, 0
.LBB36_101:                             ; =>This Inner Loop Header: Depth=1
	scratch_load_b64 v[10:11], v6, off
	ds_load_b64 v[12:13], v5
	v_add_nc_u32_e32 v4, 1, v4
	v_add_nc_u32_e32 v5, 8, v5
	s_delay_alu instid0(VALU_DEP_2)
	v_cmp_lt_u32_e32 vcc_lo, 20, v4
	s_wait_alu 0xfffe
	s_or_b32 s1, vcc_lo, s1
	s_wait_loadcnt_dscnt 0x0
	v_mul_f32_e32 v14, v13, v11
	v_mul_f32_e32 v11, v12, v11
	s_delay_alu instid0(VALU_DEP_2) | instskip(NEXT) | instid1(VALU_DEP_2)
	v_fma_f32 v12, v12, v10, -v14
	v_fmac_f32_e32 v11, v13, v10
	s_delay_alu instid0(VALU_DEP_2) | instskip(NEXT) | instid1(VALU_DEP_2)
	v_dual_add_f32 v9, v9, v12 :: v_dual_add_nc_u32 v6, 8, v6
	v_add_f32_e32 v3, v3, v11
	s_wait_alu 0xfffe
	s_and_not1_b32 exec_lo, exec_lo, s1
	s_cbranch_execnz .LBB36_101
; %bb.102:
	s_or_b32 exec_lo, exec_lo, s1
	v_mov_b32_e32 v4, 0
	ds_load_b64 v[4:5], v4 offset:176
	s_wait_dscnt 0x0
	v_mul_f32_e32 v10, v3, v5
	v_mul_f32_e32 v6, v9, v5
	s_delay_alu instid0(VALU_DEP_2) | instskip(NEXT) | instid1(VALU_DEP_2)
	v_fma_f32 v5, v9, v4, -v10
	v_fmac_f32_e32 v6, v3, v4
	scratch_store_b64 off, v[5:6], off offset:176
.LBB36_103:
	s_wait_alu 0xfffe
	s_or_b32 exec_lo, exec_lo, s0
	s_wait_loadcnt 0x0
	s_wait_storecnt 0x0
	s_barrier_signal -1
	s_barrier_wait -1
	global_inv scope:SCOPE_SE
	scratch_load_b64 v[3:4], off, off offset:184
	s_mov_b32 s0, exec_lo
	s_wait_loadcnt 0x0
	ds_store_b64 v1, v[3:4]
	s_wait_dscnt 0x0
	s_barrier_signal -1
	s_barrier_wait -1
	global_inv scope:SCOPE_SE
	v_cmpx_gt_u32_e32 23, v0
	s_cbranch_execz .LBB36_107
; %bb.104:
	v_dual_mov_b32 v3, 0 :: v_dual_add_nc_u32 v4, -1, v0
	v_dual_mov_b32 v6, v7 :: v_dual_add_nc_u32 v5, 0x130, v7
	v_mov_b32_e32 v9, 0
	s_mov_b32 s1, 0
.LBB36_105:                             ; =>This Inner Loop Header: Depth=1
	scratch_load_b64 v[10:11], v6, off
	ds_load_b64 v[12:13], v5
	v_add_nc_u32_e32 v4, 1, v4
	v_add_nc_u32_e32 v5, 8, v5
	s_delay_alu instid0(VALU_DEP_2)
	v_cmp_lt_u32_e32 vcc_lo, 21, v4
	s_wait_alu 0xfffe
	s_or_b32 s1, vcc_lo, s1
	s_wait_loadcnt_dscnt 0x0
	v_mul_f32_e32 v14, v13, v11
	v_mul_f32_e32 v11, v12, v11
	s_delay_alu instid0(VALU_DEP_2) | instskip(NEXT) | instid1(VALU_DEP_2)
	v_fma_f32 v12, v12, v10, -v14
	v_fmac_f32_e32 v11, v13, v10
	s_delay_alu instid0(VALU_DEP_2) | instskip(NEXT) | instid1(VALU_DEP_2)
	v_dual_add_f32 v9, v9, v12 :: v_dual_add_nc_u32 v6, 8, v6
	v_add_f32_e32 v3, v3, v11
	s_wait_alu 0xfffe
	s_and_not1_b32 exec_lo, exec_lo, s1
	s_cbranch_execnz .LBB36_105
; %bb.106:
	s_or_b32 exec_lo, exec_lo, s1
	v_mov_b32_e32 v4, 0
	ds_load_b64 v[4:5], v4 offset:184
	s_wait_dscnt 0x0
	v_mul_f32_e32 v10, v3, v5
	v_mul_f32_e32 v6, v9, v5
	s_delay_alu instid0(VALU_DEP_2) | instskip(NEXT) | instid1(VALU_DEP_2)
	v_fma_f32 v5, v9, v4, -v10
	v_fmac_f32_e32 v6, v3, v4
	scratch_store_b64 off, v[5:6], off offset:184
.LBB36_107:
	s_wait_alu 0xfffe
	s_or_b32 exec_lo, exec_lo, s0
	s_wait_loadcnt 0x0
	s_wait_storecnt 0x0
	s_barrier_signal -1
	s_barrier_wait -1
	global_inv scope:SCOPE_SE
	scratch_load_b64 v[3:4], off, off offset:192
	;; [unrolled: 55-line block ×13, first 2 shown]
	s_mov_b32 s0, exec_lo
	s_wait_loadcnt 0x0
	ds_store_b64 v1, v[3:4]
	s_wait_dscnt 0x0
	s_barrier_signal -1
	s_barrier_wait -1
	global_inv scope:SCOPE_SE
	v_cmpx_gt_u32_e32 35, v0
	s_cbranch_execz .LBB36_155
; %bb.152:
	v_dual_mov_b32 v3, 0 :: v_dual_add_nc_u32 v4, -1, v0
	v_dual_mov_b32 v6, v7 :: v_dual_add_nc_u32 v5, 0x130, v7
	v_mov_b32_e32 v7, 0
	s_mov_b32 s1, 0
.LBB36_153:                             ; =>This Inner Loop Header: Depth=1
	scratch_load_b64 v[9:10], v6, off
	ds_load_b64 v[11:12], v5
	v_add_nc_u32_e32 v6, 8, v6
	v_add_nc_u32_e32 v4, 1, v4
	;; [unrolled: 1-line block ×3, first 2 shown]
	s_delay_alu instid0(VALU_DEP_2)
	v_cmp_lt_u32_e32 vcc_lo, 33, v4
	s_wait_alu 0xfffe
	s_or_b32 s1, vcc_lo, s1
	s_wait_loadcnt_dscnt 0x0
	v_mul_f32_e32 v13, v12, v10
	v_mul_f32_e32 v10, v11, v10
	s_delay_alu instid0(VALU_DEP_2) | instskip(NEXT) | instid1(VALU_DEP_1)
	v_fma_f32 v11, v11, v9, -v13
	v_dual_fmac_f32 v10, v12, v9 :: v_dual_add_f32 v7, v7, v11
	s_delay_alu instid0(VALU_DEP_1)
	v_add_f32_e32 v3, v3, v10
	s_wait_alu 0xfffe
	s_and_not1_b32 exec_lo, exec_lo, s1
	s_cbranch_execnz .LBB36_153
; %bb.154:
	s_or_b32 exec_lo, exec_lo, s1
	v_mov_b32_e32 v4, 0
	ds_load_b64 v[4:5], v4 offset:280
	s_wait_dscnt 0x0
	v_mul_f32_e32 v9, v3, v5
	v_mul_f32_e32 v6, v7, v5
	s_delay_alu instid0(VALU_DEP_2) | instskip(NEXT) | instid1(VALU_DEP_2)
	v_fma_f32 v5, v7, v4, -v9
	v_fmac_f32_e32 v6, v3, v4
	scratch_store_b64 off, v[5:6], off offset:280
.LBB36_155:
	s_wait_alu 0xfffe
	s_or_b32 exec_lo, exec_lo, s0
	s_wait_loadcnt 0x0
	s_wait_storecnt 0x0
	s_barrier_signal -1
	s_barrier_wait -1
	global_inv scope:SCOPE_SE
	scratch_load_b64 v[3:4], off, off offset:288
	s_mov_b32 s0, exec_lo
	s_wait_loadcnt 0x0
	ds_store_b64 v1, v[3:4]
	s_wait_dscnt 0x0
	s_barrier_signal -1
	s_barrier_wait -1
	global_inv scope:SCOPE_SE
	v_cmpx_ne_u32_e32 36, v0
	s_cbranch_execz .LBB36_159
; %bb.156:
	v_dual_mov_b32 v3, 0 :: v_dual_mov_b32 v4, 0
	s_mov_b32 s1, 0
.LBB36_157:                             ; =>This Inner Loop Header: Depth=1
	scratch_load_b64 v[5:6], v8, off
	ds_load_b64 v[9:10], v1
	v_add_nc_u32_e32 v2, 1, v2
	v_add_nc_u32_e32 v1, 8, v1
	;; [unrolled: 1-line block ×3, first 2 shown]
	s_delay_alu instid0(VALU_DEP_3)
	v_cmp_lt_u32_e32 vcc_lo, 34, v2
	s_wait_alu 0xfffe
	s_or_b32 s1, vcc_lo, s1
	s_wait_loadcnt_dscnt 0x0
	v_mul_f32_e32 v7, v10, v6
	v_mul_f32_e32 v6, v9, v6
	s_delay_alu instid0(VALU_DEP_2) | instskip(NEXT) | instid1(VALU_DEP_2)
	v_fma_f32 v7, v9, v5, -v7
	v_fmac_f32_e32 v6, v10, v5
	s_delay_alu instid0(VALU_DEP_1)
	v_dual_add_f32 v4, v4, v7 :: v_dual_add_f32 v3, v3, v6
	s_wait_alu 0xfffe
	s_and_not1_b32 exec_lo, exec_lo, s1
	s_cbranch_execnz .LBB36_157
; %bb.158:
	s_or_b32 exec_lo, exec_lo, s1
	v_mov_b32_e32 v1, 0
	ds_load_b64 v[1:2], v1 offset:288
	s_wait_dscnt 0x0
	v_mul_f32_e32 v6, v3, v2
	v_mul_f32_e32 v5, v4, v2
	s_delay_alu instid0(VALU_DEP_2) | instskip(NEXT) | instid1(VALU_DEP_2)
	v_fma_f32 v4, v4, v1, -v6
	v_fmac_f32_e32 v5, v3, v1
	scratch_store_b64 off, v[4:5], off offset:288
.LBB36_159:
	s_wait_alu 0xfffe
	s_or_b32 exec_lo, exec_lo, s0
	s_mov_b32 s1, -1
	s_wait_loadcnt 0x0
	s_wait_storecnt 0x0
	s_barrier_signal -1
	s_barrier_wait -1
	global_inv scope:SCOPE_SE
.LBB36_160:
	s_wait_alu 0xfffe
	s_and_b32 vcc_lo, exec_lo, s1
	s_wait_alu 0xfffe
	s_cbranch_vccz .LBB36_162
; %bb.161:
	v_mov_b32_e32 v1, 0
	s_lshl_b64 s[0:1], s[16:17], 2
	s_wait_alu 0xfffe
	s_add_nc_u64 s[0:1], s[6:7], s[0:1]
	global_load_b32 v1, v1, s[0:1]
	s_wait_loadcnt 0x0
	v_cmp_ne_u32_e32 vcc_lo, 0, v1
	s_cbranch_vccz .LBB36_163
.LBB36_162:
	s_nop 0
	s_sendmsg sendmsg(MSG_DEALLOC_VGPRS)
	s_endpgm
.LBB36_163:
	v_lshl_add_u32 v3, v0, 3, 0x130
	s_mov_b32 s0, exec_lo
	v_cmpx_eq_u32_e32 36, v0
	s_cbranch_execz .LBB36_165
; %bb.164:
	scratch_load_b64 v[1:2], off, off offset:280
	v_mov_b32_e32 v4, 0
	s_delay_alu instid0(VALU_DEP_1)
	v_mov_b32_e32 v5, v4
	scratch_store_b64 off, v[4:5], off offset:280
	s_wait_loadcnt 0x0
	ds_store_b64 v3, v[1:2]
.LBB36_165:
	s_wait_alu 0xfffe
	s_or_b32 exec_lo, exec_lo, s0
	s_wait_storecnt_dscnt 0x0
	s_barrier_signal -1
	s_barrier_wait -1
	global_inv scope:SCOPE_SE
	s_clause 0x1
	scratch_load_b64 v[4:5], off, off offset:288
	scratch_load_b64 v[6:7], off, off offset:280
	v_mov_b32_e32 v1, 0
	s_mov_b32 s0, exec_lo
	ds_load_b64 v[8:9], v1 offset:592
	s_wait_loadcnt_dscnt 0x100
	v_mul_f32_e32 v2, v9, v5
	s_delay_alu instid0(VALU_DEP_1) | instskip(NEXT) | instid1(VALU_DEP_1)
	v_fma_f32 v2, v8, v4, -v2
	v_dual_mul_f32 v5, v8, v5 :: v_dual_add_f32 v2, 0, v2
	s_wait_loadcnt 0x0
	s_delay_alu instid0(VALU_DEP_1) | instskip(NEXT) | instid1(VALU_DEP_1)
	v_dual_fmac_f32 v5, v9, v4 :: v_dual_sub_f32 v4, v6, v2
	v_add_f32_e32 v5, 0, v5
	s_delay_alu instid0(VALU_DEP_1)
	v_sub_f32_e32 v5, v7, v5
	scratch_store_b64 off, v[4:5], off offset:280
	v_cmpx_lt_u32_e32 34, v0
	s_cbranch_execz .LBB36_167
; %bb.166:
	scratch_load_b64 v[4:5], off, off offset:272
	v_mov_b32_e32 v2, v1
	scratch_store_b64 off, v[1:2], off offset:272
	s_wait_loadcnt 0x0
	ds_store_b64 v3, v[4:5]
.LBB36_167:
	s_wait_alu 0xfffe
	s_or_b32 exec_lo, exec_lo, s0
	s_wait_storecnt_dscnt 0x0
	s_barrier_signal -1
	s_barrier_wait -1
	global_inv scope:SCOPE_SE
	s_clause 0x1
	scratch_load_b128 v[4:7], off, off offset:280
	scratch_load_b64 v[12:13], off, off offset:272
	ds_load_2addr_b64 v[8:11], v1 offset0:73 offset1:74
	s_mov_b32 s0, exec_lo
	s_wait_loadcnt_dscnt 0x100
	v_mul_f32_e32 v2, v8, v5
	s_delay_alu instid0(VALU_DEP_1) | instskip(SKIP_2) | instid1(VALU_DEP_1)
	v_fmac_f32_e32 v2, v9, v4
	v_mul_f32_e32 v1, v9, v5
	v_mul_f32_e32 v5, v10, v7
	v_fmac_f32_e32 v5, v11, v6
	s_delay_alu instid0(VALU_DEP_4) | instskip(NEXT) | instid1(VALU_DEP_4)
	v_dual_add_f32 v2, 0, v2 :: v_dual_mul_f32 v7, v11, v7
	v_fma_f32 v1, v8, v4, -v1
	s_delay_alu instid0(VALU_DEP_2) | instskip(NEXT) | instid1(VALU_DEP_3)
	v_add_f32_e32 v2, v2, v5
	v_fma_f32 v4, v10, v6, -v7
	s_wait_loadcnt 0x0
	s_delay_alu instid0(VALU_DEP_2) | instskip(NEXT) | instid1(VALU_DEP_1)
	v_dual_add_f32 v1, 0, v1 :: v_dual_sub_f32 v2, v13, v2
	v_add_f32_e32 v1, v1, v4
	s_delay_alu instid0(VALU_DEP_1)
	v_sub_f32_e32 v1, v12, v1
	scratch_store_b64 off, v[1:2], off offset:272
	v_cmpx_lt_u32_e32 33, v0
	s_cbranch_execz .LBB36_169
; %bb.168:
	scratch_load_b64 v[1:2], off, off offset:264
	v_mov_b32_e32 v4, 0
	s_delay_alu instid0(VALU_DEP_1)
	v_mov_b32_e32 v5, v4
	scratch_store_b64 off, v[4:5], off offset:264
	s_wait_loadcnt 0x0
	ds_store_b64 v3, v[1:2]
.LBB36_169:
	s_wait_alu 0xfffe
	s_or_b32 exec_lo, exec_lo, s0
	s_wait_storecnt_dscnt 0x0
	s_barrier_signal -1
	s_barrier_wait -1
	global_inv scope:SCOPE_SE
	s_clause 0x2
	scratch_load_b128 v[4:7], off, off offset:272
	scratch_load_b64 v[12:13], off, off offset:288
	scratch_load_b64 v[14:15], off, off offset:264
	v_mov_b32_e32 v1, 0
	ds_load_b128 v[8:11], v1 offset:576
	ds_load_b64 v[16:17], v1 offset:592
	s_mov_b32 s0, exec_lo
	s_wait_loadcnt_dscnt 0x201
	v_mul_f32_e32 v2, v9, v5
	v_dual_mul_f32 v5, v8, v5 :: v_dual_mul_f32 v18, v10, v7
	v_mul_f32_e32 v7, v11, v7
	s_wait_loadcnt_dscnt 0x100
	v_mul_f32_e32 v19, v16, v13
	v_fma_f32 v2, v8, v4, -v2
	v_fmac_f32_e32 v5, v9, v4
	v_mul_f32_e32 v4, v17, v13
	v_fmac_f32_e32 v18, v11, v6
	v_fma_f32 v6, v10, v6, -v7
	s_delay_alu instid0(VALU_DEP_4) | instskip(NEXT) | instid1(VALU_DEP_4)
	v_dual_add_f32 v2, 0, v2 :: v_dual_add_f32 v5, 0, v5
	v_fma_f32 v4, v16, v12, -v4
	s_delay_alu instid0(VALU_DEP_2) | instskip(NEXT) | instid1(VALU_DEP_1)
	v_add_f32_e32 v2, v2, v6
	v_dual_add_f32 v5, v5, v18 :: v_dual_add_f32 v2, v2, v4
	s_wait_loadcnt 0x0
	s_delay_alu instid0(VALU_DEP_1) | instskip(NEXT) | instid1(VALU_DEP_1)
	v_dual_fmac_f32 v19, v17, v12 :: v_dual_sub_f32 v4, v14, v2
	v_add_f32_e32 v5, v5, v19
	s_delay_alu instid0(VALU_DEP_1)
	v_sub_f32_e32 v5, v15, v5
	scratch_store_b64 off, v[4:5], off offset:264
	v_cmpx_lt_u32_e32 32, v0
	s_cbranch_execz .LBB36_171
; %bb.170:
	scratch_load_b64 v[4:5], off, off offset:256
	v_mov_b32_e32 v2, v1
	scratch_store_b64 off, v[1:2], off offset:256
	s_wait_loadcnt 0x0
	ds_store_b64 v3, v[4:5]
.LBB36_171:
	s_wait_alu 0xfffe
	s_or_b32 exec_lo, exec_lo, s0
	s_wait_storecnt_dscnt 0x0
	s_barrier_signal -1
	s_barrier_wait -1
	global_inv scope:SCOPE_SE
	s_clause 0x2
	scratch_load_b128 v[4:7], off, off offset:264
	scratch_load_b128 v[8:11], off, off offset:280
	scratch_load_b64 v[20:21], off, off offset:256
	ds_load_2addr_b64 v[12:15], v1 offset0:71 offset1:72
	ds_load_2addr_b64 v[16:19], v1 offset0:73 offset1:74
	s_mov_b32 s0, exec_lo
	s_wait_loadcnt_dscnt 0x201
	v_mul_f32_e32 v2, v13, v5
	s_wait_loadcnt_dscnt 0x100
	v_dual_mul_f32 v22, v16, v9 :: v_dual_mul_f32 v23, v18, v11
	s_delay_alu instid0(VALU_DEP_2) | instskip(SKIP_2) | instid1(VALU_DEP_4)
	v_fma_f32 v2, v12, v4, -v2
	v_mul_f32_e32 v1, v12, v5
	v_mul_f32_e32 v5, v14, v7
	v_dual_mul_f32 v7, v15, v7 :: v_dual_fmac_f32 v22, v17, v8
	s_delay_alu instid0(VALU_DEP_3) | instskip(NEXT) | instid1(VALU_DEP_3)
	v_dual_add_f32 v2, 0, v2 :: v_dual_fmac_f32 v1, v13, v4
	v_dual_mul_f32 v4, v17, v9 :: v_dual_fmac_f32 v5, v15, v6
	s_delay_alu instid0(VALU_DEP_3) | instskip(SKIP_1) | instid1(VALU_DEP_3)
	v_fma_f32 v6, v14, v6, -v7
	v_fmac_f32_e32 v23, v19, v10
	v_fma_f32 v4, v16, v8, -v4
	s_delay_alu instid0(VALU_DEP_3) | instskip(NEXT) | instid1(VALU_DEP_1)
	v_dual_add_f32 v2, v2, v6 :: v_dual_add_f32 v1, 0, v1
	v_dual_add_f32 v2, v2, v4 :: v_dual_mul_f32 v7, v19, v11
	s_delay_alu instid0(VALU_DEP_2) | instskip(NEXT) | instid1(VALU_DEP_2)
	v_add_f32_e32 v1, v1, v5
	v_fma_f32 v5, v18, v10, -v7
	s_delay_alu instid0(VALU_DEP_1) | instskip(SKIP_1) | instid1(VALU_DEP_1)
	v_dual_add_f32 v1, v1, v22 :: v_dual_add_f32 v2, v2, v5
	s_wait_loadcnt 0x0
	v_dual_add_f32 v4, v1, v23 :: v_dual_sub_f32 v1, v20, v2
	s_delay_alu instid0(VALU_DEP_1)
	v_sub_f32_e32 v2, v21, v4
	scratch_store_b64 off, v[1:2], off offset:256
	v_cmpx_lt_u32_e32 31, v0
	s_cbranch_execz .LBB36_173
; %bb.172:
	scratch_load_b64 v[1:2], off, off offset:248
	v_mov_b32_e32 v4, 0
	s_delay_alu instid0(VALU_DEP_1)
	v_mov_b32_e32 v5, v4
	scratch_store_b64 off, v[4:5], off offset:248
	s_wait_loadcnt 0x0
	ds_store_b64 v3, v[1:2]
.LBB36_173:
	s_wait_alu 0xfffe
	s_or_b32 exec_lo, exec_lo, s0
	s_wait_storecnt_dscnt 0x0
	s_barrier_signal -1
	s_barrier_wait -1
	global_inv scope:SCOPE_SE
	s_clause 0x3
	scratch_load_b128 v[4:7], off, off offset:256
	scratch_load_b128 v[8:11], off, off offset:272
	scratch_load_b64 v[20:21], off, off offset:288
	scratch_load_b64 v[22:23], off, off offset:248
	v_mov_b32_e32 v1, 0
	ds_load_b128 v[12:15], v1 offset:560
	ds_load_b128 v[16:19], v1 offset:576
	ds_load_b64 v[98:99], v1 offset:592
	s_mov_b32 s0, exec_lo
	s_wait_loadcnt_dscnt 0x302
	v_mul_f32_e32 v2, v12, v5
	v_dual_mul_f32 v100, v14, v7 :: v_dual_mul_f32 v5, v13, v5
	s_wait_loadcnt_dscnt 0x100
	v_mul_f32_e32 v103, v98, v21
	s_delay_alu instid0(VALU_DEP_3)
	v_dual_mul_f32 v7, v15, v7 :: v_dual_fmac_f32 v2, v13, v4
	v_dual_mul_f32 v101, v16, v9 :: v_dual_mul_f32 v102, v18, v11
	v_fma_f32 v5, v12, v4, -v5
	v_mul_f32_e32 v4, v17, v9
	v_fmac_f32_e32 v100, v15, v6
	v_fma_f32 v6, v14, v6, -v7
	v_dual_add_f32 v2, 0, v2 :: v_dual_mul_f32 v7, v19, v11
	v_add_f32_e32 v5, 0, v5
	v_dual_fmac_f32 v101, v17, v8 :: v_dual_fmac_f32 v102, v19, v10
	s_delay_alu instid0(VALU_DEP_3) | instskip(SKIP_1) | instid1(VALU_DEP_4)
	v_add_f32_e32 v2, v2, v100
	v_fma_f32 v4, v16, v8, -v4
	v_dual_add_f32 v5, v5, v6 :: v_dual_mul_f32 v6, v99, v21
	s_delay_alu instid0(VALU_DEP_3) | instskip(SKIP_1) | instid1(VALU_DEP_2)
	v_dual_fmac_f32 v103, v99, v20 :: v_dual_add_f32 v2, v2, v101
	v_fma_f32 v7, v18, v10, -v7
	v_add_f32_e32 v2, v2, v102
	s_delay_alu instid0(VALU_DEP_1) | instskip(SKIP_2) | instid1(VALU_DEP_2)
	v_add_f32_e32 v2, v2, v103
	v_add_f32_e32 v4, v5, v4
	v_fma_f32 v5, v98, v20, -v6
	v_add_f32_e32 v4, v4, v7
	s_wait_loadcnt 0x0
	s_delay_alu instid0(VALU_DEP_1) | instskip(NEXT) | instid1(VALU_DEP_1)
	v_dual_add_f32 v4, v4, v5 :: v_dual_sub_f32 v5, v23, v2
	v_sub_f32_e32 v4, v22, v4
	scratch_store_b64 off, v[4:5], off offset:248
	v_cmpx_lt_u32_e32 30, v0
	s_cbranch_execz .LBB36_175
; %bb.174:
	scratch_load_b64 v[4:5], off, off offset:240
	v_mov_b32_e32 v2, v1
	scratch_store_b64 off, v[1:2], off offset:240
	s_wait_loadcnt 0x0
	ds_store_b64 v3, v[4:5]
.LBB36_175:
	s_wait_alu 0xfffe
	s_or_b32 exec_lo, exec_lo, s0
	s_wait_storecnt_dscnt 0x0
	s_barrier_signal -1
	s_barrier_wait -1
	global_inv scope:SCOPE_SE
	s_clause 0x3
	scratch_load_b128 v[4:7], off, off offset:248
	scratch_load_b128 v[8:11], off, off offset:264
	;; [unrolled: 1-line block ×3, first 2 shown]
	scratch_load_b64 v[102:103], off, off offset:240
	ds_load_2addr_b64 v[16:19], v1 offset0:69 offset1:70
	ds_load_2addr_b64 v[20:23], v1 offset0:71 offset1:72
	;; [unrolled: 1-line block ×3, first 2 shown]
	s_mov_b32 s0, exec_lo
	s_wait_loadcnt_dscnt 0x302
	v_dual_mul_f32 v1, v16, v5 :: v_dual_mul_f32 v2, v18, v7
	v_mul_f32_e32 v5, v17, v5
	s_wait_loadcnt_dscnt 0x201
	v_dual_mul_f32 v7, v19, v7 :: v_dual_mul_f32 v104, v20, v9
	s_delay_alu instid0(VALU_DEP_3) | instskip(NEXT) | instid1(VALU_DEP_3)
	v_dual_mul_f32 v105, v22, v11 :: v_dual_fmac_f32 v2, v19, v6
	v_fma_f32 v5, v16, v4, -v5
	v_fmac_f32_e32 v1, v17, v4
	v_mul_f32_e32 v4, v21, v9
	v_fma_f32 v6, v18, v6, -v7
	s_wait_loadcnt_dscnt 0x100
	v_dual_mul_f32 v106, v98, v13 :: v_dual_mul_f32 v107, v100, v15
	v_dual_add_f32 v5, 0, v5 :: v_dual_fmac_f32 v104, v21, v8
	v_fma_f32 v4, v20, v8, -v4
	s_delay_alu instid0(VALU_DEP_3) | instskip(NEXT) | instid1(VALU_DEP_3)
	v_dual_fmac_f32 v106, v99, v12 :: v_dual_fmac_f32 v107, v101, v14
	v_add_f32_e32 v5, v5, v6
	v_add_f32_e32 v1, 0, v1
	s_delay_alu instid0(VALU_DEP_2) | instskip(SKIP_1) | instid1(VALU_DEP_1)
	v_dual_fmac_f32 v105, v23, v10 :: v_dual_add_f32 v4, v5, v4
	v_mul_f32_e32 v7, v23, v11
	v_fma_f32 v6, v22, v10, -v7
	s_delay_alu instid0(VALU_DEP_1) | instskip(NEXT) | instid1(VALU_DEP_1)
	v_dual_add_f32 v4, v4, v6 :: v_dual_mul_f32 v5, v101, v15
	v_fma_f32 v5, v100, v14, -v5
	v_dual_add_f32 v1, v1, v2 :: v_dual_mul_f32 v2, v99, v13
	s_delay_alu instid0(VALU_DEP_1) | instskip(NEXT) | instid1(VALU_DEP_1)
	v_fma_f32 v2, v98, v12, -v2
	v_add_f32_e32 v2, v4, v2
	s_delay_alu instid0(VALU_DEP_1) | instskip(NEXT) | instid1(VALU_DEP_1)
	v_dual_add_f32 v2, v2, v5 :: v_dual_add_f32 v1, v1, v104
	v_add_f32_e32 v1, v1, v105
	s_delay_alu instid0(VALU_DEP_1) | instskip(SKIP_1) | instid1(VALU_DEP_1)
	v_add_f32_e32 v1, v1, v106
	s_wait_loadcnt 0x0
	v_dual_add_f32 v4, v1, v107 :: v_dual_sub_f32 v1, v102, v2
	s_delay_alu instid0(VALU_DEP_1)
	v_sub_f32_e32 v2, v103, v4
	scratch_store_b64 off, v[1:2], off offset:240
	v_cmpx_lt_u32_e32 29, v0
	s_cbranch_execz .LBB36_177
; %bb.176:
	scratch_load_b64 v[1:2], off, off offset:232
	v_mov_b32_e32 v4, 0
	s_delay_alu instid0(VALU_DEP_1)
	v_mov_b32_e32 v5, v4
	scratch_store_b64 off, v[4:5], off offset:232
	s_wait_loadcnt 0x0
	ds_store_b64 v3, v[1:2]
.LBB36_177:
	s_wait_alu 0xfffe
	s_or_b32 exec_lo, exec_lo, s0
	s_wait_storecnt_dscnt 0x0
	s_barrier_signal -1
	s_barrier_wait -1
	global_inv scope:SCOPE_SE
	s_clause 0x4
	scratch_load_b128 v[4:7], off, off offset:240
	scratch_load_b128 v[8:11], off, off offset:256
	;; [unrolled: 1-line block ×3, first 2 shown]
	scratch_load_b64 v[102:103], off, off offset:288
	scratch_load_b64 v[104:105], off, off offset:232
	v_mov_b32_e32 v1, 0
	ds_load_b128 v[16:19], v1 offset:544
	ds_load_b128 v[20:23], v1 offset:560
	ds_load_b128 v[98:101], v1 offset:576
	ds_load_b64 v[106:107], v1 offset:592
	s_mov_b32 s0, exec_lo
	s_wait_loadcnt_dscnt 0x403
	v_mul_f32_e32 v2, v16, v5
	s_wait_loadcnt_dscnt 0x302
	v_dual_mul_f32 v110, v22, v11 :: v_dual_mul_f32 v5, v17, v5
	v_dual_mul_f32 v108, v18, v7 :: v_dual_mul_f32 v109, v20, v9
	s_wait_loadcnt_dscnt 0x100
	v_dual_mul_f32 v113, v106, v103 :: v_dual_fmac_f32 v2, v17, v4
	v_mul_f32_e32 v7, v19, v7
	v_fma_f32 v5, v16, v4, -v5
	v_mul_f32_e32 v4, v21, v9
	v_fmac_f32_e32 v108, v19, v6
	v_add_f32_e32 v2, 0, v2
	v_fma_f32 v6, v18, v6, -v7
	v_add_f32_e32 v5, 0, v5
	v_mul_f32_e32 v7, v23, v11
	v_fmac_f32_e32 v109, v21, v8
	v_add_f32_e32 v2, v2, v108
	v_dual_mul_f32 v111, v98, v13 :: v_dual_mul_f32 v112, v100, v15
	v_add_f32_e32 v5, v5, v6
	v_fma_f32 v4, v20, v8, -v4
	v_mul_f32_e32 v6, v99, v13
	v_fmac_f32_e32 v110, v23, v10
	v_dual_add_f32 v2, v2, v109 :: v_dual_fmac_f32 v111, v99, v12
	v_fma_f32 v7, v22, v10, -v7
	v_add_f32_e32 v4, v5, v4
	s_delay_alu instid0(VALU_DEP_3) | instskip(SKIP_2) | instid1(VALU_DEP_4)
	v_dual_mul_f32 v5, v101, v15 :: v_dual_add_f32 v2, v2, v110
	v_fma_f32 v6, v98, v12, -v6
	v_fmac_f32_e32 v112, v101, v14
	v_dual_add_f32 v4, v4, v7 :: v_dual_fmac_f32 v113, v107, v102
	s_delay_alu instid0(VALU_DEP_4) | instskip(SKIP_2) | instid1(VALU_DEP_4)
	v_add_f32_e32 v2, v2, v111
	v_mul_f32_e32 v7, v107, v103
	v_fma_f32 v5, v100, v14, -v5
	v_add_f32_e32 v4, v4, v6
	s_delay_alu instid0(VALU_DEP_4) | instskip(NEXT) | instid1(VALU_DEP_4)
	v_add_f32_e32 v2, v2, v112
	v_fma_f32 v6, v106, v102, -v7
	s_delay_alu instid0(VALU_DEP_2) | instskip(SKIP_1) | instid1(VALU_DEP_1)
	v_add_f32_e32 v2, v2, v113
	s_wait_loadcnt 0x0
	v_dual_add_f32 v4, v4, v5 :: v_dual_sub_f32 v5, v105, v2
	s_delay_alu instid0(VALU_DEP_1) | instskip(NEXT) | instid1(VALU_DEP_1)
	v_add_f32_e32 v4, v4, v6
	v_sub_f32_e32 v4, v104, v4
	scratch_store_b64 off, v[4:5], off offset:232
	v_cmpx_lt_u32_e32 28, v0
	s_cbranch_execz .LBB36_179
; %bb.178:
	scratch_load_b64 v[4:5], off, off offset:224
	v_mov_b32_e32 v2, v1
	scratch_store_b64 off, v[1:2], off offset:224
	s_wait_loadcnt 0x0
	ds_store_b64 v3, v[4:5]
.LBB36_179:
	s_wait_alu 0xfffe
	s_or_b32 exec_lo, exec_lo, s0
	s_wait_storecnt_dscnt 0x0
	s_barrier_signal -1
	s_barrier_wait -1
	global_inv scope:SCOPE_SE
	s_clause 0x4
	scratch_load_b128 v[4:7], off, off offset:232
	scratch_load_b128 v[8:11], off, off offset:248
	;; [unrolled: 1-line block ×4, first 2 shown]
	scratch_load_b64 v[110:111], off, off offset:224
	ds_load_2addr_b64 v[20:23], v1 offset0:67 offset1:68
	ds_load_2addr_b64 v[98:101], v1 offset0:69 offset1:70
	ds_load_2addr_b64 v[102:105], v1 offset0:71 offset1:72
	ds_load_2addr_b64 v[106:109], v1 offset0:73 offset1:74
	s_mov_b32 s0, exec_lo
	s_wait_loadcnt_dscnt 0x403
	v_dual_mul_f32 v1, v20, v5 :: v_dual_mul_f32 v2, v22, v7
	v_mul_f32_e32 v5, v21, v5
	s_wait_loadcnt_dscnt 0x302
	v_dual_mul_f32 v112, v98, v9 :: v_dual_mul_f32 v113, v100, v11
	s_delay_alu instid0(VALU_DEP_3) | instskip(NEXT) | instid1(VALU_DEP_3)
	v_dual_fmac_f32 v1, v21, v4 :: v_dual_fmac_f32 v2, v23, v6
	v_fma_f32 v5, v20, v4, -v5
	v_mul_f32_e32 v4, v99, v9
	s_wait_loadcnt_dscnt 0x201
	v_dual_mul_f32 v114, v102, v13 :: v_dual_mul_f32 v115, v104, v15
	v_add_f32_e32 v1, 0, v1
	v_dual_add_f32 v5, 0, v5 :: v_dual_fmac_f32 v112, v99, v8
	v_fma_f32 v4, v98, v8, -v4
	s_wait_loadcnt_dscnt 0x100
	v_dual_mul_f32 v7, v23, v7 :: v_dual_mul_f32 v116, v106, v17
	v_dual_mul_f32 v117, v108, v19 :: v_dual_fmac_f32 v114, v103, v12
	v_add_f32_e32 v1, v1, v2
	s_delay_alu instid0(VALU_DEP_3) | instskip(SKIP_1) | instid1(VALU_DEP_4)
	v_fma_f32 v6, v22, v6, -v7
	v_dual_mul_f32 v7, v101, v11 :: v_dual_mul_f32 v2, v103, v13
	v_dual_fmac_f32 v116, v107, v16 :: v_dual_fmac_f32 v117, v109, v18
	s_delay_alu instid0(VALU_DEP_3) | instskip(NEXT) | instid1(VALU_DEP_3)
	v_add_f32_e32 v5, v5, v6
	v_fma_f32 v6, v100, v10, -v7
	s_delay_alu instid0(VALU_DEP_4) | instskip(NEXT) | instid1(VALU_DEP_3)
	v_fma_f32 v2, v102, v12, -v2
	v_add_f32_e32 v4, v5, v4
	s_delay_alu instid0(VALU_DEP_1) | instskip(SKIP_1) | instid1(VALU_DEP_2)
	v_dual_add_f32 v1, v1, v112 :: v_dual_add_f32 v4, v4, v6
	v_dual_mul_f32 v5, v105, v15 :: v_dual_mul_f32 v6, v107, v17
	v_add_f32_e32 v2, v4, v2
	s_delay_alu instid0(VALU_DEP_2) | instskip(SKIP_3) | instid1(VALU_DEP_4)
	v_fma_f32 v5, v104, v14, -v5
	v_fmac_f32_e32 v113, v101, v10
	v_mul_f32_e32 v4, v109, v19
	v_fma_f32 v6, v106, v16, -v6
	v_add_f32_e32 v2, v2, v5
	s_delay_alu instid0(VALU_DEP_4) | instskip(NEXT) | instid1(VALU_DEP_4)
	v_add_f32_e32 v1, v1, v113
	v_fma_f32 v4, v108, v18, -v4
	s_delay_alu instid0(VALU_DEP_3) | instskip(SKIP_1) | instid1(VALU_DEP_2)
	v_add_f32_e32 v2, v2, v6
	v_fmac_f32_e32 v115, v105, v14
	v_dual_add_f32 v1, v1, v114 :: v_dual_add_f32 v2, v2, v4
	s_delay_alu instid0(VALU_DEP_1) | instskip(NEXT) | instid1(VALU_DEP_1)
	v_add_f32_e32 v1, v1, v115
	v_add_f32_e32 v1, v1, v116
	s_wait_loadcnt 0x0
	s_delay_alu instid0(VALU_DEP_1) | instskip(NEXT) | instid1(VALU_DEP_1)
	v_dual_add_f32 v4, v1, v117 :: v_dual_sub_f32 v1, v110, v2
	v_sub_f32_e32 v2, v111, v4
	scratch_store_b64 off, v[1:2], off offset:224
	v_cmpx_lt_u32_e32 27, v0
	s_cbranch_execz .LBB36_181
; %bb.180:
	scratch_load_b64 v[1:2], off, off offset:216
	v_mov_b32_e32 v4, 0
	s_delay_alu instid0(VALU_DEP_1)
	v_mov_b32_e32 v5, v4
	scratch_store_b64 off, v[4:5], off offset:216
	s_wait_loadcnt 0x0
	ds_store_b64 v3, v[1:2]
.LBB36_181:
	s_wait_alu 0xfffe
	s_or_b32 exec_lo, exec_lo, s0
	s_wait_storecnt_dscnt 0x0
	s_barrier_signal -1
	s_barrier_wait -1
	global_inv scope:SCOPE_SE
	s_clause 0x5
	scratch_load_b128 v[4:7], off, off offset:224
	scratch_load_b128 v[8:11], off, off offset:240
	;; [unrolled: 1-line block ×4, first 2 shown]
	scratch_load_b64 v[110:111], off, off offset:288
	scratch_load_b64 v[112:113], off, off offset:216
	v_mov_b32_e32 v1, 0
	ds_load_b128 v[20:23], v1 offset:528
	ds_load_b128 v[98:101], v1 offset:544
	;; [unrolled: 1-line block ×4, first 2 shown]
	ds_load_b64 v[114:115], v1 offset:592
	s_mov_b32 s0, exec_lo
	s_wait_loadcnt_dscnt 0x504
	v_mul_f32_e32 v2, v20, v5
	v_dual_mul_f32 v116, v22, v7 :: v_dual_mul_f32 v5, v21, v5
	s_wait_loadcnt_dscnt 0x403
	v_dual_mul_f32 v117, v98, v9 :: v_dual_mul_f32 v118, v100, v11
	s_wait_loadcnt_dscnt 0x100
	v_dual_mul_f32 v123, v114, v111 :: v_dual_fmac_f32 v2, v21, v4
	v_mul_f32_e32 v7, v23, v7
	v_fma_f32 v5, v20, v4, -v5
	v_mul_f32_e32 v4, v99, v9
	v_fmac_f32_e32 v116, v23, v6
	v_add_f32_e32 v2, 0, v2
	v_fma_f32 v6, v22, v6, -v7
	v_add_f32_e32 v5, 0, v5
	v_mul_f32_e32 v7, v101, v11
	v_fma_f32 v4, v98, v8, -v4
	v_dual_fmac_f32 v117, v99, v8 :: v_dual_fmac_f32 v118, v101, v10
	s_delay_alu instid0(VALU_DEP_4) | instskip(SKIP_3) | instid1(VALU_DEP_4)
	v_dual_add_f32 v5, v5, v6 :: v_dual_add_f32 v2, v2, v116
	v_mul_f32_e32 v6, v103, v13
	v_fma_f32 v7, v100, v10, -v7
	v_dual_mul_f32 v119, v102, v13 :: v_dual_mul_f32 v120, v104, v15
	v_dual_add_f32 v4, v5, v4 :: v_dual_mul_f32 v121, v106, v17
	v_mul_f32_e32 v122, v108, v19
	s_delay_alu instid0(VALU_DEP_3) | instskip(SKIP_3) | instid1(VALU_DEP_4)
	v_dual_add_f32 v2, v2, v117 :: v_dual_fmac_f32 v119, v103, v12
	v_mul_f32_e32 v5, v105, v15
	v_fma_f32 v6, v102, v12, -v6
	v_dual_add_f32 v4, v4, v7 :: v_dual_fmac_f32 v121, v107, v16
	v_add_f32_e32 v2, v2, v118
	s_delay_alu instid0(VALU_DEP_4) | instskip(NEXT) | instid1(VALU_DEP_3)
	v_fma_f32 v5, v104, v14, -v5
	v_dual_mul_f32 v7, v107, v17 :: v_dual_add_f32 v4, v4, v6
	v_fmac_f32_e32 v120, v105, v14
	v_dual_mul_f32 v6, v109, v19 :: v_dual_fmac_f32 v123, v115, v110
	s_delay_alu instid0(VALU_DEP_3) | instskip(NEXT) | instid1(VALU_DEP_4)
	v_fma_f32 v7, v106, v16, -v7
	v_dual_add_f32 v4, v4, v5 :: v_dual_mul_f32 v5, v115, v111
	v_add_f32_e32 v2, v2, v119
	v_fmac_f32_e32 v122, v109, v18
	v_fma_f32 v6, v108, v18, -v6
	s_delay_alu instid0(VALU_DEP_4) | instskip(SKIP_2) | instid1(VALU_DEP_3)
	v_add_f32_e32 v4, v4, v7
	v_fma_f32 v5, v114, v110, -v5
	v_add_f32_e32 v2, v2, v120
	v_add_f32_e32 v4, v4, v6
	s_delay_alu instid0(VALU_DEP_2) | instskip(NEXT) | instid1(VALU_DEP_2)
	v_add_f32_e32 v2, v2, v121
	v_add_f32_e32 v4, v4, v5
	s_delay_alu instid0(VALU_DEP_2) | instskip(SKIP_1) | instid1(VALU_DEP_2)
	v_add_f32_e32 v2, v2, v122
	s_wait_loadcnt 0x0
	v_sub_f32_e32 v4, v112, v4
	s_delay_alu instid0(VALU_DEP_2) | instskip(NEXT) | instid1(VALU_DEP_1)
	v_add_f32_e32 v2, v2, v123
	v_sub_f32_e32 v5, v113, v2
	scratch_store_b64 off, v[4:5], off offset:216
	v_cmpx_lt_u32_e32 26, v0
	s_cbranch_execz .LBB36_183
; %bb.182:
	scratch_load_b64 v[4:5], off, off offset:208
	v_mov_b32_e32 v2, v1
	scratch_store_b64 off, v[1:2], off offset:208
	s_wait_loadcnt 0x0
	ds_store_b64 v3, v[4:5]
.LBB36_183:
	s_wait_alu 0xfffe
	s_or_b32 exec_lo, exec_lo, s0
	s_wait_storecnt_dscnt 0x0
	s_barrier_signal -1
	s_barrier_wait -1
	global_inv scope:SCOPE_SE
	s_clause 0x5
	scratch_load_b128 v[4:7], off, off offset:216
	scratch_load_b128 v[8:11], off, off offset:232
	;; [unrolled: 1-line block ×5, first 2 shown]
	scratch_load_b64 v[118:119], off, off offset:208
	ds_load_2addr_b64 v[98:101], v1 offset0:65 offset1:66
	ds_load_2addr_b64 v[102:105], v1 offset0:67 offset1:68
	;; [unrolled: 1-line block ×5, first 2 shown]
	s_mov_b32 s0, exec_lo
	s_wait_loadcnt_dscnt 0x504
	v_dual_mul_f32 v1, v98, v5 :: v_dual_mul_f32 v2, v100, v7
	v_mul_f32_e32 v5, v99, v5
	s_wait_loadcnt_dscnt 0x403
	v_dual_mul_f32 v7, v101, v7 :: v_dual_mul_f32 v120, v102, v9
	s_delay_alu instid0(VALU_DEP_3) | instskip(NEXT) | instid1(VALU_DEP_3)
	v_dual_mul_f32 v121, v104, v11 :: v_dual_fmac_f32 v2, v101, v6
	v_fma_f32 v5, v98, v4, -v5
	v_fmac_f32_e32 v1, v99, v4
	v_mul_f32_e32 v4, v103, v9
	v_fma_f32 v6, v100, v6, -v7
	v_mul_f32_e32 v7, v105, v11
	v_dual_add_f32 v5, 0, v5 :: v_dual_fmac_f32 v120, v103, v8
	s_delay_alu instid0(VALU_DEP_4) | instskip(SKIP_2) | instid1(VALU_DEP_3)
	v_fma_f32 v4, v102, v8, -v4
	s_wait_loadcnt_dscnt 0x302
	v_dual_mul_f32 v122, v106, v13 :: v_dual_mul_f32 v123, v108, v15
	v_add_f32_e32 v5, v5, v6
	v_fma_f32 v6, v104, v10, -v7
	s_wait_loadcnt_dscnt 0x201
	v_dual_mul_f32 v124, v110, v17 :: v_dual_mul_f32 v125, v112, v19
	v_fmac_f32_e32 v122, v107, v12
	v_add_f32_e32 v4, v5, v4
	s_wait_loadcnt_dscnt 0x100
	v_dual_mul_f32 v126, v114, v21 :: v_dual_mul_f32 v127, v116, v23
	v_dual_fmac_f32 v125, v113, v18 :: v_dual_fmac_f32 v124, v111, v16
	s_delay_alu instid0(VALU_DEP_3) | instskip(NEXT) | instid1(VALU_DEP_3)
	v_dual_add_f32 v4, v4, v6 :: v_dual_add_f32 v1, 0, v1
	v_dual_mul_f32 v6, v111, v17 :: v_dual_fmac_f32 v127, v117, v22
	s_delay_alu instid0(VALU_DEP_2) | instskip(SKIP_1) | instid1(VALU_DEP_3)
	v_dual_fmac_f32 v126, v115, v20 :: v_dual_add_f32 v1, v1, v2
	v_mul_f32_e32 v2, v107, v13
	v_fma_f32 v6, v110, v16, -v6
	v_mul_f32_e32 v5, v109, v15
	s_delay_alu instid0(VALU_DEP_3) | instskip(SKIP_1) | instid1(VALU_DEP_3)
	v_fma_f32 v2, v106, v12, -v2
	v_add_f32_e32 v1, v1, v120
	v_fma_f32 v5, v108, v14, -v5
	s_delay_alu instid0(VALU_DEP_3) | instskip(SKIP_2) | instid1(VALU_DEP_3)
	v_add_f32_e32 v2, v4, v2
	v_fmac_f32_e32 v121, v105, v10
	v_mul_f32_e32 v4, v113, v19
	v_add_f32_e32 v2, v2, v5
	s_delay_alu instid0(VALU_DEP_3) | instskip(SKIP_1) | instid1(VALU_DEP_4)
	v_add_f32_e32 v1, v1, v121
	v_mul_f32_e32 v5, v115, v21
	v_fma_f32 v4, v112, v18, -v4
	s_delay_alu instid0(VALU_DEP_4) | instskip(SKIP_3) | instid1(VALU_DEP_4)
	v_add_f32_e32 v2, v2, v6
	v_fmac_f32_e32 v123, v109, v14
	v_mul_f32_e32 v6, v117, v23
	v_fma_f32 v5, v114, v20, -v5
	v_dual_add_f32 v2, v2, v4 :: v_dual_add_f32 v1, v1, v122
	s_delay_alu instid0(VALU_DEP_3) | instskip(NEXT) | instid1(VALU_DEP_2)
	v_fma_f32 v4, v116, v22, -v6
	v_dual_add_f32 v2, v2, v5 :: v_dual_add_f32 v1, v1, v123
	s_delay_alu instid0(VALU_DEP_1) | instskip(NEXT) | instid1(VALU_DEP_2)
	v_add_f32_e32 v2, v2, v4
	v_add_f32_e32 v1, v1, v124
	s_delay_alu instid0(VALU_DEP_1) | instskip(NEXT) | instid1(VALU_DEP_1)
	v_add_f32_e32 v1, v1, v125
	v_add_f32_e32 v1, v1, v126
	s_wait_loadcnt 0x0
	s_delay_alu instid0(VALU_DEP_1) | instskip(NEXT) | instid1(VALU_DEP_1)
	v_dual_add_f32 v4, v1, v127 :: v_dual_sub_f32 v1, v118, v2
	v_sub_f32_e32 v2, v119, v4
	scratch_store_b64 off, v[1:2], off offset:208
	v_cmpx_lt_u32_e32 25, v0
	s_cbranch_execz .LBB36_185
; %bb.184:
	scratch_load_b64 v[1:2], off, off offset:200
	v_mov_b32_e32 v4, 0
	s_delay_alu instid0(VALU_DEP_1)
	v_mov_b32_e32 v5, v4
	scratch_store_b64 off, v[4:5], off offset:200
	s_wait_loadcnt 0x0
	ds_store_b64 v3, v[1:2]
.LBB36_185:
	s_wait_alu 0xfffe
	s_or_b32 exec_lo, exec_lo, s0
	s_wait_storecnt_dscnt 0x0
	s_barrier_signal -1
	s_barrier_wait -1
	global_inv scope:SCOPE_SE
	s_clause 0x6
	scratch_load_b128 v[4:7], off, off offset:208
	scratch_load_b128 v[8:11], off, off offset:224
	;; [unrolled: 1-line block ×5, first 2 shown]
	scratch_load_b64 v[118:119], off, off offset:288
	scratch_load_b64 v[120:121], off, off offset:200
	v_mov_b32_e32 v1, 0
	ds_load_b128 v[98:101], v1 offset:512
	ds_load_b128 v[102:105], v1 offset:528
	;; [unrolled: 1-line block ×5, first 2 shown]
	ds_load_b64 v[122:123], v1 offset:592
	s_mov_b32 s0, exec_lo
	s_wait_loadcnt_dscnt 0x605
	v_mul_f32_e32 v2, v98, v5
	v_dual_mul_f32 v5, v99, v5 :: v_dual_mul_f32 v124, v100, v7
	s_wait_loadcnt_dscnt 0x302
	v_dual_mul_f32 v125, v102, v9 :: v_dual_mul_f32 v130, v112, v19
	v_mul_f32_e32 v7, v101, v7
	s_delay_alu instid0(VALU_DEP_3) | instskip(SKIP_3) | instid1(VALU_DEP_3)
	v_fma_f32 v5, v98, v4, -v5
	s_wait_loadcnt_dscnt 0x100
	v_dual_mul_f32 v133, v122, v119 :: v_dual_fmac_f32 v2, v99, v4
	v_mul_f32_e32 v4, v103, v9
	v_dual_fmac_f32 v124, v101, v6 :: v_dual_add_f32 v5, 0, v5
	v_fma_f32 v6, v100, v6, -v7
	s_delay_alu instid0(VALU_DEP_4) | instskip(NEXT) | instid1(VALU_DEP_4)
	v_dual_add_f32 v2, 0, v2 :: v_dual_mul_f32 v7, v105, v11
	v_fma_f32 v4, v102, v8, -v4
	v_dual_mul_f32 v126, v104, v11 :: v_dual_mul_f32 v127, v106, v13
	s_delay_alu instid0(VALU_DEP_3) | instskip(NEXT) | instid1(VALU_DEP_2)
	v_dual_add_f32 v5, v5, v6 :: v_dual_add_f32 v2, v2, v124
	v_dual_fmac_f32 v125, v103, v8 :: v_dual_fmac_f32 v126, v105, v10
	v_mul_f32_e32 v6, v107, v13
	v_fma_f32 v7, v104, v10, -v7
	s_delay_alu instid0(VALU_DEP_4) | instskip(SKIP_4) | instid1(VALU_DEP_4)
	v_add_f32_e32 v4, v5, v4
	v_dual_mul_f32 v128, v108, v15 :: v_dual_mul_f32 v129, v110, v17
	v_dual_add_f32 v2, v2, v125 :: v_dual_fmac_f32 v127, v107, v12
	v_mul_f32_e32 v5, v109, v15
	v_fma_f32 v6, v106, v12, -v6
	v_dual_add_f32 v4, v4, v7 :: v_dual_fmac_f32 v129, v111, v16
	s_delay_alu instid0(VALU_DEP_4) | instskip(NEXT) | instid1(VALU_DEP_4)
	v_add_f32_e32 v2, v2, v126
	v_fma_f32 v5, v108, v14, -v5
	v_dual_mul_f32 v131, v114, v21 :: v_dual_mul_f32 v132, v116, v23
	s_delay_alu instid0(VALU_DEP_4) | instskip(NEXT) | instid1(VALU_DEP_2)
	v_dual_add_f32 v4, v4, v6 :: v_dual_mul_f32 v7, v111, v17
	v_dual_fmac_f32 v128, v109, v14 :: v_dual_fmac_f32 v131, v115, v20
	v_mul_f32_e32 v6, v113, v19
	s_delay_alu instid0(VALU_DEP_3)
	v_add_f32_e32 v4, v4, v5
	v_dual_mul_f32 v5, v115, v21 :: v_dual_add_f32 v2, v2, v127
	v_fmac_f32_e32 v133, v123, v118
	v_fma_f32 v7, v110, v16, -v7
	v_fmac_f32_e32 v130, v113, v18
	v_fma_f32 v6, v112, v18, -v6
	v_add_f32_e32 v2, v2, v128
	v_fma_f32 v5, v114, v20, -v5
	v_add_f32_e32 v4, v4, v7
	v_mul_f32_e32 v7, v117, v23
	v_fmac_f32_e32 v132, v117, v22
	v_add_f32_e32 v2, v2, v129
	s_delay_alu instid0(VALU_DEP_4) | instskip(SKIP_2) | instid1(VALU_DEP_4)
	v_add_f32_e32 v4, v4, v6
	v_mul_f32_e32 v6, v123, v119
	v_fma_f32 v7, v116, v22, -v7
	v_add_f32_e32 v2, v2, v130
	s_delay_alu instid0(VALU_DEP_4) | instskip(NEXT) | instid1(VALU_DEP_4)
	v_add_f32_e32 v4, v4, v5
	v_fma_f32 v5, v122, v118, -v6
	s_delay_alu instid0(VALU_DEP_3) | instskip(NEXT) | instid1(VALU_DEP_3)
	v_add_f32_e32 v2, v2, v131
	v_add_f32_e32 v4, v4, v7
	s_delay_alu instid0(VALU_DEP_2) | instskip(NEXT) | instid1(VALU_DEP_2)
	v_add_f32_e32 v2, v2, v132
	v_add_f32_e32 v4, v4, v5
	s_delay_alu instid0(VALU_DEP_2) | instskip(SKIP_1) | instid1(VALU_DEP_1)
	v_add_f32_e32 v2, v2, v133
	s_wait_loadcnt 0x0
	v_dual_sub_f32 v4, v120, v4 :: v_dual_sub_f32 v5, v121, v2
	scratch_store_b64 off, v[4:5], off offset:200
	v_cmpx_lt_u32_e32 24, v0
	s_cbranch_execz .LBB36_187
; %bb.186:
	scratch_load_b64 v[4:5], off, off offset:192
	v_mov_b32_e32 v2, v1
	scratch_store_b64 off, v[1:2], off offset:192
	s_wait_loadcnt 0x0
	ds_store_b64 v3, v[4:5]
.LBB36_187:
	s_wait_alu 0xfffe
	s_or_b32 exec_lo, exec_lo, s0
	s_wait_storecnt_dscnt 0x0
	s_barrier_signal -1
	s_barrier_wait -1
	global_inv scope:SCOPE_SE
	s_clause 0x6
	scratch_load_b128 v[4:7], off, off offset:200
	scratch_load_b128 v[8:11], off, off offset:216
	;; [unrolled: 1-line block ×6, first 2 shown]
	scratch_load_b64 v[126:127], off, off offset:192
	ds_load_2addr_b64 v[102:105], v1 offset0:63 offset1:64
	ds_load_2addr_b64 v[106:109], v1 offset0:65 offset1:66
	;; [unrolled: 1-line block ×6, first 2 shown]
	s_mov_b32 s0, exec_lo
	s_wait_loadcnt_dscnt 0x605
	v_dual_mul_f32 v1, v102, v5 :: v_dual_mul_f32 v2, v104, v7
	v_mul_f32_e32 v5, v103, v5
	s_wait_loadcnt_dscnt 0x504
	v_dual_mul_f32 v7, v105, v7 :: v_dual_mul_f32 v128, v106, v9
	v_mul_f32_e32 v129, v108, v11
	s_wait_loadcnt_dscnt 0x100
	v_mul_f32_e32 v136, v122, v99
	v_fma_f32 v5, v102, v4, -v5
	v_dual_mul_f32 v137, v124, v101 :: v_dual_fmac_f32 v2, v105, v6
	v_fmac_f32_e32 v1, v103, v4
	v_mul_f32_e32 v4, v107, v9
	v_fma_f32 v6, v104, v6, -v7
	v_dual_add_f32 v5, 0, v5 :: v_dual_fmac_f32 v128, v107, v8
	v_mul_f32_e32 v7, v109, v11
	s_delay_alu instid0(VALU_DEP_4) | instskip(SKIP_1) | instid1(VALU_DEP_4)
	v_fma_f32 v4, v106, v8, -v4
	v_dual_mul_f32 v130, v110, v13 :: v_dual_mul_f32 v131, v112, v15
	v_add_f32_e32 v5, v5, v6
	s_delay_alu instid0(VALU_DEP_4) | instskip(SKIP_1) | instid1(VALU_DEP_4)
	v_fma_f32 v6, v108, v10, -v7
	v_dual_mul_f32 v132, v114, v17 :: v_dual_mul_f32 v133, v116, v19
	v_fmac_f32_e32 v130, v111, v12
	s_delay_alu instid0(VALU_DEP_4) | instskip(SKIP_1) | instid1(VALU_DEP_4)
	v_add_f32_e32 v4, v5, v4
	v_dual_mul_f32 v134, v118, v21 :: v_dual_mul_f32 v135, v120, v23
	v_fmac_f32_e32 v132, v115, v16
	s_delay_alu instid0(VALU_DEP_3) | instskip(SKIP_4) | instid1(VALU_DEP_4)
	v_dual_fmac_f32 v137, v125, v100 :: v_dual_add_f32 v4, v4, v6
	v_add_f32_e32 v1, 0, v1
	v_mul_f32_e32 v6, v115, v17
	v_fmac_f32_e32 v134, v119, v20
	v_fmac_f32_e32 v136, v123, v98
	v_dual_add_f32 v1, v1, v2 :: v_dual_mul_f32 v2, v111, v13
	s_delay_alu instid0(VALU_DEP_4) | instskip(SKIP_1) | instid1(VALU_DEP_3)
	v_fma_f32 v6, v114, v16, -v6
	v_mul_f32_e32 v5, v113, v15
	v_fma_f32 v2, v110, v12, -v2
	s_delay_alu instid0(VALU_DEP_4) | instskip(NEXT) | instid1(VALU_DEP_3)
	v_add_f32_e32 v1, v1, v128
	v_fma_f32 v5, v112, v14, -v5
	s_delay_alu instid0(VALU_DEP_3) | instskip(SKIP_2) | instid1(VALU_DEP_3)
	v_add_f32_e32 v2, v4, v2
	v_fmac_f32_e32 v129, v109, v10
	v_mul_f32_e32 v4, v117, v19
	v_add_f32_e32 v2, v2, v5
	s_delay_alu instid0(VALU_DEP_3) | instskip(SKIP_1) | instid1(VALU_DEP_4)
	v_add_f32_e32 v1, v1, v129
	v_mul_f32_e32 v5, v119, v21
	v_fma_f32 v4, v116, v18, -v4
	s_delay_alu instid0(VALU_DEP_4)
	v_add_f32_e32 v2, v2, v6
	v_fmac_f32_e32 v131, v113, v14
	v_add_f32_e32 v1, v1, v130
	v_mul_f32_e32 v6, v121, v23
	v_fma_f32 v5, v118, v20, -v5
	v_add_f32_e32 v2, v2, v4
	v_mul_f32_e32 v4, v123, v99
	v_add_f32_e32 v1, v1, v131
	v_fma_f32 v6, v120, v22, -v6
	s_delay_alu instid0(VALU_DEP_4) | instskip(SKIP_1) | instid1(VALU_DEP_4)
	v_add_f32_e32 v2, v2, v5
	v_mul_f32_e32 v5, v125, v101
	v_add_f32_e32 v1, v1, v132
	v_fma_f32 v4, v122, v98, -v4
	s_delay_alu instid0(VALU_DEP_4) | instskip(SKIP_2) | instid1(VALU_DEP_2)
	v_add_f32_e32 v2, v2, v6
	v_fmac_f32_e32 v133, v117, v18
	v_fma_f32 v5, v124, v100, -v5
	v_dual_add_f32 v2, v2, v4 :: v_dual_add_f32 v1, v1, v133
	s_delay_alu instid0(VALU_DEP_1) | instskip(NEXT) | instid1(VALU_DEP_2)
	v_dual_fmac_f32 v135, v121, v22 :: v_dual_add_f32 v2, v2, v5
	v_add_f32_e32 v1, v1, v134
	s_delay_alu instid0(VALU_DEP_1) | instskip(NEXT) | instid1(VALU_DEP_1)
	v_add_f32_e32 v1, v1, v135
	v_add_f32_e32 v1, v1, v136
	s_wait_loadcnt 0x0
	s_delay_alu instid0(VALU_DEP_1) | instskip(NEXT) | instid1(VALU_DEP_1)
	v_dual_add_f32 v4, v1, v137 :: v_dual_sub_f32 v1, v126, v2
	v_sub_f32_e32 v2, v127, v4
	scratch_store_b64 off, v[1:2], off offset:192
	v_cmpx_lt_u32_e32 23, v0
	s_cbranch_execz .LBB36_189
; %bb.188:
	scratch_load_b64 v[1:2], off, off offset:184
	v_mov_b32_e32 v4, 0
	s_delay_alu instid0(VALU_DEP_1)
	v_mov_b32_e32 v5, v4
	scratch_store_b64 off, v[4:5], off offset:184
	s_wait_loadcnt 0x0
	ds_store_b64 v3, v[1:2]
.LBB36_189:
	s_wait_alu 0xfffe
	s_or_b32 exec_lo, exec_lo, s0
	s_wait_storecnt_dscnt 0x0
	s_barrier_signal -1
	s_barrier_wait -1
	global_inv scope:SCOPE_SE
	s_clause 0x7
	scratch_load_b128 v[4:7], off, off offset:192
	scratch_load_b128 v[8:11], off, off offset:208
	scratch_load_b128 v[12:15], off, off offset:224
	scratch_load_b128 v[16:19], off, off offset:240
	scratch_load_b128 v[20:23], off, off offset:256
	scratch_load_b128 v[98:101], off, off offset:272
	scratch_load_b64 v[126:127], off, off offset:288
	scratch_load_b64 v[128:129], off, off offset:184
	v_mov_b32_e32 v1, 0
	ds_load_b128 v[102:105], v1 offset:496
	ds_load_b128 v[106:109], v1 offset:512
	;; [unrolled: 1-line block ×6, first 2 shown]
	ds_load_b64 v[130:131], v1 offset:592
	s_mov_b32 s0, exec_lo
	s_wait_loadcnt_dscnt 0x706
	v_mul_f32_e32 v2, v102, v5
	v_dual_mul_f32 v5, v103, v5 :: v_dual_mul_f32 v132, v104, v7
	s_wait_loadcnt_dscnt 0x302
	v_dual_mul_f32 v133, v106, v9 :: v_dual_mul_f32 v140, v120, v23
	v_mul_f32_e32 v7, v105, v7
	s_delay_alu instid0(VALU_DEP_3) | instskip(SKIP_3) | instid1(VALU_DEP_3)
	v_fma_f32 v5, v102, v4, -v5
	s_wait_loadcnt_dscnt 0x100
	v_dual_mul_f32 v143, v130, v127 :: v_dual_fmac_f32 v2, v103, v4
	v_mul_f32_e32 v4, v107, v9
	v_dual_fmac_f32 v132, v105, v6 :: v_dual_add_f32 v5, 0, v5
	v_fma_f32 v6, v104, v6, -v7
	s_delay_alu instid0(VALU_DEP_4) | instskip(NEXT) | instid1(VALU_DEP_4)
	v_dual_add_f32 v2, 0, v2 :: v_dual_mul_f32 v7, v109, v11
	v_fma_f32 v4, v106, v8, -v4
	v_dual_mul_f32 v136, v112, v15 :: v_dual_mul_f32 v137, v114, v17
	s_delay_alu instid0(VALU_DEP_3) | instskip(SKIP_3) | instid1(VALU_DEP_4)
	v_dual_add_f32 v5, v5, v6 :: v_dual_add_f32 v2, v2, v132
	v_mul_f32_e32 v6, v111, v13
	v_fma_f32 v7, v108, v10, -v7
	v_dual_mul_f32 v134, v108, v11 :: v_dual_mul_f32 v135, v110, v13
	v_add_f32_e32 v4, v5, v4
	v_mul_f32_e32 v5, v113, v15
	v_fma_f32 v6, v110, v12, -v6
	s_delay_alu instid0(VALU_DEP_4) | instskip(NEXT) | instid1(VALU_DEP_4)
	v_dual_fmac_f32 v133, v107, v8 :: v_dual_fmac_f32 v134, v109, v10
	v_dual_add_f32 v4, v4, v7 :: v_dual_fmac_f32 v137, v115, v16
	v_mul_f32_e32 v7, v115, v17
	v_fma_f32 v5, v112, v14, -v5
	v_dual_mul_f32 v141, v122, v99 :: v_dual_mul_f32 v142, v124, v101
	s_delay_alu instid0(VALU_DEP_4) | instskip(SKIP_1) | instid1(VALU_DEP_3)
	v_add_f32_e32 v4, v4, v6
	v_dual_add_f32 v2, v2, v133 :: v_dual_fmac_f32 v135, v111, v12
	v_dual_mul_f32 v6, v117, v19 :: v_dual_fmac_f32 v141, v123, v98
	v_fma_f32 v7, v114, v16, -v7
	s_delay_alu instid0(VALU_DEP_4) | instskip(NEXT) | instid1(VALU_DEP_4)
	v_add_f32_e32 v4, v4, v5
	v_dual_add_f32 v2, v2, v134 :: v_dual_mul_f32 v5, v119, v21
	s_delay_alu instid0(VALU_DEP_4) | instskip(SKIP_1) | instid1(VALU_DEP_4)
	v_fma_f32 v6, v116, v18, -v6
	v_dual_mul_f32 v138, v116, v19 :: v_dual_mul_f32 v139, v118, v21
	v_add_f32_e32 v4, v4, v7
	v_fmac_f32_e32 v136, v113, v14
	v_add_f32_e32 v2, v2, v135
	v_fma_f32 v5, v118, v20, -v5
	s_delay_alu instid0(VALU_DEP_4)
	v_dual_fmac_f32 v139, v119, v20 :: v_dual_add_f32 v4, v4, v6
	v_fmac_f32_e32 v138, v117, v18
	v_fmac_f32_e32 v143, v131, v126
	v_mul_f32_e32 v7, v121, v23
	v_mul_f32_e32 v6, v123, v99
	v_add_f32_e32 v4, v4, v5
	v_dual_mul_f32 v5, v125, v101 :: v_dual_add_f32 v2, v2, v136
	v_fmac_f32_e32 v140, v121, v22
	v_fma_f32 v7, v120, v22, -v7
	v_fma_f32 v6, v122, v98, -v6
	v_fmac_f32_e32 v142, v125, v100
	v_add_f32_e32 v2, v2, v137
	v_fma_f32 v5, v124, v100, -v5
	v_add_f32_e32 v4, v4, v7
	s_delay_alu instid0(VALU_DEP_3) | instskip(NEXT) | instid1(VALU_DEP_2)
	v_dual_mul_f32 v7, v131, v127 :: v_dual_add_f32 v2, v2, v138
	v_add_f32_e32 v4, v4, v6
	s_delay_alu instid0(VALU_DEP_2) | instskip(NEXT) | instid1(VALU_DEP_3)
	v_fma_f32 v6, v130, v126, -v7
	v_add_f32_e32 v2, v2, v139
	s_delay_alu instid0(VALU_DEP_3) | instskip(NEXT) | instid1(VALU_DEP_2)
	v_add_f32_e32 v4, v4, v5
	v_add_f32_e32 v2, v2, v140
	s_delay_alu instid0(VALU_DEP_2) | instskip(NEXT) | instid1(VALU_DEP_2)
	v_add_f32_e32 v4, v4, v6
	v_add_f32_e32 v2, v2, v141
	s_wait_loadcnt 0x0
	s_delay_alu instid0(VALU_DEP_2) | instskip(NEXT) | instid1(VALU_DEP_2)
	v_sub_f32_e32 v4, v128, v4
	v_add_f32_e32 v2, v2, v142
	s_delay_alu instid0(VALU_DEP_1) | instskip(NEXT) | instid1(VALU_DEP_1)
	v_add_f32_e32 v2, v2, v143
	v_sub_f32_e32 v5, v129, v2
	scratch_store_b64 off, v[4:5], off offset:184
	v_cmpx_lt_u32_e32 22, v0
	s_cbranch_execz .LBB36_191
; %bb.190:
	scratch_load_b64 v[4:5], off, off offset:176
	v_mov_b32_e32 v2, v1
	scratch_store_b64 off, v[1:2], off offset:176
	s_wait_loadcnt 0x0
	ds_store_b64 v3, v[4:5]
.LBB36_191:
	s_wait_alu 0xfffe
	s_or_b32 exec_lo, exec_lo, s0
	s_wait_storecnt_dscnt 0x0
	s_barrier_signal -1
	s_barrier_wait -1
	global_inv scope:SCOPE_SE
	s_clause 0x7
	scratch_load_b128 v[4:7], off, off offset:184
	scratch_load_b128 v[8:11], off, off offset:200
	;; [unrolled: 1-line block ×7, first 2 shown]
	scratch_load_b64 v[134:135], off, off offset:176
	ds_load_2addr_b64 v[106:109], v1 offset0:61 offset1:62
	ds_load_2addr_b64 v[110:113], v1 offset0:63 offset1:64
	;; [unrolled: 1-line block ×7, first 2 shown]
	s_mov_b32 s0, exec_lo
	s_wait_loadcnt_dscnt 0x706
	v_dual_mul_f32 v1, v106, v5 :: v_dual_mul_f32 v2, v108, v7
	v_mul_f32_e32 v5, v107, v5
	s_wait_loadcnt_dscnt 0x605
	v_dual_mul_f32 v7, v109, v7 :: v_dual_mul_f32 v136, v110, v9
	v_mul_f32_e32 v137, v112, v11
	s_wait_loadcnt_dscnt 0x201
	v_mul_f32_e32 v144, v126, v99
	v_fma_f32 v5, v106, v4, -v5
	s_wait_loadcnt_dscnt 0x100
	v_dual_mul_f32 v147, v132, v105 :: v_dual_fmac_f32 v2, v109, v6
	v_fmac_f32_e32 v1, v107, v4
	v_mul_f32_e32 v4, v111, v9
	v_fma_f32 v6, v108, v6, -v7
	v_dual_add_f32 v5, 0, v5 :: v_dual_fmac_f32 v136, v111, v8
	v_mul_f32_e32 v7, v113, v11
	s_delay_alu instid0(VALU_DEP_4) | instskip(SKIP_1) | instid1(VALU_DEP_4)
	v_fma_f32 v4, v110, v8, -v4
	v_dual_mul_f32 v138, v114, v13 :: v_dual_mul_f32 v139, v116, v15
	v_add_f32_e32 v5, v5, v6
	s_delay_alu instid0(VALU_DEP_4) | instskip(SKIP_2) | instid1(VALU_DEP_4)
	v_fma_f32 v6, v112, v10, -v7
	v_dual_mul_f32 v140, v118, v17 :: v_dual_mul_f32 v141, v120, v19
	v_dual_mul_f32 v142, v122, v21 :: v_dual_mul_f32 v143, v124, v23
	v_add_f32_e32 v4, v5, v4
	s_delay_alu instid0(VALU_DEP_3) | instskip(SKIP_1) | instid1(VALU_DEP_3)
	v_dual_fmac_f32 v138, v115, v12 :: v_dual_fmac_f32 v141, v121, v18
	v_dual_mul_f32 v145, v128, v101 :: v_dual_mul_f32 v146, v130, v103
	v_dual_add_f32 v4, v4, v6 :: v_dual_add_f32 v1, 0, v1
	v_mul_f32_e32 v6, v119, v17
	v_fmac_f32_e32 v140, v119, v16
	v_fmac_f32_e32 v147, v133, v104
	s_delay_alu instid0(VALU_DEP_4) | instskip(SKIP_4) | instid1(VALU_DEP_4)
	v_dual_fmac_f32 v142, v123, v20 :: v_dual_add_f32 v1, v1, v2
	v_mul_f32_e32 v2, v115, v13
	v_fma_f32 v6, v118, v16, -v6
	v_dual_mul_f32 v5, v117, v15 :: v_dual_fmac_f32 v144, v127, v98
	v_fmac_f32_e32 v146, v131, v102
	v_fma_f32 v2, v114, v12, -v2
	v_add_f32_e32 v1, v1, v136
	s_delay_alu instid0(VALU_DEP_4) | instskip(NEXT) | instid1(VALU_DEP_3)
	v_fma_f32 v5, v116, v14, -v5
	v_add_f32_e32 v2, v4, v2
	v_fmac_f32_e32 v137, v113, v10
	v_mul_f32_e32 v4, v121, v19
	s_delay_alu instid0(VALU_DEP_3) | instskip(NEXT) | instid1(VALU_DEP_3)
	v_add_f32_e32 v2, v2, v5
	v_add_f32_e32 v1, v1, v137
	v_mul_f32_e32 v5, v123, v21
	s_delay_alu instid0(VALU_DEP_4) | instskip(NEXT) | instid1(VALU_DEP_4)
	v_fma_f32 v4, v120, v18, -v4
	v_add_f32_e32 v2, v2, v6
	v_fmac_f32_e32 v139, v117, v14
	v_add_f32_e32 v1, v1, v138
	v_mul_f32_e32 v6, v125, v23
	v_fma_f32 v5, v122, v20, -v5
	v_add_f32_e32 v2, v2, v4
	v_mul_f32_e32 v4, v127, v99
	v_add_f32_e32 v1, v1, v139
	v_fma_f32 v6, v124, v22, -v6
	s_delay_alu instid0(VALU_DEP_4) | instskip(SKIP_1) | instid1(VALU_DEP_4)
	v_add_f32_e32 v2, v2, v5
	v_mul_f32_e32 v5, v129, v101
	v_add_f32_e32 v1, v1, v140
	v_fma_f32 v4, v126, v98, -v4
	s_delay_alu instid0(VALU_DEP_4) | instskip(NEXT) | instid1(VALU_DEP_3)
	v_add_f32_e32 v2, v2, v6
	v_dual_mul_f32 v6, v131, v103 :: v_dual_add_f32 v1, v1, v141
	v_fma_f32 v5, v128, v100, -v5
	s_delay_alu instid0(VALU_DEP_3) | instskip(SKIP_1) | instid1(VALU_DEP_4)
	v_dual_add_f32 v2, v2, v4 :: v_dual_fmac_f32 v143, v125, v22
	v_mul_f32_e32 v4, v133, v105
	v_fma_f32 v6, v130, v102, -v6
	s_delay_alu instid0(VALU_DEP_3) | instskip(NEXT) | instid1(VALU_DEP_3)
	v_dual_add_f32 v2, v2, v5 :: v_dual_fmac_f32 v145, v129, v100
	v_fma_f32 v4, v132, v104, -v4
	s_delay_alu instid0(VALU_DEP_2) | instskip(NEXT) | instid1(VALU_DEP_1)
	v_add_f32_e32 v2, v2, v6
	v_dual_add_f32 v1, v1, v142 :: v_dual_add_f32 v2, v2, v4
	s_delay_alu instid0(VALU_DEP_1) | instskip(NEXT) | instid1(VALU_DEP_1)
	v_add_f32_e32 v1, v1, v143
	v_add_f32_e32 v1, v1, v144
	s_delay_alu instid0(VALU_DEP_1) | instskip(NEXT) | instid1(VALU_DEP_1)
	v_add_f32_e32 v1, v1, v145
	v_add_f32_e32 v1, v1, v146
	s_wait_loadcnt 0x0
	s_delay_alu instid0(VALU_DEP_1) | instskip(NEXT) | instid1(VALU_DEP_1)
	v_dual_add_f32 v4, v1, v147 :: v_dual_sub_f32 v1, v134, v2
	v_sub_f32_e32 v2, v135, v4
	scratch_store_b64 off, v[1:2], off offset:176
	v_cmpx_lt_u32_e32 21, v0
	s_cbranch_execz .LBB36_193
; %bb.192:
	scratch_load_b64 v[1:2], off, off offset:168
	v_mov_b32_e32 v4, 0
	s_delay_alu instid0(VALU_DEP_1)
	v_mov_b32_e32 v5, v4
	scratch_store_b64 off, v[4:5], off offset:168
	s_wait_loadcnt 0x0
	ds_store_b64 v3, v[1:2]
.LBB36_193:
	s_wait_alu 0xfffe
	s_or_b32 exec_lo, exec_lo, s0
	s_wait_storecnt_dscnt 0x0
	s_barrier_signal -1
	s_barrier_wait -1
	global_inv scope:SCOPE_SE
	s_clause 0x8
	scratch_load_b128 v[4:7], off, off offset:176
	scratch_load_b128 v[8:11], off, off offset:192
	;; [unrolled: 1-line block ×7, first 2 shown]
	scratch_load_b64 v[134:135], off, off offset:288
	scratch_load_b64 v[136:137], off, off offset:168
	v_mov_b32_e32 v1, 0
	ds_load_b128 v[106:109], v1 offset:480
	ds_load_b128 v[110:113], v1 offset:496
	;; [unrolled: 1-line block ×7, first 2 shown]
	ds_load_b64 v[138:139], v1 offset:592
	s_mov_b32 s0, exec_lo
	s_wait_loadcnt_dscnt 0x807
	v_mul_f32_e32 v2, v106, v5
	v_dual_mul_f32 v5, v107, v5 :: v_dual_mul_f32 v140, v108, v7
	s_wait_loadcnt_dscnt 0x403
	v_dual_mul_f32 v141, v110, v9 :: v_dual_mul_f32 v148, v124, v23
	v_mul_f32_e32 v7, v109, v7
	s_delay_alu instid0(VALU_DEP_3) | instskip(SKIP_3) | instid1(VALU_DEP_3)
	v_fma_f32 v5, v106, v4, -v5
	s_wait_loadcnt_dscnt 0x100
	v_dual_mul_f32 v153, v138, v135 :: v_dual_fmac_f32 v2, v107, v4
	v_mul_f32_e32 v4, v111, v9
	v_dual_fmac_f32 v140, v109, v6 :: v_dual_add_f32 v5, 0, v5
	v_fma_f32 v6, v108, v6, -v7
	s_delay_alu instid0(VALU_DEP_4) | instskip(NEXT) | instid1(VALU_DEP_4)
	v_dual_add_f32 v2, 0, v2 :: v_dual_mul_f32 v7, v113, v11
	v_fma_f32 v4, v110, v8, -v4
	v_dual_mul_f32 v144, v116, v15 :: v_dual_mul_f32 v145, v118, v17
	s_delay_alu instid0(VALU_DEP_3) | instskip(SKIP_3) | instid1(VALU_DEP_4)
	v_dual_add_f32 v5, v5, v6 :: v_dual_add_f32 v2, v2, v140
	v_mul_f32_e32 v6, v115, v13
	v_fma_f32 v7, v112, v10, -v7
	v_dual_mul_f32 v142, v112, v11 :: v_dual_mul_f32 v143, v114, v13
	v_add_f32_e32 v4, v5, v4
	v_mul_f32_e32 v5, v117, v15
	v_fma_f32 v6, v114, v12, -v6
	s_delay_alu instid0(VALU_DEP_4) | instskip(NEXT) | instid1(VALU_DEP_4)
	v_dual_fmac_f32 v141, v111, v8 :: v_dual_fmac_f32 v142, v113, v10
	v_dual_add_f32 v4, v4, v7 :: v_dual_fmac_f32 v145, v119, v16
	v_mul_f32_e32 v7, v119, v17
	v_fma_f32 v5, v116, v14, -v5
	v_dual_mul_f32 v149, v126, v99 :: v_dual_mul_f32 v150, v128, v101
	s_delay_alu instid0(VALU_DEP_4) | instskip(SKIP_1) | instid1(VALU_DEP_3)
	v_add_f32_e32 v4, v4, v6
	v_dual_add_f32 v2, v2, v141 :: v_dual_fmac_f32 v143, v115, v12
	v_dual_mul_f32 v6, v121, v19 :: v_dual_fmac_f32 v149, v127, v98
	v_fma_f32 v7, v118, v16, -v7
	s_delay_alu instid0(VALU_DEP_4) | instskip(NEXT) | instid1(VALU_DEP_4)
	v_add_f32_e32 v4, v4, v5
	v_dual_add_f32 v2, v2, v142 :: v_dual_mul_f32 v5, v123, v21
	s_delay_alu instid0(VALU_DEP_4) | instskip(NEXT) | instid1(VALU_DEP_3)
	v_fma_f32 v6, v120, v18, -v6
	v_dual_fmac_f32 v153, v139, v134 :: v_dual_add_f32 v4, v4, v7
	v_mul_f32_e32 v7, v125, v23
	s_delay_alu instid0(VALU_DEP_4) | instskip(SKIP_1) | instid1(VALU_DEP_4)
	v_fma_f32 v5, v122, v20, -v5
	v_dual_mul_f32 v146, v120, v19 :: v_dual_mul_f32 v147, v122, v21
	v_add_f32_e32 v4, v4, v6
	v_fmac_f32_e32 v144, v117, v14
	v_add_f32_e32 v2, v2, v143
	v_mul_f32_e32 v6, v127, v99
	v_fma_f32 v7, v124, v22, -v7
	v_dual_add_f32 v4, v4, v5 :: v_dual_mul_f32 v151, v130, v103
	v_dual_mul_f32 v152, v132, v105 :: v_dual_fmac_f32 v147, v123, v20
	v_dual_mul_f32 v5, v129, v101 :: v_dual_add_f32 v2, v2, v144
	s_delay_alu instid0(VALU_DEP_3)
	v_fmac_f32_e32 v151, v131, v102
	v_fma_f32 v6, v126, v98, -v6
	v_add_f32_e32 v4, v4, v7
	v_fmac_f32_e32 v146, v121, v18
	v_add_f32_e32 v2, v2, v145
	v_fma_f32 v5, v128, v100, -v5
	v_fmac_f32_e32 v148, v125, v22
	v_dual_add_f32 v4, v4, v6 :: v_dual_mul_f32 v7, v131, v103
	v_fmac_f32_e32 v150, v129, v100
	v_mul_f32_e32 v6, v133, v105
	v_fmac_f32_e32 v152, v133, v104
	s_delay_alu instid0(VALU_DEP_4) | instskip(SKIP_3) | instid1(VALU_DEP_4)
	v_dual_add_f32 v4, v4, v5 :: v_dual_mul_f32 v5, v139, v135
	v_add_f32_e32 v2, v2, v146
	v_fma_f32 v7, v130, v102, -v7
	v_fma_f32 v6, v132, v104, -v6
	;; [unrolled: 1-line block ×3, first 2 shown]
	s_delay_alu instid0(VALU_DEP_4) | instskip(NEXT) | instid1(VALU_DEP_4)
	v_add_f32_e32 v2, v2, v147
	v_add_f32_e32 v4, v4, v7
	s_delay_alu instid0(VALU_DEP_2) | instskip(NEXT) | instid1(VALU_DEP_2)
	v_add_f32_e32 v2, v2, v148
	v_add_f32_e32 v4, v4, v6
	s_delay_alu instid0(VALU_DEP_2) | instskip(NEXT) | instid1(VALU_DEP_2)
	v_add_f32_e32 v2, v2, v149
	v_add_f32_e32 v4, v4, v5
	s_delay_alu instid0(VALU_DEP_2) | instskip(SKIP_1) | instid1(VALU_DEP_2)
	v_add_f32_e32 v2, v2, v150
	s_wait_loadcnt 0x0
	v_sub_f32_e32 v4, v136, v4
	s_delay_alu instid0(VALU_DEP_2) | instskip(NEXT) | instid1(VALU_DEP_1)
	v_add_f32_e32 v2, v2, v151
	v_add_f32_e32 v2, v2, v152
	s_delay_alu instid0(VALU_DEP_1) | instskip(NEXT) | instid1(VALU_DEP_1)
	v_add_f32_e32 v2, v2, v153
	v_sub_f32_e32 v5, v137, v2
	scratch_store_b64 off, v[4:5], off offset:168
	v_cmpx_lt_u32_e32 20, v0
	s_cbranch_execz .LBB36_195
; %bb.194:
	scratch_load_b64 v[4:5], off, off offset:160
	v_mov_b32_e32 v2, v1
	scratch_store_b64 off, v[1:2], off offset:160
	s_wait_loadcnt 0x0
	ds_store_b64 v3, v[4:5]
.LBB36_195:
	s_wait_alu 0xfffe
	s_or_b32 exec_lo, exec_lo, s0
	s_wait_storecnt_dscnt 0x0
	s_barrier_signal -1
	s_barrier_wait -1
	global_inv scope:SCOPE_SE
	s_clause 0x8
	scratch_load_b128 v[4:7], off, off offset:168
	scratch_load_b128 v[8:11], off, off offset:184
	;; [unrolled: 1-line block ×8, first 2 shown]
	scratch_load_b64 v[142:143], off, off offset:160
	ds_load_2addr_b64 v[110:113], v1 offset0:59 offset1:60
	ds_load_2addr_b64 v[114:117], v1 offset0:61 offset1:62
	;; [unrolled: 1-line block ×8, first 2 shown]
	s_mov_b32 s0, exec_lo
	s_wait_loadcnt_dscnt 0x807
	v_dual_mul_f32 v1, v110, v5 :: v_dual_mul_f32 v2, v112, v7
	v_mul_f32_e32 v5, v111, v5
	s_wait_loadcnt_dscnt 0x706
	v_dual_mul_f32 v7, v113, v7 :: v_dual_mul_f32 v144, v114, v9
	v_mul_f32_e32 v145, v116, v11
	s_wait_loadcnt_dscnt 0x201
	v_mul_f32_e32 v154, v134, v103
	v_fma_f32 v5, v110, v4, -v5
	s_wait_loadcnt_dscnt 0x100
	v_dual_mul_f32 v157, v140, v109 :: v_dual_fmac_f32 v2, v113, v6
	v_fmac_f32_e32 v1, v111, v4
	v_mul_f32_e32 v4, v115, v9
	v_fma_f32 v6, v112, v6, -v7
	v_dual_add_f32 v5, 0, v5 :: v_dual_fmac_f32 v144, v115, v8
	v_mul_f32_e32 v7, v117, v11
	s_delay_alu instid0(VALU_DEP_4) | instskip(SKIP_1) | instid1(VALU_DEP_4)
	v_fma_f32 v4, v114, v8, -v4
	v_dual_mul_f32 v146, v118, v13 :: v_dual_mul_f32 v147, v120, v15
	v_add_f32_e32 v5, v5, v6
	s_delay_alu instid0(VALU_DEP_4) | instskip(SKIP_2) | instid1(VALU_DEP_4)
	v_fma_f32 v6, v116, v10, -v7
	v_dual_mul_f32 v148, v122, v17 :: v_dual_mul_f32 v149, v124, v19
	v_dual_mul_f32 v150, v126, v21 :: v_dual_mul_f32 v151, v128, v23
	v_add_f32_e32 v4, v5, v4
	v_dual_mul_f32 v152, v130, v99 :: v_dual_mul_f32 v153, v132, v101
	s_delay_alu instid0(VALU_DEP_4) | instskip(NEXT) | instid1(VALU_DEP_3)
	v_dual_fmac_f32 v146, v119, v12 :: v_dual_fmac_f32 v149, v125, v18
	v_dual_add_f32 v4, v4, v6 :: v_dual_add_f32 v1, 0, v1
	v_mul_f32_e32 v6, v123, v17
	v_dual_fmac_f32 v148, v123, v16 :: v_dual_mul_f32 v155, v136, v105
	s_delay_alu instid0(VALU_DEP_3) | instskip(SKIP_1) | instid1(VALU_DEP_4)
	v_dual_mul_f32 v156, v138, v107 :: v_dual_add_f32 v1, v1, v2
	v_mul_f32_e32 v2, v119, v13
	v_fma_f32 v6, v122, v16, -v6
	v_mul_f32_e32 v5, v121, v15
	v_fmac_f32_e32 v157, v141, v108
	v_fmac_f32_e32 v150, v127, v20
	v_fma_f32 v2, v118, v12, -v2
	v_add_f32_e32 v1, v1, v144
	v_fma_f32 v5, v120, v14, -v5
	v_fmac_f32_e32 v152, v131, v98
	v_fmac_f32_e32 v154, v135, v102
	v_add_f32_e32 v2, v4, v2
	v_fmac_f32_e32 v145, v117, v10
	v_mul_f32_e32 v4, v125, v19
	v_fmac_f32_e32 v156, v139, v106
	s_delay_alu instid0(VALU_DEP_4) | instskip(NEXT) | instid1(VALU_DEP_4)
	v_add_f32_e32 v2, v2, v5
	v_add_f32_e32 v1, v1, v145
	v_mul_f32_e32 v5, v127, v21
	v_fma_f32 v4, v124, v18, -v4
	s_delay_alu instid0(VALU_DEP_4)
	v_add_f32_e32 v2, v2, v6
	v_fmac_f32_e32 v147, v121, v14
	v_add_f32_e32 v1, v1, v146
	v_mul_f32_e32 v6, v129, v23
	v_fma_f32 v5, v126, v20, -v5
	v_add_f32_e32 v2, v2, v4
	v_mul_f32_e32 v4, v131, v99
	v_add_f32_e32 v1, v1, v147
	v_fma_f32 v6, v128, v22, -v6
	s_delay_alu instid0(VALU_DEP_4) | instskip(SKIP_1) | instid1(VALU_DEP_4)
	v_add_f32_e32 v2, v2, v5
	v_mul_f32_e32 v5, v133, v101
	v_add_f32_e32 v1, v1, v148
	v_fma_f32 v4, v130, v98, -v4
	s_delay_alu instid0(VALU_DEP_4) | instskip(NEXT) | instid1(VALU_DEP_3)
	v_add_f32_e32 v2, v2, v6
	v_dual_mul_f32 v6, v135, v103 :: v_dual_add_f32 v1, v1, v149
	v_fma_f32 v5, v132, v100, -v5
	s_delay_alu instid0(VALU_DEP_3) | instskip(SKIP_1) | instid1(VALU_DEP_4)
	v_dual_add_f32 v2, v2, v4 :: v_dual_fmac_f32 v151, v129, v22
	v_mul_f32_e32 v4, v137, v105
	v_fma_f32 v6, v134, v102, -v6
	s_delay_alu instid0(VALU_DEP_3) | instskip(SKIP_1) | instid1(VALU_DEP_4)
	v_dual_add_f32 v2, v2, v5 :: v_dual_fmac_f32 v153, v133, v100
	v_mul_f32_e32 v5, v139, v107
	v_fma_f32 v4, v136, v104, -v4
	s_delay_alu instid0(VALU_DEP_3) | instskip(SKIP_3) | instid1(VALU_DEP_3)
	v_add_f32_e32 v2, v2, v6
	v_add_f32_e32 v1, v1, v150
	v_mul_f32_e32 v6, v141, v109
	v_fma_f32 v5, v138, v106, -v5
	v_dual_add_f32 v2, v2, v4 :: v_dual_add_f32 v1, v1, v151
	v_fmac_f32_e32 v155, v137, v104
	s_delay_alu instid0(VALU_DEP_4) | instskip(NEXT) | instid1(VALU_DEP_3)
	v_fma_f32 v4, v140, v108, -v6
	v_dual_add_f32 v2, v2, v5 :: v_dual_add_f32 v1, v1, v152
	s_delay_alu instid0(VALU_DEP_1) | instskip(NEXT) | instid1(VALU_DEP_1)
	v_dual_add_f32 v2, v2, v4 :: v_dual_add_f32 v1, v1, v153
	v_add_f32_e32 v1, v1, v154
	s_delay_alu instid0(VALU_DEP_1) | instskip(NEXT) | instid1(VALU_DEP_1)
	v_add_f32_e32 v1, v1, v155
	v_add_f32_e32 v1, v1, v156
	s_wait_loadcnt 0x0
	s_delay_alu instid0(VALU_DEP_1) | instskip(NEXT) | instid1(VALU_DEP_1)
	v_dual_add_f32 v4, v1, v157 :: v_dual_sub_f32 v1, v142, v2
	v_sub_f32_e32 v2, v143, v4
	scratch_store_b64 off, v[1:2], off offset:160
	v_cmpx_lt_u32_e32 19, v0
	s_cbranch_execz .LBB36_197
; %bb.196:
	scratch_load_b64 v[1:2], off, off offset:152
	v_mov_b32_e32 v4, 0
	s_delay_alu instid0(VALU_DEP_1)
	v_mov_b32_e32 v5, v4
	scratch_store_b64 off, v[4:5], off offset:152
	s_wait_loadcnt 0x0
	ds_store_b64 v3, v[1:2]
.LBB36_197:
	s_wait_alu 0xfffe
	s_or_b32 exec_lo, exec_lo, s0
	s_wait_storecnt_dscnt 0x0
	s_barrier_signal -1
	s_barrier_wait -1
	global_inv scope:SCOPE_SE
	s_clause 0x9
	scratch_load_b128 v[4:7], off, off offset:160
	scratch_load_b128 v[8:11], off, off offset:176
	;; [unrolled: 1-line block ×8, first 2 shown]
	scratch_load_b64 v[142:143], off, off offset:288
	scratch_load_b64 v[144:145], off, off offset:152
	v_mov_b32_e32 v1, 0
	ds_load_b128 v[110:113], v1 offset:464
	ds_load_b128 v[114:117], v1 offset:480
	;; [unrolled: 1-line block ×8, first 2 shown]
	ds_load_b64 v[146:147], v1 offset:592
	s_mov_b32 s0, exec_lo
	s_wait_loadcnt_dscnt 0x908
	v_mul_f32_e32 v2, v110, v5
	v_dual_mul_f32 v5, v111, v5 :: v_dual_mul_f32 v148, v112, v7
	s_wait_loadcnt_dscnt 0x504
	v_dual_mul_f32 v149, v114, v9 :: v_dual_mul_f32 v156, v128, v23
	v_mul_f32_e32 v7, v113, v7
	s_delay_alu instid0(VALU_DEP_3) | instskip(SKIP_3) | instid1(VALU_DEP_3)
	v_fma_f32 v5, v110, v4, -v5
	s_wait_loadcnt_dscnt 0x100
	v_dual_fmac_f32 v2, v111, v4 :: v_dual_mul_f32 v163, v146, v143
	v_mul_f32_e32 v4, v115, v9
	v_dual_fmac_f32 v148, v113, v6 :: v_dual_add_f32 v5, 0, v5
	v_fma_f32 v6, v112, v6, -v7
	s_delay_alu instid0(VALU_DEP_4) | instskip(NEXT) | instid1(VALU_DEP_4)
	v_dual_add_f32 v2, 0, v2 :: v_dual_mul_f32 v7, v117, v11
	v_fma_f32 v4, v114, v8, -v4
	v_dual_mul_f32 v152, v120, v15 :: v_dual_mul_f32 v153, v122, v17
	s_delay_alu instid0(VALU_DEP_3) | instskip(SKIP_3) | instid1(VALU_DEP_4)
	v_dual_add_f32 v5, v5, v6 :: v_dual_add_f32 v2, v2, v148
	v_mul_f32_e32 v6, v119, v13
	v_fma_f32 v7, v116, v10, -v7
	v_dual_mul_f32 v150, v116, v11 :: v_dual_mul_f32 v151, v118, v13
	v_add_f32_e32 v4, v5, v4
	v_mul_f32_e32 v5, v121, v15
	v_fma_f32 v6, v118, v12, -v6
	s_delay_alu instid0(VALU_DEP_4) | instskip(NEXT) | instid1(VALU_DEP_4)
	v_dual_fmac_f32 v149, v115, v8 :: v_dual_fmac_f32 v150, v117, v10
	v_dual_add_f32 v4, v4, v7 :: v_dual_fmac_f32 v153, v123, v16
	v_mul_f32_e32 v7, v123, v17
	v_fma_f32 v5, v120, v14, -v5
	v_dual_mul_f32 v157, v130, v99 :: v_dual_mul_f32 v158, v132, v101
	s_delay_alu instid0(VALU_DEP_4) | instskip(SKIP_1) | instid1(VALU_DEP_3)
	v_add_f32_e32 v4, v4, v6
	v_dual_add_f32 v2, v2, v149 :: v_dual_fmac_f32 v151, v119, v12
	v_dual_mul_f32 v6, v125, v19 :: v_dual_fmac_f32 v157, v131, v98
	v_fma_f32 v7, v122, v16, -v7
	s_delay_alu instid0(VALU_DEP_4) | instskip(NEXT) | instid1(VALU_DEP_4)
	v_add_f32_e32 v4, v4, v5
	v_dual_add_f32 v2, v2, v150 :: v_dual_mul_f32 v5, v127, v21
	s_delay_alu instid0(VALU_DEP_4) | instskip(SKIP_1) | instid1(VALU_DEP_4)
	v_fma_f32 v6, v124, v18, -v6
	v_dual_mul_f32 v154, v124, v19 :: v_dual_mul_f32 v155, v126, v21
	v_add_f32_e32 v4, v4, v7
	v_mul_f32_e32 v7, v129, v23
	v_fma_f32 v5, v126, v20, -v5
	s_delay_alu instid0(VALU_DEP_4) | instskip(NEXT) | instid1(VALU_DEP_4)
	v_dual_fmac_f32 v152, v121, v14 :: v_dual_fmac_f32 v155, v127, v20
	v_add_f32_e32 v4, v4, v6
	v_add_f32_e32 v2, v2, v151
	v_mul_f32_e32 v6, v131, v99
	v_fma_f32 v7, v128, v22, -v7
	v_dual_mul_f32 v159, v134, v103 :: v_dual_mul_f32 v160, v136, v105
	v_dual_add_f32 v4, v4, v5 :: v_dual_fmac_f32 v163, v147, v142
	v_dual_mul_f32 v5, v133, v101 :: v_dual_add_f32 v2, v2, v152
	s_delay_alu instid0(VALU_DEP_3) | instskip(SKIP_1) | instid1(VALU_DEP_4)
	v_fmac_f32_e32 v159, v135, v102
	v_fma_f32 v6, v130, v98, -v6
	v_add_f32_e32 v4, v4, v7
	v_dual_mul_f32 v161, v138, v107 :: v_dual_mul_f32 v162, v140, v109
	v_fmac_f32_e32 v154, v125, v18
	v_add_f32_e32 v2, v2, v153
	v_fma_f32 v5, v132, v100, -v5
	v_add_f32_e32 v4, v4, v6
	v_fmac_f32_e32 v161, v139, v106
	v_dual_fmac_f32 v156, v129, v22 :: v_dual_mul_f32 v7, v135, v103
	v_fmac_f32_e32 v158, v133, v100
	s_delay_alu instid0(VALU_DEP_4)
	v_dual_add_f32 v4, v4, v5 :: v_dual_mul_f32 v5, v139, v107
	v_add_f32_e32 v2, v2, v154
	v_mul_f32_e32 v6, v137, v105
	v_fma_f32 v7, v134, v102, -v7
	v_fmac_f32_e32 v160, v137, v104
	v_fma_f32 v5, v138, v106, -v5
	v_add_f32_e32 v2, v2, v155
	v_fma_f32 v6, v136, v104, -v6
	v_dual_add_f32 v4, v4, v7 :: v_dual_mul_f32 v7, v141, v109
	v_fmac_f32_e32 v162, v141, v108
	s_delay_alu instid0(VALU_DEP_4) | instskip(NEXT) | instid1(VALU_DEP_3)
	v_add_f32_e32 v2, v2, v156
	v_add_f32_e32 v4, v4, v6
	v_mul_f32_e32 v6, v147, v143
	v_fma_f32 v7, v140, v108, -v7
	s_delay_alu instid0(VALU_DEP_4) | instskip(NEXT) | instid1(VALU_DEP_4)
	v_add_f32_e32 v2, v2, v157
	v_add_f32_e32 v4, v4, v5
	s_delay_alu instid0(VALU_DEP_4) | instskip(NEXT) | instid1(VALU_DEP_3)
	v_fma_f32 v5, v146, v142, -v6
	v_add_f32_e32 v2, v2, v158
	s_delay_alu instid0(VALU_DEP_3) | instskip(NEXT) | instid1(VALU_DEP_2)
	v_add_f32_e32 v4, v4, v7
	v_add_f32_e32 v2, v2, v159
	s_delay_alu instid0(VALU_DEP_2) | instskip(NEXT) | instid1(VALU_DEP_2)
	v_add_f32_e32 v4, v4, v5
	v_add_f32_e32 v2, v2, v160
	s_wait_loadcnt 0x0
	s_delay_alu instid0(VALU_DEP_2) | instskip(NEXT) | instid1(VALU_DEP_2)
	v_sub_f32_e32 v4, v144, v4
	v_add_f32_e32 v2, v2, v161
	s_delay_alu instid0(VALU_DEP_1) | instskip(NEXT) | instid1(VALU_DEP_1)
	v_add_f32_e32 v2, v2, v162
	v_add_f32_e32 v2, v2, v163
	s_delay_alu instid0(VALU_DEP_1)
	v_sub_f32_e32 v5, v145, v2
	scratch_store_b64 off, v[4:5], off offset:152
	v_cmpx_lt_u32_e32 18, v0
	s_cbranch_execz .LBB36_199
; %bb.198:
	scratch_load_b64 v[4:5], off, off offset:144
	v_mov_b32_e32 v2, v1
	scratch_store_b64 off, v[1:2], off offset:144
	s_wait_loadcnt 0x0
	ds_store_b64 v3, v[4:5]
.LBB36_199:
	s_wait_alu 0xfffe
	s_or_b32 exec_lo, exec_lo, s0
	s_wait_storecnt_dscnt 0x0
	s_barrier_signal -1
	s_barrier_wait -1
	global_inv scope:SCOPE_SE
	s_clause 0x9
	scratch_load_b128 v[4:7], off, off offset:152
	scratch_load_b128 v[8:11], off, off offset:168
	;; [unrolled: 1-line block ×9, first 2 shown]
	scratch_load_b64 v[150:151], off, off offset:144
	ds_load_2addr_b64 v[114:117], v1 offset0:57 offset1:58
	ds_load_2addr_b64 v[118:121], v1 offset0:59 offset1:60
	;; [unrolled: 1-line block ×9, first 2 shown]
	s_mov_b32 s0, exec_lo
	s_wait_loadcnt_dscnt 0x908
	v_dual_mul_f32 v1, v114, v5 :: v_dual_mul_f32 v2, v116, v7
	v_mul_f32_e32 v7, v117, v7
	v_mul_f32_e32 v5, v115, v5
	s_wait_loadcnt_dscnt 0x807
	v_dual_mul_f32 v152, v118, v9 :: v_dual_mul_f32 v153, v120, v11
	s_wait_loadcnt_dscnt 0x201
	v_dual_fmac_f32 v1, v115, v4 :: v_dual_mul_f32 v164, v142, v107
	v_fma_f32 v5, v114, v4, -v5
	s_wait_loadcnt_dscnt 0x100
	v_dual_mul_f32 v167, v148, v113 :: v_dual_fmac_f32 v2, v117, v6
	v_mul_f32_e32 v4, v119, v9
	v_fma_f32 v6, v116, v6, -v7
	v_dual_add_f32 v5, 0, v5 :: v_dual_fmac_f32 v152, v119, v8
	v_mul_f32_e32 v7, v121, v11
	s_delay_alu instid0(VALU_DEP_4) | instskip(SKIP_1) | instid1(VALU_DEP_4)
	v_fma_f32 v4, v118, v8, -v4
	v_dual_mul_f32 v154, v122, v13 :: v_dual_mul_f32 v155, v124, v15
	v_add_f32_e32 v5, v5, v6
	s_delay_alu instid0(VALU_DEP_4) | instskip(SKIP_2) | instid1(VALU_DEP_4)
	v_fma_f32 v6, v120, v10, -v7
	v_dual_mul_f32 v156, v126, v17 :: v_dual_mul_f32 v157, v128, v19
	v_dual_mul_f32 v158, v130, v21 :: v_dual_mul_f32 v159, v132, v23
	v_add_f32_e32 v4, v5, v4
	v_dual_mul_f32 v160, v134, v99 :: v_dual_mul_f32 v161, v136, v101
	s_delay_alu instid0(VALU_DEP_4) | instskip(NEXT) | instid1(VALU_DEP_3)
	v_dual_fmac_f32 v154, v123, v12 :: v_dual_fmac_f32 v157, v129, v18
	v_dual_add_f32 v4, v4, v6 :: v_dual_add_f32 v1, 0, v1
	v_mul_f32_e32 v6, v127, v17
	v_fmac_f32_e32 v156, v127, v16
	v_dual_mul_f32 v162, v138, v103 :: v_dual_mul_f32 v163, v140, v105
	s_delay_alu instid0(VALU_DEP_4) | instskip(NEXT) | instid1(VALU_DEP_4)
	v_dual_add_f32 v1, v1, v2 :: v_dual_mul_f32 v2, v123, v13
	v_fma_f32 v6, v126, v16, -v6
	v_mul_f32_e32 v5, v125, v15
	v_dual_mul_f32 v165, v144, v109 :: v_dual_mul_f32 v166, v146, v111
	s_delay_alu instid0(VALU_DEP_4) | instskip(SKIP_1) | instid1(VALU_DEP_4)
	v_fma_f32 v2, v122, v12, -v2
	v_add_f32_e32 v1, v1, v152
	v_fma_f32 v5, v124, v14, -v5
	v_fmac_f32_e32 v167, v149, v112
	v_fmac_f32_e32 v158, v131, v20
	v_add_f32_e32 v2, v4, v2
	v_fmac_f32_e32 v153, v121, v10
	v_mul_f32_e32 v4, v129, v19
	v_fmac_f32_e32 v160, v135, v98
	v_fmac_f32_e32 v162, v139, v102
	v_add_f32_e32 v2, v2, v5
	v_add_f32_e32 v1, v1, v153
	v_mul_f32_e32 v5, v131, v21
	v_fma_f32 v4, v128, v18, -v4
	v_fmac_f32_e32 v164, v143, v106
	v_add_f32_e32 v2, v2, v6
	v_fmac_f32_e32 v155, v125, v14
	v_add_f32_e32 v1, v1, v154
	v_mul_f32_e32 v6, v133, v23
	v_fma_f32 v5, v130, v20, -v5
	v_add_f32_e32 v2, v2, v4
	v_mul_f32_e32 v4, v135, v99
	v_add_f32_e32 v1, v1, v155
	v_fma_f32 v6, v132, v22, -v6
	v_fmac_f32_e32 v166, v147, v110
	v_add_f32_e32 v2, v2, v5
	v_mul_f32_e32 v5, v137, v101
	v_add_f32_e32 v1, v1, v156
	v_fma_f32 v4, v134, v98, -v4
	s_delay_alu instid0(VALU_DEP_4) | instskip(NEXT) | instid1(VALU_DEP_3)
	v_add_f32_e32 v2, v2, v6
	v_dual_mul_f32 v6, v139, v103 :: v_dual_add_f32 v1, v1, v157
	v_fma_f32 v5, v136, v100, -v5
	s_delay_alu instid0(VALU_DEP_3) | instskip(SKIP_1) | instid1(VALU_DEP_4)
	v_dual_add_f32 v2, v2, v4 :: v_dual_fmac_f32 v159, v133, v22
	v_mul_f32_e32 v4, v141, v105
	v_fma_f32 v6, v138, v102, -v6
	s_delay_alu instid0(VALU_DEP_3) | instskip(SKIP_1) | instid1(VALU_DEP_4)
	v_dual_add_f32 v2, v2, v5 :: v_dual_fmac_f32 v161, v137, v100
	v_mul_f32_e32 v5, v143, v107
	v_fma_f32 v4, v140, v104, -v4
	s_delay_alu instid0(VALU_DEP_3) | instskip(SKIP_3) | instid1(VALU_DEP_3)
	v_add_f32_e32 v2, v2, v6
	v_add_f32_e32 v1, v1, v158
	v_mul_f32_e32 v6, v145, v109
	v_fma_f32 v5, v142, v106, -v5
	v_dual_add_f32 v2, v2, v4 :: v_dual_add_f32 v1, v1, v159
	v_dual_fmac_f32 v163, v141, v104 :: v_dual_mul_f32 v4, v147, v111
	s_delay_alu instid0(VALU_DEP_4) | instskip(NEXT) | instid1(VALU_DEP_3)
	v_fma_f32 v6, v144, v108, -v6
	v_dual_add_f32 v2, v2, v5 :: v_dual_add_f32 v1, v1, v160
	v_fmac_f32_e32 v165, v145, v108
	s_delay_alu instid0(VALU_DEP_4) | instskip(NEXT) | instid1(VALU_DEP_3)
	v_fma_f32 v4, v146, v110, -v4
	v_dual_mul_f32 v5, v149, v113 :: v_dual_add_f32 v2, v2, v6
	s_delay_alu instid0(VALU_DEP_4) | instskip(NEXT) | instid1(VALU_DEP_2)
	v_add_f32_e32 v1, v1, v161
	v_fma_f32 v5, v148, v112, -v5
	s_delay_alu instid0(VALU_DEP_2) | instskip(NEXT) | instid1(VALU_DEP_1)
	v_dual_add_f32 v2, v2, v4 :: v_dual_add_f32 v1, v1, v162
	v_dual_add_f32 v2, v2, v5 :: v_dual_add_f32 v1, v1, v163
	s_delay_alu instid0(VALU_DEP_1) | instskip(NEXT) | instid1(VALU_DEP_1)
	v_add_f32_e32 v1, v1, v164
	v_add_f32_e32 v1, v1, v165
	s_delay_alu instid0(VALU_DEP_1) | instskip(SKIP_1) | instid1(VALU_DEP_1)
	v_add_f32_e32 v1, v1, v166
	s_wait_loadcnt 0x0
	v_dual_add_f32 v4, v1, v167 :: v_dual_sub_f32 v1, v150, v2
	s_delay_alu instid0(VALU_DEP_1)
	v_sub_f32_e32 v2, v151, v4
	scratch_store_b64 off, v[1:2], off offset:144
	v_cmpx_lt_u32_e32 17, v0
	s_cbranch_execz .LBB36_201
; %bb.200:
	scratch_load_b64 v[1:2], off, off offset:136
	v_mov_b32_e32 v4, 0
	s_delay_alu instid0(VALU_DEP_1)
	v_mov_b32_e32 v5, v4
	scratch_store_b64 off, v[4:5], off offset:136
	s_wait_loadcnt 0x0
	ds_store_b64 v3, v[1:2]
.LBB36_201:
	s_wait_alu 0xfffe
	s_or_b32 exec_lo, exec_lo, s0
	s_wait_storecnt_dscnt 0x0
	s_barrier_signal -1
	s_barrier_wait -1
	global_inv scope:SCOPE_SE
	s_clause 0xa
	scratch_load_b128 v[4:7], off, off offset:144
	scratch_load_b128 v[8:11], off, off offset:160
	;; [unrolled: 1-line block ×9, first 2 shown]
	scratch_load_b64 v[150:151], off, off offset:288
	scratch_load_b64 v[152:153], off, off offset:136
	v_mov_b32_e32 v1, 0
	ds_load_b128 v[114:117], v1 offset:448
	ds_load_b128 v[118:121], v1 offset:464
	;; [unrolled: 1-line block ×9, first 2 shown]
	ds_load_b64 v[154:155], v1 offset:592
	s_mov_b32 s0, exec_lo
	s_wait_loadcnt_dscnt 0xa09
	v_mul_f32_e32 v2, v114, v5
	v_dual_mul_f32 v5, v115, v5 :: v_dual_mul_f32 v156, v116, v7
	s_wait_loadcnt_dscnt 0x605
	v_dual_mul_f32 v157, v118, v9 :: v_dual_mul_f32 v164, v132, v23
	v_mul_f32_e32 v7, v117, v7
	s_delay_alu instid0(VALU_DEP_3) | instskip(SKIP_3) | instid1(VALU_DEP_3)
	v_fma_f32 v5, v114, v4, -v5
	v_fmac_f32_e32 v2, v115, v4
	s_wait_loadcnt_dscnt 0x100
	v_dual_mul_f32 v4, v119, v9 :: v_dual_mul_f32 v173, v154, v151
	v_dual_fmac_f32 v156, v117, v6 :: v_dual_add_f32 v5, 0, v5
	v_fma_f32 v6, v116, v6, -v7
	v_dual_add_f32 v2, 0, v2 :: v_dual_mul_f32 v7, v121, v11
	s_delay_alu instid0(VALU_DEP_4) | instskip(SKIP_1) | instid1(VALU_DEP_3)
	v_fma_f32 v4, v118, v8, -v4
	v_dual_mul_f32 v160, v124, v15 :: v_dual_mul_f32 v161, v126, v17
	v_dual_add_f32 v5, v5, v6 :: v_dual_add_f32 v2, v2, v156
	v_mul_f32_e32 v6, v123, v13
	v_fma_f32 v7, v120, v10, -v7
	v_dual_mul_f32 v158, v120, v11 :: v_dual_mul_f32 v159, v122, v13
	s_delay_alu instid0(VALU_DEP_4) | instskip(SKIP_2) | instid1(VALU_DEP_4)
	v_add_f32_e32 v4, v5, v4
	v_mul_f32_e32 v5, v125, v15
	v_fma_f32 v6, v122, v12, -v6
	v_dual_fmac_f32 v157, v119, v8 :: v_dual_fmac_f32 v158, v121, v10
	s_delay_alu instid0(VALU_DEP_4) | instskip(SKIP_3) | instid1(VALU_DEP_4)
	v_dual_add_f32 v4, v4, v7 :: v_dual_fmac_f32 v161, v127, v16
	v_mul_f32_e32 v7, v127, v17
	v_fma_f32 v5, v124, v14, -v5
	v_dual_mul_f32 v165, v134, v99 :: v_dual_mul_f32 v166, v136, v101
	v_add_f32_e32 v4, v4, v6
	v_dual_add_f32 v2, v2, v157 :: v_dual_fmac_f32 v159, v123, v12
	s_delay_alu instid0(VALU_DEP_3) | instskip(SKIP_1) | instid1(VALU_DEP_4)
	v_dual_mul_f32 v6, v129, v19 :: v_dual_fmac_f32 v165, v135, v98
	v_fma_f32 v7, v126, v16, -v7
	v_add_f32_e32 v4, v4, v5
	s_delay_alu instid0(VALU_DEP_4) | instskip(NEXT) | instid1(VALU_DEP_4)
	v_dual_add_f32 v2, v2, v158 :: v_dual_mul_f32 v5, v131, v21
	v_fma_f32 v6, v128, v18, -v6
	v_dual_mul_f32 v171, v146, v111 :: v_dual_mul_f32 v172, v148, v113
	s_delay_alu instid0(VALU_DEP_4) | instskip(SKIP_2) | instid1(VALU_DEP_4)
	v_add_f32_e32 v4, v4, v7
	v_mul_f32_e32 v7, v133, v23
	v_fma_f32 v5, v130, v20, -v5
	v_dual_add_f32 v2, v2, v159 :: v_dual_fmac_f32 v171, v147, v110
	s_delay_alu instid0(VALU_DEP_4) | instskip(SKIP_3) | instid1(VALU_DEP_4)
	v_add_f32_e32 v4, v4, v6
	v_mul_f32_e32 v6, v135, v99
	v_fma_f32 v7, v132, v22, -v7
	v_dual_mul_f32 v162, v128, v19 :: v_dual_mul_f32 v163, v130, v21
	v_add_f32_e32 v4, v4, v5
	v_mul_f32_e32 v5, v137, v101
	v_fma_f32 v6, v134, v98, -v6
	s_delay_alu instid0(VALU_DEP_4) | instskip(NEXT) | instid1(VALU_DEP_4)
	v_dual_fmac_f32 v160, v125, v14 :: v_dual_fmac_f32 v163, v131, v20
	v_add_f32_e32 v4, v4, v7
	v_mul_f32_e32 v7, v139, v103
	v_fma_f32 v5, v136, v100, -v5
	v_dual_mul_f32 v167, v138, v103 :: v_dual_mul_f32 v168, v140, v105
	s_delay_alu instid0(VALU_DEP_4) | instskip(SKIP_2) | instid1(VALU_DEP_4)
	v_add_f32_e32 v4, v4, v6
	v_mul_f32_e32 v6, v141, v105
	v_fma_f32 v7, v138, v102, -v7
	v_dual_add_f32 v2, v2, v160 :: v_dual_fmac_f32 v167, v139, v102
	s_delay_alu instid0(VALU_DEP_4) | instskip(SKIP_3) | instid1(VALU_DEP_4)
	v_add_f32_e32 v4, v4, v5
	v_dual_fmac_f32 v162, v129, v18 :: v_dual_mul_f32 v5, v143, v107
	v_fma_f32 v6, v140, v104, -v6
	v_dual_mul_f32 v169, v142, v107 :: v_dual_mul_f32 v170, v144, v109
	v_add_f32_e32 v4, v4, v7
	v_add_f32_e32 v2, v2, v161
	v_mul_f32_e32 v7, v145, v109
	v_fma_f32 v5, v142, v106, -v5
	v_fmac_f32_e32 v169, v143, v106
	v_add_f32_e32 v4, v4, v6
	v_add_f32_e32 v2, v2, v162
	v_fma_f32 v7, v144, v108, -v7
	v_fmac_f32_e32 v164, v133, v22
	s_delay_alu instid0(VALU_DEP_4)
	v_dual_fmac_f32 v173, v155, v150 :: v_dual_add_f32 v4, v4, v5
	v_fmac_f32_e32 v166, v137, v100
	v_fmac_f32_e32 v168, v141, v104
	v_mul_f32_e32 v6, v147, v111
	v_fmac_f32_e32 v170, v145, v108
	v_add_f32_e32 v4, v4, v7
	v_mul_f32_e32 v7, v155, v151
	v_dual_add_f32 v2, v2, v163 :: v_dual_mul_f32 v5, v149, v113
	v_fma_f32 v6, v146, v110, -v6
	v_fmac_f32_e32 v172, v149, v112
	s_delay_alu instid0(VALU_DEP_3) | instskip(NEXT) | instid1(VALU_DEP_4)
	v_add_f32_e32 v2, v2, v164
	v_fma_f32 v5, v148, v112, -v5
	s_delay_alu instid0(VALU_DEP_4) | instskip(SKIP_1) | instid1(VALU_DEP_4)
	v_add_f32_e32 v4, v4, v6
	v_fma_f32 v6, v154, v150, -v7
	v_add_f32_e32 v2, v2, v165
	s_delay_alu instid0(VALU_DEP_3) | instskip(NEXT) | instid1(VALU_DEP_2)
	v_add_f32_e32 v4, v4, v5
	v_add_f32_e32 v2, v2, v166
	s_delay_alu instid0(VALU_DEP_2) | instskip(NEXT) | instid1(VALU_DEP_2)
	v_add_f32_e32 v4, v4, v6
	v_add_f32_e32 v2, v2, v167
	s_wait_loadcnt 0x0
	s_delay_alu instid0(VALU_DEP_2) | instskip(NEXT) | instid1(VALU_DEP_2)
	v_sub_f32_e32 v4, v152, v4
	v_add_f32_e32 v2, v2, v168
	s_delay_alu instid0(VALU_DEP_1) | instskip(NEXT) | instid1(VALU_DEP_1)
	v_add_f32_e32 v2, v2, v169
	v_add_f32_e32 v2, v2, v170
	s_delay_alu instid0(VALU_DEP_1) | instskip(NEXT) | instid1(VALU_DEP_1)
	v_add_f32_e32 v2, v2, v171
	;; [unrolled: 3-line block ×3, first 2 shown]
	v_sub_f32_e32 v5, v153, v2
	scratch_store_b64 off, v[4:5], off offset:136
	v_cmpx_lt_u32_e32 16, v0
	s_cbranch_execz .LBB36_203
; %bb.202:
	scratch_load_b64 v[4:5], off, off offset:128
	v_mov_b32_e32 v2, v1
	scratch_store_b64 off, v[1:2], off offset:128
	s_wait_loadcnt 0x0
	ds_store_b64 v3, v[4:5]
.LBB36_203:
	s_wait_alu 0xfffe
	s_or_b32 exec_lo, exec_lo, s0
	s_wait_storecnt_dscnt 0x0
	s_barrier_signal -1
	s_barrier_wait -1
	global_inv scope:SCOPE_SE
	s_clause 0xa
	scratch_load_b128 v[4:7], off, off offset:136
	scratch_load_b128 v[8:11], off, off offset:152
	;; [unrolled: 1-line block ×10, first 2 shown]
	scratch_load_b64 v[158:159], off, off offset:128
	ds_load_2addr_b64 v[118:121], v1 offset0:55 offset1:56
	ds_load_2addr_b64 v[122:125], v1 offset0:57 offset1:58
	;; [unrolled: 1-line block ×10, first 2 shown]
	s_mov_b32 s0, exec_lo
	s_wait_loadcnt_dscnt 0xa09
	v_dual_mul_f32 v1, v118, v5 :: v_dual_mul_f32 v2, v120, v7
	s_wait_loadcnt_dscnt 0x908
	v_dual_mul_f32 v7, v121, v7 :: v_dual_mul_f32 v160, v122, v9
	v_mul_f32_e32 v161, v124, v11
	v_mul_f32_e32 v5, v119, v5
	v_dual_fmac_f32 v1, v119, v4 :: v_dual_fmac_f32 v2, v121, v6
	s_wait_loadcnt_dscnt 0x100
	v_dual_mul_f32 v174, v150, v111 :: v_dual_mul_f32 v177, v156, v117
	s_delay_alu instid0(VALU_DEP_3) | instskip(SKIP_3) | instid1(VALU_DEP_4)
	v_fma_f32 v5, v118, v4, -v5
	v_mul_f32_e32 v4, v123, v9
	v_fma_f32 v6, v120, v6, -v7
	v_dual_mul_f32 v7, v125, v11 :: v_dual_fmac_f32 v160, v123, v8
	v_add_f32_e32 v5, 0, v5
	s_delay_alu instid0(VALU_DEP_4) | instskip(SKIP_2) | instid1(VALU_DEP_4)
	v_fma_f32 v4, v122, v8, -v4
	v_dual_mul_f32 v162, v126, v13 :: v_dual_mul_f32 v163, v128, v15
	v_dual_mul_f32 v164, v130, v17 :: v_dual_mul_f32 v165, v132, v19
	v_add_f32_e32 v5, v5, v6
	v_fma_f32 v6, v124, v10, -v7
	v_dual_mul_f32 v166, v134, v21 :: v_dual_mul_f32 v167, v136, v23
	v_dual_mul_f32 v168, v138, v99 :: v_dual_mul_f32 v169, v140, v101
	s_delay_alu instid0(VALU_DEP_4) | instskip(SKIP_2) | instid1(VALU_DEP_3)
	v_add_f32_e32 v4, v5, v4
	v_dual_fmac_f32 v165, v133, v18 :: v_dual_fmac_f32 v162, v127, v12
	v_dual_mul_f32 v170, v142, v103 :: v_dual_mul_f32 v171, v144, v105
	v_dual_add_f32 v4, v4, v6 :: v_dual_add_f32 v1, 0, v1
	v_mul_f32_e32 v6, v131, v17
	v_fmac_f32_e32 v164, v131, v16
	v_dual_mul_f32 v172, v146, v107 :: v_dual_mul_f32 v173, v148, v109
	s_delay_alu instid0(VALU_DEP_4) | instskip(NEXT) | instid1(VALU_DEP_4)
	v_dual_add_f32 v1, v1, v2 :: v_dual_mul_f32 v2, v127, v13
	v_fma_f32 v6, v130, v16, -v6
	v_mul_f32_e32 v5, v129, v15
	v_dual_mul_f32 v175, v152, v113 :: v_dual_mul_f32 v176, v154, v115
	s_delay_alu instid0(VALU_DEP_4) | instskip(SKIP_1) | instid1(VALU_DEP_4)
	v_fma_f32 v2, v126, v12, -v2
	v_add_f32_e32 v1, v1, v160
	v_fma_f32 v5, v128, v14, -v5
	v_fmac_f32_e32 v177, v157, v116
	v_fmac_f32_e32 v166, v135, v20
	v_add_f32_e32 v2, v4, v2
	v_fmac_f32_e32 v161, v125, v10
	v_mul_f32_e32 v4, v133, v19
	v_fmac_f32_e32 v168, v139, v98
	v_fmac_f32_e32 v170, v143, v102
	v_add_f32_e32 v2, v2, v5
	v_add_f32_e32 v1, v1, v161
	v_mul_f32_e32 v5, v135, v21
	v_fma_f32 v4, v132, v18, -v4
	v_fmac_f32_e32 v172, v147, v106
	v_add_f32_e32 v2, v2, v6
	v_fmac_f32_e32 v163, v129, v14
	v_add_f32_e32 v1, v1, v162
	v_mul_f32_e32 v6, v137, v23
	v_fma_f32 v5, v134, v20, -v5
	v_add_f32_e32 v2, v2, v4
	v_mul_f32_e32 v4, v139, v99
	v_add_f32_e32 v1, v1, v163
	v_fma_f32 v6, v136, v22, -v6
	v_fmac_f32_e32 v174, v151, v110
	v_add_f32_e32 v2, v2, v5
	v_mul_f32_e32 v5, v141, v101
	v_add_f32_e32 v1, v1, v164
	v_fma_f32 v4, v138, v98, -v4
	v_fmac_f32_e32 v176, v155, v114
	v_add_f32_e32 v2, v2, v6
	s_delay_alu instid0(VALU_DEP_4) | instskip(SKIP_1) | instid1(VALU_DEP_3)
	v_dual_mul_f32 v6, v143, v103 :: v_dual_add_f32 v1, v1, v165
	v_fma_f32 v5, v140, v100, -v5
	v_dual_add_f32 v2, v2, v4 :: v_dual_fmac_f32 v167, v137, v22
	v_mul_f32_e32 v4, v145, v105
	s_delay_alu instid0(VALU_DEP_4) | instskip(NEXT) | instid1(VALU_DEP_3)
	v_fma_f32 v6, v142, v102, -v6
	v_dual_add_f32 v2, v2, v5 :: v_dual_fmac_f32 v169, v141, v100
	v_mul_f32_e32 v5, v147, v107
	s_delay_alu instid0(VALU_DEP_4) | instskip(NEXT) | instid1(VALU_DEP_3)
	v_fma_f32 v4, v144, v104, -v4
	v_add_f32_e32 v2, v2, v6
	v_add_f32_e32 v1, v1, v166
	v_mul_f32_e32 v6, v149, v109
	v_fma_f32 v5, v146, v106, -v5
	s_delay_alu instid0(VALU_DEP_3) | instskip(SKIP_1) | instid1(VALU_DEP_4)
	v_dual_add_f32 v2, v2, v4 :: v_dual_add_f32 v1, v1, v167
	v_dual_fmac_f32 v171, v145, v104 :: v_dual_mul_f32 v4, v151, v111
	v_fma_f32 v6, v148, v108, -v6
	s_delay_alu instid0(VALU_DEP_3) | instskip(SKIP_1) | instid1(VALU_DEP_4)
	v_dual_add_f32 v2, v2, v5 :: v_dual_add_f32 v1, v1, v168
	v_fmac_f32_e32 v173, v149, v108
	v_fma_f32 v4, v150, v110, -v4
	s_delay_alu instid0(VALU_DEP_3) | instskip(SKIP_1) | instid1(VALU_DEP_2)
	v_dual_add_f32 v2, v2, v6 :: v_dual_add_f32 v1, v1, v169
	v_dual_mul_f32 v5, v153, v113 :: v_dual_mul_f32 v6, v155, v115
	v_dual_add_f32 v2, v2, v4 :: v_dual_add_f32 v1, v1, v170
	s_delay_alu instid0(VALU_DEP_2) | instskip(SKIP_3) | instid1(VALU_DEP_4)
	v_fma_f32 v5, v152, v112, -v5
	v_fmac_f32_e32 v175, v153, v112
	v_mul_f32_e32 v4, v157, v117
	v_fma_f32 v6, v154, v114, -v6
	v_dual_add_f32 v1, v1, v171 :: v_dual_add_f32 v2, v2, v5
	s_delay_alu instid0(VALU_DEP_3) | instskip(NEXT) | instid1(VALU_DEP_2)
	v_fma_f32 v4, v156, v116, -v4
	v_dual_add_f32 v1, v1, v172 :: v_dual_add_f32 v2, v2, v6
	s_delay_alu instid0(VALU_DEP_1) | instskip(NEXT) | instid1(VALU_DEP_1)
	v_dual_add_f32 v1, v1, v173 :: v_dual_add_f32 v2, v2, v4
	v_add_f32_e32 v1, v1, v174
	s_delay_alu instid0(VALU_DEP_1) | instskip(NEXT) | instid1(VALU_DEP_1)
	v_add_f32_e32 v1, v1, v175
	v_add_f32_e32 v1, v1, v176
	s_wait_loadcnt 0x0
	s_delay_alu instid0(VALU_DEP_1) | instskip(NEXT) | instid1(VALU_DEP_1)
	v_dual_add_f32 v4, v1, v177 :: v_dual_sub_f32 v1, v158, v2
	v_sub_f32_e32 v2, v159, v4
	scratch_store_b64 off, v[1:2], off offset:128
	v_cmpx_lt_u32_e32 15, v0
	s_cbranch_execz .LBB36_205
; %bb.204:
	scratch_load_b64 v[1:2], off, off offset:120
	v_mov_b32_e32 v4, 0
	s_delay_alu instid0(VALU_DEP_1)
	v_mov_b32_e32 v5, v4
	scratch_store_b64 off, v[4:5], off offset:120
	s_wait_loadcnt 0x0
	ds_store_b64 v3, v[1:2]
.LBB36_205:
	s_wait_alu 0xfffe
	s_or_b32 exec_lo, exec_lo, s0
	s_wait_storecnt_dscnt 0x0
	s_barrier_signal -1
	s_barrier_wait -1
	global_inv scope:SCOPE_SE
	s_clause 0xb
	scratch_load_b128 v[4:7], off, off offset:128
	scratch_load_b128 v[8:11], off, off offset:144
	;; [unrolled: 1-line block ×10, first 2 shown]
	scratch_load_b64 v[158:159], off, off offset:288
	scratch_load_b64 v[160:161], off, off offset:120
	v_mov_b32_e32 v1, 0
	ds_load_b128 v[118:121], v1 offset:432
	ds_load_b128 v[122:125], v1 offset:448
	;; [unrolled: 1-line block ×10, first 2 shown]
	ds_load_b64 v[162:163], v1 offset:592
	s_mov_b32 s0, exec_lo
	s_wait_loadcnt_dscnt 0xb0a
	v_mul_f32_e32 v2, v118, v5
	v_dual_mul_f32 v5, v119, v5 :: v_dual_mul_f32 v164, v120, v7
	s_wait_loadcnt_dscnt 0x706
	v_dual_mul_f32 v165, v122, v9 :: v_dual_mul_f32 v172, v136, v23
	v_mul_f32_e32 v7, v121, v7
	s_delay_alu instid0(VALU_DEP_3)
	v_fma_f32 v5, v118, v4, -v5
	v_fmac_f32_e32 v2, v119, v4
	v_mul_f32_e32 v4, v123, v9
	s_wait_loadcnt_dscnt 0x100
	v_dual_fmac_f32 v164, v121, v6 :: v_dual_mul_f32 v183, v162, v159
	v_fma_f32 v6, v120, v6, -v7
	v_dual_add_f32 v5, 0, v5 :: v_dual_add_f32 v2, 0, v2
	v_mul_f32_e32 v7, v125, v11
	v_fma_f32 v4, v122, v8, -v4
	v_dual_mul_f32 v168, v128, v15 :: v_dual_mul_f32 v169, v130, v17
	s_delay_alu instid0(VALU_DEP_4) | instskip(SKIP_3) | instid1(VALU_DEP_4)
	v_dual_add_f32 v5, v5, v6 :: v_dual_add_f32 v2, v2, v164
	v_mul_f32_e32 v6, v127, v13
	v_fma_f32 v7, v124, v10, -v7
	v_dual_mul_f32 v166, v124, v11 :: v_dual_mul_f32 v167, v126, v13
	v_add_f32_e32 v4, v5, v4
	v_mul_f32_e32 v5, v129, v15
	v_fma_f32 v6, v126, v12, -v6
	s_delay_alu instid0(VALU_DEP_4) | instskip(NEXT) | instid1(VALU_DEP_4)
	v_dual_fmac_f32 v165, v123, v8 :: v_dual_fmac_f32 v166, v125, v10
	v_dual_add_f32 v4, v4, v7 :: v_dual_fmac_f32 v169, v131, v16
	v_mul_f32_e32 v7, v131, v17
	v_fma_f32 v5, v128, v14, -v5
	v_dual_mul_f32 v173, v138, v99 :: v_dual_mul_f32 v174, v140, v101
	s_delay_alu instid0(VALU_DEP_4) | instskip(SKIP_1) | instid1(VALU_DEP_3)
	v_add_f32_e32 v4, v4, v6
	v_dual_add_f32 v2, v2, v165 :: v_dual_fmac_f32 v167, v127, v12
	v_dual_mul_f32 v6, v133, v19 :: v_dual_fmac_f32 v173, v139, v98
	v_fma_f32 v7, v130, v16, -v7
	s_delay_alu instid0(VALU_DEP_4) | instskip(NEXT) | instid1(VALU_DEP_4)
	v_add_f32_e32 v4, v4, v5
	v_dual_add_f32 v2, v2, v166 :: v_dual_mul_f32 v5, v135, v21
	s_delay_alu instid0(VALU_DEP_4) | instskip(SKIP_1) | instid1(VALU_DEP_4)
	v_fma_f32 v6, v132, v18, -v6
	v_dual_mul_f32 v179, v150, v111 :: v_dual_mul_f32 v180, v152, v113
	v_add_f32_e32 v4, v4, v7
	v_mul_f32_e32 v7, v137, v23
	v_fma_f32 v5, v134, v20, -v5
	s_delay_alu instid0(VALU_DEP_4) | instskip(NEXT) | instid1(VALU_DEP_4)
	v_dual_add_f32 v2, v2, v167 :: v_dual_fmac_f32 v179, v151, v110
	v_add_f32_e32 v4, v4, v6
	v_mul_f32_e32 v6, v139, v99
	v_fma_f32 v7, v136, v22, -v7
	v_dual_fmac_f32 v183, v163, v158 :: v_dual_mul_f32 v170, v132, v19
	v_mul_f32_e32 v171, v134, v21
	v_add_f32_e32 v4, v4, v5
	v_mul_f32_e32 v5, v141, v101
	v_fma_f32 v6, v138, v98, -v6
	s_delay_alu instid0(VALU_DEP_4) | instskip(NEXT) | instid1(VALU_DEP_4)
	v_dual_fmac_f32 v168, v129, v14 :: v_dual_fmac_f32 v171, v135, v20
	v_add_f32_e32 v4, v4, v7
	v_mul_f32_e32 v7, v143, v103
	v_fma_f32 v5, v140, v100, -v5
	v_dual_fmac_f32 v170, v133, v18 :: v_dual_mul_f32 v175, v142, v103
	v_mul_f32_e32 v176, v144, v105
	v_add_f32_e32 v4, v4, v6
	v_mul_f32_e32 v6, v145, v105
	v_fma_f32 v7, v142, v102, -v7
	v_dual_add_f32 v2, v2, v168 :: v_dual_fmac_f32 v175, v143, v102
	s_delay_alu instid0(VALU_DEP_4) | instskip(NEXT) | instid1(VALU_DEP_4)
	v_dual_add_f32 v4, v4, v5 :: v_dual_mul_f32 v5, v147, v107
	v_fma_f32 v6, v144, v104, -v6
	v_dual_mul_f32 v177, v146, v107 :: v_dual_mul_f32 v178, v148, v109
	s_delay_alu instid0(VALU_DEP_3) | instskip(NEXT) | instid1(VALU_DEP_4)
	v_dual_add_f32 v4, v4, v7 :: v_dual_mul_f32 v7, v149, v109
	v_fma_f32 v5, v146, v106, -v5
	s_delay_alu instid0(VALU_DEP_3) | instskip(NEXT) | instid1(VALU_DEP_3)
	v_dual_add_f32 v2, v2, v169 :: v_dual_fmac_f32 v177, v147, v106
	v_add_f32_e32 v4, v4, v6
	v_mul_f32_e32 v6, v151, v111
	v_fma_f32 v7, v148, v108, -v7
	s_delay_alu instid0(VALU_DEP_4)
	v_add_f32_e32 v2, v2, v170
	v_dual_mul_f32 v181, v154, v115 :: v_dual_mul_f32 v182, v156, v117
	v_add_f32_e32 v4, v4, v5
	v_mul_f32_e32 v5, v153, v113
	v_fma_f32 v6, v150, v110, -v6
	v_fmac_f32_e32 v172, v137, v22
	s_delay_alu instid0(VALU_DEP_4)
	v_dual_fmac_f32 v181, v155, v114 :: v_dual_add_f32 v4, v4, v7
	v_mul_f32_e32 v7, v155, v115
	v_add_f32_e32 v2, v2, v171
	v_fma_f32 v5, v152, v112, -v5
	v_fmac_f32_e32 v174, v141, v100
	v_add_f32_e32 v4, v4, v6
	v_fmac_f32_e32 v176, v145, v104
	v_fmac_f32_e32 v178, v149, v108
	;; [unrolled: 1-line block ×3, first 2 shown]
	v_mul_f32_e32 v6, v157, v117
	v_dual_add_f32 v4, v4, v5 :: v_dual_mul_f32 v5, v163, v159
	v_add_f32_e32 v2, v2, v172
	v_fma_f32 v7, v154, v114, -v7
	v_fmac_f32_e32 v182, v157, v116
	v_fma_f32 v6, v156, v116, -v6
	v_fma_f32 v5, v162, v158, -v5
	v_add_f32_e32 v2, v2, v173
	v_add_f32_e32 v4, v4, v7
	s_delay_alu instid0(VALU_DEP_2) | instskip(NEXT) | instid1(VALU_DEP_2)
	v_add_f32_e32 v2, v2, v174
	v_add_f32_e32 v4, v4, v6
	s_delay_alu instid0(VALU_DEP_2) | instskip(NEXT) | instid1(VALU_DEP_2)
	v_add_f32_e32 v2, v2, v175
	v_add_f32_e32 v4, v4, v5
	s_delay_alu instid0(VALU_DEP_2) | instskip(SKIP_1) | instid1(VALU_DEP_2)
	v_add_f32_e32 v2, v2, v176
	s_wait_loadcnt 0x0
	v_sub_f32_e32 v4, v160, v4
	s_delay_alu instid0(VALU_DEP_2) | instskip(NEXT) | instid1(VALU_DEP_1)
	v_add_f32_e32 v2, v2, v177
	v_add_f32_e32 v2, v2, v178
	s_delay_alu instid0(VALU_DEP_1) | instskip(NEXT) | instid1(VALU_DEP_1)
	v_add_f32_e32 v2, v2, v179
	v_add_f32_e32 v2, v2, v180
	s_delay_alu instid0(VALU_DEP_1) | instskip(NEXT) | instid1(VALU_DEP_1)
	;; [unrolled: 3-line block ×3, first 2 shown]
	v_add_f32_e32 v2, v2, v183
	v_sub_f32_e32 v5, v161, v2
	scratch_store_b64 off, v[4:5], off offset:120
	v_cmpx_lt_u32_e32 14, v0
	s_cbranch_execz .LBB36_207
; %bb.206:
	scratch_load_b64 v[4:5], off, off offset:112
	v_mov_b32_e32 v2, v1
	scratch_store_b64 off, v[1:2], off offset:112
	s_wait_loadcnt 0x0
	ds_store_b64 v3, v[4:5]
.LBB36_207:
	s_wait_alu 0xfffe
	s_or_b32 exec_lo, exec_lo, s0
	s_wait_storecnt_dscnt 0x0
	s_barrier_signal -1
	s_barrier_wait -1
	global_inv scope:SCOPE_SE
	s_clause 0xb
	scratch_load_b128 v[4:7], off, off offset:120
	scratch_load_b128 v[8:11], off, off offset:136
	;; [unrolled: 1-line block ×11, first 2 shown]
	scratch_load_b64 v[166:167], off, off offset:112
	ds_load_2addr_b64 v[122:125], v1 offset0:53 offset1:54
	ds_load_2addr_b64 v[126:129], v1 offset0:55 offset1:56
	;; [unrolled: 1-line block ×11, first 2 shown]
	s_mov_b32 s0, exec_lo
	s_wait_loadcnt_dscnt 0xb0a
	v_dual_mul_f32 v1, v122, v5 :: v_dual_mul_f32 v2, v124, v7
	s_wait_loadcnt_dscnt 0xa09
	v_dual_mul_f32 v7, v125, v7 :: v_dual_mul_f32 v168, v126, v9
	v_mul_f32_e32 v169, v128, v11
	v_mul_f32_e32 v5, v123, v5
	v_dual_fmac_f32 v1, v123, v4 :: v_dual_fmac_f32 v2, v125, v6
	s_wait_loadcnt_dscnt 0x908
	v_dual_mul_f32 v170, v130, v13 :: v_dual_mul_f32 v171, v132, v15
	s_wait_loadcnt_dscnt 0x201
	v_mul_f32_e32 v184, v158, v115
	v_fma_f32 v5, v122, v4, -v5
	s_wait_loadcnt_dscnt 0x100
	v_mul_f32_e32 v187, v164, v121
	v_mul_f32_e32 v4, v127, v9
	v_fma_f32 v6, v124, v6, -v7
	v_mul_f32_e32 v7, v129, v11
	v_dual_add_f32 v5, 0, v5 :: v_dual_fmac_f32 v168, v127, v8
	s_delay_alu instid0(VALU_DEP_4) | instskip(SKIP_1) | instid1(VALU_DEP_3)
	v_fma_f32 v4, v126, v8, -v4
	v_dual_mul_f32 v172, v134, v17 :: v_dual_mul_f32 v173, v136, v19
	v_add_f32_e32 v5, v5, v6
	v_fma_f32 v6, v128, v10, -v7
	v_dual_mul_f32 v174, v138, v21 :: v_dual_mul_f32 v175, v140, v23
	v_dual_mul_f32 v176, v142, v99 :: v_dual_mul_f32 v177, v144, v101
	s_delay_alu instid0(VALU_DEP_4) | instskip(SKIP_2) | instid1(VALU_DEP_3)
	v_add_f32_e32 v4, v5, v4
	v_dual_fmac_f32 v173, v137, v18 :: v_dual_mul_f32 v178, v146, v103
	v_dual_mul_f32 v179, v148, v105 :: v_dual_fmac_f32 v170, v131, v12
	v_dual_add_f32 v4, v4, v6 :: v_dual_add_f32 v1, 0, v1
	v_mul_f32_e32 v6, v135, v17
	v_fmac_f32_e32 v172, v135, v16
	v_dual_mul_f32 v180, v150, v107 :: v_dual_mul_f32 v181, v152, v109
	s_delay_alu instid0(VALU_DEP_4) | instskip(NEXT) | instid1(VALU_DEP_4)
	v_dual_add_f32 v1, v1, v2 :: v_dual_mul_f32 v2, v131, v13
	v_fma_f32 v6, v134, v16, -v6
	v_mul_f32_e32 v5, v133, v15
	v_dual_mul_f32 v182, v154, v111 :: v_dual_mul_f32 v183, v156, v113
	s_delay_alu instid0(VALU_DEP_4) | instskip(SKIP_1) | instid1(VALU_DEP_4)
	v_fma_f32 v2, v130, v12, -v2
	v_add_f32_e32 v1, v1, v168
	v_fma_f32 v5, v132, v14, -v5
	v_dual_mul_f32 v185, v160, v117 :: v_dual_mul_f32 v186, v162, v119
	s_delay_alu instid0(VALU_DEP_4) | instskip(SKIP_3) | instid1(VALU_DEP_4)
	v_add_f32_e32 v2, v4, v2
	v_fmac_f32_e32 v169, v129, v10
	v_mul_f32_e32 v4, v137, v19
	v_fmac_f32_e32 v174, v139, v20
	v_dual_fmac_f32 v187, v165, v120 :: v_dual_add_f32 v2, v2, v5
	s_delay_alu instid0(VALU_DEP_4)
	v_add_f32_e32 v1, v1, v169
	v_mul_f32_e32 v5, v139, v21
	v_fma_f32 v4, v136, v18, -v4
	v_fmac_f32_e32 v176, v143, v98
	v_add_f32_e32 v2, v2, v6
	v_fmac_f32_e32 v171, v133, v14
	v_add_f32_e32 v1, v1, v170
	v_mul_f32_e32 v6, v141, v23
	v_fma_f32 v5, v138, v20, -v5
	v_add_f32_e32 v2, v2, v4
	v_mul_f32_e32 v4, v143, v99
	v_add_f32_e32 v1, v1, v171
	v_fma_f32 v6, v140, v22, -v6
	v_fmac_f32_e32 v178, v147, v102
	v_add_f32_e32 v2, v2, v5
	v_mul_f32_e32 v5, v145, v101
	v_add_f32_e32 v1, v1, v172
	v_fma_f32 v4, v142, v98, -v4
	v_fmac_f32_e32 v180, v151, v106
	v_add_f32_e32 v2, v2, v6
	s_delay_alu instid0(VALU_DEP_4) | instskip(SKIP_2) | instid1(VALU_DEP_4)
	v_dual_mul_f32 v6, v147, v103 :: v_dual_add_f32 v1, v1, v173
	v_fma_f32 v5, v144, v100, -v5
	v_fmac_f32_e32 v182, v155, v110
	v_dual_add_f32 v2, v2, v4 :: v_dual_fmac_f32 v175, v141, v22
	v_mul_f32_e32 v4, v149, v105
	v_fma_f32 v6, v146, v102, -v6
	v_fmac_f32_e32 v184, v159, v114
	s_delay_alu instid0(VALU_DEP_4) | instskip(SKIP_3) | instid1(VALU_DEP_4)
	v_dual_add_f32 v2, v2, v5 :: v_dual_fmac_f32 v177, v145, v100
	v_mul_f32_e32 v5, v151, v107
	v_fma_f32 v4, v148, v104, -v4
	v_fmac_f32_e32 v186, v163, v118
	v_add_f32_e32 v2, v2, v6
	v_add_f32_e32 v1, v1, v174
	v_mul_f32_e32 v6, v153, v109
	v_fma_f32 v5, v150, v106, -v5
	s_delay_alu instid0(VALU_DEP_3) | instskip(SKIP_1) | instid1(VALU_DEP_4)
	v_dual_add_f32 v2, v2, v4 :: v_dual_add_f32 v1, v1, v175
	v_dual_fmac_f32 v179, v149, v104 :: v_dual_mul_f32 v4, v155, v111
	v_fma_f32 v6, v152, v108, -v6
	s_delay_alu instid0(VALU_DEP_3) | instskip(SKIP_1) | instid1(VALU_DEP_4)
	v_dual_add_f32 v2, v2, v5 :: v_dual_add_f32 v1, v1, v176
	v_fmac_f32_e32 v181, v153, v108
	v_fma_f32 v4, v154, v110, -v4
	s_delay_alu instid0(VALU_DEP_3) | instskip(SKIP_1) | instid1(VALU_DEP_2)
	v_dual_add_f32 v2, v2, v6 :: v_dual_add_f32 v1, v1, v177
	v_dual_mul_f32 v5, v157, v113 :: v_dual_mul_f32 v6, v159, v115
	v_dual_add_f32 v2, v2, v4 :: v_dual_add_f32 v1, v1, v178
	s_delay_alu instid0(VALU_DEP_2) | instskip(SKIP_3) | instid1(VALU_DEP_4)
	v_fma_f32 v5, v156, v112, -v5
	v_fmac_f32_e32 v183, v157, v112
	v_mul_f32_e32 v4, v161, v117
	v_fma_f32 v6, v158, v114, -v6
	v_dual_add_f32 v1, v1, v179 :: v_dual_add_f32 v2, v2, v5
	v_mul_f32_e32 v5, v163, v119
	s_delay_alu instid0(VALU_DEP_4) | instskip(NEXT) | instid1(VALU_DEP_3)
	v_fma_f32 v4, v160, v116, -v4
	v_dual_add_f32 v1, v1, v180 :: v_dual_add_f32 v2, v2, v6
	v_mul_f32_e32 v6, v165, v121
	s_delay_alu instid0(VALU_DEP_4) | instskip(NEXT) | instid1(VALU_DEP_3)
	v_fma_f32 v5, v162, v118, -v5
	v_dual_add_f32 v1, v1, v181 :: v_dual_add_f32 v2, v2, v4
	v_fmac_f32_e32 v185, v161, v116
	s_delay_alu instid0(VALU_DEP_4) | instskip(NEXT) | instid1(VALU_DEP_3)
	v_fma_f32 v4, v164, v120, -v6
	v_dual_add_f32 v1, v1, v182 :: v_dual_add_f32 v2, v2, v5
	s_delay_alu instid0(VALU_DEP_1) | instskip(NEXT) | instid1(VALU_DEP_1)
	v_dual_add_f32 v1, v1, v183 :: v_dual_add_f32 v2, v2, v4
	v_add_f32_e32 v1, v1, v184
	s_delay_alu instid0(VALU_DEP_1) | instskip(NEXT) | instid1(VALU_DEP_1)
	v_add_f32_e32 v1, v1, v185
	v_add_f32_e32 v1, v1, v186
	s_wait_loadcnt 0x0
	s_delay_alu instid0(VALU_DEP_1) | instskip(NEXT) | instid1(VALU_DEP_1)
	v_dual_add_f32 v4, v1, v187 :: v_dual_sub_f32 v1, v166, v2
	v_sub_f32_e32 v2, v167, v4
	scratch_store_b64 off, v[1:2], off offset:112
	v_cmpx_lt_u32_e32 13, v0
	s_cbranch_execz .LBB36_209
; %bb.208:
	scratch_load_b64 v[1:2], off, off offset:104
	v_mov_b32_e32 v4, 0
	s_delay_alu instid0(VALU_DEP_1)
	v_mov_b32_e32 v5, v4
	scratch_store_b64 off, v[4:5], off offset:104
	s_wait_loadcnt 0x0
	ds_store_b64 v3, v[1:2]
.LBB36_209:
	s_wait_alu 0xfffe
	s_or_b32 exec_lo, exec_lo, s0
	s_wait_storecnt_dscnt 0x0
	s_barrier_signal -1
	s_barrier_wait -1
	global_inv scope:SCOPE_SE
	s_clause 0xc
	scratch_load_b128 v[4:7], off, off offset:112
	scratch_load_b128 v[8:11], off, off offset:128
	;; [unrolled: 1-line block ×11, first 2 shown]
	scratch_load_b64 v[166:167], off, off offset:288
	scratch_load_b64 v[168:169], off, off offset:104
	v_mov_b32_e32 v1, 0
	ds_load_b128 v[122:125], v1 offset:416
	ds_load_b128 v[126:129], v1 offset:432
	;; [unrolled: 1-line block ×11, first 2 shown]
	ds_load_b64 v[170:171], v1 offset:592
	s_mov_b32 s0, exec_lo
	s_wait_loadcnt_dscnt 0xc0b
	v_mul_f32_e32 v2, v122, v5
	v_dual_mul_f32 v5, v123, v5 :: v_dual_mul_f32 v172, v124, v7
	s_wait_loadcnt_dscnt 0x807
	v_dual_mul_f32 v173, v126, v9 :: v_dual_mul_f32 v180, v140, v23
	v_mul_f32_e32 v7, v125, v7
	s_delay_alu instid0(VALU_DEP_3)
	v_fma_f32 v5, v122, v4, -v5
	v_fmac_f32_e32 v2, v123, v4
	v_mul_f32_e32 v4, v127, v9
	v_fmac_f32_e32 v172, v125, v6
	v_fma_f32 v6, v124, v6, -v7
	s_wait_loadcnt_dscnt 0x100
	v_mul_f32_e32 v193, v170, v167
	v_dual_add_f32 v5, 0, v5 :: v_dual_add_f32 v2, 0, v2
	v_mul_f32_e32 v7, v129, v11
	v_fma_f32 v4, v126, v8, -v4
	v_dual_mul_f32 v176, v132, v15 :: v_dual_mul_f32 v177, v134, v17
	s_delay_alu instid0(VALU_DEP_4) | instskip(SKIP_3) | instid1(VALU_DEP_4)
	v_dual_add_f32 v5, v5, v6 :: v_dual_add_f32 v2, v2, v172
	v_mul_f32_e32 v6, v131, v13
	v_fma_f32 v7, v128, v10, -v7
	v_dual_mul_f32 v174, v128, v11 :: v_dual_mul_f32 v175, v130, v13
	v_add_f32_e32 v4, v5, v4
	v_mul_f32_e32 v5, v133, v15
	v_fma_f32 v6, v130, v12, -v6
	s_delay_alu instid0(VALU_DEP_4) | instskip(NEXT) | instid1(VALU_DEP_4)
	v_dual_fmac_f32 v173, v127, v8 :: v_dual_fmac_f32 v174, v129, v10
	v_dual_add_f32 v4, v4, v7 :: v_dual_fmac_f32 v177, v135, v16
	v_mul_f32_e32 v7, v135, v17
	v_fma_f32 v5, v132, v14, -v5
	v_dual_mul_f32 v181, v142, v99 :: v_dual_mul_f32 v182, v144, v101
	s_delay_alu instid0(VALU_DEP_4) | instskip(SKIP_1) | instid1(VALU_DEP_3)
	v_add_f32_e32 v4, v4, v6
	v_dual_add_f32 v2, v2, v173 :: v_dual_fmac_f32 v175, v131, v12
	v_dual_mul_f32 v6, v137, v19 :: v_dual_fmac_f32 v181, v143, v98
	v_fma_f32 v7, v134, v16, -v7
	s_delay_alu instid0(VALU_DEP_4) | instskip(NEXT) | instid1(VALU_DEP_4)
	v_add_f32_e32 v4, v4, v5
	v_dual_add_f32 v2, v2, v174 :: v_dual_mul_f32 v5, v139, v21
	s_delay_alu instid0(VALU_DEP_4) | instskip(SKIP_1) | instid1(VALU_DEP_4)
	v_fma_f32 v6, v136, v18, -v6
	v_dual_mul_f32 v187, v154, v111 :: v_dual_mul_f32 v188, v156, v113
	v_add_f32_e32 v4, v4, v7
	v_mul_f32_e32 v7, v141, v23
	v_fma_f32 v5, v138, v20, -v5
	v_dual_mul_f32 v191, v162, v119 :: v_dual_mul_f32 v192, v164, v121
	s_delay_alu instid0(VALU_DEP_4) | instskip(SKIP_3) | instid1(VALU_DEP_4)
	v_add_f32_e32 v4, v4, v6
	v_mul_f32_e32 v6, v143, v99
	v_fma_f32 v7, v140, v22, -v7
	v_dual_add_f32 v2, v2, v175 :: v_dual_fmac_f32 v187, v155, v110
	v_add_f32_e32 v4, v4, v5
	v_mul_f32_e32 v5, v145, v101
	v_fma_f32 v6, v142, v98, -v6
	v_dual_fmac_f32 v191, v163, v118 :: v_dual_mul_f32 v178, v136, v19
	s_delay_alu instid0(VALU_DEP_4) | instskip(SKIP_2) | instid1(VALU_DEP_3)
	v_dual_mul_f32 v179, v138, v21 :: v_dual_add_f32 v4, v4, v7
	v_mul_f32_e32 v7, v147, v103
	v_fma_f32 v5, v144, v100, -v5
	v_dual_fmac_f32 v176, v133, v14 :: v_dual_fmac_f32 v179, v139, v20
	s_delay_alu instid0(VALU_DEP_4)
	v_add_f32_e32 v4, v4, v6
	v_mul_f32_e32 v6, v149, v105
	v_fma_f32 v7, v146, v102, -v7
	v_dual_fmac_f32 v178, v137, v18 :: v_dual_mul_f32 v183, v146, v103
	v_mul_f32_e32 v184, v148, v105
	v_dual_add_f32 v4, v4, v5 :: v_dual_mul_f32 v5, v151, v107
	v_fma_f32 v6, v148, v104, -v6
	s_delay_alu instid0(VALU_DEP_4) | instskip(NEXT) | instid1(VALU_DEP_3)
	v_dual_add_f32 v2, v2, v176 :: v_dual_fmac_f32 v183, v147, v102
	v_dual_add_f32 v4, v4, v7 :: v_dual_mul_f32 v7, v153, v109
	s_delay_alu instid0(VALU_DEP_4) | instskip(SKIP_1) | instid1(VALU_DEP_3)
	v_fma_f32 v5, v150, v106, -v5
	v_dual_mul_f32 v185, v150, v107 :: v_dual_mul_f32 v186, v152, v109
	v_add_f32_e32 v4, v4, v6
	v_add_f32_e32 v2, v2, v177
	v_mul_f32_e32 v6, v155, v111
	v_fma_f32 v7, v152, v108, -v7
	s_delay_alu instid0(VALU_DEP_4) | instskip(NEXT) | instid1(VALU_DEP_4)
	v_dual_fmac_f32 v185, v151, v106 :: v_dual_add_f32 v4, v4, v5
	v_dual_add_f32 v2, v2, v178 :: v_dual_mul_f32 v5, v157, v113
	s_delay_alu instid0(VALU_DEP_4) | instskip(SKIP_1) | instid1(VALU_DEP_4)
	v_fma_f32 v6, v154, v110, -v6
	v_dual_mul_f32 v189, v158, v115 :: v_dual_mul_f32 v190, v160, v117
	v_add_f32_e32 v4, v4, v7
	v_dual_fmac_f32 v180, v141, v22 :: v_dual_mul_f32 v7, v159, v115
	s_delay_alu instid0(VALU_DEP_3) | instskip(SKIP_1) | instid1(VALU_DEP_4)
	v_dual_add_f32 v2, v2, v179 :: v_dual_fmac_f32 v189, v159, v114
	v_fma_f32 v5, v156, v112, -v5
	v_add_f32_e32 v4, v4, v6
	v_dual_fmac_f32 v182, v145, v100 :: v_dual_fmac_f32 v193, v171, v166
	v_fmac_f32_e32 v184, v149, v104
	v_fmac_f32_e32 v186, v153, v108
	s_delay_alu instid0(VALU_DEP_4)
	v_dual_add_f32 v4, v4, v5 :: v_dual_mul_f32 v5, v163, v119
	v_add_f32_e32 v2, v2, v180
	v_fmac_f32_e32 v188, v157, v112
	v_mul_f32_e32 v6, v161, v117
	v_fma_f32 v7, v158, v114, -v7
	v_fmac_f32_e32 v190, v161, v116
	v_add_f32_e32 v2, v2, v181
	v_fma_f32 v5, v162, v118, -v5
	v_fma_f32 v6, v160, v116, -v6
	v_dual_add_f32 v4, v4, v7 :: v_dual_mul_f32 v7, v165, v121
	s_delay_alu instid0(VALU_DEP_4) | instskip(SKIP_1) | instid1(VALU_DEP_3)
	v_add_f32_e32 v2, v2, v182
	v_fmac_f32_e32 v192, v165, v120
	v_add_f32_e32 v4, v4, v6
	v_mul_f32_e32 v6, v171, v167
	s_delay_alu instid0(VALU_DEP_4) | instskip(SKIP_1) | instid1(VALU_DEP_4)
	v_add_f32_e32 v2, v2, v183
	v_fma_f32 v7, v164, v120, -v7
	v_add_f32_e32 v4, v4, v5
	s_delay_alu instid0(VALU_DEP_4) | instskip(NEXT) | instid1(VALU_DEP_4)
	v_fma_f32 v5, v170, v166, -v6
	v_add_f32_e32 v2, v2, v184
	s_delay_alu instid0(VALU_DEP_3) | instskip(NEXT) | instid1(VALU_DEP_2)
	v_add_f32_e32 v4, v4, v7
	v_add_f32_e32 v2, v2, v185
	s_delay_alu instid0(VALU_DEP_2) | instskip(NEXT) | instid1(VALU_DEP_2)
	v_add_f32_e32 v4, v4, v5
	v_add_f32_e32 v2, v2, v186
	s_wait_loadcnt 0x0
	s_delay_alu instid0(VALU_DEP_2) | instskip(NEXT) | instid1(VALU_DEP_2)
	v_sub_f32_e32 v4, v168, v4
	v_add_f32_e32 v2, v2, v187
	s_delay_alu instid0(VALU_DEP_1) | instskip(NEXT) | instid1(VALU_DEP_1)
	v_add_f32_e32 v2, v2, v188
	v_add_f32_e32 v2, v2, v189
	s_delay_alu instid0(VALU_DEP_1) | instskip(NEXT) | instid1(VALU_DEP_1)
	v_add_f32_e32 v2, v2, v190
	;; [unrolled: 3-line block ×3, first 2 shown]
	v_add_f32_e32 v2, v2, v193
	s_delay_alu instid0(VALU_DEP_1)
	v_sub_f32_e32 v5, v169, v2
	scratch_store_b64 off, v[4:5], off offset:104
	v_cmpx_lt_u32_e32 12, v0
	s_cbranch_execz .LBB36_211
; %bb.210:
	scratch_load_b64 v[4:5], off, off offset:96
	v_mov_b32_e32 v2, v1
	scratch_store_b64 off, v[1:2], off offset:96
	s_wait_loadcnt 0x0
	ds_store_b64 v3, v[4:5]
.LBB36_211:
	s_wait_alu 0xfffe
	s_or_b32 exec_lo, exec_lo, s0
	s_wait_storecnt_dscnt 0x0
	s_barrier_signal -1
	s_barrier_wait -1
	global_inv scope:SCOPE_SE
	s_clause 0xc
	scratch_load_b128 v[4:7], off, off offset:104
	scratch_load_b128 v[8:11], off, off offset:120
	;; [unrolled: 1-line block ×12, first 2 shown]
	scratch_load_b64 v[174:175], off, off offset:96
	ds_load_2addr_b64 v[126:129], v1 offset0:51 offset1:52
	ds_load_2addr_b64 v[130:133], v1 offset0:53 offset1:54
	;; [unrolled: 1-line block ×12, first 2 shown]
	s_mov_b32 s0, exec_lo
	s_wait_loadcnt_dscnt 0xc0b
	v_dual_mul_f32 v1, v126, v5 :: v_dual_mul_f32 v2, v128, v7
	s_wait_loadcnt_dscnt 0xb0a
	v_dual_mul_f32 v7, v129, v7 :: v_dual_mul_f32 v176, v130, v9
	v_mul_f32_e32 v177, v132, v11
	s_delay_alu instid0(VALU_DEP_3)
	v_fmac_f32_e32 v1, v127, v4
	v_dual_mul_f32 v5, v127, v5 :: v_dual_fmac_f32 v2, v129, v6
	s_wait_loadcnt_dscnt 0xa09
	v_dual_mul_f32 v178, v134, v13 :: v_dual_mul_f32 v179, v136, v15
	s_wait_loadcnt_dscnt 0x201
	v_mul_f32_e32 v194, v166, v119
	v_fma_f32 v5, v126, v4, -v5
	s_wait_loadcnt_dscnt 0x100
	v_mul_f32_e32 v197, v172, v125
	v_mul_f32_e32 v4, v131, v9
	v_fma_f32 v6, v128, v6, -v7
	v_mul_f32_e32 v7, v133, v11
	v_dual_add_f32 v5, 0, v5 :: v_dual_fmac_f32 v176, v131, v8
	s_delay_alu instid0(VALU_DEP_4) | instskip(SKIP_1) | instid1(VALU_DEP_3)
	v_fma_f32 v4, v130, v8, -v4
	v_dual_mul_f32 v180, v138, v17 :: v_dual_mul_f32 v181, v140, v19
	v_add_f32_e32 v5, v5, v6
	v_fma_f32 v6, v132, v10, -v7
	v_dual_mul_f32 v182, v142, v21 :: v_dual_mul_f32 v183, v144, v23
	v_dual_mul_f32 v184, v146, v99 :: v_dual_mul_f32 v185, v148, v101
	s_delay_alu instid0(VALU_DEP_4) | instskip(SKIP_2) | instid1(VALU_DEP_3)
	v_add_f32_e32 v4, v5, v4
	v_dual_fmac_f32 v181, v141, v18 :: v_dual_mul_f32 v186, v150, v103
	v_dual_mul_f32 v187, v152, v105 :: v_dual_fmac_f32 v178, v135, v12
	v_dual_add_f32 v4, v4, v6 :: v_dual_add_f32 v1, 0, v1
	v_mul_f32_e32 v6, v139, v17
	v_dual_mul_f32 v188, v154, v107 :: v_dual_mul_f32 v189, v156, v109
	s_delay_alu instid0(VALU_DEP_3) | instskip(SKIP_1) | instid1(VALU_DEP_4)
	v_dual_fmac_f32 v180, v139, v16 :: v_dual_add_f32 v1, v1, v2
	v_mul_f32_e32 v2, v135, v13
	v_fma_f32 v6, v138, v16, -v6
	v_mul_f32_e32 v5, v137, v15
	v_dual_mul_f32 v190, v158, v111 :: v_dual_mul_f32 v191, v160, v113
	s_delay_alu instid0(VALU_DEP_4) | instskip(SKIP_1) | instid1(VALU_DEP_4)
	v_fma_f32 v2, v134, v12, -v2
	v_add_f32_e32 v1, v1, v176
	v_fma_f32 v5, v136, v14, -v5
	v_dual_mul_f32 v192, v162, v115 :: v_dual_mul_f32 v193, v164, v117
	s_delay_alu instid0(VALU_DEP_4) | instskip(SKIP_3) | instid1(VALU_DEP_4)
	v_add_f32_e32 v2, v4, v2
	v_fmac_f32_e32 v177, v133, v10
	v_mul_f32_e32 v4, v141, v19
	v_fmac_f32_e32 v182, v143, v20
	v_dual_fmac_f32 v193, v165, v116 :: v_dual_add_f32 v2, v2, v5
	s_delay_alu instid0(VALU_DEP_4)
	v_add_f32_e32 v1, v1, v177
	v_mul_f32_e32 v5, v143, v21
	v_fma_f32 v4, v140, v18, -v4
	v_dual_mul_f32 v195, v168, v121 :: v_dual_mul_f32 v196, v170, v123
	v_add_f32_e32 v2, v2, v6
	v_fmac_f32_e32 v179, v137, v14
	v_add_f32_e32 v1, v1, v178
	v_mul_f32_e32 v6, v145, v23
	v_fma_f32 v5, v142, v20, -v5
	v_add_f32_e32 v2, v2, v4
	v_mul_f32_e32 v4, v147, v99
	v_add_f32_e32 v1, v1, v179
	v_fma_f32 v6, v144, v22, -v6
	v_fmac_f32_e32 v184, v147, v98
	v_add_f32_e32 v2, v2, v5
	v_mul_f32_e32 v5, v149, v101
	v_add_f32_e32 v1, v1, v180
	v_fma_f32 v4, v146, v98, -v4
	s_delay_alu instid0(VALU_DEP_4) | instskip(NEXT) | instid1(VALU_DEP_3)
	v_dual_fmac_f32 v197, v173, v124 :: v_dual_add_f32 v2, v2, v6
	v_dual_mul_f32 v6, v151, v103 :: v_dual_add_f32 v1, v1, v181
	v_fma_f32 v5, v148, v100, -v5
	v_fmac_f32_e32 v186, v151, v102
	s_delay_alu instid0(VALU_DEP_4) | instskip(SKIP_3) | instid1(VALU_DEP_4)
	v_dual_add_f32 v2, v2, v4 :: v_dual_fmac_f32 v183, v145, v22
	v_mul_f32_e32 v4, v153, v105
	v_fma_f32 v6, v150, v102, -v6
	v_fmac_f32_e32 v188, v155, v106
	v_dual_add_f32 v2, v2, v5 :: v_dual_fmac_f32 v185, v149, v100
	v_mul_f32_e32 v5, v155, v107
	v_fma_f32 v4, v152, v104, -v4
	v_fmac_f32_e32 v190, v159, v110
	s_delay_alu instid0(VALU_DEP_4) | instskip(SKIP_4) | instid1(VALU_DEP_4)
	v_add_f32_e32 v2, v2, v6
	v_add_f32_e32 v1, v1, v182
	v_mul_f32_e32 v6, v157, v109
	v_fma_f32 v5, v154, v106, -v5
	v_fmac_f32_e32 v192, v163, v114
	v_dual_add_f32 v2, v2, v4 :: v_dual_add_f32 v1, v1, v183
	v_dual_fmac_f32 v187, v153, v104 :: v_dual_mul_f32 v4, v159, v111
	v_fma_f32 v6, v156, v108, -v6
	s_delay_alu instid0(VALU_DEP_3) | instskip(SKIP_1) | instid1(VALU_DEP_4)
	v_dual_add_f32 v2, v2, v5 :: v_dual_add_f32 v1, v1, v184
	v_fmac_f32_e32 v189, v157, v108
	v_fma_f32 v4, v158, v110, -v4
	v_fmac_f32_e32 v194, v167, v118
	s_delay_alu instid0(VALU_DEP_4) | instskip(SKIP_2) | instid1(VALU_DEP_3)
	v_dual_add_f32 v2, v2, v6 :: v_dual_add_f32 v1, v1, v185
	v_dual_mul_f32 v5, v161, v113 :: v_dual_mul_f32 v6, v163, v115
	v_fmac_f32_e32 v196, v171, v122
	v_dual_add_f32 v2, v2, v4 :: v_dual_add_f32 v1, v1, v186
	s_delay_alu instid0(VALU_DEP_3) | instskip(SKIP_3) | instid1(VALU_DEP_4)
	v_fma_f32 v5, v160, v112, -v5
	v_fmac_f32_e32 v191, v161, v112
	v_mul_f32_e32 v4, v165, v117
	v_fma_f32 v6, v162, v114, -v6
	v_dual_add_f32 v1, v1, v187 :: v_dual_add_f32 v2, v2, v5
	v_mul_f32_e32 v5, v167, v119
	s_delay_alu instid0(VALU_DEP_4) | instskip(NEXT) | instid1(VALU_DEP_3)
	v_fma_f32 v4, v164, v116, -v4
	v_dual_add_f32 v1, v1, v188 :: v_dual_add_f32 v2, v2, v6
	v_mul_f32_e32 v6, v169, v121
	s_delay_alu instid0(VALU_DEP_4) | instskip(NEXT) | instid1(VALU_DEP_3)
	;; [unrolled: 4-line block ×3, first 2 shown]
	v_fma_f32 v6, v168, v120, -v6
	v_dual_add_f32 v1, v1, v190 :: v_dual_add_f32 v2, v2, v5
	v_fmac_f32_e32 v195, v169, v120
	s_delay_alu instid0(VALU_DEP_4) | instskip(NEXT) | instid1(VALU_DEP_3)
	v_fma_f32 v4, v170, v122, -v4
	v_dual_add_f32 v1, v1, v191 :: v_dual_add_f32 v2, v2, v6
	s_delay_alu instid0(VALU_DEP_1) | instskip(NEXT) | instid1(VALU_DEP_1)
	v_add_f32_e32 v1, v1, v192
	v_dual_add_f32 v2, v2, v4 :: v_dual_add_f32 v1, v1, v193
	s_delay_alu instid0(VALU_DEP_1) | instskip(NEXT) | instid1(VALU_DEP_1)
	v_add_f32_e32 v1, v1, v194
	v_add_f32_e32 v1, v1, v195
	s_delay_alu instid0(VALU_DEP_1) | instskip(NEXT) | instid1(VALU_DEP_1)
	v_add_f32_e32 v1, v1, v196
	v_add_f32_e32 v4, v1, v197
	v_mul_f32_e32 v5, v173, v125
	s_delay_alu instid0(VALU_DEP_1) | instskip(NEXT) | instid1(VALU_DEP_1)
	v_fma_f32 v5, v172, v124, -v5
	v_add_f32_e32 v2, v2, v5
	s_wait_loadcnt 0x0
	s_delay_alu instid0(VALU_DEP_1)
	v_dual_sub_f32 v1, v174, v2 :: v_dual_sub_f32 v2, v175, v4
	scratch_store_b64 off, v[1:2], off offset:96
	v_cmpx_lt_u32_e32 11, v0
	s_cbranch_execz .LBB36_213
; %bb.212:
	scratch_load_b64 v[1:2], off, off offset:88
	v_mov_b32_e32 v4, 0
	s_delay_alu instid0(VALU_DEP_1)
	v_mov_b32_e32 v5, v4
	scratch_store_b64 off, v[4:5], off offset:88
	s_wait_loadcnt 0x0
	ds_store_b64 v3, v[1:2]
.LBB36_213:
	s_wait_alu 0xfffe
	s_or_b32 exec_lo, exec_lo, s0
	s_wait_storecnt_dscnt 0x0
	s_barrier_signal -1
	s_barrier_wait -1
	global_inv scope:SCOPE_SE
	s_clause 0xd
	scratch_load_b128 v[4:7], off, off offset:96
	scratch_load_b128 v[8:11], off, off offset:112
	;; [unrolled: 1-line block ×12, first 2 shown]
	scratch_load_b64 v[174:175], off, off offset:288
	scratch_load_b64 v[176:177], off, off offset:88
	v_mov_b32_e32 v1, 0
	ds_load_b128 v[126:129], v1 offset:400
	ds_load_b128 v[130:133], v1 offset:416
	;; [unrolled: 1-line block ×12, first 2 shown]
	ds_load_b64 v[178:179], v1 offset:592
	s_mov_b32 s0, exec_lo
	s_wait_loadcnt_dscnt 0xd0c
	v_mul_f32_e32 v2, v126, v5
	v_dual_mul_f32 v5, v127, v5 :: v_dual_mul_f32 v180, v128, v7
	s_wait_loadcnt_dscnt 0x908
	v_dual_mul_f32 v181, v130, v9 :: v_dual_mul_f32 v188, v144, v23
	v_mul_f32_e32 v7, v129, v7
	s_delay_alu instid0(VALU_DEP_3)
	v_fma_f32 v5, v126, v4, -v5
	v_fmac_f32_e32 v180, v129, v6
	v_fmac_f32_e32 v2, v127, v4
	v_mul_f32_e32 v4, v131, v9
	v_fma_f32 v6, v128, v6, -v7
	v_add_f32_e32 v5, 0, v5
	s_wait_loadcnt_dscnt 0x100
	v_dual_mul_f32 v203, v178, v175 :: v_dual_add_f32 v2, 0, v2
	v_mul_f32_e32 v7, v133, v11
	v_fma_f32 v4, v130, v8, -v4
	v_dual_add_f32 v5, v5, v6 :: v_dual_mul_f32 v6, v135, v13
	s_delay_alu instid0(VALU_DEP_4) | instskip(NEXT) | instid1(VALU_DEP_4)
	v_add_f32_e32 v2, v2, v180
	v_fma_f32 v7, v132, v10, -v7
	v_dual_mul_f32 v184, v136, v15 :: v_dual_mul_f32 v185, v138, v17
	s_delay_alu instid0(VALU_DEP_4) | instskip(SKIP_3) | instid1(VALU_DEP_4)
	v_add_f32_e32 v4, v5, v4
	v_mul_f32_e32 v5, v137, v15
	v_fma_f32 v6, v134, v12, -v6
	v_dual_mul_f32 v182, v132, v11 :: v_dual_mul_f32 v183, v134, v13
	v_dual_add_f32 v4, v4, v7 :: v_dual_fmac_f32 v185, v139, v16
	s_delay_alu instid0(VALU_DEP_2) | instskip(SKIP_2) | instid1(VALU_DEP_4)
	v_dual_fmac_f32 v181, v131, v8 :: v_dual_fmac_f32 v182, v133, v10
	v_mul_f32_e32 v7, v139, v17
	v_fma_f32 v5, v136, v14, -v5
	v_dual_add_f32 v4, v4, v6 :: v_dual_mul_f32 v189, v146, v99
	v_mul_f32_e32 v190, v148, v101
	v_dual_add_f32 v2, v2, v181 :: v_dual_fmac_f32 v183, v135, v12
	s_delay_alu instid0(VALU_DEP_3) | instskip(SKIP_2) | instid1(VALU_DEP_4)
	v_dual_mul_f32 v6, v141, v19 :: v_dual_fmac_f32 v189, v147, v98
	v_fma_f32 v7, v138, v16, -v7
	v_add_f32_e32 v4, v4, v5
	v_dual_add_f32 v2, v2, v182 :: v_dual_mul_f32 v5, v143, v21
	s_delay_alu instid0(VALU_DEP_4) | instskip(SKIP_1) | instid1(VALU_DEP_4)
	v_fma_f32 v6, v140, v18, -v6
	v_dual_mul_f32 v195, v158, v111 :: v_dual_mul_f32 v196, v160, v113
	v_add_f32_e32 v4, v4, v7
	v_mul_f32_e32 v7, v145, v23
	v_fma_f32 v5, v142, v20, -v5
	v_dual_mul_f32 v199, v166, v119 :: v_dual_mul_f32 v200, v168, v121
	s_delay_alu instid0(VALU_DEP_4) | instskip(SKIP_3) | instid1(VALU_DEP_4)
	v_add_f32_e32 v4, v4, v6
	v_mul_f32_e32 v6, v147, v99
	v_fma_f32 v7, v144, v22, -v7
	v_dual_add_f32 v2, v2, v183 :: v_dual_fmac_f32 v195, v159, v110
	v_add_f32_e32 v4, v4, v5
	v_mul_f32_e32 v5, v149, v101
	v_fma_f32 v6, v146, v98, -v6
	v_dual_fmac_f32 v199, v167, v118 :: v_dual_mul_f32 v186, v140, v19
	s_delay_alu instid0(VALU_DEP_4) | instskip(SKIP_2) | instid1(VALU_DEP_4)
	v_dual_mul_f32 v187, v142, v21 :: v_dual_add_f32 v4, v4, v7
	v_mul_f32_e32 v7, v151, v103
	v_fma_f32 v5, v148, v100, -v5
	v_fmac_f32_e32 v186, v141, v18
	s_delay_alu instid0(VALU_DEP_4) | instskip(SKIP_4) | instid1(VALU_DEP_4)
	v_dual_fmac_f32 v184, v137, v14 :: v_dual_fmac_f32 v187, v143, v20
	v_add_f32_e32 v4, v4, v6
	v_mul_f32_e32 v6, v153, v105
	v_fma_f32 v7, v150, v102, -v7
	v_dual_mul_f32 v191, v150, v103 :: v_dual_mul_f32 v192, v152, v105
	v_dual_add_f32 v4, v4, v5 :: v_dual_mul_f32 v5, v155, v107
	s_delay_alu instid0(VALU_DEP_4) | instskip(NEXT) | instid1(VALU_DEP_3)
	v_fma_f32 v6, v152, v104, -v6
	v_dual_add_f32 v2, v2, v184 :: v_dual_fmac_f32 v191, v151, v102
	s_delay_alu instid0(VALU_DEP_3) | instskip(NEXT) | instid1(VALU_DEP_4)
	v_dual_add_f32 v4, v4, v7 :: v_dual_mul_f32 v7, v157, v109
	v_fma_f32 v5, v154, v106, -v5
	v_dual_mul_f32 v193, v154, v107 :: v_dual_mul_f32 v194, v156, v109
	s_delay_alu instid0(VALU_DEP_3) | instskip(SKIP_2) | instid1(VALU_DEP_4)
	v_add_f32_e32 v4, v4, v6
	v_mul_f32_e32 v6, v159, v111
	v_fma_f32 v7, v156, v108, -v7
	v_dual_add_f32 v2, v2, v185 :: v_dual_fmac_f32 v193, v155, v106
	s_delay_alu instid0(VALU_DEP_4) | instskip(SKIP_2) | instid1(VALU_DEP_4)
	v_add_f32_e32 v4, v4, v5
	v_mul_f32_e32 v5, v161, v113
	v_fma_f32 v6, v158, v110, -v6
	v_add_f32_e32 v2, v2, v186
	v_dual_mul_f32 v197, v162, v115 :: v_dual_mul_f32 v198, v164, v117
	v_add_f32_e32 v4, v4, v7
	v_mul_f32_e32 v7, v163, v115
	v_fma_f32 v5, v160, v112, -v5
	v_fmac_f32_e32 v188, v145, v22
	v_dual_add_f32 v2, v2, v187 :: v_dual_fmac_f32 v197, v163, v114
	v_add_f32_e32 v4, v4, v6
	v_mul_f32_e32 v6, v165, v117
	v_fma_f32 v7, v162, v114, -v7
	v_dual_mul_f32 v201, v170, v123 :: v_dual_mul_f32 v202, v172, v125
	s_delay_alu instid0(VALU_DEP_4) | instskip(NEXT) | instid1(VALU_DEP_4)
	v_dual_add_f32 v4, v4, v5 :: v_dual_mul_f32 v5, v167, v119
	v_fma_f32 v6, v164, v116, -v6
	v_add_f32_e32 v2, v2, v188
	s_delay_alu instid0(VALU_DEP_4) | instskip(NEXT) | instid1(VALU_DEP_4)
	v_dual_fmac_f32 v190, v149, v100 :: v_dual_fmac_f32 v201, v171, v122
	v_add_f32_e32 v4, v4, v7
	v_fma_f32 v5, v166, v118, -v5
	v_dual_fmac_f32 v203, v179, v174 :: v_dual_fmac_f32 v192, v153, v104
	v_fmac_f32_e32 v194, v157, v108
	s_delay_alu instid0(VALU_DEP_4) | instskip(SKIP_3) | instid1(VALU_DEP_4)
	v_add_f32_e32 v4, v4, v6
	v_fmac_f32_e32 v196, v161, v112
	v_fmac_f32_e32 v198, v165, v116
	v_dual_mul_f32 v7, v169, v121 :: v_dual_mul_f32 v6, v171, v123
	v_add_f32_e32 v4, v4, v5
	v_mul_f32_e32 v5, v173, v125
	v_add_f32_e32 v2, v2, v189
	v_fmac_f32_e32 v200, v169, v120
	v_fma_f32 v7, v168, v120, -v7
	v_fma_f32 v6, v170, v122, -v6
	v_fmac_f32_e32 v202, v173, v124
	v_add_f32_e32 v2, v2, v190
	v_fma_f32 v5, v172, v124, -v5
	v_add_f32_e32 v4, v4, v7
	v_mul_f32_e32 v7, v179, v175
	s_delay_alu instid0(VALU_DEP_4) | instskip(NEXT) | instid1(VALU_DEP_3)
	v_add_f32_e32 v2, v2, v191
	v_add_f32_e32 v4, v4, v6
	s_delay_alu instid0(VALU_DEP_3) | instskip(NEXT) | instid1(VALU_DEP_3)
	v_fma_f32 v6, v178, v174, -v7
	v_add_f32_e32 v2, v2, v192
	s_delay_alu instid0(VALU_DEP_3) | instskip(NEXT) | instid1(VALU_DEP_2)
	v_add_f32_e32 v4, v4, v5
	v_add_f32_e32 v2, v2, v193
	s_delay_alu instid0(VALU_DEP_2) | instskip(NEXT) | instid1(VALU_DEP_2)
	v_add_f32_e32 v4, v4, v6
	v_add_f32_e32 v2, v2, v194
	s_wait_loadcnt 0x0
	s_delay_alu instid0(VALU_DEP_2) | instskip(NEXT) | instid1(VALU_DEP_2)
	v_sub_f32_e32 v4, v176, v4
	v_add_f32_e32 v2, v2, v195
	s_delay_alu instid0(VALU_DEP_1) | instskip(NEXT) | instid1(VALU_DEP_1)
	v_add_f32_e32 v2, v2, v196
	v_add_f32_e32 v2, v2, v197
	s_delay_alu instid0(VALU_DEP_1) | instskip(NEXT) | instid1(VALU_DEP_1)
	v_add_f32_e32 v2, v2, v198
	v_add_f32_e32 v2, v2, v199
	s_delay_alu instid0(VALU_DEP_1) | instskip(NEXT) | instid1(VALU_DEP_1)
	v_add_f32_e32 v2, v2, v200
	v_add_f32_e32 v2, v2, v201
	s_delay_alu instid0(VALU_DEP_1) | instskip(NEXT) | instid1(VALU_DEP_1)
	v_add_f32_e32 v2, v2, v202
	v_add_f32_e32 v2, v2, v203
	s_delay_alu instid0(VALU_DEP_1)
	v_sub_f32_e32 v5, v177, v2
	scratch_store_b64 off, v[4:5], off offset:88
	v_cmpx_lt_u32_e32 10, v0
	s_cbranch_execz .LBB36_215
; %bb.214:
	scratch_load_b64 v[4:5], off, off offset:80
	v_mov_b32_e32 v2, v1
	scratch_store_b64 off, v[1:2], off offset:80
	s_wait_loadcnt 0x0
	ds_store_b64 v3, v[4:5]
.LBB36_215:
	s_wait_alu 0xfffe
	s_or_b32 exec_lo, exec_lo, s0
	s_wait_storecnt_dscnt 0x0
	s_barrier_signal -1
	s_barrier_wait -1
	global_inv scope:SCOPE_SE
	s_clause 0xd
	scratch_load_b128 v[4:7], off, off offset:88
	scratch_load_b128 v[8:11], off, off offset:104
	;; [unrolled: 1-line block ×13, first 2 shown]
	scratch_load_b64 v[182:183], off, off offset:80
	ds_load_2addr_b64 v[130:133], v1 offset0:49 offset1:50
	ds_load_2addr_b64 v[134:137], v1 offset0:51 offset1:52
	;; [unrolled: 1-line block ×13, first 2 shown]
	s_mov_b32 s0, exec_lo
	s_wait_loadcnt_dscnt 0xd0c
	v_dual_mul_f32 v1, v130, v5 :: v_dual_mul_f32 v2, v132, v7
	s_wait_loadcnt_dscnt 0xc0b
	v_dual_mul_f32 v7, v133, v7 :: v_dual_mul_f32 v184, v134, v9
	v_mul_f32_e32 v185, v136, v11
	s_wait_loadcnt_dscnt 0xb0a
	v_dual_fmac_f32 v1, v131, v4 :: v_dual_mul_f32 v186, v138, v13
	v_mul_f32_e32 v187, v140, v15
	v_dual_mul_f32 v5, v131, v5 :: v_dual_fmac_f32 v2, v133, v6
	s_wait_loadcnt_dscnt 0xa09
	v_dual_mul_f32 v188, v142, v17 :: v_dual_mul_f32 v189, v144, v19
	s_wait_loadcnt_dscnt 0x201
	v_mul_f32_e32 v204, v174, v123
	v_fma_f32 v5, v130, v4, -v5
	s_wait_loadcnt_dscnt 0x100
	v_mul_f32_e32 v207, v180, v129
	v_mul_f32_e32 v4, v135, v9
	v_fma_f32 v6, v132, v6, -v7
	v_mul_f32_e32 v7, v137, v11
	v_dual_add_f32 v5, 0, v5 :: v_dual_fmac_f32 v184, v135, v8
	s_delay_alu instid0(VALU_DEP_4) | instskip(SKIP_1) | instid1(VALU_DEP_3)
	v_fma_f32 v4, v134, v8, -v4
	v_dual_mul_f32 v190, v146, v21 :: v_dual_mul_f32 v191, v148, v23
	v_add_f32_e32 v5, v5, v6
	v_fma_f32 v6, v136, v10, -v7
	v_dual_mul_f32 v192, v150, v99 :: v_dual_mul_f32 v193, v152, v101
	v_fmac_f32_e32 v189, v145, v18
	s_delay_alu instid0(VALU_DEP_4) | instskip(SKIP_2) | instid1(VALU_DEP_3)
	v_add_f32_e32 v4, v5, v4
	v_dual_mul_f32 v194, v154, v103 :: v_dual_mul_f32 v195, v156, v105
	v_dual_mul_f32 v196, v158, v107 :: v_dual_mul_f32 v197, v160, v109
	v_dual_add_f32 v4, v4, v6 :: v_dual_add_f32 v1, 0, v1
	v_fmac_f32_e32 v186, v139, v12
	v_mul_f32_e32 v6, v143, v17
	v_fmac_f32_e32 v188, v143, v16
	v_dual_mul_f32 v198, v162, v111 :: v_dual_mul_f32 v199, v164, v113
	v_dual_add_f32 v1, v1, v2 :: v_dual_mul_f32 v2, v139, v13
	s_delay_alu instid0(VALU_DEP_4) | instskip(SKIP_2) | instid1(VALU_DEP_4)
	v_fma_f32 v6, v142, v16, -v6
	v_mul_f32_e32 v5, v141, v15
	v_dual_mul_f32 v200, v166, v115 :: v_dual_mul_f32 v201, v168, v117
	v_fma_f32 v2, v138, v12, -v2
	v_add_f32_e32 v1, v1, v184
	s_delay_alu instid0(VALU_DEP_4) | instskip(SKIP_1) | instid1(VALU_DEP_4)
	v_fma_f32 v5, v140, v14, -v5
	v_dual_mul_f32 v202, v170, v119 :: v_dual_mul_f32 v203, v172, v121
	v_add_f32_e32 v2, v4, v2
	v_fmac_f32_e32 v185, v137, v10
	v_mul_f32_e32 v4, v145, v19
	v_fmac_f32_e32 v190, v147, v20
	s_delay_alu instid0(VALU_DEP_4) | instskip(NEXT) | instid1(VALU_DEP_4)
	v_dual_fmac_f32 v201, v169, v116 :: v_dual_add_f32 v2, v2, v5
	v_add_f32_e32 v1, v1, v185
	v_mul_f32_e32 v5, v147, v21
	v_fma_f32 v4, v144, v18, -v4
	v_dual_mul_f32 v205, v176, v125 :: v_dual_mul_f32 v206, v178, v127
	v_add_f32_e32 v2, v2, v6
	v_fmac_f32_e32 v187, v141, v14
	v_add_f32_e32 v1, v1, v186
	v_mul_f32_e32 v6, v149, v23
	v_fma_f32 v5, v146, v20, -v5
	v_add_f32_e32 v2, v2, v4
	v_mul_f32_e32 v4, v151, v99
	v_add_f32_e32 v1, v1, v187
	v_fma_f32 v6, v148, v22, -v6
	v_fmac_f32_e32 v192, v151, v98
	v_add_f32_e32 v2, v2, v5
	v_mul_f32_e32 v5, v153, v101
	v_add_f32_e32 v1, v1, v188
	v_fma_f32 v4, v150, v98, -v4
	s_delay_alu instid0(VALU_DEP_4) | instskip(NEXT) | instid1(VALU_DEP_3)
	v_dual_fmac_f32 v207, v181, v128 :: v_dual_add_f32 v2, v2, v6
	v_dual_mul_f32 v6, v155, v103 :: v_dual_add_f32 v1, v1, v189
	v_fma_f32 v5, v152, v100, -v5
	v_fmac_f32_e32 v194, v155, v102
	s_delay_alu instid0(VALU_DEP_4) | instskip(SKIP_3) | instid1(VALU_DEP_4)
	v_dual_add_f32 v2, v2, v4 :: v_dual_fmac_f32 v191, v149, v22
	v_mul_f32_e32 v4, v157, v105
	v_fma_f32 v6, v154, v102, -v6
	v_fmac_f32_e32 v196, v159, v106
	v_dual_add_f32 v2, v2, v5 :: v_dual_fmac_f32 v193, v153, v100
	v_mul_f32_e32 v5, v159, v107
	v_fma_f32 v4, v156, v104, -v4
	v_fmac_f32_e32 v198, v163, v110
	s_delay_alu instid0(VALU_DEP_4) | instskip(SKIP_4) | instid1(VALU_DEP_4)
	v_add_f32_e32 v2, v2, v6
	v_add_f32_e32 v1, v1, v190
	v_mul_f32_e32 v6, v161, v109
	v_fma_f32 v5, v158, v106, -v5
	v_fmac_f32_e32 v200, v167, v114
	v_dual_add_f32 v2, v2, v4 :: v_dual_add_f32 v1, v1, v191
	v_dual_fmac_f32 v195, v157, v104 :: v_dual_mul_f32 v4, v163, v111
	v_fma_f32 v6, v160, v108, -v6
	s_delay_alu instid0(VALU_DEP_3) | instskip(SKIP_1) | instid1(VALU_DEP_4)
	v_dual_add_f32 v2, v2, v5 :: v_dual_add_f32 v1, v1, v192
	v_fmac_f32_e32 v197, v161, v108
	v_fma_f32 v4, v162, v110, -v4
	v_fmac_f32_e32 v202, v171, v118
	s_delay_alu instid0(VALU_DEP_4) | instskip(SKIP_2) | instid1(VALU_DEP_3)
	v_dual_add_f32 v2, v2, v6 :: v_dual_add_f32 v1, v1, v193
	v_dual_mul_f32 v5, v165, v113 :: v_dual_mul_f32 v6, v167, v115
	v_fmac_f32_e32 v204, v175, v122
	v_dual_add_f32 v2, v2, v4 :: v_dual_add_f32 v1, v1, v194
	s_delay_alu instid0(VALU_DEP_3) | instskip(SKIP_3) | instid1(VALU_DEP_4)
	v_fma_f32 v5, v164, v112, -v5
	v_fmac_f32_e32 v199, v165, v112
	v_mul_f32_e32 v4, v169, v117
	v_fma_f32 v6, v166, v114, -v6
	v_dual_add_f32 v1, v1, v195 :: v_dual_add_f32 v2, v2, v5
	v_mul_f32_e32 v5, v171, v119
	s_delay_alu instid0(VALU_DEP_4) | instskip(NEXT) | instid1(VALU_DEP_3)
	v_fma_f32 v4, v168, v116, -v4
	v_dual_fmac_f32 v206, v179, v126 :: v_dual_add_f32 v1, v1, v196
	s_delay_alu instid0(VALU_DEP_4) | instskip(SKIP_2) | instid1(VALU_DEP_3)
	v_add_f32_e32 v2, v2, v6
	v_mul_f32_e32 v6, v173, v121
	v_fma_f32 v5, v170, v118, -v5
	v_dual_add_f32 v1, v1, v197 :: v_dual_add_f32 v2, v2, v4
	v_mul_f32_e32 v4, v175, v123
	s_delay_alu instid0(VALU_DEP_4) | instskip(NEXT) | instid1(VALU_DEP_3)
	v_fma_f32 v6, v172, v120, -v6
	v_dual_add_f32 v1, v1, v198 :: v_dual_add_f32 v2, v2, v5
	v_fmac_f32_e32 v203, v173, v120
	s_delay_alu instid0(VALU_DEP_4) | instskip(NEXT) | instid1(VALU_DEP_3)
	v_fma_f32 v4, v174, v122, -v4
	v_dual_add_f32 v1, v1, v199 :: v_dual_add_f32 v2, v2, v6
	v_dual_mul_f32 v5, v177, v125 :: v_dual_mul_f32 v6, v179, v127
	s_delay_alu instid0(VALU_DEP_2) | instskip(NEXT) | instid1(VALU_DEP_3)
	v_add_f32_e32 v1, v1, v200
	v_add_f32_e32 v2, v2, v4
	s_delay_alu instid0(VALU_DEP_3)
	v_fma_f32 v5, v176, v124, -v5
	v_fmac_f32_e32 v205, v177, v124
	v_mul_f32_e32 v4, v181, v129
	v_add_f32_e32 v1, v1, v201
	v_fma_f32 v6, v178, v126, -v6
	v_add_f32_e32 v2, v2, v5
	s_delay_alu instid0(VALU_DEP_4) | instskip(NEXT) | instid1(VALU_DEP_4)
	v_fma_f32 v4, v180, v128, -v4
	v_add_f32_e32 v1, v1, v202
	s_delay_alu instid0(VALU_DEP_1) | instskip(NEXT) | instid1(VALU_DEP_1)
	v_dual_add_f32 v2, v2, v6 :: v_dual_add_f32 v1, v1, v203
	v_add_f32_e32 v2, v2, v4
	s_delay_alu instid0(VALU_DEP_2) | instskip(NEXT) | instid1(VALU_DEP_1)
	v_add_f32_e32 v1, v1, v204
	v_add_f32_e32 v1, v1, v205
	s_delay_alu instid0(VALU_DEP_1) | instskip(SKIP_1) | instid1(VALU_DEP_1)
	v_add_f32_e32 v1, v1, v206
	s_wait_loadcnt 0x0
	v_dual_add_f32 v4, v1, v207 :: v_dual_sub_f32 v1, v182, v2
	s_delay_alu instid0(VALU_DEP_1)
	v_sub_f32_e32 v2, v183, v4
	scratch_store_b64 off, v[1:2], off offset:80
	v_cmpx_lt_u32_e32 9, v0
	s_cbranch_execz .LBB36_217
; %bb.216:
	scratch_load_b64 v[1:2], off, off offset:72
	v_mov_b32_e32 v4, 0
	s_delay_alu instid0(VALU_DEP_1)
	v_mov_b32_e32 v5, v4
	scratch_store_b64 off, v[4:5], off offset:72
	s_wait_loadcnt 0x0
	ds_store_b64 v3, v[1:2]
.LBB36_217:
	s_wait_alu 0xfffe
	s_or_b32 exec_lo, exec_lo, s0
	s_wait_storecnt_dscnt 0x0
	s_barrier_signal -1
	s_barrier_wait -1
	global_inv scope:SCOPE_SE
	s_clause 0xe
	scratch_load_b128 v[4:7], off, off offset:80
	scratch_load_b128 v[8:11], off, off offset:96
	;; [unrolled: 1-line block ×13, first 2 shown]
	scratch_load_b64 v[182:183], off, off offset:288
	scratch_load_b64 v[184:185], off, off offset:72
	v_mov_b32_e32 v1, 0
	ds_load_b128 v[130:133], v1 offset:384
	ds_load_b128 v[134:137], v1 offset:400
	;; [unrolled: 1-line block ×13, first 2 shown]
	ds_load_b64 v[186:187], v1 offset:592
	s_mov_b32 s0, exec_lo
	s_wait_loadcnt_dscnt 0xe0d
	v_mul_f32_e32 v2, v130, v5
	v_dual_mul_f32 v5, v131, v5 :: v_dual_mul_f32 v188, v132, v7
	s_wait_loadcnt_dscnt 0xa09
	v_dual_mul_f32 v189, v134, v9 :: v_dual_mul_f32 v196, v148, v23
	v_mul_f32_e32 v7, v133, v7
	s_delay_alu instid0(VALU_DEP_3)
	v_fma_f32 v5, v130, v4, -v5
	v_fmac_f32_e32 v188, v133, v6
	v_dual_mul_f32 v192, v140, v15 :: v_dual_mul_f32 v193, v142, v17
	v_fmac_f32_e32 v2, v131, v4
	v_mul_f32_e32 v4, v135, v9
	v_fma_f32 v6, v132, v6, -v7
	s_wait_loadcnt_dscnt 0x100
	v_mul_f32_e32 v213, v186, v183
	v_dual_add_f32 v5, 0, v5 :: v_dual_add_f32 v2, 0, v2
	v_mul_f32_e32 v7, v137, v11
	v_fma_f32 v4, v134, v8, -v4
	v_dual_mul_f32 v190, v136, v11 :: v_dual_mul_f32 v191, v138, v13
	s_delay_alu instid0(VALU_DEP_4) | instskip(SKIP_2) | instid1(VALU_DEP_4)
	v_dual_add_f32 v5, v5, v6 :: v_dual_add_f32 v2, v2, v188
	v_mul_f32_e32 v6, v139, v13
	v_fma_f32 v7, v136, v10, -v7
	v_dual_fmac_f32 v189, v135, v8 :: v_dual_fmac_f32 v190, v137, v10
	s_delay_alu instid0(VALU_DEP_4)
	v_add_f32_e32 v4, v5, v4
	v_mul_f32_e32 v5, v141, v15
	v_fma_f32 v6, v138, v12, -v6
	v_fmac_f32_e32 v193, v143, v16
	v_dual_mul_f32 v197, v150, v99 :: v_dual_mul_f32 v198, v152, v101
	v_dual_add_f32 v4, v4, v7 :: v_dual_mul_f32 v7, v143, v17
	v_fma_f32 v5, v140, v14, -v5
	v_dual_add_f32 v2, v2, v189 :: v_dual_fmac_f32 v191, v139, v12
	s_delay_alu instid0(VALU_DEP_3) | instskip(SKIP_2) | instid1(VALU_DEP_4)
	v_add_f32_e32 v4, v4, v6
	v_dual_mul_f32 v6, v145, v19 :: v_dual_fmac_f32 v197, v151, v98
	v_fma_f32 v7, v142, v16, -v7
	v_add_f32_e32 v2, v2, v190
	s_delay_alu instid0(VALU_DEP_4) | instskip(SKIP_3) | instid1(VALU_DEP_4)
	v_add_f32_e32 v4, v4, v5
	v_mul_f32_e32 v5, v147, v21
	v_fma_f32 v6, v144, v18, -v6
	v_dual_mul_f32 v203, v162, v111 :: v_dual_mul_f32 v204, v164, v113
	v_add_f32_e32 v4, v4, v7
	v_mul_f32_e32 v7, v149, v23
	v_fma_f32 v5, v146, v20, -v5
	v_dual_mul_f32 v207, v170, v119 :: v_dual_mul_f32 v208, v172, v121
	s_delay_alu instid0(VALU_DEP_4) | instskip(SKIP_3) | instid1(VALU_DEP_4)
	v_add_f32_e32 v4, v4, v6
	v_mul_f32_e32 v6, v151, v99
	v_fma_f32 v7, v148, v22, -v7
	v_dual_add_f32 v2, v2, v191 :: v_dual_fmac_f32 v203, v163, v110
	v_add_f32_e32 v4, v4, v5
	v_mul_f32_e32 v5, v153, v101
	v_fma_f32 v6, v150, v98, -v6
	v_dual_fmac_f32 v207, v171, v118 :: v_dual_mul_f32 v194, v144, v19
	s_delay_alu instid0(VALU_DEP_4) | instskip(SKIP_2) | instid1(VALU_DEP_4)
	v_dual_mul_f32 v195, v146, v21 :: v_dual_add_f32 v4, v4, v7
	v_mul_f32_e32 v7, v155, v103
	v_fma_f32 v5, v152, v100, -v5
	v_fmac_f32_e32 v194, v145, v18
	v_fmac_f32_e32 v213, v187, v182
	v_add_f32_e32 v4, v4, v6
	v_mul_f32_e32 v6, v157, v105
	v_fma_f32 v7, v154, v102, -v7
	v_dual_fmac_f32 v192, v141, v14 :: v_dual_fmac_f32 v195, v147, v20
	s_delay_alu instid0(VALU_DEP_4) | instskip(NEXT) | instid1(VALU_DEP_4)
	v_dual_add_f32 v4, v4, v5 :: v_dual_mul_f32 v5, v159, v107
	v_fma_f32 v6, v156, v104, -v6
	v_dual_mul_f32 v199, v154, v103 :: v_dual_mul_f32 v200, v156, v105
	s_delay_alu instid0(VALU_DEP_3) | instskip(NEXT) | instid1(VALU_DEP_4)
	v_dual_add_f32 v4, v4, v7 :: v_dual_mul_f32 v7, v161, v109
	v_fma_f32 v5, v158, v106, -v5
	s_delay_alu instid0(VALU_DEP_3) | instskip(NEXT) | instid1(VALU_DEP_3)
	v_dual_add_f32 v2, v2, v192 :: v_dual_fmac_f32 v199, v155, v102
	v_add_f32_e32 v4, v4, v6
	v_mul_f32_e32 v6, v163, v111
	v_fma_f32 v7, v160, v108, -v7
	v_dual_mul_f32 v201, v158, v107 :: v_dual_mul_f32 v202, v160, v109
	s_delay_alu instid0(VALU_DEP_4) | instskip(SKIP_3) | instid1(VALU_DEP_4)
	v_add_f32_e32 v4, v4, v5
	v_add_f32_e32 v2, v2, v193
	v_mul_f32_e32 v5, v165, v113
	v_fma_f32 v6, v162, v110, -v6
	v_dual_fmac_f32 v201, v159, v106 :: v_dual_add_f32 v4, v4, v7
	s_delay_alu instid0(VALU_DEP_4) | instskip(NEXT) | instid1(VALU_DEP_4)
	v_dual_add_f32 v2, v2, v194 :: v_dual_mul_f32 v7, v167, v115
	v_fma_f32 v5, v164, v112, -v5
	v_dual_mul_f32 v205, v166, v115 :: v_dual_mul_f32 v206, v168, v117
	s_delay_alu instid0(VALU_DEP_4)
	v_add_f32_e32 v4, v4, v6
	v_mul_f32_e32 v6, v169, v117
	v_fma_f32 v7, v166, v114, -v7
	v_fmac_f32_e32 v196, v149, v22
	v_dual_add_f32 v2, v2, v195 :: v_dual_fmac_f32 v205, v167, v114
	v_dual_add_f32 v4, v4, v5 :: v_dual_mul_f32 v5, v171, v119
	v_fma_f32 v6, v168, v116, -v6
	s_delay_alu instid0(VALU_DEP_3) | instskip(SKIP_1) | instid1(VALU_DEP_4)
	v_add_f32_e32 v2, v2, v196
	v_dual_mul_f32 v209, v174, v123 :: v_dual_mul_f32 v210, v176, v125
	v_add_f32_e32 v4, v4, v7
	v_fma_f32 v5, v170, v118, -v5
	v_dual_mul_f32 v211, v178, v127 :: v_dual_mul_f32 v212, v180, v129
	s_delay_alu instid0(VALU_DEP_4) | instskip(NEXT) | instid1(VALU_DEP_4)
	v_dual_fmac_f32 v198, v153, v100 :: v_dual_fmac_f32 v209, v175, v122
	v_add_f32_e32 v4, v4, v6
	s_delay_alu instid0(VALU_DEP_3) | instskip(SKIP_2) | instid1(VALU_DEP_4)
	v_dual_fmac_f32 v211, v179, v126 :: v_dual_fmac_f32 v200, v157, v104
	v_fmac_f32_e32 v202, v161, v108
	v_fmac_f32_e32 v204, v165, v112
	v_add_f32_e32 v4, v4, v5
	v_mul_f32_e32 v5, v177, v125
	v_add_f32_e32 v2, v2, v197
	v_fmac_f32_e32 v206, v169, v116
	v_dual_mul_f32 v7, v173, v121 :: v_dual_mul_f32 v6, v175, v123
	v_fmac_f32_e32 v208, v173, v120
	s_delay_alu instid0(VALU_DEP_4) | instskip(SKIP_1) | instid1(VALU_DEP_4)
	v_add_f32_e32 v2, v2, v198
	v_fmac_f32_e32 v210, v177, v124
	v_fma_f32 v7, v172, v120, -v7
	v_fma_f32 v6, v174, v122, -v6
	v_fma_f32 v5, v176, v124, -v5
	v_add_f32_e32 v2, v2, v199
	v_fmac_f32_e32 v212, v181, v128
	v_add_f32_e32 v4, v4, v7
	s_delay_alu instid0(VALU_DEP_3) | instskip(NEXT) | instid1(VALU_DEP_2)
	v_dual_mul_f32 v7, v179, v127 :: v_dual_add_f32 v2, v2, v200
	v_add_f32_e32 v4, v4, v6
	v_mul_f32_e32 v6, v181, v129
	s_delay_alu instid0(VALU_DEP_3) | instskip(NEXT) | instid1(VALU_DEP_4)
	v_fma_f32 v7, v178, v126, -v7
	v_add_f32_e32 v2, v2, v201
	s_delay_alu instid0(VALU_DEP_4) | instskip(NEXT) | instid1(VALU_DEP_4)
	v_dual_add_f32 v4, v4, v5 :: v_dual_mul_f32 v5, v187, v183
	v_fma_f32 v6, v180, v128, -v6
	s_delay_alu instid0(VALU_DEP_3) | instskip(NEXT) | instid1(VALU_DEP_3)
	v_add_f32_e32 v2, v2, v202
	v_add_f32_e32 v4, v4, v7
	s_delay_alu instid0(VALU_DEP_4) | instskip(NEXT) | instid1(VALU_DEP_3)
	v_fma_f32 v5, v186, v182, -v5
	v_add_f32_e32 v2, v2, v203
	s_delay_alu instid0(VALU_DEP_3) | instskip(NEXT) | instid1(VALU_DEP_2)
	v_add_f32_e32 v4, v4, v6
	v_add_f32_e32 v2, v2, v204
	s_delay_alu instid0(VALU_DEP_2) | instskip(NEXT) | instid1(VALU_DEP_2)
	v_add_f32_e32 v4, v4, v5
	v_add_f32_e32 v2, v2, v205
	s_wait_loadcnt 0x0
	s_delay_alu instid0(VALU_DEP_2) | instskip(NEXT) | instid1(VALU_DEP_2)
	v_sub_f32_e32 v4, v184, v4
	v_add_f32_e32 v2, v2, v206
	s_delay_alu instid0(VALU_DEP_1) | instskip(NEXT) | instid1(VALU_DEP_1)
	v_add_f32_e32 v2, v2, v207
	v_add_f32_e32 v2, v2, v208
	s_delay_alu instid0(VALU_DEP_1) | instskip(NEXT) | instid1(VALU_DEP_1)
	v_add_f32_e32 v2, v2, v209
	;; [unrolled: 3-line block ×4, first 2 shown]
	v_sub_f32_e32 v5, v185, v2
	scratch_store_b64 off, v[4:5], off offset:72
	v_cmpx_lt_u32_e32 8, v0
	s_cbranch_execz .LBB36_219
; %bb.218:
	scratch_load_b64 v[4:5], off, off offset:64
	v_mov_b32_e32 v2, v1
	scratch_store_b64 off, v[1:2], off offset:64
	s_wait_loadcnt 0x0
	ds_store_b64 v3, v[4:5]
.LBB36_219:
	s_wait_alu 0xfffe
	s_or_b32 exec_lo, exec_lo, s0
	s_wait_storecnt_dscnt 0x0
	s_barrier_signal -1
	s_barrier_wait -1
	global_inv scope:SCOPE_SE
	s_clause 0xe
	scratch_load_b128 v[4:7], off, off offset:72
	scratch_load_b128 v[8:11], off, off offset:88
	;; [unrolled: 1-line block ×14, first 2 shown]
	scratch_load_b64 v[190:191], off, off offset:64
	ds_load_2addr_b64 v[134:137], v1 offset0:47 offset1:48
	ds_load_2addr_b64 v[138:141], v1 offset0:49 offset1:50
	;; [unrolled: 1-line block ×14, first 2 shown]
	s_mov_b32 s0, exec_lo
	s_wait_loadcnt_dscnt 0xe0d
	v_dual_mul_f32 v1, v134, v5 :: v_dual_mul_f32 v2, v136, v7
	s_wait_loadcnt_dscnt 0xd0c
	v_dual_mul_f32 v7, v137, v7 :: v_dual_mul_f32 v192, v138, v9
	v_mul_f32_e32 v193, v140, v11
	s_wait_loadcnt_dscnt 0xc0b
	v_dual_fmac_f32 v1, v135, v4 :: v_dual_mul_f32 v194, v142, v13
	v_mul_f32_e32 v195, v144, v15
	v_dual_mul_f32 v5, v135, v5 :: v_dual_fmac_f32 v2, v137, v6
	s_wait_loadcnt_dscnt 0xb0a
	v_dual_mul_f32 v196, v146, v17 :: v_dual_mul_f32 v197, v148, v19
	s_wait_loadcnt_dscnt 0x201
	v_mul_f32_e32 v214, v182, v127
	v_fma_f32 v5, v134, v4, -v5
	s_wait_loadcnt_dscnt 0x100
	v_mul_f32_e32 v217, v188, v133
	v_mul_f32_e32 v4, v139, v9
	v_fma_f32 v6, v136, v6, -v7
	v_mul_f32_e32 v7, v141, v11
	v_dual_add_f32 v5, 0, v5 :: v_dual_fmac_f32 v192, v139, v8
	s_delay_alu instid0(VALU_DEP_4) | instskip(SKIP_1) | instid1(VALU_DEP_3)
	v_fma_f32 v4, v138, v8, -v4
	v_dual_mul_f32 v198, v150, v21 :: v_dual_mul_f32 v199, v152, v23
	v_add_f32_e32 v5, v5, v6
	v_fma_f32 v6, v140, v10, -v7
	v_dual_mul_f32 v200, v154, v99 :: v_dual_mul_f32 v201, v156, v101
	v_fmac_f32_e32 v197, v149, v18
	s_delay_alu instid0(VALU_DEP_4) | instskip(SKIP_2) | instid1(VALU_DEP_3)
	v_add_f32_e32 v4, v5, v4
	v_dual_mul_f32 v202, v158, v103 :: v_dual_mul_f32 v203, v160, v105
	v_dual_mul_f32 v204, v162, v107 :: v_dual_mul_f32 v205, v164, v109
	v_dual_add_f32 v4, v4, v6 :: v_dual_add_f32 v1, 0, v1
	v_fmac_f32_e32 v194, v143, v12
	v_mul_f32_e32 v6, v147, v17
	v_dual_mul_f32 v206, v166, v111 :: v_dual_mul_f32 v207, v168, v113
	s_delay_alu instid0(VALU_DEP_4) | instskip(SKIP_1) | instid1(VALU_DEP_4)
	v_dual_add_f32 v1, v1, v2 :: v_dual_fmac_f32 v196, v147, v16
	v_mul_f32_e32 v2, v143, v13
	v_fma_f32 v6, v146, v16, -v6
	v_mul_f32_e32 v5, v145, v15
	v_dual_mul_f32 v208, v170, v115 :: v_dual_mul_f32 v209, v172, v117
	s_delay_alu instid0(VALU_DEP_4) | instskip(SKIP_1) | instid1(VALU_DEP_4)
	v_fma_f32 v2, v142, v12, -v2
	v_add_f32_e32 v1, v1, v192
	v_fma_f32 v5, v144, v14, -v5
	v_dual_mul_f32 v210, v174, v119 :: v_dual_mul_f32 v211, v176, v121
	s_delay_alu instid0(VALU_DEP_4) | instskip(SKIP_3) | instid1(VALU_DEP_4)
	v_add_f32_e32 v2, v4, v2
	v_fmac_f32_e32 v193, v141, v10
	v_mul_f32_e32 v4, v149, v19
	v_fmac_f32_e32 v198, v151, v20
	v_dual_fmac_f32 v209, v173, v116 :: v_dual_add_f32 v2, v2, v5
	s_delay_alu instid0(VALU_DEP_4)
	v_add_f32_e32 v1, v1, v193
	v_mul_f32_e32 v5, v151, v21
	v_fma_f32 v4, v148, v18, -v4
	v_dual_mul_f32 v212, v178, v123 :: v_dual_mul_f32 v213, v180, v125
	v_add_f32_e32 v2, v2, v6
	v_fmac_f32_e32 v195, v145, v14
	v_add_f32_e32 v1, v1, v194
	v_mul_f32_e32 v6, v153, v23
	v_fma_f32 v5, v150, v20, -v5
	v_add_f32_e32 v2, v2, v4
	v_mul_f32_e32 v4, v155, v99
	v_add_f32_e32 v1, v1, v195
	v_fma_f32 v6, v152, v22, -v6
	v_fmac_f32_e32 v200, v155, v98
	v_add_f32_e32 v2, v2, v5
	v_mul_f32_e32 v5, v157, v101
	v_add_f32_e32 v1, v1, v196
	v_fma_f32 v4, v154, v98, -v4
	v_dual_mul_f32 v215, v184, v129 :: v_dual_mul_f32 v216, v186, v131
	v_add_f32_e32 v2, v2, v6
	s_delay_alu instid0(VALU_DEP_4) | instskip(SKIP_2) | instid1(VALU_DEP_4)
	v_dual_mul_f32 v6, v159, v103 :: v_dual_add_f32 v1, v1, v197
	v_fma_f32 v5, v156, v100, -v5
	v_fmac_f32_e32 v217, v189, v132
	v_dual_add_f32 v2, v2, v4 :: v_dual_fmac_f32 v199, v153, v22
	v_mul_f32_e32 v4, v161, v105
	v_fma_f32 v6, v158, v102, -v6
	v_fmac_f32_e32 v202, v159, v102
	s_delay_alu instid0(VALU_DEP_4) | instskip(SKIP_3) | instid1(VALU_DEP_4)
	v_dual_add_f32 v2, v2, v5 :: v_dual_fmac_f32 v201, v157, v100
	v_mul_f32_e32 v5, v163, v107
	v_fma_f32 v4, v160, v104, -v4
	v_fmac_f32_e32 v204, v163, v106
	v_add_f32_e32 v2, v2, v6
	v_add_f32_e32 v1, v1, v198
	v_mul_f32_e32 v6, v165, v109
	v_fma_f32 v5, v162, v106, -v5
	v_fmac_f32_e32 v206, v167, v110
	s_delay_alu instid0(VALU_DEP_4) | instskip(SKIP_2) | instid1(VALU_DEP_3)
	v_dual_add_f32 v2, v2, v4 :: v_dual_add_f32 v1, v1, v199
	v_dual_fmac_f32 v203, v161, v104 :: v_dual_mul_f32 v4, v167, v111
	v_fma_f32 v6, v164, v108, -v6
	v_dual_add_f32 v2, v2, v5 :: v_dual_add_f32 v1, v1, v200
	v_fmac_f32_e32 v205, v165, v108
	s_delay_alu instid0(VALU_DEP_4) | instskip(SKIP_1) | instid1(VALU_DEP_4)
	v_fma_f32 v4, v166, v110, -v4
	v_fmac_f32_e32 v208, v171, v114
	v_dual_add_f32 v2, v2, v6 :: v_dual_add_f32 v1, v1, v201
	v_dual_mul_f32 v5, v169, v113 :: v_dual_mul_f32 v6, v171, v115
	v_fmac_f32_e32 v210, v175, v118
	s_delay_alu instid0(VALU_DEP_3) | instskip(NEXT) | instid1(VALU_DEP_3)
	v_dual_add_f32 v2, v2, v4 :: v_dual_add_f32 v1, v1, v202
	v_fma_f32 v5, v168, v112, -v5
	v_fmac_f32_e32 v207, v169, v112
	v_mul_f32_e32 v4, v173, v117
	v_fma_f32 v6, v170, v114, -v6
	s_delay_alu instid0(VALU_DEP_4) | instskip(SKIP_1) | instid1(VALU_DEP_4)
	v_dual_add_f32 v1, v1, v203 :: v_dual_add_f32 v2, v2, v5
	v_mul_f32_e32 v5, v175, v119
	v_fma_f32 v4, v172, v116, -v4
	s_delay_alu instid0(VALU_DEP_3) | instskip(NEXT) | instid1(VALU_DEP_4)
	v_dual_fmac_f32 v212, v179, v122 :: v_dual_add_f32 v1, v1, v204
	v_add_f32_e32 v2, v2, v6
	v_mul_f32_e32 v6, v177, v121
	v_fma_f32 v5, v174, v118, -v5
	s_delay_alu instid0(VALU_DEP_4) | instskip(NEXT) | instid1(VALU_DEP_4)
	v_dual_fmac_f32 v214, v183, v126 :: v_dual_add_f32 v1, v1, v205
	v_add_f32_e32 v2, v2, v4
	v_mul_f32_e32 v4, v179, v123
	v_fma_f32 v6, v176, v120, -v6
	v_fmac_f32_e32 v216, v187, v130
	s_delay_alu instid0(VALU_DEP_4) | instskip(SKIP_2) | instid1(VALU_DEP_3)
	v_dual_add_f32 v1, v1, v206 :: v_dual_add_f32 v2, v2, v5
	v_fmac_f32_e32 v211, v177, v120
	v_fma_f32 v4, v178, v122, -v4
	v_dual_add_f32 v1, v1, v207 :: v_dual_add_f32 v2, v2, v6
	v_dual_mul_f32 v5, v181, v125 :: v_dual_mul_f32 v6, v183, v127
	s_delay_alu instid0(VALU_DEP_2) | instskip(NEXT) | instid1(VALU_DEP_3)
	v_add_f32_e32 v1, v1, v208
	v_add_f32_e32 v2, v2, v4
	s_delay_alu instid0(VALU_DEP_3)
	v_fma_f32 v5, v180, v124, -v5
	v_fmac_f32_e32 v213, v181, v124
	v_mul_f32_e32 v4, v185, v129
	v_add_f32_e32 v1, v1, v209
	v_fma_f32 v6, v182, v126, -v6
	v_dual_add_f32 v2, v2, v5 :: v_dual_mul_f32 v5, v187, v131
	s_delay_alu instid0(VALU_DEP_4) | instskip(NEXT) | instid1(VALU_DEP_4)
	v_fma_f32 v4, v184, v128, -v4
	v_add_f32_e32 v1, v1, v210
	s_delay_alu instid0(VALU_DEP_3) | instskip(SKIP_2) | instid1(VALU_DEP_3)
	v_add_f32_e32 v2, v2, v6
	v_mul_f32_e32 v6, v189, v133
	v_fma_f32 v5, v186, v130, -v5
	v_dual_add_f32 v1, v1, v211 :: v_dual_add_f32 v2, v2, v4
	v_fmac_f32_e32 v215, v185, v128
	s_delay_alu instid0(VALU_DEP_4) | instskip(NEXT) | instid1(VALU_DEP_3)
	v_fma_f32 v4, v188, v132, -v6
	v_dual_add_f32 v1, v1, v212 :: v_dual_add_f32 v2, v2, v5
	s_delay_alu instid0(VALU_DEP_1) | instskip(NEXT) | instid1(VALU_DEP_1)
	v_dual_add_f32 v1, v1, v213 :: v_dual_add_f32 v2, v2, v4
	v_add_f32_e32 v1, v1, v214
	s_delay_alu instid0(VALU_DEP_1) | instskip(NEXT) | instid1(VALU_DEP_1)
	v_add_f32_e32 v1, v1, v215
	v_add_f32_e32 v1, v1, v216
	s_wait_loadcnt 0x0
	s_delay_alu instid0(VALU_DEP_1) | instskip(NEXT) | instid1(VALU_DEP_1)
	v_dual_add_f32 v4, v1, v217 :: v_dual_sub_f32 v1, v190, v2
	v_sub_f32_e32 v2, v191, v4
	scratch_store_b64 off, v[1:2], off offset:64
	v_cmpx_lt_u32_e32 7, v0
	s_cbranch_execz .LBB36_221
; %bb.220:
	scratch_load_b64 v[1:2], off, off offset:56
	v_mov_b32_e32 v4, 0
	s_delay_alu instid0(VALU_DEP_1)
	v_mov_b32_e32 v5, v4
	scratch_store_b64 off, v[4:5], off offset:56
	s_wait_loadcnt 0x0
	ds_store_b64 v3, v[1:2]
.LBB36_221:
	s_wait_alu 0xfffe
	s_or_b32 exec_lo, exec_lo, s0
	s_wait_storecnt_dscnt 0x0
	s_barrier_signal -1
	s_barrier_wait -1
	global_inv scope:SCOPE_SE
	s_clause 0xf
	scratch_load_b128 v[4:7], off, off offset:64
	scratch_load_b128 v[8:11], off, off offset:80
	;; [unrolled: 1-line block ×14, first 2 shown]
	scratch_load_b64 v[190:191], off, off offset:288
	scratch_load_b64 v[192:193], off, off offset:56
	v_mov_b32_e32 v1, 0
	ds_load_b128 v[134:137], v1 offset:368
	ds_load_b128 v[138:141], v1 offset:384
	;; [unrolled: 1-line block ×14, first 2 shown]
	ds_load_b64 v[194:195], v1 offset:592
	s_mov_b32 s0, exec_lo
	s_wait_loadcnt_dscnt 0xf0e
	v_mul_f32_e32 v2, v134, v5
	v_dual_mul_f32 v5, v135, v5 :: v_dual_mul_f32 v196, v136, v7
	s_wait_loadcnt_dscnt 0xb0a
	v_dual_mul_f32 v197, v138, v9 :: v_dual_mul_f32 v204, v152, v23
	v_mul_f32_e32 v7, v137, v7
	s_delay_alu instid0(VALU_DEP_3)
	v_fma_f32 v5, v134, v4, -v5
	v_fmac_f32_e32 v196, v137, v6
	v_dual_mul_f32 v200, v144, v15 :: v_dual_mul_f32 v201, v146, v17
	v_fmac_f32_e32 v2, v135, v4
	v_mul_f32_e32 v4, v139, v9
	v_fma_f32 v6, v136, v6, -v7
	v_add_f32_e32 v5, 0, v5
	s_wait_loadcnt_dscnt 0x100
	v_dual_mul_f32 v223, v194, v191 :: v_dual_add_f32 v2, 0, v2
	v_mul_f32_e32 v7, v141, v11
	v_fma_f32 v4, v138, v8, -v4
	v_dual_add_f32 v5, v5, v6 :: v_dual_mul_f32 v6, v143, v13
	s_delay_alu instid0(VALU_DEP_4) | instskip(NEXT) | instid1(VALU_DEP_4)
	v_add_f32_e32 v2, v2, v196
	v_fma_f32 v7, v140, v10, -v7
	v_dual_mul_f32 v198, v140, v11 :: v_dual_mul_f32 v199, v142, v13
	s_delay_alu instid0(VALU_DEP_4) | instskip(SKIP_2) | instid1(VALU_DEP_4)
	v_add_f32_e32 v4, v5, v4
	v_mul_f32_e32 v5, v145, v15
	v_fma_f32 v6, v142, v12, -v6
	v_dual_fmac_f32 v197, v139, v8 :: v_dual_fmac_f32 v198, v141, v10
	s_delay_alu instid0(VALU_DEP_4) | instskip(SKIP_3) | instid1(VALU_DEP_4)
	v_dual_add_f32 v4, v4, v7 :: v_dual_fmac_f32 v201, v147, v16
	v_mul_f32_e32 v7, v147, v17
	v_fma_f32 v5, v144, v14, -v5
	v_dual_mul_f32 v205, v154, v99 :: v_dual_mul_f32 v206, v156, v101
	v_add_f32_e32 v4, v4, v6
	v_dual_add_f32 v2, v2, v197 :: v_dual_fmac_f32 v199, v143, v12
	s_delay_alu instid0(VALU_DEP_3) | instskip(SKIP_1) | instid1(VALU_DEP_4)
	v_dual_mul_f32 v6, v149, v19 :: v_dual_fmac_f32 v205, v155, v98
	v_fma_f32 v7, v146, v16, -v7
	v_add_f32_e32 v4, v4, v5
	s_delay_alu instid0(VALU_DEP_4) | instskip(NEXT) | instid1(VALU_DEP_4)
	v_dual_add_f32 v2, v2, v198 :: v_dual_mul_f32 v5, v151, v21
	v_fma_f32 v6, v148, v18, -v6
	v_dual_mul_f32 v211, v166, v111 :: v_dual_mul_f32 v212, v168, v113
	s_delay_alu instid0(VALU_DEP_4) | instskip(SKIP_3) | instid1(VALU_DEP_4)
	v_add_f32_e32 v4, v4, v7
	v_mul_f32_e32 v7, v153, v23
	v_fma_f32 v5, v150, v20, -v5
	v_dual_mul_f32 v215, v174, v119 :: v_dual_mul_f32 v216, v176, v121
	v_add_f32_e32 v4, v4, v6
	v_mul_f32_e32 v6, v155, v99
	v_fma_f32 v7, v152, v22, -v7
	v_dual_add_f32 v2, v2, v199 :: v_dual_fmac_f32 v211, v167, v110
	s_delay_alu instid0(VALU_DEP_4) | instskip(SKIP_3) | instid1(VALU_DEP_4)
	v_add_f32_e32 v4, v4, v5
	v_mul_f32_e32 v5, v157, v101
	v_fma_f32 v6, v154, v98, -v6
	v_dual_fmac_f32 v215, v175, v118 :: v_dual_mul_f32 v202, v148, v19
	v_dual_mul_f32 v203, v150, v21 :: v_dual_add_f32 v4, v4, v7
	v_mul_f32_e32 v7, v159, v103
	v_fma_f32 v5, v156, v100, -v5
	v_dual_mul_f32 v221, v186, v131 :: v_dual_mul_f32 v222, v188, v133
	s_delay_alu instid0(VALU_DEP_4) | instskip(SKIP_3) | instid1(VALU_DEP_4)
	v_add_f32_e32 v4, v4, v6
	v_mul_f32_e32 v6, v161, v105
	v_fma_f32 v7, v158, v102, -v7
	v_fmac_f32_e32 v202, v149, v18
	v_dual_fmac_f32 v221, v187, v130 :: v_dual_add_f32 v4, v4, v5
	v_mul_f32_e32 v5, v163, v107
	v_fma_f32 v6, v160, v104, -v6
	v_dual_fmac_f32 v200, v145, v14 :: v_dual_fmac_f32 v203, v151, v20
	s_delay_alu instid0(VALU_DEP_4) | instskip(NEXT) | instid1(VALU_DEP_4)
	v_dual_add_f32 v4, v4, v7 :: v_dual_mul_f32 v7, v165, v109
	v_fma_f32 v5, v162, v106, -v5
	v_dual_mul_f32 v207, v158, v103 :: v_dual_mul_f32 v208, v160, v105
	s_delay_alu instid0(VALU_DEP_3)
	v_add_f32_e32 v4, v4, v6
	v_add_f32_e32 v2, v2, v200
	v_mul_f32_e32 v6, v167, v111
	v_fma_f32 v7, v164, v108, -v7
	v_dual_mul_f32 v209, v162, v107 :: v_dual_mul_f32 v210, v164, v109
	v_dual_add_f32 v4, v4, v5 :: v_dual_fmac_f32 v207, v159, v102
	s_delay_alu instid0(VALU_DEP_2) | instskip(SKIP_2) | instid1(VALU_DEP_4)
	v_dual_add_f32 v2, v2, v201 :: v_dual_fmac_f32 v209, v163, v106
	v_mul_f32_e32 v5, v169, v113
	v_fma_f32 v6, v166, v110, -v6
	v_add_f32_e32 v4, v4, v7
	s_delay_alu instid0(VALU_DEP_4) | instskip(NEXT) | instid1(VALU_DEP_4)
	v_dual_add_f32 v2, v2, v202 :: v_dual_mul_f32 v7, v171, v115
	v_fma_f32 v5, v168, v112, -v5
	v_fmac_f32_e32 v204, v153, v22
	s_delay_alu instid0(VALU_DEP_4) | instskip(SKIP_3) | instid1(VALU_DEP_4)
	v_add_f32_e32 v4, v4, v6
	v_mul_f32_e32 v6, v173, v117
	v_fma_f32 v7, v170, v114, -v7
	v_dual_mul_f32 v213, v170, v115 :: v_dual_mul_f32 v214, v172, v117
	v_dual_add_f32 v4, v4, v5 :: v_dual_mul_f32 v5, v175, v119
	s_delay_alu instid0(VALU_DEP_4) | instskip(NEXT) | instid1(VALU_DEP_3)
	v_fma_f32 v6, v172, v116, -v6
	v_dual_add_f32 v2, v2, v203 :: v_dual_fmac_f32 v213, v171, v114
	s_delay_alu instid0(VALU_DEP_3) | instskip(NEXT) | instid1(VALU_DEP_4)
	v_dual_add_f32 v4, v4, v7 :: v_dual_mul_f32 v7, v177, v121
	v_fma_f32 v5, v174, v118, -v5
	s_delay_alu instid0(VALU_DEP_3) | instskip(SKIP_1) | instid1(VALU_DEP_4)
	v_add_f32_e32 v2, v2, v204
	v_dual_mul_f32 v217, v178, v123 :: v_dual_mul_f32 v218, v180, v125
	v_add_f32_e32 v4, v4, v6
	v_mul_f32_e32 v6, v179, v123
	v_fma_f32 v7, v176, v120, -v7
	v_dual_mul_f32 v219, v182, v127 :: v_dual_mul_f32 v220, v184, v129
	s_delay_alu instid0(VALU_DEP_4) | instskip(SKIP_3) | instid1(VALU_DEP_4)
	v_add_f32_e32 v4, v4, v5
	v_mul_f32_e32 v5, v181, v125
	v_fma_f32 v6, v178, v122, -v6
	v_dual_fmac_f32 v206, v157, v100 :: v_dual_fmac_f32 v217, v179, v122
	v_add_f32_e32 v4, v4, v7
	v_dual_add_f32 v2, v2, v205 :: v_dual_fmac_f32 v219, v183, v126
	v_mul_f32_e32 v7, v183, v127
	v_fma_f32 v5, v180, v124, -v5
	s_delay_alu instid0(VALU_DEP_4) | instskip(NEXT) | instid1(VALU_DEP_4)
	v_add_f32_e32 v4, v4, v6
	v_add_f32_e32 v2, v2, v206
	v_dual_fmac_f32 v208, v161, v104 :: v_dual_fmac_f32 v223, v195, v190
	v_fma_f32 v7, v182, v126, -v7
	s_delay_alu instid0(VALU_DEP_4)
	v_add_f32_e32 v4, v4, v5
	v_fmac_f32_e32 v210, v165, v108
	v_fmac_f32_e32 v212, v169, v112
	v_fmac_f32_e32 v214, v173, v116
	v_fmac_f32_e32 v216, v177, v120
	v_dual_add_f32 v4, v4, v7 :: v_dual_mul_f32 v7, v189, v133
	v_add_f32_e32 v2, v2, v207
	v_fmac_f32_e32 v218, v181, v124
	v_dual_mul_f32 v6, v185, v129 :: v_dual_mul_f32 v5, v187, v131
	v_fmac_f32_e32 v220, v185, v128
	s_delay_alu instid0(VALU_DEP_4) | instskip(SKIP_1) | instid1(VALU_DEP_4)
	v_add_f32_e32 v2, v2, v208
	v_fmac_f32_e32 v222, v189, v132
	v_fma_f32 v6, v184, v128, -v6
	v_fma_f32 v5, v186, v130, -v5
	v_fma_f32 v7, v188, v132, -v7
	v_add_f32_e32 v2, v2, v209
	s_delay_alu instid0(VALU_DEP_4) | instskip(SKIP_1) | instid1(VALU_DEP_3)
	v_add_f32_e32 v4, v4, v6
	v_mul_f32_e32 v6, v195, v191
	v_add_f32_e32 v2, v2, v210
	s_delay_alu instid0(VALU_DEP_3) | instskip(NEXT) | instid1(VALU_DEP_3)
	v_add_f32_e32 v4, v4, v5
	v_fma_f32 v5, v194, v190, -v6
	s_delay_alu instid0(VALU_DEP_3) | instskip(NEXT) | instid1(VALU_DEP_3)
	v_add_f32_e32 v2, v2, v211
	v_add_f32_e32 v4, v4, v7
	s_delay_alu instid0(VALU_DEP_2) | instskip(NEXT) | instid1(VALU_DEP_2)
	v_add_f32_e32 v2, v2, v212
	v_add_f32_e32 v4, v4, v5
	s_delay_alu instid0(VALU_DEP_2) | instskip(SKIP_1) | instid1(VALU_DEP_2)
	v_add_f32_e32 v2, v2, v213
	s_wait_loadcnt 0x0
	v_sub_f32_e32 v4, v192, v4
	s_delay_alu instid0(VALU_DEP_2) | instskip(NEXT) | instid1(VALU_DEP_1)
	v_add_f32_e32 v2, v2, v214
	v_add_f32_e32 v2, v2, v215
	s_delay_alu instid0(VALU_DEP_1) | instskip(NEXT) | instid1(VALU_DEP_1)
	v_add_f32_e32 v2, v2, v216
	v_add_f32_e32 v2, v2, v217
	s_delay_alu instid0(VALU_DEP_1) | instskip(NEXT) | instid1(VALU_DEP_1)
	;; [unrolled: 3-line block ×4, first 2 shown]
	v_add_f32_e32 v2, v2, v222
	v_add_f32_e32 v2, v2, v223
	s_delay_alu instid0(VALU_DEP_1)
	v_sub_f32_e32 v5, v193, v2
	scratch_store_b64 off, v[4:5], off offset:56
	v_cmpx_lt_u32_e32 6, v0
	s_cbranch_execz .LBB36_223
; %bb.222:
	scratch_load_b64 v[4:5], off, off offset:48
	v_mov_b32_e32 v2, v1
	scratch_store_b64 off, v[1:2], off offset:48
	s_wait_loadcnt 0x0
	ds_store_b64 v3, v[4:5]
.LBB36_223:
	s_wait_alu 0xfffe
	s_or_b32 exec_lo, exec_lo, s0
	s_wait_storecnt_dscnt 0x0
	s_barrier_signal -1
	s_barrier_wait -1
	global_inv scope:SCOPE_SE
	s_clause 0xf
	scratch_load_b128 v[4:7], off, off offset:56
	scratch_load_b128 v[8:11], off, off offset:72
	;; [unrolled: 1-line block ×15, first 2 shown]
	scratch_load_b64 v[198:199], off, off offset:48
	ds_load_2addr_b64 v[138:141], v1 offset0:45 offset1:46
	ds_load_2addr_b64 v[142:145], v1 offset0:47 offset1:48
	;; [unrolled: 1-line block ×15, first 2 shown]
	s_mov_b32 s0, exec_lo
	s_wait_loadcnt_dscnt 0xf0e
	v_dual_mul_f32 v1, v138, v5 :: v_dual_mul_f32 v2, v140, v7
	s_wait_loadcnt_dscnt 0xe0d
	v_dual_mul_f32 v7, v141, v7 :: v_dual_mul_f32 v200, v142, v9
	v_mul_f32_e32 v201, v144, v11
	s_wait_loadcnt_dscnt 0xd0c
	v_dual_fmac_f32 v1, v139, v4 :: v_dual_mul_f32 v202, v146, v13
	s_wait_loadcnt_dscnt 0xc0b
	v_dual_mul_f32 v203, v148, v15 :: v_dual_mul_f32 v204, v150, v17
	v_mul_f32_e32 v205, v152, v19
	v_dual_mul_f32 v5, v139, v5 :: v_dual_fmac_f32 v2, v141, v6
	s_wait_loadcnt_dscnt 0xb0a
	v_dual_mul_f32 v206, v154, v21 :: v_dual_mul_f32 v207, v156, v23
	s_wait_loadcnt_dscnt 0x201
	v_mul_f32_e32 v224, v190, v131
	v_fma_f32 v5, v138, v4, -v5
	s_wait_loadcnt_dscnt 0x100
	v_mul_f32_e32 v227, v196, v137
	v_mul_f32_e32 v4, v143, v9
	v_fma_f32 v6, v140, v6, -v7
	v_mul_f32_e32 v7, v145, v11
	v_dual_add_f32 v5, 0, v5 :: v_dual_fmac_f32 v200, v143, v8
	s_delay_alu instid0(VALU_DEP_4) | instskip(SKIP_1) | instid1(VALU_DEP_3)
	v_fma_f32 v4, v142, v8, -v4
	v_dual_mul_f32 v208, v158, v99 :: v_dual_mul_f32 v209, v160, v101
	v_add_f32_e32 v5, v5, v6
	v_fma_f32 v6, v144, v10, -v7
	v_dual_fmac_f32 v205, v153, v18 :: v_dual_mul_f32 v210, v162, v103
	s_delay_alu instid0(VALU_DEP_3) | instskip(SKIP_2) | instid1(VALU_DEP_3)
	v_dual_mul_f32 v211, v164, v105 :: v_dual_add_f32 v4, v5, v4
	v_dual_mul_f32 v212, v166, v107 :: v_dual_mul_f32 v213, v168, v109
	v_dual_mul_f32 v214, v170, v111 :: v_dual_mul_f32 v215, v172, v113
	v_dual_add_f32 v4, v4, v6 :: v_dual_add_f32 v1, 0, v1
	v_fmac_f32_e32 v202, v147, v12
	v_mul_f32_e32 v6, v151, v17
	v_fmac_f32_e32 v204, v151, v16
	v_dual_mul_f32 v216, v174, v115 :: v_dual_mul_f32 v217, v176, v117
	v_dual_add_f32 v1, v1, v2 :: v_dual_mul_f32 v2, v147, v13
	s_delay_alu instid0(VALU_DEP_4) | instskip(SKIP_2) | instid1(VALU_DEP_4)
	v_fma_f32 v6, v150, v16, -v6
	v_mul_f32_e32 v5, v149, v15
	v_dual_mul_f32 v218, v178, v119 :: v_dual_mul_f32 v219, v180, v121
	v_fma_f32 v2, v146, v12, -v2
	v_add_f32_e32 v1, v1, v200
	s_delay_alu instid0(VALU_DEP_4)
	v_fma_f32 v5, v148, v14, -v5
	v_dual_fmac_f32 v217, v177, v116 :: v_dual_mul_f32 v220, v182, v123
	v_mul_f32_e32 v221, v184, v125
	v_add_f32_e32 v2, v4, v2
	v_fmac_f32_e32 v201, v145, v10
	v_mul_f32_e32 v4, v153, v19
	v_fmac_f32_e32 v206, v155, v20
	v_dual_mul_f32 v222, v186, v127 :: v_dual_mul_f32 v223, v188, v129
	v_add_f32_e32 v2, v2, v5
	v_add_f32_e32 v1, v1, v201
	v_mul_f32_e32 v5, v155, v21
	v_fma_f32 v4, v152, v18, -v4
	s_delay_alu instid0(VALU_DEP_4)
	v_dual_fmac_f32 v223, v189, v128 :: v_dual_add_f32 v2, v2, v6
	v_fmac_f32_e32 v203, v149, v14
	v_add_f32_e32 v1, v1, v202
	v_mul_f32_e32 v6, v157, v23
	v_fma_f32 v5, v154, v20, -v5
	v_add_f32_e32 v2, v2, v4
	v_mul_f32_e32 v4, v159, v99
	v_add_f32_e32 v1, v1, v203
	v_fma_f32 v6, v156, v22, -v6
	v_fmac_f32_e32 v208, v159, v98
	v_add_f32_e32 v2, v2, v5
	v_mul_f32_e32 v5, v161, v101
	v_add_f32_e32 v1, v1, v204
	v_fma_f32 v4, v158, v98, -v4
	v_dual_mul_f32 v225, v192, v133 :: v_dual_mul_f32 v226, v194, v135
	v_add_f32_e32 v2, v2, v6
	s_delay_alu instid0(VALU_DEP_4) | instskip(SKIP_1) | instid1(VALU_DEP_4)
	v_dual_mul_f32 v6, v163, v103 :: v_dual_add_f32 v1, v1, v205
	v_fma_f32 v5, v160, v100, -v5
	v_dual_fmac_f32 v225, v193, v132 :: v_dual_fmac_f32 v226, v195, v134
	s_delay_alu instid0(VALU_DEP_4) | instskip(SKIP_3) | instid1(VALU_DEP_4)
	v_dual_add_f32 v2, v2, v4 :: v_dual_fmac_f32 v207, v157, v22
	v_mul_f32_e32 v4, v165, v105
	v_fma_f32 v6, v162, v102, -v6
	v_fmac_f32_e32 v210, v163, v102
	v_dual_add_f32 v2, v2, v5 :: v_dual_fmac_f32 v209, v161, v100
	v_mul_f32_e32 v5, v167, v107
	v_fma_f32 v4, v164, v104, -v4
	v_fmac_f32_e32 v212, v167, v106
	s_delay_alu instid0(VALU_DEP_4) | instskip(SKIP_4) | instid1(VALU_DEP_4)
	v_add_f32_e32 v2, v2, v6
	v_add_f32_e32 v1, v1, v206
	v_mul_f32_e32 v6, v169, v109
	v_fma_f32 v5, v166, v106, -v5
	v_fmac_f32_e32 v214, v171, v110
	v_dual_add_f32 v2, v2, v4 :: v_dual_add_f32 v1, v1, v207
	v_dual_fmac_f32 v211, v165, v104 :: v_dual_mul_f32 v4, v171, v111
	v_fma_f32 v6, v168, v108, -v6
	s_delay_alu instid0(VALU_DEP_3) | instskip(SKIP_1) | instid1(VALU_DEP_4)
	v_dual_add_f32 v2, v2, v5 :: v_dual_add_f32 v1, v1, v208
	v_fmac_f32_e32 v213, v169, v108
	v_fma_f32 v4, v170, v110, -v4
	v_fmac_f32_e32 v216, v175, v114
	s_delay_alu instid0(VALU_DEP_4) | instskip(SKIP_2) | instid1(VALU_DEP_3)
	v_dual_add_f32 v2, v2, v6 :: v_dual_add_f32 v1, v1, v209
	v_dual_mul_f32 v5, v173, v113 :: v_dual_mul_f32 v6, v175, v115
	v_fmac_f32_e32 v218, v179, v118
	v_dual_add_f32 v2, v2, v4 :: v_dual_add_f32 v1, v1, v210
	s_delay_alu instid0(VALU_DEP_3) | instskip(SKIP_3) | instid1(VALU_DEP_4)
	v_fma_f32 v5, v172, v112, -v5
	v_fmac_f32_e32 v215, v173, v112
	v_mul_f32_e32 v4, v177, v117
	v_fma_f32 v6, v174, v114, -v6
	v_dual_add_f32 v1, v1, v211 :: v_dual_add_f32 v2, v2, v5
	v_mul_f32_e32 v5, v179, v119
	s_delay_alu instid0(VALU_DEP_4) | instskip(NEXT) | instid1(VALU_DEP_3)
	v_fma_f32 v4, v176, v116, -v4
	v_dual_fmac_f32 v220, v183, v122 :: v_dual_add_f32 v1, v1, v212
	s_delay_alu instid0(VALU_DEP_4) | instskip(SKIP_2) | instid1(VALU_DEP_4)
	v_add_f32_e32 v2, v2, v6
	v_mul_f32_e32 v6, v181, v121
	v_fma_f32 v5, v178, v118, -v5
	v_dual_fmac_f32 v222, v187, v126 :: v_dual_add_f32 v1, v1, v213
	s_delay_alu instid0(VALU_DEP_4) | instskip(SKIP_3) | instid1(VALU_DEP_4)
	v_add_f32_e32 v2, v2, v4
	v_mul_f32_e32 v4, v183, v123
	v_fma_f32 v6, v180, v120, -v6
	v_fmac_f32_e32 v224, v191, v130
	v_dual_add_f32 v1, v1, v214 :: v_dual_add_f32 v2, v2, v5
	v_fmac_f32_e32 v219, v181, v120
	v_fma_f32 v4, v182, v122, -v4
	s_delay_alu instid0(VALU_DEP_3) | instskip(SKIP_1) | instid1(VALU_DEP_2)
	v_dual_add_f32 v1, v1, v215 :: v_dual_add_f32 v2, v2, v6
	v_dual_mul_f32 v5, v185, v125 :: v_dual_mul_f32 v6, v187, v127
	v_add_f32_e32 v1, v1, v216
	s_delay_alu instid0(VALU_DEP_3) | instskip(NEXT) | instid1(VALU_DEP_3)
	v_add_f32_e32 v2, v2, v4
	v_fma_f32 v5, v184, v124, -v5
	v_fmac_f32_e32 v221, v185, v124
	v_fma_f32 v6, v186, v126, -v6
	v_add_f32_e32 v1, v1, v217
	v_mul_f32_e32 v4, v189, v129
	v_dual_add_f32 v2, v2, v5 :: v_dual_mul_f32 v5, v191, v131
	s_delay_alu instid0(VALU_DEP_3) | instskip(NEXT) | instid1(VALU_DEP_3)
	v_add_f32_e32 v1, v1, v218
	v_fma_f32 v4, v188, v128, -v4
	s_delay_alu instid0(VALU_DEP_3) | instskip(SKIP_2) | instid1(VALU_DEP_3)
	v_add_f32_e32 v2, v2, v6
	v_mul_f32_e32 v6, v193, v133
	v_fma_f32 v5, v190, v130, -v5
	v_dual_add_f32 v1, v1, v219 :: v_dual_add_f32 v2, v2, v4
	v_mul_f32_e32 v4, v195, v135
	s_delay_alu instid0(VALU_DEP_4) | instskip(NEXT) | instid1(VALU_DEP_3)
	v_fma_f32 v6, v192, v132, -v6
	v_dual_add_f32 v1, v1, v220 :: v_dual_add_f32 v2, v2, v5
	s_delay_alu instid0(VALU_DEP_3) | instskip(NEXT) | instid1(VALU_DEP_2)
	v_fma_f32 v4, v194, v134, -v4
	v_dual_add_f32 v1, v1, v221 :: v_dual_add_f32 v2, v2, v6
	v_mul_f32_e32 v5, v197, v137
	s_delay_alu instid0(VALU_DEP_2) | instskip(NEXT) | instid1(VALU_DEP_2)
	v_dual_add_f32 v1, v1, v222 :: v_dual_add_f32 v2, v2, v4
	v_fma_f32 v5, v196, v136, -v5
	v_fmac_f32_e32 v227, v197, v136
	s_delay_alu instid0(VALU_DEP_2) | instskip(NEXT) | instid1(VALU_DEP_1)
	v_dual_add_f32 v1, v1, v223 :: v_dual_add_f32 v2, v2, v5
	v_add_f32_e32 v1, v1, v224
	s_delay_alu instid0(VALU_DEP_1) | instskip(NEXT) | instid1(VALU_DEP_1)
	v_add_f32_e32 v1, v1, v225
	v_add_f32_e32 v1, v1, v226
	s_wait_loadcnt 0x0
	s_delay_alu instid0(VALU_DEP_1) | instskip(NEXT) | instid1(VALU_DEP_1)
	v_dual_add_f32 v4, v1, v227 :: v_dual_sub_f32 v1, v198, v2
	v_sub_f32_e32 v2, v199, v4
	scratch_store_b64 off, v[1:2], off offset:48
	v_cmpx_lt_u32_e32 5, v0
	s_cbranch_execz .LBB36_225
; %bb.224:
	scratch_load_b64 v[1:2], off, off offset:40
	v_mov_b32_e32 v4, 0
	s_delay_alu instid0(VALU_DEP_1)
	v_mov_b32_e32 v5, v4
	scratch_store_b64 off, v[4:5], off offset:40
	s_wait_loadcnt 0x0
	ds_store_b64 v3, v[1:2]
.LBB36_225:
	s_wait_alu 0xfffe
	s_or_b32 exec_lo, exec_lo, s0
	s_wait_storecnt_dscnt 0x0
	s_barrier_signal -1
	s_barrier_wait -1
	global_inv scope:SCOPE_SE
	s_clause 0x10
	scratch_load_b128 v[4:7], off, off offset:48
	scratch_load_b128 v[8:11], off, off offset:64
	;; [unrolled: 1-line block ×15, first 2 shown]
	scratch_load_b64 v[198:199], off, off offset:288
	scratch_load_b64 v[200:201], off, off offset:40
	v_mov_b32_e32 v1, 0
	ds_load_b128 v[138:141], v1 offset:352
	ds_load_b128 v[142:145], v1 offset:368
	;; [unrolled: 1-line block ×15, first 2 shown]
	ds_load_b64 v[202:203], v1 offset:592
	s_mov_b32 s0, exec_lo
	s_wait_loadcnt_dscnt 0x100f
	v_mul_f32_e32 v2, v138, v5
	v_dual_mul_f32 v5, v139, v5 :: v_dual_mul_f32 v204, v140, v7
	s_wait_loadcnt_dscnt 0xc0b
	v_dual_mul_f32 v205, v142, v9 :: v_dual_mul_f32 v212, v156, v23
	v_mul_f32_e32 v7, v141, v7
	s_delay_alu instid0(VALU_DEP_3)
	v_fma_f32 v5, v138, v4, -v5
	v_fmac_f32_e32 v204, v141, v6
	v_dual_mul_f32 v208, v148, v15 :: v_dual_mul_f32 v209, v150, v17
	v_dual_mul_f32 v206, v144, v11 :: v_dual_mul_f32 v207, v146, v13
	v_fmac_f32_e32 v2, v139, v4
	v_mul_f32_e32 v4, v143, v9
	v_fma_f32 v6, v140, v6, -v7
	s_wait_loadcnt_dscnt 0x100
	v_mul_f32_e32 v233, v202, v199
	v_dual_add_f32 v5, 0, v5 :: v_dual_add_f32 v2, 0, v2
	v_mul_f32_e32 v7, v145, v11
	v_fma_f32 v4, v142, v8, -v4
	v_dual_fmac_f32 v205, v143, v8 :: v_dual_fmac_f32 v206, v145, v10
	s_delay_alu instid0(VALU_DEP_4) | instskip(SKIP_3) | instid1(VALU_DEP_4)
	v_dual_add_f32 v5, v5, v6 :: v_dual_add_f32 v2, v2, v204
	v_mul_f32_e32 v6, v147, v13
	v_fma_f32 v7, v144, v10, -v7
	v_fmac_f32_e32 v209, v151, v16
	v_add_f32_e32 v4, v5, v4
	v_mul_f32_e32 v5, v149, v15
	v_fma_f32 v6, v146, v12, -v6
	v_dual_mul_f32 v213, v158, v99 :: v_dual_mul_f32 v214, v160, v101
	s_delay_alu instid0(VALU_DEP_4) | instskip(NEXT) | instid1(VALU_DEP_4)
	v_dual_add_f32 v4, v4, v7 :: v_dual_mul_f32 v7, v151, v17
	v_fma_f32 v5, v148, v14, -v5
	v_dual_add_f32 v2, v2, v205 :: v_dual_fmac_f32 v207, v147, v12
	s_delay_alu instid0(VALU_DEP_3) | instskip(SKIP_2) | instid1(VALU_DEP_4)
	v_add_f32_e32 v4, v4, v6
	v_dual_mul_f32 v6, v153, v19 :: v_dual_fmac_f32 v213, v159, v98
	v_fma_f32 v7, v150, v16, -v7
	v_add_f32_e32 v2, v2, v206
	s_delay_alu instid0(VALU_DEP_4) | instskip(SKIP_3) | instid1(VALU_DEP_4)
	v_add_f32_e32 v4, v4, v5
	v_mul_f32_e32 v5, v155, v21
	v_fma_f32 v6, v152, v18, -v6
	v_dual_mul_f32 v219, v170, v111 :: v_dual_mul_f32 v220, v172, v113
	v_add_f32_e32 v4, v4, v7
	v_mul_f32_e32 v7, v157, v23
	v_fma_f32 v5, v154, v20, -v5
	v_dual_mul_f32 v223, v178, v119 :: v_dual_mul_f32 v224, v180, v121
	s_delay_alu instid0(VALU_DEP_4) | instskip(SKIP_3) | instid1(VALU_DEP_4)
	v_add_f32_e32 v4, v4, v6
	v_mul_f32_e32 v6, v159, v99
	v_fma_f32 v7, v156, v22, -v7
	v_dual_add_f32 v2, v2, v207 :: v_dual_fmac_f32 v219, v171, v110
	v_add_f32_e32 v4, v4, v5
	v_mul_f32_e32 v5, v161, v101
	v_fma_f32 v6, v158, v98, -v6
	v_dual_fmac_f32 v223, v179, v118 :: v_dual_mul_f32 v210, v152, v19
	s_delay_alu instid0(VALU_DEP_4) | instskip(SKIP_3) | instid1(VALU_DEP_4)
	v_dual_mul_f32 v211, v154, v21 :: v_dual_add_f32 v4, v4, v7
	v_mul_f32_e32 v7, v163, v103
	v_fma_f32 v5, v160, v100, -v5
	v_dual_mul_f32 v229, v190, v131 :: v_dual_mul_f32 v230, v192, v133
	v_add_f32_e32 v4, v4, v6
	v_mul_f32_e32 v6, v165, v105
	v_fma_f32 v7, v162, v102, -v7
	v_fmac_f32_e32 v210, v153, v18
	s_delay_alu instid0(VALU_DEP_4) | instskip(SKIP_3) | instid1(VALU_DEP_4)
	v_dual_fmac_f32 v229, v191, v130 :: v_dual_add_f32 v4, v4, v5
	v_mul_f32_e32 v5, v167, v107
	v_fma_f32 v6, v164, v104, -v6
	v_dual_fmac_f32 v208, v149, v14 :: v_dual_fmac_f32 v211, v155, v20
	v_dual_add_f32 v4, v4, v7 :: v_dual_mul_f32 v7, v169, v109
	s_delay_alu instid0(VALU_DEP_4) | instskip(SKIP_1) | instid1(VALU_DEP_3)
	v_fma_f32 v5, v166, v106, -v5
	v_dual_mul_f32 v215, v162, v103 :: v_dual_mul_f32 v216, v164, v105
	v_add_f32_e32 v4, v4, v6
	v_add_f32_e32 v2, v2, v208
	v_mul_f32_e32 v6, v171, v111
	v_fma_f32 v7, v168, v108, -v7
	v_dual_mul_f32 v217, v166, v107 :: v_dual_mul_f32 v218, v168, v109
	v_dual_add_f32 v4, v4, v5 :: v_dual_fmac_f32 v215, v163, v102
	s_delay_alu instid0(VALU_DEP_2) | instskip(SKIP_2) | instid1(VALU_DEP_4)
	v_dual_add_f32 v2, v2, v209 :: v_dual_fmac_f32 v217, v167, v106
	v_mul_f32_e32 v5, v173, v113
	v_fma_f32 v6, v170, v110, -v6
	v_add_f32_e32 v4, v4, v7
	s_delay_alu instid0(VALU_DEP_4) | instskip(NEXT) | instid1(VALU_DEP_4)
	v_dual_add_f32 v2, v2, v210 :: v_dual_mul_f32 v7, v175, v115
	v_fma_f32 v5, v172, v112, -v5
	v_fmac_f32_e32 v212, v157, v22
	s_delay_alu instid0(VALU_DEP_4) | instskip(SKIP_3) | instid1(VALU_DEP_4)
	v_add_f32_e32 v4, v4, v6
	v_mul_f32_e32 v6, v177, v117
	v_fma_f32 v7, v174, v114, -v7
	v_dual_mul_f32 v221, v174, v115 :: v_dual_mul_f32 v222, v176, v117
	v_dual_add_f32 v4, v4, v5 :: v_dual_mul_f32 v5, v179, v119
	s_delay_alu instid0(VALU_DEP_4) | instskip(NEXT) | instid1(VALU_DEP_3)
	v_fma_f32 v6, v176, v116, -v6
	v_dual_add_f32 v2, v2, v211 :: v_dual_fmac_f32 v221, v175, v114
	s_delay_alu instid0(VALU_DEP_3) | instskip(NEXT) | instid1(VALU_DEP_4)
	v_dual_add_f32 v4, v4, v7 :: v_dual_mul_f32 v7, v181, v121
	v_fma_f32 v5, v178, v118, -v5
	s_delay_alu instid0(VALU_DEP_3) | instskip(SKIP_1) | instid1(VALU_DEP_4)
	v_add_f32_e32 v2, v2, v212
	v_dual_mul_f32 v225, v182, v123 :: v_dual_mul_f32 v226, v184, v125
	v_add_f32_e32 v4, v4, v6
	v_mul_f32_e32 v6, v183, v123
	v_fma_f32 v7, v180, v120, -v7
	v_dual_mul_f32 v227, v186, v127 :: v_dual_mul_f32 v228, v188, v129
	s_delay_alu instid0(VALU_DEP_4) | instskip(SKIP_3) | instid1(VALU_DEP_4)
	v_add_f32_e32 v4, v4, v5
	v_mul_f32_e32 v5, v185, v125
	v_fma_f32 v6, v182, v122, -v6
	v_dual_fmac_f32 v214, v161, v100 :: v_dual_fmac_f32 v225, v183, v122
	v_add_f32_e32 v4, v4, v7
	v_dual_add_f32 v2, v2, v213 :: v_dual_fmac_f32 v227, v187, v126
	v_mul_f32_e32 v7, v187, v127
	v_fma_f32 v5, v184, v124, -v5
	s_delay_alu instid0(VALU_DEP_4) | instskip(NEXT) | instid1(VALU_DEP_4)
	v_add_f32_e32 v4, v4, v6
	v_add_f32_e32 v2, v2, v214
	v_dual_mul_f32 v231, v194, v135 :: v_dual_mul_f32 v232, v196, v137
	v_fma_f32 v7, v186, v126, -v7
	s_delay_alu instid0(VALU_DEP_4) | instskip(NEXT) | instid1(VALU_DEP_3)
	v_add_f32_e32 v4, v4, v5
	v_dual_fmac_f32 v216, v165, v104 :: v_dual_fmac_f32 v231, v195, v134
	v_dual_fmac_f32 v233, v203, v198 :: v_dual_fmac_f32 v218, v169, v108
	s_delay_alu instid0(VALU_DEP_3)
	v_dual_add_f32 v4, v4, v7 :: v_dual_mul_f32 v7, v193, v133
	v_add_f32_e32 v2, v2, v215
	v_fmac_f32_e32 v220, v173, v112
	v_fmac_f32_e32 v222, v177, v116
	v_fmac_f32_e32 v224, v181, v120
	v_fmac_f32_e32 v226, v185, v124
	v_add_f32_e32 v2, v2, v216
	v_dual_mul_f32 v6, v189, v129 :: v_dual_mul_f32 v5, v191, v131
	v_fmac_f32_e32 v228, v189, v128
	v_fmac_f32_e32 v230, v193, v132
	s_delay_alu instid0(VALU_DEP_4) | instskip(NEXT) | instid1(VALU_DEP_4)
	v_add_f32_e32 v2, v2, v217
	v_fma_f32 v6, v188, v128, -v6
	v_fma_f32 v5, v190, v130, -v5
	;; [unrolled: 1-line block ×3, first 2 shown]
	v_fmac_f32_e32 v232, v197, v136
	v_add_f32_e32 v2, v2, v218
	v_add_f32_e32 v4, v4, v6
	v_mul_f32_e32 v6, v195, v135
	s_delay_alu instid0(VALU_DEP_3) | instskip(NEXT) | instid1(VALU_DEP_3)
	v_add_f32_e32 v2, v2, v219
	v_add_f32_e32 v4, v4, v5
	v_mul_f32_e32 v5, v197, v137
	s_delay_alu instid0(VALU_DEP_4) | instskip(NEXT) | instid1(VALU_DEP_4)
	v_fma_f32 v6, v194, v134, -v6
	v_add_f32_e32 v2, v2, v220
	s_delay_alu instid0(VALU_DEP_4) | instskip(SKIP_2) | instid1(VALU_DEP_4)
	v_add_f32_e32 v4, v4, v7
	v_mul_f32_e32 v7, v203, v199
	v_fma_f32 v5, v196, v136, -v5
	v_add_f32_e32 v2, v2, v221
	s_delay_alu instid0(VALU_DEP_4) | instskip(NEXT) | instid1(VALU_DEP_4)
	v_add_f32_e32 v4, v4, v6
	v_fma_f32 v6, v202, v198, -v7
	s_delay_alu instid0(VALU_DEP_3) | instskip(NEXT) | instid1(VALU_DEP_3)
	v_add_f32_e32 v2, v2, v222
	v_add_f32_e32 v4, v4, v5
	s_delay_alu instid0(VALU_DEP_2) | instskip(NEXT) | instid1(VALU_DEP_2)
	v_add_f32_e32 v2, v2, v223
	v_add_f32_e32 v4, v4, v6
	s_delay_alu instid0(VALU_DEP_2) | instskip(SKIP_1) | instid1(VALU_DEP_2)
	v_add_f32_e32 v2, v2, v224
	s_wait_loadcnt 0x0
	v_sub_f32_e32 v4, v200, v4
	s_delay_alu instid0(VALU_DEP_2) | instskip(NEXT) | instid1(VALU_DEP_1)
	v_add_f32_e32 v2, v2, v225
	v_add_f32_e32 v2, v2, v226
	s_delay_alu instid0(VALU_DEP_1) | instskip(NEXT) | instid1(VALU_DEP_1)
	v_add_f32_e32 v2, v2, v227
	v_add_f32_e32 v2, v2, v228
	s_delay_alu instid0(VALU_DEP_1) | instskip(NEXT) | instid1(VALU_DEP_1)
	;; [unrolled: 3-line block ×4, first 2 shown]
	v_add_f32_e32 v2, v2, v233
	v_sub_f32_e32 v5, v201, v2
	scratch_store_b64 off, v[4:5], off offset:40
	v_cmpx_lt_u32_e32 4, v0
	s_cbranch_execz .LBB36_227
; %bb.226:
	scratch_load_b64 v[4:5], off, off offset:32
	v_mov_b32_e32 v2, v1
	scratch_store_b64 off, v[1:2], off offset:32
	s_wait_loadcnt 0x0
	ds_store_b64 v3, v[4:5]
.LBB36_227:
	s_wait_alu 0xfffe
	s_or_b32 exec_lo, exec_lo, s0
	s_wait_storecnt_dscnt 0x0
	s_barrier_signal -1
	s_barrier_wait -1
	global_inv scope:SCOPE_SE
	s_clause 0x10
	scratch_load_b128 v[4:7], off, off offset:40
	scratch_load_b128 v[8:11], off, off offset:56
	;; [unrolled: 1-line block ×16, first 2 shown]
	scratch_load_b64 v[206:207], off, off offset:32
	ds_load_2addr_b64 v[142:145], v1 offset0:43 offset1:44
	ds_load_2addr_b64 v[146:149], v1 offset0:45 offset1:46
	;; [unrolled: 1-line block ×16, first 2 shown]
	s_mov_b32 s0, exec_lo
	s_wait_loadcnt_dscnt 0x100f
	v_dual_mul_f32 v1, v142, v5 :: v_dual_mul_f32 v2, v144, v7
	s_wait_loadcnt_dscnt 0xf0e
	v_dual_mul_f32 v7, v145, v7 :: v_dual_mul_f32 v208, v146, v9
	v_mul_f32_e32 v209, v148, v11
	s_wait_loadcnt_dscnt 0xe0d
	v_dual_fmac_f32 v1, v143, v4 :: v_dual_mul_f32 v210, v150, v13
	s_wait_loadcnt_dscnt 0xd0c
	v_dual_mul_f32 v211, v152, v15 :: v_dual_mul_f32 v212, v154, v17
	v_mul_f32_e32 v213, v156, v19
	v_dual_mul_f32 v5, v143, v5 :: v_dual_fmac_f32 v2, v145, v6
	s_wait_loadcnt_dscnt 0xc0b
	v_dual_mul_f32 v214, v158, v21 :: v_dual_mul_f32 v215, v160, v23
	s_wait_loadcnt_dscnt 0x201
	v_mul_f32_e32 v234, v198, v135
	v_fma_f32 v5, v142, v4, -v5
	s_wait_loadcnt_dscnt 0x100
	v_mul_f32_e32 v237, v204, v141
	v_mul_f32_e32 v4, v147, v9
	v_fma_f32 v6, v144, v6, -v7
	v_mul_f32_e32 v7, v149, v11
	v_dual_add_f32 v5, 0, v5 :: v_dual_fmac_f32 v208, v147, v8
	s_delay_alu instid0(VALU_DEP_4) | instskip(SKIP_1) | instid1(VALU_DEP_3)
	v_fma_f32 v4, v146, v8, -v4
	v_dual_mul_f32 v216, v162, v99 :: v_dual_mul_f32 v217, v164, v101
	v_add_f32_e32 v5, v5, v6
	v_fma_f32 v6, v148, v10, -v7
	v_dual_fmac_f32 v213, v157, v18 :: v_dual_mul_f32 v218, v166, v103
	s_delay_alu instid0(VALU_DEP_3) | instskip(SKIP_2) | instid1(VALU_DEP_3)
	v_dual_mul_f32 v219, v168, v105 :: v_dual_add_f32 v4, v5, v4
	v_dual_mul_f32 v220, v170, v107 :: v_dual_mul_f32 v221, v172, v109
	v_dual_mul_f32 v222, v174, v111 :: v_dual_mul_f32 v223, v176, v113
	v_dual_add_f32 v4, v4, v6 :: v_dual_add_f32 v1, 0, v1
	v_fmac_f32_e32 v210, v151, v12
	v_mul_f32_e32 v6, v155, v17
	v_dual_mul_f32 v224, v178, v115 :: v_dual_mul_f32 v225, v180, v117
	s_delay_alu instid0(VALU_DEP_4) | instskip(SKIP_1) | instid1(VALU_DEP_4)
	v_dual_add_f32 v1, v1, v2 :: v_dual_fmac_f32 v212, v155, v16
	v_mul_f32_e32 v2, v151, v13
	v_fma_f32 v6, v154, v16, -v6
	v_mul_f32_e32 v5, v153, v15
	v_dual_mul_f32 v226, v182, v119 :: v_dual_mul_f32 v227, v184, v121
	s_delay_alu instid0(VALU_DEP_4) | instskip(SKIP_1) | instid1(VALU_DEP_4)
	v_fma_f32 v2, v150, v12, -v2
	v_add_f32_e32 v1, v1, v208
	v_fma_f32 v5, v152, v14, -v5
	v_dual_fmac_f32 v225, v181, v116 :: v_dual_mul_f32 v228, v186, v123
	v_mul_f32_e32 v229, v188, v125
	v_add_f32_e32 v2, v4, v2
	v_fmac_f32_e32 v209, v149, v10
	v_mul_f32_e32 v4, v157, v19
	v_fmac_f32_e32 v214, v159, v20
	v_dual_mul_f32 v230, v190, v127 :: v_dual_mul_f32 v231, v192, v129
	v_add_f32_e32 v2, v2, v5
	v_add_f32_e32 v1, v1, v209
	v_mul_f32_e32 v5, v159, v21
	v_fma_f32 v4, v156, v18, -v4
	v_dual_mul_f32 v232, v194, v131 :: v_dual_mul_f32 v233, v196, v133
	v_add_f32_e32 v2, v2, v6
	v_fmac_f32_e32 v211, v153, v14
	v_add_f32_e32 v1, v1, v210
	v_mul_f32_e32 v6, v161, v23
	v_fma_f32 v5, v158, v20, -v5
	v_add_f32_e32 v2, v2, v4
	v_mul_f32_e32 v4, v163, v99
	v_add_f32_e32 v1, v1, v211
	v_fma_f32 v6, v160, v22, -v6
	v_fmac_f32_e32 v216, v163, v98
	v_add_f32_e32 v2, v2, v5
	v_mul_f32_e32 v5, v165, v101
	v_add_f32_e32 v1, v1, v212
	v_fma_f32 v4, v162, v98, -v4
	s_delay_alu instid0(VALU_DEP_4) | instskip(NEXT) | instid1(VALU_DEP_3)
	v_dual_fmac_f32 v231, v193, v128 :: v_dual_add_f32 v2, v2, v6
	v_dual_mul_f32 v6, v167, v103 :: v_dual_add_f32 v1, v1, v213
	v_fma_f32 v5, v164, v100, -v5
	v_dual_fmac_f32 v233, v197, v132 :: v_dual_fmac_f32 v234, v199, v134
	s_delay_alu instid0(VALU_DEP_4) | instskip(SKIP_3) | instid1(VALU_DEP_4)
	v_dual_add_f32 v2, v2, v4 :: v_dual_fmac_f32 v215, v161, v22
	v_mul_f32_e32 v4, v169, v105
	v_fma_f32 v6, v166, v102, -v6
	v_dual_mul_f32 v235, v200, v137 :: v_dual_mul_f32 v236, v202, v139
	v_dual_add_f32 v2, v2, v5 :: v_dual_fmac_f32 v217, v165, v100
	v_mul_f32_e32 v5, v171, v107
	v_fma_f32 v4, v168, v104, -v4
	v_fmac_f32_e32 v218, v167, v102
	s_delay_alu instid0(VALU_DEP_4) | instskip(SKIP_4) | instid1(VALU_DEP_4)
	v_add_f32_e32 v2, v2, v6
	v_add_f32_e32 v1, v1, v214
	v_mul_f32_e32 v6, v173, v109
	v_fmac_f32_e32 v220, v171, v106
	v_fma_f32 v5, v170, v106, -v5
	v_dual_add_f32 v2, v2, v4 :: v_dual_add_f32 v1, v1, v215
	v_dual_fmac_f32 v219, v169, v104 :: v_dual_mul_f32 v4, v175, v111
	v_fma_f32 v6, v172, v108, -v6
	s_delay_alu instid0(VALU_DEP_3) | instskip(SKIP_1) | instid1(VALU_DEP_4)
	v_dual_add_f32 v2, v2, v5 :: v_dual_add_f32 v1, v1, v216
	v_fmac_f32_e32 v221, v173, v108
	v_fma_f32 v4, v174, v110, -v4
	v_dual_fmac_f32 v235, v201, v136 :: v_dual_fmac_f32 v236, v203, v138
	s_delay_alu instid0(VALU_DEP_4) | instskip(SKIP_2) | instid1(VALU_DEP_3)
	v_dual_add_f32 v1, v1, v217 :: v_dual_add_f32 v2, v2, v6
	v_dual_mul_f32 v5, v177, v113 :: v_dual_mul_f32 v6, v179, v115
	v_fmac_f32_e32 v222, v175, v110
	v_dual_add_f32 v1, v1, v218 :: v_dual_add_f32 v2, v2, v4
	s_delay_alu instid0(VALU_DEP_3) | instskip(SKIP_2) | instid1(VALU_DEP_4)
	v_fma_f32 v5, v176, v112, -v5
	v_fmac_f32_e32 v223, v177, v112
	v_mul_f32_e32 v4, v181, v117
	v_dual_add_f32 v1, v1, v219 :: v_dual_fmac_f32 v224, v179, v114
	v_fma_f32 v6, v178, v114, -v6
	v_add_f32_e32 v2, v2, v5
	s_delay_alu instid0(VALU_DEP_4) | instskip(NEXT) | instid1(VALU_DEP_4)
	v_fma_f32 v4, v180, v116, -v4
	v_add_f32_e32 v1, v1, v220
	v_mul_f32_e32 v5, v183, v119
	s_delay_alu instid0(VALU_DEP_4) | instskip(SKIP_1) | instid1(VALU_DEP_4)
	v_dual_fmac_f32 v237, v205, v140 :: v_dual_add_f32 v2, v2, v6
	v_mul_f32_e32 v6, v185, v121
	v_dual_add_f32 v1, v1, v221 :: v_dual_fmac_f32 v226, v183, v118
	s_delay_alu instid0(VALU_DEP_4) | instskip(NEXT) | instid1(VALU_DEP_4)
	v_fma_f32 v5, v182, v118, -v5
	v_add_f32_e32 v2, v2, v4
	s_delay_alu instid0(VALU_DEP_3) | instskip(SKIP_2) | instid1(VALU_DEP_4)
	v_dual_mul_f32 v4, v187, v123 :: v_dual_add_f32 v1, v1, v222
	v_fma_f32 v6, v184, v120, -v6
	v_fmac_f32_e32 v228, v187, v122
	v_dual_add_f32 v2, v2, v5 :: v_dual_fmac_f32 v227, v185, v120
	s_delay_alu instid0(VALU_DEP_4) | instskip(SKIP_2) | instid1(VALU_DEP_4)
	v_add_f32_e32 v1, v1, v223
	v_fma_f32 v4, v186, v122, -v4
	v_fmac_f32_e32 v230, v191, v126
	v_dual_add_f32 v2, v2, v6 :: v_dual_mul_f32 v5, v189, v125
	s_delay_alu instid0(VALU_DEP_4) | instskip(SKIP_1) | instid1(VALU_DEP_3)
	v_dual_add_f32 v1, v1, v224 :: v_dual_mul_f32 v6, v191, v127
	v_fmac_f32_e32 v232, v195, v130
	v_add_f32_e32 v2, v2, v4
	s_delay_alu instid0(VALU_DEP_4) | instskip(NEXT) | instid1(VALU_DEP_4)
	v_fma_f32 v5, v188, v124, -v5
	v_add_f32_e32 v1, v1, v225
	v_fmac_f32_e32 v229, v189, v124
	v_fma_f32 v6, v190, v126, -v6
	v_mul_f32_e32 v4, v193, v129
	s_delay_alu instid0(VALU_DEP_4) | instskip(SKIP_1) | instid1(VALU_DEP_3)
	v_dual_add_f32 v2, v2, v5 :: v_dual_add_f32 v1, v1, v226
	v_mul_f32_e32 v5, v195, v131
	v_fma_f32 v4, v192, v128, -v4
	s_delay_alu instid0(VALU_DEP_3) | instskip(SKIP_1) | instid1(VALU_DEP_4)
	v_dual_add_f32 v2, v2, v6 :: v_dual_add_f32 v1, v1, v227
	v_mul_f32_e32 v6, v197, v133
	v_fma_f32 v5, v194, v130, -v5
	s_delay_alu instid0(VALU_DEP_3) | instskip(NEXT) | instid1(VALU_DEP_4)
	v_add_f32_e32 v2, v2, v4
	v_dual_add_f32 v1, v1, v228 :: v_dual_mul_f32 v4, v199, v135
	s_delay_alu instid0(VALU_DEP_4) | instskip(NEXT) | instid1(VALU_DEP_3)
	v_fma_f32 v6, v196, v132, -v6
	v_add_f32_e32 v2, v2, v5
	s_delay_alu instid0(VALU_DEP_3) | instskip(SKIP_2) | instid1(VALU_DEP_4)
	v_add_f32_e32 v1, v1, v229
	v_mul_f32_e32 v5, v201, v137
	v_fma_f32 v4, v198, v134, -v4
	v_add_f32_e32 v2, v2, v6
	s_delay_alu instid0(VALU_DEP_4) | instskip(NEXT) | instid1(VALU_DEP_4)
	v_dual_add_f32 v1, v1, v230 :: v_dual_mul_f32 v6, v203, v139
	v_fma_f32 v5, v200, v136, -v5
	s_delay_alu instid0(VALU_DEP_2) | instskip(SKIP_1) | instid1(VALU_DEP_4)
	v_dual_add_f32 v2, v2, v4 :: v_dual_add_f32 v1, v1, v231
	v_mul_f32_e32 v4, v205, v141
	v_fma_f32 v6, v202, v138, -v6
	s_delay_alu instid0(VALU_DEP_3) | instskip(NEXT) | instid1(VALU_DEP_3)
	v_dual_add_f32 v2, v2, v5 :: v_dual_add_f32 v1, v1, v232
	v_fma_f32 v4, v204, v140, -v4
	s_delay_alu instid0(VALU_DEP_2) | instskip(NEXT) | instid1(VALU_DEP_1)
	v_dual_add_f32 v2, v2, v6 :: v_dual_add_f32 v1, v1, v233
	v_dual_add_f32 v2, v2, v4 :: v_dual_add_f32 v1, v1, v234
	s_delay_alu instid0(VALU_DEP_1) | instskip(NEXT) | instid1(VALU_DEP_1)
	v_add_f32_e32 v1, v1, v235
	v_add_f32_e32 v1, v1, v236
	s_wait_loadcnt 0x0
	s_delay_alu instid0(VALU_DEP_1) | instskip(NEXT) | instid1(VALU_DEP_1)
	v_dual_add_f32 v4, v1, v237 :: v_dual_sub_f32 v1, v206, v2
	v_sub_f32_e32 v2, v207, v4
	scratch_store_b64 off, v[1:2], off offset:32
	v_cmpx_lt_u32_e32 3, v0
	s_cbranch_execz .LBB36_229
; %bb.228:
	scratch_load_b64 v[1:2], off, off offset:24
	v_mov_b32_e32 v4, 0
	s_delay_alu instid0(VALU_DEP_1)
	v_mov_b32_e32 v5, v4
	scratch_store_b64 off, v[4:5], off offset:24
	s_wait_loadcnt 0x0
	ds_store_b64 v3, v[1:2]
.LBB36_229:
	s_wait_alu 0xfffe
	s_or_b32 exec_lo, exec_lo, s0
	s_wait_storecnt_dscnt 0x0
	s_barrier_signal -1
	s_barrier_wait -1
	global_inv scope:SCOPE_SE
	s_clause 0x11
	scratch_load_b128 v[4:7], off, off offset:32
	scratch_load_b128 v[8:11], off, off offset:48
	;; [unrolled: 1-line block ×16, first 2 shown]
	scratch_load_b64 v[206:207], off, off offset:288
	scratch_load_b64 v[208:209], off, off offset:24
	v_mov_b32_e32 v1, 0
	ds_load_b128 v[142:145], v1 offset:336
	ds_load_b128 v[146:149], v1 offset:352
	;; [unrolled: 1-line block ×16, first 2 shown]
	ds_load_b64 v[210:211], v1 offset:592
	s_mov_b32 s0, exec_lo
	s_wait_loadcnt_dscnt 0x1110
	v_mul_f32_e32 v2, v142, v5
	v_dual_mul_f32 v5, v143, v5 :: v_dual_mul_f32 v212, v144, v7
	s_wait_loadcnt_dscnt 0xd0c
	v_dual_mul_f32 v213, v146, v9 :: v_dual_mul_f32 v220, v160, v23
	v_mul_f32_e32 v7, v145, v7
	s_delay_alu instid0(VALU_DEP_3)
	v_fma_f32 v5, v142, v4, -v5
	v_fmac_f32_e32 v212, v145, v6
	v_dual_mul_f32 v216, v152, v15 :: v_dual_mul_f32 v217, v154, v17
	v_dual_mul_f32 v214, v148, v11 :: v_dual_mul_f32 v215, v150, v13
	v_fmac_f32_e32 v2, v143, v4
	v_mul_f32_e32 v4, v147, v9
	v_fma_f32 v6, v144, v6, -v7
	v_add_f32_e32 v5, 0, v5
	s_wait_loadcnt_dscnt 0x100
	v_dual_mul_f32 v243, v210, v207 :: v_dual_add_f32 v2, 0, v2
	v_mul_f32_e32 v7, v149, v11
	v_fma_f32 v4, v146, v8, -v4
	v_dual_add_f32 v5, v5, v6 :: v_dual_mul_f32 v6, v151, v13
	s_delay_alu instid0(VALU_DEP_4) | instskip(NEXT) | instid1(VALU_DEP_4)
	v_add_f32_e32 v2, v2, v212
	v_fma_f32 v7, v148, v10, -v7
	v_dual_fmac_f32 v213, v147, v8 :: v_dual_fmac_f32 v214, v149, v10
	s_delay_alu instid0(VALU_DEP_4)
	v_add_f32_e32 v4, v5, v4
	v_mul_f32_e32 v5, v153, v15
	v_fma_f32 v6, v150, v12, -v6
	v_fmac_f32_e32 v217, v155, v16
	v_dual_mul_f32 v221, v162, v99 :: v_dual_mul_f32 v222, v164, v101
	v_dual_add_f32 v4, v4, v7 :: v_dual_mul_f32 v7, v155, v17
	v_fma_f32 v5, v152, v14, -v5
	v_dual_add_f32 v2, v2, v213 :: v_dual_fmac_f32 v215, v151, v12
	s_delay_alu instid0(VALU_DEP_3) | instskip(SKIP_2) | instid1(VALU_DEP_4)
	v_add_f32_e32 v4, v4, v6
	v_dual_mul_f32 v6, v157, v19 :: v_dual_fmac_f32 v221, v163, v98
	v_fma_f32 v7, v154, v16, -v7
	v_add_f32_e32 v2, v2, v214
	s_delay_alu instid0(VALU_DEP_4) | instskip(SKIP_3) | instid1(VALU_DEP_4)
	v_add_f32_e32 v4, v4, v5
	v_mul_f32_e32 v5, v159, v21
	v_fma_f32 v6, v156, v18, -v6
	v_dual_mul_f32 v227, v174, v111 :: v_dual_mul_f32 v228, v176, v113
	v_add_f32_e32 v4, v4, v7
	v_mul_f32_e32 v7, v161, v23
	v_fma_f32 v5, v158, v20, -v5
	v_dual_mul_f32 v231, v182, v119 :: v_dual_mul_f32 v232, v184, v121
	s_delay_alu instid0(VALU_DEP_4) | instskip(SKIP_3) | instid1(VALU_DEP_4)
	v_add_f32_e32 v4, v4, v6
	v_mul_f32_e32 v6, v163, v99
	v_fma_f32 v7, v160, v22, -v7
	v_dual_add_f32 v2, v2, v215 :: v_dual_fmac_f32 v227, v175, v110
	v_add_f32_e32 v4, v4, v5
	v_mul_f32_e32 v5, v165, v101
	v_fma_f32 v6, v162, v98, -v6
	v_dual_fmac_f32 v231, v183, v118 :: v_dual_mul_f32 v218, v156, v19
	s_delay_alu instid0(VALU_DEP_4) | instskip(SKIP_3) | instid1(VALU_DEP_4)
	v_dual_mul_f32 v219, v158, v21 :: v_dual_add_f32 v4, v4, v7
	v_mul_f32_e32 v7, v167, v103
	v_fma_f32 v5, v164, v100, -v5
	v_dual_mul_f32 v237, v194, v131 :: v_dual_mul_f32 v238, v196, v133
	v_add_f32_e32 v4, v4, v6
	v_mul_f32_e32 v6, v169, v105
	v_fma_f32 v7, v166, v102, -v7
	v_fmac_f32_e32 v218, v157, v18
	s_delay_alu instid0(VALU_DEP_4) | instskip(SKIP_3) | instid1(VALU_DEP_4)
	v_dual_fmac_f32 v237, v195, v130 :: v_dual_add_f32 v4, v4, v5
	v_mul_f32_e32 v5, v171, v107
	v_fma_f32 v6, v168, v104, -v6
	v_dual_fmac_f32 v216, v153, v14 :: v_dual_fmac_f32 v219, v159, v20
	v_dual_add_f32 v4, v4, v7 :: v_dual_mul_f32 v7, v173, v109
	s_delay_alu instid0(VALU_DEP_4) | instskip(SKIP_1) | instid1(VALU_DEP_3)
	v_fma_f32 v5, v170, v106, -v5
	v_dual_mul_f32 v223, v166, v103 :: v_dual_mul_f32 v224, v168, v105
	v_add_f32_e32 v4, v4, v6
	v_add_f32_e32 v2, v2, v216
	v_mul_f32_e32 v6, v175, v111
	v_fma_f32 v7, v172, v108, -v7
	v_dual_mul_f32 v225, v170, v107 :: v_dual_mul_f32 v226, v172, v109
	v_dual_add_f32 v4, v4, v5 :: v_dual_fmac_f32 v223, v167, v102
	s_delay_alu instid0(VALU_DEP_2) | instskip(SKIP_2) | instid1(VALU_DEP_4)
	v_dual_add_f32 v2, v2, v217 :: v_dual_fmac_f32 v225, v171, v106
	v_mul_f32_e32 v5, v177, v113
	v_fma_f32 v6, v174, v110, -v6
	v_add_f32_e32 v4, v4, v7
	s_delay_alu instid0(VALU_DEP_4) | instskip(NEXT) | instid1(VALU_DEP_4)
	v_dual_add_f32 v2, v2, v218 :: v_dual_mul_f32 v7, v179, v115
	v_fma_f32 v5, v176, v112, -v5
	v_fmac_f32_e32 v220, v161, v22
	s_delay_alu instid0(VALU_DEP_4) | instskip(SKIP_3) | instid1(VALU_DEP_4)
	v_add_f32_e32 v4, v4, v6
	v_mul_f32_e32 v6, v181, v117
	v_fma_f32 v7, v178, v114, -v7
	v_dual_mul_f32 v229, v178, v115 :: v_dual_mul_f32 v230, v180, v117
	v_dual_add_f32 v4, v4, v5 :: v_dual_mul_f32 v5, v183, v119
	s_delay_alu instid0(VALU_DEP_4) | instskip(NEXT) | instid1(VALU_DEP_3)
	v_fma_f32 v6, v180, v116, -v6
	v_dual_add_f32 v2, v2, v219 :: v_dual_fmac_f32 v229, v179, v114
	s_delay_alu instid0(VALU_DEP_3) | instskip(NEXT) | instid1(VALU_DEP_4)
	v_dual_add_f32 v4, v4, v7 :: v_dual_mul_f32 v7, v185, v121
	v_fma_f32 v5, v182, v118, -v5
	s_delay_alu instid0(VALU_DEP_3) | instskip(SKIP_1) | instid1(VALU_DEP_4)
	v_add_f32_e32 v2, v2, v220
	v_dual_mul_f32 v233, v186, v123 :: v_dual_mul_f32 v234, v188, v125
	v_add_f32_e32 v4, v4, v6
	v_mul_f32_e32 v6, v187, v123
	v_fma_f32 v7, v184, v120, -v7
	v_dual_mul_f32 v235, v190, v127 :: v_dual_mul_f32 v236, v192, v129
	s_delay_alu instid0(VALU_DEP_4) | instskip(SKIP_3) | instid1(VALU_DEP_4)
	v_add_f32_e32 v4, v4, v5
	v_mul_f32_e32 v5, v189, v125
	v_fma_f32 v6, v186, v122, -v6
	v_dual_fmac_f32 v222, v165, v100 :: v_dual_fmac_f32 v233, v187, v122
	v_add_f32_e32 v4, v4, v7
	v_mul_f32_e32 v7, v191, v127
	v_fma_f32 v5, v188, v124, -v5
	v_dual_add_f32 v2, v2, v221 :: v_dual_fmac_f32 v235, v191, v126
	s_delay_alu instid0(VALU_DEP_4) | instskip(SKIP_2) | instid1(VALU_DEP_4)
	v_add_f32_e32 v4, v4, v6
	v_mul_f32_e32 v6, v193, v129
	v_fma_f32 v7, v190, v126, -v7
	v_add_f32_e32 v2, v2, v222
	v_dual_mul_f32 v239, v198, v135 :: v_dual_mul_f32 v240, v200, v137
	v_dual_add_f32 v4, v4, v5 :: v_dual_mul_f32 v5, v195, v131
	v_fma_f32 v6, v192, v128, -v6
	v_dual_mul_f32 v241, v202, v139 :: v_dual_mul_f32 v242, v204, v141
	s_delay_alu instid0(VALU_DEP_3) | instskip(NEXT) | instid1(VALU_DEP_4)
	v_dual_add_f32 v4, v4, v7 :: v_dual_mul_f32 v7, v197, v133
	v_fma_f32 v5, v194, v130, -v5
	v_dual_fmac_f32 v224, v169, v104 :: v_dual_fmac_f32 v239, v199, v134
	s_delay_alu instid0(VALU_DEP_3) | instskip(SKIP_3) | instid1(VALU_DEP_4)
	v_add_f32_e32 v4, v4, v6
	v_mul_f32_e32 v6, v199, v135
	v_fma_f32 v7, v196, v132, -v7
	v_dual_add_f32 v2, v2, v223 :: v_dual_fmac_f32 v241, v203, v138
	v_add_f32_e32 v4, v4, v5
	v_mul_f32_e32 v5, v201, v137
	v_fma_f32 v6, v198, v134, -v6
	s_delay_alu instid0(VALU_DEP_4)
	v_add_f32_e32 v2, v2, v224
	v_dual_fmac_f32 v226, v173, v108 :: v_dual_fmac_f32 v243, v211, v206
	v_add_f32_e32 v4, v4, v7
	v_fma_f32 v5, v200, v136, -v5
	v_fmac_f32_e32 v228, v177, v112
	v_fmac_f32_e32 v230, v181, v116
	;; [unrolled: 1-line block ×3, first 2 shown]
	v_add_f32_e32 v4, v4, v6
	v_fmac_f32_e32 v234, v189, v124
	v_fmac_f32_e32 v236, v193, v128
	v_dual_fmac_f32 v238, v197, v132 :: v_dual_mul_f32 v7, v203, v139
	s_delay_alu instid0(VALU_DEP_4)
	v_dual_add_f32 v4, v4, v5 :: v_dual_mul_f32 v5, v211, v207
	v_add_f32_e32 v2, v2, v225
	v_fmac_f32_e32 v240, v201, v136
	v_mul_f32_e32 v6, v205, v141
	v_fma_f32 v7, v202, v138, -v7
	v_fmac_f32_e32 v242, v205, v140
	v_add_f32_e32 v2, v2, v226
	v_fma_f32 v5, v210, v206, -v5
	v_fma_f32 v6, v204, v140, -v6
	v_add_f32_e32 v4, v4, v7
	s_delay_alu instid0(VALU_DEP_4) | instskip(NEXT) | instid1(VALU_DEP_2)
	v_add_f32_e32 v2, v2, v227
	v_add_f32_e32 v4, v4, v6
	s_delay_alu instid0(VALU_DEP_2) | instskip(NEXT) | instid1(VALU_DEP_2)
	v_add_f32_e32 v2, v2, v228
	v_add_f32_e32 v4, v4, v5
	s_delay_alu instid0(VALU_DEP_2) | instskip(SKIP_1) | instid1(VALU_DEP_2)
	v_add_f32_e32 v2, v2, v229
	s_wait_loadcnt 0x0
	v_sub_f32_e32 v4, v208, v4
	s_delay_alu instid0(VALU_DEP_2) | instskip(NEXT) | instid1(VALU_DEP_1)
	v_add_f32_e32 v2, v2, v230
	v_add_f32_e32 v2, v2, v231
	s_delay_alu instid0(VALU_DEP_1) | instskip(NEXT) | instid1(VALU_DEP_1)
	v_add_f32_e32 v2, v2, v232
	v_add_f32_e32 v2, v2, v233
	s_delay_alu instid0(VALU_DEP_1) | instskip(NEXT) | instid1(VALU_DEP_1)
	;; [unrolled: 3-line block ×6, first 2 shown]
	v_add_f32_e32 v2, v2, v242
	v_add_f32_e32 v2, v2, v243
	s_delay_alu instid0(VALU_DEP_1)
	v_sub_f32_e32 v5, v209, v2
	scratch_store_b64 off, v[4:5], off offset:24
	v_cmpx_lt_u32_e32 2, v0
	s_cbranch_execz .LBB36_231
; %bb.230:
	scratch_load_b64 v[4:5], off, off offset:16
	v_mov_b32_e32 v2, v1
	scratch_store_b64 off, v[1:2], off offset:16
	s_wait_loadcnt 0x0
	ds_store_b64 v3, v[4:5]
.LBB36_231:
	s_wait_alu 0xfffe
	s_or_b32 exec_lo, exec_lo, s0
	s_wait_storecnt_dscnt 0x0
	s_barrier_signal -1
	s_barrier_wait -1
	global_inv scope:SCOPE_SE
	s_clause 0x11
	scratch_load_b128 v[4:7], off, off offset:24
	scratch_load_b128 v[8:11], off, off offset:40
	;; [unrolled: 1-line block ×17, first 2 shown]
	scratch_load_b64 v[214:215], off, off offset:16
	ds_load_2addr_b64 v[146:149], v1 offset0:41 offset1:42
	ds_load_2addr_b64 v[150:153], v1 offset0:43 offset1:44
	;; [unrolled: 1-line block ×17, first 2 shown]
	s_mov_b32 s0, exec_lo
	s_wait_loadcnt_dscnt 0x1110
	v_dual_mul_f32 v1, v146, v5 :: v_dual_mul_f32 v2, v148, v7
	s_wait_loadcnt_dscnt 0x100f
	v_dual_mul_f32 v7, v149, v7 :: v_dual_mul_f32 v216, v150, v9
	v_mul_f32_e32 v217, v152, v11
	s_wait_loadcnt_dscnt 0xf0e
	v_dual_fmac_f32 v1, v147, v4 :: v_dual_mul_f32 v218, v154, v13
	s_wait_loadcnt_dscnt 0xe0d
	v_dual_mul_f32 v219, v156, v15 :: v_dual_mul_f32 v220, v158, v17
	s_wait_loadcnt_dscnt 0xd0c
	v_dual_mul_f32 v221, v160, v19 :: v_dual_mul_f32 v222, v162, v21
	v_mul_f32_e32 v223, v164, v23
	v_dual_mul_f32 v5, v147, v5 :: v_dual_fmac_f32 v2, v149, v6
	s_wait_loadcnt_dscnt 0xc0b
	v_dual_mul_f32 v224, v166, v99 :: v_dual_mul_f32 v225, v168, v101
	s_wait_loadcnt_dscnt 0x201
	v_mul_f32_e32 v244, v206, v139
	v_fma_f32 v5, v146, v4, -v5
	s_wait_loadcnt_dscnt 0x100
	v_mul_f32_e32 v247, v212, v145
	v_mul_f32_e32 v4, v151, v9
	v_fma_f32 v6, v148, v6, -v7
	v_mul_f32_e32 v7, v153, v11
	v_dual_add_f32 v5, 0, v5 :: v_dual_fmac_f32 v216, v151, v8
	s_delay_alu instid0(VALU_DEP_4) | instskip(SKIP_2) | instid1(VALU_DEP_4)
	v_fma_f32 v4, v150, v8, -v4
	v_dual_fmac_f32 v221, v161, v18 :: v_dual_mul_f32 v226, v170, v103
	v_mul_f32_e32 v227, v172, v105
	v_add_f32_e32 v5, v5, v6
	v_fma_f32 v6, v152, v10, -v7
	v_dual_mul_f32 v228, v174, v107 :: v_dual_mul_f32 v229, v176, v109
	v_dual_mul_f32 v230, v178, v111 :: v_dual_mul_f32 v231, v180, v113
	s_delay_alu instid0(VALU_DEP_4) | instskip(SKIP_3) | instid1(VALU_DEP_4)
	v_add_f32_e32 v4, v5, v4
	v_dual_mul_f32 v232, v182, v115 :: v_dual_mul_f32 v233, v184, v117
	v_fmac_f32_e32 v218, v155, v12
	v_dual_mul_f32 v234, v186, v119 :: v_dual_mul_f32 v235, v188, v121
	v_dual_add_f32 v4, v4, v6 :: v_dual_add_f32 v1, 0, v1
	v_mul_f32_e32 v6, v159, v17
	v_fmac_f32_e32 v220, v159, v16
	v_dual_fmac_f32 v233, v185, v116 :: v_dual_mul_f32 v236, v190, v123
	v_mul_f32_e32 v237, v192, v125
	v_dual_add_f32 v1, v1, v2 :: v_dual_mul_f32 v2, v155, v13
	v_fma_f32 v6, v158, v16, -v6
	v_mul_f32_e32 v5, v157, v15
	v_dual_mul_f32 v238, v194, v127 :: v_dual_mul_f32 v239, v196, v129
	s_delay_alu instid0(VALU_DEP_4) | instskip(SKIP_1) | instid1(VALU_DEP_4)
	v_fma_f32 v2, v154, v12, -v2
	v_add_f32_e32 v1, v1, v216
	v_fma_f32 v5, v156, v14, -v5
	v_fmac_f32_e32 v222, v163, v20
	v_dual_mul_f32 v240, v198, v131 :: v_dual_mul_f32 v241, v200, v133
	v_add_f32_e32 v2, v4, v2
	v_fmac_f32_e32 v217, v153, v10
	v_mul_f32_e32 v4, v161, v19
	v_dual_fmac_f32 v239, v197, v128 :: v_dual_mul_f32 v242, v202, v135
	v_mul_f32_e32 v243, v204, v137
	v_add_f32_e32 v2, v2, v5
	v_add_f32_e32 v1, v1, v217
	v_mul_f32_e32 v5, v163, v21
	v_fma_f32 v4, v160, v18, -v4
	v_dual_fmac_f32 v241, v201, v132 :: v_dual_fmac_f32 v242, v203, v134
	v_add_f32_e32 v2, v2, v6
	v_fmac_f32_e32 v219, v157, v14
	v_add_f32_e32 v1, v1, v218
	v_mul_f32_e32 v6, v165, v23
	v_fma_f32 v5, v162, v20, -v5
	v_add_f32_e32 v2, v2, v4
	v_mul_f32_e32 v4, v167, v99
	v_add_f32_e32 v1, v1, v219
	v_fma_f32 v6, v164, v22, -v6
	v_fmac_f32_e32 v224, v167, v98
	v_add_f32_e32 v2, v2, v5
	v_mul_f32_e32 v5, v169, v101
	v_add_f32_e32 v1, v1, v220
	v_fma_f32 v4, v166, v98, -v4
	v_dual_fmac_f32 v243, v205, v136 :: v_dual_fmac_f32 v244, v207, v138
	v_add_f32_e32 v2, v2, v6
	s_delay_alu instid0(VALU_DEP_4) | instskip(SKIP_2) | instid1(VALU_DEP_4)
	v_dual_mul_f32 v6, v171, v103 :: v_dual_add_f32 v1, v1, v221
	v_fma_f32 v5, v168, v100, -v5
	v_dual_mul_f32 v245, v208, v141 :: v_dual_mul_f32 v246, v210, v143
	v_dual_add_f32 v2, v2, v4 :: v_dual_fmac_f32 v223, v165, v22
	v_mul_f32_e32 v4, v173, v105
	v_fma_f32 v6, v170, v102, -v6
	v_fmac_f32_e32 v226, v171, v102
	s_delay_alu instid0(VALU_DEP_4) | instskip(SKIP_3) | instid1(VALU_DEP_4)
	v_dual_add_f32 v2, v2, v5 :: v_dual_fmac_f32 v225, v169, v100
	v_mul_f32_e32 v5, v175, v107
	v_fma_f32 v4, v172, v104, -v4
	v_fmac_f32_e32 v228, v175, v106
	v_add_f32_e32 v2, v2, v6
	v_add_f32_e32 v1, v1, v222
	v_mul_f32_e32 v6, v177, v109
	v_fma_f32 v5, v174, v106, -v5
	v_dual_fmac_f32 v245, v209, v140 :: v_dual_fmac_f32 v246, v211, v142
	s_delay_alu instid0(VALU_DEP_4) | instskip(SKIP_2) | instid1(VALU_DEP_3)
	v_dual_add_f32 v2, v2, v4 :: v_dual_add_f32 v1, v1, v223
	v_dual_fmac_f32 v227, v173, v104 :: v_dual_mul_f32 v4, v179, v111
	v_fma_f32 v6, v176, v108, -v6
	v_dual_add_f32 v2, v2, v5 :: v_dual_add_f32 v1, v1, v224
	v_fmac_f32_e32 v229, v177, v108
	s_delay_alu instid0(VALU_DEP_4) | instskip(SKIP_1) | instid1(VALU_DEP_4)
	v_fma_f32 v4, v178, v110, -v4
	v_fmac_f32_e32 v230, v179, v110
	v_dual_add_f32 v2, v2, v6 :: v_dual_add_f32 v1, v1, v225
	v_dual_mul_f32 v5, v181, v113 :: v_dual_mul_f32 v6, v183, v115
	v_fmac_f32_e32 v232, v183, v114
	s_delay_alu instid0(VALU_DEP_3) | instskip(NEXT) | instid1(VALU_DEP_3)
	v_dual_add_f32 v2, v2, v4 :: v_dual_add_f32 v1, v1, v226
	v_fma_f32 v5, v180, v112, -v5
	v_fmac_f32_e32 v231, v181, v112
	v_mul_f32_e32 v4, v185, v117
	v_fma_f32 v6, v182, v114, -v6
	s_delay_alu instid0(VALU_DEP_4) | instskip(SKIP_1) | instid1(VALU_DEP_4)
	v_dual_add_f32 v1, v1, v227 :: v_dual_add_f32 v2, v2, v5
	v_mul_f32_e32 v5, v187, v119
	v_fma_f32 v4, v184, v116, -v4
	v_fmac_f32_e32 v247, v213, v144
	s_delay_alu instid0(VALU_DEP_4) | instskip(SKIP_3) | instid1(VALU_DEP_4)
	v_dual_add_f32 v1, v1, v228 :: v_dual_add_f32 v2, v2, v6
	v_mul_f32_e32 v6, v189, v121
	v_fmac_f32_e32 v234, v187, v118
	v_fma_f32 v5, v186, v118, -v5
	v_dual_add_f32 v1, v1, v229 :: v_dual_add_f32 v2, v2, v4
	v_mul_f32_e32 v4, v191, v123
	v_fma_f32 v6, v188, v120, -v6
	v_fmac_f32_e32 v236, v191, v122
	s_delay_alu instid0(VALU_DEP_4) | instskip(SKIP_2) | instid1(VALU_DEP_3)
	v_dual_add_f32 v1, v1, v230 :: v_dual_add_f32 v2, v2, v5
	v_fmac_f32_e32 v235, v189, v120
	v_fma_f32 v4, v190, v122, -v4
	v_dual_fmac_f32 v238, v195, v126 :: v_dual_add_f32 v1, v1, v231
	s_delay_alu instid0(VALU_DEP_4) | instskip(SKIP_1) | instid1(VALU_DEP_3)
	v_dual_add_f32 v2, v2, v6 :: v_dual_mul_f32 v5, v193, v125
	v_mul_f32_e32 v6, v195, v127
	v_dual_fmac_f32 v240, v199, v130 :: v_dual_add_f32 v1, v1, v232
	s_delay_alu instid0(VALU_DEP_3) | instskip(NEXT) | instid1(VALU_DEP_4)
	v_add_f32_e32 v2, v2, v4
	v_fma_f32 v5, v192, v124, -v5
	v_fmac_f32_e32 v237, v193, v124
	v_mul_f32_e32 v4, v197, v129
	v_add_f32_e32 v1, v1, v233
	v_fma_f32 v6, v194, v126, -v6
	v_dual_add_f32 v2, v2, v5 :: v_dual_mul_f32 v5, v199, v131
	s_delay_alu instid0(VALU_DEP_4) | instskip(NEXT) | instid1(VALU_DEP_4)
	v_fma_f32 v4, v196, v128, -v4
	v_add_f32_e32 v1, v1, v234
	s_delay_alu instid0(VALU_DEP_3) | instskip(SKIP_2) | instid1(VALU_DEP_3)
	v_add_f32_e32 v2, v2, v6
	v_mul_f32_e32 v6, v201, v133
	v_fma_f32 v5, v198, v130, -v5
	v_dual_add_f32 v1, v1, v235 :: v_dual_add_f32 v2, v2, v4
	v_mul_f32_e32 v4, v203, v135
	s_delay_alu instid0(VALU_DEP_4) | instskip(NEXT) | instid1(VALU_DEP_3)
	v_fma_f32 v6, v200, v132, -v6
	v_dual_add_f32 v1, v1, v236 :: v_dual_add_f32 v2, v2, v5
	v_mul_f32_e32 v5, v205, v137
	s_delay_alu instid0(VALU_DEP_4) | instskip(NEXT) | instid1(VALU_DEP_3)
	;; [unrolled: 4-line block ×5, first 2 shown]
	v_fma_f32 v4, v208, v140, -v4
	v_dual_add_f32 v1, v1, v240 :: v_dual_add_f32 v2, v2, v6
	s_delay_alu instid0(VALU_DEP_3) | instskip(SKIP_1) | instid1(VALU_DEP_3)
	v_fma_f32 v5, v210, v142, -v5
	v_mul_f32_e32 v6, v213, v145
	v_dual_add_f32 v1, v1, v241 :: v_dual_add_f32 v2, v2, v4
	s_delay_alu instid0(VALU_DEP_2) | instskip(NEXT) | instid1(VALU_DEP_2)
	v_fma_f32 v4, v212, v144, -v6
	v_dual_add_f32 v1, v1, v242 :: v_dual_add_f32 v2, v2, v5
	s_delay_alu instid0(VALU_DEP_1) | instskip(NEXT) | instid1(VALU_DEP_1)
	v_dual_add_f32 v1, v1, v243 :: v_dual_add_f32 v2, v2, v4
	v_add_f32_e32 v1, v1, v244
	s_delay_alu instid0(VALU_DEP_1) | instskip(NEXT) | instid1(VALU_DEP_1)
	v_add_f32_e32 v1, v1, v245
	v_add_f32_e32 v1, v1, v246
	s_wait_loadcnt 0x0
	s_delay_alu instid0(VALU_DEP_1) | instskip(NEXT) | instid1(VALU_DEP_1)
	v_dual_add_f32 v4, v1, v247 :: v_dual_sub_f32 v1, v214, v2
	v_sub_f32_e32 v2, v215, v4
	scratch_store_b64 off, v[1:2], off offset:16
	v_cmpx_lt_u32_e32 1, v0
	s_cbranch_execz .LBB36_233
; %bb.232:
	scratch_load_b64 v[1:2], off, off offset:8
	v_mov_b32_e32 v4, 0
	s_delay_alu instid0(VALU_DEP_1)
	v_mov_b32_e32 v5, v4
	scratch_store_b64 off, v[4:5], off offset:8
	s_wait_loadcnt 0x0
	ds_store_b64 v3, v[1:2]
.LBB36_233:
	s_wait_alu 0xfffe
	s_or_b32 exec_lo, exec_lo, s0
	s_wait_storecnt_dscnt 0x0
	s_barrier_signal -1
	s_barrier_wait -1
	global_inv scope:SCOPE_SE
	s_clause 0x12
	scratch_load_b128 v[4:7], off, off offset:16
	scratch_load_b128 v[8:11], off, off offset:32
	;; [unrolled: 1-line block ×17, first 2 shown]
	scratch_load_b64 v[1:2], off, off offset:288
	scratch_load_b64 v[215:216], off, off offset:8
	v_mov_b32_e32 v98, 0
	ds_load_b128 v[147:150], v98 offset:320
	ds_load_b128 v[151:154], v98 offset:336
	;; [unrolled: 1-line block ×17, first 2 shown]
	ds_load_b64 v[217:218], v98 offset:592
	s_mov_b32 s0, exec_lo
	s_wait_loadcnt_dscnt 0x1211
	v_dual_mul_f32 v219, v147, v5 :: v_dual_mul_f32 v220, v149, v7
	s_wait_loadcnt_dscnt 0x1110
	v_dual_mul_f32 v221, v151, v9 :: v_dual_mul_f32 v222, v153, v11
	s_wait_loadcnt_dscnt 0x100f
	v_mul_f32_e32 v223, v155, v13
	v_dual_fmac_f32 v219, v148, v4 :: v_dual_fmac_f32 v220, v150, v6
	s_wait_loadcnt_dscnt 0xf0e
	v_dual_mul_f32 v224, v157, v15 :: v_dual_mul_f32 v225, v159, v17
	v_dual_fmac_f32 v221, v152, v8 :: v_dual_mul_f32 v226, v161, v19
	s_wait_loadcnt_dscnt 0xe0d
	v_mul_f32_e32 v227, v163, v21
	v_mul_f32_e32 v5, v148, v5
	v_fmac_f32_e32 v223, v156, v12
	s_wait_loadcnt_dscnt 0x302
	v_dual_fmac_f32 v225, v160, v16 :: v_dual_mul_f32 v250, v209, v142
	v_fmac_f32_e32 v226, v162, v18
	s_wait_loadcnt_dscnt 0x100
	v_mul_f32_e32 v253, v217, v2
	v_fma_f32 v5, v147, v4, -v5
	v_mul_f32_e32 v4, v152, v9
	v_dual_mul_f32 v228, v165, v23 :: v_dual_mul_f32 v229, v167, v100
	v_dual_fmac_f32 v227, v164, v20 :: v_dual_mul_f32 v230, v169, v102
	v_mul_f32_e32 v231, v171, v104
	s_delay_alu instid0(VALU_DEP_4) | instskip(SKIP_4) | instid1(VALU_DEP_4)
	v_fma_f32 v4, v151, v8, -v4
	v_mul_f32_e32 v7, v150, v7
	v_fmac_f32_e32 v222, v154, v10
	v_dual_mul_f32 v232, v173, v106 :: v_dual_mul_f32 v233, v175, v108
	v_fmac_f32_e32 v229, v168, v99
	v_fma_f32 v6, v149, v6, -v7
	v_add_f32_e32 v7, 0, v219
	v_dual_add_f32 v5, 0, v5 :: v_dual_fmac_f32 v224, v158, v14
	v_dual_fmac_f32 v232, v174, v105 :: v_dual_fmac_f32 v231, v172, v103
	v_dual_mul_f32 v234, v177, v110 :: v_dual_mul_f32 v235, v179, v112
	s_delay_alu instid0(VALU_DEP_3) | instskip(SKIP_1) | instid1(VALU_DEP_3)
	v_dual_add_f32 v5, v5, v6 :: v_dual_add_f32 v6, v7, v220
	v_mul_f32_e32 v7, v156, v13
	v_dual_fmac_f32 v233, v176, v107 :: v_dual_fmac_f32 v234, v178, v109
	s_delay_alu instid0(VALU_DEP_3) | instskip(NEXT) | instid1(VALU_DEP_3)
	v_dual_add_f32 v4, v5, v4 :: v_dual_mul_f32 v9, v154, v11
	v_fma_f32 v7, v155, v12, -v7
	v_dual_mul_f32 v236, v181, v114 :: v_dual_mul_f32 v237, v183, v116
	v_fmac_f32_e32 v235, v180, v111
	s_delay_alu instid0(VALU_DEP_4) | instskip(SKIP_1) | instid1(VALU_DEP_4)
	v_fma_f32 v8, v153, v10, -v9
	v_dual_mul_f32 v238, v185, v118 :: v_dual_mul_f32 v239, v187, v120
	v_dual_fmac_f32 v236, v182, v113 :: v_dual_fmac_f32 v237, v184, v115
	s_delay_alu instid0(VALU_DEP_3) | instskip(SKIP_3) | instid1(VALU_DEP_4)
	v_dual_add_f32 v4, v4, v8 :: v_dual_add_f32 v5, v6, v221
	v_mul_f32_e32 v6, v158, v15
	v_mul_f32_e32 v8, v160, v17
	v_fmac_f32_e32 v238, v186, v117
	v_dual_add_f32 v4, v4, v7 :: v_dual_add_f32 v5, v5, v222
	s_delay_alu instid0(VALU_DEP_4) | instskip(SKIP_3) | instid1(VALU_DEP_4)
	v_fma_f32 v6, v157, v14, -v6
	v_mul_f32_e32 v7, v162, v19
	v_fma_f32 v8, v159, v16, -v8
	v_dual_mul_f32 v240, v189, v122 :: v_dual_mul_f32 v241, v191, v124
	v_add_f32_e32 v4, v4, v6
	v_dual_mul_f32 v6, v164, v21 :: v_dual_add_f32 v5, v5, v223
	v_fma_f32 v7, v161, v18, -v7
	v_fmac_f32_e32 v228, v166, v22
	s_delay_alu instid0(VALU_DEP_4) | instskip(NEXT) | instid1(VALU_DEP_4)
	v_add_f32_e32 v4, v4, v8
	v_dual_mul_f32 v8, v166, v23 :: v_dual_add_f32 v5, v5, v224
	v_fma_f32 v6, v163, v20, -v6
	v_fmac_f32_e32 v230, v170, v101
	s_delay_alu instid0(VALU_DEP_4) | instskip(NEXT) | instid1(VALU_DEP_4)
	v_add_f32_e32 v4, v4, v7
	v_fma_f32 v8, v165, v22, -v8
	v_add_f32_e32 v5, v5, v225
	v_dual_mul_f32 v7, v168, v100 :: v_dual_mul_f32 v242, v193, v126
	s_delay_alu instid0(VALU_DEP_4) | instskip(NEXT) | instid1(VALU_DEP_3)
	v_dual_mul_f32 v243, v195, v128 :: v_dual_add_f32 v4, v4, v6
	v_add_f32_e32 v5, v5, v226
	v_mul_f32_e32 v6, v170, v102
	s_delay_alu instid0(VALU_DEP_4) | instskip(SKIP_1) | instid1(VALU_DEP_4)
	v_fma_f32 v7, v167, v99, -v7
	v_dual_fmac_f32 v241, v192, v123 :: v_dual_fmac_f32 v242, v194, v125
	v_dual_add_f32 v4, v4, v8 :: v_dual_add_f32 v5, v5, v227
	s_delay_alu instid0(VALU_DEP_4) | instskip(SKIP_1) | instid1(VALU_DEP_3)
	v_fma_f32 v6, v169, v101, -v6
	v_dual_mul_f32 v244, v197, v130 :: v_dual_mul_f32 v245, v199, v132
	v_dual_add_f32 v4, v4, v7 :: v_dual_add_f32 v5, v5, v228
	v_dual_mul_f32 v8, v172, v104 :: v_dual_mul_f32 v7, v174, v106
	s_delay_alu instid0(VALU_DEP_3) | instskip(NEXT) | instid1(VALU_DEP_3)
	v_dual_fmac_f32 v243, v196, v127 :: v_dual_fmac_f32 v244, v198, v129
	v_add_f32_e32 v5, v5, v229
	s_delay_alu instid0(VALU_DEP_3) | instskip(SKIP_2) | instid1(VALU_DEP_4)
	v_fma_f32 v8, v171, v103, -v8
	v_dual_mul_f32 v246, v201, v134 :: v_dual_mul_f32 v247, v203, v136
	v_fmac_f32_e32 v245, v200, v131
	v_add_f32_e32 v5, v5, v230
	v_add_f32_e32 v4, v4, v6
	v_mul_f32_e32 v6, v176, v108
	v_fma_f32 v7, v173, v105, -v7
	v_dual_mul_f32 v248, v205, v138 :: v_dual_mul_f32 v249, v207, v140
	s_delay_alu instid0(VALU_DEP_4) | instskip(SKIP_3) | instid1(VALU_DEP_4)
	v_add_f32_e32 v4, v4, v8
	v_dual_mul_f32 v8, v178, v110 :: v_dual_add_f32 v5, v5, v231
	v_fma_f32 v6, v175, v107, -v6
	v_fmac_f32_e32 v246, v202, v133
	v_add_f32_e32 v4, v4, v7
	v_mul_f32_e32 v7, v180, v112
	v_add_f32_e32 v5, v5, v232
	v_fma_f32 v8, v177, v109, -v8
	v_dual_fmac_f32 v247, v204, v135 :: v_dual_fmac_f32 v248, v206, v137
	s_delay_alu instid0(VALU_DEP_3) | instskip(SKIP_3) | instid1(VALU_DEP_4)
	v_dual_add_f32 v4, v4, v6 :: v_dual_add_f32 v5, v5, v233
	v_mul_f32_e32 v6, v182, v114
	v_fma_f32 v7, v179, v111, -v7
	v_fmac_f32_e32 v239, v188, v119
	v_dual_add_f32 v4, v4, v8 :: v_dual_add_f32 v5, v5, v234
	v_mul_f32_e32 v8, v184, v116
	v_fma_f32 v6, v181, v113, -v6
	v_dual_fmac_f32 v249, v208, v139 :: v_dual_fmac_f32 v250, v210, v141
	s_delay_alu instid0(VALU_DEP_4) | instskip(SKIP_3) | instid1(VALU_DEP_3)
	v_dual_add_f32 v4, v4, v7 :: v_dual_mul_f32 v7, v186, v118
	v_add_f32_e32 v5, v5, v235
	v_fma_f32 v8, v183, v115, -v8
	v_dual_mul_f32 v251, v211, v144 :: v_dual_mul_f32 v252, v213, v146
	v_dual_add_f32 v4, v4, v6 :: v_dual_add_f32 v5, v5, v236
	v_mul_f32_e32 v6, v188, v120
	v_fma_f32 v7, v185, v117, -v7
	s_delay_alu instid0(VALU_DEP_4) | instskip(NEXT) | instid1(VALU_DEP_4)
	v_dual_fmac_f32 v251, v212, v143 :: v_dual_mul_f32 v2, v218, v2
	v_dual_add_f32 v5, v5, v237 :: v_dual_add_f32 v4, v4, v8
	v_mul_f32_e32 v8, v190, v122
	v_fma_f32 v6, v187, v119, -v6
	s_delay_alu instid0(VALU_DEP_3) | instskip(SKIP_1) | instid1(VALU_DEP_4)
	v_dual_fmac_f32 v252, v214, v145 :: v_dual_add_f32 v5, v5, v238
	v_fmac_f32_e32 v240, v190, v121
	v_fma_f32 v8, v189, v121, -v8
	v_fmac_f32_e32 v253, v218, v1
	v_fma_f32 v1, v217, v1, -v2
	v_add_f32_e32 v5, v5, v239
	v_add_f32_e32 v4, v4, v7
	v_mul_f32_e32 v7, v192, v124
	s_delay_alu instid0(VALU_DEP_2) | instskip(SKIP_1) | instid1(VALU_DEP_3)
	v_dual_add_f32 v5, v5, v240 :: v_dual_add_f32 v4, v4, v6
	v_mul_f32_e32 v6, v194, v126
	v_fma_f32 v7, v191, v123, -v7
	s_delay_alu instid0(VALU_DEP_3) | instskip(SKIP_1) | instid1(VALU_DEP_4)
	v_dual_add_f32 v5, v5, v241 :: v_dual_add_f32 v4, v4, v8
	v_mul_f32_e32 v8, v196, v128
	v_fma_f32 v6, v193, v125, -v6
	s_delay_alu instid0(VALU_DEP_3) | instskip(NEXT) | instid1(VALU_DEP_3)
	v_add_f32_e32 v5, v5, v242
	v_fma_f32 v8, v195, v127, -v8
	s_delay_alu instid0(VALU_DEP_2) | instskip(SKIP_1) | instid1(VALU_DEP_1)
	v_add_f32_e32 v5, v5, v243
	v_dual_add_f32 v4, v4, v7 :: v_dual_mul_f32 v7, v198, v130
	v_dual_add_f32 v5, v5, v244 :: v_dual_add_f32 v4, v4, v6
	s_delay_alu instid0(VALU_DEP_2) | instskip(NEXT) | instid1(VALU_DEP_2)
	v_fma_f32 v7, v197, v129, -v7
	v_dual_add_f32 v5, v5, v245 :: v_dual_mul_f32 v6, v200, v132
	s_delay_alu instid0(VALU_DEP_1) | instskip(SKIP_1) | instid1(VALU_DEP_3)
	v_dual_add_f32 v5, v5, v246 :: v_dual_add_f32 v4, v4, v8
	v_mul_f32_e32 v8, v202, v134
	v_fma_f32 v6, v199, v131, -v6
	s_delay_alu instid0(VALU_DEP_3) | instskip(NEXT) | instid1(VALU_DEP_4)
	v_add_f32_e32 v5, v5, v247
	v_add_f32_e32 v4, v4, v7
	v_mul_f32_e32 v7, v204, v136
	v_fma_f32 v8, v201, v133, -v8
	s_delay_alu instid0(VALU_DEP_3) | instskip(SKIP_1) | instid1(VALU_DEP_4)
	v_dual_add_f32 v5, v5, v248 :: v_dual_add_f32 v4, v4, v6
	v_mul_f32_e32 v6, v206, v138
	v_fma_f32 v7, v203, v135, -v7
	s_delay_alu instid0(VALU_DEP_3) | instskip(SKIP_1) | instid1(VALU_DEP_4)
	v_dual_add_f32 v5, v5, v249 :: v_dual_add_f32 v4, v4, v8
	;; [unrolled: 4-line block ×4, first 2 shown]
	v_mul_f32_e32 v6, v212, v144
	v_fma_f32 v7, v209, v141, -v7
	s_delay_alu instid0(VALU_DEP_3) | instskip(SKIP_1) | instid1(VALU_DEP_4)
	v_add_f32_e32 v4, v4, v8
	v_mul_f32_e32 v8, v214, v146
	v_fma_f32 v6, v211, v143, -v6
	s_delay_alu instid0(VALU_DEP_3) | instskip(NEXT) | instid1(VALU_DEP_3)
	v_add_f32_e32 v4, v4, v7
	v_fma_f32 v7, v213, v145, -v8
	s_delay_alu instid0(VALU_DEP_2) | instskip(NEXT) | instid1(VALU_DEP_1)
	v_add_f32_e32 v4, v4, v6
	v_add_f32_e32 v2, v4, v7
	s_delay_alu instid0(VALU_DEP_1) | instskip(NEXT) | instid1(VALU_DEP_1)
	v_dual_add_f32 v4, v5, v252 :: v_dual_add_f32 v1, v2, v1
	v_add_f32_e32 v2, v4, v253
	s_wait_loadcnt 0x0
	s_delay_alu instid0(VALU_DEP_1)
	v_dual_sub_f32 v1, v215, v1 :: v_dual_sub_f32 v2, v216, v2
	scratch_store_b64 off, v[1:2], off offset:8
	v_cmpx_ne_u32_e32 0, v0
	s_cbranch_execz .LBB36_235
; %bb.234:
	scratch_load_b64 v[0:1], off, off
	v_mov_b32_e32 v99, v98
	scratch_store_b64 off, v[98:99], off
	s_wait_loadcnt 0x0
	ds_store_b64 v3, v[0:1]
.LBB36_235:
	s_wait_alu 0xfffe
	s_or_b32 exec_lo, exec_lo, s0
	s_wait_storecnt_dscnt 0x0
	s_barrier_signal -1
	s_barrier_wait -1
	global_inv scope:SCOPE_SE
	s_clause 0x6
	scratch_load_b128 v[0:3], off, off offset:8
	scratch_load_b128 v[4:7], off, off offset:24
	;; [unrolled: 1-line block ×7, first 2 shown]
	ds_load_2addr_b64 v[103:106], v98 offset0:39 offset1:40
	ds_load_2addr_b64 v[107:110], v98 offset0:41 offset1:42
	scratch_load_b64 v[111:112], off, off
	s_and_b32 vcc_lo, exec_lo, s18
	s_wait_loadcnt_dscnt 0x701
	v_mul_f32_e32 v113, v104, v1
	v_dual_mul_f32 v114, v103, v1 :: v_dual_mul_f32 v115, v105, v3
	s_delay_alu instid0(VALU_DEP_1) | instskip(NEXT) | instid1(VALU_DEP_2)
	v_dual_mul_f32 v1, v106, v3 :: v_dual_fmac_f32 v114, v104, v0
	v_fmac_f32_e32 v115, v106, v2
	s_delay_alu instid0(VALU_DEP_2)
	v_fma_f32 v104, v105, v2, -v1
	s_wait_loadcnt_dscnt 0x600
	v_mul_f32_e32 v106, v109, v7
	v_fma_f32 v103, v103, v0, -v113
	ds_load_2addr_b64 v[0:3], v98 offset0:43 offset1:44
	v_mul_f32_e32 v105, v107, v5
	v_mul_f32_e32 v5, v108, v5
	;; [unrolled: 1-line block ×3, first 2 shown]
	s_delay_alu instid0(VALU_DEP_3) | instskip(NEXT) | instid1(VALU_DEP_3)
	v_dual_fmac_f32 v106, v110, v6 :: v_dual_fmac_f32 v105, v108, v4
	v_fma_f32 v107, v107, v4, -v5
	s_delay_alu instid0(VALU_DEP_3)
	v_fma_f32 v108, v109, v6, -v7
	ds_load_2addr_b64 v[4:7], v98 offset0:45 offset1:46
	s_wait_loadcnt_dscnt 0x501
	v_mul_f32_e32 v109, v0, v9
	v_dual_mul_f32 v9, v1, v9 :: v_dual_mul_f32 v110, v2, v11
	v_mul_f32_e32 v11, v3, v11
	s_delay_alu instid0(VALU_DEP_3) | instskip(NEXT) | instid1(VALU_DEP_3)
	v_fmac_f32_e32 v109, v1, v8
	v_fma_f32 v113, v0, v8, -v9
	s_delay_alu instid0(VALU_DEP_4) | instskip(NEXT) | instid1(VALU_DEP_4)
	v_fmac_f32_e32 v110, v3, v10
	v_fma_f32 v116, v2, v10, -v11
	ds_load_2addr_b64 v[0:3], v98 offset0:47 offset1:48
	s_wait_loadcnt_dscnt 0x401
	v_mul_f32_e32 v117, v4, v13
	v_dual_mul_f32 v8, v5, v13 :: v_dual_mul_f32 v13, v6, v15
	v_mul_f32_e32 v9, v7, v15
	s_delay_alu instid0(VALU_DEP_3) | instskip(NEXT) | instid1(VALU_DEP_3)
	v_fmac_f32_e32 v117, v5, v12
	v_fma_f32 v12, v4, v12, -v8
	s_delay_alu instid0(VALU_DEP_4) | instskip(NEXT) | instid1(VALU_DEP_4)
	v_fmac_f32_e32 v13, v7, v14
	;; [unrolled: 11-line block ×4, first 2 shown]
	v_fma_f32 v22, v6, v22, -v9
	ds_load_2addr_b64 v[4:7], v98 offset0:53 offset1:54
	s_wait_loadcnt_dscnt 0x101
	v_mul_f32_e32 v23, v0, v100
	v_mul_f32_e32 v8, v1, v100
	;; [unrolled: 1-line block ×4, first 2 shown]
	s_delay_alu instid0(VALU_DEP_4) | instskip(NEXT) | instid1(VALU_DEP_4)
	v_fmac_f32_e32 v23, v1, v99
	v_fma_f32 v99, v0, v99, -v8
	s_delay_alu instid0(VALU_DEP_4) | instskip(NEXT) | instid1(VALU_DEP_4)
	v_fmac_f32_e32 v100, v3, v101
	v_fma_f32 v101, v2, v101, -v9
	s_clause 0x1
	scratch_load_b128 v[0:3], off, off offset:120
	scratch_load_b128 v[8:11], off, off offset:136
	s_wait_loadcnt_dscnt 0x100
	v_mul_f32_e32 v102, v4, v1
	v_mul_f32_e32 v1, v5, v1
	s_delay_alu instid0(VALU_DEP_2) | instskip(NEXT) | instid1(VALU_DEP_2)
	v_dual_mul_f32 v119, v6, v3 :: v_dual_fmac_f32 v102, v5, v0
	v_fma_f32 v118, v4, v0, -v1
	v_mul_f32_e32 v0, v7, v3
	s_delay_alu instid0(VALU_DEP_3) | instskip(NEXT) | instid1(VALU_DEP_2)
	v_fmac_f32_e32 v119, v7, v2
	v_fma_f32 v120, v6, v2, -v0
	ds_load_2addr_b64 v[0:3], v98 offset0:55 offset1:56
	ds_load_2addr_b64 v[4:7], v98 offset0:57 offset1:58
	s_wait_loadcnt_dscnt 0x1
	v_mul_f32_e32 v121, v0, v9
	v_mul_f32_e32 v123, v2, v11
	s_delay_alu instid0(VALU_DEP_2) | instskip(SKIP_1) | instid1(VALU_DEP_3)
	v_fmac_f32_e32 v121, v1, v8
	v_mul_f32_e32 v1, v1, v9
	v_fmac_f32_e32 v123, v3, v10
	s_delay_alu instid0(VALU_DEP_2) | instskip(SKIP_1) | instid1(VALU_DEP_1)
	v_fma_f32 v122, v0, v8, -v1
	v_mul_f32_e32 v0, v3, v11
	v_fma_f32 v124, v2, v10, -v0
	s_clause 0x1
	scratch_load_b128 v[0:3], off, off offset:152
	scratch_load_b128 v[8:11], off, off offset:168
	s_wait_loadcnt_dscnt 0x100
	v_mul_f32_e32 v125, v4, v1
	s_delay_alu instid0(VALU_DEP_1) | instskip(SKIP_1) | instid1(VALU_DEP_1)
	v_fmac_f32_e32 v125, v5, v0
	v_mul_f32_e32 v127, v6, v3
	v_fmac_f32_e32 v127, v7, v2
	v_mul_f32_e32 v1, v5, v1
	s_delay_alu instid0(VALU_DEP_1) | instskip(SKIP_1) | instid1(VALU_DEP_1)
	v_fma_f32 v126, v4, v0, -v1
	v_mul_f32_e32 v0, v7, v3
	v_fma_f32 v128, v6, v2, -v0
	ds_load_2addr_b64 v[0:3], v98 offset0:59 offset1:60
	ds_load_2addr_b64 v[4:7], v98 offset0:61 offset1:62
	s_wait_loadcnt_dscnt 0x1
	v_mul_f32_e32 v129, v0, v9
	s_delay_alu instid0(VALU_DEP_1) | instskip(SKIP_2) | instid1(VALU_DEP_2)
	v_fmac_f32_e32 v129, v1, v8
	v_mul_f32_e32 v1, v1, v9
	v_mul_f32_e32 v131, v2, v11
	v_fma_f32 v130, v0, v8, -v1
	v_mul_f32_e32 v0, v3, v11
	s_delay_alu instid0(VALU_DEP_3) | instskip(NEXT) | instid1(VALU_DEP_2)
	v_fmac_f32_e32 v131, v3, v10
	v_fma_f32 v132, v2, v10, -v0
	s_clause 0x1
	scratch_load_b128 v[0:3], off, off offset:184
	scratch_load_b128 v[8:11], off, off offset:200
	s_wait_loadcnt_dscnt 0x100
	v_mul_f32_e32 v135, v6, v3
	s_delay_alu instid0(VALU_DEP_1) | instskip(SKIP_2) | instid1(VALU_DEP_2)
	v_fmac_f32_e32 v135, v7, v2
	v_mul_f32_e32 v133, v4, v1
	v_mul_f32_e32 v1, v5, v1
	v_fmac_f32_e32 v133, v5, v0
	s_delay_alu instid0(VALU_DEP_2) | instskip(SKIP_1) | instid1(VALU_DEP_1)
	v_fma_f32 v134, v4, v0, -v1
	v_dual_mul_f32 v0, v7, v3 :: v_dual_add_f32 v1, 0, v114
	v_fma_f32 v136, v6, v2, -v0
	v_add_f32_e32 v0, 0, v103
	s_delay_alu instid0(VALU_DEP_1) | instskip(NEXT) | instid1(VALU_DEP_1)
	v_dual_add_f32 v1, v1, v115 :: v_dual_add_f32 v0, v0, v104
	v_dual_add_f32 v1, v1, v105 :: v_dual_add_f32 v0, v0, v107
	s_delay_alu instid0(VALU_DEP_1) | instskip(NEXT) | instid1(VALU_DEP_1)
	v_dual_add_f32 v1, v1, v106 :: v_dual_add_f32 v0, v0, v108
	v_add_f32_e32 v1, v1, v109
	s_delay_alu instid0(VALU_DEP_1) | instskip(NEXT) | instid1(VALU_DEP_1)
	v_dual_add_f32 v0, v0, v113 :: v_dual_add_f32 v1, v1, v110
	v_dual_add_f32 v0, v0, v116 :: v_dual_add_f32 v1, v1, v117
	s_delay_alu instid0(VALU_DEP_1) | instskip(NEXT) | instid1(VALU_DEP_1)
	v_dual_add_f32 v0, v0, v12 :: v_dual_add_f32 v1, v1, v13
	v_dual_add_f32 v0, v0, v14 :: v_dual_add_f32 v1, v1, v15
	;; [unrolled: 3-line block ×3, first 2 shown]
	ds_load_2addr_b64 v[0:3], v98 offset0:63 offset1:64
	v_dual_add_f32 v12, v4, v20 :: v_dual_add_f32 v13, v13, v21
	scratch_load_b128 v[4:7], off, off offset:216
	v_add_f32_e32 v12, v12, v22
	v_add_f32_e32 v16, v13, v23
	s_delay_alu instid0(VALU_DEP_2) | instskip(NEXT) | instid1(VALU_DEP_2)
	v_add_f32_e32 v12, v12, v99
	v_add_f32_e32 v16, v16, v100
	s_delay_alu instid0(VALU_DEP_2) | instskip(NEXT) | instid1(VALU_DEP_2)
	v_add_f32_e32 v17, v12, v101
	v_add_f32_e32 v16, v16, v102
	ds_load_2addr_b64 v[12:15], v98 offset0:65 offset1:66
	s_wait_loadcnt_dscnt 0x101
	v_dual_mul_f32 v108, v2, v11 :: v_dual_add_f32 v17, v17, v118
	v_add_f32_e32 v16, v16, v119
	s_delay_alu instid0(VALU_DEP_2) | instskip(NEXT) | instid1(VALU_DEP_1)
	v_dual_fmac_f32 v108, v3, v10 :: v_dual_add_f32 v17, v17, v120
	v_dual_add_f32 v16, v16, v121 :: v_dual_add_f32 v17, v17, v122
	s_delay_alu instid0(VALU_DEP_1) | instskip(NEXT) | instid1(VALU_DEP_1)
	v_dual_add_f32 v21, v16, v123 :: v_dual_add_f32 v20, v17, v124
	v_add_f32_e32 v100, v21, v125
	scratch_load_b128 v[16:19], off, off offset:264
	v_add_f32_e32 v99, v20, v126
	scratch_load_b128 v[20:23], off, off offset:280
	v_mul_f32_e32 v107, v0, v9
	v_mul_f32_e32 v9, v1, v9
	;; [unrolled: 1-line block ×3, first 2 shown]
	v_add_f32_e32 v99, v99, v128
	s_delay_alu instid0(VALU_DEP_4) | instskip(NEXT) | instid1(VALU_DEP_4)
	v_fmac_f32_e32 v107, v1, v8
	v_fma_f32 v103, v0, v8, -v9
	s_delay_alu instid0(VALU_DEP_4)
	v_fma_f32 v109, v2, v10, -v11
	s_clause 0x1
	scratch_load_b128 v[0:3], off, off offset:232
	scratch_load_b128 v[8:11], off, off offset:248
	s_wait_loadcnt_dscnt 0x400
	v_dual_add_f32 v99, v99, v130 :: v_dual_mul_f32 v110, v12, v5
	v_dual_add_f32 v100, v100, v127 :: v_dual_mul_f32 v5, v13, v5
	v_mul_f32_e32 v113, v14, v7
	s_delay_alu instid0(VALU_DEP_3) | instskip(NEXT) | instid1(VALU_DEP_3)
	v_dual_mul_f32 v7, v15, v7 :: v_dual_fmac_f32 v110, v13, v4
	v_add_f32_e32 v100, v100, v129
	s_delay_alu instid0(VALU_DEP_4)
	v_fma_f32 v114, v12, v4, -v5
	v_add_f32_e32 v12, v99, v132
	v_fmac_f32_e32 v113, v15, v6
	v_fma_f32 v115, v14, v6, -v7
	v_add_f32_e32 v99, v100, v131
	ds_load_2addr_b64 v[4:7], v98 offset0:67 offset1:68
	v_add_f32_e32 v100, v12, v134
	ds_load_2addr_b64 v[12:15], v98 offset0:69 offset1:70
	v_dual_add_f32 v99, v99, v133 :: v_dual_add_f32 v104, v100, v136
	s_delay_alu instid0(VALU_DEP_1) | instskip(SKIP_4) | instid1(VALU_DEP_1)
	v_add_f32_e32 v116, v99, v135
	ds_load_2addr_b64 v[99:102], v98 offset0:71 offset1:72
	v_add_f32_e32 v117, v104, v103
	ds_load_2addr_b64 v[103:106], v98 offset0:73 offset1:74
	v_dual_add_f32 v98, v116, v107 :: v_dual_add_f32 v109, v117, v109
	v_add_f32_e32 v98, v98, v108
	s_delay_alu instid0(VALU_DEP_2) | instskip(SKIP_1) | instid1(VALU_DEP_2)
	v_add_f32_e32 v108, v109, v114
	s_wait_loadcnt_dscnt 0x103
	v_dual_add_f32 v98, v98, v110 :: v_dual_mul_f32 v107, v4, v1
	v_dual_mul_f32 v1, v5, v1 :: v_dual_mul_f32 v116, v6, v3
	v_mul_f32_e32 v3, v7, v3
	s_wait_loadcnt_dscnt 0x2
	v_mul_f32_e32 v109, v12, v9
	v_fmac_f32_e32 v107, v5, v0
	v_fma_f32 v0, v4, v0, -v1
	v_dual_add_f32 v4, v108, v115 :: v_dual_add_f32 v5, v98, v113
	v_fmac_f32_e32 v116, v7, v2
	v_fma_f32 v1, v6, v2, -v3
	s_delay_alu instid0(VALU_DEP_3) | instskip(NEXT) | instid1(VALU_DEP_4)
	v_dual_mul_f32 v7, v13, v9 :: v_dual_add_f32 v0, v4, v0
	v_add_f32_e32 v4, v5, v107
	v_mul_f32_e32 v110, v14, v11
	v_mul_f32_e32 v5, v15, v11
	v_fmac_f32_e32 v109, v13, v8
	v_fma_f32 v7, v12, v8, -v7
	v_add_f32_e32 v0, v0, v1
	s_wait_dscnt 0x1
	v_dual_add_f32 v1, v4, v116 :: v_dual_mul_f32 v2, v99, v17
	v_mul_f32_e32 v4, v100, v17
	v_fmac_f32_e32 v110, v15, v10
	v_fma_f32 v5, v14, v10, -v5
	s_delay_alu instid0(VALU_DEP_4) | instskip(SKIP_3) | instid1(VALU_DEP_4)
	v_dual_add_f32 v0, v0, v7 :: v_dual_add_f32 v1, v1, v109
	v_mul_f32_e32 v3, v101, v19
	v_dual_mul_f32 v7, v102, v19 :: v_dual_fmac_f32 v2, v100, v16
	v_fma_f32 v4, v99, v16, -v4
	v_dual_add_f32 v0, v0, v5 :: v_dual_add_f32 v1, v1, v110
	s_wait_dscnt 0x0
	v_mul_f32_e32 v6, v103, v21
	v_mul_f32_e32 v5, v104, v21
	v_fmac_f32_e32 v3, v102, v18
	v_fma_f32 v7, v101, v18, -v7
	v_dual_add_f32 v0, v0, v4 :: v_dual_add_f32 v1, v1, v2
	v_mul_f32_e32 v9, v105, v23
	v_mul_f32_e32 v2, v106, v23
	v_fmac_f32_e32 v6, v104, v20
	v_fma_f32 v4, v103, v20, -v5
	v_add_f32_e32 v0, v0, v7
	v_add_f32_e32 v1, v1, v3
	v_fmac_f32_e32 v9, v106, v22
	v_fma_f32 v2, v105, v22, -v2
	s_delay_alu instid0(VALU_DEP_3) | instskip(NEXT) | instid1(VALU_DEP_1)
	v_dual_add_f32 v0, v0, v4 :: v_dual_add_f32 v1, v1, v6
	v_dual_add_f32 v0, v0, v2 :: v_dual_add_f32 v1, v1, v9
	s_delay_alu instid0(VALU_DEP_1)
	v_dual_sub_f32 v0, v111, v0 :: v_dual_sub_f32 v1, v112, v1
	scratch_store_b64 off, v[0:1], off
	s_wait_alu 0xfffe
	s_cbranch_vccz .LBB36_308
; %bb.236:
	v_mov_b32_e32 v0, 0
	global_load_b32 v1, v0, s[2:3] offset:140
	s_wait_loadcnt 0x0
	v_cmp_ne_u32_e32 vcc_lo, 36, v1
	s_cbranch_vccz .LBB36_238
; %bb.237:
	v_lshlrev_b32_e32 v1, 3, v1
	s_delay_alu instid0(VALU_DEP_1)
	v_mov_b32_e32 v5, v1
	scratch_load_b64 v[1:2], v5, off offset:-8
	scratch_load_b64 v[3:4], off, off offset:280
	s_wait_loadcnt 0x1
	scratch_store_b64 off, v[1:2], off offset:280
	s_wait_loadcnt 0x0
	scratch_store_b64 v5, v[3:4], off offset:-8
.LBB36_238:
	global_load_b32 v0, v0, s[2:3] offset:136
	s_wait_loadcnt 0x0
	v_cmp_eq_u32_e32 vcc_lo, 35, v0
	s_cbranch_vccnz .LBB36_240
; %bb.239:
	v_lshlrev_b32_e32 v0, 3, v0
	s_delay_alu instid0(VALU_DEP_1)
	v_mov_b32_e32 v4, v0
	scratch_load_b64 v[0:1], v4, off offset:-8
	scratch_load_b64 v[2:3], off, off offset:272
	s_wait_loadcnt 0x1
	scratch_store_b64 off, v[0:1], off offset:272
	s_wait_loadcnt 0x0
	scratch_store_b64 v4, v[2:3], off offset:-8
.LBB36_240:
	v_mov_b32_e32 v0, 0
	global_load_b32 v1, v0, s[2:3] offset:132
	s_wait_loadcnt 0x0
	v_cmp_eq_u32_e32 vcc_lo, 34, v1
	s_cbranch_vccnz .LBB36_242
; %bb.241:
	v_lshlrev_b32_e32 v1, 3, v1
	s_delay_alu instid0(VALU_DEP_1)
	v_mov_b32_e32 v5, v1
	scratch_load_b64 v[1:2], v5, off offset:-8
	scratch_load_b64 v[3:4], off, off offset:264
	s_wait_loadcnt 0x1
	scratch_store_b64 off, v[1:2], off offset:264
	s_wait_loadcnt 0x0
	scratch_store_b64 v5, v[3:4], off offset:-8
.LBB36_242:
	global_load_b32 v0, v0, s[2:3] offset:128
	s_wait_loadcnt 0x0
	v_cmp_eq_u32_e32 vcc_lo, 33, v0
	s_cbranch_vccnz .LBB36_244
; %bb.243:
	v_lshlrev_b32_e32 v0, 3, v0
	s_delay_alu instid0(VALU_DEP_1)
	v_mov_b32_e32 v4, v0
	scratch_load_b64 v[0:1], v4, off offset:-8
	scratch_load_b64 v[2:3], off, off offset:256
	s_wait_loadcnt 0x1
	scratch_store_b64 off, v[0:1], off offset:256
	s_wait_loadcnt 0x0
	scratch_store_b64 v4, v[2:3], off offset:-8
.LBB36_244:
	v_mov_b32_e32 v0, 0
	global_load_b32 v1, v0, s[2:3] offset:124
	s_wait_loadcnt 0x0
	v_cmp_eq_u32_e32 vcc_lo, 32, v1
	s_cbranch_vccnz .LBB36_246
; %bb.245:
	v_lshlrev_b32_e32 v1, 3, v1
	s_delay_alu instid0(VALU_DEP_1)
	v_mov_b32_e32 v5, v1
	scratch_load_b64 v[1:2], v5, off offset:-8
	scratch_load_b64 v[3:4], off, off offset:248
	s_wait_loadcnt 0x1
	scratch_store_b64 off, v[1:2], off offset:248
	s_wait_loadcnt 0x0
	scratch_store_b64 v5, v[3:4], off offset:-8
.LBB36_246:
	;; [unrolled: 31-line block ×17, first 2 shown]
	global_load_b32 v0, v0, s[2:3]
	s_wait_loadcnt 0x0
	v_cmp_eq_u32_e32 vcc_lo, 1, v0
	s_cbranch_vccnz .LBB36_308
; %bb.307:
	v_lshlrev_b32_e32 v0, 3, v0
	s_delay_alu instid0(VALU_DEP_1)
	v_mov_b32_e32 v4, v0
	scratch_load_b64 v[0:1], v4, off offset:-8
	scratch_load_b64 v[2:3], off, off
	s_wait_loadcnt 0x1
	scratch_store_b64 off, v[0:1], off
	s_wait_loadcnt 0x0
	scratch_store_b64 v4, v[2:3], off offset:-8
.LBB36_308:
	s_clause 0x12
	scratch_load_b128 v[0:3], off, off
	scratch_load_b128 v[4:7], off, off offset:16
	scratch_load_b128 v[8:11], off, off offset:32
	scratch_load_b128 v[12:15], off, off offset:48
	scratch_load_b128 v[16:19], off, off offset:64
	scratch_load_b128 v[20:23], off, off offset:80
	scratch_load_b128 v[98:101], off, off offset:96
	scratch_load_b128 v[102:105], off, off offset:112
	scratch_load_b128 v[106:109], off, off offset:128
	scratch_load_b128 v[110:113], off, off offset:144
	scratch_load_b128 v[114:117], off, off offset:160
	scratch_load_b128 v[118:121], off, off offset:176
	scratch_load_b128 v[122:125], off, off offset:192
	scratch_load_b128 v[126:129], off, off offset:208
	scratch_load_b128 v[130:133], off, off offset:224
	scratch_load_b128 v[134:137], off, off offset:240
	scratch_load_b128 v[138:141], off, off offset:256
	scratch_load_b128 v[142:145], off, off offset:272
	scratch_load_b64 v[146:147], off, off offset:288
	s_wait_loadcnt 0x12
	s_clause 0x1
	global_store_b64 v[24:25], v[0:1], off
	global_store_b64 v[26:27], v[2:3], off
	s_wait_loadcnt 0x11
	s_clause 0x1
	global_store_b64 v[28:29], v[4:5], off
	global_store_b64 v[30:31], v[6:7], off
	;; [unrolled: 4-line block ×18, first 2 shown]
	s_wait_loadcnt 0x0
	global_store_b64 v[96:97], v[146:147], off
	s_nop 0
	s_sendmsg sendmsg(MSG_DEALLOC_VGPRS)
	s_endpgm
	.section	.rodata,"a",@progbits
	.p2align	6, 0x0
	.amdhsa_kernel _ZN9rocsolver6v33100L18getri_kernel_smallILi37E19rocblas_complex_numIfEPS3_EEvT1_iilPiilS6_bb
		.amdhsa_group_segment_fixed_size 600
		.amdhsa_private_segment_fixed_size 304
		.amdhsa_kernarg_size 60
		.amdhsa_user_sgpr_count 2
		.amdhsa_user_sgpr_dispatch_ptr 0
		.amdhsa_user_sgpr_queue_ptr 0
		.amdhsa_user_sgpr_kernarg_segment_ptr 1
		.amdhsa_user_sgpr_dispatch_id 0
		.amdhsa_user_sgpr_private_segment_size 0
		.amdhsa_wavefront_size32 1
		.amdhsa_uses_dynamic_stack 0
		.amdhsa_enable_private_segment 1
		.amdhsa_system_sgpr_workgroup_id_x 1
		.amdhsa_system_sgpr_workgroup_id_y 0
		.amdhsa_system_sgpr_workgroup_id_z 0
		.amdhsa_system_sgpr_workgroup_info 0
		.amdhsa_system_vgpr_workitem_id 0
		.amdhsa_next_free_vgpr 254
		.amdhsa_next_free_sgpr 19
		.amdhsa_reserve_vcc 1
		.amdhsa_float_round_mode_32 0
		.amdhsa_float_round_mode_16_64 0
		.amdhsa_float_denorm_mode_32 3
		.amdhsa_float_denorm_mode_16_64 3
		.amdhsa_fp16_overflow 0
		.amdhsa_workgroup_processor_mode 1
		.amdhsa_memory_ordered 1
		.amdhsa_forward_progress 1
		.amdhsa_inst_pref_size 255
		.amdhsa_round_robin_scheduling 0
		.amdhsa_exception_fp_ieee_invalid_op 0
		.amdhsa_exception_fp_denorm_src 0
		.amdhsa_exception_fp_ieee_div_zero 0
		.amdhsa_exception_fp_ieee_overflow 0
		.amdhsa_exception_fp_ieee_underflow 0
		.amdhsa_exception_fp_ieee_inexact 0
		.amdhsa_exception_int_div_zero 0
	.end_amdhsa_kernel
	.section	.text._ZN9rocsolver6v33100L18getri_kernel_smallILi37E19rocblas_complex_numIfEPS3_EEvT1_iilPiilS6_bb,"axG",@progbits,_ZN9rocsolver6v33100L18getri_kernel_smallILi37E19rocblas_complex_numIfEPS3_EEvT1_iilPiilS6_bb,comdat
.Lfunc_end36:
	.size	_ZN9rocsolver6v33100L18getri_kernel_smallILi37E19rocblas_complex_numIfEPS3_EEvT1_iilPiilS6_bb, .Lfunc_end36-_ZN9rocsolver6v33100L18getri_kernel_smallILi37E19rocblas_complex_numIfEPS3_EEvT1_iilPiilS6_bb
                                        ; -- End function
	.set _ZN9rocsolver6v33100L18getri_kernel_smallILi37E19rocblas_complex_numIfEPS3_EEvT1_iilPiilS6_bb.num_vgpr, 254
	.set _ZN9rocsolver6v33100L18getri_kernel_smallILi37E19rocblas_complex_numIfEPS3_EEvT1_iilPiilS6_bb.num_agpr, 0
	.set _ZN9rocsolver6v33100L18getri_kernel_smallILi37E19rocblas_complex_numIfEPS3_EEvT1_iilPiilS6_bb.numbered_sgpr, 19
	.set _ZN9rocsolver6v33100L18getri_kernel_smallILi37E19rocblas_complex_numIfEPS3_EEvT1_iilPiilS6_bb.num_named_barrier, 0
	.set _ZN9rocsolver6v33100L18getri_kernel_smallILi37E19rocblas_complex_numIfEPS3_EEvT1_iilPiilS6_bb.private_seg_size, 304
	.set _ZN9rocsolver6v33100L18getri_kernel_smallILi37E19rocblas_complex_numIfEPS3_EEvT1_iilPiilS6_bb.uses_vcc, 1
	.set _ZN9rocsolver6v33100L18getri_kernel_smallILi37E19rocblas_complex_numIfEPS3_EEvT1_iilPiilS6_bb.uses_flat_scratch, 1
	.set _ZN9rocsolver6v33100L18getri_kernel_smallILi37E19rocblas_complex_numIfEPS3_EEvT1_iilPiilS6_bb.has_dyn_sized_stack, 0
	.set _ZN9rocsolver6v33100L18getri_kernel_smallILi37E19rocblas_complex_numIfEPS3_EEvT1_iilPiilS6_bb.has_recursion, 0
	.set _ZN9rocsolver6v33100L18getri_kernel_smallILi37E19rocblas_complex_numIfEPS3_EEvT1_iilPiilS6_bb.has_indirect_call, 0
	.section	.AMDGPU.csdata,"",@progbits
; Kernel info:
; codeLenInByte = 50704
; TotalNumSgprs: 21
; NumVgprs: 254
; ScratchSize: 304
; MemoryBound: 0
; FloatMode: 240
; IeeeMode: 1
; LDSByteSize: 600 bytes/workgroup (compile time only)
; SGPRBlocks: 0
; VGPRBlocks: 31
; NumSGPRsForWavesPerEU: 21
; NumVGPRsForWavesPerEU: 254
; Occupancy: 5
; WaveLimiterHint : 1
; COMPUTE_PGM_RSRC2:SCRATCH_EN: 1
; COMPUTE_PGM_RSRC2:USER_SGPR: 2
; COMPUTE_PGM_RSRC2:TRAP_HANDLER: 0
; COMPUTE_PGM_RSRC2:TGID_X_EN: 1
; COMPUTE_PGM_RSRC2:TGID_Y_EN: 0
; COMPUTE_PGM_RSRC2:TGID_Z_EN: 0
; COMPUTE_PGM_RSRC2:TIDIG_COMP_CNT: 0
	.section	.text._ZN9rocsolver6v33100L18getri_kernel_smallILi38E19rocblas_complex_numIfEPS3_EEvT1_iilPiilS6_bb,"axG",@progbits,_ZN9rocsolver6v33100L18getri_kernel_smallILi38E19rocblas_complex_numIfEPS3_EEvT1_iilPiilS6_bb,comdat
	.globl	_ZN9rocsolver6v33100L18getri_kernel_smallILi38E19rocblas_complex_numIfEPS3_EEvT1_iilPiilS6_bb ; -- Begin function _ZN9rocsolver6v33100L18getri_kernel_smallILi38E19rocblas_complex_numIfEPS3_EEvT1_iilPiilS6_bb
	.p2align	8
	.type	_ZN9rocsolver6v33100L18getri_kernel_smallILi38E19rocblas_complex_numIfEPS3_EEvT1_iilPiilS6_bb,@function
_ZN9rocsolver6v33100L18getri_kernel_smallILi38E19rocblas_complex_numIfEPS3_EEvT1_iilPiilS6_bb: ; @_ZN9rocsolver6v33100L18getri_kernel_smallILi38E19rocblas_complex_numIfEPS3_EEvT1_iilPiilS6_bb
; %bb.0:
	s_mov_b32 s2, exec_lo
	v_cmpx_gt_u32_e32 38, v0
	s_cbranch_execz .LBB37_166
; %bb.1:
	s_clause 0x2
	s_load_b32 s2, s[0:1], 0x38
	s_load_b128 s[12:15], s[0:1], 0x10
	s_load_b128 s[4:7], s[0:1], 0x28
	s_mov_b32 s16, ttmp9
	s_wait_kmcnt 0x0
	s_bitcmp1_b32 s2, 8
	s_cselect_b32 s18, -1, 0
	s_bfe_u32 s2, s2, 0x10008
	s_ashr_i32 s17, ttmp9, 31
	s_cmp_eq_u32 s2, 0
                                        ; implicit-def: $sgpr2_sgpr3
	s_cbranch_scc1 .LBB37_3
; %bb.2:
	s_load_b32 s2, s[0:1], 0x20
	s_mul_u64 s[4:5], s[4:5], s[16:17]
	s_delay_alu instid0(SALU_CYCLE_1) | instskip(NEXT) | instid1(SALU_CYCLE_1)
	s_lshl_b64 s[4:5], s[4:5], 2
	s_add_nc_u64 s[4:5], s[14:15], s[4:5]
	s_wait_kmcnt 0x0
	s_ashr_i32 s3, s2, 31
	s_delay_alu instid0(SALU_CYCLE_1) | instskip(NEXT) | instid1(SALU_CYCLE_1)
	s_lshl_b64 s[2:3], s[2:3], 2
	s_add_nc_u64 s[2:3], s[4:5], s[2:3]
.LBB37_3:
	s_clause 0x1
	s_load_b128 s[8:11], s[0:1], 0x0
	s_load_b32 s4, s[0:1], 0x38
	s_mul_u64 s[0:1], s[12:13], s[16:17]
	v_lshlrev_b32_e32 v13, 3, v0
	s_lshl_b64 s[0:1], s[0:1], 3
	s_wait_kmcnt 0x0
	v_add3_u32 v3, s11, s11, v0
	s_ashr_i32 s13, s10, 31
	s_mov_b32 s12, s10
	s_add_nc_u64 s[0:1], s[8:9], s[0:1]
	s_lshl_b64 s[12:13], s[12:13], 3
	v_add_nc_u32_e32 v5, s11, v3
	v_ashrrev_i32_e32 v4, 31, v3
	s_add_nc_u64 s[0:1], s[0:1], s[12:13]
	s_ashr_i32 s9, s11, 31
	v_add_co_u32 v28, s5, s0, v13
	v_add_nc_u32_e32 v7, s11, v5
	s_mov_b32 s8, s11
	v_lshlrev_b64_e32 v[3:4], 3, v[3:4]
	v_add_co_ci_u32_e64 v29, null, s1, 0, s5
	s_delay_alu instid0(VALU_DEP_3)
	v_add_nc_u32_e32 v9, s11, v7
	v_ashrrev_i32_e32 v6, 31, v5
	s_lshl_b64 s[8:9], s[8:9], 3
	v_ashrrev_i32_e32 v8, 31, v7
	v_add_co_u32 v30, vcc_lo, v28, s8
	v_add_nc_u32_e32 v11, s11, v9
	v_ashrrev_i32_e32 v10, 31, v9
	v_add_co_ci_u32_e64 v31, null, s9, v29, vcc_lo
	v_lshlrev_b64_e32 v[5:6], 3, v[5:6]
	v_add_co_u32 v32, vcc_lo, s0, v3
	v_add_nc_u32_e32 v14, s11, v11
	s_wait_alu 0xfffd
	v_add_co_ci_u32_e64 v33, null, s1, v4, vcc_lo
	v_lshlrev_b64_e32 v[3:4], 3, v[7:8]
	v_ashrrev_i32_e32 v12, 31, v11
	v_lshlrev_b64_e32 v[16:17], 3, v[9:10]
	v_add_nc_u32_e32 v18, s11, v14
	v_add_co_u32 v34, vcc_lo, s0, v5
	s_wait_alu 0xfffd
	v_add_co_ci_u32_e64 v35, null, s1, v6, vcc_lo
	v_add_co_u32 v36, vcc_lo, s0, v3
	v_lshlrev_b64_e32 v[11:12], 3, v[11:12]
	s_wait_alu 0xfffd
	v_add_co_ci_u32_e64 v37, null, s1, v4, vcc_lo
	v_add_co_u32 v38, vcc_lo, s0, v16
	v_add_nc_u32_e32 v16, s11, v18
	v_ashrrev_i32_e32 v15, 31, v14
	s_wait_alu 0xfffd
	v_add_co_ci_u32_e64 v39, null, s1, v17, vcc_lo
	v_add_co_u32 v40, vcc_lo, s0, v11
	v_add_nc_u32_e32 v11, s11, v16
	v_lshlrev_b64_e32 v[14:15], 3, v[14:15]
	v_ashrrev_i32_e32 v19, 31, v18
	v_ashrrev_i32_e32 v17, 31, v16
	s_wait_alu 0xfffd
	v_add_co_ci_u32_e64 v41, null, s1, v12, vcc_lo
	v_add_nc_u32_e32 v20, s11, v11
	v_ashrrev_i32_e32 v12, 31, v11
	v_lshlrev_b64_e32 v[18:19], 3, v[18:19]
	v_add_co_u32 v42, vcc_lo, s0, v14
	s_wait_alu 0xfffd
	v_add_co_ci_u32_e64 v43, null, s1, v15, vcc_lo
	v_lshlrev_b64_e32 v[14:15], 3, v[16:17]
	v_add_nc_u32_e32 v24, s11, v20
	v_lshlrev_b64_e32 v[22:23], 3, v[11:12]
	v_ashrrev_i32_e32 v21, 31, v20
	v_add_co_u32 v44, vcc_lo, s0, v18
	s_delay_alu instid0(VALU_DEP_4)
	v_ashrrev_i32_e32 v25, 31, v24
	v_add_nc_u32_e32 v26, s11, v24
	s_wait_alu 0xfffd
	v_add_co_ci_u32_e64 v45, null, s1, v19, vcc_lo
	v_add_co_u32 v46, vcc_lo, s0, v14
	v_lshlrev_b64_e32 v[20:21], 3, v[20:21]
	s_wait_alu 0xfffd
	v_add_co_ci_u32_e64 v47, null, s1, v15, vcc_lo
	v_add_co_u32 v48, vcc_lo, s0, v22
	s_wait_alu 0xfffd
	v_add_co_ci_u32_e64 v49, null, s1, v23, vcc_lo
	v_lshlrev_b64_e32 v[22:23], 3, v[24:25]
	v_ashrrev_i32_e32 v27, 31, v26
	v_add_nc_u32_e32 v24, s11, v26
	v_add_co_u32 v50, vcc_lo, s0, v20
	s_wait_alu 0xfffd
	v_add_co_ci_u32_e64 v51, null, s1, v21, vcc_lo
	v_lshlrev_b64_e32 v[20:21], 3, v[26:27]
	v_ashrrev_i32_e32 v25, 31, v24
	v_add_nc_u32_e32 v26, s11, v24
	;; [unrolled: 6-line block ×17, first 2 shown]
	v_add_co_u32 v82, vcc_lo, s0, v20
	s_wait_alu 0xfffd
	v_add_co_ci_u32_e64 v83, null, s1, v21, vcc_lo
	v_lshlrev_b64_e32 v[20:21], 3, v[26:27]
	v_add_nc_u32_e32 v26, s11, v24
	v_add_co_u32 v84, vcc_lo, s0, v22
	s_wait_alu 0xfffd
	v_add_co_ci_u32_e64 v85, null, s1, v23, vcc_lo
	s_delay_alu instid0(VALU_DEP_3) | instskip(SKIP_3) | instid1(VALU_DEP_3)
	v_ashrrev_i32_e32 v27, 31, v26
	v_add_co_u32 v86, vcc_lo, s0, v20
	s_wait_alu 0xfffd
	v_add_co_ci_u32_e64 v87, null, s1, v21, vcc_lo
	v_lshlrev_b64_e32 v[20:21], 3, v[26:27]
	v_add_nc_u32_e32 v26, s11, v26
	v_ashrrev_i32_e32 v25, 31, v24
	s_clause 0x8
	global_load_b64 v[1:2], v13, s[0:1]
	global_load_b64 v[3:4], v[30:31], off
	global_load_b64 v[5:6], v[32:33], off
	;; [unrolled: 1-line block ×8, first 2 shown]
	v_add_nc_u32_e32 v92, s11, v26
	v_ashrrev_i32_e32 v27, 31, v26
	v_lshlrev_b64_e32 v[22:23], 3, v[24:25]
	s_bitcmp0_b32 s4, 0
	s_delay_alu instid0(VALU_DEP_3) | instskip(NEXT) | instid1(VALU_DEP_3)
	v_add_nc_u32_e32 v96, s11, v92
	v_lshlrev_b64_e32 v[26:27], 3, v[26:27]
	v_ashrrev_i32_e32 v93, 31, v92
	s_delay_alu instid0(VALU_DEP_4) | instskip(NEXT) | instid1(VALU_DEP_4)
	v_add_co_u32 v88, vcc_lo, s0, v22
	v_add_nc_u32_e32 v98, s11, v96
	s_wait_alu 0xfffd
	v_add_co_ci_u32_e64 v89, null, s1, v23, vcc_lo
	v_add_co_u32 v90, vcc_lo, s0, v20
	s_wait_alu 0xfffd
	v_add_co_ci_u32_e64 v91, null, s1, v21, vcc_lo
	v_lshlrev_b64_e32 v[94:95], 3, v[92:93]
	v_add_co_u32 v92, vcc_lo, s0, v26
	v_add_nc_u32_e32 v26, s11, v98
	v_ashrrev_i32_e32 v97, 31, v96
	v_ashrrev_i32_e32 v99, 31, v98
	s_wait_alu 0xfffd
	v_add_co_ci_u32_e64 v93, null, s1, v27, vcc_lo
	v_add_nc_u32_e32 v100, s11, v26
	v_ashrrev_i32_e32 v27, 31, v26
	v_lshlrev_b64_e32 v[96:97], 3, v[96:97]
	v_lshlrev_b64_e32 v[98:99], 3, v[98:99]
	v_add_co_u32 v94, vcc_lo, s0, v94
	v_ashrrev_i32_e32 v101, 31, v100
	v_lshlrev_b64_e32 v[26:27], 3, v[26:27]
	s_wait_alu 0xfffd
	v_add_co_ci_u32_e64 v95, null, s1, v95, vcc_lo
	v_add_co_u32 v96, vcc_lo, s0, v96
	v_lshlrev_b64_e32 v[102:103], 3, v[100:101]
	s_wait_alu 0xfffd
	v_add_co_ci_u32_e64 v97, null, s1, v97, vcc_lo
	v_add_co_u32 v98, vcc_lo, s0, v98
	s_wait_alu 0xfffd
	v_add_co_ci_u32_e64 v99, null, s1, v99, vcc_lo
	v_add_co_u32 v100, vcc_lo, s0, v26
	;; [unrolled: 3-line block ×3, first 2 shown]
	s_wait_alu 0xfffd
	v_add_co_ci_u32_e64 v103, null, s1, v103, vcc_lo
	s_clause 0x1c
	global_load_b64 v[20:21], v[46:47], off
	global_load_b64 v[22:23], v[48:49], off
	;; [unrolled: 1-line block ×29, first 2 shown]
	s_mov_b32 s1, -1
	s_wait_loadcnt 0x24
	scratch_store_b128 off, v[1:4], off
	s_wait_loadcnt 0x22
	scratch_store_b128 off, v[5:8], off offset:16
	s_wait_loadcnt 0x20
	scratch_store_b128 off, v[9:12], off offset:32
	;; [unrolled: 2-line block ×18, first 2 shown]
	s_cbranch_scc1 .LBB37_164
; %bb.4:
	v_cmp_eq_u32_e64 s0, 0, v0
	s_and_saveexec_b32 s1, s0
; %bb.5:
	v_mov_b32_e32 v1, 0
	ds_store_b32 v1, v1 offset:608
; %bb.6:
	s_wait_alu 0xfffe
	s_or_b32 exec_lo, exec_lo, s1
	s_wait_storecnt_dscnt 0x0
	s_barrier_signal -1
	s_barrier_wait -1
	global_inv scope:SCOPE_SE
	scratch_load_b64 v[1:2], v13, off
	s_wait_loadcnt 0x0
	v_cmp_eq_f32_e32 vcc_lo, 0, v1
	v_cmp_eq_f32_e64 s1, 0, v2
	s_and_b32 s1, vcc_lo, s1
	s_wait_alu 0xfffe
	s_and_saveexec_b32 s4, s1
	s_cbranch_execz .LBB37_10
; %bb.7:
	v_mov_b32_e32 v1, 0
	s_mov_b32 s5, 0
	ds_load_b32 v2, v1 offset:608
	s_wait_dscnt 0x0
	v_readfirstlane_b32 s1, v2
	v_add_nc_u32_e32 v2, 1, v0
	s_cmp_eq_u32 s1, 0
	s_delay_alu instid0(VALU_DEP_1)
	v_cmp_gt_i32_e32 vcc_lo, s1, v2
	s_cselect_b32 s8, -1, 0
	s_wait_alu 0xfffe
	s_or_b32 s8, s8, vcc_lo
	s_wait_alu 0xfffe
	s_and_b32 exec_lo, exec_lo, s8
	s_cbranch_execz .LBB37_10
; %bb.8:
	v_mov_b32_e32 v3, s1
.LBB37_9:                               ; =>This Inner Loop Header: Depth=1
	ds_cmpstore_rtn_b32 v3, v1, v2, v3 offset:608
	s_wait_dscnt 0x0
	v_cmp_ne_u32_e32 vcc_lo, 0, v3
	v_cmp_le_i32_e64 s1, v3, v2
	s_and_b32 s1, vcc_lo, s1
	s_wait_alu 0xfffe
	s_and_b32 s1, exec_lo, s1
	s_wait_alu 0xfffe
	s_or_b32 s5, s1, s5
	s_wait_alu 0xfffe
	s_and_not1_b32 exec_lo, exec_lo, s5
	s_cbranch_execnz .LBB37_9
.LBB37_10:
	s_wait_alu 0xfffe
	s_or_b32 exec_lo, exec_lo, s4
	v_mov_b32_e32 v1, 0
	s_barrier_signal -1
	s_barrier_wait -1
	global_inv scope:SCOPE_SE
	ds_load_b32 v2, v1 offset:608
	s_and_saveexec_b32 s1, s0
	s_cbranch_execz .LBB37_12
; %bb.11:
	s_lshl_b64 s[4:5], s[16:17], 2
	s_wait_alu 0xfffe
	s_add_nc_u64 s[4:5], s[6:7], s[4:5]
	s_wait_dscnt 0x0
	global_store_b32 v1, v2, s[4:5]
.LBB37_12:
	s_wait_alu 0xfffe
	s_or_b32 exec_lo, exec_lo, s1
	s_wait_dscnt 0x0
	v_cmp_ne_u32_e32 vcc_lo, 0, v2
	s_mov_b32 s1, 0
	s_cbranch_vccnz .LBB37_164
; %bb.13:
	v_mov_b32_e32 v7, v13
                                        ; implicit-def: $vgpr3
                                        ; implicit-def: $vgpr5
	scratch_load_b64 v[1:2], v7, off
	s_wait_loadcnt 0x0
	v_cmp_ngt_f32_e64 s1, |v1|, |v2|
	s_wait_alu 0xfffe
	s_and_saveexec_b32 s4, s1
	s_wait_alu 0xfffe
	s_xor_b32 s1, exec_lo, s4
	s_cbranch_execz .LBB37_15
; %bb.14:
	v_div_scale_f32 v3, null, v2, v2, v1
	v_div_scale_f32 v6, vcc_lo, v1, v2, v1
	s_delay_alu instid0(VALU_DEP_2) | instskip(NEXT) | instid1(TRANS32_DEP_1)
	v_rcp_f32_e32 v4, v3
	v_fma_f32 v5, -v3, v4, 1.0
	s_delay_alu instid0(VALU_DEP_1) | instskip(NEXT) | instid1(VALU_DEP_1)
	v_fmac_f32_e32 v4, v5, v4
	v_mul_f32_e32 v5, v6, v4
	s_delay_alu instid0(VALU_DEP_1) | instskip(NEXT) | instid1(VALU_DEP_1)
	v_fma_f32 v8, -v3, v5, v6
	v_fmac_f32_e32 v5, v8, v4
	s_delay_alu instid0(VALU_DEP_1) | instskip(SKIP_1) | instid1(VALU_DEP_1)
	v_fma_f32 v3, -v3, v5, v6
	s_wait_alu 0xfffd
	v_div_fmas_f32 v3, v3, v4, v5
	s_delay_alu instid0(VALU_DEP_1) | instskip(NEXT) | instid1(VALU_DEP_1)
	v_div_fixup_f32 v3, v3, v2, v1
	v_fmac_f32_e32 v2, v1, v3
	s_delay_alu instid0(VALU_DEP_1) | instskip(NEXT) | instid1(VALU_DEP_1)
	v_div_scale_f32 v1, null, v2, v2, 1.0
	v_rcp_f32_e32 v4, v1
	s_delay_alu instid0(TRANS32_DEP_1) | instskip(NEXT) | instid1(VALU_DEP_1)
	v_fma_f32 v5, -v1, v4, 1.0
	v_fmac_f32_e32 v4, v5, v4
	v_div_scale_f32 v5, vcc_lo, 1.0, v2, 1.0
	s_delay_alu instid0(VALU_DEP_1) | instskip(NEXT) | instid1(VALU_DEP_1)
	v_mul_f32_e32 v6, v5, v4
	v_fma_f32 v8, -v1, v6, v5
	s_delay_alu instid0(VALU_DEP_1) | instskip(NEXT) | instid1(VALU_DEP_1)
	v_fmac_f32_e32 v6, v8, v4
	v_fma_f32 v1, -v1, v6, v5
	s_wait_alu 0xfffd
	s_delay_alu instid0(VALU_DEP_1) | instskip(NEXT) | instid1(VALU_DEP_1)
	v_div_fmas_f32 v1, v1, v4, v6
	v_div_fixup_f32 v1, v1, v2, 1.0
	s_delay_alu instid0(VALU_DEP_1) | instskip(SKIP_1) | instid1(VALU_DEP_2)
	v_mul_f32_e32 v3, v3, v1
	v_xor_b32_e32 v4, 0x80000000, v1
                                        ; implicit-def: $vgpr1_vgpr2
	v_xor_b32_e32 v5, 0x80000000, v3
.LBB37_15:
	s_wait_alu 0xfffe
	s_and_not1_saveexec_b32 s1, s1
	s_cbranch_execz .LBB37_17
; %bb.16:
	v_div_scale_f32 v3, null, v1, v1, v2
	v_div_scale_f32 v6, vcc_lo, v2, v1, v2
	s_delay_alu instid0(VALU_DEP_2) | instskip(NEXT) | instid1(TRANS32_DEP_1)
	v_rcp_f32_e32 v4, v3
	v_fma_f32 v5, -v3, v4, 1.0
	s_delay_alu instid0(VALU_DEP_1) | instskip(NEXT) | instid1(VALU_DEP_1)
	v_fmac_f32_e32 v4, v5, v4
	v_mul_f32_e32 v5, v6, v4
	s_delay_alu instid0(VALU_DEP_1) | instskip(NEXT) | instid1(VALU_DEP_1)
	v_fma_f32 v8, -v3, v5, v6
	v_fmac_f32_e32 v5, v8, v4
	s_delay_alu instid0(VALU_DEP_1) | instskip(SKIP_1) | instid1(VALU_DEP_1)
	v_fma_f32 v3, -v3, v5, v6
	s_wait_alu 0xfffd
	v_div_fmas_f32 v3, v3, v4, v5
	s_delay_alu instid0(VALU_DEP_1) | instskip(NEXT) | instid1(VALU_DEP_1)
	v_div_fixup_f32 v4, v3, v1, v2
	v_fmac_f32_e32 v1, v2, v4
	s_delay_alu instid0(VALU_DEP_1) | instskip(SKIP_1) | instid1(VALU_DEP_2)
	v_div_scale_f32 v2, null, v1, v1, 1.0
	v_div_scale_f32 v6, vcc_lo, 1.0, v1, 1.0
	v_rcp_f32_e32 v3, v2
	s_delay_alu instid0(TRANS32_DEP_1) | instskip(NEXT) | instid1(VALU_DEP_1)
	v_fma_f32 v5, -v2, v3, 1.0
	v_fmac_f32_e32 v3, v5, v3
	s_delay_alu instid0(VALU_DEP_1) | instskip(NEXT) | instid1(VALU_DEP_1)
	v_mul_f32_e32 v5, v6, v3
	v_fma_f32 v8, -v2, v5, v6
	s_delay_alu instid0(VALU_DEP_1) | instskip(NEXT) | instid1(VALU_DEP_1)
	v_fmac_f32_e32 v5, v8, v3
	v_fma_f32 v2, -v2, v5, v6
	s_wait_alu 0xfffd
	s_delay_alu instid0(VALU_DEP_1) | instskip(NEXT) | instid1(VALU_DEP_1)
	v_div_fmas_f32 v2, v2, v3, v5
	v_div_fixup_f32 v3, v2, v1, 1.0
	s_delay_alu instid0(VALU_DEP_1)
	v_xor_b32_e32 v5, 0x80000000, v3
	v_mul_f32_e64 v4, v4, -v3
.LBB37_17:
	s_wait_alu 0xfffe
	s_or_b32 exec_lo, exec_lo, s1
	scratch_store_b64 v7, v[3:4], off
	scratch_load_b64 v[2:3], off, off offset:8
	v_xor_b32_e32 v6, 0x80000000, v4
	v_add_nc_u32_e32 v1, 0x130, v13
	s_wait_loadcnt 0x0
	ds_store_2addr_b64 v13, v[5:6], v[2:3] offset1:38
	s_wait_storecnt_dscnt 0x0
	s_barrier_signal -1
	s_barrier_wait -1
	global_inv scope:SCOPE_SE
	s_and_saveexec_b32 s1, s0
	s_cbranch_execz .LBB37_19
; %bb.18:
	scratch_load_b64 v[2:3], v7, off
	ds_load_b64 v[4:5], v1
	v_mov_b32_e32 v6, 0
	ds_load_b64 v[8:9], v6 offset:8
	s_wait_loadcnt_dscnt 0x1
	v_mul_f32_e32 v6, v4, v3
	v_mul_f32_e32 v3, v5, v3
	s_delay_alu instid0(VALU_DEP_2) | instskip(NEXT) | instid1(VALU_DEP_2)
	v_fmac_f32_e32 v6, v5, v2
	v_fma_f32 v2, v4, v2, -v3
	s_delay_alu instid0(VALU_DEP_2) | instskip(SKIP_1) | instid1(VALU_DEP_1)
	v_add_f32_e32 v4, 0, v6
	s_wait_dscnt 0x0
	v_dual_add_f32 v2, 0, v2 :: v_dual_mul_f32 v5, v4, v9
	s_delay_alu instid0(VALU_DEP_1) | instskip(NEXT) | instid1(VALU_DEP_1)
	v_mul_f32_e32 v3, v2, v9
	v_fmac_f32_e32 v3, v4, v8
	s_delay_alu instid0(VALU_DEP_3)
	v_fma_f32 v2, v2, v8, -v5
	scratch_store_b64 off, v[2:3], off offset:8
.LBB37_19:
	s_wait_alu 0xfffe
	s_or_b32 exec_lo, exec_lo, s1
	s_wait_loadcnt 0x0
	s_wait_storecnt 0x0
	s_barrier_signal -1
	s_barrier_wait -1
	global_inv scope:SCOPE_SE
	scratch_load_b64 v[2:3], off, off offset:16
	s_mov_b32 s1, exec_lo
	s_wait_loadcnt 0x0
	ds_store_b64 v1, v[2:3]
	s_wait_dscnt 0x0
	s_barrier_signal -1
	s_barrier_wait -1
	global_inv scope:SCOPE_SE
	v_cmpx_gt_u32_e32 2, v0
	s_cbranch_execz .LBB37_23
; %bb.20:
	scratch_load_b64 v[2:3], v7, off
	ds_load_b64 v[4:5], v1
	s_wait_loadcnt_dscnt 0x0
	v_mul_f32_e32 v6, v5, v3
	v_mul_f32_e32 v8, v4, v3
	s_delay_alu instid0(VALU_DEP_2) | instskip(NEXT) | instid1(VALU_DEP_1)
	v_fma_f32 v3, v4, v2, -v6
	v_dual_fmac_f32 v8, v5, v2 :: v_dual_add_f32 v3, 0, v3
	s_delay_alu instid0(VALU_DEP_1)
	v_add_f32_e32 v2, 0, v8
	s_and_saveexec_b32 s4, s0
	s_cbranch_execz .LBB37_22
; %bb.21:
	scratch_load_b64 v[4:5], off, off offset:8
	v_mov_b32_e32 v6, 0
	ds_load_b64 v[8:9], v6 offset:312
	s_wait_loadcnt_dscnt 0x0
	v_mul_f32_e32 v6, v8, v5
	v_mul_f32_e32 v5, v9, v5
	s_delay_alu instid0(VALU_DEP_2) | instskip(NEXT) | instid1(VALU_DEP_2)
	v_fmac_f32_e32 v6, v9, v4
	v_fma_f32 v4, v8, v4, -v5
	s_delay_alu instid0(VALU_DEP_1)
	v_dual_add_f32 v2, v2, v6 :: v_dual_add_f32 v3, v3, v4
.LBB37_22:
	s_wait_alu 0xfffe
	s_or_b32 exec_lo, exec_lo, s4
	v_mov_b32_e32 v4, 0
	ds_load_b64 v[4:5], v4 offset:16
	s_wait_dscnt 0x0
	v_mul_f32_e32 v8, v2, v5
	v_mul_f32_e32 v6, v3, v5
	s_delay_alu instid0(VALU_DEP_2) | instskip(NEXT) | instid1(VALU_DEP_2)
	v_fma_f32 v5, v3, v4, -v8
	v_fmac_f32_e32 v6, v2, v4
	scratch_store_b64 off, v[5:6], off offset:16
.LBB37_23:
	s_wait_alu 0xfffe
	s_or_b32 exec_lo, exec_lo, s1
	s_wait_loadcnt 0x0
	s_wait_storecnt 0x0
	s_barrier_signal -1
	s_barrier_wait -1
	global_inv scope:SCOPE_SE
	scratch_load_b64 v[3:4], off, off offset:24
	v_add_nc_u32_e32 v2, -1, v0
	s_mov_b32 s0, exec_lo
	s_wait_loadcnt 0x0
	ds_store_b64 v1, v[3:4]
	s_wait_dscnt 0x0
	s_barrier_signal -1
	s_barrier_wait -1
	global_inv scope:SCOPE_SE
	v_cmpx_gt_u32_e32 3, v0
	s_cbranch_execz .LBB37_27
; %bb.24:
	v_dual_mov_b32 v3, 0 :: v_dual_add_nc_u32 v4, -1, v0
	v_dual_mov_b32 v6, v13 :: v_dual_add_nc_u32 v5, 0x130, v13
	v_mov_b32_e32 v8, 0
	s_mov_b32 s1, 0
.LBB37_25:                              ; =>This Inner Loop Header: Depth=1
	scratch_load_b64 v[9:10], v6, off
	ds_load_b64 v[11:12], v5
	v_add_nc_u32_e32 v6, 8, v6
	s_wait_loadcnt_dscnt 0x0
	v_dual_mul_f32 v14, v12, v10 :: v_dual_add_nc_u32 v5, 8, v5
	v_mul_f32_e32 v10, v11, v10
	s_delay_alu instid0(VALU_DEP_2) | instskip(NEXT) | instid1(VALU_DEP_2)
	v_fma_f32 v11, v11, v9, -v14
	v_fmac_f32_e32 v10, v12, v9
	v_add_nc_u32_e32 v4, 1, v4
	s_delay_alu instid0(VALU_DEP_2) | instskip(NEXT) | instid1(VALU_DEP_2)
	v_dual_add_f32 v8, v8, v11 :: v_dual_add_f32 v3, v3, v10
	v_cmp_lt_u32_e32 vcc_lo, 1, v4
	s_wait_alu 0xfffe
	s_or_b32 s1, vcc_lo, s1
	s_wait_alu 0xfffe
	s_and_not1_b32 exec_lo, exec_lo, s1
	s_cbranch_execnz .LBB37_25
; %bb.26:
	s_or_b32 exec_lo, exec_lo, s1
	v_mov_b32_e32 v4, 0
	ds_load_b64 v[4:5], v4 offset:24
	s_wait_dscnt 0x0
	v_mul_f32_e32 v9, v3, v5
	v_mul_f32_e32 v6, v8, v5
	s_delay_alu instid0(VALU_DEP_2) | instskip(NEXT) | instid1(VALU_DEP_2)
	v_fma_f32 v5, v8, v4, -v9
	v_fmac_f32_e32 v6, v3, v4
	scratch_store_b64 off, v[5:6], off offset:24
.LBB37_27:
	s_wait_alu 0xfffe
	s_or_b32 exec_lo, exec_lo, s0
	s_wait_loadcnt 0x0
	s_wait_storecnt 0x0
	s_barrier_signal -1
	s_barrier_wait -1
	global_inv scope:SCOPE_SE
	scratch_load_b64 v[3:4], off, off offset:32
	s_mov_b32 s0, exec_lo
	s_wait_loadcnt 0x0
	ds_store_b64 v1, v[3:4]
	s_wait_dscnt 0x0
	s_barrier_signal -1
	s_barrier_wait -1
	global_inv scope:SCOPE_SE
	v_cmpx_gt_u32_e32 4, v0
	s_cbranch_execz .LBB37_31
; %bb.28:
	v_dual_mov_b32 v3, 0 :: v_dual_add_nc_u32 v4, -1, v0
	v_dual_mov_b32 v6, v13 :: v_dual_add_nc_u32 v5, 0x130, v13
	v_mov_b32_e32 v8, 0
	s_mov_b32 s1, 0
.LBB37_29:                              ; =>This Inner Loop Header: Depth=1
	scratch_load_b64 v[9:10], v6, off
	ds_load_b64 v[11:12], v5
	v_add_nc_u32_e32 v6, 8, v6
	s_wait_loadcnt_dscnt 0x0
	v_dual_mul_f32 v14, v12, v10 :: v_dual_add_nc_u32 v5, 8, v5
	v_mul_f32_e32 v10, v11, v10
	s_delay_alu instid0(VALU_DEP_2) | instskip(NEXT) | instid1(VALU_DEP_2)
	v_fma_f32 v11, v11, v9, -v14
	v_fmac_f32_e32 v10, v12, v9
	v_add_nc_u32_e32 v4, 1, v4
	s_delay_alu instid0(VALU_DEP_2) | instskip(NEXT) | instid1(VALU_DEP_2)
	v_dual_add_f32 v8, v8, v11 :: v_dual_add_f32 v3, v3, v10
	v_cmp_lt_u32_e32 vcc_lo, 2, v4
	s_wait_alu 0xfffe
	s_or_b32 s1, vcc_lo, s1
	s_wait_alu 0xfffe
	s_and_not1_b32 exec_lo, exec_lo, s1
	s_cbranch_execnz .LBB37_29
; %bb.30:
	s_or_b32 exec_lo, exec_lo, s1
	v_mov_b32_e32 v4, 0
	ds_load_b64 v[4:5], v4 offset:32
	s_wait_dscnt 0x0
	v_mul_f32_e32 v9, v3, v5
	v_mul_f32_e32 v6, v8, v5
	s_delay_alu instid0(VALU_DEP_2) | instskip(NEXT) | instid1(VALU_DEP_2)
	v_fma_f32 v5, v8, v4, -v9
	v_fmac_f32_e32 v6, v3, v4
	scratch_store_b64 off, v[5:6], off offset:32
.LBB37_31:
	s_wait_alu 0xfffe
	s_or_b32 exec_lo, exec_lo, s0
	s_wait_loadcnt 0x0
	s_wait_storecnt 0x0
	s_barrier_signal -1
	s_barrier_wait -1
	global_inv scope:SCOPE_SE
	scratch_load_b64 v[3:4], off, off offset:40
	;; [unrolled: 53-line block ×19, first 2 shown]
	s_mov_b32 s0, exec_lo
	s_wait_loadcnt 0x0
	ds_store_b64 v1, v[3:4]
	s_wait_dscnt 0x0
	s_barrier_signal -1
	s_barrier_wait -1
	global_inv scope:SCOPE_SE
	v_cmpx_gt_u32_e32 22, v0
	s_cbranch_execz .LBB37_103
; %bb.100:
	v_dual_mov_b32 v3, 0 :: v_dual_add_nc_u32 v4, -1, v0
	v_dual_mov_b32 v6, v13 :: v_dual_add_nc_u32 v5, 0x130, v13
	v_mov_b32_e32 v8, 0
	s_mov_b32 s1, 0
.LBB37_101:                             ; =>This Inner Loop Header: Depth=1
	scratch_load_b64 v[9:10], v6, off
	ds_load_b64 v[11:12], v5
	v_add_nc_u32_e32 v6, 8, v6
	s_wait_loadcnt_dscnt 0x0
	v_dual_mul_f32 v14, v12, v10 :: v_dual_add_nc_u32 v5, 8, v5
	v_mul_f32_e32 v10, v11, v10
	s_delay_alu instid0(VALU_DEP_2) | instskip(NEXT) | instid1(VALU_DEP_2)
	v_fma_f32 v11, v11, v9, -v14
	v_fmac_f32_e32 v10, v12, v9
	v_add_nc_u32_e32 v4, 1, v4
	s_delay_alu instid0(VALU_DEP_2) | instskip(NEXT) | instid1(VALU_DEP_2)
	v_dual_add_f32 v8, v8, v11 :: v_dual_add_f32 v3, v3, v10
	v_cmp_lt_u32_e32 vcc_lo, 20, v4
	s_wait_alu 0xfffe
	s_or_b32 s1, vcc_lo, s1
	s_wait_alu 0xfffe
	s_and_not1_b32 exec_lo, exec_lo, s1
	s_cbranch_execnz .LBB37_101
; %bb.102:
	s_or_b32 exec_lo, exec_lo, s1
	v_mov_b32_e32 v4, 0
	ds_load_b64 v[4:5], v4 offset:176
	s_wait_dscnt 0x0
	v_mul_f32_e32 v9, v3, v5
	v_mul_f32_e32 v6, v8, v5
	s_delay_alu instid0(VALU_DEP_2) | instskip(NEXT) | instid1(VALU_DEP_2)
	v_fma_f32 v5, v8, v4, -v9
	v_fmac_f32_e32 v6, v3, v4
	scratch_store_b64 off, v[5:6], off offset:176
.LBB37_103:
	s_wait_alu 0xfffe
	s_or_b32 exec_lo, exec_lo, s0
	s_wait_loadcnt 0x0
	s_wait_storecnt 0x0
	s_barrier_signal -1
	s_barrier_wait -1
	global_inv scope:SCOPE_SE
	scratch_load_b64 v[3:4], off, off offset:184
	s_mov_b32 s0, exec_lo
	s_wait_loadcnt 0x0
	ds_store_b64 v1, v[3:4]
	s_wait_dscnt 0x0
	s_barrier_signal -1
	s_barrier_wait -1
	global_inv scope:SCOPE_SE
	v_cmpx_gt_u32_e32 23, v0
	s_cbranch_execz .LBB37_107
; %bb.104:
	v_dual_mov_b32 v3, 0 :: v_dual_add_nc_u32 v4, -1, v0
	v_dual_mov_b32 v6, v13 :: v_dual_add_nc_u32 v5, 0x130, v13
	v_mov_b32_e32 v8, 0
	s_mov_b32 s1, 0
.LBB37_105:                             ; =>This Inner Loop Header: Depth=1
	scratch_load_b64 v[9:10], v6, off
	ds_load_b64 v[11:12], v5
	v_add_nc_u32_e32 v6, 8, v6
	s_wait_loadcnt_dscnt 0x0
	v_dual_mul_f32 v14, v12, v10 :: v_dual_add_nc_u32 v5, 8, v5
	v_mul_f32_e32 v10, v11, v10
	s_delay_alu instid0(VALU_DEP_2) | instskip(NEXT) | instid1(VALU_DEP_2)
	v_fma_f32 v11, v11, v9, -v14
	v_fmac_f32_e32 v10, v12, v9
	v_add_nc_u32_e32 v4, 1, v4
	s_delay_alu instid0(VALU_DEP_2) | instskip(NEXT) | instid1(VALU_DEP_2)
	v_dual_add_f32 v8, v8, v11 :: v_dual_add_f32 v3, v3, v10
	v_cmp_lt_u32_e32 vcc_lo, 21, v4
	s_wait_alu 0xfffe
	s_or_b32 s1, vcc_lo, s1
	s_wait_alu 0xfffe
	s_and_not1_b32 exec_lo, exec_lo, s1
	s_cbranch_execnz .LBB37_105
; %bb.106:
	s_or_b32 exec_lo, exec_lo, s1
	v_mov_b32_e32 v4, 0
	ds_load_b64 v[4:5], v4 offset:184
	s_wait_dscnt 0x0
	v_mul_f32_e32 v9, v3, v5
	v_mul_f32_e32 v6, v8, v5
	s_delay_alu instid0(VALU_DEP_2) | instskip(NEXT) | instid1(VALU_DEP_2)
	v_fma_f32 v5, v8, v4, -v9
	v_fmac_f32_e32 v6, v3, v4
	scratch_store_b64 off, v[5:6], off offset:184
.LBB37_107:
	s_wait_alu 0xfffe
	s_or_b32 exec_lo, exec_lo, s0
	s_wait_loadcnt 0x0
	s_wait_storecnt 0x0
	s_barrier_signal -1
	s_barrier_wait -1
	global_inv scope:SCOPE_SE
	scratch_load_b64 v[3:4], off, off offset:192
	;; [unrolled: 53-line block ×14, first 2 shown]
	s_mov_b32 s0, exec_lo
	s_wait_loadcnt 0x0
	ds_store_b64 v1, v[3:4]
	s_wait_dscnt 0x0
	s_barrier_signal -1
	s_barrier_wait -1
	global_inv scope:SCOPE_SE
	v_cmpx_gt_u32_e32 36, v0
	s_cbranch_execz .LBB37_159
; %bb.156:
	v_dual_mov_b32 v3, 0 :: v_dual_add_nc_u32 v4, -1, v0
	v_dual_mov_b32 v6, v13 :: v_dual_add_nc_u32 v5, 0x130, v13
	v_mov_b32_e32 v8, 0
	s_mov_b32 s1, 0
.LBB37_157:                             ; =>This Inner Loop Header: Depth=1
	scratch_load_b64 v[9:10], v6, off
	ds_load_b64 v[11:12], v5
	v_add_nc_u32_e32 v6, 8, v6
	v_add_nc_u32_e32 v4, 1, v4
	;; [unrolled: 1-line block ×3, first 2 shown]
	s_delay_alu instid0(VALU_DEP_2)
	v_cmp_lt_u32_e32 vcc_lo, 34, v4
	s_wait_alu 0xfffe
	s_or_b32 s1, vcc_lo, s1
	s_wait_loadcnt_dscnt 0x0
	v_mul_f32_e32 v13, v12, v10
	v_mul_f32_e32 v10, v11, v10
	s_delay_alu instid0(VALU_DEP_2) | instskip(NEXT) | instid1(VALU_DEP_2)
	v_fma_f32 v11, v11, v9, -v13
	v_fmac_f32_e32 v10, v12, v9
	s_delay_alu instid0(VALU_DEP_1)
	v_dual_add_f32 v8, v8, v11 :: v_dual_add_f32 v3, v3, v10
	s_wait_alu 0xfffe
	s_and_not1_b32 exec_lo, exec_lo, s1
	s_cbranch_execnz .LBB37_157
; %bb.158:
	s_or_b32 exec_lo, exec_lo, s1
	v_mov_b32_e32 v4, 0
	ds_load_b64 v[4:5], v4 offset:288
	s_wait_dscnt 0x0
	v_mul_f32_e32 v9, v3, v5
	v_mul_f32_e32 v6, v8, v5
	s_delay_alu instid0(VALU_DEP_2) | instskip(NEXT) | instid1(VALU_DEP_2)
	v_fma_f32 v5, v8, v4, -v9
	v_fmac_f32_e32 v6, v3, v4
	scratch_store_b64 off, v[5:6], off offset:288
.LBB37_159:
	s_wait_alu 0xfffe
	s_or_b32 exec_lo, exec_lo, s0
	s_wait_loadcnt 0x0
	s_wait_storecnt 0x0
	s_barrier_signal -1
	s_barrier_wait -1
	global_inv scope:SCOPE_SE
	scratch_load_b64 v[3:4], off, off offset:296
	s_mov_b32 s0, exec_lo
	s_wait_loadcnt 0x0
	ds_store_b64 v1, v[3:4]
	s_wait_dscnt 0x0
	s_barrier_signal -1
	s_barrier_wait -1
	global_inv scope:SCOPE_SE
	v_cmpx_ne_u32_e32 37, v0
	s_cbranch_execz .LBB37_163
; %bb.160:
	v_dual_mov_b32 v3, 0 :: v_dual_mov_b32 v4, 0
	s_mov_b32 s1, 0
.LBB37_161:                             ; =>This Inner Loop Header: Depth=1
	scratch_load_b64 v[5:6], v7, off
	ds_load_b64 v[8:9], v1
	v_add_nc_u32_e32 v2, 1, v2
	v_add_nc_u32_e32 v1, 8, v1
	v_add_nc_u32_e32 v7, 8, v7
	s_delay_alu instid0(VALU_DEP_3)
	v_cmp_lt_u32_e32 vcc_lo, 35, v2
	s_wait_alu 0xfffe
	s_or_b32 s1, vcc_lo, s1
	s_wait_loadcnt_dscnt 0x0
	v_mul_f32_e32 v10, v9, v6
	v_mul_f32_e32 v6, v8, v6
	s_delay_alu instid0(VALU_DEP_2) | instskip(NEXT) | instid1(VALU_DEP_2)
	v_fma_f32 v8, v8, v5, -v10
	v_fmac_f32_e32 v6, v9, v5
	s_delay_alu instid0(VALU_DEP_1)
	v_dual_add_f32 v4, v4, v8 :: v_dual_add_f32 v3, v3, v6
	s_wait_alu 0xfffe
	s_and_not1_b32 exec_lo, exec_lo, s1
	s_cbranch_execnz .LBB37_161
; %bb.162:
	s_or_b32 exec_lo, exec_lo, s1
	v_mov_b32_e32 v1, 0
	ds_load_b64 v[1:2], v1 offset:296
	s_wait_dscnt 0x0
	v_mul_f32_e32 v6, v3, v2
	v_mul_f32_e32 v5, v4, v2
	s_delay_alu instid0(VALU_DEP_2) | instskip(NEXT) | instid1(VALU_DEP_2)
	v_fma_f32 v4, v4, v1, -v6
	v_fmac_f32_e32 v5, v3, v1
	scratch_store_b64 off, v[4:5], off offset:296
.LBB37_163:
	s_wait_alu 0xfffe
	s_or_b32 exec_lo, exec_lo, s0
	s_mov_b32 s1, -1
	s_wait_loadcnt 0x0
	s_wait_storecnt 0x0
	s_barrier_signal -1
	s_barrier_wait -1
	global_inv scope:SCOPE_SE
.LBB37_164:
	s_wait_alu 0xfffe
	s_and_b32 vcc_lo, exec_lo, s1
	s_wait_alu 0xfffe
	s_cbranch_vccz .LBB37_166
; %bb.165:
	v_mov_b32_e32 v1, 0
	s_lshl_b64 s[0:1], s[16:17], 2
	s_wait_alu 0xfffe
	s_add_nc_u64 s[0:1], s[6:7], s[0:1]
	global_load_b32 v1, v1, s[0:1]
	s_wait_loadcnt 0x0
	v_cmp_ne_u32_e32 vcc_lo, 0, v1
	s_cbranch_vccz .LBB37_167
.LBB37_166:
	s_nop 0
	s_sendmsg sendmsg(MSG_DEALLOC_VGPRS)
	s_endpgm
.LBB37_167:
	v_lshl_add_u32 v23, v0, 3, 0x130
	s_mov_b32 s0, exec_lo
	v_cmpx_eq_u32_e32 37, v0
	s_cbranch_execz .LBB37_169
; %bb.168:
	scratch_load_b64 v[1:2], off, off offset:288
	v_mov_b32_e32 v3, 0
	s_delay_alu instid0(VALU_DEP_1)
	v_mov_b32_e32 v4, v3
	scratch_store_b64 off, v[3:4], off offset:288
	s_wait_loadcnt 0x0
	ds_store_b64 v23, v[1:2]
.LBB37_169:
	s_wait_alu 0xfffe
	s_or_b32 exec_lo, exec_lo, s0
	s_wait_storecnt_dscnt 0x0
	s_barrier_signal -1
	s_barrier_wait -1
	global_inv scope:SCOPE_SE
	s_clause 0x1
	scratch_load_b64 v[2:3], off, off offset:296
	scratch_load_b64 v[4:5], off, off offset:288
	v_mov_b32_e32 v1, 0
	s_mov_b32 s0, exec_lo
	ds_load_b64 v[6:7], v1 offset:600
	s_wait_loadcnt_dscnt 0x100
	v_mul_f32_e32 v8, v7, v3
	v_mul_f32_e32 v3, v6, v3
	s_delay_alu instid0(VALU_DEP_2) | instskip(NEXT) | instid1(VALU_DEP_2)
	v_fma_f32 v6, v6, v2, -v8
	v_fmac_f32_e32 v3, v7, v2
	s_delay_alu instid0(VALU_DEP_1) | instskip(SKIP_1) | instid1(VALU_DEP_1)
	v_dual_add_f32 v2, 0, v6 :: v_dual_add_f32 v3, 0, v3
	s_wait_loadcnt 0x0
	v_dual_sub_f32 v2, v4, v2 :: v_dual_sub_f32 v3, v5, v3
	scratch_store_b64 off, v[2:3], off offset:288
	v_cmpx_lt_u32_e32 35, v0
	s_cbranch_execz .LBB37_171
; %bb.170:
	scratch_load_b64 v[3:4], off, off offset:280
	v_mov_b32_e32 v2, v1
	scratch_store_b64 off, v[1:2], off offset:280
	s_wait_loadcnt 0x0
	ds_store_b64 v23, v[3:4]
.LBB37_171:
	s_wait_alu 0xfffe
	s_or_b32 exec_lo, exec_lo, s0
	s_wait_storecnt_dscnt 0x0
	s_barrier_signal -1
	s_barrier_wait -1
	global_inv scope:SCOPE_SE
	s_clause 0x1
	scratch_load_b128 v[2:5], off, off offset:288
	scratch_load_b64 v[10:11], off, off offset:280
	ds_load_b128 v[6:9], v1 offset:592
	s_mov_b32 s0, exec_lo
	s_wait_loadcnt_dscnt 0x100
	v_dual_mul_f32 v1, v7, v3 :: v_dual_mul_f32 v12, v8, v5
	v_mul_f32_e32 v3, v6, v3
	s_delay_alu instid0(VALU_DEP_2) | instskip(NEXT) | instid1(VALU_DEP_2)
	v_fma_f32 v1, v6, v2, -v1
	v_dual_fmac_f32 v12, v9, v4 :: v_dual_fmac_f32 v3, v7, v2
	s_delay_alu instid0(VALU_DEP_2) | instskip(NEXT) | instid1(VALU_DEP_2)
	v_add_f32_e32 v1, 0, v1
	v_add_f32_e32 v3, 0, v3
	v_mul_f32_e32 v5, v9, v5
	s_delay_alu instid0(VALU_DEP_1) | instskip(NEXT) | instid1(VALU_DEP_1)
	v_fma_f32 v2, v8, v4, -v5
	v_dual_add_f32 v1, v1, v2 :: v_dual_add_f32 v2, v3, v12
	s_wait_loadcnt 0x0
	s_delay_alu instid0(VALU_DEP_1)
	v_dual_sub_f32 v1, v10, v1 :: v_dual_sub_f32 v2, v11, v2
	scratch_store_b64 off, v[1:2], off offset:280
	v_cmpx_lt_u32_e32 34, v0
	s_cbranch_execz .LBB37_173
; %bb.172:
	scratch_load_b64 v[1:2], off, off offset:272
	v_mov_b32_e32 v3, 0
	s_delay_alu instid0(VALU_DEP_1)
	v_mov_b32_e32 v4, v3
	scratch_store_b64 off, v[3:4], off offset:272
	s_wait_loadcnt 0x0
	ds_store_b64 v23, v[1:2]
.LBB37_173:
	s_wait_alu 0xfffe
	s_or_b32 exec_lo, exec_lo, s0
	s_wait_storecnt_dscnt 0x0
	s_barrier_signal -1
	s_barrier_wait -1
	global_inv scope:SCOPE_SE
	s_clause 0x2
	scratch_load_b128 v[2:5], off, off offset:280
	scratch_load_b64 v[10:11], off, off offset:296
	scratch_load_b64 v[12:13], off, off offset:272
	v_mov_b32_e32 v1, 0
	ds_load_2addr_b64 v[6:9], v1 offset0:73 offset1:74
	ds_load_b64 v[14:15], v1 offset:600
	s_mov_b32 s0, exec_lo
	s_wait_loadcnt_dscnt 0x201
	v_dual_mul_f32 v16, v7, v3 :: v_dual_mul_f32 v17, v8, v5
	s_wait_loadcnt_dscnt 0x100
	v_mul_f32_e32 v18, v14, v11
	v_mul_f32_e32 v3, v6, v3
	;; [unrolled: 1-line block ×3, first 2 shown]
	v_fma_f32 v6, v6, v2, -v16
	s_delay_alu instid0(VALU_DEP_4) | instskip(NEXT) | instid1(VALU_DEP_4)
	v_fmac_f32_e32 v18, v15, v10
	v_fmac_f32_e32 v3, v7, v2
	v_mul_f32_e32 v2, v15, v11
	s_delay_alu instid0(VALU_DEP_1) | instskip(SKIP_3) | instid1(VALU_DEP_1)
	v_fma_f32 v2, v14, v10, -v2
	v_fmac_f32_e32 v17, v9, v4
	v_fma_f32 v4, v8, v4, -v5
	v_add_f32_e32 v5, 0, v6
	v_add_f32_e32 v4, v5, v4
	s_delay_alu instid0(VALU_DEP_1) | instskip(SKIP_1) | instid1(VALU_DEP_1)
	v_dual_add_f32 v2, v4, v2 :: v_dual_add_f32 v3, 0, v3
	s_wait_loadcnt 0x0
	v_dual_sub_f32 v2, v12, v2 :: v_dual_add_f32 v3, v3, v17
	s_delay_alu instid0(VALU_DEP_1) | instskip(NEXT) | instid1(VALU_DEP_1)
	v_add_f32_e32 v3, v3, v18
	v_sub_f32_e32 v3, v13, v3
	scratch_store_b64 off, v[2:3], off offset:272
	v_cmpx_lt_u32_e32 33, v0
	s_cbranch_execz .LBB37_175
; %bb.174:
	scratch_load_b64 v[3:4], off, off offset:264
	v_mov_b32_e32 v2, v1
	scratch_store_b64 off, v[1:2], off offset:264
	s_wait_loadcnt 0x0
	ds_store_b64 v23, v[3:4]
.LBB37_175:
	s_wait_alu 0xfffe
	s_or_b32 exec_lo, exec_lo, s0
	s_wait_storecnt_dscnt 0x0
	s_barrier_signal -1
	s_barrier_wait -1
	global_inv scope:SCOPE_SE
	s_clause 0x2
	scratch_load_b128 v[2:5], off, off offset:272
	scratch_load_b128 v[6:9], off, off offset:288
	scratch_load_b64 v[18:19], off, off offset:264
	ds_load_b128 v[10:13], v1 offset:576
	ds_load_b128 v[14:17], v1 offset:592
	s_mov_b32 s0, exec_lo
	s_wait_loadcnt_dscnt 0x201
	v_dual_mul_f32 v1, v10, v3 :: v_dual_mul_f32 v20, v12, v5
	s_wait_loadcnt_dscnt 0x100
	v_dual_mul_f32 v3, v11, v3 :: v_dual_mul_f32 v22, v16, v9
	v_mul_f32_e32 v5, v13, v5
	s_delay_alu instid0(VALU_DEP_3) | instskip(NEXT) | instid1(VALU_DEP_3)
	v_dual_mul_f32 v21, v14, v7 :: v_dual_fmac_f32 v20, v13, v4
	v_fma_f32 v3, v10, v2, -v3
	s_delay_alu instid0(VALU_DEP_4) | instskip(SKIP_2) | instid1(VALU_DEP_4)
	v_dual_fmac_f32 v1, v11, v2 :: v_dual_fmac_f32 v22, v17, v8
	v_mul_f32_e32 v2, v15, v7
	v_fma_f32 v4, v12, v4, -v5
	v_add_f32_e32 v3, 0, v3
	v_fmac_f32_e32 v21, v15, v6
	s_delay_alu instid0(VALU_DEP_4) | instskip(NEXT) | instid1(VALU_DEP_3)
	v_fma_f32 v2, v14, v6, -v2
	v_add_f32_e32 v3, v3, v4
	s_delay_alu instid0(VALU_DEP_1) | instskip(NEXT) | instid1(VALU_DEP_1)
	v_dual_add_f32 v1, 0, v1 :: v_dual_add_f32 v2, v3, v2
	v_add_f32_e32 v1, v1, v20
	s_delay_alu instid0(VALU_DEP_1) | instskip(NEXT) | instid1(VALU_DEP_1)
	v_add_f32_e32 v1, v1, v21
	v_add_f32_e32 v3, v1, v22
	v_mul_f32_e32 v5, v17, v9
	s_delay_alu instid0(VALU_DEP_1) | instskip(NEXT) | instid1(VALU_DEP_1)
	v_fma_f32 v4, v16, v8, -v5
	v_add_f32_e32 v2, v2, v4
	s_wait_loadcnt 0x0
	s_delay_alu instid0(VALU_DEP_1)
	v_dual_sub_f32 v1, v18, v2 :: v_dual_sub_f32 v2, v19, v3
	scratch_store_b64 off, v[1:2], off offset:264
	v_cmpx_lt_u32_e32 32, v0
	s_cbranch_execz .LBB37_177
; %bb.176:
	scratch_load_b64 v[1:2], off, off offset:256
	v_mov_b32_e32 v3, 0
	s_delay_alu instid0(VALU_DEP_1)
	v_mov_b32_e32 v4, v3
	scratch_store_b64 off, v[3:4], off offset:256
	s_wait_loadcnt 0x0
	ds_store_b64 v23, v[1:2]
.LBB37_177:
	s_wait_alu 0xfffe
	s_or_b32 exec_lo, exec_lo, s0
	s_wait_storecnt_dscnt 0x0
	s_barrier_signal -1
	s_barrier_wait -1
	global_inv scope:SCOPE_SE
	s_clause 0x3
	scratch_load_b128 v[2:5], off, off offset:264
	scratch_load_b128 v[6:9], off, off offset:280
	scratch_load_b64 v[18:19], off, off offset:296
	scratch_load_b64 v[20:21], off, off offset:256
	v_mov_b32_e32 v1, 0
	ds_load_2addr_b64 v[10:13], v1 offset0:71 offset1:72
	ds_load_2addr_b64 v[14:17], v1 offset0:73 offset1:74
	ds_load_b64 v[24:25], v1 offset:600
	s_mov_b32 s0, exec_lo
	s_wait_loadcnt_dscnt 0x302
	v_mul_f32_e32 v22, v10, v3
	v_dual_mul_f32 v26, v12, v5 :: v_dual_mul_f32 v3, v11, v3
	s_wait_loadcnt_dscnt 0x100
	v_mul_f32_e32 v105, v24, v19
	s_delay_alu instid0(VALU_DEP_3)
	v_dual_mul_f32 v5, v13, v5 :: v_dual_fmac_f32 v22, v11, v2
	v_dual_mul_f32 v27, v14, v7 :: v_dual_mul_f32 v104, v16, v9
	v_fma_f32 v3, v10, v2, -v3
	v_mul_f32_e32 v2, v15, v7
	v_fmac_f32_e32 v26, v13, v4
	v_fma_f32 v4, v12, v4, -v5
	v_dual_add_f32 v5, 0, v22 :: v_dual_fmac_f32 v104, v17, v8
	v_add_f32_e32 v3, 0, v3
	v_fma_f32 v2, v14, v6, -v2
	v_fmac_f32_e32 v27, v15, v6
	v_fmac_f32_e32 v105, v25, v18
	s_delay_alu instid0(VALU_DEP_4) | instskip(NEXT) | instid1(VALU_DEP_1)
	v_dual_add_f32 v3, v3, v4 :: v_dual_add_f32 v4, v5, v26
	v_dual_mul_f32 v7, v17, v9 :: v_dual_add_f32 v2, v3, v2
	s_delay_alu instid0(VALU_DEP_2) | instskip(NEXT) | instid1(VALU_DEP_2)
	v_add_f32_e32 v3, v4, v27
	v_fma_f32 v6, v16, v8, -v7
	s_delay_alu instid0(VALU_DEP_1) | instskip(NEXT) | instid1(VALU_DEP_1)
	v_dual_mul_f32 v5, v25, v19 :: v_dual_add_f32 v2, v2, v6
	v_fma_f32 v4, v24, v18, -v5
	s_delay_alu instid0(VALU_DEP_1) | instskip(SKIP_1) | instid1(VALU_DEP_1)
	v_add_f32_e32 v2, v2, v4
	s_wait_loadcnt 0x0
	v_dual_add_f32 v3, v3, v104 :: v_dual_sub_f32 v2, v20, v2
	s_delay_alu instid0(VALU_DEP_1) | instskip(NEXT) | instid1(VALU_DEP_1)
	v_add_f32_e32 v3, v3, v105
	v_sub_f32_e32 v3, v21, v3
	scratch_store_b64 off, v[2:3], off offset:256
	v_cmpx_lt_u32_e32 31, v0
	s_cbranch_execz .LBB37_179
; %bb.178:
	scratch_load_b64 v[3:4], off, off offset:248
	v_mov_b32_e32 v2, v1
	scratch_store_b64 off, v[1:2], off offset:248
	s_wait_loadcnt 0x0
	ds_store_b64 v23, v[3:4]
.LBB37_179:
	s_wait_alu 0xfffe
	s_or_b32 exec_lo, exec_lo, s0
	s_wait_storecnt_dscnt 0x0
	s_barrier_signal -1
	s_barrier_wait -1
	global_inv scope:SCOPE_SE
	s_clause 0x3
	scratch_load_b128 v[2:5], off, off offset:256
	scratch_load_b128 v[6:9], off, off offset:272
	;; [unrolled: 1-line block ×3, first 2 shown]
	scratch_load_b64 v[104:105], off, off offset:248
	ds_load_b128 v[14:17], v1 offset:560
	ds_load_b128 v[18:21], v1 offset:576
	;; [unrolled: 1-line block ×3, first 2 shown]
	s_mov_b32 s0, exec_lo
	s_wait_loadcnt_dscnt 0x302
	v_dual_mul_f32 v1, v14, v3 :: v_dual_mul_f32 v22, v16, v5
	v_mul_f32_e32 v3, v15, v3
	s_wait_loadcnt_dscnt 0x201
	v_dual_mul_f32 v5, v17, v5 :: v_dual_mul_f32 v106, v18, v7
	s_delay_alu instid0(VALU_DEP_3) | instskip(NEXT) | instid1(VALU_DEP_3)
	v_dual_mul_f32 v107, v20, v9 :: v_dual_fmac_f32 v22, v17, v4
	v_fma_f32 v3, v14, v2, -v3
	v_fmac_f32_e32 v1, v15, v2
	v_mul_f32_e32 v2, v19, v7
	v_fma_f32 v4, v16, v4, -v5
	s_wait_loadcnt_dscnt 0x100
	v_dual_mul_f32 v108, v24, v11 :: v_dual_mul_f32 v109, v26, v13
	v_dual_add_f32 v3, 0, v3 :: v_dual_fmac_f32 v106, v19, v6
	v_fma_f32 v2, v18, v6, -v2
	s_delay_alu instid0(VALU_DEP_3) | instskip(NEXT) | instid1(VALU_DEP_3)
	v_dual_fmac_f32 v108, v25, v10 :: v_dual_fmac_f32 v109, v27, v12
	v_dual_add_f32 v3, v3, v4 :: v_dual_mul_f32 v4, v25, v11
	s_delay_alu instid0(VALU_DEP_1) | instskip(NEXT) | instid1(VALU_DEP_2)
	v_dual_add_f32 v1, 0, v1 :: v_dual_add_f32 v2, v3, v2
	v_fma_f32 v4, v24, v10, -v4
	v_mul_f32_e32 v5, v21, v9
	v_mul_f32_e32 v3, v27, v13
	s_delay_alu instid0(VALU_DEP_2) | instskip(SKIP_1) | instid1(VALU_DEP_3)
	v_fma_f32 v5, v20, v8, -v5
	v_add_f32_e32 v1, v1, v22
	v_fma_f32 v3, v26, v12, -v3
	s_delay_alu instid0(VALU_DEP_2) | instskip(NEXT) | instid1(VALU_DEP_1)
	v_dual_add_f32 v2, v2, v5 :: v_dual_add_f32 v1, v1, v106
	v_add_f32_e32 v2, v2, v4
	s_delay_alu instid0(VALU_DEP_1) | instskip(NEXT) | instid1(VALU_DEP_1)
	v_dual_fmac_f32 v107, v21, v8 :: v_dual_add_f32 v2, v2, v3
	v_add_f32_e32 v1, v1, v107
	s_delay_alu instid0(VALU_DEP_1) | instskip(NEXT) | instid1(VALU_DEP_1)
	v_add_f32_e32 v1, v1, v108
	v_add_f32_e32 v3, v1, v109
	s_wait_loadcnt 0x0
	s_delay_alu instid0(VALU_DEP_1)
	v_dual_sub_f32 v1, v104, v2 :: v_dual_sub_f32 v2, v105, v3
	scratch_store_b64 off, v[1:2], off offset:248
	v_cmpx_lt_u32_e32 30, v0
	s_cbranch_execz .LBB37_181
; %bb.180:
	scratch_load_b64 v[1:2], off, off offset:240
	v_mov_b32_e32 v3, 0
	s_delay_alu instid0(VALU_DEP_1)
	v_mov_b32_e32 v4, v3
	scratch_store_b64 off, v[3:4], off offset:240
	s_wait_loadcnt 0x0
	ds_store_b64 v23, v[1:2]
.LBB37_181:
	s_wait_alu 0xfffe
	s_or_b32 exec_lo, exec_lo, s0
	s_wait_storecnt_dscnt 0x0
	s_barrier_signal -1
	s_barrier_wait -1
	global_inv scope:SCOPE_SE
	s_clause 0x4
	scratch_load_b128 v[2:5], off, off offset:248
	scratch_load_b128 v[6:9], off, off offset:264
	;; [unrolled: 1-line block ×3, first 2 shown]
	scratch_load_b64 v[104:105], off, off offset:296
	scratch_load_b64 v[106:107], off, off offset:240
	v_mov_b32_e32 v1, 0
	ds_load_2addr_b64 v[14:17], v1 offset0:69 offset1:70
	ds_load_2addr_b64 v[18:21], v1 offset0:71 offset1:72
	;; [unrolled: 1-line block ×3, first 2 shown]
	ds_load_b64 v[108:109], v1 offset:600
	s_mov_b32 s0, exec_lo
	s_wait_loadcnt_dscnt 0x403
	v_mul_f32_e32 v22, v14, v3
	s_wait_loadcnt_dscnt 0x302
	v_dual_mul_f32 v112, v20, v9 :: v_dual_mul_f32 v3, v15, v3
	v_dual_mul_f32 v110, v16, v5 :: v_dual_mul_f32 v111, v18, v7
	s_wait_loadcnt_dscnt 0x100
	v_dual_mul_f32 v115, v108, v105 :: v_dual_fmac_f32 v22, v15, v2
	v_mul_f32_e32 v5, v17, v5
	v_fma_f32 v3, v14, v2, -v3
	v_mul_f32_e32 v2, v19, v7
	v_fmac_f32_e32 v110, v17, v4
	v_fmac_f32_e32 v112, v21, v8
	v_fma_f32 v4, v16, v4, -v5
	v_add_f32_e32 v3, 0, v3
	v_add_f32_e32 v5, 0, v22
	v_fma_f32 v2, v18, v6, -v2
	v_fmac_f32_e32 v111, v19, v6
	v_dual_mul_f32 v113, v24, v11 :: v_dual_mul_f32 v114, v26, v13
	s_delay_alu instid0(VALU_DEP_4) | instskip(SKIP_1) | instid1(VALU_DEP_3)
	v_dual_add_f32 v3, v3, v4 :: v_dual_add_f32 v4, v5, v110
	v_mul_f32_e32 v7, v21, v9
	v_dual_mul_f32 v5, v25, v11 :: v_dual_fmac_f32 v114, v27, v12
	s_delay_alu instid0(VALU_DEP_3) | instskip(NEXT) | instid1(VALU_DEP_3)
	v_add_f32_e32 v2, v3, v2
	v_fma_f32 v6, v20, v8, -v7
	s_delay_alu instid0(VALU_DEP_1) | instskip(SKIP_3) | instid1(VALU_DEP_3)
	v_add_f32_e32 v2, v2, v6
	v_dual_mul_f32 v6, v109, v105 :: v_dual_add_f32 v3, v4, v111
	v_mul_f32_e32 v4, v27, v13
	v_fma_f32 v5, v24, v10, -v5
	v_add_f32_e32 v3, v3, v112
	s_delay_alu instid0(VALU_DEP_2) | instskip(NEXT) | instid1(VALU_DEP_4)
	v_dual_fmac_f32 v113, v25, v10 :: v_dual_add_f32 v2, v2, v5
	v_fma_f32 v4, v26, v12, -v4
	v_fma_f32 v5, v108, v104, -v6
	s_delay_alu instid0(VALU_DEP_2) | instskip(SKIP_1) | instid1(VALU_DEP_2)
	v_dual_add_f32 v3, v3, v113 :: v_dual_add_f32 v2, v2, v4
	v_fmac_f32_e32 v115, v109, v104
	v_dual_add_f32 v3, v3, v114 :: v_dual_add_f32 v2, v2, v5
	s_wait_loadcnt 0x0
	s_delay_alu instid0(VALU_DEP_1) | instskip(NEXT) | instid1(VALU_DEP_1)
	v_dual_add_f32 v3, v3, v115 :: v_dual_sub_f32 v2, v106, v2
	v_sub_f32_e32 v3, v107, v3
	scratch_store_b64 off, v[2:3], off offset:240
	v_cmpx_lt_u32_e32 29, v0
	s_cbranch_execz .LBB37_183
; %bb.182:
	scratch_load_b64 v[3:4], off, off offset:232
	v_mov_b32_e32 v2, v1
	scratch_store_b64 off, v[1:2], off offset:232
	s_wait_loadcnt 0x0
	ds_store_b64 v23, v[3:4]
.LBB37_183:
	s_wait_alu 0xfffe
	s_or_b32 exec_lo, exec_lo, s0
	s_wait_storecnt_dscnt 0x0
	s_barrier_signal -1
	s_barrier_wait -1
	global_inv scope:SCOPE_SE
	s_clause 0x4
	scratch_load_b128 v[2:5], off, off offset:240
	scratch_load_b128 v[6:9], off, off offset:256
	;; [unrolled: 1-line block ×4, first 2 shown]
	scratch_load_b64 v[112:113], off, off offset:232
	ds_load_b128 v[18:21], v1 offset:544
	ds_load_b128 v[24:27], v1 offset:560
	;; [unrolled: 1-line block ×4, first 2 shown]
	s_mov_b32 s0, exec_lo
	s_wait_loadcnt_dscnt 0x403
	v_dual_mul_f32 v1, v18, v3 :: v_dual_mul_f32 v22, v20, v5
	v_mul_f32_e32 v3, v19, v3
	s_wait_loadcnt_dscnt 0x302
	v_dual_mul_f32 v114, v24, v7 :: v_dual_mul_f32 v115, v26, v9
	s_delay_alu instid0(VALU_DEP_3) | instskip(NEXT) | instid1(VALU_DEP_3)
	v_dual_fmac_f32 v1, v19, v2 :: v_dual_fmac_f32 v22, v21, v4
	v_fma_f32 v3, v18, v2, -v3
	v_mul_f32_e32 v2, v25, v7
	s_wait_loadcnt_dscnt 0x201
	v_dual_mul_f32 v116, v104, v11 :: v_dual_mul_f32 v117, v106, v13
	s_delay_alu instid0(VALU_DEP_3) | instskip(NEXT) | instid1(VALU_DEP_3)
	v_dual_fmac_f32 v114, v25, v6 :: v_dual_add_f32 v3, 0, v3
	v_fma_f32 v2, v24, v6, -v2
	v_mul_f32_e32 v5, v21, v5
	s_delay_alu instid0(VALU_DEP_4) | instskip(SKIP_2) | instid1(VALU_DEP_3)
	v_dual_fmac_f32 v116, v105, v10 :: v_dual_add_f32 v1, 0, v1
	s_wait_loadcnt_dscnt 0x100
	v_dual_mul_f32 v118, v108, v15 :: v_dual_mul_f32 v119, v110, v17
	v_fma_f32 v4, v20, v4, -v5
	v_mul_f32_e32 v5, v27, v9
	s_delay_alu instid0(VALU_DEP_3) | instskip(NEXT) | instid1(VALU_DEP_4)
	v_dual_fmac_f32 v115, v27, v8 :: v_dual_fmac_f32 v118, v109, v14
	v_fmac_f32_e32 v119, v111, v16
	s_delay_alu instid0(VALU_DEP_3) | instskip(SKIP_1) | instid1(VALU_DEP_1)
	v_fma_f32 v5, v26, v8, -v5
	v_dual_add_f32 v3, v3, v4 :: v_dual_mul_f32 v4, v105, v11
	v_add_f32_e32 v2, v3, v2
	v_mul_f32_e32 v3, v107, v13
	s_delay_alu instid0(VALU_DEP_3) | instskip(NEXT) | instid1(VALU_DEP_3)
	v_fma_f32 v4, v104, v10, -v4
	v_dual_add_f32 v2, v2, v5 :: v_dual_add_f32 v1, v1, v22
	v_mul_f32_e32 v5, v109, v15
	s_delay_alu instid0(VALU_DEP_4) | instskip(NEXT) | instid1(VALU_DEP_3)
	v_fma_f32 v3, v106, v12, -v3
	v_dual_add_f32 v2, v2, v4 :: v_dual_add_f32 v1, v1, v114
	v_mul_f32_e32 v4, v111, v17
	v_fmac_f32_e32 v117, v107, v12
	v_fma_f32 v5, v108, v14, -v5
	s_delay_alu instid0(VALU_DEP_4) | instskip(SKIP_2) | instid1(VALU_DEP_2)
	v_add_f32_e32 v2, v2, v3
	v_add_f32_e32 v1, v1, v115
	v_fma_f32 v3, v110, v16, -v4
	v_dual_add_f32 v2, v2, v5 :: v_dual_add_f32 v1, v1, v116
	s_delay_alu instid0(VALU_DEP_1) | instskip(NEXT) | instid1(VALU_DEP_1)
	v_dual_add_f32 v2, v2, v3 :: v_dual_add_f32 v1, v1, v117
	v_add_f32_e32 v1, v1, v118
	s_delay_alu instid0(VALU_DEP_1) | instskip(SKIP_1) | instid1(VALU_DEP_1)
	v_add_f32_e32 v3, v1, v119
	s_wait_loadcnt 0x0
	v_dual_sub_f32 v1, v112, v2 :: v_dual_sub_f32 v2, v113, v3
	scratch_store_b64 off, v[1:2], off offset:232
	v_cmpx_lt_u32_e32 28, v0
	s_cbranch_execz .LBB37_185
; %bb.184:
	scratch_load_b64 v[1:2], off, off offset:224
	v_mov_b32_e32 v3, 0
	s_delay_alu instid0(VALU_DEP_1)
	v_mov_b32_e32 v4, v3
	scratch_store_b64 off, v[3:4], off offset:224
	s_wait_loadcnt 0x0
	ds_store_b64 v23, v[1:2]
.LBB37_185:
	s_wait_alu 0xfffe
	s_or_b32 exec_lo, exec_lo, s0
	s_wait_storecnt_dscnt 0x0
	s_barrier_signal -1
	s_barrier_wait -1
	global_inv scope:SCOPE_SE
	s_clause 0x5
	scratch_load_b128 v[2:5], off, off offset:232
	scratch_load_b128 v[6:9], off, off offset:248
	;; [unrolled: 1-line block ×4, first 2 shown]
	scratch_load_b64 v[112:113], off, off offset:296
	scratch_load_b64 v[114:115], off, off offset:224
	v_mov_b32_e32 v1, 0
	ds_load_2addr_b64 v[18:21], v1 offset0:67 offset1:68
	ds_load_2addr_b64 v[24:27], v1 offset0:69 offset1:70
	;; [unrolled: 1-line block ×4, first 2 shown]
	ds_load_b64 v[116:117], v1 offset:600
	s_mov_b32 s0, exec_lo
	s_wait_loadcnt_dscnt 0x504
	v_mul_f32_e32 v22, v18, v3
	v_dual_mul_f32 v118, v20, v5 :: v_dual_mul_f32 v3, v19, v3
	s_wait_loadcnt_dscnt 0x403
	v_dual_mul_f32 v119, v24, v7 :: v_dual_mul_f32 v120, v26, v9
	v_mul_f32_e32 v5, v21, v5
	s_wait_loadcnt_dscnt 0x100
	v_dual_mul_f32 v125, v116, v113 :: v_dual_fmac_f32 v22, v19, v2
	v_fma_f32 v3, v18, v2, -v3
	v_mul_f32_e32 v2, v25, v7
	v_fmac_f32_e32 v118, v21, v4
	v_fmac_f32_e32 v120, v27, v8
	v_fma_f32 v4, v20, v4, -v5
	v_add_f32_e32 v3, 0, v3
	v_add_f32_e32 v5, 0, v22
	v_mul_f32_e32 v7, v27, v9
	v_fma_f32 v2, v24, v6, -v2
	v_fmac_f32_e32 v119, v25, v6
	s_delay_alu instid0(VALU_DEP_4) | instskip(SKIP_3) | instid1(VALU_DEP_4)
	v_dual_add_f32 v3, v3, v4 :: v_dual_add_f32 v4, v5, v118
	v_mul_f32_e32 v5, v105, v11
	v_fma_f32 v6, v26, v8, -v7
	v_dual_mul_f32 v121, v104, v11 :: v_dual_mul_f32 v122, v106, v13
	v_dual_add_f32 v2, v3, v2 :: v_dual_add_f32 v3, v4, v119
	v_mul_f32_e32 v4, v107, v13
	v_fma_f32 v5, v104, v10, -v5
	s_delay_alu instid0(VALU_DEP_4) | instskip(NEXT) | instid1(VALU_DEP_4)
	v_fmac_f32_e32 v122, v107, v12
	v_add_f32_e32 v2, v2, v6
	v_fmac_f32_e32 v121, v105, v10
	v_dual_add_f32 v3, v3, v120 :: v_dual_mul_f32 v6, v109, v15
	v_fma_f32 v4, v106, v12, -v4
	s_delay_alu instid0(VALU_DEP_4) | instskip(SKIP_1) | instid1(VALU_DEP_4)
	v_dual_add_f32 v2, v2, v5 :: v_dual_mul_f32 v123, v108, v15
	v_mul_f32_e32 v124, v110, v17
	v_add_f32_e32 v3, v3, v121
	v_fma_f32 v6, v108, v14, -v6
	s_delay_alu instid0(VALU_DEP_4) | instskip(NEXT) | instid1(VALU_DEP_4)
	v_dual_add_f32 v2, v2, v4 :: v_dual_mul_f32 v5, v111, v17
	v_dual_fmac_f32 v123, v109, v14 :: v_dual_fmac_f32 v124, v111, v16
	s_delay_alu instid0(VALU_DEP_4) | instskip(NEXT) | instid1(VALU_DEP_3)
	v_dual_add_f32 v3, v3, v122 :: v_dual_mul_f32 v4, v117, v113
	v_add_f32_e32 v2, v2, v6
	s_delay_alu instid0(VALU_DEP_4) | instskip(NEXT) | instid1(VALU_DEP_3)
	v_fma_f32 v5, v110, v16, -v5
	v_add_f32_e32 v3, v3, v123
	s_delay_alu instid0(VALU_DEP_4) | instskip(NEXT) | instid1(VALU_DEP_2)
	v_fma_f32 v4, v116, v112, -v4
	v_dual_add_f32 v2, v2, v5 :: v_dual_add_f32 v3, v3, v124
	s_delay_alu instid0(VALU_DEP_1) | instskip(SKIP_1) | instid1(VALU_DEP_1)
	v_add_f32_e32 v2, v2, v4
	s_wait_loadcnt 0x0
	v_dual_fmac_f32 v125, v117, v112 :: v_dual_sub_f32 v2, v114, v2
	s_delay_alu instid0(VALU_DEP_1) | instskip(NEXT) | instid1(VALU_DEP_1)
	v_add_f32_e32 v3, v3, v125
	v_sub_f32_e32 v3, v115, v3
	scratch_store_b64 off, v[2:3], off offset:224
	v_cmpx_lt_u32_e32 27, v0
	s_cbranch_execz .LBB37_187
; %bb.186:
	scratch_load_b64 v[3:4], off, off offset:216
	v_mov_b32_e32 v2, v1
	scratch_store_b64 off, v[1:2], off offset:216
	s_wait_loadcnt 0x0
	ds_store_b64 v23, v[3:4]
.LBB37_187:
	s_wait_alu 0xfffe
	s_or_b32 exec_lo, exec_lo, s0
	s_wait_storecnt_dscnt 0x0
	s_barrier_signal -1
	s_barrier_wait -1
	global_inv scope:SCOPE_SE
	s_clause 0x5
	scratch_load_b128 v[2:5], off, off offset:224
	scratch_load_b128 v[6:9], off, off offset:240
	;; [unrolled: 1-line block ×5, first 2 shown]
	scratch_load_b64 v[120:121], off, off offset:216
	ds_load_b128 v[24:27], v1 offset:528
	ds_load_b128 v[104:107], v1 offset:544
	;; [unrolled: 1-line block ×5, first 2 shown]
	s_mov_b32 s0, exec_lo
	s_wait_loadcnt_dscnt 0x504
	v_dual_mul_f32 v1, v24, v3 :: v_dual_mul_f32 v22, v26, v5
	v_mul_f32_e32 v3, v25, v3
	s_wait_loadcnt_dscnt 0x403
	v_dual_mul_f32 v5, v27, v5 :: v_dual_mul_f32 v122, v104, v7
	s_delay_alu instid0(VALU_DEP_3) | instskip(NEXT) | instid1(VALU_DEP_3)
	v_dual_mul_f32 v123, v106, v9 :: v_dual_fmac_f32 v22, v27, v4
	v_fma_f32 v3, v24, v2, -v3
	v_fmac_f32_e32 v1, v25, v2
	v_mul_f32_e32 v2, v105, v7
	v_fma_f32 v4, v26, v4, -v5
	s_wait_loadcnt_dscnt 0x302
	v_dual_mul_f32 v124, v108, v11 :: v_dual_mul_f32 v125, v110, v13
	v_dual_add_f32 v3, 0, v3 :: v_dual_fmac_f32 v122, v105, v6
	s_wait_loadcnt_dscnt 0x201
	v_dual_mul_f32 v126, v112, v15 :: v_dual_mul_f32 v127, v114, v17
	s_delay_alu instid0(VALU_DEP_3) | instskip(SKIP_1) | instid1(VALU_DEP_3)
	v_dual_mul_f32 v5, v107, v9 :: v_dual_fmac_f32 v124, v109, v10
	v_fma_f32 v2, v104, v6, -v2
	v_dual_add_f32 v3, v3, v4 :: v_dual_fmac_f32 v126, v113, v14
	s_delay_alu instid0(VALU_DEP_3)
	v_fma_f32 v5, v106, v8, -v5
	v_mul_f32_e32 v4, v109, v11
	s_wait_loadcnt_dscnt 0x100
	v_dual_mul_f32 v128, v116, v19 :: v_dual_mul_f32 v129, v118, v21
	v_add_f32_e32 v2, v3, v2
	v_mul_f32_e32 v3, v111, v13
	v_fma_f32 v4, v108, v10, -v4
	s_delay_alu instid0(VALU_DEP_4) | instskip(NEXT) | instid1(VALU_DEP_4)
	v_dual_fmac_f32 v128, v117, v18 :: v_dual_fmac_f32 v127, v115, v16
	v_add_f32_e32 v2, v2, v5
	v_add_f32_e32 v1, 0, v1
	v_fma_f32 v3, v110, v12, -v3
	v_fmac_f32_e32 v129, v119, v20
	s_delay_alu instid0(VALU_DEP_3) | instskip(SKIP_1) | instid1(VALU_DEP_2)
	v_dual_add_f32 v2, v2, v4 :: v_dual_add_f32 v1, v1, v22
	v_mul_f32_e32 v4, v115, v17
	v_dual_fmac_f32 v123, v107, v8 :: v_dual_add_f32 v2, v2, v3
	s_delay_alu instid0(VALU_DEP_3) | instskip(NEXT) | instid1(VALU_DEP_3)
	v_add_f32_e32 v1, v1, v122
	v_fma_f32 v4, v114, v16, -v4
	v_mul_f32_e32 v5, v113, v15
	v_mul_f32_e32 v3, v117, v19
	s_delay_alu instid0(VALU_DEP_4) | instskip(NEXT) | instid1(VALU_DEP_3)
	v_add_f32_e32 v1, v1, v123
	v_fma_f32 v5, v112, v14, -v5
	v_fmac_f32_e32 v125, v111, v12
	s_delay_alu instid0(VALU_DEP_4) | instskip(NEXT) | instid1(VALU_DEP_3)
	v_fma_f32 v3, v116, v18, -v3
	v_add_f32_e32 v2, v2, v5
	s_delay_alu instid0(VALU_DEP_1) | instskip(SKIP_1) | instid1(VALU_DEP_2)
	v_dual_mul_f32 v5, v119, v21 :: v_dual_add_f32 v2, v2, v4
	v_add_f32_e32 v1, v1, v124
	v_fma_f32 v4, v118, v20, -v5
	s_delay_alu instid0(VALU_DEP_2) | instskip(NEXT) | instid1(VALU_DEP_1)
	v_dual_add_f32 v2, v2, v3 :: v_dual_add_f32 v1, v1, v125
	v_dual_add_f32 v2, v2, v4 :: v_dual_add_f32 v1, v1, v126
	s_delay_alu instid0(VALU_DEP_1) | instskip(NEXT) | instid1(VALU_DEP_1)
	v_add_f32_e32 v1, v1, v127
	v_add_f32_e32 v1, v1, v128
	s_delay_alu instid0(VALU_DEP_1) | instskip(SKIP_1) | instid1(VALU_DEP_1)
	v_add_f32_e32 v3, v1, v129
	s_wait_loadcnt 0x0
	v_dual_sub_f32 v1, v120, v2 :: v_dual_sub_f32 v2, v121, v3
	scratch_store_b64 off, v[1:2], off offset:216
	v_cmpx_lt_u32_e32 26, v0
	s_cbranch_execz .LBB37_189
; %bb.188:
	scratch_load_b64 v[1:2], off, off offset:208
	v_mov_b32_e32 v3, 0
	s_delay_alu instid0(VALU_DEP_1)
	v_mov_b32_e32 v4, v3
	scratch_store_b64 off, v[3:4], off offset:208
	s_wait_loadcnt 0x0
	ds_store_b64 v23, v[1:2]
.LBB37_189:
	s_wait_alu 0xfffe
	s_or_b32 exec_lo, exec_lo, s0
	s_wait_storecnt_dscnt 0x0
	s_barrier_signal -1
	s_barrier_wait -1
	global_inv scope:SCOPE_SE
	s_clause 0x6
	scratch_load_b128 v[2:5], off, off offset:216
	scratch_load_b128 v[6:9], off, off offset:232
	;; [unrolled: 1-line block ×5, first 2 shown]
	scratch_load_b64 v[120:121], off, off offset:296
	scratch_load_b64 v[122:123], off, off offset:208
	v_mov_b32_e32 v1, 0
	ds_load_2addr_b64 v[24:27], v1 offset0:65 offset1:66
	ds_load_2addr_b64 v[104:107], v1 offset0:67 offset1:68
	;; [unrolled: 1-line block ×5, first 2 shown]
	ds_load_b64 v[124:125], v1 offset:600
	s_mov_b32 s0, exec_lo
	s_wait_loadcnt_dscnt 0x605
	v_mul_f32_e32 v22, v24, v3
	v_dual_mul_f32 v3, v25, v3 :: v_dual_mul_f32 v126, v26, v5
	s_wait_loadcnt_dscnt 0x302
	v_dual_mul_f32 v127, v104, v7 :: v_dual_mul_f32 v132, v114, v17
	v_mul_f32_e32 v5, v27, v5
	s_delay_alu instid0(VALU_DEP_3)
	v_fma_f32 v3, v24, v2, -v3
	v_dual_mul_f32 v128, v106, v9 :: v_dual_mul_f32 v129, v108, v11
	s_wait_loadcnt_dscnt 0x100
	v_dual_mul_f32 v135, v124, v121 :: v_dual_fmac_f32 v22, v25, v2
	v_mul_f32_e32 v2, v105, v7
	v_dual_fmac_f32 v126, v27, v4 :: v_dual_add_f32 v3, 0, v3
	v_fma_f32 v4, v26, v4, -v5
	s_delay_alu instid0(VALU_DEP_4) | instskip(SKIP_2) | instid1(VALU_DEP_4)
	v_dual_add_f32 v5, 0, v22 :: v_dual_fmac_f32 v128, v107, v8
	v_mul_f32_e32 v7, v107, v9
	v_fma_f32 v2, v104, v6, -v2
	v_add_f32_e32 v3, v3, v4
	v_fmac_f32_e32 v127, v105, v6
	v_add_f32_e32 v4, v5, v126
	v_mul_f32_e32 v5, v109, v11
	v_fma_f32 v6, v106, v8, -v7
	v_add_f32_e32 v2, v3, v2
	v_dual_mul_f32 v130, v110, v13 :: v_dual_mul_f32 v131, v112, v15
	v_dual_add_f32 v3, v4, v127 :: v_dual_mul_f32 v4, v111, v13
	v_fma_f32 v5, v108, v10, -v5
	s_delay_alu instid0(VALU_DEP_4)
	v_add_f32_e32 v2, v2, v6
	v_fmac_f32_e32 v129, v109, v10
	v_mul_f32_e32 v6, v113, v15
	v_fmac_f32_e32 v130, v111, v12
	v_add_f32_e32 v3, v3, v128
	v_fma_f32 v4, v110, v12, -v4
	v_add_f32_e32 v2, v2, v5
	v_mul_f32_e32 v5, v115, v17
	v_fma_f32 v6, v112, v14, -v6
	v_add_f32_e32 v3, v3, v129
	v_dual_fmac_f32 v131, v113, v14 :: v_dual_fmac_f32 v132, v115, v16
	v_add_f32_e32 v2, v2, v4
	v_mul_f32_e32 v4, v117, v19
	v_fma_f32 v5, v114, v16, -v5
	v_dual_mul_f32 v133, v116, v19 :: v_dual_mul_f32 v134, v118, v21
	s_delay_alu instid0(VALU_DEP_4) | instskip(SKIP_1) | instid1(VALU_DEP_3)
	v_add_f32_e32 v2, v2, v6
	v_add_f32_e32 v3, v3, v130
	v_dual_mul_f32 v6, v119, v21 :: v_dual_fmac_f32 v133, v117, v18
	v_fma_f32 v4, v116, v18, -v4
	s_delay_alu instid0(VALU_DEP_3) | instskip(SKIP_1) | instid1(VALU_DEP_4)
	v_dual_add_f32 v2, v2, v5 :: v_dual_add_f32 v3, v3, v131
	v_dual_mul_f32 v5, v125, v121 :: v_dual_fmac_f32 v134, v119, v20
	v_fma_f32 v6, v118, v20, -v6
	s_delay_alu instid0(VALU_DEP_3) | instskip(NEXT) | instid1(VALU_DEP_4)
	v_add_f32_e32 v2, v2, v4
	v_add_f32_e32 v3, v3, v132
	s_delay_alu instid0(VALU_DEP_4) | instskip(NEXT) | instid1(VALU_DEP_2)
	v_fma_f32 v4, v124, v120, -v5
	v_dual_add_f32 v2, v2, v6 :: v_dual_add_f32 v3, v3, v133
	s_delay_alu instid0(VALU_DEP_1) | instskip(SKIP_1) | instid1(VALU_DEP_1)
	v_dual_add_f32 v2, v2, v4 :: v_dual_add_f32 v3, v3, v134
	s_wait_loadcnt 0x0
	v_dual_fmac_f32 v135, v125, v120 :: v_dual_sub_f32 v2, v122, v2
	s_delay_alu instid0(VALU_DEP_1) | instskip(NEXT) | instid1(VALU_DEP_1)
	v_add_f32_e32 v3, v3, v135
	v_sub_f32_e32 v3, v123, v3
	scratch_store_b64 off, v[2:3], off offset:208
	v_cmpx_lt_u32_e32 25, v0
	s_cbranch_execz .LBB37_191
; %bb.190:
	scratch_load_b64 v[3:4], off, off offset:200
	v_mov_b32_e32 v2, v1
	scratch_store_b64 off, v[1:2], off offset:200
	s_wait_loadcnt 0x0
	ds_store_b64 v23, v[3:4]
.LBB37_191:
	s_wait_alu 0xfffe
	s_or_b32 exec_lo, exec_lo, s0
	s_wait_storecnt_dscnt 0x0
	s_barrier_signal -1
	s_barrier_wait -1
	global_inv scope:SCOPE_SE
	s_clause 0x6
	scratch_load_b128 v[2:5], off, off offset:208
	scratch_load_b128 v[6:9], off, off offset:224
	;; [unrolled: 1-line block ×6, first 2 shown]
	scratch_load_b64 v[128:129], off, off offset:200
	ds_load_b128 v[104:107], v1 offset:512
	ds_load_b128 v[108:111], v1 offset:528
	;; [unrolled: 1-line block ×6, first 2 shown]
	s_mov_b32 s0, exec_lo
	s_wait_loadcnt_dscnt 0x605
	v_dual_mul_f32 v1, v104, v3 :: v_dual_mul_f32 v22, v106, v5
	v_mul_f32_e32 v3, v105, v3
	s_wait_loadcnt_dscnt 0x504
	v_dual_mul_f32 v5, v107, v5 :: v_dual_mul_f32 v130, v108, v7
	v_mul_f32_e32 v131, v110, v9
	s_wait_loadcnt_dscnt 0x100
	v_mul_f32_e32 v138, v124, v25
	v_fma_f32 v3, v104, v2, -v3
	v_dual_mul_f32 v139, v126, v27 :: v_dual_fmac_f32 v22, v107, v4
	v_fmac_f32_e32 v1, v105, v2
	v_mul_f32_e32 v2, v109, v7
	v_fma_f32 v4, v106, v4, -v5
	v_dual_add_f32 v3, 0, v3 :: v_dual_fmac_f32 v130, v109, v6
	v_dual_mul_f32 v132, v112, v11 :: v_dual_mul_f32 v133, v114, v13
	v_dual_mul_f32 v134, v116, v15 :: v_dual_mul_f32 v135, v118, v17
	s_delay_alu instid0(VALU_DEP_2) | instskip(SKIP_1) | instid1(VALU_DEP_3)
	v_dual_mul_f32 v5, v111, v9 :: v_dual_fmac_f32 v132, v113, v10
	v_fma_f32 v2, v108, v6, -v2
	v_dual_add_f32 v3, v3, v4 :: v_dual_fmac_f32 v134, v117, v14
	s_delay_alu instid0(VALU_DEP_3) | instskip(SKIP_2) | instid1(VALU_DEP_4)
	v_fma_f32 v5, v110, v8, -v5
	v_mul_f32_e32 v4, v113, v11
	v_dual_mul_f32 v136, v120, v19 :: v_dual_mul_f32 v137, v122, v21
	v_add_f32_e32 v2, v3, v2
	v_mul_f32_e32 v3, v115, v13
	s_delay_alu instid0(VALU_DEP_4) | instskip(NEXT) | instid1(VALU_DEP_4)
	v_fma_f32 v4, v112, v10, -v4
	v_dual_fmac_f32 v136, v121, v18 :: v_dual_fmac_f32 v135, v119, v16
	s_delay_alu instid0(VALU_DEP_4) | instskip(SKIP_3) | instid1(VALU_DEP_4)
	v_add_f32_e32 v2, v2, v5
	v_add_f32_e32 v1, 0, v1
	v_fma_f32 v3, v114, v12, -v3
	v_fmac_f32_e32 v137, v123, v20
	v_dual_fmac_f32 v139, v127, v26 :: v_dual_add_f32 v2, v2, v4
	s_delay_alu instid0(VALU_DEP_4) | instskip(SKIP_2) | instid1(VALU_DEP_3)
	v_dual_add_f32 v1, v1, v22 :: v_dual_mul_f32 v4, v119, v17
	v_fmac_f32_e32 v131, v111, v8
	v_fmac_f32_e32 v138, v125, v24
	v_dual_add_f32 v2, v2, v3 :: v_dual_add_f32 v1, v1, v130
	s_delay_alu instid0(VALU_DEP_4) | instskip(SKIP_1) | instid1(VALU_DEP_3)
	v_fma_f32 v4, v118, v16, -v4
	v_mul_f32_e32 v5, v117, v15
	v_add_f32_e32 v1, v1, v131
	s_delay_alu instid0(VALU_DEP_2) | instskip(NEXT) | instid1(VALU_DEP_1)
	v_fma_f32 v5, v116, v14, -v5
	v_dual_fmac_f32 v133, v115, v12 :: v_dual_add_f32 v2, v2, v5
	s_delay_alu instid0(VALU_DEP_1) | instskip(NEXT) | instid1(VALU_DEP_1)
	v_dual_mul_f32 v5, v123, v21 :: v_dual_add_f32 v2, v2, v4
	v_fma_f32 v5, v122, v20, -v5
	v_mul_f32_e32 v3, v121, v19
	v_mul_f32_e32 v4, v125, v25
	s_delay_alu instid0(VALU_DEP_2) | instskip(SKIP_1) | instid1(VALU_DEP_3)
	v_fma_f32 v3, v120, v18, -v3
	v_add_f32_e32 v1, v1, v132
	v_fma_f32 v4, v124, v24, -v4
	s_delay_alu instid0(VALU_DEP_3) | instskip(NEXT) | instid1(VALU_DEP_1)
	v_add_f32_e32 v2, v2, v3
	v_dual_mul_f32 v3, v127, v27 :: v_dual_add_f32 v2, v2, v5
	s_delay_alu instid0(VALU_DEP_4) | instskip(NEXT) | instid1(VALU_DEP_2)
	v_add_f32_e32 v1, v1, v133
	v_fma_f32 v3, v126, v26, -v3
	s_delay_alu instid0(VALU_DEP_2) | instskip(NEXT) | instid1(VALU_DEP_1)
	v_dual_add_f32 v2, v2, v4 :: v_dual_add_f32 v1, v1, v134
	v_add_f32_e32 v2, v2, v3
	s_delay_alu instid0(VALU_DEP_2) | instskip(NEXT) | instid1(VALU_DEP_1)
	v_add_f32_e32 v1, v1, v135
	v_add_f32_e32 v1, v1, v136
	s_delay_alu instid0(VALU_DEP_1) | instskip(NEXT) | instid1(VALU_DEP_1)
	v_add_f32_e32 v1, v1, v137
	v_add_f32_e32 v1, v1, v138
	s_delay_alu instid0(VALU_DEP_1) | instskip(SKIP_1) | instid1(VALU_DEP_1)
	v_add_f32_e32 v3, v1, v139
	s_wait_loadcnt 0x0
	v_dual_sub_f32 v1, v128, v2 :: v_dual_sub_f32 v2, v129, v3
	scratch_store_b64 off, v[1:2], off offset:200
	v_cmpx_lt_u32_e32 24, v0
	s_cbranch_execz .LBB37_193
; %bb.192:
	scratch_load_b64 v[1:2], off, off offset:192
	v_mov_b32_e32 v3, 0
	s_delay_alu instid0(VALU_DEP_1)
	v_mov_b32_e32 v4, v3
	scratch_store_b64 off, v[3:4], off offset:192
	s_wait_loadcnt 0x0
	ds_store_b64 v23, v[1:2]
.LBB37_193:
	s_wait_alu 0xfffe
	s_or_b32 exec_lo, exec_lo, s0
	s_wait_storecnt_dscnt 0x0
	s_barrier_signal -1
	s_barrier_wait -1
	global_inv scope:SCOPE_SE
	s_clause 0x7
	scratch_load_b128 v[2:5], off, off offset:200
	scratch_load_b128 v[6:9], off, off offset:216
	;; [unrolled: 1-line block ×6, first 2 shown]
	scratch_load_b64 v[128:129], off, off offset:296
	scratch_load_b64 v[130:131], off, off offset:192
	v_mov_b32_e32 v1, 0
	ds_load_2addr_b64 v[104:107], v1 offset0:63 offset1:64
	ds_load_2addr_b64 v[108:111], v1 offset0:65 offset1:66
	;; [unrolled: 1-line block ×6, first 2 shown]
	ds_load_b64 v[132:133], v1 offset:600
	s_mov_b32 s0, exec_lo
	s_wait_loadcnt_dscnt 0x706
	v_mul_f32_e32 v22, v104, v3
	v_dual_mul_f32 v3, v105, v3 :: v_dual_mul_f32 v134, v106, v5
	s_wait_loadcnt_dscnt 0x302
	v_dual_mul_f32 v135, v108, v7 :: v_dual_mul_f32 v142, v122, v21
	v_mul_f32_e32 v5, v107, v5
	s_delay_alu instid0(VALU_DEP_3)
	v_fma_f32 v3, v104, v2, -v3
	v_dual_mul_f32 v136, v110, v9 :: v_dual_mul_f32 v137, v112, v11
	s_wait_loadcnt_dscnt 0x100
	v_dual_mul_f32 v145, v132, v129 :: v_dual_fmac_f32 v22, v105, v2
	v_mul_f32_e32 v2, v109, v7
	v_dual_fmac_f32 v134, v107, v4 :: v_dual_add_f32 v3, 0, v3
	v_fma_f32 v4, v106, v4, -v5
	s_delay_alu instid0(VALU_DEP_4) | instskip(SKIP_2) | instid1(VALU_DEP_4)
	v_dual_add_f32 v5, 0, v22 :: v_dual_fmac_f32 v136, v111, v8
	v_mul_f32_e32 v7, v111, v9
	v_fma_f32 v2, v108, v6, -v2
	v_add_f32_e32 v3, v3, v4
	v_fmac_f32_e32 v135, v109, v6
	v_add_f32_e32 v4, v5, v134
	v_mul_f32_e32 v5, v113, v11
	v_fma_f32 v6, v110, v8, -v7
	v_add_f32_e32 v2, v3, v2
	v_dual_mul_f32 v138, v114, v13 :: v_dual_mul_f32 v139, v116, v15
	v_dual_add_f32 v3, v4, v135 :: v_dual_mul_f32 v4, v115, v13
	v_fma_f32 v5, v112, v10, -v5
	s_delay_alu instid0(VALU_DEP_4)
	v_add_f32_e32 v2, v2, v6
	v_fmac_f32_e32 v137, v113, v10
	v_mul_f32_e32 v6, v117, v15
	v_fmac_f32_e32 v138, v115, v12
	v_add_f32_e32 v3, v3, v136
	v_fma_f32 v4, v114, v12, -v4
	v_add_f32_e32 v2, v2, v5
	v_dual_mul_f32 v140, v118, v17 :: v_dual_mul_f32 v141, v120, v19
	s_delay_alu instid0(VALU_DEP_4)
	v_add_f32_e32 v3, v3, v137
	v_mul_f32_e32 v5, v119, v17
	v_fma_f32 v6, v116, v14, -v6
	v_dual_add_f32 v2, v2, v4 :: v_dual_fmac_f32 v139, v117, v14
	v_fmac_f32_e32 v140, v119, v16
	v_mul_f32_e32 v4, v121, v19
	v_fma_f32 v5, v118, v16, -v5
	s_delay_alu instid0(VALU_DEP_4) | instskip(SKIP_3) | instid1(VALU_DEP_3)
	v_add_f32_e32 v2, v2, v6
	v_add_f32_e32 v3, v3, v138
	v_dual_mul_f32 v6, v123, v21 :: v_dual_fmac_f32 v141, v121, v18
	v_fma_f32 v4, v120, v18, -v4
	v_dual_add_f32 v2, v2, v5 :: v_dual_add_f32 v3, v3, v139
	s_delay_alu instid0(VALU_DEP_3) | instskip(SKIP_1) | instid1(VALU_DEP_3)
	v_fma_f32 v6, v122, v20, -v6
	v_dual_mul_f32 v143, v124, v25 :: v_dual_mul_f32 v144, v126, v27
	v_add_f32_e32 v2, v2, v4
	s_delay_alu instid0(VALU_DEP_4) | instskip(SKIP_1) | instid1(VALU_DEP_4)
	v_add_f32_e32 v3, v3, v140
	v_dual_mul_f32 v5, v125, v25 :: v_dual_fmac_f32 v142, v123, v20
	v_dual_mul_f32 v4, v127, v27 :: v_dual_fmac_f32 v143, v125, v24
	s_delay_alu instid0(VALU_DEP_3) | instskip(NEXT) | instid1(VALU_DEP_3)
	v_dual_add_f32 v2, v2, v6 :: v_dual_add_f32 v3, v3, v141
	v_fma_f32 v5, v124, v24, -v5
	v_mul_f32_e32 v6, v133, v129
	v_dual_fmac_f32 v144, v127, v26 :: v_dual_fmac_f32 v145, v133, v128
	s_delay_alu instid0(VALU_DEP_4) | instskip(SKIP_3) | instid1(VALU_DEP_4)
	v_add_f32_e32 v3, v3, v142
	v_fma_f32 v4, v126, v26, -v4
	v_add_f32_e32 v2, v2, v5
	v_fma_f32 v5, v132, v128, -v6
	v_add_f32_e32 v3, v3, v143
	s_delay_alu instid0(VALU_DEP_1) | instskip(NEXT) | instid1(VALU_DEP_1)
	v_add_f32_e32 v3, v3, v144
	v_dual_add_f32 v2, v2, v4 :: v_dual_add_f32 v3, v3, v145
	s_wait_loadcnt 0x0
	s_delay_alu instid0(VALU_DEP_1) | instskip(NEXT) | instid1(VALU_DEP_1)
	v_dual_add_f32 v2, v2, v5 :: v_dual_sub_f32 v3, v131, v3
	v_sub_f32_e32 v2, v130, v2
	scratch_store_b64 off, v[2:3], off offset:192
	v_cmpx_lt_u32_e32 23, v0
	s_cbranch_execz .LBB37_195
; %bb.194:
	scratch_load_b64 v[3:4], off, off offset:184
	v_mov_b32_e32 v2, v1
	scratch_store_b64 off, v[1:2], off offset:184
	s_wait_loadcnt 0x0
	ds_store_b64 v23, v[3:4]
.LBB37_195:
	s_wait_alu 0xfffe
	s_or_b32 exec_lo, exec_lo, s0
	s_wait_storecnt_dscnt 0x0
	s_barrier_signal -1
	s_barrier_wait -1
	global_inv scope:SCOPE_SE
	s_clause 0x7
	scratch_load_b128 v[2:5], off, off offset:192
	scratch_load_b128 v[6:9], off, off offset:208
	;; [unrolled: 1-line block ×7, first 2 shown]
	scratch_load_b64 v[136:137], off, off offset:184
	ds_load_b128 v[108:111], v1 offset:496
	ds_load_b128 v[112:115], v1 offset:512
	;; [unrolled: 1-line block ×7, first 2 shown]
	s_mov_b32 s0, exec_lo
	s_wait_loadcnt_dscnt 0x706
	v_dual_mul_f32 v1, v108, v3 :: v_dual_mul_f32 v22, v110, v5
	v_mul_f32_e32 v3, v109, v3
	s_wait_loadcnt_dscnt 0x605
	v_dual_mul_f32 v5, v111, v5 :: v_dual_mul_f32 v138, v112, v7
	v_mul_f32_e32 v139, v114, v9
	s_wait_loadcnt_dscnt 0x201
	v_mul_f32_e32 v146, v128, v25
	v_fma_f32 v3, v108, v2, -v3
	s_wait_loadcnt_dscnt 0x100
	v_dual_mul_f32 v149, v134, v107 :: v_dual_fmac_f32 v22, v111, v4
	v_fmac_f32_e32 v1, v109, v2
	v_mul_f32_e32 v2, v113, v7
	v_fma_f32 v4, v110, v4, -v5
	v_dual_add_f32 v3, 0, v3 :: v_dual_fmac_f32 v138, v113, v6
	v_dual_mul_f32 v140, v116, v11 :: v_dual_mul_f32 v141, v118, v13
	v_dual_mul_f32 v142, v120, v15 :: v_dual_mul_f32 v143, v122, v17
	s_delay_alu instid0(VALU_DEP_2) | instskip(SKIP_1) | instid1(VALU_DEP_3)
	v_dual_mul_f32 v5, v115, v9 :: v_dual_fmac_f32 v140, v117, v10
	v_fma_f32 v2, v112, v6, -v2
	v_dual_add_f32 v3, v3, v4 :: v_dual_fmac_f32 v142, v121, v14
	s_delay_alu instid0(VALU_DEP_3) | instskip(SKIP_1) | instid1(VALU_DEP_3)
	v_fma_f32 v5, v114, v8, -v5
	v_dual_mul_f32 v144, v124, v19 :: v_dual_mul_f32 v145, v126, v21
	v_add_f32_e32 v2, v3, v2
	v_dual_mul_f32 v4, v117, v11 :: v_dual_mul_f32 v3, v119, v13
	s_delay_alu instid0(VALU_DEP_3) | instskip(NEXT) | instid1(VALU_DEP_3)
	v_dual_fmac_f32 v144, v125, v18 :: v_dual_fmac_f32 v143, v123, v16
	v_add_f32_e32 v2, v2, v5
	v_add_f32_e32 v1, 0, v1
	s_delay_alu instid0(VALU_DEP_4) | instskip(SKIP_2) | instid1(VALU_DEP_3)
	v_fma_f32 v4, v116, v10, -v4
	v_fma_f32 v3, v118, v12, -v3
	v_dual_mul_f32 v147, v130, v27 :: v_dual_mul_f32 v148, v132, v105
	v_dual_add_f32 v1, v1, v22 :: v_dual_add_f32 v2, v2, v4
	v_mul_f32_e32 v4, v123, v17
	v_fmac_f32_e32 v139, v115, v8
	s_delay_alu instid0(VALU_DEP_4) | instskip(NEXT) | instid1(VALU_DEP_4)
	v_fmac_f32_e32 v147, v131, v26
	v_dual_add_f32 v1, v1, v138 :: v_dual_add_f32 v2, v2, v3
	s_delay_alu instid0(VALU_DEP_4) | instskip(SKIP_2) | instid1(VALU_DEP_4)
	v_fma_f32 v4, v122, v16, -v4
	v_mul_f32_e32 v5, v121, v15
	v_fmac_f32_e32 v149, v135, v106
	v_add_f32_e32 v1, v1, v139
	v_fmac_f32_e32 v146, v129, v24
	v_fmac_f32_e32 v148, v133, v104
	v_fma_f32 v5, v120, v14, -v5
	s_delay_alu instid0(VALU_DEP_1) | instskip(NEXT) | instid1(VALU_DEP_1)
	v_dual_fmac_f32 v141, v119, v12 :: v_dual_add_f32 v2, v2, v5
	v_dual_mul_f32 v5, v127, v21 :: v_dual_add_f32 v2, v2, v4
	s_delay_alu instid0(VALU_DEP_1) | instskip(SKIP_2) | instid1(VALU_DEP_2)
	v_fma_f32 v5, v126, v20, -v5
	v_mul_f32_e32 v3, v125, v19
	v_mul_f32_e32 v4, v129, v25
	v_fma_f32 v3, v124, v18, -v3
	v_add_f32_e32 v1, v1, v140
	s_delay_alu instid0(VALU_DEP_3) | instskip(NEXT) | instid1(VALU_DEP_3)
	v_fma_f32 v4, v128, v24, -v4
	v_add_f32_e32 v2, v2, v3
	s_delay_alu instid0(VALU_DEP_1) | instskip(NEXT) | instid1(VALU_DEP_4)
	v_dual_mul_f32 v3, v131, v27 :: v_dual_add_f32 v2, v2, v5
	v_add_f32_e32 v1, v1, v141
	v_mul_f32_e32 v5, v133, v105
	s_delay_alu instid0(VALU_DEP_3) | instskip(NEXT) | instid1(VALU_DEP_3)
	v_fma_f32 v3, v130, v26, -v3
	v_dual_add_f32 v2, v2, v4 :: v_dual_add_f32 v1, v1, v142
	v_mul_f32_e32 v4, v135, v107
	v_fmac_f32_e32 v145, v127, v20
	v_fma_f32 v5, v132, v104, -v5
	s_delay_alu instid0(VALU_DEP_4) | instskip(SKIP_2) | instid1(VALU_DEP_2)
	v_add_f32_e32 v2, v2, v3
	v_add_f32_e32 v1, v1, v143
	v_fma_f32 v3, v134, v106, -v4
	v_dual_add_f32 v2, v2, v5 :: v_dual_add_f32 v1, v1, v144
	s_delay_alu instid0(VALU_DEP_1) | instskip(NEXT) | instid1(VALU_DEP_1)
	v_dual_add_f32 v2, v2, v3 :: v_dual_add_f32 v1, v1, v145
	v_add_f32_e32 v1, v1, v146
	s_delay_alu instid0(VALU_DEP_1) | instskip(NEXT) | instid1(VALU_DEP_1)
	v_add_f32_e32 v1, v1, v147
	v_add_f32_e32 v1, v1, v148
	s_delay_alu instid0(VALU_DEP_1) | instskip(SKIP_1) | instid1(VALU_DEP_1)
	v_add_f32_e32 v3, v1, v149
	s_wait_loadcnt 0x0
	v_dual_sub_f32 v1, v136, v2 :: v_dual_sub_f32 v2, v137, v3
	scratch_store_b64 off, v[1:2], off offset:184
	v_cmpx_lt_u32_e32 22, v0
	s_cbranch_execz .LBB37_197
; %bb.196:
	scratch_load_b64 v[1:2], off, off offset:176
	v_mov_b32_e32 v3, 0
	s_delay_alu instid0(VALU_DEP_1)
	v_mov_b32_e32 v4, v3
	scratch_store_b64 off, v[3:4], off offset:176
	s_wait_loadcnt 0x0
	ds_store_b64 v23, v[1:2]
.LBB37_197:
	s_wait_alu 0xfffe
	s_or_b32 exec_lo, exec_lo, s0
	s_wait_storecnt_dscnt 0x0
	s_barrier_signal -1
	s_barrier_wait -1
	global_inv scope:SCOPE_SE
	s_clause 0x8
	scratch_load_b128 v[2:5], off, off offset:184
	scratch_load_b128 v[6:9], off, off offset:200
	;; [unrolled: 1-line block ×7, first 2 shown]
	scratch_load_b64 v[136:137], off, off offset:296
	scratch_load_b64 v[138:139], off, off offset:176
	v_mov_b32_e32 v1, 0
	ds_load_2addr_b64 v[108:111], v1 offset0:61 offset1:62
	ds_load_2addr_b64 v[112:115], v1 offset0:63 offset1:64
	;; [unrolled: 1-line block ×7, first 2 shown]
	ds_load_b64 v[140:141], v1 offset:600
	s_mov_b32 s0, exec_lo
	s_wait_loadcnt_dscnt 0x807
	v_mul_f32_e32 v22, v108, v3
	v_dual_mul_f32 v3, v109, v3 :: v_dual_mul_f32 v142, v110, v5
	s_wait_loadcnt_dscnt 0x403
	v_dual_mul_f32 v143, v112, v7 :: v_dual_mul_f32 v150, v126, v21
	v_mul_f32_e32 v5, v111, v5
	s_delay_alu instid0(VALU_DEP_3)
	v_fma_f32 v3, v108, v2, -v3
	v_dual_mul_f32 v144, v114, v9 :: v_dual_mul_f32 v145, v116, v11
	s_wait_loadcnt_dscnt 0x100
	v_dual_mul_f32 v155, v140, v137 :: v_dual_fmac_f32 v22, v109, v2
	v_mul_f32_e32 v2, v113, v7
	v_dual_fmac_f32 v142, v111, v4 :: v_dual_add_f32 v3, 0, v3
	v_fma_f32 v4, v110, v4, -v5
	s_delay_alu instid0(VALU_DEP_4) | instskip(SKIP_2) | instid1(VALU_DEP_4)
	v_dual_add_f32 v5, 0, v22 :: v_dual_fmac_f32 v144, v115, v8
	v_mul_f32_e32 v7, v115, v9
	v_fma_f32 v2, v112, v6, -v2
	v_add_f32_e32 v3, v3, v4
	v_fmac_f32_e32 v143, v113, v6
	v_add_f32_e32 v4, v5, v142
	v_mul_f32_e32 v5, v117, v11
	v_fma_f32 v6, v114, v8, -v7
	v_add_f32_e32 v2, v3, v2
	v_dual_mul_f32 v146, v118, v13 :: v_dual_mul_f32 v147, v120, v15
	v_dual_add_f32 v3, v4, v143 :: v_dual_mul_f32 v4, v119, v13
	v_fma_f32 v5, v116, v10, -v5
	s_delay_alu instid0(VALU_DEP_4)
	v_add_f32_e32 v2, v2, v6
	v_fmac_f32_e32 v145, v117, v10
	v_mul_f32_e32 v6, v121, v15
	v_fmac_f32_e32 v146, v119, v12
	v_add_f32_e32 v3, v3, v144
	v_fma_f32 v4, v118, v12, -v4
	v_add_f32_e32 v2, v2, v5
	v_dual_mul_f32 v148, v122, v17 :: v_dual_mul_f32 v149, v124, v19
	s_delay_alu instid0(VALU_DEP_4)
	v_add_f32_e32 v3, v3, v145
	v_mul_f32_e32 v5, v123, v17
	v_fma_f32 v6, v120, v14, -v6
	v_dual_add_f32 v2, v2, v4 :: v_dual_fmac_f32 v147, v121, v14
	v_fmac_f32_e32 v148, v123, v16
	v_mul_f32_e32 v4, v125, v19
	v_fma_f32 v5, v122, v16, -v5
	s_delay_alu instid0(VALU_DEP_4) | instskip(SKIP_3) | instid1(VALU_DEP_3)
	v_add_f32_e32 v2, v2, v6
	v_add_f32_e32 v3, v3, v146
	v_dual_mul_f32 v6, v127, v21 :: v_dual_fmac_f32 v149, v125, v18
	v_fma_f32 v4, v124, v18, -v4
	v_dual_add_f32 v2, v2, v5 :: v_dual_add_f32 v3, v3, v147
	s_delay_alu instid0(VALU_DEP_3) | instskip(SKIP_1) | instid1(VALU_DEP_3)
	v_fma_f32 v6, v126, v20, -v6
	v_dual_mul_f32 v151, v128, v25 :: v_dual_mul_f32 v152, v130, v27
	v_add_f32_e32 v2, v2, v4
	s_delay_alu instid0(VALU_DEP_4) | instskip(SKIP_1) | instid1(VALU_DEP_4)
	v_add_f32_e32 v3, v3, v148
	v_dual_mul_f32 v5, v129, v25 :: v_dual_fmac_f32 v150, v127, v20
	v_dual_mul_f32 v4, v131, v27 :: v_dual_fmac_f32 v151, v129, v24
	s_delay_alu instid0(VALU_DEP_3) | instskip(NEXT) | instid1(VALU_DEP_3)
	v_dual_add_f32 v2, v2, v6 :: v_dual_add_f32 v3, v3, v149
	v_fma_f32 v5, v128, v24, -v5
	v_dual_mul_f32 v153, v132, v105 :: v_dual_mul_f32 v154, v134, v107
	s_delay_alu instid0(VALU_DEP_3) | instskip(NEXT) | instid1(VALU_DEP_2)
	v_dual_mul_f32 v6, v133, v105 :: v_dual_add_f32 v3, v3, v150
	v_dual_fmac_f32 v152, v131, v26 :: v_dual_fmac_f32 v153, v133, v104
	v_fma_f32 v4, v130, v26, -v4
	s_delay_alu instid0(VALU_DEP_3) | instskip(SKIP_3) | instid1(VALU_DEP_4)
	v_dual_add_f32 v2, v2, v5 :: v_dual_add_f32 v3, v3, v151
	v_mul_f32_e32 v5, v135, v107
	v_fma_f32 v6, v132, v104, -v6
	v_dual_fmac_f32 v154, v135, v106 :: v_dual_fmac_f32 v155, v141, v136
	v_add_f32_e32 v2, v2, v4
	v_dual_add_f32 v3, v3, v152 :: v_dual_mul_f32 v4, v141, v137
	v_fma_f32 v5, v134, v106, -v5
	s_delay_alu instid0(VALU_DEP_2) | instskip(NEXT) | instid1(VALU_DEP_3)
	v_dual_add_f32 v2, v2, v6 :: v_dual_add_f32 v3, v3, v153
	v_fma_f32 v4, v140, v136, -v4
	s_delay_alu instid0(VALU_DEP_2) | instskip(NEXT) | instid1(VALU_DEP_1)
	v_dual_add_f32 v2, v2, v5 :: v_dual_add_f32 v3, v3, v154
	v_dual_add_f32 v2, v2, v4 :: v_dual_add_f32 v3, v3, v155
	s_wait_loadcnt 0x0
	s_delay_alu instid0(VALU_DEP_1)
	v_dual_sub_f32 v2, v138, v2 :: v_dual_sub_f32 v3, v139, v3
	scratch_store_b64 off, v[2:3], off offset:176
	v_cmpx_lt_u32_e32 21, v0
	s_cbranch_execz .LBB37_199
; %bb.198:
	scratch_load_b64 v[3:4], off, off offset:168
	v_mov_b32_e32 v2, v1
	scratch_store_b64 off, v[1:2], off offset:168
	s_wait_loadcnt 0x0
	ds_store_b64 v23, v[3:4]
.LBB37_199:
	s_wait_alu 0xfffe
	s_or_b32 exec_lo, exec_lo, s0
	s_wait_storecnt_dscnt 0x0
	s_barrier_signal -1
	s_barrier_wait -1
	global_inv scope:SCOPE_SE
	s_clause 0x8
	scratch_load_b128 v[2:5], off, off offset:176
	scratch_load_b128 v[6:9], off, off offset:192
	scratch_load_b128 v[10:13], off, off offset:208
	scratch_load_b128 v[14:17], off, off offset:224
	scratch_load_b128 v[18:21], off, off offset:240
	scratch_load_b128 v[24:27], off, off offset:256
	scratch_load_b128 v[104:107], off, off offset:272
	scratch_load_b128 v[108:111], off, off offset:288
	scratch_load_b64 v[144:145], off, off offset:168
	ds_load_b128 v[112:115], v1 offset:480
	ds_load_b128 v[116:119], v1 offset:496
	ds_load_b128 v[120:123], v1 offset:512
	ds_load_b128 v[124:127], v1 offset:528
	ds_load_b128 v[128:131], v1 offset:544
	ds_load_b128 v[132:135], v1 offset:560
	ds_load_b128 v[136:139], v1 offset:576
	ds_load_b128 v[140:143], v1 offset:592
	s_mov_b32 s0, exec_lo
	s_wait_loadcnt_dscnt 0x807
	v_dual_mul_f32 v1, v112, v3 :: v_dual_mul_f32 v22, v114, v5
	v_mul_f32_e32 v3, v113, v3
	s_wait_loadcnt_dscnt 0x706
	v_dual_mul_f32 v5, v115, v5 :: v_dual_mul_f32 v146, v116, v7
	v_mul_f32_e32 v147, v118, v9
	s_wait_loadcnt_dscnt 0x201
	v_mul_f32_e32 v156, v136, v105
	v_fma_f32 v3, v112, v2, -v3
	s_wait_loadcnt_dscnt 0x100
	v_dual_mul_f32 v159, v142, v111 :: v_dual_fmac_f32 v22, v115, v4
	v_fmac_f32_e32 v1, v113, v2
	v_mul_f32_e32 v2, v117, v7
	v_fma_f32 v4, v114, v4, -v5
	v_dual_add_f32 v3, 0, v3 :: v_dual_fmac_f32 v146, v117, v6
	v_dual_mul_f32 v148, v120, v11 :: v_dual_mul_f32 v149, v122, v13
	v_dual_mul_f32 v150, v124, v15 :: v_dual_mul_f32 v151, v126, v17
	s_delay_alu instid0(VALU_DEP_2) | instskip(SKIP_1) | instid1(VALU_DEP_3)
	v_dual_mul_f32 v5, v119, v9 :: v_dual_fmac_f32 v148, v121, v10
	v_fma_f32 v2, v116, v6, -v2
	v_dual_add_f32 v3, v3, v4 :: v_dual_fmac_f32 v150, v125, v14
	s_delay_alu instid0(VALU_DEP_3) | instskip(SKIP_1) | instid1(VALU_DEP_3)
	v_fma_f32 v5, v118, v8, -v5
	v_dual_mul_f32 v152, v128, v19 :: v_dual_mul_f32 v153, v130, v21
	v_add_f32_e32 v2, v3, v2
	v_dual_mul_f32 v4, v121, v11 :: v_dual_mul_f32 v3, v123, v13
	s_delay_alu instid0(VALU_DEP_3) | instskip(SKIP_1) | instid1(VALU_DEP_4)
	v_fmac_f32_e32 v152, v129, v18
	v_dual_mul_f32 v154, v132, v25 :: v_dual_mul_f32 v155, v134, v27
	v_add_f32_e32 v2, v2, v5
	v_add_f32_e32 v1, 0, v1
	v_fma_f32 v4, v120, v10, -v4
	v_fma_f32 v3, v122, v12, -v3
	v_fmac_f32_e32 v151, v127, v16
	v_dual_mul_f32 v157, v138, v107 :: v_dual_mul_f32 v158, v140, v109
	s_delay_alu instid0(VALU_DEP_4) | instskip(SKIP_2) | instid1(VALU_DEP_4)
	v_dual_add_f32 v1, v1, v22 :: v_dual_add_f32 v2, v2, v4
	v_mul_f32_e32 v4, v127, v17
	v_fmac_f32_e32 v147, v119, v8
	v_dual_fmac_f32 v155, v135, v26 :: v_dual_fmac_f32 v158, v141, v108
	s_delay_alu instid0(VALU_DEP_4) | instskip(NEXT) | instid1(VALU_DEP_4)
	v_add_f32_e32 v1, v1, v146
	v_fma_f32 v4, v126, v16, -v4
	v_mul_f32_e32 v5, v125, v15
	v_dual_add_f32 v2, v2, v3 :: v_dual_fmac_f32 v157, v139, v106
	s_delay_alu instid0(VALU_DEP_4) | instskip(SKIP_1) | instid1(VALU_DEP_4)
	v_add_f32_e32 v1, v1, v147
	v_fmac_f32_e32 v154, v133, v24
	v_fma_f32 v5, v124, v14, -v5
	v_fmac_f32_e32 v149, v123, v12
	v_dual_fmac_f32 v159, v143, v110 :: v_dual_fmac_f32 v156, v137, v104
	s_delay_alu instid0(VALU_DEP_3) | instskip(NEXT) | instid1(VALU_DEP_1)
	v_add_f32_e32 v2, v2, v5
	v_dual_mul_f32 v5, v131, v21 :: v_dual_add_f32 v2, v2, v4
	s_delay_alu instid0(VALU_DEP_1) | instskip(SKIP_2) | instid1(VALU_DEP_2)
	v_fma_f32 v5, v130, v20, -v5
	v_mul_f32_e32 v3, v129, v19
	v_mul_f32_e32 v4, v133, v25
	v_fma_f32 v3, v128, v18, -v3
	v_add_f32_e32 v1, v1, v148
	s_delay_alu instid0(VALU_DEP_3) | instskip(NEXT) | instid1(VALU_DEP_3)
	v_fma_f32 v4, v132, v24, -v4
	v_add_f32_e32 v2, v2, v3
	s_delay_alu instid0(VALU_DEP_1) | instskip(NEXT) | instid1(VALU_DEP_4)
	v_dual_mul_f32 v3, v135, v27 :: v_dual_add_f32 v2, v2, v5
	v_add_f32_e32 v1, v1, v149
	s_delay_alu instid0(VALU_DEP_2) | instskip(NEXT) | instid1(VALU_DEP_2)
	v_fma_f32 v3, v134, v26, -v3
	v_dual_add_f32 v2, v2, v4 :: v_dual_add_f32 v1, v1, v150
	v_mul_f32_e32 v4, v139, v107
	s_delay_alu instid0(VALU_DEP_2) | instskip(SKIP_1) | instid1(VALU_DEP_3)
	v_dual_fmac_f32 v153, v131, v20 :: v_dual_add_f32 v2, v2, v3
	v_mul_f32_e32 v3, v141, v109
	v_fma_f32 v4, v138, v106, -v4
	v_mul_f32_e32 v5, v137, v105
	s_delay_alu instid0(VALU_DEP_3) | instskip(NEXT) | instid1(VALU_DEP_2)
	v_fma_f32 v3, v140, v108, -v3
	v_fma_f32 v5, v136, v104, -v5
	s_delay_alu instid0(VALU_DEP_1) | instskip(NEXT) | instid1(VALU_DEP_1)
	v_dual_add_f32 v1, v1, v151 :: v_dual_add_f32 v2, v2, v5
	v_dual_mul_f32 v5, v143, v111 :: v_dual_add_f32 v2, v2, v4
	s_delay_alu instid0(VALU_DEP_2) | instskip(NEXT) | instid1(VALU_DEP_2)
	v_add_f32_e32 v1, v1, v152
	v_fma_f32 v4, v142, v110, -v5
	s_delay_alu instid0(VALU_DEP_2) | instskip(NEXT) | instid1(VALU_DEP_1)
	v_dual_add_f32 v2, v2, v3 :: v_dual_add_f32 v1, v1, v153
	v_dual_add_f32 v2, v2, v4 :: v_dual_add_f32 v1, v1, v154
	s_delay_alu instid0(VALU_DEP_1) | instskip(NEXT) | instid1(VALU_DEP_1)
	v_add_f32_e32 v1, v1, v155
	v_add_f32_e32 v1, v1, v156
	s_delay_alu instid0(VALU_DEP_1) | instskip(NEXT) | instid1(VALU_DEP_1)
	v_add_f32_e32 v1, v1, v157
	v_add_f32_e32 v1, v1, v158
	s_delay_alu instid0(VALU_DEP_1) | instskip(SKIP_1) | instid1(VALU_DEP_1)
	v_add_f32_e32 v3, v1, v159
	s_wait_loadcnt 0x0
	v_dual_sub_f32 v1, v144, v2 :: v_dual_sub_f32 v2, v145, v3
	scratch_store_b64 off, v[1:2], off offset:168
	v_cmpx_lt_u32_e32 20, v0
	s_cbranch_execz .LBB37_201
; %bb.200:
	scratch_load_b64 v[1:2], off, off offset:160
	v_mov_b32_e32 v3, 0
	s_delay_alu instid0(VALU_DEP_1)
	v_mov_b32_e32 v4, v3
	scratch_store_b64 off, v[3:4], off offset:160
	s_wait_loadcnt 0x0
	ds_store_b64 v23, v[1:2]
.LBB37_201:
	s_wait_alu 0xfffe
	s_or_b32 exec_lo, exec_lo, s0
	s_wait_storecnt_dscnt 0x0
	s_barrier_signal -1
	s_barrier_wait -1
	global_inv scope:SCOPE_SE
	s_clause 0x9
	scratch_load_b128 v[2:5], off, off offset:168
	scratch_load_b128 v[6:9], off, off offset:184
	;; [unrolled: 1-line block ×8, first 2 shown]
	scratch_load_b64 v[144:145], off, off offset:296
	scratch_load_b64 v[146:147], off, off offset:160
	v_mov_b32_e32 v1, 0
	ds_load_2addr_b64 v[112:115], v1 offset0:59 offset1:60
	ds_load_2addr_b64 v[116:119], v1 offset0:61 offset1:62
	;; [unrolled: 1-line block ×8, first 2 shown]
	ds_load_b64 v[148:149], v1 offset:600
	s_mov_b32 s0, exec_lo
	s_wait_loadcnt_dscnt 0x908
	v_mul_f32_e32 v22, v112, v3
	v_dual_mul_f32 v3, v113, v3 :: v_dual_mul_f32 v150, v114, v5
	s_wait_loadcnt_dscnt 0x504
	v_dual_mul_f32 v151, v116, v7 :: v_dual_mul_f32 v158, v130, v21
	v_mul_f32_e32 v5, v115, v5
	s_delay_alu instid0(VALU_DEP_3)
	v_fma_f32 v3, v112, v2, -v3
	v_dual_mul_f32 v152, v118, v9 :: v_dual_mul_f32 v153, v120, v11
	s_wait_loadcnt_dscnt 0x100
	v_dual_mul_f32 v165, v148, v145 :: v_dual_fmac_f32 v22, v113, v2
	v_mul_f32_e32 v2, v117, v7
	v_dual_fmac_f32 v150, v115, v4 :: v_dual_add_f32 v3, 0, v3
	v_fma_f32 v4, v114, v4, -v5
	s_delay_alu instid0(VALU_DEP_4) | instskip(SKIP_2) | instid1(VALU_DEP_4)
	v_dual_add_f32 v5, 0, v22 :: v_dual_fmac_f32 v152, v119, v8
	v_mul_f32_e32 v7, v119, v9
	v_fma_f32 v2, v116, v6, -v2
	v_add_f32_e32 v3, v3, v4
	v_fmac_f32_e32 v151, v117, v6
	v_add_f32_e32 v4, v5, v150
	v_mul_f32_e32 v5, v121, v11
	v_fma_f32 v6, v118, v8, -v7
	v_add_f32_e32 v2, v3, v2
	v_dual_mul_f32 v154, v122, v13 :: v_dual_mul_f32 v155, v124, v15
	v_dual_add_f32 v3, v4, v151 :: v_dual_mul_f32 v4, v123, v13
	v_fma_f32 v5, v120, v10, -v5
	s_delay_alu instid0(VALU_DEP_4)
	v_add_f32_e32 v2, v2, v6
	v_fmac_f32_e32 v153, v121, v10
	v_mul_f32_e32 v6, v125, v15
	v_fmac_f32_e32 v154, v123, v12
	v_add_f32_e32 v3, v3, v152
	v_fma_f32 v4, v122, v12, -v4
	v_add_f32_e32 v2, v2, v5
	v_dual_mul_f32 v156, v126, v17 :: v_dual_mul_f32 v157, v128, v19
	s_delay_alu instid0(VALU_DEP_4)
	v_add_f32_e32 v3, v3, v153
	v_mul_f32_e32 v5, v127, v17
	v_fma_f32 v6, v124, v14, -v6
	v_dual_add_f32 v2, v2, v4 :: v_dual_fmac_f32 v155, v125, v14
	v_fmac_f32_e32 v156, v127, v16
	v_mul_f32_e32 v4, v129, v19
	v_fma_f32 v5, v126, v16, -v5
	s_delay_alu instid0(VALU_DEP_4) | instskip(SKIP_3) | instid1(VALU_DEP_3)
	v_add_f32_e32 v2, v2, v6
	v_add_f32_e32 v3, v3, v154
	v_dual_mul_f32 v6, v131, v21 :: v_dual_fmac_f32 v157, v129, v18
	v_fma_f32 v4, v128, v18, -v4
	v_dual_add_f32 v2, v2, v5 :: v_dual_add_f32 v3, v3, v155
	s_delay_alu instid0(VALU_DEP_3) | instskip(SKIP_1) | instid1(VALU_DEP_3)
	v_fma_f32 v6, v130, v20, -v6
	v_dual_mul_f32 v159, v132, v25 :: v_dual_mul_f32 v160, v134, v27
	v_add_f32_e32 v2, v2, v4
	s_delay_alu instid0(VALU_DEP_4) | instskip(SKIP_1) | instid1(VALU_DEP_4)
	v_add_f32_e32 v3, v3, v156
	v_dual_mul_f32 v5, v133, v25 :: v_dual_fmac_f32 v158, v131, v20
	v_dual_mul_f32 v4, v135, v27 :: v_dual_fmac_f32 v159, v133, v24
	s_delay_alu instid0(VALU_DEP_3) | instskip(NEXT) | instid1(VALU_DEP_3)
	v_dual_add_f32 v2, v2, v6 :: v_dual_add_f32 v3, v3, v157
	v_fma_f32 v5, v132, v24, -v5
	v_dual_mul_f32 v161, v136, v105 :: v_dual_mul_f32 v162, v138, v107
	s_delay_alu instid0(VALU_DEP_3) | instskip(NEXT) | instid1(VALU_DEP_2)
	v_dual_mul_f32 v6, v137, v105 :: v_dual_add_f32 v3, v3, v158
	v_dual_fmac_f32 v160, v135, v26 :: v_dual_fmac_f32 v161, v137, v104
	v_fma_f32 v4, v134, v26, -v4
	s_delay_alu instid0(VALU_DEP_3) | instskip(SKIP_3) | instid1(VALU_DEP_4)
	v_dual_add_f32 v2, v2, v5 :: v_dual_add_f32 v3, v3, v159
	v_mul_f32_e32 v5, v139, v107
	v_fma_f32 v6, v136, v104, -v6
	v_dual_mul_f32 v163, v140, v109 :: v_dual_mul_f32 v164, v142, v111
	v_add_f32_e32 v2, v2, v4
	v_dual_add_f32 v3, v3, v160 :: v_dual_mul_f32 v4, v141, v109
	s_delay_alu instid0(VALU_DEP_3) | instskip(SKIP_1) | instid1(VALU_DEP_3)
	v_dual_fmac_f32 v162, v139, v106 :: v_dual_fmac_f32 v163, v141, v108
	v_fma_f32 v5, v138, v106, -v5
	v_dual_add_f32 v2, v2, v6 :: v_dual_add_f32 v3, v3, v161
	v_mul_f32_e32 v6, v143, v111
	v_fma_f32 v4, v140, v108, -v4
	v_dual_fmac_f32 v164, v143, v110 :: v_dual_fmac_f32 v165, v149, v144
	s_delay_alu instid0(VALU_DEP_4) | instskip(SKIP_2) | instid1(VALU_DEP_3)
	v_dual_add_f32 v2, v2, v5 :: v_dual_add_f32 v3, v3, v162
	v_mul_f32_e32 v5, v149, v145
	v_fma_f32 v6, v142, v110, -v6
	v_dual_add_f32 v2, v2, v4 :: v_dual_add_f32 v3, v3, v163
	s_delay_alu instid0(VALU_DEP_3) | instskip(NEXT) | instid1(VALU_DEP_2)
	v_fma_f32 v4, v148, v144, -v5
	v_dual_add_f32 v2, v2, v6 :: v_dual_add_f32 v3, v3, v164
	s_delay_alu instid0(VALU_DEP_1) | instskip(SKIP_1) | instid1(VALU_DEP_1)
	v_dual_add_f32 v2, v2, v4 :: v_dual_add_f32 v3, v3, v165
	s_wait_loadcnt 0x0
	v_dual_sub_f32 v2, v146, v2 :: v_dual_sub_f32 v3, v147, v3
	scratch_store_b64 off, v[2:3], off offset:160
	v_cmpx_lt_u32_e32 19, v0
	s_cbranch_execz .LBB37_203
; %bb.202:
	scratch_load_b64 v[3:4], off, off offset:152
	v_mov_b32_e32 v2, v1
	scratch_store_b64 off, v[1:2], off offset:152
	s_wait_loadcnt 0x0
	ds_store_b64 v23, v[3:4]
.LBB37_203:
	s_wait_alu 0xfffe
	s_or_b32 exec_lo, exec_lo, s0
	s_wait_storecnt_dscnt 0x0
	s_barrier_signal -1
	s_barrier_wait -1
	global_inv scope:SCOPE_SE
	s_clause 0x9
	scratch_load_b128 v[2:5], off, off offset:160
	scratch_load_b128 v[6:9], off, off offset:176
	;; [unrolled: 1-line block ×9, first 2 shown]
	scratch_load_b64 v[152:153], off, off offset:152
	ds_load_b128 v[116:119], v1 offset:464
	ds_load_b128 v[120:123], v1 offset:480
	;; [unrolled: 1-line block ×9, first 2 shown]
	s_mov_b32 s0, exec_lo
	s_wait_loadcnt_dscnt 0x908
	v_dual_mul_f32 v1, v116, v3 :: v_dual_mul_f32 v22, v118, v5
	v_mul_f32_e32 v5, v119, v5
	v_mul_f32_e32 v3, v117, v3
	s_wait_loadcnt_dscnt 0x807
	v_dual_mul_f32 v154, v120, v7 :: v_dual_mul_f32 v155, v122, v9
	s_wait_loadcnt_dscnt 0x201
	v_dual_fmac_f32 v1, v117, v2 :: v_dual_mul_f32 v166, v144, v109
	v_fma_f32 v3, v116, v2, -v3
	s_wait_loadcnt_dscnt 0x100
	v_dual_mul_f32 v169, v150, v115 :: v_dual_fmac_f32 v22, v119, v4
	v_mul_f32_e32 v2, v121, v7
	v_fma_f32 v4, v118, v4, -v5
	v_dual_add_f32 v3, 0, v3 :: v_dual_fmac_f32 v154, v121, v6
	v_dual_mul_f32 v156, v124, v11 :: v_dual_mul_f32 v157, v126, v13
	v_dual_mul_f32 v158, v128, v15 :: v_dual_mul_f32 v159, v130, v17
	s_delay_alu instid0(VALU_DEP_2) | instskip(SKIP_1) | instid1(VALU_DEP_3)
	v_dual_mul_f32 v5, v123, v9 :: v_dual_fmac_f32 v156, v125, v10
	v_fma_f32 v2, v120, v6, -v2
	v_dual_add_f32 v3, v3, v4 :: v_dual_fmac_f32 v158, v129, v14
	s_delay_alu instid0(VALU_DEP_3) | instskip(SKIP_1) | instid1(VALU_DEP_3)
	v_fma_f32 v5, v122, v8, -v5
	v_dual_mul_f32 v160, v132, v19 :: v_dual_mul_f32 v161, v134, v21
	v_add_f32_e32 v2, v3, v2
	v_dual_mul_f32 v4, v125, v11 :: v_dual_mul_f32 v3, v127, v13
	s_delay_alu instid0(VALU_DEP_3) | instskip(SKIP_1) | instid1(VALU_DEP_4)
	v_fmac_f32_e32 v160, v133, v18
	v_dual_mul_f32 v162, v136, v25 :: v_dual_mul_f32 v163, v138, v27
	v_add_f32_e32 v2, v2, v5
	v_add_f32_e32 v1, 0, v1
	v_fma_f32 v4, v124, v10, -v4
	v_fma_f32 v3, v126, v12, -v3
	v_dual_fmac_f32 v159, v131, v16 :: v_dual_mul_f32 v164, v140, v105
	v_mul_f32_e32 v165, v142, v107
	s_delay_alu instid0(VALU_DEP_4) | instskip(SKIP_3) | instid1(VALU_DEP_4)
	v_dual_add_f32 v1, v1, v22 :: v_dual_add_f32 v2, v2, v4
	v_mul_f32_e32 v4, v131, v17
	v_fmac_f32_e32 v155, v123, v8
	v_dual_mul_f32 v167, v146, v111 :: v_dual_mul_f32 v168, v148, v113
	v_add_f32_e32 v1, v1, v154
	s_delay_alu instid0(VALU_DEP_4) | instskip(SKIP_2) | instid1(VALU_DEP_4)
	v_fma_f32 v4, v130, v16, -v4
	v_mul_f32_e32 v5, v129, v15
	v_dual_add_f32 v2, v2, v3 :: v_dual_fmac_f32 v165, v143, v106
	v_add_f32_e32 v1, v1, v155
	v_dual_fmac_f32 v163, v139, v26 :: v_dual_fmac_f32 v166, v145, v108
	s_delay_alu instid0(VALU_DEP_4) | instskip(SKIP_3) | instid1(VALU_DEP_4)
	v_fma_f32 v5, v128, v14, -v5
	v_fmac_f32_e32 v157, v127, v12
	v_dual_fmac_f32 v162, v137, v24 :: v_dual_fmac_f32 v169, v151, v114
	v_fmac_f32_e32 v164, v141, v104
	v_add_f32_e32 v2, v2, v5
	v_dual_mul_f32 v5, v135, v21 :: v_dual_fmac_f32 v168, v149, v112
	s_delay_alu instid0(VALU_DEP_2) | instskip(NEXT) | instid1(VALU_DEP_2)
	v_add_f32_e32 v2, v2, v4
	v_fma_f32 v5, v134, v20, -v5
	v_mul_f32_e32 v3, v133, v19
	v_mul_f32_e32 v4, v137, v25
	s_delay_alu instid0(VALU_DEP_2) | instskip(SKIP_1) | instid1(VALU_DEP_3)
	v_fma_f32 v3, v132, v18, -v3
	v_add_f32_e32 v1, v1, v156
	v_fma_f32 v4, v136, v24, -v4
	s_delay_alu instid0(VALU_DEP_3) | instskip(NEXT) | instid1(VALU_DEP_1)
	v_add_f32_e32 v2, v2, v3
	v_dual_mul_f32 v3, v139, v27 :: v_dual_add_f32 v2, v2, v5
	s_delay_alu instid0(VALU_DEP_4) | instskip(NEXT) | instid1(VALU_DEP_2)
	v_add_f32_e32 v1, v1, v157
	v_fma_f32 v3, v138, v26, -v3
	s_delay_alu instid0(VALU_DEP_2) | instskip(SKIP_1) | instid1(VALU_DEP_2)
	v_dual_add_f32 v2, v2, v4 :: v_dual_add_f32 v1, v1, v158
	v_mul_f32_e32 v4, v143, v107
	v_dual_fmac_f32 v161, v135, v20 :: v_dual_add_f32 v2, v2, v3
	v_mul_f32_e32 v3, v145, v109
	s_delay_alu instid0(VALU_DEP_3) | instskip(SKIP_1) | instid1(VALU_DEP_3)
	v_fma_f32 v4, v142, v106, -v4
	v_mul_f32_e32 v5, v141, v105
	v_fma_f32 v3, v144, v108, -v3
	s_delay_alu instid0(VALU_DEP_2) | instskip(NEXT) | instid1(VALU_DEP_1)
	v_fma_f32 v5, v140, v104, -v5
	v_dual_add_f32 v1, v1, v159 :: v_dual_add_f32 v2, v2, v5
	s_delay_alu instid0(VALU_DEP_1) | instskip(NEXT) | instid1(VALU_DEP_2)
	v_dual_mul_f32 v5, v147, v111 :: v_dual_add_f32 v2, v2, v4
	v_add_f32_e32 v1, v1, v160
	v_mul_f32_e32 v4, v149, v113
	s_delay_alu instid0(VALU_DEP_3) | instskip(NEXT) | instid1(VALU_DEP_4)
	v_fma_f32 v5, v146, v110, -v5
	v_dual_add_f32 v2, v2, v3 :: v_dual_fmac_f32 v167, v147, v110
	v_mul_f32_e32 v3, v151, v115
	s_delay_alu instid0(VALU_DEP_4) | instskip(NEXT) | instid1(VALU_DEP_3)
	v_fma_f32 v4, v148, v112, -v4
	v_add_f32_e32 v2, v2, v5
	v_add_f32_e32 v1, v1, v161
	s_delay_alu instid0(VALU_DEP_4) | instskip(NEXT) | instid1(VALU_DEP_2)
	v_fma_f32 v3, v150, v114, -v3
	v_dual_add_f32 v2, v2, v4 :: v_dual_add_f32 v1, v1, v162
	s_delay_alu instid0(VALU_DEP_1) | instskip(NEXT) | instid1(VALU_DEP_2)
	v_add_f32_e32 v2, v2, v3
	v_add_f32_e32 v1, v1, v163
	s_delay_alu instid0(VALU_DEP_1) | instskip(NEXT) | instid1(VALU_DEP_1)
	v_add_f32_e32 v1, v1, v164
	v_add_f32_e32 v1, v1, v165
	s_delay_alu instid0(VALU_DEP_1) | instskip(NEXT) | instid1(VALU_DEP_1)
	;; [unrolled: 3-line block ×3, first 2 shown]
	v_add_f32_e32 v1, v1, v168
	v_add_f32_e32 v3, v1, v169
	s_wait_loadcnt 0x0
	s_delay_alu instid0(VALU_DEP_1)
	v_dual_sub_f32 v1, v152, v2 :: v_dual_sub_f32 v2, v153, v3
	scratch_store_b64 off, v[1:2], off offset:152
	v_cmpx_lt_u32_e32 18, v0
	s_cbranch_execz .LBB37_205
; %bb.204:
	scratch_load_b64 v[1:2], off, off offset:144
	v_mov_b32_e32 v3, 0
	s_delay_alu instid0(VALU_DEP_1)
	v_mov_b32_e32 v4, v3
	scratch_store_b64 off, v[3:4], off offset:144
	s_wait_loadcnt 0x0
	ds_store_b64 v23, v[1:2]
.LBB37_205:
	s_wait_alu 0xfffe
	s_or_b32 exec_lo, exec_lo, s0
	s_wait_storecnt_dscnt 0x0
	s_barrier_signal -1
	s_barrier_wait -1
	global_inv scope:SCOPE_SE
	s_clause 0xa
	scratch_load_b128 v[2:5], off, off offset:152
	scratch_load_b128 v[6:9], off, off offset:168
	;; [unrolled: 1-line block ×9, first 2 shown]
	scratch_load_b64 v[152:153], off, off offset:296
	scratch_load_b64 v[154:155], off, off offset:144
	v_mov_b32_e32 v1, 0
	ds_load_2addr_b64 v[116:119], v1 offset0:57 offset1:58
	ds_load_2addr_b64 v[120:123], v1 offset0:59 offset1:60
	;; [unrolled: 1-line block ×9, first 2 shown]
	ds_load_b64 v[156:157], v1 offset:600
	s_mov_b32 s0, exec_lo
	s_wait_loadcnt_dscnt 0xa09
	v_mul_f32_e32 v22, v116, v3
	v_dual_mul_f32 v3, v117, v3 :: v_dual_mul_f32 v158, v118, v5
	s_wait_loadcnt_dscnt 0x605
	v_dual_mul_f32 v159, v120, v7 :: v_dual_mul_f32 v166, v134, v21
	v_mul_f32_e32 v5, v119, v5
	s_delay_alu instid0(VALU_DEP_3)
	v_fma_f32 v3, v116, v2, -v3
	v_dual_mul_f32 v160, v122, v9 :: v_dual_mul_f32 v161, v124, v11
	s_wait_loadcnt_dscnt 0x100
	v_dual_mul_f32 v175, v156, v153 :: v_dual_fmac_f32 v22, v117, v2
	v_mul_f32_e32 v2, v121, v7
	v_dual_fmac_f32 v158, v119, v4 :: v_dual_add_f32 v3, 0, v3
	v_fma_f32 v4, v118, v4, -v5
	s_delay_alu instid0(VALU_DEP_4) | instskip(SKIP_2) | instid1(VALU_DEP_4)
	v_dual_add_f32 v5, 0, v22 :: v_dual_fmac_f32 v160, v123, v8
	v_mul_f32_e32 v7, v123, v9
	v_fma_f32 v2, v120, v6, -v2
	v_add_f32_e32 v3, v3, v4
	v_fmac_f32_e32 v159, v121, v6
	v_add_f32_e32 v4, v5, v158
	v_mul_f32_e32 v5, v125, v11
	v_fma_f32 v6, v122, v8, -v7
	v_add_f32_e32 v2, v3, v2
	v_dual_mul_f32 v162, v126, v13 :: v_dual_mul_f32 v163, v128, v15
	v_dual_add_f32 v3, v4, v159 :: v_dual_mul_f32 v4, v127, v13
	v_fma_f32 v5, v124, v10, -v5
	s_delay_alu instid0(VALU_DEP_4)
	v_add_f32_e32 v2, v2, v6
	v_fmac_f32_e32 v161, v125, v10
	v_mul_f32_e32 v6, v129, v15
	v_fmac_f32_e32 v162, v127, v12
	v_add_f32_e32 v3, v3, v160
	v_fma_f32 v4, v126, v12, -v4
	v_add_f32_e32 v2, v2, v5
	v_dual_mul_f32 v164, v130, v17 :: v_dual_mul_f32 v165, v132, v19
	s_delay_alu instid0(VALU_DEP_4)
	v_add_f32_e32 v3, v3, v161
	v_mul_f32_e32 v5, v131, v17
	v_fma_f32 v6, v128, v14, -v6
	v_dual_add_f32 v2, v2, v4 :: v_dual_fmac_f32 v163, v129, v14
	v_fmac_f32_e32 v164, v131, v16
	v_mul_f32_e32 v4, v133, v19
	v_fma_f32 v5, v130, v16, -v5
	s_delay_alu instid0(VALU_DEP_4) | instskip(SKIP_3) | instid1(VALU_DEP_3)
	v_add_f32_e32 v2, v2, v6
	v_add_f32_e32 v3, v3, v162
	v_dual_mul_f32 v6, v135, v21 :: v_dual_fmac_f32 v165, v133, v18
	v_fma_f32 v4, v132, v18, -v4
	v_dual_add_f32 v2, v2, v5 :: v_dual_add_f32 v3, v3, v163
	s_delay_alu instid0(VALU_DEP_3) | instskip(SKIP_1) | instid1(VALU_DEP_3)
	v_fma_f32 v6, v134, v20, -v6
	v_dual_mul_f32 v167, v136, v25 :: v_dual_mul_f32 v168, v138, v27
	v_add_f32_e32 v2, v2, v4
	s_delay_alu instid0(VALU_DEP_4) | instskip(SKIP_1) | instid1(VALU_DEP_4)
	v_add_f32_e32 v3, v3, v164
	v_dual_mul_f32 v5, v137, v25 :: v_dual_fmac_f32 v166, v135, v20
	v_dual_mul_f32 v4, v139, v27 :: v_dual_fmac_f32 v167, v137, v24
	s_delay_alu instid0(VALU_DEP_3) | instskip(NEXT) | instid1(VALU_DEP_3)
	v_dual_add_f32 v2, v2, v6 :: v_dual_add_f32 v3, v3, v165
	v_fma_f32 v5, v136, v24, -v5
	v_dual_mul_f32 v169, v140, v105 :: v_dual_mul_f32 v170, v142, v107
	s_delay_alu instid0(VALU_DEP_3) | instskip(NEXT) | instid1(VALU_DEP_2)
	v_dual_mul_f32 v6, v141, v105 :: v_dual_add_f32 v3, v3, v166
	v_dual_fmac_f32 v168, v139, v26 :: v_dual_fmac_f32 v169, v141, v104
	v_fma_f32 v4, v138, v26, -v4
	s_delay_alu instid0(VALU_DEP_3) | instskip(SKIP_3) | instid1(VALU_DEP_4)
	v_dual_add_f32 v2, v2, v5 :: v_dual_add_f32 v3, v3, v167
	v_mul_f32_e32 v5, v143, v107
	v_fma_f32 v6, v140, v104, -v6
	v_dual_mul_f32 v171, v144, v109 :: v_dual_mul_f32 v172, v146, v111
	v_add_f32_e32 v2, v2, v4
	v_dual_add_f32 v3, v3, v168 :: v_dual_mul_f32 v4, v145, v109
	s_delay_alu instid0(VALU_DEP_3) | instskip(SKIP_1) | instid1(VALU_DEP_3)
	v_dual_fmac_f32 v170, v143, v106 :: v_dual_fmac_f32 v171, v145, v108
	v_fma_f32 v5, v142, v106, -v5
	v_dual_add_f32 v2, v2, v6 :: v_dual_add_f32 v3, v3, v169
	v_mul_f32_e32 v6, v147, v111
	v_fma_f32 v4, v144, v108, -v4
	v_dual_mul_f32 v173, v148, v113 :: v_dual_mul_f32 v174, v150, v115
	s_delay_alu instid0(VALU_DEP_4) | instskip(SKIP_1) | instid1(VALU_DEP_3)
	v_dual_add_f32 v2, v2, v5 :: v_dual_add_f32 v3, v3, v170
	v_dual_mul_f32 v5, v149, v113 :: v_dual_fmac_f32 v172, v147, v110
	v_fmac_f32_e32 v173, v149, v112
	v_fma_f32 v6, v146, v110, -v6
	s_delay_alu instid0(VALU_DEP_4) | instskip(SKIP_2) | instid1(VALU_DEP_3)
	v_dual_add_f32 v2, v2, v4 :: v_dual_add_f32 v3, v3, v171
	v_dual_mul_f32 v4, v151, v115 :: v_dual_fmac_f32 v175, v157, v152
	v_fma_f32 v5, v148, v112, -v5
	v_dual_add_f32 v2, v2, v6 :: v_dual_add_f32 v3, v3, v172
	v_fmac_f32_e32 v174, v151, v114
	s_delay_alu instid0(VALU_DEP_4) | instskip(NEXT) | instid1(VALU_DEP_3)
	v_fma_f32 v4, v150, v114, -v4
	v_add_f32_e32 v3, v3, v173
	s_delay_alu instid0(VALU_DEP_1) | instskip(SKIP_1) | instid1(VALU_DEP_2)
	v_dual_mul_f32 v6, v157, v153 :: v_dual_add_f32 v3, v3, v174
	v_add_f32_e32 v2, v2, v5
	v_fma_f32 v5, v156, v152, -v6
	s_delay_alu instid0(VALU_DEP_2) | instskip(SKIP_1) | instid1(VALU_DEP_1)
	v_dual_add_f32 v3, v3, v175 :: v_dual_add_f32 v2, v2, v4
	s_wait_loadcnt 0x0
	v_dual_sub_f32 v3, v155, v3 :: v_dual_add_f32 v2, v2, v5
	s_delay_alu instid0(VALU_DEP_1)
	v_sub_f32_e32 v2, v154, v2
	scratch_store_b64 off, v[2:3], off offset:144
	v_cmpx_lt_u32_e32 17, v0
	s_cbranch_execz .LBB37_207
; %bb.206:
	scratch_load_b64 v[3:4], off, off offset:136
	v_mov_b32_e32 v2, v1
	scratch_store_b64 off, v[1:2], off offset:136
	s_wait_loadcnt 0x0
	ds_store_b64 v23, v[3:4]
.LBB37_207:
	s_wait_alu 0xfffe
	s_or_b32 exec_lo, exec_lo, s0
	s_wait_storecnt_dscnt 0x0
	s_barrier_signal -1
	s_barrier_wait -1
	global_inv scope:SCOPE_SE
	s_clause 0xa
	scratch_load_b128 v[2:5], off, off offset:144
	scratch_load_b128 v[6:9], off, off offset:160
	;; [unrolled: 1-line block ×10, first 2 shown]
	scratch_load_b64 v[160:161], off, off offset:136
	ds_load_b128 v[120:123], v1 offset:448
	ds_load_b128 v[124:127], v1 offset:464
	;; [unrolled: 1-line block ×10, first 2 shown]
	s_mov_b32 s0, exec_lo
	s_wait_loadcnt_dscnt 0xa09
	v_dual_mul_f32 v1, v120, v3 :: v_dual_mul_f32 v22, v122, v5
	s_wait_loadcnt_dscnt 0x908
	v_dual_mul_f32 v5, v123, v5 :: v_dual_mul_f32 v162, v124, v7
	v_mul_f32_e32 v163, v126, v9
	v_mul_f32_e32 v3, v121, v3
	v_dual_fmac_f32 v1, v121, v2 :: v_dual_fmac_f32 v22, v123, v4
	s_wait_loadcnt_dscnt 0x100
	v_dual_mul_f32 v176, v152, v113 :: v_dual_mul_f32 v179, v158, v119
	s_delay_alu instid0(VALU_DEP_3) | instskip(SKIP_3) | instid1(VALU_DEP_4)
	v_fma_f32 v3, v120, v2, -v3
	v_mul_f32_e32 v2, v125, v7
	v_fma_f32 v4, v122, v4, -v5
	v_dual_mul_f32 v164, v128, v11 :: v_dual_mul_f32 v165, v130, v13
	v_dual_add_f32 v3, 0, v3 :: v_dual_fmac_f32 v162, v125, v6
	v_dual_mul_f32 v166, v132, v15 :: v_dual_mul_f32 v167, v134, v17
	s_delay_alu instid0(VALU_DEP_3) | instskip(SKIP_1) | instid1(VALU_DEP_3)
	v_dual_mul_f32 v5, v127, v9 :: v_dual_fmac_f32 v164, v129, v10
	v_fma_f32 v2, v124, v6, -v2
	v_dual_add_f32 v3, v3, v4 :: v_dual_fmac_f32 v166, v133, v14
	s_delay_alu instid0(VALU_DEP_3) | instskip(SKIP_1) | instid1(VALU_DEP_3)
	v_fma_f32 v5, v126, v8, -v5
	v_dual_mul_f32 v168, v136, v19 :: v_dual_mul_f32 v169, v138, v21
	v_add_f32_e32 v2, v3, v2
	v_dual_mul_f32 v3, v131, v13 :: v_dual_mul_f32 v4, v129, v11
	s_delay_alu instid0(VALU_DEP_3) | instskip(SKIP_1) | instid1(VALU_DEP_4)
	v_fmac_f32_e32 v168, v137, v18
	v_dual_mul_f32 v170, v140, v25 :: v_dual_mul_f32 v171, v142, v27
	v_add_f32_e32 v2, v2, v5
	v_add_f32_e32 v1, 0, v1
	v_fma_f32 v4, v128, v10, -v4
	v_fma_f32 v3, v130, v12, -v3
	v_dual_fmac_f32 v167, v135, v16 :: v_dual_mul_f32 v172, v144, v105
	v_mul_f32_e32 v173, v146, v107
	s_delay_alu instid0(VALU_DEP_4) | instskip(SKIP_3) | instid1(VALU_DEP_4)
	v_dual_add_f32 v1, v1, v22 :: v_dual_add_f32 v2, v2, v4
	v_mul_f32_e32 v4, v135, v17
	v_dual_fmac_f32 v163, v127, v8 :: v_dual_mul_f32 v174, v148, v109
	v_mul_f32_e32 v175, v150, v111
	v_add_f32_e32 v1, v1, v162
	s_delay_alu instid0(VALU_DEP_4) | instskip(SKIP_2) | instid1(VALU_DEP_4)
	v_fma_f32 v4, v134, v16, -v4
	v_mul_f32_e32 v5, v133, v15
	v_dual_add_f32 v2, v2, v3 :: v_dual_fmac_f32 v173, v147, v106
	v_add_f32_e32 v1, v1, v163
	v_dual_mul_f32 v177, v154, v115 :: v_dual_mul_f32 v178, v156, v117
	s_delay_alu instid0(VALU_DEP_4) | instskip(SKIP_3) | instid1(VALU_DEP_4)
	v_fma_f32 v5, v132, v14, -v5
	v_fmac_f32_e32 v165, v131, v12
	v_dual_fmac_f32 v170, v141, v24 :: v_dual_fmac_f32 v171, v143, v26
	v_fmac_f32_e32 v174, v149, v108
	v_add_f32_e32 v2, v2, v5
	v_mul_f32_e32 v5, v139, v21
	v_fmac_f32_e32 v177, v155, v114
	v_dual_fmac_f32 v179, v159, v118 :: v_dual_fmac_f32 v172, v145, v104
	s_delay_alu instid0(VALU_DEP_4) | instskip(NEXT) | instid1(VALU_DEP_4)
	v_add_f32_e32 v2, v2, v4
	v_fma_f32 v5, v138, v20, -v5
	v_mul_f32_e32 v3, v137, v19
	v_mul_f32_e32 v4, v141, v25
	v_fmac_f32_e32 v176, v153, v112
	v_fmac_f32_e32 v178, v157, v116
	s_delay_alu instid0(VALU_DEP_4) | instskip(SKIP_2) | instid1(VALU_DEP_3)
	v_fma_f32 v3, v136, v18, -v3
	v_add_f32_e32 v1, v1, v164
	v_fma_f32 v4, v140, v24, -v4
	v_add_f32_e32 v2, v2, v3
	s_delay_alu instid0(VALU_DEP_1) | instskip(NEXT) | instid1(VALU_DEP_4)
	v_dual_mul_f32 v3, v143, v27 :: v_dual_add_f32 v2, v2, v5
	v_add_f32_e32 v1, v1, v165
	s_delay_alu instid0(VALU_DEP_2) | instskip(NEXT) | instid1(VALU_DEP_2)
	v_fma_f32 v3, v142, v26, -v3
	v_dual_add_f32 v2, v2, v4 :: v_dual_add_f32 v1, v1, v166
	v_mul_f32_e32 v4, v147, v107
	s_delay_alu instid0(VALU_DEP_2) | instskip(SKIP_1) | instid1(VALU_DEP_3)
	v_dual_fmac_f32 v169, v139, v20 :: v_dual_add_f32 v2, v2, v3
	v_mul_f32_e32 v3, v149, v109
	v_fma_f32 v4, v146, v106, -v4
	v_mul_f32_e32 v5, v145, v105
	s_delay_alu instid0(VALU_DEP_3) | instskip(NEXT) | instid1(VALU_DEP_2)
	v_fma_f32 v3, v148, v108, -v3
	v_fma_f32 v5, v144, v104, -v5
	s_delay_alu instid0(VALU_DEP_1) | instskip(NEXT) | instid1(VALU_DEP_1)
	v_dual_add_f32 v1, v1, v167 :: v_dual_add_f32 v2, v2, v5
	v_dual_mul_f32 v5, v151, v111 :: v_dual_add_f32 v2, v2, v4
	s_delay_alu instid0(VALU_DEP_2) | instskip(SKIP_1) | instid1(VALU_DEP_3)
	v_add_f32_e32 v1, v1, v168
	v_mul_f32_e32 v4, v153, v113
	v_fma_f32 v5, v150, v110, -v5
	s_delay_alu instid0(VALU_DEP_4) | instskip(SKIP_1) | instid1(VALU_DEP_4)
	v_dual_add_f32 v2, v2, v3 :: v_dual_fmac_f32 v175, v151, v110
	v_mul_f32_e32 v3, v155, v115
	v_fma_f32 v4, v152, v112, -v4
	s_delay_alu instid0(VALU_DEP_3) | instskip(SKIP_1) | instid1(VALU_DEP_4)
	v_add_f32_e32 v2, v2, v5
	v_add_f32_e32 v1, v1, v169
	v_fma_f32 v3, v154, v114, -v3
	s_delay_alu instid0(VALU_DEP_2) | instskip(SKIP_1) | instid1(VALU_DEP_2)
	v_dual_add_f32 v2, v2, v4 :: v_dual_add_f32 v1, v1, v170
	v_dual_mul_f32 v4, v159, v119 :: v_dual_mul_f32 v5, v157, v117
	v_add_f32_e32 v2, v2, v3
	s_delay_alu instid0(VALU_DEP_2) | instskip(NEXT) | instid1(VALU_DEP_3)
	v_fma_f32 v3, v158, v118, -v4
	v_fma_f32 v5, v156, v116, -v5
	s_delay_alu instid0(VALU_DEP_1) | instskip(NEXT) | instid1(VALU_DEP_1)
	v_dual_add_f32 v1, v1, v171 :: v_dual_add_f32 v2, v2, v5
	v_dual_add_f32 v1, v1, v172 :: v_dual_add_f32 v2, v2, v3
	s_delay_alu instid0(VALU_DEP_1) | instskip(NEXT) | instid1(VALU_DEP_1)
	v_add_f32_e32 v1, v1, v173
	v_add_f32_e32 v1, v1, v174
	s_delay_alu instid0(VALU_DEP_1) | instskip(NEXT) | instid1(VALU_DEP_1)
	v_add_f32_e32 v1, v1, v175
	v_add_f32_e32 v1, v1, v176
	s_delay_alu instid0(VALU_DEP_1) | instskip(NEXT) | instid1(VALU_DEP_1)
	v_add_f32_e32 v1, v1, v177
	v_add_f32_e32 v1, v1, v178
	s_delay_alu instid0(VALU_DEP_1) | instskip(SKIP_1) | instid1(VALU_DEP_1)
	v_add_f32_e32 v3, v1, v179
	s_wait_loadcnt 0x0
	v_dual_sub_f32 v1, v160, v2 :: v_dual_sub_f32 v2, v161, v3
	scratch_store_b64 off, v[1:2], off offset:136
	v_cmpx_lt_u32_e32 16, v0
	s_cbranch_execz .LBB37_209
; %bb.208:
	scratch_load_b64 v[1:2], off, off offset:128
	v_mov_b32_e32 v3, 0
	s_delay_alu instid0(VALU_DEP_1)
	v_mov_b32_e32 v4, v3
	scratch_store_b64 off, v[3:4], off offset:128
	s_wait_loadcnt 0x0
	ds_store_b64 v23, v[1:2]
.LBB37_209:
	s_wait_alu 0xfffe
	s_or_b32 exec_lo, exec_lo, s0
	s_wait_storecnt_dscnt 0x0
	s_barrier_signal -1
	s_barrier_wait -1
	global_inv scope:SCOPE_SE
	s_clause 0xb
	scratch_load_b128 v[2:5], off, off offset:136
	scratch_load_b128 v[6:9], off, off offset:152
	;; [unrolled: 1-line block ×10, first 2 shown]
	scratch_load_b64 v[160:161], off, off offset:296
	scratch_load_b64 v[162:163], off, off offset:128
	v_mov_b32_e32 v1, 0
	ds_load_2addr_b64 v[120:123], v1 offset0:55 offset1:56
	ds_load_2addr_b64 v[124:127], v1 offset0:57 offset1:58
	;; [unrolled: 1-line block ×10, first 2 shown]
	ds_load_b64 v[164:165], v1 offset:600
	s_mov_b32 s0, exec_lo
	s_wait_loadcnt_dscnt 0xb0a
	v_mul_f32_e32 v22, v120, v3
	v_dual_mul_f32 v3, v121, v3 :: v_dual_mul_f32 v166, v122, v5
	s_wait_loadcnt_dscnt 0x706
	v_dual_mul_f32 v167, v124, v7 :: v_dual_mul_f32 v174, v138, v21
	v_mul_f32_e32 v5, v123, v5
	s_delay_alu instid0(VALU_DEP_3)
	v_fma_f32 v3, v120, v2, -v3
	v_dual_mul_f32 v168, v126, v9 :: v_dual_mul_f32 v169, v128, v11
	s_wait_loadcnt_dscnt 0x100
	v_dual_fmac_f32 v22, v121, v2 :: v_dual_mul_f32 v185, v164, v161
	v_mul_f32_e32 v2, v125, v7
	v_dual_fmac_f32 v166, v123, v4 :: v_dual_add_f32 v3, 0, v3
	v_fma_f32 v4, v122, v4, -v5
	s_delay_alu instid0(VALU_DEP_4) | instskip(SKIP_2) | instid1(VALU_DEP_4)
	v_dual_add_f32 v5, 0, v22 :: v_dual_fmac_f32 v168, v127, v8
	v_mul_f32_e32 v7, v127, v9
	v_fma_f32 v2, v124, v6, -v2
	v_add_f32_e32 v3, v3, v4
	v_fmac_f32_e32 v167, v125, v6
	v_add_f32_e32 v4, v5, v166
	v_mul_f32_e32 v5, v129, v11
	v_fma_f32 v6, v126, v8, -v7
	v_add_f32_e32 v2, v3, v2
	v_dual_mul_f32 v170, v130, v13 :: v_dual_mul_f32 v171, v132, v15
	v_dual_add_f32 v3, v4, v167 :: v_dual_mul_f32 v4, v131, v13
	v_fma_f32 v5, v128, v10, -v5
	s_delay_alu instid0(VALU_DEP_4)
	v_add_f32_e32 v2, v2, v6
	v_fmac_f32_e32 v169, v129, v10
	v_mul_f32_e32 v6, v133, v15
	v_fmac_f32_e32 v170, v131, v12
	v_add_f32_e32 v3, v3, v168
	v_fma_f32 v4, v130, v12, -v4
	v_add_f32_e32 v2, v2, v5
	v_dual_mul_f32 v172, v134, v17 :: v_dual_mul_f32 v173, v136, v19
	s_delay_alu instid0(VALU_DEP_4)
	v_add_f32_e32 v3, v3, v169
	v_mul_f32_e32 v5, v135, v17
	v_fma_f32 v6, v132, v14, -v6
	v_dual_add_f32 v2, v2, v4 :: v_dual_fmac_f32 v171, v133, v14
	v_fmac_f32_e32 v172, v135, v16
	v_mul_f32_e32 v4, v137, v19
	v_fma_f32 v5, v134, v16, -v5
	s_delay_alu instid0(VALU_DEP_4) | instskip(SKIP_3) | instid1(VALU_DEP_3)
	v_add_f32_e32 v2, v2, v6
	v_add_f32_e32 v3, v3, v170
	v_dual_mul_f32 v6, v139, v21 :: v_dual_fmac_f32 v173, v137, v18
	v_fma_f32 v4, v136, v18, -v4
	v_dual_add_f32 v2, v2, v5 :: v_dual_add_f32 v3, v3, v171
	s_delay_alu instid0(VALU_DEP_3) | instskip(SKIP_1) | instid1(VALU_DEP_3)
	v_fma_f32 v6, v138, v20, -v6
	v_dual_mul_f32 v175, v140, v25 :: v_dual_mul_f32 v176, v142, v27
	v_add_f32_e32 v2, v2, v4
	s_delay_alu instid0(VALU_DEP_4) | instskip(SKIP_1) | instid1(VALU_DEP_4)
	v_add_f32_e32 v3, v3, v172
	v_dual_mul_f32 v5, v141, v25 :: v_dual_fmac_f32 v174, v139, v20
	v_dual_mul_f32 v4, v143, v27 :: v_dual_fmac_f32 v175, v141, v24
	s_delay_alu instid0(VALU_DEP_3) | instskip(NEXT) | instid1(VALU_DEP_3)
	v_dual_add_f32 v2, v2, v6 :: v_dual_add_f32 v3, v3, v173
	v_fma_f32 v5, v140, v24, -v5
	v_dual_mul_f32 v177, v144, v105 :: v_dual_mul_f32 v178, v146, v107
	s_delay_alu instid0(VALU_DEP_3) | instskip(NEXT) | instid1(VALU_DEP_2)
	v_dual_mul_f32 v6, v145, v105 :: v_dual_add_f32 v3, v3, v174
	v_dual_fmac_f32 v176, v143, v26 :: v_dual_fmac_f32 v177, v145, v104
	v_fma_f32 v4, v142, v26, -v4
	s_delay_alu instid0(VALU_DEP_3) | instskip(SKIP_3) | instid1(VALU_DEP_4)
	v_dual_add_f32 v2, v2, v5 :: v_dual_add_f32 v3, v3, v175
	v_mul_f32_e32 v5, v147, v107
	v_fma_f32 v6, v144, v104, -v6
	v_dual_mul_f32 v179, v148, v109 :: v_dual_mul_f32 v180, v150, v111
	v_add_f32_e32 v2, v2, v4
	v_dual_add_f32 v3, v3, v176 :: v_dual_mul_f32 v4, v149, v109
	s_delay_alu instid0(VALU_DEP_3) | instskip(SKIP_1) | instid1(VALU_DEP_3)
	v_dual_fmac_f32 v178, v147, v106 :: v_dual_fmac_f32 v179, v149, v108
	v_fma_f32 v5, v146, v106, -v5
	v_dual_add_f32 v2, v2, v6 :: v_dual_add_f32 v3, v3, v177
	v_mul_f32_e32 v6, v151, v111
	v_fma_f32 v4, v148, v108, -v4
	v_dual_mul_f32 v181, v152, v113 :: v_dual_mul_f32 v182, v154, v115
	s_delay_alu instid0(VALU_DEP_4) | instskip(SKIP_1) | instid1(VALU_DEP_3)
	v_dual_add_f32 v2, v2, v5 :: v_dual_add_f32 v3, v3, v178
	v_dual_mul_f32 v5, v153, v113 :: v_dual_fmac_f32 v180, v151, v110
	v_fmac_f32_e32 v181, v153, v112
	v_fma_f32 v6, v150, v110, -v6
	s_delay_alu instid0(VALU_DEP_4) | instskip(SKIP_2) | instid1(VALU_DEP_3)
	v_dual_add_f32 v2, v2, v4 :: v_dual_add_f32 v3, v3, v179
	v_dual_mul_f32 v183, v156, v117 :: v_dual_mul_f32 v184, v158, v119
	v_mul_f32_e32 v4, v155, v115
	v_dual_add_f32 v2, v2, v6 :: v_dual_add_f32 v3, v3, v180
	v_fma_f32 v5, v152, v112, -v5
	v_dual_fmac_f32 v182, v155, v114 :: v_dual_fmac_f32 v185, v165, v160
	v_fmac_f32_e32 v183, v157, v116
	v_fma_f32 v4, v154, v114, -v4
	v_add_f32_e32 v3, v3, v181
	v_mul_f32_e32 v6, v157, v117
	v_dual_add_f32 v2, v2, v5 :: v_dual_mul_f32 v5, v159, v119
	v_fmac_f32_e32 v184, v159, v118
	s_delay_alu instid0(VALU_DEP_4) | instskip(NEXT) | instid1(VALU_DEP_4)
	v_add_f32_e32 v3, v3, v182
	v_fma_f32 v6, v156, v116, -v6
	s_delay_alu instid0(VALU_DEP_4) | instskip(SKIP_2) | instid1(VALU_DEP_3)
	v_add_f32_e32 v2, v2, v4
	v_mul_f32_e32 v4, v165, v161
	v_fma_f32 v5, v158, v118, -v5
	v_dual_add_f32 v3, v3, v183 :: v_dual_add_f32 v2, v2, v6
	s_delay_alu instid0(VALU_DEP_3) | instskip(NEXT) | instid1(VALU_DEP_2)
	v_fma_f32 v4, v164, v160, -v4
	v_add_f32_e32 v3, v3, v184
	s_delay_alu instid0(VALU_DEP_1) | instskip(SKIP_1) | instid1(VALU_DEP_1)
	v_add_f32_e32 v3, v3, v185
	s_wait_loadcnt 0x0
	v_dual_add_f32 v2, v2, v5 :: v_dual_sub_f32 v3, v163, v3
	s_delay_alu instid0(VALU_DEP_1) | instskip(NEXT) | instid1(VALU_DEP_1)
	v_add_f32_e32 v2, v2, v4
	v_sub_f32_e32 v2, v162, v2
	scratch_store_b64 off, v[2:3], off offset:128
	v_cmpx_lt_u32_e32 15, v0
	s_cbranch_execz .LBB37_211
; %bb.210:
	scratch_load_b64 v[3:4], off, off offset:120
	v_mov_b32_e32 v2, v1
	scratch_store_b64 off, v[1:2], off offset:120
	s_wait_loadcnt 0x0
	ds_store_b64 v23, v[3:4]
.LBB37_211:
	s_wait_alu 0xfffe
	s_or_b32 exec_lo, exec_lo, s0
	s_wait_storecnt_dscnt 0x0
	s_barrier_signal -1
	s_barrier_wait -1
	global_inv scope:SCOPE_SE
	s_clause 0xb
	scratch_load_b128 v[2:5], off, off offset:128
	scratch_load_b128 v[6:9], off, off offset:144
	scratch_load_b128 v[10:13], off, off offset:160
	scratch_load_b128 v[14:17], off, off offset:176
	scratch_load_b128 v[18:21], off, off offset:192
	scratch_load_b128 v[24:27], off, off offset:208
	scratch_load_b128 v[104:107], off, off offset:224
	scratch_load_b128 v[108:111], off, off offset:240
	scratch_load_b128 v[112:115], off, off offset:256
	scratch_load_b128 v[116:119], off, off offset:272
	scratch_load_b128 v[120:123], off, off offset:288
	scratch_load_b64 v[168:169], off, off offset:120
	ds_load_b128 v[124:127], v1 offset:432
	ds_load_b128 v[128:131], v1 offset:448
	;; [unrolled: 1-line block ×11, first 2 shown]
	s_mov_b32 s0, exec_lo
	s_wait_loadcnt_dscnt 0xb0a
	v_dual_mul_f32 v1, v124, v3 :: v_dual_mul_f32 v22, v126, v5
	s_wait_loadcnt_dscnt 0xa09
	v_dual_mul_f32 v5, v127, v5 :: v_dual_mul_f32 v170, v128, v7
	v_mul_f32_e32 v171, v130, v9
	v_mul_f32_e32 v3, v125, v3
	v_dual_fmac_f32 v1, v125, v2 :: v_dual_fmac_f32 v22, v127, v4
	s_wait_loadcnt_dscnt 0x908
	v_dual_mul_f32 v172, v132, v11 :: v_dual_mul_f32 v173, v134, v13
	s_wait_loadcnt_dscnt 0x201
	v_mul_f32_e32 v186, v160, v117
	v_fma_f32 v3, v124, v2, -v3
	s_wait_loadcnt_dscnt 0x100
	v_mul_f32_e32 v189, v166, v123
	v_mul_f32_e32 v2, v129, v7
	v_fma_f32 v4, v126, v4, -v5
	v_dual_mul_f32 v174, v136, v15 :: v_dual_mul_f32 v175, v138, v17
	v_dual_add_f32 v3, 0, v3 :: v_dual_fmac_f32 v170, v129, v6
	v_dual_mul_f32 v5, v131, v9 :: v_dual_fmac_f32 v172, v133, v10
	v_fma_f32 v2, v128, v6, -v2
	s_delay_alu instid0(VALU_DEP_3) | instskip(NEXT) | instid1(VALU_DEP_3)
	v_dual_add_f32 v3, v3, v4 :: v_dual_fmac_f32 v174, v137, v14
	v_fma_f32 v5, v130, v8, -v5
	v_dual_mul_f32 v176, v140, v19 :: v_dual_mul_f32 v177, v142, v21
	s_delay_alu instid0(VALU_DEP_3) | instskip(SKIP_3) | instid1(VALU_DEP_4)
	v_add_f32_e32 v2, v3, v2
	v_mul_f32_e32 v3, v135, v13
	v_dual_mul_f32 v178, v144, v25 :: v_dual_mul_f32 v179, v146, v27
	v_mul_f32_e32 v4, v133, v11
	v_add_f32_e32 v2, v2, v5
	v_dual_add_f32 v1, 0, v1 :: v_dual_fmac_f32 v176, v141, v18
	v_fma_f32 v3, v134, v12, -v3
	s_delay_alu instid0(VALU_DEP_4) | instskip(SKIP_1) | instid1(VALU_DEP_4)
	v_fma_f32 v4, v132, v10, -v4
	v_fmac_f32_e32 v175, v139, v16
	v_dual_add_f32 v1, v1, v22 :: v_dual_mul_f32 v180, v148, v105
	v_mul_f32_e32 v181, v150, v107
	s_delay_alu instid0(VALU_DEP_4) | instskip(NEXT) | instid1(VALU_DEP_3)
	v_add_f32_e32 v2, v2, v4
	v_dual_mul_f32 v4, v139, v17 :: v_dual_add_f32 v1, v1, v170
	v_dual_fmac_f32 v171, v131, v8 :: v_dual_mul_f32 v184, v156, v113
	v_mul_f32_e32 v185, v158, v115
	s_delay_alu instid0(VALU_DEP_3) | instskip(SKIP_4) | instid1(VALU_DEP_4)
	v_fma_f32 v4, v138, v16, -v4
	v_mul_f32_e32 v5, v137, v15
	v_add_f32_e32 v2, v2, v3
	v_dual_add_f32 v1, v1, v171 :: v_dual_mul_f32 v182, v152, v109
	v_mul_f32_e32 v183, v154, v111
	v_fma_f32 v5, v136, v14, -v5
	v_fmac_f32_e32 v173, v135, v12
	v_dual_fmac_f32 v178, v145, v24 :: v_dual_fmac_f32 v181, v151, v106
	v_dual_fmac_f32 v179, v147, v26 :: v_dual_fmac_f32 v182, v153, v108
	s_delay_alu instid0(VALU_DEP_4) | instskip(SKIP_2) | instid1(VALU_DEP_3)
	v_add_f32_e32 v2, v2, v5
	v_mul_f32_e32 v5, v143, v21
	v_dual_mul_f32 v187, v162, v119 :: v_dual_mul_f32 v188, v164, v121
	v_dual_fmac_f32 v185, v159, v114 :: v_dual_add_f32 v2, v2, v4
	s_delay_alu instid0(VALU_DEP_3) | instskip(SKIP_4) | instid1(VALU_DEP_4)
	v_fma_f32 v5, v142, v20, -v5
	v_mul_f32_e32 v3, v141, v19
	v_mul_f32_e32 v4, v145, v25
	v_dual_fmac_f32 v188, v165, v120 :: v_dual_fmac_f32 v187, v163, v118
	v_fmac_f32_e32 v180, v149, v104
	v_fma_f32 v3, v140, v18, -v3
	v_add_f32_e32 v1, v1, v172
	v_fma_f32 v4, v144, v24, -v4
	v_dual_fmac_f32 v189, v167, v122 :: v_dual_fmac_f32 v184, v157, v112
	s_delay_alu instid0(VALU_DEP_4) | instskip(SKIP_1) | instid1(VALU_DEP_2)
	v_add_f32_e32 v2, v2, v3
	v_dual_mul_f32 v3, v147, v27 :: v_dual_fmac_f32 v186, v161, v116
	v_add_f32_e32 v2, v2, v5
	v_add_f32_e32 v1, v1, v173
	s_delay_alu instid0(VALU_DEP_3) | instskip(NEXT) | instid1(VALU_DEP_2)
	v_fma_f32 v3, v146, v26, -v3
	v_dual_add_f32 v2, v2, v4 :: v_dual_add_f32 v1, v1, v174
	v_mul_f32_e32 v4, v151, v107
	s_delay_alu instid0(VALU_DEP_2) | instskip(SKIP_1) | instid1(VALU_DEP_3)
	v_dual_fmac_f32 v177, v143, v20 :: v_dual_add_f32 v2, v2, v3
	v_mul_f32_e32 v3, v153, v109
	v_fma_f32 v4, v150, v106, -v4
	v_mul_f32_e32 v5, v149, v105
	s_delay_alu instid0(VALU_DEP_3) | instskip(NEXT) | instid1(VALU_DEP_2)
	v_fma_f32 v3, v152, v108, -v3
	v_fma_f32 v5, v148, v104, -v5
	s_delay_alu instid0(VALU_DEP_1) | instskip(NEXT) | instid1(VALU_DEP_1)
	v_dual_add_f32 v1, v1, v175 :: v_dual_add_f32 v2, v2, v5
	v_dual_mul_f32 v5, v155, v111 :: v_dual_add_f32 v2, v2, v4
	s_delay_alu instid0(VALU_DEP_2) | instskip(SKIP_1) | instid1(VALU_DEP_3)
	v_add_f32_e32 v1, v1, v176
	v_mul_f32_e32 v4, v157, v113
	v_fma_f32 v5, v154, v110, -v5
	s_delay_alu instid0(VALU_DEP_4) | instskip(SKIP_1) | instid1(VALU_DEP_4)
	v_dual_add_f32 v2, v2, v3 :: v_dual_fmac_f32 v183, v155, v110
	v_mul_f32_e32 v3, v159, v115
	v_fma_f32 v4, v156, v112, -v4
	s_delay_alu instid0(VALU_DEP_3) | instskip(SKIP_1) | instid1(VALU_DEP_4)
	v_add_f32_e32 v2, v2, v5
	v_add_f32_e32 v1, v1, v177
	v_fma_f32 v3, v158, v114, -v3
	s_delay_alu instid0(VALU_DEP_3) | instskip(NEXT) | instid1(VALU_DEP_3)
	v_dual_add_f32 v2, v2, v4 :: v_dual_mul_f32 v5, v161, v117
	v_dual_add_f32 v1, v1, v178 :: v_dual_mul_f32 v4, v163, v119
	s_delay_alu instid0(VALU_DEP_2) | instskip(NEXT) | instid1(VALU_DEP_3)
	v_add_f32_e32 v2, v2, v3
	v_fma_f32 v5, v160, v116, -v5
	s_delay_alu instid0(VALU_DEP_3) | instskip(SKIP_2) | instid1(VALU_DEP_4)
	v_add_f32_e32 v1, v1, v179
	v_mul_f32_e32 v3, v165, v121
	v_fma_f32 v4, v162, v118, -v4
	v_dual_add_f32 v2, v2, v5 :: v_dual_mul_f32 v5, v167, v123
	s_delay_alu instid0(VALU_DEP_3) | instskip(NEXT) | instid1(VALU_DEP_2)
	v_fma_f32 v3, v164, v120, -v3
	v_add_f32_e32 v2, v2, v4
	v_add_f32_e32 v1, v1, v180
	s_delay_alu instid0(VALU_DEP_4) | instskip(NEXT) | instid1(VALU_DEP_2)
	v_fma_f32 v4, v166, v122, -v5
	v_dual_add_f32 v2, v2, v3 :: v_dual_add_f32 v1, v1, v181
	s_delay_alu instid0(VALU_DEP_1) | instskip(NEXT) | instid1(VALU_DEP_1)
	v_dual_add_f32 v2, v2, v4 :: v_dual_add_f32 v1, v1, v182
	v_add_f32_e32 v1, v1, v183
	s_delay_alu instid0(VALU_DEP_1) | instskip(NEXT) | instid1(VALU_DEP_1)
	v_add_f32_e32 v1, v1, v184
	v_add_f32_e32 v1, v1, v185
	s_delay_alu instid0(VALU_DEP_1) | instskip(NEXT) | instid1(VALU_DEP_1)
	v_add_f32_e32 v1, v1, v186
	;; [unrolled: 3-line block ×3, first 2 shown]
	v_add_f32_e32 v3, v1, v189
	s_wait_loadcnt 0x0
	s_delay_alu instid0(VALU_DEP_1)
	v_dual_sub_f32 v1, v168, v2 :: v_dual_sub_f32 v2, v169, v3
	scratch_store_b64 off, v[1:2], off offset:120
	v_cmpx_lt_u32_e32 14, v0
	s_cbranch_execz .LBB37_213
; %bb.212:
	scratch_load_b64 v[1:2], off, off offset:112
	v_mov_b32_e32 v3, 0
	s_delay_alu instid0(VALU_DEP_1)
	v_mov_b32_e32 v4, v3
	scratch_store_b64 off, v[3:4], off offset:112
	s_wait_loadcnt 0x0
	ds_store_b64 v23, v[1:2]
.LBB37_213:
	s_wait_alu 0xfffe
	s_or_b32 exec_lo, exec_lo, s0
	s_wait_storecnt_dscnt 0x0
	s_barrier_signal -1
	s_barrier_wait -1
	global_inv scope:SCOPE_SE
	s_clause 0xc
	scratch_load_b128 v[2:5], off, off offset:120
	scratch_load_b128 v[6:9], off, off offset:136
	;; [unrolled: 1-line block ×11, first 2 shown]
	scratch_load_b64 v[168:169], off, off offset:296
	scratch_load_b64 v[170:171], off, off offset:112
	v_mov_b32_e32 v1, 0
	ds_load_2addr_b64 v[124:127], v1 offset0:53 offset1:54
	ds_load_2addr_b64 v[128:131], v1 offset0:55 offset1:56
	;; [unrolled: 1-line block ×11, first 2 shown]
	ds_load_b64 v[172:173], v1 offset:600
	s_mov_b32 s0, exec_lo
	s_wait_loadcnt_dscnt 0xc0b
	v_mul_f32_e32 v22, v124, v3
	v_dual_mul_f32 v3, v125, v3 :: v_dual_mul_f32 v174, v126, v5
	s_wait_loadcnt_dscnt 0x807
	v_dual_mul_f32 v175, v128, v7 :: v_dual_mul_f32 v182, v142, v21
	v_mul_f32_e32 v5, v127, v5
	s_delay_alu instid0(VALU_DEP_3)
	v_fma_f32 v3, v124, v2, -v3
	v_dual_mul_f32 v176, v130, v9 :: v_dual_mul_f32 v177, v132, v11
	v_fmac_f32_e32 v22, v125, v2
	s_wait_loadcnt_dscnt 0x100
	v_dual_mul_f32 v2, v129, v7 :: v_dual_mul_f32 v195, v172, v169
	v_dual_fmac_f32 v174, v127, v4 :: v_dual_add_f32 v3, 0, v3
	v_fma_f32 v4, v126, v4, -v5
	v_dual_add_f32 v5, 0, v22 :: v_dual_fmac_f32 v176, v131, v8
	v_mul_f32_e32 v7, v131, v9
	v_fma_f32 v2, v128, v6, -v2
	s_delay_alu instid0(VALU_DEP_4)
	v_add_f32_e32 v3, v3, v4
	v_fmac_f32_e32 v175, v129, v6
	v_add_f32_e32 v4, v5, v174
	v_mul_f32_e32 v5, v133, v11
	v_fma_f32 v6, v130, v8, -v7
	v_add_f32_e32 v2, v3, v2
	v_dual_mul_f32 v178, v134, v13 :: v_dual_mul_f32 v179, v136, v15
	v_dual_add_f32 v3, v4, v175 :: v_dual_mul_f32 v4, v135, v13
	v_fma_f32 v5, v132, v10, -v5
	s_delay_alu instid0(VALU_DEP_4)
	v_add_f32_e32 v2, v2, v6
	v_fmac_f32_e32 v177, v133, v10
	v_mul_f32_e32 v6, v137, v15
	v_fmac_f32_e32 v178, v135, v12
	v_add_f32_e32 v3, v3, v176
	v_fma_f32 v4, v134, v12, -v4
	v_add_f32_e32 v2, v2, v5
	v_dual_mul_f32 v180, v138, v17 :: v_dual_mul_f32 v181, v140, v19
	s_delay_alu instid0(VALU_DEP_4)
	v_add_f32_e32 v3, v3, v177
	v_mul_f32_e32 v5, v139, v17
	v_fma_f32 v6, v136, v14, -v6
	v_dual_add_f32 v2, v2, v4 :: v_dual_fmac_f32 v179, v137, v14
	v_fmac_f32_e32 v180, v139, v16
	v_mul_f32_e32 v4, v141, v19
	v_fma_f32 v5, v138, v16, -v5
	s_delay_alu instid0(VALU_DEP_4) | instskip(SKIP_3) | instid1(VALU_DEP_3)
	v_add_f32_e32 v2, v2, v6
	v_add_f32_e32 v3, v3, v178
	v_dual_mul_f32 v6, v143, v21 :: v_dual_fmac_f32 v181, v141, v18
	v_fma_f32 v4, v140, v18, -v4
	v_dual_add_f32 v2, v2, v5 :: v_dual_add_f32 v3, v3, v179
	s_delay_alu instid0(VALU_DEP_3) | instskip(SKIP_1) | instid1(VALU_DEP_3)
	v_fma_f32 v6, v142, v20, -v6
	v_dual_mul_f32 v183, v144, v25 :: v_dual_mul_f32 v184, v146, v27
	v_add_f32_e32 v2, v2, v4
	s_delay_alu instid0(VALU_DEP_4) | instskip(SKIP_1) | instid1(VALU_DEP_4)
	v_add_f32_e32 v3, v3, v180
	v_dual_mul_f32 v5, v145, v25 :: v_dual_fmac_f32 v182, v143, v20
	v_dual_mul_f32 v4, v147, v27 :: v_dual_fmac_f32 v183, v145, v24
	s_delay_alu instid0(VALU_DEP_3) | instskip(NEXT) | instid1(VALU_DEP_3)
	v_dual_add_f32 v2, v2, v6 :: v_dual_add_f32 v3, v3, v181
	v_fma_f32 v5, v144, v24, -v5
	v_dual_mul_f32 v185, v148, v105 :: v_dual_mul_f32 v186, v150, v107
	s_delay_alu instid0(VALU_DEP_3) | instskip(NEXT) | instid1(VALU_DEP_2)
	v_dual_mul_f32 v6, v149, v105 :: v_dual_add_f32 v3, v3, v182
	v_dual_fmac_f32 v184, v147, v26 :: v_dual_fmac_f32 v185, v149, v104
	v_fma_f32 v4, v146, v26, -v4
	s_delay_alu instid0(VALU_DEP_3) | instskip(SKIP_3) | instid1(VALU_DEP_4)
	v_dual_add_f32 v2, v2, v5 :: v_dual_add_f32 v3, v3, v183
	v_mul_f32_e32 v5, v151, v107
	v_fma_f32 v6, v148, v104, -v6
	v_dual_mul_f32 v187, v152, v109 :: v_dual_mul_f32 v188, v154, v111
	v_add_f32_e32 v2, v2, v4
	v_dual_add_f32 v3, v3, v184 :: v_dual_mul_f32 v4, v153, v109
	s_delay_alu instid0(VALU_DEP_3) | instskip(SKIP_1) | instid1(VALU_DEP_3)
	v_dual_fmac_f32 v186, v151, v106 :: v_dual_fmac_f32 v187, v153, v108
	v_fma_f32 v5, v150, v106, -v5
	v_dual_add_f32 v2, v2, v6 :: v_dual_add_f32 v3, v3, v185
	v_mul_f32_e32 v6, v155, v111
	v_fma_f32 v4, v152, v108, -v4
	v_dual_mul_f32 v189, v156, v113 :: v_dual_mul_f32 v190, v158, v115
	s_delay_alu instid0(VALU_DEP_4) | instskip(SKIP_1) | instid1(VALU_DEP_3)
	v_dual_add_f32 v2, v2, v5 :: v_dual_add_f32 v3, v3, v186
	v_dual_mul_f32 v5, v157, v113 :: v_dual_fmac_f32 v188, v155, v110
	v_fmac_f32_e32 v189, v157, v112
	v_fma_f32 v6, v154, v110, -v6
	s_delay_alu instid0(VALU_DEP_4) | instskip(SKIP_2) | instid1(VALU_DEP_2)
	v_dual_add_f32 v2, v2, v4 :: v_dual_add_f32 v3, v3, v187
	v_dual_mul_f32 v191, v160, v117 :: v_dual_mul_f32 v192, v162, v119
	v_dual_mul_f32 v193, v164, v121 :: v_dual_mul_f32 v194, v166, v123
	v_dual_mul_f32 v4, v159, v115 :: v_dual_fmac_f32 v191, v161, v116
	v_fma_f32 v5, v156, v112, -v5
	v_dual_add_f32 v2, v2, v6 :: v_dual_add_f32 v3, v3, v188
	v_mul_f32_e32 v6, v161, v117
	v_dual_fmac_f32 v190, v159, v114 :: v_dual_fmac_f32 v193, v165, v120
	v_fma_f32 v4, v158, v114, -v4
	s_delay_alu instid0(VALU_DEP_4) | instskip(SKIP_3) | instid1(VALU_DEP_3)
	v_add_f32_e32 v3, v3, v189
	v_dual_add_f32 v2, v2, v5 :: v_dual_mul_f32 v5, v163, v119
	v_fma_f32 v6, v160, v116, -v6
	v_fmac_f32_e32 v192, v163, v118
	v_dual_add_f32 v3, v3, v190 :: v_dual_add_f32 v2, v2, v4
	v_mul_f32_e32 v4, v165, v121
	v_fma_f32 v5, v162, v118, -v5
	v_fmac_f32_e32 v194, v167, v122
	s_delay_alu instid0(VALU_DEP_4) | instskip(SKIP_2) | instid1(VALU_DEP_3)
	v_dual_add_f32 v3, v3, v191 :: v_dual_add_f32 v2, v2, v6
	v_dual_mul_f32 v6, v167, v123 :: v_dual_fmac_f32 v195, v173, v168
	v_fma_f32 v4, v164, v120, -v4
	v_add_f32_e32 v2, v2, v5
	v_mul_f32_e32 v5, v173, v169
	v_add_f32_e32 v3, v3, v192
	v_fma_f32 v6, v166, v122, -v6
	s_delay_alu instid0(VALU_DEP_2) | instskip(NEXT) | instid1(VALU_DEP_1)
	v_add_f32_e32 v3, v3, v193
	v_dual_add_f32 v3, v3, v194 :: v_dual_add_f32 v2, v2, v4
	v_fma_f32 v4, v172, v168, -v5
	s_delay_alu instid0(VALU_DEP_2) | instskip(SKIP_1) | instid1(VALU_DEP_1)
	v_dual_add_f32 v3, v3, v195 :: v_dual_add_f32 v2, v2, v6
	s_wait_loadcnt 0x0
	v_dual_sub_f32 v3, v171, v3 :: v_dual_add_f32 v2, v2, v4
	s_delay_alu instid0(VALU_DEP_1)
	v_sub_f32_e32 v2, v170, v2
	scratch_store_b64 off, v[2:3], off offset:112
	v_cmpx_lt_u32_e32 13, v0
	s_cbranch_execz .LBB37_215
; %bb.214:
	scratch_load_b64 v[3:4], off, off offset:104
	v_mov_b32_e32 v2, v1
	scratch_store_b64 off, v[1:2], off offset:104
	s_wait_loadcnt 0x0
	ds_store_b64 v23, v[3:4]
.LBB37_215:
	s_wait_alu 0xfffe
	s_or_b32 exec_lo, exec_lo, s0
	s_wait_storecnt_dscnt 0x0
	s_barrier_signal -1
	s_barrier_wait -1
	global_inv scope:SCOPE_SE
	s_clause 0xc
	scratch_load_b128 v[2:5], off, off offset:112
	scratch_load_b128 v[6:9], off, off offset:128
	;; [unrolled: 1-line block ×12, first 2 shown]
	scratch_load_b64 v[176:177], off, off offset:104
	ds_load_b128 v[128:131], v1 offset:416
	ds_load_b128 v[132:135], v1 offset:432
	;; [unrolled: 1-line block ×12, first 2 shown]
	s_mov_b32 s0, exec_lo
	s_wait_loadcnt_dscnt 0xc0b
	v_dual_mul_f32 v1, v128, v3 :: v_dual_mul_f32 v22, v130, v5
	s_wait_loadcnt_dscnt 0xb0a
	v_dual_mul_f32 v5, v131, v5 :: v_dual_mul_f32 v178, v132, v7
	v_mul_f32_e32 v179, v134, v9
	s_delay_alu instid0(VALU_DEP_3)
	v_fmac_f32_e32 v1, v129, v2
	v_dual_mul_f32 v3, v129, v3 :: v_dual_fmac_f32 v22, v131, v4
	s_wait_loadcnt_dscnt 0xa09
	v_dual_mul_f32 v180, v136, v11 :: v_dual_mul_f32 v181, v138, v13
	s_wait_loadcnt_dscnt 0x201
	v_mul_f32_e32 v196, v168, v121
	v_fma_f32 v3, v128, v2, -v3
	s_wait_loadcnt_dscnt 0x100
	v_mul_f32_e32 v199, v174, v127
	v_mul_f32_e32 v2, v133, v7
	v_fma_f32 v4, v130, v4, -v5
	v_dual_mul_f32 v182, v140, v15 :: v_dual_mul_f32 v183, v142, v17
	v_dual_add_f32 v3, 0, v3 :: v_dual_fmac_f32 v178, v133, v6
	v_dual_mul_f32 v5, v135, v9 :: v_dual_fmac_f32 v180, v137, v10
	v_fma_f32 v2, v132, v6, -v2
	s_delay_alu instid0(VALU_DEP_3) | instskip(NEXT) | instid1(VALU_DEP_3)
	v_dual_add_f32 v3, v3, v4 :: v_dual_fmac_f32 v182, v141, v14
	v_fma_f32 v5, v134, v8, -v5
	v_dual_mul_f32 v184, v144, v19 :: v_dual_mul_f32 v185, v146, v21
	s_delay_alu instid0(VALU_DEP_3) | instskip(SKIP_3) | instid1(VALU_DEP_4)
	v_add_f32_e32 v2, v3, v2
	v_mul_f32_e32 v3, v139, v13
	v_dual_mul_f32 v186, v148, v25 :: v_dual_mul_f32 v187, v150, v27
	v_mul_f32_e32 v4, v137, v11
	v_add_f32_e32 v2, v2, v5
	v_dual_add_f32 v1, 0, v1 :: v_dual_fmac_f32 v184, v145, v18
	v_fma_f32 v3, v138, v12, -v3
	s_delay_alu instid0(VALU_DEP_4) | instskip(SKIP_1) | instid1(VALU_DEP_4)
	v_fma_f32 v4, v136, v10, -v4
	v_fmac_f32_e32 v183, v143, v16
	v_dual_add_f32 v1, v1, v22 :: v_dual_mul_f32 v188, v152, v105
	v_mul_f32_e32 v189, v154, v107
	s_delay_alu instid0(VALU_DEP_4) | instskip(NEXT) | instid1(VALU_DEP_3)
	v_add_f32_e32 v2, v2, v4
	v_dual_mul_f32 v4, v143, v17 :: v_dual_add_f32 v1, v1, v178
	v_dual_fmac_f32 v179, v135, v8 :: v_dual_mul_f32 v192, v160, v113
	v_mul_f32_e32 v193, v162, v115
	s_delay_alu instid0(VALU_DEP_3) | instskip(SKIP_4) | instid1(VALU_DEP_4)
	v_fma_f32 v4, v142, v16, -v4
	v_mul_f32_e32 v5, v141, v15
	v_add_f32_e32 v2, v2, v3
	v_dual_add_f32 v1, v1, v179 :: v_dual_mul_f32 v190, v156, v109
	v_mul_f32_e32 v191, v158, v111
	v_fma_f32 v5, v140, v14, -v5
	v_fmac_f32_e32 v181, v139, v12
	v_dual_fmac_f32 v189, v155, v106 :: v_dual_fmac_f32 v186, v149, v24
	v_dual_mul_f32 v194, v164, v117 :: v_dual_mul_f32 v195, v166, v119
	s_delay_alu instid0(VALU_DEP_4) | instskip(SKIP_3) | instid1(VALU_DEP_3)
	v_add_f32_e32 v2, v2, v5
	v_mul_f32_e32 v5, v147, v21
	v_dual_fmac_f32 v187, v151, v26 :: v_dual_fmac_f32 v190, v157, v108
	v_dual_mul_f32 v197, v170, v123 :: v_dual_mul_f32 v198, v172, v125
	v_fma_f32 v5, v146, v20, -v5
	v_dual_mul_f32 v3, v145, v19 :: v_dual_add_f32 v2, v2, v4
	v_dual_mul_f32 v4, v149, v25 :: v_dual_fmac_f32 v195, v167, v118
	v_dual_fmac_f32 v193, v163, v114 :: v_dual_fmac_f32 v196, v169, v120
	s_delay_alu instid0(VALU_DEP_3) | instskip(SKIP_1) | instid1(VALU_DEP_4)
	v_fma_f32 v3, v144, v18, -v3
	v_add_f32_e32 v1, v1, v180
	v_fma_f32 v4, v148, v24, -v4
	v_dual_fmac_f32 v188, v153, v104 :: v_dual_fmac_f32 v199, v175, v126
	s_delay_alu instid0(VALU_DEP_4) | instskip(SKIP_3) | instid1(VALU_DEP_4)
	v_add_f32_e32 v2, v2, v3
	v_dual_mul_f32 v3, v151, v27 :: v_dual_fmac_f32 v192, v161, v112
	v_fmac_f32_e32 v194, v165, v116
	v_fmac_f32_e32 v198, v173, v124
	v_add_f32_e32 v2, v2, v5
	v_add_f32_e32 v1, v1, v181
	v_fma_f32 v3, v150, v26, -v3
	s_delay_alu instid0(VALU_DEP_2) | instskip(SKIP_1) | instid1(VALU_DEP_2)
	v_dual_add_f32 v2, v2, v4 :: v_dual_add_f32 v1, v1, v182
	v_mul_f32_e32 v4, v155, v107
	v_dual_fmac_f32 v185, v147, v20 :: v_dual_add_f32 v2, v2, v3
	v_mul_f32_e32 v3, v157, v109
	s_delay_alu instid0(VALU_DEP_3) | instskip(SKIP_1) | instid1(VALU_DEP_3)
	v_fma_f32 v4, v154, v106, -v4
	v_mul_f32_e32 v5, v153, v105
	v_fma_f32 v3, v156, v108, -v3
	s_delay_alu instid0(VALU_DEP_2) | instskip(NEXT) | instid1(VALU_DEP_1)
	v_fma_f32 v5, v152, v104, -v5
	v_dual_add_f32 v1, v1, v183 :: v_dual_add_f32 v2, v2, v5
	s_delay_alu instid0(VALU_DEP_1) | instskip(NEXT) | instid1(VALU_DEP_2)
	v_dual_mul_f32 v5, v159, v111 :: v_dual_add_f32 v2, v2, v4
	v_add_f32_e32 v1, v1, v184
	v_mul_f32_e32 v4, v161, v113
	s_delay_alu instid0(VALU_DEP_3) | instskip(NEXT) | instid1(VALU_DEP_4)
	v_fma_f32 v5, v158, v110, -v5
	v_dual_add_f32 v2, v2, v3 :: v_dual_fmac_f32 v191, v159, v110
	v_mul_f32_e32 v3, v163, v115
	s_delay_alu instid0(VALU_DEP_4) | instskip(NEXT) | instid1(VALU_DEP_3)
	v_fma_f32 v4, v160, v112, -v4
	v_add_f32_e32 v2, v2, v5
	v_add_f32_e32 v1, v1, v185
	s_delay_alu instid0(VALU_DEP_4) | instskip(NEXT) | instid1(VALU_DEP_3)
	v_fma_f32 v3, v162, v114, -v3
	v_dual_add_f32 v2, v2, v4 :: v_dual_mul_f32 v5, v165, v117
	s_delay_alu instid0(VALU_DEP_3) | instskip(NEXT) | instid1(VALU_DEP_2)
	v_dual_add_f32 v1, v1, v186 :: v_dual_mul_f32 v4, v167, v119
	v_add_f32_e32 v2, v2, v3
	s_delay_alu instid0(VALU_DEP_3) | instskip(NEXT) | instid1(VALU_DEP_3)
	v_fma_f32 v5, v164, v116, -v5
	v_add_f32_e32 v1, v1, v187
	v_mul_f32_e32 v3, v169, v121
	v_fma_f32 v4, v166, v118, -v4
	s_delay_alu instid0(VALU_DEP_4) | instskip(NEXT) | instid1(VALU_DEP_3)
	v_dual_add_f32 v2, v2, v5 :: v_dual_mul_f32 v5, v171, v123
	v_fma_f32 v3, v168, v120, -v3
	s_delay_alu instid0(VALU_DEP_2) | instskip(SKIP_3) | instid1(VALU_DEP_4)
	v_add_f32_e32 v2, v2, v4
	v_add_f32_e32 v1, v1, v188
	v_mul_f32_e32 v4, v173, v125
	v_fma_f32 v5, v170, v122, -v5
	v_dual_add_f32 v2, v2, v3 :: v_dual_fmac_f32 v197, v171, v122
	v_mul_f32_e32 v3, v175, v127
	s_delay_alu instid0(VALU_DEP_4) | instskip(NEXT) | instid1(VALU_DEP_3)
	v_fma_f32 v4, v172, v124, -v4
	v_add_f32_e32 v2, v2, v5
	v_add_f32_e32 v1, v1, v189
	s_delay_alu instid0(VALU_DEP_4) | instskip(NEXT) | instid1(VALU_DEP_2)
	v_fma_f32 v3, v174, v126, -v3
	v_dual_add_f32 v2, v2, v4 :: v_dual_add_f32 v1, v1, v190
	s_delay_alu instid0(VALU_DEP_1) | instskip(NEXT) | instid1(VALU_DEP_2)
	v_add_f32_e32 v2, v2, v3
	v_add_f32_e32 v1, v1, v191
	s_delay_alu instid0(VALU_DEP_1) | instskip(NEXT) | instid1(VALU_DEP_1)
	v_add_f32_e32 v1, v1, v192
	v_add_f32_e32 v1, v1, v193
	s_delay_alu instid0(VALU_DEP_1) | instskip(NEXT) | instid1(VALU_DEP_1)
	;; [unrolled: 3-line block ×4, first 2 shown]
	v_add_f32_e32 v1, v1, v198
	v_add_f32_e32 v3, v1, v199
	s_wait_loadcnt 0x0
	s_delay_alu instid0(VALU_DEP_1)
	v_dual_sub_f32 v1, v176, v2 :: v_dual_sub_f32 v2, v177, v3
	scratch_store_b64 off, v[1:2], off offset:104
	v_cmpx_lt_u32_e32 12, v0
	s_cbranch_execz .LBB37_217
; %bb.216:
	scratch_load_b64 v[1:2], off, off offset:96
	v_mov_b32_e32 v3, 0
	s_delay_alu instid0(VALU_DEP_1)
	v_mov_b32_e32 v4, v3
	scratch_store_b64 off, v[3:4], off offset:96
	s_wait_loadcnt 0x0
	ds_store_b64 v23, v[1:2]
.LBB37_217:
	s_wait_alu 0xfffe
	s_or_b32 exec_lo, exec_lo, s0
	s_wait_storecnt_dscnt 0x0
	s_barrier_signal -1
	s_barrier_wait -1
	global_inv scope:SCOPE_SE
	s_clause 0xd
	scratch_load_b128 v[2:5], off, off offset:104
	scratch_load_b128 v[6:9], off, off offset:120
	;; [unrolled: 1-line block ×12, first 2 shown]
	scratch_load_b64 v[176:177], off, off offset:296
	scratch_load_b64 v[178:179], off, off offset:96
	v_mov_b32_e32 v1, 0
	ds_load_2addr_b64 v[128:131], v1 offset0:51 offset1:52
	ds_load_2addr_b64 v[132:135], v1 offset0:53 offset1:54
	;; [unrolled: 1-line block ×12, first 2 shown]
	ds_load_b64 v[180:181], v1 offset:600
	s_mov_b32 s0, exec_lo
	s_wait_loadcnt_dscnt 0xd0c
	v_mul_f32_e32 v22, v128, v3
	v_dual_mul_f32 v3, v129, v3 :: v_dual_mul_f32 v182, v130, v5
	s_wait_loadcnt_dscnt 0x908
	v_dual_mul_f32 v183, v132, v7 :: v_dual_mul_f32 v190, v146, v21
	v_mul_f32_e32 v5, v131, v5
	s_delay_alu instid0(VALU_DEP_3) | instskip(SKIP_3) | instid1(VALU_DEP_4)
	v_fma_f32 v3, v128, v2, -v3
	v_dual_mul_f32 v184, v134, v9 :: v_dual_mul_f32 v185, v136, v11
	v_fmac_f32_e32 v22, v129, v2
	v_mul_f32_e32 v2, v133, v7
	v_dual_fmac_f32 v182, v131, v4 :: v_dual_add_f32 v3, 0, v3
	s_wait_loadcnt_dscnt 0x100
	v_mul_f32_e32 v205, v180, v177
	v_fma_f32 v4, v130, v4, -v5
	v_dual_add_f32 v5, 0, v22 :: v_dual_fmac_f32 v184, v135, v8
	v_mul_f32_e32 v7, v135, v9
	v_fma_f32 v2, v132, v6, -v2
	s_delay_alu instid0(VALU_DEP_4)
	v_add_f32_e32 v3, v3, v4
	v_fmac_f32_e32 v183, v133, v6
	v_add_f32_e32 v4, v5, v182
	v_mul_f32_e32 v5, v137, v11
	v_fma_f32 v6, v134, v8, -v7
	v_add_f32_e32 v2, v3, v2
	v_dual_mul_f32 v186, v138, v13 :: v_dual_mul_f32 v187, v140, v15
	v_dual_add_f32 v3, v4, v183 :: v_dual_mul_f32 v4, v139, v13
	v_fma_f32 v5, v136, v10, -v5
	s_delay_alu instid0(VALU_DEP_4)
	v_add_f32_e32 v2, v2, v6
	v_fmac_f32_e32 v185, v137, v10
	v_mul_f32_e32 v6, v141, v15
	v_fmac_f32_e32 v186, v139, v12
	v_add_f32_e32 v3, v3, v184
	v_fma_f32 v4, v138, v12, -v4
	v_add_f32_e32 v2, v2, v5
	v_dual_mul_f32 v188, v142, v17 :: v_dual_mul_f32 v189, v144, v19
	s_delay_alu instid0(VALU_DEP_4)
	v_add_f32_e32 v3, v3, v185
	v_mul_f32_e32 v5, v143, v17
	v_fma_f32 v6, v140, v14, -v6
	v_dual_add_f32 v2, v2, v4 :: v_dual_fmac_f32 v187, v141, v14
	v_fmac_f32_e32 v188, v143, v16
	v_mul_f32_e32 v4, v145, v19
	v_fma_f32 v5, v142, v16, -v5
	s_delay_alu instid0(VALU_DEP_4) | instskip(SKIP_3) | instid1(VALU_DEP_3)
	v_add_f32_e32 v2, v2, v6
	v_add_f32_e32 v3, v3, v186
	v_dual_mul_f32 v6, v147, v21 :: v_dual_fmac_f32 v189, v145, v18
	v_fma_f32 v4, v144, v18, -v4
	v_dual_add_f32 v2, v2, v5 :: v_dual_add_f32 v3, v3, v187
	s_delay_alu instid0(VALU_DEP_3) | instskip(SKIP_1) | instid1(VALU_DEP_3)
	v_fma_f32 v6, v146, v20, -v6
	v_dual_mul_f32 v191, v148, v25 :: v_dual_mul_f32 v192, v150, v27
	v_add_f32_e32 v2, v2, v4
	s_delay_alu instid0(VALU_DEP_4) | instskip(SKIP_1) | instid1(VALU_DEP_4)
	v_add_f32_e32 v3, v3, v188
	v_dual_mul_f32 v5, v149, v25 :: v_dual_fmac_f32 v190, v147, v20
	v_dual_mul_f32 v4, v151, v27 :: v_dual_fmac_f32 v191, v149, v24
	s_delay_alu instid0(VALU_DEP_3) | instskip(NEXT) | instid1(VALU_DEP_3)
	v_dual_add_f32 v2, v2, v6 :: v_dual_add_f32 v3, v3, v189
	v_fma_f32 v5, v148, v24, -v5
	v_dual_mul_f32 v193, v152, v105 :: v_dual_mul_f32 v194, v154, v107
	s_delay_alu instid0(VALU_DEP_3) | instskip(NEXT) | instid1(VALU_DEP_2)
	v_dual_mul_f32 v6, v153, v105 :: v_dual_add_f32 v3, v3, v190
	v_dual_fmac_f32 v192, v151, v26 :: v_dual_fmac_f32 v193, v153, v104
	v_fma_f32 v4, v150, v26, -v4
	s_delay_alu instid0(VALU_DEP_3) | instskip(SKIP_3) | instid1(VALU_DEP_4)
	v_dual_add_f32 v2, v2, v5 :: v_dual_add_f32 v3, v3, v191
	v_mul_f32_e32 v5, v155, v107
	v_fma_f32 v6, v152, v104, -v6
	v_dual_mul_f32 v195, v156, v109 :: v_dual_mul_f32 v196, v158, v111
	v_add_f32_e32 v2, v2, v4
	v_dual_add_f32 v3, v3, v192 :: v_dual_mul_f32 v4, v157, v109
	s_delay_alu instid0(VALU_DEP_3) | instskip(SKIP_1) | instid1(VALU_DEP_3)
	v_dual_fmac_f32 v194, v155, v106 :: v_dual_fmac_f32 v195, v157, v108
	v_fma_f32 v5, v154, v106, -v5
	v_dual_add_f32 v2, v2, v6 :: v_dual_add_f32 v3, v3, v193
	v_mul_f32_e32 v6, v159, v111
	v_fma_f32 v4, v156, v108, -v4
	v_dual_mul_f32 v197, v160, v113 :: v_dual_mul_f32 v198, v162, v115
	s_delay_alu instid0(VALU_DEP_4) | instskip(SKIP_1) | instid1(VALU_DEP_3)
	v_dual_add_f32 v2, v2, v5 :: v_dual_add_f32 v3, v3, v194
	v_dual_mul_f32 v5, v161, v113 :: v_dual_fmac_f32 v196, v159, v110
	v_fmac_f32_e32 v197, v161, v112
	v_fma_f32 v6, v158, v110, -v6
	s_delay_alu instid0(VALU_DEP_4) | instskip(SKIP_2) | instid1(VALU_DEP_2)
	v_dual_add_f32 v2, v2, v4 :: v_dual_add_f32 v3, v3, v195
	v_dual_mul_f32 v199, v164, v117 :: v_dual_mul_f32 v200, v166, v119
	v_dual_mul_f32 v201, v168, v121 :: v_dual_mul_f32 v202, v170, v123
	v_dual_mul_f32 v4, v163, v115 :: v_dual_fmac_f32 v199, v165, v116
	v_fma_f32 v5, v160, v112, -v5
	v_dual_add_f32 v2, v2, v6 :: v_dual_add_f32 v3, v3, v196
	v_mul_f32_e32 v6, v165, v117
	v_dual_fmac_f32 v198, v163, v114 :: v_dual_fmac_f32 v201, v169, v120
	v_fma_f32 v4, v162, v114, -v4
	s_delay_alu instid0(VALU_DEP_4) | instskip(SKIP_3) | instid1(VALU_DEP_3)
	v_add_f32_e32 v3, v3, v197
	v_dual_add_f32 v2, v2, v5 :: v_dual_mul_f32 v5, v167, v119
	v_fma_f32 v6, v164, v116, -v6
	v_fmac_f32_e32 v200, v167, v118
	v_dual_add_f32 v3, v3, v198 :: v_dual_add_f32 v2, v2, v4
	v_mul_f32_e32 v4, v169, v121
	v_fma_f32 v5, v166, v118, -v5
	v_dual_mul_f32 v203, v172, v125 :: v_dual_mul_f32 v204, v174, v127
	s_delay_alu instid0(VALU_DEP_4) | instskip(NEXT) | instid1(VALU_DEP_2)
	v_dual_add_f32 v3, v3, v199 :: v_dual_add_f32 v2, v2, v6
	v_dual_mul_f32 v6, v171, v123 :: v_dual_fmac_f32 v203, v173, v124
	v_dual_fmac_f32 v202, v171, v122 :: v_dual_fmac_f32 v205, v181, v176
	s_delay_alu instid0(VALU_DEP_3)
	v_add_f32_e32 v2, v2, v5
	v_mul_f32_e32 v5, v173, v125
	v_add_f32_e32 v3, v3, v200
	v_fma_f32 v6, v170, v122, -v6
	v_fma_f32 v4, v168, v120, -v4
	v_fmac_f32_e32 v204, v175, v126
	v_fma_f32 v5, v172, v124, -v5
	v_add_f32_e32 v3, v3, v201
	s_delay_alu instid0(VALU_DEP_1) | instskip(SKIP_1) | instid1(VALU_DEP_2)
	v_dual_add_f32 v3, v3, v202 :: v_dual_add_f32 v2, v2, v4
	v_mul_f32_e32 v4, v175, v127
	v_dual_add_f32 v3, v3, v203 :: v_dual_add_f32 v2, v2, v6
	v_mul_f32_e32 v6, v181, v177
	s_delay_alu instid0(VALU_DEP_3) | instskip(NEXT) | instid1(VALU_DEP_3)
	v_fma_f32 v4, v174, v126, -v4
	v_add_f32_e32 v3, v3, v204
	s_delay_alu instid0(VALU_DEP_1) | instskip(SKIP_3) | instid1(VALU_DEP_2)
	v_add_f32_e32 v3, v3, v205
	v_add_f32_e32 v2, v2, v5
	v_fma_f32 v5, v180, v176, -v6
	s_wait_loadcnt 0x0
	v_dual_sub_f32 v3, v179, v3 :: v_dual_add_f32 v2, v2, v4
	s_delay_alu instid0(VALU_DEP_1) | instskip(NEXT) | instid1(VALU_DEP_1)
	v_add_f32_e32 v2, v2, v5
	v_sub_f32_e32 v2, v178, v2
	scratch_store_b64 off, v[2:3], off offset:96
	v_cmpx_lt_u32_e32 11, v0
	s_cbranch_execz .LBB37_219
; %bb.218:
	scratch_load_b64 v[3:4], off, off offset:88
	v_mov_b32_e32 v2, v1
	scratch_store_b64 off, v[1:2], off offset:88
	s_wait_loadcnt 0x0
	ds_store_b64 v23, v[3:4]
.LBB37_219:
	s_wait_alu 0xfffe
	s_or_b32 exec_lo, exec_lo, s0
	s_wait_storecnt_dscnt 0x0
	s_barrier_signal -1
	s_barrier_wait -1
	global_inv scope:SCOPE_SE
	s_clause 0xd
	scratch_load_b128 v[2:5], off, off offset:96
	scratch_load_b128 v[6:9], off, off offset:112
	;; [unrolled: 1-line block ×13, first 2 shown]
	scratch_load_b64 v[184:185], off, off offset:88
	ds_load_b128 v[132:135], v1 offset:400
	ds_load_b128 v[136:139], v1 offset:416
	;; [unrolled: 1-line block ×13, first 2 shown]
	s_mov_b32 s0, exec_lo
	s_wait_loadcnt_dscnt 0xd0c
	v_dual_mul_f32 v1, v132, v3 :: v_dual_mul_f32 v22, v134, v5
	s_wait_loadcnt_dscnt 0xc0b
	v_dual_mul_f32 v5, v135, v5 :: v_dual_mul_f32 v186, v136, v7
	v_mul_f32_e32 v187, v138, v9
	s_wait_loadcnt_dscnt 0xb0a
	v_dual_fmac_f32 v1, v133, v2 :: v_dual_mul_f32 v188, v140, v11
	v_mul_f32_e32 v189, v142, v13
	v_dual_mul_f32 v3, v133, v3 :: v_dual_fmac_f32 v22, v135, v4
	s_wait_loadcnt_dscnt 0xa09
	v_dual_mul_f32 v190, v144, v15 :: v_dual_mul_f32 v191, v146, v17
	s_wait_loadcnt_dscnt 0x201
	v_mul_f32_e32 v206, v176, v125
	v_fma_f32 v3, v132, v2, -v3
	s_wait_loadcnt_dscnt 0x100
	v_mul_f32_e32 v209, v182, v131
	v_mul_f32_e32 v2, v137, v7
	v_fma_f32 v4, v134, v4, -v5
	v_dual_mul_f32 v5, v139, v9 :: v_dual_fmac_f32 v188, v141, v10
	v_dual_add_f32 v3, 0, v3 :: v_dual_fmac_f32 v186, v137, v6
	s_delay_alu instid0(VALU_DEP_4) | instskip(NEXT) | instid1(VALU_DEP_3)
	v_fma_f32 v2, v136, v6, -v2
	v_fma_f32 v5, v138, v8, -v5
	s_delay_alu instid0(VALU_DEP_3) | instskip(SKIP_2) | instid1(VALU_DEP_3)
	v_dual_fmac_f32 v190, v145, v14 :: v_dual_add_f32 v3, v3, v4
	v_dual_mul_f32 v192, v148, v19 :: v_dual_mul_f32 v193, v150, v21
	v_dual_mul_f32 v194, v152, v25 :: v_dual_mul_f32 v195, v154, v27
	v_add_f32_e32 v2, v3, v2
	s_delay_alu instid0(VALU_DEP_3) | instskip(SKIP_1) | instid1(VALU_DEP_3)
	v_dual_mul_f32 v3, v143, v13 :: v_dual_fmac_f32 v192, v149, v18
	v_dual_mul_f32 v4, v141, v11 :: v_dual_fmac_f32 v191, v147, v16
	v_add_f32_e32 v2, v2, v5
	v_add_f32_e32 v1, 0, v1
	s_delay_alu instid0(VALU_DEP_4) | instskip(NEXT) | instid1(VALU_DEP_4)
	v_fma_f32 v3, v142, v12, -v3
	v_fma_f32 v4, v140, v10, -v4
	v_dual_mul_f32 v196, v156, v105 :: v_dual_mul_f32 v197, v158, v107
	s_delay_alu instid0(VALU_DEP_4) | instskip(SKIP_1) | instid1(VALU_DEP_4)
	v_dual_add_f32 v1, v1, v22 :: v_dual_mul_f32 v200, v164, v113
	v_mul_f32_e32 v201, v166, v115
	v_add_f32_e32 v2, v2, v4
	s_delay_alu instid0(VALU_DEP_3) | instskip(SKIP_2) | instid1(VALU_DEP_3)
	v_dual_mul_f32 v4, v147, v17 :: v_dual_add_f32 v1, v1, v186
	v_dual_fmac_f32 v187, v139, v8 :: v_dual_mul_f32 v198, v160, v109
	v_mul_f32_e32 v199, v162, v111
	v_fma_f32 v4, v146, v16, -v4
	v_mul_f32_e32 v5, v145, v15
	v_add_f32_e32 v2, v2, v3
	v_add_f32_e32 v1, v1, v187
	v_dual_fmac_f32 v197, v159, v106 :: v_dual_mul_f32 v202, v168, v117
	v_mul_f32_e32 v203, v170, v119
	v_fma_f32 v5, v144, v14, -v5
	v_fmac_f32_e32 v189, v143, v12
	v_dual_fmac_f32 v194, v153, v24 :: v_dual_fmac_f32 v195, v155, v26
	v_fmac_f32_e32 v198, v161, v108
	s_delay_alu instid0(VALU_DEP_4) | instskip(SKIP_2) | instid1(VALU_DEP_3)
	v_add_f32_e32 v2, v2, v5
	v_mul_f32_e32 v5, v151, v21
	v_dual_mul_f32 v204, v172, v121 :: v_dual_mul_f32 v205, v174, v123
	v_dual_fmac_f32 v203, v171, v118 :: v_dual_add_f32 v2, v2, v4
	s_delay_alu instid0(VALU_DEP_3) | instskip(SKIP_4) | instid1(VALU_DEP_4)
	v_fma_f32 v5, v150, v20, -v5
	v_mul_f32_e32 v3, v149, v19
	v_dual_mul_f32 v4, v153, v25 :: v_dual_mul_f32 v207, v178, v127
	v_mul_f32_e32 v208, v180, v129
	v_fmac_f32_e32 v196, v157, v104
	v_fma_f32 v3, v148, v18, -v3
	v_add_f32_e32 v1, v1, v188
	v_fma_f32 v4, v152, v24, -v4
	v_dual_fmac_f32 v201, v167, v114 :: v_dual_fmac_f32 v204, v173, v120
	s_delay_alu instid0(VALU_DEP_4) | instskip(SKIP_3) | instid1(VALU_DEP_4)
	v_add_f32_e32 v2, v2, v3
	v_mul_f32_e32 v3, v155, v27
	v_fmac_f32_e32 v207, v179, v126
	v_dual_fmac_f32 v209, v183, v130 :: v_dual_fmac_f32 v200, v165, v112
	v_add_f32_e32 v2, v2, v5
	v_add_f32_e32 v1, v1, v189
	v_fma_f32 v3, v154, v26, -v3
	v_fmac_f32_e32 v202, v169, v116
	v_fmac_f32_e32 v206, v177, v124
	s_delay_alu instid0(VALU_DEP_4) | instskip(SKIP_3) | instid1(VALU_DEP_4)
	v_dual_add_f32 v2, v2, v4 :: v_dual_add_f32 v1, v1, v190
	v_mul_f32_e32 v4, v159, v107
	v_fmac_f32_e32 v193, v151, v20
	v_fmac_f32_e32 v208, v181, v128
	v_dual_add_f32 v2, v2, v3 :: v_dual_mul_f32 v3, v161, v109
	s_delay_alu instid0(VALU_DEP_4) | instskip(SKIP_1) | instid1(VALU_DEP_3)
	v_fma_f32 v4, v158, v106, -v4
	v_mul_f32_e32 v5, v157, v105
	v_fma_f32 v3, v160, v108, -v3
	s_delay_alu instid0(VALU_DEP_2) | instskip(NEXT) | instid1(VALU_DEP_1)
	v_fma_f32 v5, v156, v104, -v5
	v_dual_add_f32 v1, v1, v191 :: v_dual_add_f32 v2, v2, v5
	s_delay_alu instid0(VALU_DEP_1) | instskip(NEXT) | instid1(VALU_DEP_2)
	v_dual_mul_f32 v5, v163, v111 :: v_dual_add_f32 v2, v2, v4
	v_add_f32_e32 v1, v1, v192
	v_mul_f32_e32 v4, v165, v113
	s_delay_alu instid0(VALU_DEP_3) | instskip(NEXT) | instid1(VALU_DEP_4)
	v_fma_f32 v5, v162, v110, -v5
	v_dual_add_f32 v2, v2, v3 :: v_dual_fmac_f32 v199, v163, v110
	v_mul_f32_e32 v3, v167, v115
	s_delay_alu instid0(VALU_DEP_4) | instskip(NEXT) | instid1(VALU_DEP_3)
	v_fma_f32 v4, v164, v112, -v4
	v_add_f32_e32 v2, v2, v5
	v_add_f32_e32 v1, v1, v193
	s_delay_alu instid0(VALU_DEP_4) | instskip(NEXT) | instid1(VALU_DEP_3)
	v_fma_f32 v3, v166, v114, -v3
	v_dual_add_f32 v2, v2, v4 :: v_dual_mul_f32 v5, v169, v117
	s_delay_alu instid0(VALU_DEP_3) | instskip(NEXT) | instid1(VALU_DEP_2)
	v_dual_add_f32 v1, v1, v194 :: v_dual_mul_f32 v4, v171, v119
	v_add_f32_e32 v2, v2, v3
	s_delay_alu instid0(VALU_DEP_3) | instskip(NEXT) | instid1(VALU_DEP_3)
	v_fma_f32 v5, v168, v116, -v5
	v_add_f32_e32 v1, v1, v195
	v_mul_f32_e32 v3, v173, v121
	v_fma_f32 v4, v170, v118, -v4
	s_delay_alu instid0(VALU_DEP_4) | instskip(NEXT) | instid1(VALU_DEP_3)
	v_dual_add_f32 v2, v2, v5 :: v_dual_mul_f32 v5, v175, v123
	v_fma_f32 v3, v172, v120, -v3
	s_delay_alu instid0(VALU_DEP_2) | instskip(SKIP_3) | instid1(VALU_DEP_4)
	v_add_f32_e32 v2, v2, v4
	v_add_f32_e32 v1, v1, v196
	v_mul_f32_e32 v4, v177, v125
	v_fma_f32 v5, v174, v122, -v5
	v_dual_add_f32 v2, v2, v3 :: v_dual_fmac_f32 v205, v175, v122
	v_mul_f32_e32 v3, v179, v127
	s_delay_alu instid0(VALU_DEP_4) | instskip(NEXT) | instid1(VALU_DEP_3)
	v_fma_f32 v4, v176, v124, -v4
	v_add_f32_e32 v2, v2, v5
	v_add_f32_e32 v1, v1, v197
	s_delay_alu instid0(VALU_DEP_4) | instskip(NEXT) | instid1(VALU_DEP_2)
	v_fma_f32 v3, v178, v126, -v3
	v_dual_add_f32 v2, v2, v4 :: v_dual_add_f32 v1, v1, v198
	v_dual_mul_f32 v4, v183, v131 :: v_dual_mul_f32 v5, v181, v129
	s_delay_alu instid0(VALU_DEP_2) | instskip(NEXT) | instid1(VALU_DEP_2)
	v_add_f32_e32 v2, v2, v3
	v_fma_f32 v3, v182, v130, -v4
	s_delay_alu instid0(VALU_DEP_3) | instskip(NEXT) | instid1(VALU_DEP_1)
	v_fma_f32 v5, v180, v128, -v5
	v_dual_add_f32 v1, v1, v199 :: v_dual_add_f32 v2, v2, v5
	s_delay_alu instid0(VALU_DEP_1) | instskip(NEXT) | instid1(VALU_DEP_1)
	v_dual_add_f32 v1, v1, v200 :: v_dual_add_f32 v2, v2, v3
	v_add_f32_e32 v1, v1, v201
	s_delay_alu instid0(VALU_DEP_1) | instskip(NEXT) | instid1(VALU_DEP_1)
	v_add_f32_e32 v1, v1, v202
	v_add_f32_e32 v1, v1, v203
	s_delay_alu instid0(VALU_DEP_1) | instskip(NEXT) | instid1(VALU_DEP_1)
	v_add_f32_e32 v1, v1, v204
	;; [unrolled: 3-line block ×4, first 2 shown]
	v_add_f32_e32 v3, v1, v209
	s_wait_loadcnt 0x0
	s_delay_alu instid0(VALU_DEP_1)
	v_dual_sub_f32 v1, v184, v2 :: v_dual_sub_f32 v2, v185, v3
	scratch_store_b64 off, v[1:2], off offset:88
	v_cmpx_lt_u32_e32 10, v0
	s_cbranch_execz .LBB37_221
; %bb.220:
	scratch_load_b64 v[1:2], off, off offset:80
	v_mov_b32_e32 v3, 0
	s_delay_alu instid0(VALU_DEP_1)
	v_mov_b32_e32 v4, v3
	scratch_store_b64 off, v[3:4], off offset:80
	s_wait_loadcnt 0x0
	ds_store_b64 v23, v[1:2]
.LBB37_221:
	s_wait_alu 0xfffe
	s_or_b32 exec_lo, exec_lo, s0
	s_wait_storecnt_dscnt 0x0
	s_barrier_signal -1
	s_barrier_wait -1
	global_inv scope:SCOPE_SE
	s_clause 0xe
	scratch_load_b128 v[2:5], off, off offset:88
	scratch_load_b128 v[6:9], off, off offset:104
	;; [unrolled: 1-line block ×13, first 2 shown]
	scratch_load_b64 v[184:185], off, off offset:296
	scratch_load_b64 v[186:187], off, off offset:80
	v_mov_b32_e32 v1, 0
	ds_load_2addr_b64 v[132:135], v1 offset0:49 offset1:50
	ds_load_2addr_b64 v[136:139], v1 offset0:51 offset1:52
	;; [unrolled: 1-line block ×13, first 2 shown]
	ds_load_b64 v[188:189], v1 offset:600
	s_mov_b32 s0, exec_lo
	s_wait_loadcnt_dscnt 0xe0d
	v_mul_f32_e32 v22, v132, v3
	v_dual_mul_f32 v3, v133, v3 :: v_dual_mul_f32 v190, v134, v5
	s_wait_loadcnt_dscnt 0xa09
	v_dual_mul_f32 v191, v136, v7 :: v_dual_mul_f32 v198, v150, v21
	v_mul_f32_e32 v5, v135, v5
	s_delay_alu instid0(VALU_DEP_3) | instskip(SKIP_3) | instid1(VALU_DEP_4)
	v_fma_f32 v3, v132, v2, -v3
	v_dual_mul_f32 v192, v138, v9 :: v_dual_mul_f32 v193, v140, v11
	v_fmac_f32_e32 v22, v133, v2
	v_mul_f32_e32 v2, v137, v7
	v_dual_fmac_f32 v190, v135, v4 :: v_dual_add_f32 v3, 0, v3
	s_wait_loadcnt_dscnt 0x100
	v_mul_f32_e32 v215, v188, v185
	v_fma_f32 v4, v134, v4, -v5
	v_dual_add_f32 v5, 0, v22 :: v_dual_fmac_f32 v192, v139, v8
	v_mul_f32_e32 v7, v139, v9
	v_fma_f32 v2, v136, v6, -v2
	s_delay_alu instid0(VALU_DEP_4)
	v_add_f32_e32 v3, v3, v4
	v_fmac_f32_e32 v191, v137, v6
	v_add_f32_e32 v4, v5, v190
	v_mul_f32_e32 v5, v141, v11
	v_fma_f32 v6, v138, v8, -v7
	v_add_f32_e32 v2, v3, v2
	v_dual_mul_f32 v194, v142, v13 :: v_dual_mul_f32 v195, v144, v15
	v_dual_add_f32 v3, v4, v191 :: v_dual_mul_f32 v4, v143, v13
	v_fma_f32 v5, v140, v10, -v5
	s_delay_alu instid0(VALU_DEP_4)
	v_add_f32_e32 v2, v2, v6
	v_fmac_f32_e32 v193, v141, v10
	v_mul_f32_e32 v6, v145, v15
	v_fmac_f32_e32 v194, v143, v12
	v_add_f32_e32 v3, v3, v192
	v_fma_f32 v4, v142, v12, -v4
	v_add_f32_e32 v2, v2, v5
	v_dual_mul_f32 v196, v146, v17 :: v_dual_mul_f32 v197, v148, v19
	s_delay_alu instid0(VALU_DEP_4)
	v_add_f32_e32 v3, v3, v193
	v_mul_f32_e32 v5, v147, v17
	v_fma_f32 v6, v144, v14, -v6
	v_dual_add_f32 v2, v2, v4 :: v_dual_fmac_f32 v195, v145, v14
	v_fmac_f32_e32 v196, v147, v16
	v_mul_f32_e32 v4, v149, v19
	v_fma_f32 v5, v146, v16, -v5
	s_delay_alu instid0(VALU_DEP_4) | instskip(SKIP_3) | instid1(VALU_DEP_3)
	v_add_f32_e32 v2, v2, v6
	v_add_f32_e32 v3, v3, v194
	v_dual_mul_f32 v6, v151, v21 :: v_dual_fmac_f32 v197, v149, v18
	v_fma_f32 v4, v148, v18, -v4
	v_dual_add_f32 v2, v2, v5 :: v_dual_add_f32 v3, v3, v195
	s_delay_alu instid0(VALU_DEP_3) | instskip(SKIP_1) | instid1(VALU_DEP_3)
	v_fma_f32 v6, v150, v20, -v6
	v_dual_mul_f32 v199, v152, v25 :: v_dual_mul_f32 v200, v154, v27
	v_add_f32_e32 v2, v2, v4
	s_delay_alu instid0(VALU_DEP_4) | instskip(SKIP_1) | instid1(VALU_DEP_4)
	v_add_f32_e32 v3, v3, v196
	v_dual_mul_f32 v5, v153, v25 :: v_dual_fmac_f32 v198, v151, v20
	v_dual_mul_f32 v4, v155, v27 :: v_dual_fmac_f32 v199, v153, v24
	s_delay_alu instid0(VALU_DEP_3) | instskip(NEXT) | instid1(VALU_DEP_3)
	v_dual_add_f32 v2, v2, v6 :: v_dual_add_f32 v3, v3, v197
	v_fma_f32 v5, v152, v24, -v5
	v_dual_mul_f32 v201, v156, v105 :: v_dual_mul_f32 v202, v158, v107
	s_delay_alu instid0(VALU_DEP_3) | instskip(NEXT) | instid1(VALU_DEP_2)
	v_dual_mul_f32 v6, v157, v105 :: v_dual_add_f32 v3, v3, v198
	v_dual_fmac_f32 v200, v155, v26 :: v_dual_fmac_f32 v201, v157, v104
	v_fma_f32 v4, v154, v26, -v4
	s_delay_alu instid0(VALU_DEP_3) | instskip(SKIP_3) | instid1(VALU_DEP_4)
	v_dual_add_f32 v2, v2, v5 :: v_dual_add_f32 v3, v3, v199
	v_mul_f32_e32 v5, v159, v107
	v_fma_f32 v6, v156, v104, -v6
	v_dual_mul_f32 v203, v160, v109 :: v_dual_mul_f32 v204, v162, v111
	v_add_f32_e32 v2, v2, v4
	v_dual_add_f32 v3, v3, v200 :: v_dual_mul_f32 v4, v161, v109
	s_delay_alu instid0(VALU_DEP_3) | instskip(SKIP_1) | instid1(VALU_DEP_3)
	v_dual_fmac_f32 v202, v159, v106 :: v_dual_fmac_f32 v203, v161, v108
	v_fma_f32 v5, v158, v106, -v5
	v_dual_add_f32 v2, v2, v6 :: v_dual_add_f32 v3, v3, v201
	v_mul_f32_e32 v6, v163, v111
	v_fma_f32 v4, v160, v108, -v4
	v_dual_mul_f32 v205, v164, v113 :: v_dual_mul_f32 v206, v166, v115
	s_delay_alu instid0(VALU_DEP_4) | instskip(SKIP_1) | instid1(VALU_DEP_3)
	v_dual_add_f32 v2, v2, v5 :: v_dual_add_f32 v3, v3, v202
	v_dual_mul_f32 v5, v165, v113 :: v_dual_fmac_f32 v204, v163, v110
	v_fmac_f32_e32 v205, v165, v112
	v_fma_f32 v6, v162, v110, -v6
	s_delay_alu instid0(VALU_DEP_4) | instskip(SKIP_2) | instid1(VALU_DEP_2)
	v_dual_add_f32 v2, v2, v4 :: v_dual_add_f32 v3, v3, v203
	v_dual_mul_f32 v207, v168, v117 :: v_dual_mul_f32 v208, v170, v119
	v_dual_mul_f32 v209, v172, v121 :: v_dual_mul_f32 v210, v174, v123
	v_dual_mul_f32 v4, v167, v115 :: v_dual_fmac_f32 v207, v169, v116
	v_fma_f32 v5, v164, v112, -v5
	v_dual_add_f32 v2, v2, v6 :: v_dual_add_f32 v3, v3, v204
	v_mul_f32_e32 v6, v169, v117
	v_dual_fmac_f32 v206, v167, v114 :: v_dual_fmac_f32 v209, v173, v120
	v_fma_f32 v4, v166, v114, -v4
	s_delay_alu instid0(VALU_DEP_4) | instskip(SKIP_3) | instid1(VALU_DEP_3)
	v_add_f32_e32 v3, v3, v205
	v_dual_add_f32 v2, v2, v5 :: v_dual_mul_f32 v5, v171, v119
	v_fma_f32 v6, v168, v116, -v6
	v_dual_mul_f32 v213, v180, v129 :: v_dual_mul_f32 v214, v182, v131
	v_dual_add_f32 v3, v3, v206 :: v_dual_add_f32 v2, v2, v4
	v_mul_f32_e32 v4, v173, v121
	v_fmac_f32_e32 v208, v171, v118
	v_fma_f32 v5, v170, v118, -v5
	s_delay_alu instid0(VALU_DEP_4) | instskip(SKIP_3) | instid1(VALU_DEP_4)
	v_dual_add_f32 v3, v3, v207 :: v_dual_add_f32 v2, v2, v6
	v_dual_mul_f32 v211, v176, v125 :: v_dual_mul_f32 v212, v178, v127
	v_mul_f32_e32 v6, v175, v123
	v_dual_fmac_f32 v210, v175, v122 :: v_dual_fmac_f32 v213, v181, v128
	v_add_f32_e32 v2, v2, v5
	v_mul_f32_e32 v5, v177, v125
	v_add_f32_e32 v3, v3, v208
	v_fma_f32 v4, v172, v120, -v4
	v_fmac_f32_e32 v211, v177, v124
	v_fma_f32 v6, v174, v122, -v6
	v_fma_f32 v5, v176, v124, -v5
	v_add_f32_e32 v3, v3, v209
	v_dual_fmac_f32 v212, v179, v126 :: v_dual_fmac_f32 v215, v189, v184
	v_fmac_f32_e32 v214, v183, v130
	s_delay_alu instid0(VALU_DEP_3) | instskip(SKIP_1) | instid1(VALU_DEP_2)
	v_dual_add_f32 v3, v3, v210 :: v_dual_add_f32 v2, v2, v4
	v_mul_f32_e32 v4, v179, v127
	v_dual_add_f32 v3, v3, v211 :: v_dual_add_f32 v2, v2, v6
	v_mul_f32_e32 v6, v181, v129
	s_delay_alu instid0(VALU_DEP_3) | instskip(NEXT) | instid1(VALU_DEP_3)
	v_fma_f32 v4, v178, v126, -v4
	v_dual_add_f32 v3, v3, v212 :: v_dual_add_f32 v2, v2, v5
	v_mul_f32_e32 v5, v183, v131
	s_delay_alu instid0(VALU_DEP_4) | instskip(NEXT) | instid1(VALU_DEP_3)
	v_fma_f32 v6, v180, v128, -v6
	v_dual_add_f32 v3, v3, v213 :: v_dual_add_f32 v2, v2, v4
	v_mul_f32_e32 v4, v189, v185
	s_delay_alu instid0(VALU_DEP_4) | instskip(NEXT) | instid1(VALU_DEP_3)
	v_fma_f32 v5, v182, v130, -v5
	v_add_f32_e32 v3, v3, v214
	s_delay_alu instid0(VALU_DEP_4) | instskip(NEXT) | instid1(VALU_DEP_4)
	v_add_f32_e32 v2, v2, v6
	v_fma_f32 v4, v188, v184, -v4
	s_delay_alu instid0(VALU_DEP_2) | instskip(SKIP_1) | instid1(VALU_DEP_1)
	v_dual_add_f32 v3, v3, v215 :: v_dual_add_f32 v2, v2, v5
	s_wait_loadcnt 0x0
	v_dual_sub_f32 v3, v187, v3 :: v_dual_add_f32 v2, v2, v4
	s_delay_alu instid0(VALU_DEP_1)
	v_sub_f32_e32 v2, v186, v2
	scratch_store_b64 off, v[2:3], off offset:80
	v_cmpx_lt_u32_e32 9, v0
	s_cbranch_execz .LBB37_223
; %bb.222:
	scratch_load_b64 v[3:4], off, off offset:72
	v_mov_b32_e32 v2, v1
	scratch_store_b64 off, v[1:2], off offset:72
	s_wait_loadcnt 0x0
	ds_store_b64 v23, v[3:4]
.LBB37_223:
	s_wait_alu 0xfffe
	s_or_b32 exec_lo, exec_lo, s0
	s_wait_storecnt_dscnt 0x0
	s_barrier_signal -1
	s_barrier_wait -1
	global_inv scope:SCOPE_SE
	s_clause 0xe
	scratch_load_b128 v[2:5], off, off offset:80
	scratch_load_b128 v[6:9], off, off offset:96
	;; [unrolled: 1-line block ×14, first 2 shown]
	scratch_load_b64 v[192:193], off, off offset:72
	ds_load_b128 v[136:139], v1 offset:384
	ds_load_b128 v[140:143], v1 offset:400
	;; [unrolled: 1-line block ×14, first 2 shown]
	s_mov_b32 s0, exec_lo
	s_wait_loadcnt_dscnt 0xe0d
	v_dual_mul_f32 v1, v136, v3 :: v_dual_mul_f32 v22, v138, v5
	s_wait_loadcnt_dscnt 0xd0c
	v_dual_mul_f32 v5, v139, v5 :: v_dual_mul_f32 v194, v140, v7
	v_mul_f32_e32 v195, v142, v9
	s_wait_loadcnt_dscnt 0xc0b
	v_dual_fmac_f32 v1, v137, v2 :: v_dual_mul_f32 v196, v144, v11
	v_mul_f32_e32 v197, v146, v13
	v_dual_mul_f32 v3, v137, v3 :: v_dual_fmac_f32 v22, v139, v4
	s_wait_loadcnt_dscnt 0xb0a
	v_dual_mul_f32 v198, v148, v15 :: v_dual_mul_f32 v199, v150, v17
	s_wait_loadcnt_dscnt 0x201
	v_mul_f32_e32 v216, v184, v129
	v_fma_f32 v3, v136, v2, -v3
	s_wait_loadcnt_dscnt 0x100
	v_mul_f32_e32 v219, v190, v135
	v_mul_f32_e32 v2, v141, v7
	v_fma_f32 v4, v138, v4, -v5
	v_dual_mul_f32 v5, v143, v9 :: v_dual_fmac_f32 v196, v145, v10
	v_dual_add_f32 v3, 0, v3 :: v_dual_fmac_f32 v194, v141, v6
	s_delay_alu instid0(VALU_DEP_4) | instskip(NEXT) | instid1(VALU_DEP_3)
	v_fma_f32 v2, v140, v6, -v2
	v_fma_f32 v5, v142, v8, -v5
	s_delay_alu instid0(VALU_DEP_3) | instskip(SKIP_2) | instid1(VALU_DEP_3)
	v_dual_fmac_f32 v198, v149, v14 :: v_dual_add_f32 v3, v3, v4
	v_dual_mul_f32 v200, v152, v19 :: v_dual_mul_f32 v201, v154, v21
	v_dual_mul_f32 v202, v156, v25 :: v_dual_mul_f32 v203, v158, v27
	v_add_f32_e32 v2, v3, v2
	s_delay_alu instid0(VALU_DEP_3) | instskip(SKIP_1) | instid1(VALU_DEP_3)
	v_dual_mul_f32 v3, v147, v13 :: v_dual_fmac_f32 v200, v153, v18
	v_dual_fmac_f32 v199, v151, v16 :: v_dual_mul_f32 v4, v145, v11
	v_add_f32_e32 v2, v2, v5
	v_add_f32_e32 v1, 0, v1
	s_delay_alu instid0(VALU_DEP_4) | instskip(SKIP_2) | instid1(VALU_DEP_4)
	v_fma_f32 v3, v146, v12, -v3
	v_dual_mul_f32 v204, v160, v105 :: v_dual_mul_f32 v205, v162, v107
	v_fma_f32 v4, v144, v10, -v4
	v_dual_add_f32 v1, v1, v22 :: v_dual_mul_f32 v208, v168, v113
	v_dual_mul_f32 v209, v170, v115 :: v_dual_mul_f32 v206, v164, v109
	v_mul_f32_e32 v207, v166, v111
	s_delay_alu instid0(VALU_DEP_3) | instskip(SKIP_2) | instid1(VALU_DEP_3)
	v_dual_add_f32 v2, v2, v4 :: v_dual_add_f32 v1, v1, v194
	v_mul_f32_e32 v4, v151, v17
	v_fmac_f32_e32 v195, v143, v8
	v_dual_fmac_f32 v205, v163, v106 :: v_dual_add_f32 v2, v2, v3
	v_dual_mul_f32 v210, v172, v117 :: v_dual_mul_f32 v211, v174, v119
	s_delay_alu instid0(VALU_DEP_4) | instskip(SKIP_4) | instid1(VALU_DEP_4)
	v_fma_f32 v4, v150, v16, -v4
	v_mul_f32_e32 v5, v149, v15
	v_add_f32_e32 v1, v1, v195
	v_dual_fmac_f32 v203, v159, v26 :: v_dual_fmac_f32 v206, v165, v108
	v_fmac_f32_e32 v202, v157, v24
	v_fma_f32 v5, v148, v14, -v5
	v_dual_fmac_f32 v197, v147, v12 :: v_dual_mul_f32 v214, v180, v125
	v_dual_mul_f32 v215, v182, v127 :: v_dual_mul_f32 v212, v176, v121
	v_mul_f32_e32 v213, v178, v123
	s_delay_alu instid0(VALU_DEP_4) | instskip(SKIP_3) | instid1(VALU_DEP_4)
	v_add_f32_e32 v2, v2, v5
	v_mul_f32_e32 v5, v155, v21
	v_fmac_f32_e32 v211, v175, v118
	v_dual_fmac_f32 v209, v171, v114 :: v_dual_fmac_f32 v212, v177, v120
	v_add_f32_e32 v2, v2, v4
	s_delay_alu instid0(VALU_DEP_4) | instskip(SKIP_4) | instid1(VALU_DEP_4)
	v_fma_f32 v5, v154, v20, -v5
	v_mul_f32_e32 v3, v153, v19
	v_mul_f32_e32 v4, v157, v25
	v_dual_fmac_f32 v204, v161, v104 :: v_dual_mul_f32 v217, v186, v131
	v_mul_f32_e32 v218, v188, v133
	v_fma_f32 v3, v152, v18, -v3
	v_add_f32_e32 v1, v1, v196
	v_fma_f32 v4, v156, v24, -v4
	s_delay_alu instid0(VALU_DEP_4) | instskip(NEXT) | instid1(VALU_DEP_4)
	v_dual_fmac_f32 v215, v183, v126 :: v_dual_fmac_f32 v218, v189, v132
	v_add_f32_e32 v2, v2, v3
	v_mul_f32_e32 v3, v159, v27
	v_fmac_f32_e32 v217, v187, v130
	v_dual_fmac_f32 v219, v191, v134 :: v_dual_fmac_f32 v208, v169, v112
	s_delay_alu instid0(VALU_DEP_4) | instskip(SKIP_4) | instid1(VALU_DEP_4)
	v_add_f32_e32 v2, v2, v5
	v_add_f32_e32 v1, v1, v197
	v_fma_f32 v3, v158, v26, -v3
	v_fmac_f32_e32 v210, v173, v116
	v_fmac_f32_e32 v214, v181, v124
	v_dual_add_f32 v2, v2, v4 :: v_dual_add_f32 v1, v1, v198
	v_mul_f32_e32 v4, v163, v107
	v_fmac_f32_e32 v201, v155, v20
	v_fmac_f32_e32 v216, v185, v128
	s_delay_alu instid0(VALU_DEP_4) | instskip(NEXT) | instid1(VALU_DEP_4)
	v_dual_add_f32 v2, v2, v3 :: v_dual_mul_f32 v3, v165, v109
	v_fma_f32 v4, v162, v106, -v4
	v_mul_f32_e32 v5, v161, v105
	s_delay_alu instid0(VALU_DEP_3) | instskip(NEXT) | instid1(VALU_DEP_2)
	v_fma_f32 v3, v164, v108, -v3
	v_fma_f32 v5, v160, v104, -v5
	s_delay_alu instid0(VALU_DEP_1) | instskip(NEXT) | instid1(VALU_DEP_1)
	v_dual_add_f32 v1, v1, v199 :: v_dual_add_f32 v2, v2, v5
	v_dual_mul_f32 v5, v167, v111 :: v_dual_add_f32 v2, v2, v4
	s_delay_alu instid0(VALU_DEP_2) | instskip(SKIP_1) | instid1(VALU_DEP_3)
	v_add_f32_e32 v1, v1, v200
	v_mul_f32_e32 v4, v169, v113
	v_fma_f32 v5, v166, v110, -v5
	s_delay_alu instid0(VALU_DEP_4) | instskip(SKIP_1) | instid1(VALU_DEP_4)
	v_dual_add_f32 v2, v2, v3 :: v_dual_fmac_f32 v207, v167, v110
	v_mul_f32_e32 v3, v171, v115
	v_fma_f32 v4, v168, v112, -v4
	s_delay_alu instid0(VALU_DEP_3) | instskip(SKIP_1) | instid1(VALU_DEP_4)
	v_add_f32_e32 v2, v2, v5
	v_add_f32_e32 v1, v1, v201
	v_fma_f32 v3, v170, v114, -v3
	s_delay_alu instid0(VALU_DEP_3) | instskip(NEXT) | instid1(VALU_DEP_3)
	v_dual_add_f32 v2, v2, v4 :: v_dual_mul_f32 v5, v173, v117
	v_dual_add_f32 v1, v1, v202 :: v_dual_mul_f32 v4, v175, v119
	s_delay_alu instid0(VALU_DEP_2) | instskip(NEXT) | instid1(VALU_DEP_3)
	v_add_f32_e32 v2, v2, v3
	v_fma_f32 v5, v172, v116, -v5
	s_delay_alu instid0(VALU_DEP_3) | instskip(SKIP_2) | instid1(VALU_DEP_4)
	v_add_f32_e32 v1, v1, v203
	v_mul_f32_e32 v3, v177, v121
	v_fma_f32 v4, v174, v118, -v4
	v_dual_add_f32 v2, v2, v5 :: v_dual_mul_f32 v5, v179, v123
	s_delay_alu instid0(VALU_DEP_3) | instskip(NEXT) | instid1(VALU_DEP_2)
	v_fma_f32 v3, v176, v120, -v3
	v_add_f32_e32 v2, v2, v4
	v_add_f32_e32 v1, v1, v204
	v_mul_f32_e32 v4, v181, v125
	v_fma_f32 v5, v178, v122, -v5
	s_delay_alu instid0(VALU_DEP_4) | instskip(SKIP_1) | instid1(VALU_DEP_4)
	v_dual_add_f32 v2, v2, v3 :: v_dual_fmac_f32 v213, v179, v122
	v_mul_f32_e32 v3, v183, v127
	v_fma_f32 v4, v180, v124, -v4
	s_delay_alu instid0(VALU_DEP_3) | instskip(SKIP_1) | instid1(VALU_DEP_4)
	v_add_f32_e32 v2, v2, v5
	v_add_f32_e32 v1, v1, v205
	v_fma_f32 v3, v182, v126, -v3
	s_delay_alu instid0(VALU_DEP_3) | instskip(NEXT) | instid1(VALU_DEP_3)
	v_dual_add_f32 v2, v2, v4 :: v_dual_mul_f32 v5, v185, v129
	v_dual_add_f32 v1, v1, v206 :: v_dual_mul_f32 v4, v187, v131
	s_delay_alu instid0(VALU_DEP_2) | instskip(NEXT) | instid1(VALU_DEP_3)
	v_add_f32_e32 v2, v2, v3
	v_fma_f32 v5, v184, v128, -v5
	s_delay_alu instid0(VALU_DEP_3) | instskip(SKIP_2) | instid1(VALU_DEP_4)
	v_add_f32_e32 v1, v1, v207
	v_mul_f32_e32 v3, v189, v133
	v_fma_f32 v4, v186, v130, -v4
	v_dual_add_f32 v2, v2, v5 :: v_dual_mul_f32 v5, v191, v135
	s_delay_alu instid0(VALU_DEP_3) | instskip(NEXT) | instid1(VALU_DEP_2)
	v_fma_f32 v3, v188, v132, -v3
	v_add_f32_e32 v2, v2, v4
	v_add_f32_e32 v1, v1, v208
	s_delay_alu instid0(VALU_DEP_4) | instskip(NEXT) | instid1(VALU_DEP_2)
	v_fma_f32 v4, v190, v134, -v5
	v_dual_add_f32 v2, v2, v3 :: v_dual_add_f32 v1, v1, v209
	s_delay_alu instid0(VALU_DEP_1) | instskip(NEXT) | instid1(VALU_DEP_1)
	v_dual_add_f32 v2, v2, v4 :: v_dual_add_f32 v1, v1, v210
	v_add_f32_e32 v1, v1, v211
	s_delay_alu instid0(VALU_DEP_1) | instskip(NEXT) | instid1(VALU_DEP_1)
	v_add_f32_e32 v1, v1, v212
	v_add_f32_e32 v1, v1, v213
	s_delay_alu instid0(VALU_DEP_1) | instskip(NEXT) | instid1(VALU_DEP_1)
	v_add_f32_e32 v1, v1, v214
	;; [unrolled: 3-line block ×4, first 2 shown]
	v_add_f32_e32 v3, v1, v219
	s_wait_loadcnt 0x0
	s_delay_alu instid0(VALU_DEP_1)
	v_dual_sub_f32 v1, v192, v2 :: v_dual_sub_f32 v2, v193, v3
	scratch_store_b64 off, v[1:2], off offset:72
	v_cmpx_lt_u32_e32 8, v0
	s_cbranch_execz .LBB37_225
; %bb.224:
	scratch_load_b64 v[1:2], off, off offset:64
	v_mov_b32_e32 v3, 0
	s_delay_alu instid0(VALU_DEP_1)
	v_mov_b32_e32 v4, v3
	scratch_store_b64 off, v[3:4], off offset:64
	s_wait_loadcnt 0x0
	ds_store_b64 v23, v[1:2]
.LBB37_225:
	s_wait_alu 0xfffe
	s_or_b32 exec_lo, exec_lo, s0
	s_wait_storecnt_dscnt 0x0
	s_barrier_signal -1
	s_barrier_wait -1
	global_inv scope:SCOPE_SE
	s_clause 0xf
	scratch_load_b128 v[2:5], off, off offset:72
	scratch_load_b128 v[6:9], off, off offset:88
	;; [unrolled: 1-line block ×14, first 2 shown]
	scratch_load_b64 v[192:193], off, off offset:296
	scratch_load_b64 v[194:195], off, off offset:64
	v_mov_b32_e32 v1, 0
	ds_load_2addr_b64 v[136:139], v1 offset0:47 offset1:48
	ds_load_2addr_b64 v[140:143], v1 offset0:49 offset1:50
	;; [unrolled: 1-line block ×14, first 2 shown]
	ds_load_b64 v[196:197], v1 offset:600
	s_mov_b32 s0, exec_lo
	s_wait_loadcnt_dscnt 0xf0e
	v_mul_f32_e32 v22, v136, v3
	v_dual_mul_f32 v3, v137, v3 :: v_dual_mul_f32 v198, v138, v5
	s_wait_loadcnt_dscnt 0xb0a
	v_dual_mul_f32 v199, v140, v7 :: v_dual_mul_f32 v206, v154, v21
	v_mul_f32_e32 v5, v139, v5
	s_delay_alu instid0(VALU_DEP_3)
	v_fma_f32 v3, v136, v2, -v3
	v_dual_mul_f32 v200, v142, v9 :: v_dual_mul_f32 v201, v144, v11
	v_fmac_f32_e32 v198, v139, v4
	v_fmac_f32_e32 v22, v137, v2
	v_mul_f32_e32 v2, v141, v7
	v_fma_f32 v4, v138, v4, -v5
	v_add_f32_e32 v3, 0, v3
	s_wait_loadcnt_dscnt 0x100
	v_mul_f32_e32 v225, v196, v193
	v_dual_add_f32 v5, 0, v22 :: v_dual_fmac_f32 v200, v143, v8
	v_mul_f32_e32 v7, v143, v9
	v_fma_f32 v2, v140, v6, -v2
	v_add_f32_e32 v3, v3, v4
	v_fmac_f32_e32 v199, v141, v6
	v_add_f32_e32 v4, v5, v198
	v_mul_f32_e32 v5, v145, v11
	v_fma_f32 v6, v142, v8, -v7
	v_add_f32_e32 v2, v3, v2
	v_dual_mul_f32 v202, v146, v13 :: v_dual_mul_f32 v203, v148, v15
	v_dual_add_f32 v3, v4, v199 :: v_dual_mul_f32 v4, v147, v13
	v_fma_f32 v5, v144, v10, -v5
	s_delay_alu instid0(VALU_DEP_4)
	v_add_f32_e32 v2, v2, v6
	v_fmac_f32_e32 v201, v145, v10
	v_mul_f32_e32 v6, v149, v15
	v_fmac_f32_e32 v202, v147, v12
	v_add_f32_e32 v3, v3, v200
	v_fma_f32 v4, v146, v12, -v4
	v_add_f32_e32 v2, v2, v5
	v_dual_mul_f32 v204, v150, v17 :: v_dual_mul_f32 v205, v152, v19
	s_delay_alu instid0(VALU_DEP_4)
	v_add_f32_e32 v3, v3, v201
	v_mul_f32_e32 v5, v151, v17
	v_fma_f32 v6, v148, v14, -v6
	v_dual_add_f32 v2, v2, v4 :: v_dual_fmac_f32 v203, v149, v14
	v_fmac_f32_e32 v204, v151, v16
	v_mul_f32_e32 v4, v153, v19
	v_fma_f32 v5, v150, v16, -v5
	s_delay_alu instid0(VALU_DEP_4) | instskip(SKIP_3) | instid1(VALU_DEP_3)
	v_add_f32_e32 v2, v2, v6
	v_add_f32_e32 v3, v3, v202
	v_dual_mul_f32 v6, v155, v21 :: v_dual_fmac_f32 v205, v153, v18
	v_fma_f32 v4, v152, v18, -v4
	v_dual_add_f32 v2, v2, v5 :: v_dual_add_f32 v3, v3, v203
	s_delay_alu instid0(VALU_DEP_3) | instskip(SKIP_1) | instid1(VALU_DEP_3)
	v_fma_f32 v6, v154, v20, -v6
	v_dual_mul_f32 v207, v156, v25 :: v_dual_mul_f32 v208, v158, v27
	v_add_f32_e32 v2, v2, v4
	s_delay_alu instid0(VALU_DEP_4) | instskip(SKIP_1) | instid1(VALU_DEP_4)
	v_add_f32_e32 v3, v3, v204
	v_dual_mul_f32 v5, v157, v25 :: v_dual_fmac_f32 v206, v155, v20
	v_dual_mul_f32 v4, v159, v27 :: v_dual_fmac_f32 v207, v157, v24
	s_delay_alu instid0(VALU_DEP_3) | instskip(NEXT) | instid1(VALU_DEP_3)
	v_dual_add_f32 v2, v2, v6 :: v_dual_add_f32 v3, v3, v205
	v_fma_f32 v5, v156, v24, -v5
	v_dual_mul_f32 v209, v160, v105 :: v_dual_mul_f32 v210, v162, v107
	s_delay_alu instid0(VALU_DEP_3) | instskip(NEXT) | instid1(VALU_DEP_2)
	v_dual_mul_f32 v6, v161, v105 :: v_dual_add_f32 v3, v3, v206
	v_dual_fmac_f32 v208, v159, v26 :: v_dual_fmac_f32 v209, v161, v104
	v_fma_f32 v4, v158, v26, -v4
	s_delay_alu instid0(VALU_DEP_3) | instskip(SKIP_3) | instid1(VALU_DEP_4)
	v_dual_add_f32 v2, v2, v5 :: v_dual_add_f32 v3, v3, v207
	v_mul_f32_e32 v5, v163, v107
	v_fma_f32 v6, v160, v104, -v6
	v_dual_mul_f32 v211, v164, v109 :: v_dual_mul_f32 v212, v166, v111
	v_add_f32_e32 v2, v2, v4
	v_dual_add_f32 v3, v3, v208 :: v_dual_mul_f32 v4, v165, v109
	s_delay_alu instid0(VALU_DEP_3) | instskip(SKIP_1) | instid1(VALU_DEP_3)
	v_dual_fmac_f32 v210, v163, v106 :: v_dual_fmac_f32 v211, v165, v108
	v_fma_f32 v5, v162, v106, -v5
	v_dual_add_f32 v2, v2, v6 :: v_dual_add_f32 v3, v3, v209
	v_mul_f32_e32 v6, v167, v111
	v_fma_f32 v4, v164, v108, -v4
	v_dual_mul_f32 v213, v168, v113 :: v_dual_mul_f32 v214, v170, v115
	s_delay_alu instid0(VALU_DEP_4) | instskip(SKIP_1) | instid1(VALU_DEP_3)
	v_dual_add_f32 v2, v2, v5 :: v_dual_add_f32 v3, v3, v210
	v_dual_mul_f32 v5, v169, v113 :: v_dual_fmac_f32 v212, v167, v110
	v_fmac_f32_e32 v213, v169, v112
	v_fma_f32 v6, v166, v110, -v6
	s_delay_alu instid0(VALU_DEP_4) | instskip(SKIP_2) | instid1(VALU_DEP_2)
	v_dual_add_f32 v2, v2, v4 :: v_dual_add_f32 v3, v3, v211
	v_dual_mul_f32 v215, v172, v117 :: v_dual_mul_f32 v216, v174, v119
	v_dual_mul_f32 v217, v176, v121 :: v_dual_mul_f32 v218, v178, v123
	v_dual_mul_f32 v4, v171, v115 :: v_dual_fmac_f32 v215, v173, v116
	v_fma_f32 v5, v168, v112, -v5
	v_dual_add_f32 v2, v2, v6 :: v_dual_add_f32 v3, v3, v212
	v_mul_f32_e32 v6, v173, v117
	v_dual_fmac_f32 v214, v171, v114 :: v_dual_fmac_f32 v217, v177, v120
	v_fma_f32 v4, v170, v114, -v4
	s_delay_alu instid0(VALU_DEP_4) | instskip(SKIP_3) | instid1(VALU_DEP_3)
	v_add_f32_e32 v3, v3, v213
	v_dual_add_f32 v2, v2, v5 :: v_dual_mul_f32 v5, v175, v119
	v_fma_f32 v6, v172, v116, -v6
	v_dual_mul_f32 v221, v184, v129 :: v_dual_mul_f32 v222, v186, v131
	v_dual_add_f32 v3, v3, v214 :: v_dual_add_f32 v2, v2, v4
	v_mul_f32_e32 v4, v177, v121
	v_fmac_f32_e32 v216, v175, v118
	v_fma_f32 v5, v174, v118, -v5
	s_delay_alu instid0(VALU_DEP_4) | instskip(SKIP_3) | instid1(VALU_DEP_4)
	v_dual_add_f32 v3, v3, v215 :: v_dual_add_f32 v2, v2, v6
	v_dual_mul_f32 v219, v180, v125 :: v_dual_mul_f32 v220, v182, v127
	v_mul_f32_e32 v6, v179, v123
	v_dual_fmac_f32 v218, v179, v122 :: v_dual_fmac_f32 v221, v185, v128
	v_add_f32_e32 v2, v2, v5
	v_mul_f32_e32 v5, v181, v125
	v_add_f32_e32 v3, v3, v216
	v_fma_f32 v4, v176, v120, -v4
	v_fmac_f32_e32 v219, v181, v124
	v_fma_f32 v6, v178, v122, -v6
	v_dual_mul_f32 v223, v188, v133 :: v_dual_mul_f32 v224, v190, v135
	v_add_f32_e32 v3, v3, v217
	v_fma_f32 v5, v180, v124, -v5
	s_delay_alu instid0(VALU_DEP_3) | instskip(NEXT) | instid1(VALU_DEP_4)
	v_dual_fmac_f32 v220, v183, v126 :: v_dual_fmac_f32 v223, v189, v132
	v_fmac_f32_e32 v224, v191, v134
	s_delay_alu instid0(VALU_DEP_4) | instskip(SKIP_2) | instid1(VALU_DEP_3)
	v_dual_add_f32 v3, v3, v218 :: v_dual_add_f32 v2, v2, v4
	v_mul_f32_e32 v4, v183, v127
	v_dual_fmac_f32 v222, v187, v130 :: v_dual_fmac_f32 v225, v197, v192
	v_dual_add_f32 v3, v3, v219 :: v_dual_add_f32 v2, v2, v6
	v_mul_f32_e32 v6, v185, v129
	s_delay_alu instid0(VALU_DEP_4) | instskip(NEXT) | instid1(VALU_DEP_3)
	v_fma_f32 v4, v182, v126, -v4
	v_dual_add_f32 v2, v2, v5 :: v_dual_mul_f32 v5, v187, v131
	s_delay_alu instid0(VALU_DEP_3) | instskip(NEXT) | instid1(VALU_DEP_2)
	v_fma_f32 v6, v184, v128, -v6
	v_add_f32_e32 v2, v2, v4
	s_delay_alu instid0(VALU_DEP_3) | instskip(NEXT) | instid1(VALU_DEP_2)
	v_fma_f32 v5, v186, v130, -v5
	v_add_f32_e32 v2, v2, v6
	v_mul_f32_e32 v6, v191, v135
	s_delay_alu instid0(VALU_DEP_2) | instskip(SKIP_2) | instid1(VALU_DEP_4)
	v_add_f32_e32 v2, v2, v5
	v_mul_f32_e32 v5, v197, v193
	v_add_f32_e32 v3, v3, v220
	v_fma_f32 v6, v190, v134, -v6
	s_delay_alu instid0(VALU_DEP_2) | instskip(NEXT) | instid1(VALU_DEP_1)
	v_add_f32_e32 v3, v3, v221
	v_dual_mul_f32 v4, v189, v133 :: v_dual_add_f32 v3, v3, v222
	s_delay_alu instid0(VALU_DEP_1) | instskip(NEXT) | instid1(VALU_DEP_2)
	v_fma_f32 v4, v188, v132, -v4
	v_add_f32_e32 v3, v3, v223
	s_delay_alu instid0(VALU_DEP_1) | instskip(NEXT) | instid1(VALU_DEP_3)
	v_add_f32_e32 v3, v3, v224
	v_add_f32_e32 v2, v2, v4
	v_fma_f32 v4, v196, v192, -v5
	s_delay_alu instid0(VALU_DEP_2) | instskip(SKIP_1) | instid1(VALU_DEP_1)
	v_dual_add_f32 v3, v3, v225 :: v_dual_add_f32 v2, v2, v6
	s_wait_loadcnt 0x0
	v_dual_sub_f32 v3, v195, v3 :: v_dual_add_f32 v2, v2, v4
	s_delay_alu instid0(VALU_DEP_1)
	v_sub_f32_e32 v2, v194, v2
	scratch_store_b64 off, v[2:3], off offset:64
	v_cmpx_lt_u32_e32 7, v0
	s_cbranch_execz .LBB37_227
; %bb.226:
	scratch_load_b64 v[3:4], off, off offset:56
	v_mov_b32_e32 v2, v1
	scratch_store_b64 off, v[1:2], off offset:56
	s_wait_loadcnt 0x0
	ds_store_b64 v23, v[3:4]
.LBB37_227:
	s_wait_alu 0xfffe
	s_or_b32 exec_lo, exec_lo, s0
	s_wait_storecnt_dscnt 0x0
	s_barrier_signal -1
	s_barrier_wait -1
	global_inv scope:SCOPE_SE
	s_clause 0xf
	scratch_load_b128 v[2:5], off, off offset:64
	scratch_load_b128 v[6:9], off, off offset:80
	;; [unrolled: 1-line block ×15, first 2 shown]
	scratch_load_b64 v[200:201], off, off offset:56
	ds_load_b128 v[140:143], v1 offset:368
	ds_load_b128 v[144:147], v1 offset:384
	;; [unrolled: 1-line block ×15, first 2 shown]
	s_mov_b32 s0, exec_lo
	s_wait_loadcnt_dscnt 0xf0e
	v_dual_mul_f32 v1, v140, v3 :: v_dual_mul_f32 v22, v142, v5
	s_wait_loadcnt_dscnt 0xe0d
	v_dual_mul_f32 v5, v143, v5 :: v_dual_mul_f32 v202, v144, v7
	v_mul_f32_e32 v203, v146, v9
	s_wait_loadcnt_dscnt 0xd0c
	v_dual_fmac_f32 v1, v141, v2 :: v_dual_mul_f32 v204, v148, v11
	s_wait_loadcnt_dscnt 0xc0b
	v_dual_mul_f32 v205, v150, v13 :: v_dual_mul_f32 v206, v152, v15
	v_mul_f32_e32 v207, v154, v17
	v_dual_mul_f32 v3, v141, v3 :: v_dual_fmac_f32 v22, v143, v4
	s_wait_loadcnt_dscnt 0xb0a
	v_dual_mul_f32 v208, v156, v19 :: v_dual_mul_f32 v209, v158, v21
	s_wait_loadcnt_dscnt 0x201
	v_mul_f32_e32 v226, v192, v133
	v_fma_f32 v3, v140, v2, -v3
	s_wait_loadcnt_dscnt 0x100
	v_mul_f32_e32 v229, v198, v139
	v_mul_f32_e32 v2, v145, v7
	v_fma_f32 v4, v142, v4, -v5
	v_dual_mul_f32 v5, v147, v9 :: v_dual_fmac_f32 v204, v149, v10
	v_dual_add_f32 v3, 0, v3 :: v_dual_fmac_f32 v202, v145, v6
	s_delay_alu instid0(VALU_DEP_4) | instskip(NEXT) | instid1(VALU_DEP_3)
	v_fma_f32 v2, v144, v6, -v2
	v_fma_f32 v5, v146, v8, -v5
	s_delay_alu instid0(VALU_DEP_3) | instskip(SKIP_2) | instid1(VALU_DEP_3)
	v_dual_fmac_f32 v206, v153, v14 :: v_dual_add_f32 v3, v3, v4
	v_dual_mul_f32 v210, v160, v25 :: v_dual_mul_f32 v211, v162, v27
	v_dual_fmac_f32 v208, v157, v18 :: v_dual_fmac_f32 v207, v155, v16
	v_add_f32_e32 v2, v3, v2
	v_mul_f32_e32 v3, v151, v13
	v_dual_mul_f32 v212, v164, v105 :: v_dual_mul_f32 v213, v166, v107
	v_mul_f32_e32 v4, v149, v11
	s_delay_alu instid0(VALU_DEP_4) | instskip(SKIP_4) | instid1(VALU_DEP_4)
	v_add_f32_e32 v2, v2, v5
	v_add_f32_e32 v1, 0, v1
	v_fma_f32 v3, v150, v12, -v3
	v_dual_mul_f32 v216, v172, v113 :: v_dual_mul_f32 v217, v174, v115
	v_fma_f32 v4, v148, v10, -v4
	v_dual_add_f32 v1, v1, v22 :: v_dual_mul_f32 v214, v168, v109
	v_mul_f32_e32 v215, v170, v111
	s_delay_alu instid0(VALU_DEP_3) | instskip(NEXT) | instid1(VALU_DEP_3)
	v_dual_fmac_f32 v213, v167, v106 :: v_dual_add_f32 v2, v2, v4
	v_dual_add_f32 v1, v1, v202 :: v_dual_mul_f32 v4, v155, v17
	v_dual_fmac_f32 v203, v147, v8 :: v_dual_mul_f32 v218, v176, v117
	v_mul_f32_e32 v219, v178, v119
	s_delay_alu instid0(VALU_DEP_4) | instskip(NEXT) | instid1(VALU_DEP_4)
	v_add_f32_e32 v2, v2, v3
	v_fma_f32 v4, v154, v16, -v4
	v_mul_f32_e32 v5, v153, v15
	v_add_f32_e32 v1, v1, v203
	v_dual_fmac_f32 v211, v163, v26 :: v_dual_fmac_f32 v214, v169, v108
	v_dual_mul_f32 v222, v184, v125 :: v_dual_mul_f32 v223, v186, v127
	s_delay_alu instid0(VALU_DEP_4) | instskip(SKIP_3) | instid1(VALU_DEP_4)
	v_fma_f32 v5, v152, v14, -v5
	v_fmac_f32_e32 v205, v151, v12
	v_fmac_f32_e32 v210, v161, v24
	v_dual_mul_f32 v220, v180, v121 :: v_dual_mul_f32 v221, v182, v123
	v_add_f32_e32 v2, v2, v5
	v_mul_f32_e32 v5, v159, v21
	v_dual_fmac_f32 v219, v179, v118 :: v_dual_mul_f32 v224, v188, v129
	v_mul_f32_e32 v225, v190, v131
	s_delay_alu instid0(VALU_DEP_4) | instskip(NEXT) | instid1(VALU_DEP_4)
	v_add_f32_e32 v2, v2, v4
	v_fma_f32 v5, v158, v20, -v5
	v_mul_f32_e32 v3, v157, v19
	v_mul_f32_e32 v4, v161, v25
	v_dual_fmac_f32 v212, v165, v104 :: v_dual_mul_f32 v227, v194, v135
	v_mul_f32_e32 v228, v196, v137
	s_delay_alu instid0(VALU_DEP_4) | instskip(SKIP_3) | instid1(VALU_DEP_4)
	v_fma_f32 v3, v156, v18, -v3
	v_add_f32_e32 v1, v1, v204
	v_fma_f32 v4, v160, v24, -v4
	v_dual_fmac_f32 v217, v175, v114 :: v_dual_fmac_f32 v220, v181, v120
	v_add_f32_e32 v2, v2, v3
	v_mul_f32_e32 v3, v163, v27
	v_fmac_f32_e32 v225, v191, v130
	v_dual_fmac_f32 v223, v187, v126 :: v_dual_fmac_f32 v226, v193, v132
	s_delay_alu instid0(VALU_DEP_4) | instskip(SKIP_3) | instid1(VALU_DEP_3)
	v_add_f32_e32 v2, v2, v5
	v_add_f32_e32 v1, v1, v205
	v_fma_f32 v3, v162, v26, -v3
	v_dual_fmac_f32 v229, v199, v138 :: v_dual_fmac_f32 v216, v173, v112
	v_dual_add_f32 v2, v2, v4 :: v_dual_add_f32 v1, v1, v206
	v_mul_f32_e32 v4, v167, v107
	v_fmac_f32_e32 v209, v159, v20
	v_fmac_f32_e32 v218, v177, v116
	s_delay_alu instid0(VALU_DEP_4) | instskip(NEXT) | instid1(VALU_DEP_4)
	v_dual_add_f32 v2, v2, v3 :: v_dual_mul_f32 v3, v169, v109
	v_fma_f32 v4, v166, v106, -v4
	v_mul_f32_e32 v5, v165, v105
	v_fmac_f32_e32 v222, v185, v124
	v_fmac_f32_e32 v224, v189, v128
	v_fma_f32 v3, v168, v108, -v3
	v_fmac_f32_e32 v228, v197, v136
	v_fma_f32 v5, v164, v104, -v5
	s_delay_alu instid0(VALU_DEP_1) | instskip(NEXT) | instid1(VALU_DEP_1)
	v_dual_add_f32 v1, v1, v207 :: v_dual_add_f32 v2, v2, v5
	v_dual_mul_f32 v5, v171, v111 :: v_dual_add_f32 v2, v2, v4
	s_delay_alu instid0(VALU_DEP_2) | instskip(SKIP_1) | instid1(VALU_DEP_3)
	v_add_f32_e32 v1, v1, v208
	v_mul_f32_e32 v4, v173, v113
	v_fma_f32 v5, v170, v110, -v5
	s_delay_alu instid0(VALU_DEP_4) | instskip(SKIP_1) | instid1(VALU_DEP_4)
	v_dual_add_f32 v2, v2, v3 :: v_dual_fmac_f32 v215, v171, v110
	v_mul_f32_e32 v3, v175, v115
	v_fma_f32 v4, v172, v112, -v4
	s_delay_alu instid0(VALU_DEP_3) | instskip(SKIP_1) | instid1(VALU_DEP_4)
	v_add_f32_e32 v2, v2, v5
	v_add_f32_e32 v1, v1, v209
	v_fma_f32 v3, v174, v114, -v3
	s_delay_alu instid0(VALU_DEP_3) | instskip(NEXT) | instid1(VALU_DEP_3)
	v_dual_add_f32 v2, v2, v4 :: v_dual_mul_f32 v5, v177, v117
	v_dual_add_f32 v1, v1, v210 :: v_dual_mul_f32 v4, v179, v119
	s_delay_alu instid0(VALU_DEP_2) | instskip(NEXT) | instid1(VALU_DEP_3)
	v_add_f32_e32 v2, v2, v3
	v_fma_f32 v5, v176, v116, -v5
	s_delay_alu instid0(VALU_DEP_3) | instskip(SKIP_2) | instid1(VALU_DEP_4)
	v_add_f32_e32 v1, v1, v211
	v_mul_f32_e32 v3, v181, v121
	v_fma_f32 v4, v178, v118, -v4
	v_dual_add_f32 v2, v2, v5 :: v_dual_mul_f32 v5, v183, v123
	s_delay_alu instid0(VALU_DEP_3) | instskip(NEXT) | instid1(VALU_DEP_2)
	v_fma_f32 v3, v180, v120, -v3
	v_add_f32_e32 v2, v2, v4
	v_add_f32_e32 v1, v1, v212
	v_mul_f32_e32 v4, v185, v125
	v_fma_f32 v5, v182, v122, -v5
	s_delay_alu instid0(VALU_DEP_4) | instskip(SKIP_1) | instid1(VALU_DEP_4)
	v_dual_add_f32 v2, v2, v3 :: v_dual_fmac_f32 v221, v183, v122
	v_mul_f32_e32 v3, v187, v127
	v_fma_f32 v4, v184, v124, -v4
	s_delay_alu instid0(VALU_DEP_3) | instskip(SKIP_1) | instid1(VALU_DEP_4)
	v_add_f32_e32 v2, v2, v5
	v_add_f32_e32 v1, v1, v213
	v_fma_f32 v3, v186, v126, -v3
	s_delay_alu instid0(VALU_DEP_3) | instskip(NEXT) | instid1(VALU_DEP_3)
	v_dual_add_f32 v2, v2, v4 :: v_dual_mul_f32 v5, v189, v129
	v_dual_add_f32 v1, v1, v214 :: v_dual_mul_f32 v4, v191, v131
	s_delay_alu instid0(VALU_DEP_2) | instskip(NEXT) | instid1(VALU_DEP_3)
	v_add_f32_e32 v2, v2, v3
	v_fma_f32 v5, v188, v128, -v5
	s_delay_alu instid0(VALU_DEP_3) | instskip(SKIP_2) | instid1(VALU_DEP_4)
	v_add_f32_e32 v1, v1, v215
	v_mul_f32_e32 v3, v193, v133
	v_fma_f32 v4, v190, v130, -v4
	v_dual_add_f32 v2, v2, v5 :: v_dual_mul_f32 v5, v195, v135
	s_delay_alu instid0(VALU_DEP_3) | instskip(NEXT) | instid1(VALU_DEP_2)
	v_fma_f32 v3, v192, v132, -v3
	v_add_f32_e32 v2, v2, v4
	v_add_f32_e32 v1, v1, v216
	v_mul_f32_e32 v4, v197, v137
	v_fma_f32 v5, v194, v134, -v5
	s_delay_alu instid0(VALU_DEP_4) | instskip(SKIP_1) | instid1(VALU_DEP_4)
	v_dual_add_f32 v2, v2, v3 :: v_dual_fmac_f32 v227, v195, v134
	v_mul_f32_e32 v3, v199, v139
	v_fma_f32 v4, v196, v136, -v4
	s_delay_alu instid0(VALU_DEP_3) | instskip(SKIP_1) | instid1(VALU_DEP_4)
	v_add_f32_e32 v2, v2, v5
	v_add_f32_e32 v1, v1, v217
	v_fma_f32 v3, v198, v138, -v3
	s_delay_alu instid0(VALU_DEP_2) | instskip(NEXT) | instid1(VALU_DEP_1)
	v_dual_add_f32 v2, v2, v4 :: v_dual_add_f32 v1, v1, v218
	v_add_f32_e32 v2, v2, v3
	s_delay_alu instid0(VALU_DEP_2) | instskip(NEXT) | instid1(VALU_DEP_1)
	v_add_f32_e32 v1, v1, v219
	v_add_f32_e32 v1, v1, v220
	s_delay_alu instid0(VALU_DEP_1) | instskip(NEXT) | instid1(VALU_DEP_1)
	v_add_f32_e32 v1, v1, v221
	v_add_f32_e32 v1, v1, v222
	s_delay_alu instid0(VALU_DEP_1) | instskip(NEXT) | instid1(VALU_DEP_1)
	;; [unrolled: 3-line block ×4, first 2 shown]
	v_add_f32_e32 v1, v1, v227
	v_add_f32_e32 v1, v1, v228
	s_delay_alu instid0(VALU_DEP_1) | instskip(SKIP_1) | instid1(VALU_DEP_1)
	v_add_f32_e32 v3, v1, v229
	s_wait_loadcnt 0x0
	v_dual_sub_f32 v1, v200, v2 :: v_dual_sub_f32 v2, v201, v3
	scratch_store_b64 off, v[1:2], off offset:56
	v_cmpx_lt_u32_e32 6, v0
	s_cbranch_execz .LBB37_229
; %bb.228:
	scratch_load_b64 v[1:2], off, off offset:48
	v_mov_b32_e32 v3, 0
	s_delay_alu instid0(VALU_DEP_1)
	v_mov_b32_e32 v4, v3
	scratch_store_b64 off, v[3:4], off offset:48
	s_wait_loadcnt 0x0
	ds_store_b64 v23, v[1:2]
.LBB37_229:
	s_wait_alu 0xfffe
	s_or_b32 exec_lo, exec_lo, s0
	s_wait_storecnt_dscnt 0x0
	s_barrier_signal -1
	s_barrier_wait -1
	global_inv scope:SCOPE_SE
	s_clause 0x10
	scratch_load_b128 v[2:5], off, off offset:56
	scratch_load_b128 v[6:9], off, off offset:72
	;; [unrolled: 1-line block ×15, first 2 shown]
	scratch_load_b64 v[200:201], off, off offset:296
	scratch_load_b64 v[202:203], off, off offset:48
	v_mov_b32_e32 v1, 0
	ds_load_2addr_b64 v[140:143], v1 offset0:45 offset1:46
	ds_load_2addr_b64 v[144:147], v1 offset0:47 offset1:48
	;; [unrolled: 1-line block ×15, first 2 shown]
	ds_load_b64 v[204:205], v1 offset:600
	s_mov_b32 s0, exec_lo
	s_wait_loadcnt_dscnt 0x100f
	v_mul_f32_e32 v22, v140, v3
	v_dual_mul_f32 v3, v141, v3 :: v_dual_mul_f32 v206, v142, v5
	s_wait_loadcnt_dscnt 0xc0b
	v_dual_mul_f32 v207, v144, v7 :: v_dual_mul_f32 v214, v158, v21
	v_mul_f32_e32 v5, v143, v5
	s_delay_alu instid0(VALU_DEP_3) | instskip(SKIP_1) | instid1(VALU_DEP_4)
	v_fma_f32 v3, v140, v2, -v3
	v_dual_mul_f32 v208, v146, v9 :: v_dual_mul_f32 v209, v148, v11
	v_dual_fmac_f32 v206, v143, v4 :: v_dual_fmac_f32 v207, v145, v6
	v_fmac_f32_e32 v22, v141, v2
	v_mul_f32_e32 v2, v145, v7
	v_fma_f32 v4, v142, v4, -v5
	v_add_f32_e32 v3, 0, v3
	s_wait_loadcnt_dscnt 0x100
	v_mul_f32_e32 v235, v204, v201
	v_dual_add_f32 v5, 0, v22 :: v_dual_fmac_f32 v208, v147, v8
	v_mul_f32_e32 v7, v147, v9
	v_fma_f32 v2, v144, v6, -v2
	s_delay_alu instid0(VALU_DEP_3) | instskip(SKIP_1) | instid1(VALU_DEP_4)
	v_dual_add_f32 v3, v3, v4 :: v_dual_add_f32 v4, v5, v206
	v_mul_f32_e32 v5, v149, v11
	v_fma_f32 v6, v146, v8, -v7
	v_dual_mul_f32 v210, v150, v13 :: v_dual_mul_f32 v211, v152, v15
	s_delay_alu instid0(VALU_DEP_4) | instskip(SKIP_2) | instid1(VALU_DEP_4)
	v_dual_add_f32 v2, v3, v2 :: v_dual_add_f32 v3, v4, v207
	v_mul_f32_e32 v4, v151, v13
	v_fma_f32 v5, v148, v10, -v5
	v_fmac_f32_e32 v210, v151, v12
	s_delay_alu instid0(VALU_DEP_4) | instskip(SKIP_3) | instid1(VALU_DEP_4)
	v_add_f32_e32 v2, v2, v6
	v_fmac_f32_e32 v209, v149, v10
	v_dual_add_f32 v3, v3, v208 :: v_dual_mul_f32 v6, v153, v15
	v_fma_f32 v4, v150, v12, -v4
	v_add_f32_e32 v2, v2, v5
	v_dual_mul_f32 v212, v154, v17 :: v_dual_mul_f32 v213, v156, v19
	s_delay_alu instid0(VALU_DEP_4)
	v_add_f32_e32 v3, v3, v209
	v_mul_f32_e32 v5, v155, v17
	v_fma_f32 v6, v152, v14, -v6
	v_dual_add_f32 v2, v2, v4 :: v_dual_fmac_f32 v211, v153, v14
	v_fmac_f32_e32 v212, v155, v16
	v_mul_f32_e32 v4, v157, v19
	v_fma_f32 v5, v154, v16, -v5
	s_delay_alu instid0(VALU_DEP_4) | instskip(SKIP_3) | instid1(VALU_DEP_3)
	v_add_f32_e32 v2, v2, v6
	v_add_f32_e32 v3, v3, v210
	v_dual_mul_f32 v6, v159, v21 :: v_dual_fmac_f32 v213, v157, v18
	v_fma_f32 v4, v156, v18, -v4
	v_dual_add_f32 v2, v2, v5 :: v_dual_add_f32 v3, v3, v211
	s_delay_alu instid0(VALU_DEP_3) | instskip(SKIP_1) | instid1(VALU_DEP_3)
	v_fma_f32 v6, v158, v20, -v6
	v_dual_mul_f32 v215, v160, v25 :: v_dual_mul_f32 v216, v162, v27
	v_add_f32_e32 v2, v2, v4
	s_delay_alu instid0(VALU_DEP_4) | instskip(SKIP_1) | instid1(VALU_DEP_4)
	v_add_f32_e32 v3, v3, v212
	v_dual_mul_f32 v5, v161, v25 :: v_dual_fmac_f32 v214, v159, v20
	v_dual_mul_f32 v4, v163, v27 :: v_dual_fmac_f32 v215, v161, v24
	s_delay_alu instid0(VALU_DEP_3) | instskip(NEXT) | instid1(VALU_DEP_3)
	v_dual_add_f32 v2, v2, v6 :: v_dual_add_f32 v3, v3, v213
	v_fma_f32 v5, v160, v24, -v5
	v_dual_mul_f32 v217, v164, v105 :: v_dual_mul_f32 v218, v166, v107
	s_delay_alu instid0(VALU_DEP_3) | instskip(NEXT) | instid1(VALU_DEP_2)
	v_dual_mul_f32 v6, v165, v105 :: v_dual_add_f32 v3, v3, v214
	v_dual_fmac_f32 v216, v163, v26 :: v_dual_fmac_f32 v217, v165, v104
	v_fma_f32 v4, v162, v26, -v4
	s_delay_alu instid0(VALU_DEP_3) | instskip(SKIP_3) | instid1(VALU_DEP_4)
	v_dual_add_f32 v2, v2, v5 :: v_dual_add_f32 v3, v3, v215
	v_mul_f32_e32 v5, v167, v107
	v_fma_f32 v6, v164, v104, -v6
	v_dual_mul_f32 v219, v168, v109 :: v_dual_mul_f32 v220, v170, v111
	v_add_f32_e32 v2, v2, v4
	v_dual_add_f32 v3, v3, v216 :: v_dual_mul_f32 v4, v169, v109
	s_delay_alu instid0(VALU_DEP_3) | instskip(SKIP_1) | instid1(VALU_DEP_3)
	v_dual_fmac_f32 v218, v167, v106 :: v_dual_fmac_f32 v219, v169, v108
	v_fma_f32 v5, v166, v106, -v5
	v_dual_add_f32 v2, v2, v6 :: v_dual_add_f32 v3, v3, v217
	v_mul_f32_e32 v6, v171, v111
	v_fma_f32 v4, v168, v108, -v4
	v_dual_mul_f32 v221, v172, v113 :: v_dual_mul_f32 v222, v174, v115
	s_delay_alu instid0(VALU_DEP_4) | instskip(SKIP_1) | instid1(VALU_DEP_3)
	v_dual_add_f32 v2, v2, v5 :: v_dual_add_f32 v3, v3, v218
	v_dual_mul_f32 v5, v173, v113 :: v_dual_fmac_f32 v220, v171, v110
	v_fmac_f32_e32 v221, v173, v112
	v_fma_f32 v6, v170, v110, -v6
	s_delay_alu instid0(VALU_DEP_4) | instskip(SKIP_2) | instid1(VALU_DEP_2)
	v_dual_add_f32 v2, v2, v4 :: v_dual_add_f32 v3, v3, v219
	v_dual_mul_f32 v223, v176, v117 :: v_dual_mul_f32 v224, v178, v119
	v_dual_mul_f32 v225, v180, v121 :: v_dual_mul_f32 v226, v182, v123
	v_dual_mul_f32 v4, v175, v115 :: v_dual_fmac_f32 v223, v177, v116
	v_fma_f32 v5, v172, v112, -v5
	v_dual_add_f32 v2, v2, v6 :: v_dual_add_f32 v3, v3, v220
	v_mul_f32_e32 v6, v177, v117
	v_dual_fmac_f32 v222, v175, v114 :: v_dual_fmac_f32 v225, v181, v120
	v_fma_f32 v4, v174, v114, -v4
	s_delay_alu instid0(VALU_DEP_4) | instskip(SKIP_3) | instid1(VALU_DEP_3)
	v_add_f32_e32 v3, v3, v221
	v_dual_add_f32 v2, v2, v5 :: v_dual_mul_f32 v5, v179, v119
	v_fma_f32 v6, v176, v116, -v6
	v_dual_mul_f32 v229, v188, v129 :: v_dual_mul_f32 v230, v190, v131
	v_dual_add_f32 v3, v3, v222 :: v_dual_add_f32 v2, v2, v4
	v_mul_f32_e32 v4, v181, v121
	v_fmac_f32_e32 v224, v179, v118
	v_fma_f32 v5, v178, v118, -v5
	s_delay_alu instid0(VALU_DEP_4) | instskip(SKIP_3) | instid1(VALU_DEP_4)
	v_dual_add_f32 v3, v3, v223 :: v_dual_add_f32 v2, v2, v6
	v_dual_mul_f32 v227, v184, v125 :: v_dual_mul_f32 v228, v186, v127
	v_mul_f32_e32 v6, v183, v123
	v_dual_fmac_f32 v226, v183, v122 :: v_dual_fmac_f32 v229, v189, v128
	v_add_f32_e32 v2, v2, v5
	v_mul_f32_e32 v5, v185, v125
	v_add_f32_e32 v3, v3, v224
	v_fma_f32 v4, v180, v120, -v4
	v_fmac_f32_e32 v227, v185, v124
	v_fma_f32 v6, v182, v122, -v6
	v_dual_mul_f32 v231, v192, v133 :: v_dual_mul_f32 v232, v194, v135
	v_add_f32_e32 v3, v3, v225
	v_fma_f32 v5, v184, v124, -v5
	s_delay_alu instid0(VALU_DEP_3) | instskip(NEXT) | instid1(VALU_DEP_4)
	v_dual_fmac_f32 v228, v187, v126 :: v_dual_fmac_f32 v231, v193, v132
	v_fmac_f32_e32 v232, v195, v134
	s_delay_alu instid0(VALU_DEP_4) | instskip(SKIP_2) | instid1(VALU_DEP_3)
	v_dual_add_f32 v3, v3, v226 :: v_dual_add_f32 v2, v2, v4
	v_dual_mul_f32 v4, v187, v127 :: v_dual_mul_f32 v233, v196, v137
	v_mul_f32_e32 v234, v198, v139
	v_dual_add_f32 v3, v3, v227 :: v_dual_add_f32 v2, v2, v6
	v_mul_f32_e32 v6, v189, v129
	s_delay_alu instid0(VALU_DEP_4) | instskip(SKIP_1) | instid1(VALU_DEP_4)
	v_fma_f32 v4, v186, v126, -v4
	v_dual_fmac_f32 v230, v191, v130 :: v_dual_fmac_f32 v233, v197, v136
	v_dual_add_f32 v2, v2, v5 :: v_dual_mul_f32 v5, v191, v131
	s_delay_alu instid0(VALU_DEP_4) | instskip(SKIP_1) | instid1(VALU_DEP_3)
	v_fma_f32 v6, v188, v128, -v6
	v_dual_fmac_f32 v234, v199, v138 :: v_dual_fmac_f32 v235, v205, v200
	v_add_f32_e32 v2, v2, v4
	s_delay_alu instid0(VALU_DEP_4) | instskip(NEXT) | instid1(VALU_DEP_2)
	v_fma_f32 v5, v190, v130, -v5
	v_add_f32_e32 v2, v2, v6
	v_mul_f32_e32 v6, v195, v135
	s_delay_alu instid0(VALU_DEP_2) | instskip(SKIP_2) | instid1(VALU_DEP_4)
	v_add_f32_e32 v2, v2, v5
	v_mul_f32_e32 v5, v197, v137
	v_add_f32_e32 v3, v3, v228
	v_fma_f32 v6, v194, v134, -v6
	s_delay_alu instid0(VALU_DEP_3) | instskip(NEXT) | instid1(VALU_DEP_3)
	v_fma_f32 v5, v196, v136, -v5
	v_add_f32_e32 v3, v3, v229
	s_delay_alu instid0(VALU_DEP_1) | instskip(NEXT) | instid1(VALU_DEP_1)
	v_dual_mul_f32 v4, v193, v133 :: v_dual_add_f32 v3, v3, v230
	v_fma_f32 v4, v192, v132, -v4
	s_delay_alu instid0(VALU_DEP_2) | instskip(NEXT) | instid1(VALU_DEP_1)
	v_add_f32_e32 v3, v3, v231
	v_add_f32_e32 v3, v3, v232
	s_delay_alu instid0(VALU_DEP_3) | instskip(SKIP_1) | instid1(VALU_DEP_3)
	v_add_f32_e32 v2, v2, v4
	v_mul_f32_e32 v4, v199, v139
	v_add_f32_e32 v3, v3, v233
	s_delay_alu instid0(VALU_DEP_2) | instskip(NEXT) | instid1(VALU_DEP_2)
	v_fma_f32 v4, v198, v138, -v4
	v_add_f32_e32 v3, v3, v234
	s_delay_alu instid0(VALU_DEP_1) | instskip(SKIP_2) | instid1(VALU_DEP_2)
	v_dual_add_f32 v2, v2, v6 :: v_dual_add_f32 v3, v3, v235
	v_mul_f32_e32 v6, v205, v201
	s_wait_loadcnt 0x0
	v_dual_add_f32 v2, v2, v5 :: v_dual_sub_f32 v3, v203, v3
	s_delay_alu instid0(VALU_DEP_2) | instskip(NEXT) | instid1(VALU_DEP_2)
	v_fma_f32 v5, v204, v200, -v6
	v_add_f32_e32 v2, v2, v4
	s_delay_alu instid0(VALU_DEP_1) | instskip(NEXT) | instid1(VALU_DEP_1)
	v_add_f32_e32 v2, v2, v5
	v_sub_f32_e32 v2, v202, v2
	scratch_store_b64 off, v[2:3], off offset:48
	v_cmpx_lt_u32_e32 5, v0
	s_cbranch_execz .LBB37_231
; %bb.230:
	scratch_load_b64 v[3:4], off, off offset:40
	v_mov_b32_e32 v2, v1
	scratch_store_b64 off, v[1:2], off offset:40
	s_wait_loadcnt 0x0
	ds_store_b64 v23, v[3:4]
.LBB37_231:
	s_wait_alu 0xfffe
	s_or_b32 exec_lo, exec_lo, s0
	s_wait_storecnt_dscnt 0x0
	s_barrier_signal -1
	s_barrier_wait -1
	global_inv scope:SCOPE_SE
	s_clause 0x10
	scratch_load_b128 v[2:5], off, off offset:48
	scratch_load_b128 v[6:9], off, off offset:64
	scratch_load_b128 v[10:13], off, off offset:80
	scratch_load_b128 v[14:17], off, off offset:96
	scratch_load_b128 v[18:21], off, off offset:112
	scratch_load_b128 v[24:27], off, off offset:128
	scratch_load_b128 v[104:107], off, off offset:144
	scratch_load_b128 v[108:111], off, off offset:160
	scratch_load_b128 v[112:115], off, off offset:176
	scratch_load_b128 v[116:119], off, off offset:192
	scratch_load_b128 v[120:123], off, off offset:208
	scratch_load_b128 v[124:127], off, off offset:224
	scratch_load_b128 v[128:131], off, off offset:240
	scratch_load_b128 v[132:135], off, off offset:256
	scratch_load_b128 v[136:139], off, off offset:272
	scratch_load_b128 v[140:143], off, off offset:288
	scratch_load_b64 v[208:209], off, off offset:40
	ds_load_b128 v[144:147], v1 offset:352
	ds_load_b128 v[148:151], v1 offset:368
	;; [unrolled: 1-line block ×16, first 2 shown]
	s_mov_b32 s0, exec_lo
	s_wait_loadcnt_dscnt 0x100f
	v_dual_mul_f32 v1, v144, v3 :: v_dual_mul_f32 v22, v146, v5
	s_wait_loadcnt_dscnt 0xf0e
	v_dual_mul_f32 v5, v147, v5 :: v_dual_mul_f32 v210, v148, v7
	v_mul_f32_e32 v211, v150, v9
	s_wait_loadcnt_dscnt 0xe0d
	v_dual_fmac_f32 v1, v145, v2 :: v_dual_mul_f32 v212, v152, v11
	s_wait_loadcnt_dscnt 0xd0c
	v_dual_mul_f32 v213, v154, v13 :: v_dual_mul_f32 v214, v156, v15
	v_mul_f32_e32 v215, v158, v17
	v_dual_mul_f32 v3, v145, v3 :: v_dual_fmac_f32 v22, v147, v4
	s_wait_loadcnt_dscnt 0xc0b
	v_dual_mul_f32 v216, v160, v19 :: v_dual_mul_f32 v217, v162, v21
	s_wait_loadcnt_dscnt 0x201
	v_mul_f32_e32 v236, v200, v137
	v_fma_f32 v3, v144, v2, -v3
	s_wait_loadcnt_dscnt 0x100
	v_mul_f32_e32 v239, v206, v143
	v_mul_f32_e32 v2, v149, v7
	v_fma_f32 v4, v146, v4, -v5
	v_dual_mul_f32 v5, v151, v9 :: v_dual_fmac_f32 v212, v153, v10
	v_dual_add_f32 v3, 0, v3 :: v_dual_fmac_f32 v210, v149, v6
	s_delay_alu instid0(VALU_DEP_4) | instskip(NEXT) | instid1(VALU_DEP_3)
	v_fma_f32 v2, v148, v6, -v2
	v_fma_f32 v5, v150, v8, -v5
	s_delay_alu instid0(VALU_DEP_3) | instskip(SKIP_2) | instid1(VALU_DEP_3)
	v_dual_fmac_f32 v214, v157, v14 :: v_dual_add_f32 v3, v3, v4
	v_dual_mul_f32 v218, v164, v25 :: v_dual_mul_f32 v219, v166, v27
	v_dual_fmac_f32 v215, v159, v16 :: v_dual_fmac_f32 v216, v161, v18
	v_add_f32_e32 v2, v3, v2
	v_mul_f32_e32 v3, v155, v13
	v_dual_mul_f32 v220, v168, v105 :: v_dual_mul_f32 v221, v170, v107
	v_mul_f32_e32 v4, v153, v11
	s_delay_alu instid0(VALU_DEP_4) | instskip(SKIP_4) | instid1(VALU_DEP_4)
	v_add_f32_e32 v2, v2, v5
	v_add_f32_e32 v1, 0, v1
	v_fma_f32 v3, v154, v12, -v3
	v_dual_mul_f32 v224, v176, v113 :: v_dual_mul_f32 v225, v178, v115
	v_fma_f32 v4, v152, v10, -v4
	v_dual_add_f32 v1, v1, v22 :: v_dual_mul_f32 v222, v172, v109
	v_mul_f32_e32 v223, v174, v111
	s_delay_alu instid0(VALU_DEP_3) | instskip(NEXT) | instid1(VALU_DEP_3)
	v_dual_fmac_f32 v221, v171, v106 :: v_dual_add_f32 v2, v2, v4
	v_dual_add_f32 v1, v1, v210 :: v_dual_mul_f32 v4, v159, v17
	v_dual_fmac_f32 v211, v151, v8 :: v_dual_mul_f32 v226, v180, v117
	v_mul_f32_e32 v227, v182, v119
	s_delay_alu instid0(VALU_DEP_4) | instskip(NEXT) | instid1(VALU_DEP_4)
	v_add_f32_e32 v2, v2, v3
	v_fma_f32 v4, v158, v16, -v4
	v_mul_f32_e32 v5, v157, v15
	v_add_f32_e32 v1, v1, v211
	v_dual_fmac_f32 v219, v167, v26 :: v_dual_fmac_f32 v222, v173, v108
	v_dual_mul_f32 v230, v188, v125 :: v_dual_mul_f32 v231, v190, v127
	s_delay_alu instid0(VALU_DEP_4) | instskip(SKIP_3) | instid1(VALU_DEP_4)
	v_fma_f32 v5, v156, v14, -v5
	v_fmac_f32_e32 v213, v155, v12
	v_fmac_f32_e32 v218, v165, v24
	v_dual_mul_f32 v228, v184, v121 :: v_dual_mul_f32 v229, v186, v123
	v_add_f32_e32 v2, v2, v5
	v_mul_f32_e32 v5, v163, v21
	v_dual_fmac_f32 v227, v183, v118 :: v_dual_mul_f32 v232, v192, v129
	v_mul_f32_e32 v233, v194, v131
	s_delay_alu instid0(VALU_DEP_4) | instskip(NEXT) | instid1(VALU_DEP_4)
	v_add_f32_e32 v2, v2, v4
	v_fma_f32 v5, v162, v20, -v5
	v_mul_f32_e32 v3, v161, v19
	v_mul_f32_e32 v4, v165, v25
	v_dual_mul_f32 v234, v196, v133 :: v_dual_mul_f32 v235, v198, v135
	v_fmac_f32_e32 v220, v169, v104
	s_delay_alu instid0(VALU_DEP_4) | instskip(SKIP_3) | instid1(VALU_DEP_4)
	v_fma_f32 v3, v160, v18, -v3
	v_add_f32_e32 v1, v1, v212
	v_fma_f32 v4, v164, v24, -v4
	v_dual_fmac_f32 v225, v179, v114 :: v_dual_fmac_f32 v228, v185, v120
	v_add_f32_e32 v2, v2, v3
	v_mul_f32_e32 v3, v167, v27
	v_fmac_f32_e32 v233, v195, v130
	v_dual_mul_f32 v237, v202, v139 :: v_dual_mul_f32 v238, v204, v141
	s_delay_alu instid0(VALU_DEP_4) | instskip(SKIP_3) | instid1(VALU_DEP_3)
	v_add_f32_e32 v2, v2, v5
	v_add_f32_e32 v1, v1, v213
	v_fma_f32 v3, v166, v26, -v3
	v_dual_fmac_f32 v231, v191, v126 :: v_dual_fmac_f32 v234, v197, v132
	v_dual_add_f32 v2, v2, v4 :: v_dual_add_f32 v1, v1, v214
	v_mul_f32_e32 v4, v171, v107
	v_fmac_f32_e32 v217, v163, v20
	s_delay_alu instid0(VALU_DEP_3) | instskip(SKIP_1) | instid1(VALU_DEP_4)
	v_dual_fmac_f32 v237, v203, v138 :: v_dual_add_f32 v2, v2, v3
	v_mul_f32_e32 v3, v173, v109
	v_fma_f32 v4, v170, v106, -v4
	v_mul_f32_e32 v5, v169, v105
	v_dual_fmac_f32 v224, v177, v112 :: v_dual_fmac_f32 v239, v207, v142
	s_delay_alu instid0(VALU_DEP_4) | instskip(SKIP_1) | instid1(VALU_DEP_4)
	v_fma_f32 v3, v172, v108, -v3
	v_fmac_f32_e32 v226, v181, v116
	v_fma_f32 v5, v168, v104, -v5
	v_add_f32_e32 v1, v1, v215
	v_fmac_f32_e32 v230, v189, v124
	v_fmac_f32_e32 v232, v193, v128
	;; [unrolled: 1-line block ×3, first 2 shown]
	v_dual_add_f32 v2, v2, v5 :: v_dual_mul_f32 v5, v175, v111
	v_fmac_f32_e32 v238, v205, v140
	s_delay_alu instid0(VALU_DEP_2) | instskip(SKIP_3) | instid1(VALU_DEP_4)
	v_add_f32_e32 v2, v2, v4
	v_add_f32_e32 v1, v1, v216
	v_mul_f32_e32 v4, v177, v113
	v_fma_f32 v5, v174, v110, -v5
	v_dual_add_f32 v2, v2, v3 :: v_dual_fmac_f32 v223, v175, v110
	v_mul_f32_e32 v3, v179, v115
	s_delay_alu instid0(VALU_DEP_4) | instskip(NEXT) | instid1(VALU_DEP_3)
	v_fma_f32 v4, v176, v112, -v4
	v_add_f32_e32 v2, v2, v5
	v_add_f32_e32 v1, v1, v217
	s_delay_alu instid0(VALU_DEP_4) | instskip(NEXT) | instid1(VALU_DEP_3)
	v_fma_f32 v3, v178, v114, -v3
	v_dual_add_f32 v2, v2, v4 :: v_dual_mul_f32 v5, v181, v117
	s_delay_alu instid0(VALU_DEP_3) | instskip(NEXT) | instid1(VALU_DEP_2)
	v_dual_add_f32 v1, v1, v218 :: v_dual_mul_f32 v4, v183, v119
	v_add_f32_e32 v2, v2, v3
	s_delay_alu instid0(VALU_DEP_3) | instskip(NEXT) | instid1(VALU_DEP_3)
	v_fma_f32 v5, v180, v116, -v5
	v_add_f32_e32 v1, v1, v219
	v_mul_f32_e32 v3, v185, v121
	v_fma_f32 v4, v182, v118, -v4
	s_delay_alu instid0(VALU_DEP_4) | instskip(NEXT) | instid1(VALU_DEP_3)
	v_dual_add_f32 v2, v2, v5 :: v_dual_mul_f32 v5, v187, v123
	v_fma_f32 v3, v184, v120, -v3
	s_delay_alu instid0(VALU_DEP_2) | instskip(SKIP_3) | instid1(VALU_DEP_4)
	v_add_f32_e32 v2, v2, v4
	v_add_f32_e32 v1, v1, v220
	v_mul_f32_e32 v4, v189, v125
	v_fma_f32 v5, v186, v122, -v5
	v_dual_add_f32 v2, v2, v3 :: v_dual_fmac_f32 v229, v187, v122
	v_mul_f32_e32 v3, v191, v127
	s_delay_alu instid0(VALU_DEP_4) | instskip(NEXT) | instid1(VALU_DEP_3)
	v_fma_f32 v4, v188, v124, -v4
	v_add_f32_e32 v2, v2, v5
	v_add_f32_e32 v1, v1, v221
	s_delay_alu instid0(VALU_DEP_4) | instskip(NEXT) | instid1(VALU_DEP_3)
	v_fma_f32 v3, v190, v126, -v3
	v_dual_add_f32 v2, v2, v4 :: v_dual_mul_f32 v5, v193, v129
	s_delay_alu instid0(VALU_DEP_3) | instskip(NEXT) | instid1(VALU_DEP_2)
	v_dual_add_f32 v1, v1, v222 :: v_dual_mul_f32 v4, v195, v131
	v_add_f32_e32 v2, v2, v3
	s_delay_alu instid0(VALU_DEP_3) | instskip(NEXT) | instid1(VALU_DEP_3)
	v_fma_f32 v5, v192, v128, -v5
	v_add_f32_e32 v1, v1, v223
	v_mul_f32_e32 v3, v197, v133
	v_fma_f32 v4, v194, v130, -v4
	s_delay_alu instid0(VALU_DEP_4) | instskip(NEXT) | instid1(VALU_DEP_3)
	v_dual_add_f32 v2, v2, v5 :: v_dual_mul_f32 v5, v199, v135
	v_fma_f32 v3, v196, v132, -v3
	s_delay_alu instid0(VALU_DEP_2) | instskip(SKIP_3) | instid1(VALU_DEP_4)
	v_add_f32_e32 v2, v2, v4
	v_add_f32_e32 v1, v1, v224
	v_mul_f32_e32 v4, v201, v137
	v_fma_f32 v5, v198, v134, -v5
	v_dual_add_f32 v2, v2, v3 :: v_dual_fmac_f32 v235, v199, v134
	v_mul_f32_e32 v3, v203, v139
	s_delay_alu instid0(VALU_DEP_4) | instskip(NEXT) | instid1(VALU_DEP_3)
	v_fma_f32 v4, v200, v136, -v4
	v_add_f32_e32 v2, v2, v5
	v_add_f32_e32 v1, v1, v225
	s_delay_alu instid0(VALU_DEP_4) | instskip(NEXT) | instid1(VALU_DEP_2)
	v_fma_f32 v3, v202, v138, -v3
	v_dual_add_f32 v2, v2, v4 :: v_dual_add_f32 v1, v1, v226
	v_dual_mul_f32 v4, v207, v143 :: v_dual_mul_f32 v5, v205, v141
	s_delay_alu instid0(VALU_DEP_2) | instskip(NEXT) | instid1(VALU_DEP_2)
	v_add_f32_e32 v2, v2, v3
	v_fma_f32 v3, v206, v142, -v4
	s_delay_alu instid0(VALU_DEP_3) | instskip(NEXT) | instid1(VALU_DEP_1)
	v_fma_f32 v5, v204, v140, -v5
	v_dual_add_f32 v1, v1, v227 :: v_dual_add_f32 v2, v2, v5
	s_delay_alu instid0(VALU_DEP_1) | instskip(NEXT) | instid1(VALU_DEP_1)
	v_dual_add_f32 v1, v1, v228 :: v_dual_add_f32 v2, v2, v3
	v_add_f32_e32 v1, v1, v229
	s_delay_alu instid0(VALU_DEP_1) | instskip(NEXT) | instid1(VALU_DEP_1)
	v_add_f32_e32 v1, v1, v230
	v_add_f32_e32 v1, v1, v231
	s_delay_alu instid0(VALU_DEP_1) | instskip(NEXT) | instid1(VALU_DEP_1)
	v_add_f32_e32 v1, v1, v232
	;; [unrolled: 3-line block ×5, first 2 shown]
	v_add_f32_e32 v3, v1, v239
	s_wait_loadcnt 0x0
	s_delay_alu instid0(VALU_DEP_1)
	v_dual_sub_f32 v1, v208, v2 :: v_dual_sub_f32 v2, v209, v3
	scratch_store_b64 off, v[1:2], off offset:40
	v_cmpx_lt_u32_e32 4, v0
	s_cbranch_execz .LBB37_233
; %bb.232:
	scratch_load_b64 v[1:2], off, off offset:32
	v_mov_b32_e32 v3, 0
	s_delay_alu instid0(VALU_DEP_1)
	v_mov_b32_e32 v4, v3
	scratch_store_b64 off, v[3:4], off offset:32
	s_wait_loadcnt 0x0
	ds_store_b64 v23, v[1:2]
.LBB37_233:
	s_wait_alu 0xfffe
	s_or_b32 exec_lo, exec_lo, s0
	s_wait_storecnt_dscnt 0x0
	s_barrier_signal -1
	s_barrier_wait -1
	global_inv scope:SCOPE_SE
	s_clause 0x11
	scratch_load_b128 v[2:5], off, off offset:40
	scratch_load_b128 v[6:9], off, off offset:56
	;; [unrolled: 1-line block ×16, first 2 shown]
	scratch_load_b64 v[208:209], off, off offset:296
	scratch_load_b64 v[210:211], off, off offset:32
	v_mov_b32_e32 v1, 0
	ds_load_2addr_b64 v[144:147], v1 offset0:43 offset1:44
	ds_load_2addr_b64 v[148:151], v1 offset0:45 offset1:46
	;; [unrolled: 1-line block ×16, first 2 shown]
	ds_load_b64 v[212:213], v1 offset:600
	s_mov_b32 s0, exec_lo
	s_wait_loadcnt_dscnt 0x1110
	v_mul_f32_e32 v22, v144, v3
	v_dual_mul_f32 v3, v145, v3 :: v_dual_mul_f32 v214, v146, v5
	s_wait_loadcnt_dscnt 0xd0c
	v_dual_mul_f32 v215, v148, v7 :: v_dual_mul_f32 v222, v162, v21
	v_mul_f32_e32 v5, v147, v5
	s_delay_alu instid0(VALU_DEP_3) | instskip(SKIP_1) | instid1(VALU_DEP_4)
	v_fma_f32 v3, v144, v2, -v3
	v_dual_mul_f32 v216, v150, v9 :: v_dual_mul_f32 v217, v152, v11
	v_dual_fmac_f32 v214, v147, v4 :: v_dual_fmac_f32 v215, v149, v6
	s_delay_alu instid0(VALU_DEP_3)
	v_dual_add_f32 v3, 0, v3 :: v_dual_fmac_f32 v22, v145, v2
	v_mul_f32_e32 v2, v149, v7
	v_fma_f32 v4, v146, v4, -v5
	v_dual_mul_f32 v218, v154, v13 :: v_dual_mul_f32 v219, v156, v15
	s_wait_loadcnt_dscnt 0x100
	v_mul_f32_e32 v245, v212, v209
	v_dual_add_f32 v5, 0, v22 :: v_dual_fmac_f32 v216, v151, v8
	v_mul_f32_e32 v7, v151, v9
	v_fma_f32 v2, v148, v6, -v2
	s_delay_alu instid0(VALU_DEP_3) | instskip(SKIP_1) | instid1(VALU_DEP_4)
	v_dual_add_f32 v3, v3, v4 :: v_dual_add_f32 v4, v5, v214
	v_mul_f32_e32 v5, v153, v11
	v_fma_f32 v6, v150, v8, -v7
	v_dual_mul_f32 v220, v158, v17 :: v_dual_mul_f32 v221, v160, v19
	s_delay_alu instid0(VALU_DEP_4) | instskip(SKIP_3) | instid1(VALU_DEP_4)
	v_dual_add_f32 v2, v3, v2 :: v_dual_add_f32 v3, v4, v215
	v_fmac_f32_e32 v218, v155, v12
	v_mul_f32_e32 v4, v155, v13
	v_fma_f32 v5, v152, v10, -v5
	v_add_f32_e32 v2, v2, v6
	v_fmac_f32_e32 v217, v153, v10
	v_dual_add_f32 v3, v3, v216 :: v_dual_mul_f32 v6, v157, v15
	v_fma_f32 v4, v154, v12, -v4
	s_delay_alu instid0(VALU_DEP_4) | instskip(SKIP_1) | instid1(VALU_DEP_4)
	v_add_f32_e32 v2, v2, v5
	v_mul_f32_e32 v5, v159, v17
	v_add_f32_e32 v3, v3, v217
	v_fma_f32 v6, v156, v14, -v6
	v_dual_fmac_f32 v219, v157, v14 :: v_dual_fmac_f32 v220, v159, v16
	v_add_f32_e32 v2, v2, v4
	v_mul_f32_e32 v4, v161, v19
	v_fma_f32 v5, v158, v16, -v5
	v_fmac_f32_e32 v221, v161, v18
	v_dual_mul_f32 v223, v164, v25 :: v_dual_mul_f32 v224, v166, v27
	v_add_f32_e32 v2, v2, v6
	v_add_f32_e32 v3, v3, v218
	v_mul_f32_e32 v6, v163, v21
	v_fma_f32 v4, v160, v18, -v4
	v_fmac_f32_e32 v222, v163, v20
	s_delay_alu instid0(VALU_DEP_4) | instskip(NEXT) | instid1(VALU_DEP_4)
	v_dual_add_f32 v2, v2, v5 :: v_dual_add_f32 v3, v3, v219
	v_fma_f32 v6, v162, v20, -v6
	v_mul_f32_e32 v5, v165, v25
	v_fmac_f32_e32 v223, v165, v24
	s_delay_alu instid0(VALU_DEP_4) | instskip(SKIP_4) | instid1(VALU_DEP_4)
	v_add_f32_e32 v2, v2, v4
	v_add_f32_e32 v3, v3, v220
	v_mul_f32_e32 v4, v167, v27
	v_fma_f32 v5, v164, v24, -v5
	v_dual_mul_f32 v225, v168, v105 :: v_dual_mul_f32 v226, v170, v107
	v_dual_add_f32 v2, v2, v6 :: v_dual_add_f32 v3, v3, v221
	v_mul_f32_e32 v6, v169, v105
	s_delay_alu instid0(VALU_DEP_3) | instskip(SKIP_1) | instid1(VALU_DEP_4)
	v_dual_fmac_f32 v224, v167, v26 :: v_dual_fmac_f32 v225, v169, v104
	v_fma_f32 v4, v166, v26, -v4
	v_dual_add_f32 v3, v3, v222 :: v_dual_add_f32 v2, v2, v5
	s_delay_alu instid0(VALU_DEP_4) | instskip(SKIP_1) | instid1(VALU_DEP_3)
	v_fma_f32 v6, v168, v104, -v6
	v_dual_mul_f32 v227, v172, v109 :: v_dual_mul_f32 v228, v174, v111
	v_add_f32_e32 v3, v3, v223
	s_delay_alu instid0(VALU_DEP_4) | instskip(SKIP_1) | instid1(VALU_DEP_4)
	v_dual_mul_f32 v5, v171, v107 :: v_dual_add_f32 v2, v2, v4
	v_mul_f32_e32 v4, v173, v109
	v_dual_fmac_f32 v226, v171, v106 :: v_dual_fmac_f32 v227, v173, v108
	s_delay_alu instid0(VALU_DEP_4) | instskip(NEXT) | instid1(VALU_DEP_4)
	v_add_f32_e32 v3, v3, v224
	v_fma_f32 v5, v170, v106, -v5
	v_add_f32_e32 v2, v2, v6
	v_mul_f32_e32 v6, v175, v111
	v_fma_f32 v4, v172, v108, -v4
	v_add_f32_e32 v3, v3, v225
	v_dual_mul_f32 v229, v176, v113 :: v_dual_mul_f32 v230, v178, v115
	v_add_f32_e32 v2, v2, v5
	v_mul_f32_e32 v5, v177, v113
	s_delay_alu instid0(VALU_DEP_4) | instskip(NEXT) | instid1(VALU_DEP_4)
	v_add_f32_e32 v3, v3, v226
	v_dual_fmac_f32 v228, v175, v110 :: v_dual_fmac_f32 v229, v177, v112
	v_fma_f32 v6, v174, v110, -v6
	s_delay_alu instid0(VALU_DEP_3) | instskip(SKIP_2) | instid1(VALU_DEP_2)
	v_dual_add_f32 v2, v2, v4 :: v_dual_add_f32 v3, v3, v227
	v_dual_mul_f32 v231, v180, v117 :: v_dual_mul_f32 v232, v182, v119
	v_dual_mul_f32 v233, v184, v121 :: v_dual_mul_f32 v234, v186, v123
	v_dual_mul_f32 v4, v179, v115 :: v_dual_fmac_f32 v231, v181, v116
	v_fma_f32 v5, v176, v112, -v5
	v_dual_add_f32 v2, v2, v6 :: v_dual_add_f32 v3, v3, v228
	v_mul_f32_e32 v6, v181, v117
	v_dual_fmac_f32 v230, v179, v114 :: v_dual_fmac_f32 v233, v185, v120
	v_fma_f32 v4, v178, v114, -v4
	s_delay_alu instid0(VALU_DEP_4) | instskip(SKIP_3) | instid1(VALU_DEP_3)
	v_add_f32_e32 v3, v3, v229
	v_dual_add_f32 v2, v2, v5 :: v_dual_mul_f32 v5, v183, v119
	v_fma_f32 v6, v180, v116, -v6
	v_dual_mul_f32 v237, v192, v129 :: v_dual_mul_f32 v238, v194, v131
	v_dual_add_f32 v3, v3, v230 :: v_dual_add_f32 v2, v2, v4
	v_mul_f32_e32 v4, v185, v121
	v_fmac_f32_e32 v232, v183, v118
	v_fma_f32 v5, v182, v118, -v5
	s_delay_alu instid0(VALU_DEP_4) | instskip(SKIP_3) | instid1(VALU_DEP_4)
	v_dual_add_f32 v3, v3, v231 :: v_dual_add_f32 v2, v2, v6
	v_dual_mul_f32 v235, v188, v125 :: v_dual_mul_f32 v236, v190, v127
	v_mul_f32_e32 v6, v187, v123
	v_dual_fmac_f32 v234, v187, v122 :: v_dual_fmac_f32 v237, v193, v128
	v_add_f32_e32 v2, v2, v5
	v_mul_f32_e32 v5, v189, v125
	v_add_f32_e32 v3, v3, v232
	v_fma_f32 v4, v184, v120, -v4
	v_fmac_f32_e32 v235, v189, v124
	v_fma_f32 v6, v186, v122, -v6
	v_dual_mul_f32 v239, v196, v133 :: v_dual_mul_f32 v240, v198, v135
	v_add_f32_e32 v3, v3, v233
	v_fma_f32 v5, v188, v124, -v5
	s_delay_alu instid0(VALU_DEP_3) | instskip(NEXT) | instid1(VALU_DEP_4)
	v_dual_fmac_f32 v236, v191, v126 :: v_dual_fmac_f32 v239, v197, v132
	v_dual_fmac_f32 v240, v199, v134 :: v_dual_fmac_f32 v245, v213, v208
	s_delay_alu instid0(VALU_DEP_4) | instskip(SKIP_2) | instid1(VALU_DEP_3)
	v_dual_add_f32 v3, v3, v234 :: v_dual_add_f32 v2, v2, v4
	v_dual_mul_f32 v4, v191, v127 :: v_dual_mul_f32 v241, v200, v137
	v_mul_f32_e32 v242, v202, v139
	v_dual_add_f32 v3, v3, v235 :: v_dual_add_f32 v2, v2, v6
	v_mul_f32_e32 v6, v193, v129
	s_delay_alu instid0(VALU_DEP_4) | instskip(SKIP_1) | instid1(VALU_DEP_4)
	v_fma_f32 v4, v190, v126, -v4
	v_dual_fmac_f32 v238, v195, v130 :: v_dual_fmac_f32 v241, v201, v136
	v_dual_add_f32 v2, v2, v5 :: v_dual_mul_f32 v5, v195, v131
	s_delay_alu instid0(VALU_DEP_4) | instskip(SKIP_1) | instid1(VALU_DEP_3)
	v_fma_f32 v6, v192, v128, -v6
	v_dual_mul_f32 v243, v204, v141 :: v_dual_mul_f32 v244, v206, v143
	v_add_f32_e32 v2, v2, v4
	s_delay_alu instid0(VALU_DEP_4) | instskip(NEXT) | instid1(VALU_DEP_3)
	v_fma_f32 v5, v194, v130, -v5
	v_dual_fmac_f32 v242, v203, v138 :: v_dual_fmac_f32 v243, v205, v140
	s_delay_alu instid0(VALU_DEP_4) | instskip(NEXT) | instid1(VALU_DEP_4)
	v_fmac_f32_e32 v244, v207, v142
	v_add_f32_e32 v2, v2, v6
	v_mul_f32_e32 v6, v199, v135
	s_delay_alu instid0(VALU_DEP_2) | instskip(SKIP_2) | instid1(VALU_DEP_4)
	v_add_f32_e32 v2, v2, v5
	v_mul_f32_e32 v5, v201, v137
	v_add_f32_e32 v3, v3, v236
	v_fma_f32 v6, v198, v134, -v6
	s_delay_alu instid0(VALU_DEP_3) | instskip(NEXT) | instid1(VALU_DEP_3)
	v_fma_f32 v5, v200, v136, -v5
	v_add_f32_e32 v3, v3, v237
	s_delay_alu instid0(VALU_DEP_1) | instskip(NEXT) | instid1(VALU_DEP_1)
	v_dual_mul_f32 v4, v197, v133 :: v_dual_add_f32 v3, v3, v238
	v_fma_f32 v4, v196, v132, -v4
	s_delay_alu instid0(VALU_DEP_2) | instskip(NEXT) | instid1(VALU_DEP_1)
	v_add_f32_e32 v3, v3, v239
	v_add_f32_e32 v3, v3, v240
	s_delay_alu instid0(VALU_DEP_3) | instskip(SKIP_1) | instid1(VALU_DEP_2)
	v_add_f32_e32 v2, v2, v4
	v_mul_f32_e32 v4, v203, v139
	v_dual_add_f32 v3, v3, v241 :: v_dual_add_f32 v2, v2, v6
	v_mul_f32_e32 v6, v205, v141
	s_delay_alu instid0(VALU_DEP_3) | instskip(NEXT) | instid1(VALU_DEP_3)
	v_fma_f32 v4, v202, v138, -v4
	v_dual_add_f32 v3, v3, v242 :: v_dual_add_f32 v2, v2, v5
	v_mul_f32_e32 v5, v207, v143
	s_delay_alu instid0(VALU_DEP_4) | instskip(NEXT) | instid1(VALU_DEP_3)
	v_fma_f32 v6, v204, v140, -v6
	v_add_f32_e32 v3, v3, v243
	s_delay_alu instid0(VALU_DEP_3) | instskip(NEXT) | instid1(VALU_DEP_2)
	v_fma_f32 v5, v206, v142, -v5
	v_add_f32_e32 v3, v3, v244
	s_delay_alu instid0(VALU_DEP_1) | instskip(SKIP_2) | instid1(VALU_DEP_2)
	v_dual_add_f32 v2, v2, v4 :: v_dual_add_f32 v3, v3, v245
	v_mul_f32_e32 v4, v213, v209
	s_wait_loadcnt 0x0
	v_dual_add_f32 v2, v2, v6 :: v_dual_sub_f32 v3, v211, v3
	s_delay_alu instid0(VALU_DEP_2) | instskip(NEXT) | instid1(VALU_DEP_2)
	v_fma_f32 v4, v212, v208, -v4
	v_add_f32_e32 v2, v2, v5
	s_delay_alu instid0(VALU_DEP_1) | instskip(NEXT) | instid1(VALU_DEP_1)
	v_add_f32_e32 v2, v2, v4
	v_sub_f32_e32 v2, v210, v2
	scratch_store_b64 off, v[2:3], off offset:32
	v_cmpx_lt_u32_e32 3, v0
	s_cbranch_execz .LBB37_235
; %bb.234:
	scratch_load_b64 v[3:4], off, off offset:24
	v_mov_b32_e32 v2, v1
	scratch_store_b64 off, v[1:2], off offset:24
	s_wait_loadcnt 0x0
	ds_store_b64 v23, v[3:4]
.LBB37_235:
	s_wait_alu 0xfffe
	s_or_b32 exec_lo, exec_lo, s0
	s_wait_storecnt_dscnt 0x0
	s_barrier_signal -1
	s_barrier_wait -1
	global_inv scope:SCOPE_SE
	s_clause 0x11
	scratch_load_b128 v[2:5], off, off offset:32
	scratch_load_b128 v[6:9], off, off offset:48
	;; [unrolled: 1-line block ×17, first 2 shown]
	scratch_load_b64 v[216:217], off, off offset:24
	ds_load_b128 v[148:151], v1 offset:336
	ds_load_b128 v[152:155], v1 offset:352
	;; [unrolled: 1-line block ×17, first 2 shown]
	s_mov_b32 s0, exec_lo
	s_wait_loadcnt_dscnt 0x1110
	v_dual_mul_f32 v1, v148, v3 :: v_dual_mul_f32 v22, v150, v5
	s_wait_loadcnt_dscnt 0x100f
	v_dual_mul_f32 v5, v151, v5 :: v_dual_mul_f32 v218, v152, v7
	v_mul_f32_e32 v219, v154, v9
	s_wait_loadcnt_dscnt 0xf0e
	v_dual_fmac_f32 v1, v149, v2 :: v_dual_mul_f32 v220, v156, v11
	s_wait_loadcnt_dscnt 0xe0d
	v_dual_mul_f32 v221, v158, v13 :: v_dual_mul_f32 v222, v160, v15
	s_wait_loadcnt_dscnt 0xd0c
	v_dual_mul_f32 v223, v162, v17 :: v_dual_mul_f32 v224, v164, v19
	v_mul_f32_e32 v225, v166, v21
	v_dual_mul_f32 v3, v149, v3 :: v_dual_fmac_f32 v22, v151, v4
	s_wait_loadcnt_dscnt 0xc0b
	v_dual_mul_f32 v226, v168, v25 :: v_dual_mul_f32 v227, v170, v27
	s_wait_loadcnt_dscnt 0x201
	v_mul_f32_e32 v246, v208, v141
	v_fma_f32 v3, v148, v2, -v3
	s_wait_loadcnt_dscnt 0x100
	v_mul_f32_e32 v249, v214, v147
	v_mul_f32_e32 v2, v153, v7
	v_fma_f32 v4, v150, v4, -v5
	v_dual_mul_f32 v5, v155, v9 :: v_dual_fmac_f32 v220, v157, v10
	v_dual_add_f32 v3, 0, v3 :: v_dual_fmac_f32 v218, v153, v6
	s_delay_alu instid0(VALU_DEP_4) | instskip(NEXT) | instid1(VALU_DEP_3)
	v_fma_f32 v2, v152, v6, -v2
	v_fma_f32 v5, v154, v8, -v5
	s_delay_alu instid0(VALU_DEP_3) | instskip(SKIP_2) | instid1(VALU_DEP_3)
	v_dual_fmac_f32 v222, v161, v14 :: v_dual_add_f32 v3, v3, v4
	v_dual_fmac_f32 v223, v163, v16 :: v_dual_mul_f32 v228, v172, v105
	v_dual_mul_f32 v229, v174, v107 :: v_dual_fmac_f32 v224, v165, v18
	v_add_f32_e32 v2, v3, v2
	v_mul_f32_e32 v3, v159, v13
	v_dual_mul_f32 v232, v180, v113 :: v_dual_mul_f32 v233, v182, v115
	v_mul_f32_e32 v4, v157, v11
	s_delay_alu instid0(VALU_DEP_4) | instskip(SKIP_4) | instid1(VALU_DEP_4)
	v_add_f32_e32 v2, v2, v5
	v_add_f32_e32 v1, 0, v1
	v_fma_f32 v3, v158, v12, -v3
	v_dual_mul_f32 v230, v176, v109 :: v_dual_mul_f32 v231, v178, v111
	v_fma_f32 v4, v156, v10, -v4
	v_add_f32_e32 v1, v1, v22
	v_dual_fmac_f32 v229, v175, v106 :: v_dual_mul_f32 v234, v184, v117
	v_mul_f32_e32 v235, v186, v119
	s_delay_alu instid0(VALU_DEP_3) | instskip(SKIP_3) | instid1(VALU_DEP_4)
	v_dual_add_f32 v2, v2, v4 :: v_dual_add_f32 v1, v1, v218
	v_mul_f32_e32 v4, v163, v17
	v_fmac_f32_e32 v219, v155, v8
	v_dual_fmac_f32 v227, v171, v26 :: v_dual_fmac_f32 v230, v177, v108
	v_add_f32_e32 v2, v2, v3
	s_delay_alu instid0(VALU_DEP_4) | instskip(SKIP_4) | instid1(VALU_DEP_4)
	v_fma_f32 v4, v162, v16, -v4
	v_mul_f32_e32 v5, v161, v15
	v_dual_add_f32 v1, v1, v219 :: v_dual_mul_f32 v238, v192, v125
	v_dual_mul_f32 v239, v194, v127 :: v_dual_mul_f32 v236, v188, v121
	v_mul_f32_e32 v237, v190, v123
	v_fma_f32 v5, v160, v14, -v5
	v_fmac_f32_e32 v221, v159, v12
	v_dual_fmac_f32 v226, v169, v24 :: v_dual_fmac_f32 v235, v187, v118
	v_dual_mul_f32 v240, v196, v129 :: v_dual_mul_f32 v241, v198, v131
	s_delay_alu instid0(VALU_DEP_4) | instskip(SKIP_3) | instid1(VALU_DEP_3)
	v_add_f32_e32 v2, v2, v5
	v_mul_f32_e32 v5, v167, v21
	v_dual_mul_f32 v244, v204, v137 :: v_dual_mul_f32 v245, v206, v139
	v_dual_mul_f32 v242, v200, v133 :: v_dual_mul_f32 v243, v202, v135
	v_fma_f32 v5, v166, v20, -v5
	v_dual_mul_f32 v3, v165, v19 :: v_dual_add_f32 v2, v2, v4
	v_mul_f32_e32 v4, v169, v25
	v_dual_fmac_f32 v228, v173, v104 :: v_dual_fmac_f32 v241, v199, v130
	s_delay_alu instid0(VALU_DEP_3) | instskip(SKIP_1) | instid1(VALU_DEP_4)
	v_fma_f32 v3, v164, v18, -v3
	v_add_f32_e32 v1, v1, v220
	v_fma_f32 v4, v168, v24, -v4
	v_dual_fmac_f32 v233, v183, v114 :: v_dual_fmac_f32 v236, v189, v120
	s_delay_alu instid0(VALU_DEP_4) | instskip(SKIP_3) | instid1(VALU_DEP_4)
	v_add_f32_e32 v2, v2, v3
	v_mul_f32_e32 v3, v171, v27
	v_dual_fmac_f32 v239, v195, v126 :: v_dual_fmac_f32 v242, v201, v132
	v_dual_mul_f32 v247, v210, v143 :: v_dual_mul_f32 v248, v212, v145
	v_add_f32_e32 v2, v2, v5
	v_add_f32_e32 v1, v1, v221
	v_fma_f32 v3, v170, v26, -v3
	s_delay_alu instid0(VALU_DEP_4) | instskip(NEXT) | instid1(VALU_DEP_3)
	v_dual_fmac_f32 v245, v207, v138 :: v_dual_fmac_f32 v248, v213, v144
	v_dual_add_f32 v2, v2, v4 :: v_dual_add_f32 v1, v1, v222
	v_mul_f32_e32 v4, v175, v107
	v_fmac_f32_e32 v225, v167, v20
	s_delay_alu instid0(VALU_DEP_3) | instskip(SKIP_1) | instid1(VALU_DEP_4)
	v_dual_fmac_f32 v247, v211, v142 :: v_dual_add_f32 v2, v2, v3
	v_mul_f32_e32 v3, v177, v109
	v_fma_f32 v4, v174, v106, -v4
	v_mul_f32_e32 v5, v173, v105
	v_dual_fmac_f32 v232, v181, v112 :: v_dual_fmac_f32 v249, v215, v146
	s_delay_alu instid0(VALU_DEP_4) | instskip(SKIP_1) | instid1(VALU_DEP_4)
	v_fma_f32 v3, v176, v108, -v3
	v_fmac_f32_e32 v234, v185, v116
	v_fma_f32 v5, v172, v104, -v5
	v_add_f32_e32 v1, v1, v223
	v_fmac_f32_e32 v238, v193, v124
	v_fmac_f32_e32 v240, v197, v128
	;; [unrolled: 1-line block ×3, first 2 shown]
	v_dual_add_f32 v2, v2, v5 :: v_dual_mul_f32 v5, v179, v111
	v_fmac_f32_e32 v246, v209, v140
	s_delay_alu instid0(VALU_DEP_2) | instskip(SKIP_3) | instid1(VALU_DEP_4)
	v_add_f32_e32 v2, v2, v4
	v_add_f32_e32 v1, v1, v224
	v_mul_f32_e32 v4, v181, v113
	v_fma_f32 v5, v178, v110, -v5
	v_dual_add_f32 v2, v2, v3 :: v_dual_fmac_f32 v231, v179, v110
	v_mul_f32_e32 v3, v183, v115
	s_delay_alu instid0(VALU_DEP_4) | instskip(NEXT) | instid1(VALU_DEP_3)
	v_fma_f32 v4, v180, v112, -v4
	v_add_f32_e32 v2, v2, v5
	v_add_f32_e32 v1, v1, v225
	s_delay_alu instid0(VALU_DEP_4) | instskip(NEXT) | instid1(VALU_DEP_3)
	v_fma_f32 v3, v182, v114, -v3
	v_dual_add_f32 v2, v2, v4 :: v_dual_mul_f32 v5, v185, v117
	s_delay_alu instid0(VALU_DEP_3) | instskip(NEXT) | instid1(VALU_DEP_2)
	v_dual_add_f32 v1, v1, v226 :: v_dual_mul_f32 v4, v187, v119
	v_add_f32_e32 v2, v2, v3
	s_delay_alu instid0(VALU_DEP_3) | instskip(NEXT) | instid1(VALU_DEP_3)
	v_fma_f32 v5, v184, v116, -v5
	v_add_f32_e32 v1, v1, v227
	v_mul_f32_e32 v3, v189, v121
	v_fma_f32 v4, v186, v118, -v4
	s_delay_alu instid0(VALU_DEP_4) | instskip(NEXT) | instid1(VALU_DEP_3)
	v_dual_add_f32 v2, v2, v5 :: v_dual_mul_f32 v5, v191, v123
	v_fma_f32 v3, v188, v120, -v3
	s_delay_alu instid0(VALU_DEP_2) | instskip(SKIP_3) | instid1(VALU_DEP_4)
	v_add_f32_e32 v2, v2, v4
	v_add_f32_e32 v1, v1, v228
	v_mul_f32_e32 v4, v193, v125
	v_fma_f32 v5, v190, v122, -v5
	v_dual_add_f32 v2, v2, v3 :: v_dual_fmac_f32 v237, v191, v122
	v_mul_f32_e32 v3, v195, v127
	s_delay_alu instid0(VALU_DEP_4) | instskip(NEXT) | instid1(VALU_DEP_3)
	v_fma_f32 v4, v192, v124, -v4
	v_add_f32_e32 v2, v2, v5
	v_add_f32_e32 v1, v1, v229
	s_delay_alu instid0(VALU_DEP_4) | instskip(NEXT) | instid1(VALU_DEP_3)
	v_fma_f32 v3, v194, v126, -v3
	v_dual_add_f32 v2, v2, v4 :: v_dual_mul_f32 v5, v197, v129
	s_delay_alu instid0(VALU_DEP_3) | instskip(NEXT) | instid1(VALU_DEP_2)
	v_dual_add_f32 v1, v1, v230 :: v_dual_mul_f32 v4, v199, v131
	v_add_f32_e32 v2, v2, v3
	s_delay_alu instid0(VALU_DEP_3) | instskip(NEXT) | instid1(VALU_DEP_3)
	v_fma_f32 v5, v196, v128, -v5
	v_add_f32_e32 v1, v1, v231
	v_mul_f32_e32 v3, v201, v133
	v_fma_f32 v4, v198, v130, -v4
	s_delay_alu instid0(VALU_DEP_4) | instskip(NEXT) | instid1(VALU_DEP_3)
	v_dual_add_f32 v2, v2, v5 :: v_dual_mul_f32 v5, v203, v135
	v_fma_f32 v3, v200, v132, -v3
	;; [unrolled: 25-line block ×3, first 2 shown]
	s_delay_alu instid0(VALU_DEP_2) | instskip(SKIP_1) | instid1(VALU_DEP_4)
	v_add_f32_e32 v2, v2, v4
	v_add_f32_e32 v1, v1, v236
	v_fma_f32 v4, v214, v146, -v5
	s_delay_alu instid0(VALU_DEP_2) | instskip(NEXT) | instid1(VALU_DEP_1)
	v_dual_add_f32 v2, v2, v3 :: v_dual_add_f32 v1, v1, v237
	v_dual_add_f32 v2, v2, v4 :: v_dual_add_f32 v1, v1, v238
	s_delay_alu instid0(VALU_DEP_1) | instskip(NEXT) | instid1(VALU_DEP_1)
	v_add_f32_e32 v1, v1, v239
	v_add_f32_e32 v1, v1, v240
	s_delay_alu instid0(VALU_DEP_1) | instskip(NEXT) | instid1(VALU_DEP_1)
	v_add_f32_e32 v1, v1, v241
	v_add_f32_e32 v1, v1, v242
	;; [unrolled: 3-line block ×5, first 2 shown]
	s_delay_alu instid0(VALU_DEP_1) | instskip(SKIP_1) | instid1(VALU_DEP_1)
	v_add_f32_e32 v3, v1, v249
	s_wait_loadcnt 0x0
	v_dual_sub_f32 v1, v216, v2 :: v_dual_sub_f32 v2, v217, v3
	scratch_store_b64 off, v[1:2], off offset:24
	v_cmpx_lt_u32_e32 2, v0
	s_cbranch_execz .LBB37_237
; %bb.236:
	scratch_load_b64 v[1:2], off, off offset:16
	v_mov_b32_e32 v3, 0
	s_delay_alu instid0(VALU_DEP_1)
	v_mov_b32_e32 v4, v3
	scratch_store_b64 off, v[3:4], off offset:16
	s_wait_loadcnt 0x0
	ds_store_b64 v23, v[1:2]
.LBB37_237:
	s_wait_alu 0xfffe
	s_or_b32 exec_lo, exec_lo, s0
	s_wait_storecnt_dscnt 0x0
	s_barrier_signal -1
	s_barrier_wait -1
	global_inv scope:SCOPE_SE
	s_clause 0x4
	scratch_load_b128 v[5:8], off, off offset:24
	scratch_load_b128 v[1:4], off, off offset:40
	;; [unrolled: 1-line block ×5, first 2 shown]
	v_mov_b32_e32 v21, 0
	ds_load_2addr_b64 v[24:27], v21 offset0:41 offset1:42
	ds_load_2addr_b64 v[104:107], v21 offset0:43 offset1:44
	;; [unrolled: 1-line block ×3, first 2 shown]
	scratch_load_b64 v[112:113], off, off offset:16
	s_mov_b32 s0, exec_lo
	s_wait_loadcnt_dscnt 0x502
	v_mul_f32_e32 v22, v25, v6
	v_dual_mul_f32 v114, v24, v6 :: v_dual_mul_f32 v115, v26, v8
	v_mul_f32_e32 v6, v27, v8
	s_delay_alu instid0(VALU_DEP_3) | instskip(NEXT) | instid1(VALU_DEP_3)
	v_fma_f32 v22, v24, v5, -v22
	v_dual_fmac_f32 v114, v25, v5 :: v_dual_fmac_f32 v115, v27, v7
	s_wait_loadcnt_dscnt 0x401
	v_mul_f32_e32 v25, v104, v2
	v_fma_f32 v24, v26, v7, -v6
	ds_load_2addr_b64 v[5:8], v21 offset0:47 offset1:48
	s_wait_loadcnt_dscnt 0x301
	v_dual_mul_f32 v26, v106, v4 :: v_dual_mul_f32 v27, v108, v10
	v_dual_mul_f32 v4, v107, v4 :: v_dual_fmac_f32 v25, v105, v1
	v_mul_f32_e32 v10, v109, v10
	s_delay_alu instid0(VALU_DEP_3)
	v_dual_mul_f32 v116, v110, v12 :: v_dual_fmac_f32 v27, v109, v9
	v_mul_f32_e32 v12, v111, v12
	v_mul_f32_e32 v2, v105, v2
	v_fmac_f32_e32 v26, v107, v3
	v_fma_f32 v105, v106, v3, -v4
	v_fma_f32 v106, v108, v9, -v10
	v_fmac_f32_e32 v116, v111, v11
	v_fma_f32 v107, v110, v11, -v12
	ds_load_2addr_b64 v[9:12], v21 offset0:49 offset1:50
	s_wait_loadcnt_dscnt 0x201
	v_mul_f32_e32 v109, v7, v16
	v_fma_f32 v104, v104, v1, -v2
	scratch_load_b128 v[1:4], off, off offset:104
	v_mul_f32_e32 v108, v5, v14
	v_mul_f32_e32 v14, v6, v14
	;; [unrolled: 1-line block ×3, first 2 shown]
	s_delay_alu instid0(VALU_DEP_3) | instskip(NEXT) | instid1(VALU_DEP_3)
	v_dual_fmac_f32 v109, v8, v15 :: v_dual_fmac_f32 v108, v6, v13
	v_fma_f32 v13, v5, v13, -v14
	s_delay_alu instid0(VALU_DEP_3)
	v_fma_f32 v14, v7, v15, -v16
	ds_load_2addr_b64 v[5:8], v21 offset0:51 offset1:52
	s_wait_loadcnt_dscnt 0x201
	v_mul_f32_e32 v15, v9, v18
	v_mul_f32_e32 v16, v10, v18
	;; [unrolled: 1-line block ×3, first 2 shown]
	s_delay_alu instid0(VALU_DEP_3) | instskip(NEXT) | instid1(VALU_DEP_3)
	v_dual_mul_f32 v20, v12, v20 :: v_dual_fmac_f32 v15, v10, v17
	v_fma_f32 v16, v9, v17, -v16
	s_delay_alu instid0(VALU_DEP_3) | instskip(NEXT) | instid1(VALU_DEP_3)
	v_fmac_f32_e32 v18, v12, v19
	v_fma_f32 v17, v11, v19, -v20
	scratch_load_b128 v[9:12], off, off offset:120
	s_wait_loadcnt_dscnt 0x100
	v_mul_f32_e32 v19, v5, v2
	v_mul_f32_e32 v2, v6, v2
	;; [unrolled: 1-line block ×3, first 2 shown]
	s_delay_alu instid0(VALU_DEP_3) | instskip(NEXT) | instid1(VALU_DEP_3)
	v_dual_mul_f32 v4, v8, v4 :: v_dual_fmac_f32 v19, v6, v1
	v_fma_f32 v110, v5, v1, -v2
	s_delay_alu instid0(VALU_DEP_3) | instskip(NEXT) | instid1(VALU_DEP_3)
	v_fmac_f32_e32 v20, v8, v3
	v_fma_f32 v111, v7, v3, -v4
	ds_load_2addr_b64 v[1:4], v21 offset0:53 offset1:54
	ds_load_2addr_b64 v[5:8], v21 offset0:55 offset1:56
	s_wait_loadcnt_dscnt 0x1
	v_mul_f32_e32 v117, v1, v10
	v_mul_f32_e32 v10, v2, v10
	s_delay_alu instid0(VALU_DEP_2) | instskip(NEXT) | instid1(VALU_DEP_2)
	v_dual_mul_f32 v118, v3, v12 :: v_dual_fmac_f32 v117, v2, v9
	v_fma_f32 v119, v1, v9, -v10
	v_mul_f32_e32 v1, v4, v12
	s_delay_alu instid0(VALU_DEP_3) | instskip(NEXT) | instid1(VALU_DEP_2)
	v_fmac_f32_e32 v118, v4, v11
	v_fma_f32 v120, v3, v11, -v1
	s_clause 0x1
	scratch_load_b128 v[1:4], off, off offset:136
	scratch_load_b128 v[9:12], off, off offset:152
	s_wait_loadcnt_dscnt 0x100
	v_mul_f32_e32 v121, v5, v2
	v_dual_mul_f32 v2, v6, v2 :: v_dual_mul_f32 v123, v7, v4
	s_delay_alu instid0(VALU_DEP_2) | instskip(NEXT) | instid1(VALU_DEP_2)
	v_fmac_f32_e32 v121, v6, v1
	v_fma_f32 v122, v5, v1, -v2
	v_mul_f32_e32 v1, v8, v4
	s_delay_alu instid0(VALU_DEP_4) | instskip(NEXT) | instid1(VALU_DEP_2)
	v_fmac_f32_e32 v123, v8, v3
	v_fma_f32 v124, v7, v3, -v1
	ds_load_2addr_b64 v[1:4], v21 offset0:57 offset1:58
	ds_load_2addr_b64 v[5:8], v21 offset0:59 offset1:60
	s_wait_loadcnt_dscnt 0x1
	v_mul_f32_e32 v125, v1, v10
	v_mul_f32_e32 v127, v3, v12
	s_delay_alu instid0(VALU_DEP_2) | instskip(NEXT) | instid1(VALU_DEP_2)
	v_fmac_f32_e32 v125, v2, v9
	v_dual_mul_f32 v2, v2, v10 :: v_dual_fmac_f32 v127, v4, v11
	s_delay_alu instid0(VALU_DEP_1) | instskip(SKIP_1) | instid1(VALU_DEP_1)
	v_fma_f32 v126, v1, v9, -v2
	v_mul_f32_e32 v1, v4, v12
	v_fma_f32 v128, v3, v11, -v1
	s_clause 0x1
	scratch_load_b128 v[1:4], off, off offset:168
	scratch_load_b128 v[9:12], off, off offset:184
	s_wait_loadcnt_dscnt 0x100
	v_mul_f32_e32 v129, v5, v2
	v_dual_mul_f32 v131, v7, v4 :: v_dual_mul_f32 v2, v6, v2
	s_delay_alu instid0(VALU_DEP_2) | instskip(NEXT) | instid1(VALU_DEP_2)
	v_fmac_f32_e32 v129, v6, v1
	v_fmac_f32_e32 v131, v8, v3
	s_delay_alu instid0(VALU_DEP_3) | instskip(SKIP_1) | instid1(VALU_DEP_1)
	v_fma_f32 v130, v5, v1, -v2
	v_mul_f32_e32 v1, v8, v4
	v_fma_f32 v132, v7, v3, -v1
	ds_load_2addr_b64 v[1:4], v21 offset0:61 offset1:62
	ds_load_2addr_b64 v[5:8], v21 offset0:63 offset1:64
	s_wait_loadcnt_dscnt 0x1
	v_mul_f32_e32 v133, v1, v10
	v_mul_f32_e32 v135, v3, v12
	s_delay_alu instid0(VALU_DEP_2) | instskip(NEXT) | instid1(VALU_DEP_2)
	v_fmac_f32_e32 v133, v2, v9
	v_dual_mul_f32 v2, v2, v10 :: v_dual_fmac_f32 v135, v4, v11
	s_delay_alu instid0(VALU_DEP_1) | instskip(SKIP_1) | instid1(VALU_DEP_1)
	v_fma_f32 v134, v1, v9, -v2
	v_mul_f32_e32 v1, v4, v12
	v_fma_f32 v136, v3, v11, -v1
	s_clause 0x1
	scratch_load_b128 v[1:4], off, off offset:200
	scratch_load_b128 v[9:12], off, off offset:216
	s_wait_loadcnt_dscnt 0x100
	v_mul_f32_e32 v137, v5, v2
	v_mul_f32_e32 v2, v6, v2
	s_delay_alu instid0(VALU_DEP_1) | instskip(SKIP_1) | instid1(VALU_DEP_1)
	v_fma_f32 v138, v5, v1, -v2
	v_add_f32_e32 v2, 0, v114
	v_add_f32_e32 v2, v2, v115
	s_delay_alu instid0(VALU_DEP_1) | instskip(NEXT) | instid1(VALU_DEP_1)
	v_add_f32_e32 v2, v2, v25
	v_add_f32_e32 v2, v2, v26
	s_delay_alu instid0(VALU_DEP_1) | instskip(SKIP_1) | instid1(VALU_DEP_2)
	v_add_f32_e32 v2, v2, v27
	v_fmac_f32_e32 v137, v6, v1
	v_add_f32_e32 v2, v2, v116
	s_delay_alu instid0(VALU_DEP_1) | instskip(NEXT) | instid1(VALU_DEP_1)
	v_add_f32_e32 v2, v2, v108
	v_dual_mul_f32 v139, v7, v4 :: v_dual_add_f32 v2, v2, v109
	s_delay_alu instid0(VALU_DEP_1) | instskip(NEXT) | instid1(VALU_DEP_1)
	v_dual_mul_f32 v1, v8, v4 :: v_dual_add_f32 v2, v2, v15
	v_fma_f32 v140, v7, v3, -v1
	v_add_f32_e32 v1, 0, v22
	s_delay_alu instid0(VALU_DEP_3) | instskip(NEXT) | instid1(VALU_DEP_2)
	v_add_f32_e32 v5, v2, v18
	v_add_f32_e32 v1, v1, v24
	s_delay_alu instid0(VALU_DEP_1) | instskip(NEXT) | instid1(VALU_DEP_1)
	v_add_f32_e32 v1, v1, v104
	v_add_f32_e32 v1, v1, v105
	scratch_load_b64 v[104:105], off, off offset:296
	v_add_f32_e32 v1, v1, v106
	s_delay_alu instid0(VALU_DEP_1) | instskip(NEXT) | instid1(VALU_DEP_1)
	v_add_f32_e32 v1, v1, v107
	v_add_f32_e32 v1, v1, v13
	;; [unrolled: 1-line block ×3, first 2 shown]
	s_delay_alu instid0(VALU_DEP_2) | instskip(NEXT) | instid1(VALU_DEP_2)
	v_add_f32_e32 v1, v1, v14
	v_add_f32_e32 v13, v13, v20
	s_delay_alu instid0(VALU_DEP_2) | instskip(NEXT) | instid1(VALU_DEP_2)
	v_add_f32_e32 v1, v1, v16
	v_add_f32_e32 v13, v13, v117
	v_fmac_f32_e32 v139, v8, v3
	s_delay_alu instid0(VALU_DEP_3) | instskip(NEXT) | instid1(VALU_DEP_3)
	v_add_f32_e32 v1, v1, v17
	v_add_f32_e32 v18, v13, v118
	s_delay_alu instid0(VALU_DEP_2)
	v_add_f32_e32 v6, v1, v110
	scratch_load_b128 v[1:4], off, off offset:232
	v_add_f32_e32 v18, v18, v121
	v_add_f32_e32 v14, v6, v111
	ds_load_2addr_b64 v[5:8], v21 offset0:65 offset1:66
	v_add_f32_e32 v18, v18, v123
	v_add_f32_e32 v14, v14, v119
	s_delay_alu instid0(VALU_DEP_2) | instskip(NEXT) | instid1(VALU_DEP_2)
	v_add_f32_e32 v24, v18, v125
	v_add_f32_e32 v17, v14, v120
	ds_load_2addr_b64 v[13:16], v21 offset0:67 offset1:68
	v_add_f32_e32 v24, v24, v127
	s_delay_alu instid0(VALU_DEP_1)
	v_add_f32_e32 v24, v24, v129
	s_wait_loadcnt_dscnt 0x201
	v_mul_f32_e32 v22, v5, v10
	v_mul_f32_e32 v10, v6, v10
	;; [unrolled: 1-line block ×3, first 2 shown]
	v_dual_mul_f32 v12, v8, v12 :: v_dual_add_f32 v17, v17, v122
	s_delay_alu instid0(VALU_DEP_4) | instskip(NEXT) | instid1(VALU_DEP_4)
	v_fmac_f32_e32 v22, v6, v9
	v_fma_f32 v109, v5, v9, -v10
	s_delay_alu instid0(VALU_DEP_4) | instskip(NEXT) | instid1(VALU_DEP_4)
	v_fmac_f32_e32 v108, v8, v11
	v_fma_f32 v110, v7, v11, -v12
	s_clause 0x1
	scratch_load_b128 v[5:8], off, off offset:248
	scratch_load_b128 v[9:12], off, off offset:264
	v_dual_add_f32 v17, v17, v124 :: v_dual_add_f32 v24, v24, v131
	s_wait_loadcnt_dscnt 0x200
	s_delay_alu instid0(VALU_DEP_1) | instskip(NEXT) | instid1(VALU_DEP_1)
	v_dual_add_f32 v17, v17, v126 :: v_dual_mul_f32 v114, v15, v4
	v_add_f32_e32 v25, v17, v128
	scratch_load_b128 v[17:20], off, off offset:280
	v_mul_f32_e32 v111, v13, v2
	v_mul_f32_e32 v2, v14, v2
	v_dual_fmac_f32 v114, v16, v3 :: v_dual_add_f32 v25, v25, v130
	v_mul_f32_e32 v4, v16, v4
	s_delay_alu instid0(VALU_DEP_3) | instskip(SKIP_1) | instid1(VALU_DEP_4)
	v_fma_f32 v115, v13, v1, -v2
	v_add_f32_e32 v13, v24, v133
	v_add_f32_e32 v25, v25, v132
	s_delay_alu instid0(VALU_DEP_4) | instskip(NEXT) | instid1(VALU_DEP_3)
	v_fma_f32 v116, v15, v3, -v4
	v_add_f32_e32 v24, v13, v135
	s_delay_alu instid0(VALU_DEP_1) | instskip(NEXT) | instid1(VALU_DEP_1)
	v_add_f32_e32 v107, v24, v137
	v_add_f32_e32 v118, v107, v139
	s_delay_alu instid0(VALU_DEP_1) | instskip(NEXT) | instid1(VALU_DEP_1)
	v_add_f32_e32 v22, v118, v22
	v_dual_add_f32 v25, v25, v134 :: v_dual_add_f32 v22, v22, v108
	s_delay_alu instid0(VALU_DEP_1)
	v_dual_fmac_f32 v111, v14, v1 :: v_dual_add_f32 v14, v25, v136
	ds_load_2addr_b64 v[1:4], v21 offset0:69 offset1:70
	ds_load_2addr_b64 v[24:27], v21 offset0:73 offset1:74
	v_add_f32_e32 v22, v22, v111
	v_add_f32_e32 v106, v14, v138
	ds_load_2addr_b64 v[13:16], v21 offset0:71 offset1:72
	v_add_f32_e32 v22, v22, v114
	v_add_f32_e32 v117, v106, v140
	ds_load_b64 v[106:107], v21 offset:600
	s_wait_loadcnt_dscnt 0x203
	v_dual_add_f32 v109, v117, v109 :: v_dual_mul_f32 v108, v3, v8
	s_delay_alu instid0(VALU_DEP_1)
	v_add_f32_e32 v109, v109, v110
	v_dual_mul_f32 v117, v1, v6 :: v_dual_mul_f32 v8, v4, v8
	v_mul_f32_e32 v6, v2, v6
	s_wait_loadcnt_dscnt 0x101
	v_dual_mul_f32 v110, v13, v10 :: v_dual_mul_f32 v111, v15, v12
	v_add_f32_e32 v109, v109, v115
	v_dual_fmac_f32 v117, v2, v5 :: v_dual_fmac_f32 v108, v4, v7
	v_fma_f32 v1, v1, v5, -v6
	v_fma_f32 v2, v3, v7, -v8
	s_delay_alu instid0(VALU_DEP_3) | instskip(SKIP_2) | instid1(VALU_DEP_3)
	v_dual_add_f32 v109, v109, v116 :: v_dual_add_f32 v4, v22, v117
	v_dual_mul_f32 v5, v16, v12 :: v_dual_fmac_f32 v110, v14, v9
	v_mul_f32_e32 v3, v14, v10
	v_add_f32_e32 v1, v109, v1
	s_wait_dscnt 0x0
	v_dual_fmac_f32 v111, v16, v11 :: v_dual_mul_f32 v114, v106, v105
	v_fma_f32 v5, v15, v11, -v5
	s_delay_alu instid0(VALU_DEP_3) | instskip(SKIP_1) | instid1(VALU_DEP_4)
	v_dual_add_f32 v1, v1, v2 :: v_dual_add_f32 v2, v4, v108
	v_fma_f32 v3, v13, v9, -v3
	v_fmac_f32_e32 v114, v107, v104
	s_delay_alu instid0(VALU_DEP_2) | instskip(SKIP_1) | instid1(VALU_DEP_1)
	v_dual_add_f32 v2, v2, v110 :: v_dual_add_f32 v1, v1, v3
	s_wait_loadcnt 0x0
	v_dual_add_f32 v2, v2, v111 :: v_dual_mul_f32 v3, v27, v20
	v_mul_f32_e32 v115, v24, v18
	v_mul_f32_e32 v4, v25, v18
	;; [unrolled: 1-line block ×3, first 2 shown]
	s_delay_alu instid0(VALU_DEP_4) | instskip(NEXT) | instid1(VALU_DEP_4)
	v_fma_f32 v3, v26, v19, -v3
	v_fmac_f32_e32 v115, v25, v17
	s_delay_alu instid0(VALU_DEP_4) | instskip(NEXT) | instid1(VALU_DEP_4)
	v_fma_f32 v4, v24, v17, -v4
	v_dual_fmac_f32 v116, v27, v19 :: v_dual_add_f32 v1, v1, v5
	s_delay_alu instid0(VALU_DEP_3) | instskip(NEXT) | instid1(VALU_DEP_1)
	v_dual_add_f32 v2, v2, v115 :: v_dual_mul_f32 v5, v107, v105
	v_add_f32_e32 v2, v2, v116
	s_delay_alu instid0(VALU_DEP_3) | instskip(NEXT) | instid1(VALU_DEP_3)
	v_add_f32_e32 v1, v1, v4
	v_fma_f32 v4, v106, v104, -v5
	s_delay_alu instid0(VALU_DEP_2) | instskip(NEXT) | instid1(VALU_DEP_1)
	v_dual_add_f32 v2, v2, v114 :: v_dual_add_f32 v1, v1, v3
	v_sub_f32_e32 v2, v113, v2
	s_delay_alu instid0(VALU_DEP_2) | instskip(NEXT) | instid1(VALU_DEP_1)
	v_add_f32_e32 v1, v1, v4
	v_sub_f32_e32 v1, v112, v1
	scratch_store_b64 off, v[1:2], off offset:16
	v_cmpx_lt_u32_e32 1, v0
	s_cbranch_execz .LBB37_239
; %bb.238:
	scratch_load_b64 v[1:2], off, off offset:8
	v_mov_b32_e32 v22, v21
	scratch_store_b64 off, v[21:22], off offset:8
	s_wait_loadcnt 0x0
	ds_store_b64 v23, v[1:2]
.LBB37_239:
	s_wait_alu 0xfffe
	s_or_b32 exec_lo, exec_lo, s0
	s_wait_storecnt_dscnt 0x0
	s_barrier_signal -1
	s_barrier_wait -1
	global_inv scope:SCOPE_SE
	s_clause 0x4
	scratch_load_b128 v[5:8], off, off offset:16
	scratch_load_b128 v[1:4], off, off offset:32
	;; [unrolled: 1-line block ×5, first 2 shown]
	ds_load_b128 v[24:27], v21 offset:320
	ds_load_b128 v[104:107], v21 offset:336
	;; [unrolled: 1-line block ×3, first 2 shown]
	scratch_load_b64 v[112:113], off, off offset:8
	s_mov_b32 s0, exec_lo
	s_wait_loadcnt_dscnt 0x502
	v_dual_mul_f32 v22, v25, v6 :: v_dual_mul_f32 v115, v26, v8
	v_mul_f32_e32 v114, v24, v6
	v_mul_f32_e32 v6, v27, v8
	s_wait_loadcnt_dscnt 0x300
	v_mul_f32_e32 v116, v110, v12
	v_fma_f32 v22, v24, v5, -v22
	v_dual_fmac_f32 v115, v27, v7 :: v_dual_fmac_f32 v114, v25, v5
	v_mul_f32_e32 v27, v108, v10
	v_mul_f32_e32 v25, v104, v2
	v_fma_f32 v24, v26, v7, -v6
	ds_load_b128 v[5:8], v21 offset:368
	v_mul_f32_e32 v26, v106, v4
	v_dual_mul_f32 v4, v107, v4 :: v_dual_fmac_f32 v27, v109, v9
	v_mul_f32_e32 v10, v109, v10
	v_mul_f32_e32 v12, v111, v12
	;; [unrolled: 1-line block ×3, first 2 shown]
	v_dual_fmac_f32 v25, v105, v1 :: v_dual_fmac_f32 v26, v107, v3
	v_fma_f32 v105, v106, v3, -v4
	v_fma_f32 v106, v108, v9, -v10
	v_fmac_f32_e32 v116, v111, v11
	v_fma_f32 v107, v110, v11, -v12
	ds_load_b128 v[9:12], v21 offset:384
	s_wait_loadcnt_dscnt 0x201
	v_mul_f32_e32 v109, v7, v16
	v_fma_f32 v104, v104, v1, -v2
	scratch_load_b128 v[1:4], off, off offset:96
	v_mul_f32_e32 v108, v5, v14
	v_mul_f32_e32 v14, v6, v14
	;; [unrolled: 1-line block ×3, first 2 shown]
	s_delay_alu instid0(VALU_DEP_3) | instskip(NEXT) | instid1(VALU_DEP_3)
	v_dual_fmac_f32 v109, v8, v15 :: v_dual_fmac_f32 v108, v6, v13
	v_fma_f32 v13, v5, v13, -v14
	s_delay_alu instid0(VALU_DEP_3)
	v_fma_f32 v14, v7, v15, -v16
	ds_load_b128 v[5:8], v21 offset:400
	s_wait_loadcnt_dscnt 0x201
	v_mul_f32_e32 v15, v9, v18
	v_mul_f32_e32 v16, v10, v18
	;; [unrolled: 1-line block ×3, first 2 shown]
	s_delay_alu instid0(VALU_DEP_3) | instskip(NEXT) | instid1(VALU_DEP_3)
	v_dual_mul_f32 v20, v12, v20 :: v_dual_fmac_f32 v15, v10, v17
	v_fma_f32 v16, v9, v17, -v16
	s_delay_alu instid0(VALU_DEP_3) | instskip(NEXT) | instid1(VALU_DEP_3)
	v_fmac_f32_e32 v18, v12, v19
	v_fma_f32 v17, v11, v19, -v20
	scratch_load_b128 v[9:12], off, off offset:112
	s_wait_loadcnt_dscnt 0x100
	v_mul_f32_e32 v19, v5, v2
	v_mul_f32_e32 v2, v6, v2
	;; [unrolled: 1-line block ×3, first 2 shown]
	s_delay_alu instid0(VALU_DEP_3) | instskip(NEXT) | instid1(VALU_DEP_3)
	v_dual_mul_f32 v4, v8, v4 :: v_dual_fmac_f32 v19, v6, v1
	v_fma_f32 v110, v5, v1, -v2
	s_delay_alu instid0(VALU_DEP_3) | instskip(NEXT) | instid1(VALU_DEP_3)
	v_fmac_f32_e32 v20, v8, v3
	v_fma_f32 v111, v7, v3, -v4
	ds_load_b128 v[1:4], v21 offset:416
	ds_load_b128 v[5:8], v21 offset:432
	s_wait_loadcnt_dscnt 0x1
	v_mul_f32_e32 v117, v1, v10
	v_mul_f32_e32 v10, v2, v10
	s_delay_alu instid0(VALU_DEP_2) | instskip(NEXT) | instid1(VALU_DEP_2)
	v_dual_mul_f32 v118, v3, v12 :: v_dual_fmac_f32 v117, v2, v9
	v_fma_f32 v119, v1, v9, -v10
	v_mul_f32_e32 v1, v4, v12
	s_delay_alu instid0(VALU_DEP_3) | instskip(NEXT) | instid1(VALU_DEP_2)
	v_fmac_f32_e32 v118, v4, v11
	v_fma_f32 v120, v3, v11, -v1
	s_clause 0x1
	scratch_load_b128 v[1:4], off, off offset:128
	scratch_load_b128 v[9:12], off, off offset:144
	s_wait_loadcnt_dscnt 0x100
	v_mul_f32_e32 v121, v5, v2
	v_dual_mul_f32 v2, v6, v2 :: v_dual_mul_f32 v123, v7, v4
	s_delay_alu instid0(VALU_DEP_2) | instskip(NEXT) | instid1(VALU_DEP_2)
	v_fmac_f32_e32 v121, v6, v1
	v_fma_f32 v122, v5, v1, -v2
	v_mul_f32_e32 v1, v8, v4
	s_delay_alu instid0(VALU_DEP_4) | instskip(NEXT) | instid1(VALU_DEP_2)
	v_fmac_f32_e32 v123, v8, v3
	v_fma_f32 v124, v7, v3, -v1
	ds_load_b128 v[1:4], v21 offset:448
	ds_load_b128 v[5:8], v21 offset:464
	s_wait_loadcnt_dscnt 0x1
	v_mul_f32_e32 v125, v1, v10
	v_mul_f32_e32 v127, v3, v12
	s_delay_alu instid0(VALU_DEP_2) | instskip(NEXT) | instid1(VALU_DEP_2)
	v_fmac_f32_e32 v125, v2, v9
	v_dual_mul_f32 v2, v2, v10 :: v_dual_fmac_f32 v127, v4, v11
	s_delay_alu instid0(VALU_DEP_1) | instskip(SKIP_1) | instid1(VALU_DEP_1)
	v_fma_f32 v126, v1, v9, -v2
	v_mul_f32_e32 v1, v4, v12
	v_fma_f32 v128, v3, v11, -v1
	s_clause 0x1
	scratch_load_b128 v[1:4], off, off offset:160
	scratch_load_b128 v[9:12], off, off offset:176
	s_wait_loadcnt_dscnt 0x100
	v_mul_f32_e32 v129, v5, v2
	v_dual_mul_f32 v2, v6, v2 :: v_dual_mul_f32 v131, v7, v4
	s_delay_alu instid0(VALU_DEP_2) | instskip(NEXT) | instid1(VALU_DEP_2)
	v_fmac_f32_e32 v129, v6, v1
	v_fma_f32 v130, v5, v1, -v2
	v_mul_f32_e32 v1, v8, v4
	s_delay_alu instid0(VALU_DEP_4) | instskip(NEXT) | instid1(VALU_DEP_2)
	v_fmac_f32_e32 v131, v8, v3
	v_fma_f32 v132, v7, v3, -v1
	ds_load_b128 v[1:4], v21 offset:480
	ds_load_b128 v[5:8], v21 offset:496
	s_wait_loadcnt_dscnt 0x1
	v_mul_f32_e32 v133, v1, v10
	v_mul_f32_e32 v135, v3, v12
	s_delay_alu instid0(VALU_DEP_2) | instskip(NEXT) | instid1(VALU_DEP_2)
	v_fmac_f32_e32 v133, v2, v9
	v_dual_mul_f32 v2, v2, v10 :: v_dual_fmac_f32 v135, v4, v11
	s_delay_alu instid0(VALU_DEP_1) | instskip(SKIP_1) | instid1(VALU_DEP_1)
	v_fma_f32 v134, v1, v9, -v2
	v_mul_f32_e32 v1, v4, v12
	;; [unrolled: 25-line block ×3, first 2 shown]
	v_fma_f32 v144, v3, v11, -v1
	s_clause 0x1
	scratch_load_b128 v[1:4], off, off offset:224
	scratch_load_b128 v[9:12], off, off offset:240
	s_wait_loadcnt_dscnt 0x100
	v_mul_f32_e32 v145, v5, v2
	v_mul_f32_e32 v2, v6, v2
	s_delay_alu instid0(VALU_DEP_1) | instskip(SKIP_1) | instid1(VALU_DEP_1)
	v_fma_f32 v146, v5, v1, -v2
	v_add_f32_e32 v2, 0, v114
	v_add_f32_e32 v2, v2, v115
	s_delay_alu instid0(VALU_DEP_1) | instskip(NEXT) | instid1(VALU_DEP_1)
	v_add_f32_e32 v2, v2, v25
	v_add_f32_e32 v2, v2, v26
	s_delay_alu instid0(VALU_DEP_1) | instskip(NEXT) | instid1(VALU_DEP_1)
	;; [unrolled: 3-line block ×4, first 2 shown]
	v_dual_add_f32 v2, v2, v15 :: v_dual_mul_f32 v147, v7, v4
	v_add_f32_e32 v2, v2, v18
	s_delay_alu instid0(VALU_DEP_1) | instskip(SKIP_2) | instid1(VALU_DEP_3)
	v_add_f32_e32 v2, v2, v19
	v_fmac_f32_e32 v145, v6, v1
	v_mul_f32_e32 v1, v8, v4
	v_dual_fmac_f32 v147, v8, v3 :: v_dual_add_f32 v2, v2, v20
	s_delay_alu instid0(VALU_DEP_2) | instskip(SKIP_1) | instid1(VALU_DEP_3)
	v_fma_f32 v148, v7, v3, -v1
	v_add_f32_e32 v1, 0, v22
	v_add_f32_e32 v5, v2, v117
	s_delay_alu instid0(VALU_DEP_2) | instskip(NEXT) | instid1(VALU_DEP_2)
	v_add_f32_e32 v1, v1, v24
	v_add_f32_e32 v5, v5, v118
	s_delay_alu instid0(VALU_DEP_2) | instskip(NEXT) | instid1(VALU_DEP_2)
	v_add_f32_e32 v1, v1, v104
	v_add_f32_e32 v5, v5, v121
	s_delay_alu instid0(VALU_DEP_2) | instskip(NEXT) | instid1(VALU_DEP_1)
	v_add_f32_e32 v1, v1, v105
	v_add_f32_e32 v1, v1, v106
	s_delay_alu instid0(VALU_DEP_1) | instskip(NEXT) | instid1(VALU_DEP_1)
	v_add_f32_e32 v1, v1, v107
	v_add_f32_e32 v1, v1, v13
	s_delay_alu instid0(VALU_DEP_1) | instskip(SKIP_1) | instid1(VALU_DEP_1)
	v_add_f32_e32 v1, v1, v14
	v_add_f32_e32 v14, v5, v123
	;; [unrolled: 1-line block ×3, first 2 shown]
	s_delay_alu instid0(VALU_DEP_1) | instskip(NEXT) | instid1(VALU_DEP_1)
	v_dual_add_f32 v14, v14, v127 :: v_dual_add_f32 v1, v1, v16
	v_add_f32_e32 v1, v1, v17
	s_delay_alu instid0(VALU_DEP_2) | instskip(NEXT) | instid1(VALU_DEP_2)
	v_add_f32_e32 v17, v14, v129
	v_add_f32_e32 v1, v1, v110
	s_delay_alu instid0(VALU_DEP_2) | instskip(NEXT) | instid1(VALU_DEP_2)
	v_add_f32_e32 v17, v17, v131
	;; [unrolled: 3-line block ×4, first 2 shown]
	v_add_f32_e32 v6, v1, v120
	ds_load_b128 v[1:4], v21 offset:544
	v_dual_add_f32 v25, v17, v137 :: v_dual_add_f32 v6, v6, v122
	s_delay_alu instid0(VALU_DEP_1)
	v_dual_add_f32 v108, v25, v139 :: v_dual_add_f32 v13, v6, v124
	ds_load_b128 v[5:8], v21 offset:560
	s_wait_loadcnt_dscnt 0x1
	v_mul_f32_e32 v22, v1, v10
	v_mul_f32_e32 v104, v3, v12
	;; [unrolled: 1-line block ×4, first 2 shown]
	s_delay_alu instid0(VALU_DEP_4) | instskip(NEXT) | instid1(VALU_DEP_4)
	v_fmac_f32_e32 v22, v2, v9
	v_fmac_f32_e32 v104, v4, v11
	s_delay_alu instid0(VALU_DEP_4) | instskip(NEXT) | instid1(VALU_DEP_4)
	v_fma_f32 v105, v1, v9, -v10
	v_fma_f32 v106, v3, v11, -v12
	s_clause 0x1
	scratch_load_b128 v[1:4], off, off offset:256
	scratch_load_b128 v[9:12], off, off offset:272
	v_add_f32_e32 v13, v13, v126
	s_delay_alu instid0(VALU_DEP_1) | instskip(NEXT) | instid1(VALU_DEP_1)
	v_add_f32_e32 v13, v13, v128
	v_add_f32_e32 v13, v13, v130
	s_delay_alu instid0(VALU_DEP_1) | instskip(SKIP_2) | instid1(VALU_DEP_1)
	v_add_f32_e32 v18, v13, v132
	scratch_load_b128 v[13:16], off, off offset:288
	v_add_f32_e32 v18, v18, v134
	v_add_f32_e32 v18, v18, v136
	s_delay_alu instid0(VALU_DEP_1)
	v_add_f32_e32 v24, v18, v138
	ds_load_b128 v[17:20], v21 offset:576
	v_add_f32_e32 v107, v24, v140
	ds_load_b128 v[24:27], v21 offset:592
	s_wait_loadcnt_dscnt 0x101
	v_dual_mul_f32 v109, v7, v4 :: v_dual_mul_f32 v110, v17, v10
	v_add_f32_e32 v21, v107, v142
	v_dual_add_f32 v107, v108, v141 :: v_dual_mul_f32 v108, v5, v2
	v_mul_f32_e32 v2, v6, v2
	v_mul_f32_e32 v4, v8, v4
	s_delay_alu instid0(VALU_DEP_4) | instskip(NEXT) | instid1(VALU_DEP_4)
	v_add_f32_e32 v21, v21, v144
	v_dual_fmac_f32 v109, v8, v3 :: v_dual_fmac_f32 v108, v6, v1
	s_delay_alu instid0(VALU_DEP_4) | instskip(SKIP_1) | instid1(VALU_DEP_4)
	v_fma_f32 v2, v5, v1, -v2
	v_mul_f32_e32 v6, v18, v10
	v_add_f32_e32 v21, v21, v146
	v_fma_f32 v3, v7, v3, -v4
	v_mul_f32_e32 v111, v19, v12
	v_mul_f32_e32 v4, v20, v12
	s_delay_alu instid0(VALU_DEP_4)
	v_dual_fmac_f32 v110, v18, v9 :: v_dual_add_f32 v21, v21, v148
	s_wait_loadcnt_dscnt 0x0
	v_dual_mul_f32 v114, v24, v14 :: v_dual_add_f32 v107, v107, v143
	v_fmac_f32_e32 v111, v20, v11
	v_fma_f32 v4, v19, v11, -v4
	v_add_f32_e32 v21, v21, v105
	s_delay_alu instid0(VALU_DEP_4) | instskip(SKIP_2) | instid1(VALU_DEP_4)
	v_fmac_f32_e32 v114, v25, v13
	v_add_f32_e32 v107, v107, v145
	v_mul_f32_e32 v105, v26, v16
	v_add_f32_e32 v1, v21, v106
	s_delay_alu instid0(VALU_DEP_3) | instskip(NEXT) | instid1(VALU_DEP_3)
	v_add_f32_e32 v107, v107, v147
	v_fmac_f32_e32 v105, v27, v15
	s_delay_alu instid0(VALU_DEP_3) | instskip(NEXT) | instid1(VALU_DEP_1)
	v_add_f32_e32 v1, v1, v2
	v_dual_add_f32 v22, v107, v22 :: v_dual_add_f32 v1, v1, v3
	v_mul_f32_e32 v3, v25, v14
	s_delay_alu instid0(VALU_DEP_2) | instskip(NEXT) | instid1(VALU_DEP_2)
	v_add_f32_e32 v5, v22, v104
	v_fma_f32 v3, v24, v13, -v3
	s_delay_alu instid0(VALU_DEP_2) | instskip(SKIP_1) | instid1(VALU_DEP_2)
	v_add_f32_e32 v2, v5, v108
	v_fma_f32 v5, v17, v9, -v6
	v_add_f32_e32 v2, v2, v109
	s_delay_alu instid0(VALU_DEP_2) | instskip(NEXT) | instid1(VALU_DEP_2)
	v_add_f32_e32 v1, v1, v5
	v_dual_mul_f32 v5, v27, v16 :: v_dual_add_f32 v2, v2, v110
	s_delay_alu instid0(VALU_DEP_2) | instskip(NEXT) | instid1(VALU_DEP_2)
	v_add_f32_e32 v1, v1, v4
	v_fma_f32 v4, v26, v15, -v5
	s_delay_alu instid0(VALU_DEP_3) | instskip(NEXT) | instid1(VALU_DEP_1)
	v_add_f32_e32 v2, v2, v111
	v_dual_add_f32 v1, v1, v3 :: v_dual_add_f32 v2, v2, v114
	s_delay_alu instid0(VALU_DEP_1) | instskip(NEXT) | instid1(VALU_DEP_1)
	v_dual_add_f32 v1, v1, v4 :: v_dual_add_f32 v2, v2, v105
	v_dual_sub_f32 v1, v112, v1 :: v_dual_sub_f32 v2, v113, v2
	scratch_store_b64 off, v[1:2], off offset:8
	v_cmpx_ne_u32_e32 0, v0
	s_cbranch_execz .LBB37_241
; %bb.240:
	scratch_load_b64 v[0:1], off, off
	v_mov_b32_e32 v2, 0
	s_delay_alu instid0(VALU_DEP_1)
	v_mov_b32_e32 v3, v2
	scratch_store_b64 off, v[2:3], off
	s_wait_loadcnt 0x0
	ds_store_b64 v23, v[0:1]
.LBB37_241:
	s_wait_alu 0xfffe
	s_or_b32 exec_lo, exec_lo, s0
	s_wait_storecnt_dscnt 0x0
	s_barrier_signal -1
	s_barrier_wait -1
	global_inv scope:SCOPE_SE
	s_clause 0x6
	scratch_load_b128 v[0:3], off, off offset:8
	scratch_load_b128 v[4:7], off, off offset:24
	;; [unrolled: 1-line block ×7, first 2 shown]
	v_mov_b32_e32 v104, 0
	scratch_load_b64 v[113:114], off, off
	s_and_b32 vcc_lo, exec_lo, s18
	ds_load_2addr_b64 v[105:108], v104 offset0:39 offset1:40
	ds_load_2addr_b64 v[109:112], v104 offset0:41 offset1:42
	s_wait_loadcnt_dscnt 0x701
	v_mul_f32_e32 v115, v106, v1
	v_dual_mul_f32 v116, v105, v1 :: v_dual_mul_f32 v117, v107, v3
	v_mul_f32_e32 v1, v108, v3
	s_delay_alu instid0(VALU_DEP_3) | instskip(NEXT) | instid1(VALU_DEP_3)
	v_fma_f32 v105, v105, v0, -v115
	v_dual_fmac_f32 v116, v106, v0 :: v_dual_fmac_f32 v117, v108, v2
	s_wait_loadcnt_dscnt 0x600
	v_mul_f32_e32 v108, v111, v7
	v_fma_f32 v106, v107, v2, -v1
	ds_load_2addr_b64 v[0:3], v104 offset0:43 offset1:44
	v_mul_f32_e32 v107, v109, v5
	v_mul_f32_e32 v5, v110, v5
	;; [unrolled: 1-line block ×3, first 2 shown]
	s_delay_alu instid0(VALU_DEP_3) | instskip(NEXT) | instid1(VALU_DEP_3)
	v_dual_fmac_f32 v108, v112, v6 :: v_dual_fmac_f32 v107, v110, v4
	v_fma_f32 v109, v109, v4, -v5
	s_delay_alu instid0(VALU_DEP_3)
	v_fma_f32 v110, v111, v6, -v7
	ds_load_2addr_b64 v[4:7], v104 offset0:45 offset1:46
	s_wait_loadcnt_dscnt 0x501
	v_dual_mul_f32 v111, v0, v9 :: v_dual_mul_f32 v112, v2, v11
	v_mul_f32_e32 v9, v1, v9
	v_mul_f32_e32 v11, v3, v11
	s_delay_alu instid0(VALU_DEP_3) | instskip(NEXT) | instid1(VALU_DEP_3)
	v_dual_fmac_f32 v111, v1, v8 :: v_dual_fmac_f32 v112, v3, v10
	v_fma_f32 v115, v0, v8, -v9
	s_delay_alu instid0(VALU_DEP_3)
	v_fma_f32 v118, v2, v10, -v11
	ds_load_2addr_b64 v[0:3], v104 offset0:47 offset1:48
	s_wait_loadcnt_dscnt 0x401
	v_mul_f32_e32 v119, v4, v13
	v_dual_mul_f32 v8, v5, v13 :: v_dual_mul_f32 v13, v6, v15
	v_mul_f32_e32 v9, v7, v15
	s_delay_alu instid0(VALU_DEP_3) | instskip(NEXT) | instid1(VALU_DEP_3)
	v_fmac_f32_e32 v119, v5, v12
	v_fma_f32 v12, v4, v12, -v8
	s_delay_alu instid0(VALU_DEP_4) | instskip(NEXT) | instid1(VALU_DEP_4)
	v_fmac_f32_e32 v13, v7, v14
	v_fma_f32 v14, v6, v14, -v9
	ds_load_2addr_b64 v[4:7], v104 offset0:49 offset1:50
	s_wait_loadcnt_dscnt 0x301
	v_mul_f32_e32 v15, v0, v17
	v_dual_mul_f32 v8, v1, v17 :: v_dual_mul_f32 v17, v2, v19
	v_mul_f32_e32 v9, v3, v19
	s_delay_alu instid0(VALU_DEP_3) | instskip(NEXT) | instid1(VALU_DEP_3)
	v_fmac_f32_e32 v15, v1, v16
	v_fma_f32 v16, v0, v16, -v8
	s_delay_alu instid0(VALU_DEP_4) | instskip(NEXT) | instid1(VALU_DEP_4)
	v_fmac_f32_e32 v17, v3, v18
	v_fma_f32 v18, v2, v18, -v9
	ds_load_2addr_b64 v[0:3], v104 offset0:51 offset1:52
	s_wait_loadcnt_dscnt 0x201
	v_mul_f32_e32 v19, v4, v21
	v_dual_mul_f32 v8, v5, v21 :: v_dual_mul_f32 v21, v6, v23
	v_mul_f32_e32 v9, v7, v23
	s_delay_alu instid0(VALU_DEP_3) | instskip(NEXT) | instid1(VALU_DEP_3)
	v_fmac_f32_e32 v19, v5, v20
	v_fma_f32 v20, v4, v20, -v8
	s_delay_alu instid0(VALU_DEP_4) | instskip(NEXT) | instid1(VALU_DEP_4)
	v_fmac_f32_e32 v21, v7, v22
	v_fma_f32 v22, v6, v22, -v9
	ds_load_2addr_b64 v[4:7], v104 offset0:53 offset1:54
	s_wait_loadcnt_dscnt 0x101
	v_mul_f32_e32 v23, v0, v25
	v_dual_mul_f32 v8, v1, v25 :: v_dual_mul_f32 v25, v2, v27
	v_mul_f32_e32 v9, v3, v27
	s_delay_alu instid0(VALU_DEP_3) | instskip(NEXT) | instid1(VALU_DEP_3)
	v_fmac_f32_e32 v23, v1, v24
	v_fma_f32 v24, v0, v24, -v8
	s_delay_alu instid0(VALU_DEP_4) | instskip(NEXT) | instid1(VALU_DEP_4)
	v_fmac_f32_e32 v25, v3, v26
	v_fma_f32 v26, v2, v26, -v9
	s_clause 0x1
	scratch_load_b128 v[0:3], off, off offset:120
	scratch_load_b128 v[8:11], off, off offset:136
	s_wait_loadcnt_dscnt 0x100
	v_mul_f32_e32 v27, v4, v1
	v_mul_f32_e32 v1, v5, v1
	v_mul_f32_e32 v121, v6, v3
	s_delay_alu instid0(VALU_DEP_3) | instskip(NEXT) | instid1(VALU_DEP_3)
	v_fmac_f32_e32 v27, v5, v0
	v_fma_f32 v120, v4, v0, -v1
	v_mul_f32_e32 v0, v7, v3
	s_delay_alu instid0(VALU_DEP_4) | instskip(NEXT) | instid1(VALU_DEP_2)
	v_fmac_f32_e32 v121, v7, v2
	v_fma_f32 v122, v6, v2, -v0
	ds_load_2addr_b64 v[0:3], v104 offset0:55 offset1:56
	ds_load_2addr_b64 v[4:7], v104 offset0:57 offset1:58
	s_wait_loadcnt_dscnt 0x1
	v_mul_f32_e32 v123, v0, v9
	v_mul_f32_e32 v125, v2, v11
	s_delay_alu instid0(VALU_DEP_2) | instskip(SKIP_1) | instid1(VALU_DEP_3)
	v_fmac_f32_e32 v123, v1, v8
	v_mul_f32_e32 v1, v1, v9
	v_fmac_f32_e32 v125, v3, v10
	s_delay_alu instid0(VALU_DEP_2) | instskip(SKIP_1) | instid1(VALU_DEP_1)
	v_fma_f32 v124, v0, v8, -v1
	v_mul_f32_e32 v0, v3, v11
	v_fma_f32 v126, v2, v10, -v0
	s_clause 0x1
	scratch_load_b128 v[0:3], off, off offset:152
	scratch_load_b128 v[8:11], off, off offset:168
	s_wait_loadcnt_dscnt 0x100
	v_mul_f32_e32 v127, v4, v1
	v_mul_f32_e32 v1, v5, v1
	v_mul_f32_e32 v129, v6, v3
	s_delay_alu instid0(VALU_DEP_3) | instskip(NEXT) | instid1(VALU_DEP_3)
	v_fmac_f32_e32 v127, v5, v0
	v_fma_f32 v128, v4, v0, -v1
	v_mul_f32_e32 v0, v7, v3
	s_delay_alu instid0(VALU_DEP_4) | instskip(NEXT) | instid1(VALU_DEP_2)
	v_fmac_f32_e32 v129, v7, v2
	v_fma_f32 v130, v6, v2, -v0
	ds_load_2addr_b64 v[0:3], v104 offset0:59 offset1:60
	ds_load_2addr_b64 v[4:7], v104 offset0:61 offset1:62
	s_wait_loadcnt_dscnt 0x1
	v_mul_f32_e32 v131, v0, v9
	v_mul_f32_e32 v133, v2, v11
	s_delay_alu instid0(VALU_DEP_2) | instskip(SKIP_1) | instid1(VALU_DEP_3)
	v_fmac_f32_e32 v131, v1, v8
	v_mul_f32_e32 v1, v1, v9
	v_fmac_f32_e32 v133, v3, v10
	s_delay_alu instid0(VALU_DEP_2) | instskip(SKIP_1) | instid1(VALU_DEP_1)
	v_fma_f32 v132, v0, v8, -v1
	v_mul_f32_e32 v0, v3, v11
	;; [unrolled: 27-line block ×3, first 2 shown]
	v_fma_f32 v142, v2, v10, -v0
	s_clause 0x1
	scratch_load_b128 v[0:3], off, off offset:216
	scratch_load_b128 v[8:11], off, off offset:232
	s_wait_loadcnt_dscnt 0x100
	v_mul_f32_e32 v143, v4, v1
	v_mul_f32_e32 v1, v5, v1
	;; [unrolled: 1-line block ×3, first 2 shown]
	s_delay_alu instid0(VALU_DEP_3) | instskip(NEXT) | instid1(VALU_DEP_3)
	v_fmac_f32_e32 v143, v5, v0
	v_fma_f32 v144, v4, v0, -v1
	v_dual_mul_f32 v0, v7, v3 :: v_dual_add_f32 v1, 0, v116
	s_delay_alu instid0(VALU_DEP_4) | instskip(NEXT) | instid1(VALU_DEP_2)
	v_fmac_f32_e32 v145, v7, v2
	v_fma_f32 v146, v6, v2, -v0
	v_add_f32_e32 v0, 0, v105
	s_delay_alu instid0(VALU_DEP_1) | instskip(NEXT) | instid1(VALU_DEP_1)
	v_dual_add_f32 v1, v1, v117 :: v_dual_add_f32 v0, v0, v106
	v_dual_add_f32 v1, v1, v107 :: v_dual_add_f32 v0, v0, v109
	s_delay_alu instid0(VALU_DEP_1) | instskip(NEXT) | instid1(VALU_DEP_1)
	v_dual_add_f32 v1, v1, v108 :: v_dual_add_f32 v0, v0, v110
	v_add_f32_e32 v1, v1, v111
	s_delay_alu instid0(VALU_DEP_1) | instskip(NEXT) | instid1(VALU_DEP_1)
	v_dual_add_f32 v0, v0, v115 :: v_dual_add_f32 v1, v1, v112
	v_dual_add_f32 v0, v0, v118 :: v_dual_add_f32 v1, v1, v119
	s_delay_alu instid0(VALU_DEP_1) | instskip(NEXT) | instid1(VALU_DEP_1)
	v_dual_add_f32 v0, v0, v12 :: v_dual_add_f32 v1, v1, v13
	v_dual_add_f32 v0, v0, v14 :: v_dual_add_f32 v1, v1, v15
	s_delay_alu instid0(VALU_DEP_1) | instskip(NEXT) | instid1(VALU_DEP_1)
	v_dual_add_f32 v0, v0, v16 :: v_dual_add_f32 v1, v1, v17
	v_dual_add_f32 v0, v0, v18 :: v_dual_add_f32 v1, v1, v19
	s_delay_alu instid0(VALU_DEP_1) | instskip(NEXT) | instid1(VALU_DEP_2)
	v_add_f32_e32 v0, v0, v20
	v_add_f32_e32 v4, v1, v21
	s_delay_alu instid0(VALU_DEP_2) | instskip(NEXT) | instid1(VALU_DEP_2)
	v_add_f32_e32 v0, v0, v22
	v_add_f32_e32 v4, v4, v23
	s_delay_alu instid0(VALU_DEP_2) | instskip(SKIP_4) | instid1(VALU_DEP_1)
	v_add_f32_e32 v5, v0, v24
	ds_load_2addr_b64 v[0:3], v104 offset0:67 offset1:68
	v_add_f32_e32 v4, v4, v25
	scratch_load_b64 v[24:25], off, off offset:296
	v_add_f32_e32 v5, v5, v26
	v_dual_add_f32 v13, v4, v27 :: v_dual_add_f32 v12, v5, v120
	ds_load_2addr_b64 v[4:7], v104 offset0:69 offset1:70
	v_add_f32_e32 v12, v12, v122
	s_delay_alu instid0(VALU_DEP_1)
	v_add_f32_e32 v12, v12, v124
	s_wait_loadcnt_dscnt 0x101
	v_mul_f32_e32 v105, v0, v9
	v_dual_mul_f32 v9, v1, v9 :: v_dual_mul_f32 v106, v2, v11
	v_mul_f32_e32 v11, v3, v11
	v_add_f32_e32 v13, v13, v121
	s_delay_alu instid0(VALU_DEP_4) | instskip(NEXT) | instid1(VALU_DEP_4)
	v_fmac_f32_e32 v105, v1, v8
	v_fma_f32 v107, v0, v8, -v9
	v_fmac_f32_e32 v106, v3, v10
	v_fma_f32 v108, v2, v10, -v11
	s_clause 0x1
	scratch_load_b128 v[0:3], off, off offset:248
	scratch_load_b128 v[8:11], off, off offset:264
	v_dual_add_f32 v12, v12, v126 :: v_dual_add_f32 v13, v13, v123
	s_delay_alu instid0(VALU_DEP_1) | instskip(SKIP_2) | instid1(VALU_DEP_1)
	v_dual_add_f32 v17, v12, v128 :: v_dual_add_f32 v16, v13, v125
	scratch_load_b128 v[12:15], off, off offset:280
	v_dual_add_f32 v17, v17, v130 :: v_dual_add_f32 v16, v16, v127
	v_dual_add_f32 v17, v17, v132 :: v_dual_add_f32 v16, v16, v129
	s_delay_alu instid0(VALU_DEP_1) | instskip(NEXT) | instid1(VALU_DEP_1)
	v_dual_add_f32 v17, v17, v134 :: v_dual_add_f32 v16, v16, v131
	v_dual_add_f32 v17, v17, v136 :: v_dual_add_f32 v16, v16, v133
	s_delay_alu instid0(VALU_DEP_1) | instskip(NEXT) | instid1(VALU_DEP_2)
	v_add_f32_e32 v26, v17, v138
	v_add_f32_e32 v20, v16, v135
	ds_load_2addr_b64 v[16:19], v104 offset0:71 offset1:72
	v_add_f32_e32 v109, v26, v140
	v_add_f32_e32 v27, v20, v137
	ds_load_2addr_b64 v[20:23], v104 offset0:73 offset1:74
	v_add_f32_e32 v109, v109, v142
	s_delay_alu instid0(VALU_DEP_1) | instskip(NEXT) | instid1(VALU_DEP_1)
	v_add_f32_e32 v109, v109, v144
	v_add_f32_e32 v109, v109, v146
	s_delay_alu instid0(VALU_DEP_1)
	v_add_f32_e32 v107, v109, v107
	s_wait_loadcnt_dscnt 0x202
	v_mul_f32_e32 v111, v4, v1
	v_dual_mul_f32 v1, v5, v1 :: v_dual_mul_f32 v112, v6, v3
	v_mul_f32_e32 v3, v7, v3
	s_wait_loadcnt_dscnt 0x101
	v_mul_f32_e32 v115, v16, v9
	v_fmac_f32_e32 v111, v5, v0
	v_fma_f32 v0, v4, v0, -v1
	v_add_f32_e32 v1, v107, v108
	v_fmac_f32_e32 v112, v7, v2
	v_fma_f32 v2, v6, v2, -v3
	v_dual_mul_f32 v5, v17, v9 :: v_dual_mul_f32 v116, v18, v11
	s_delay_alu instid0(VALU_DEP_4) | instskip(SKIP_2) | instid1(VALU_DEP_3)
	v_dual_add_f32 v0, v1, v0 :: v_dual_mul_f32 v3, v19, v11
	v_fmac_f32_e32 v115, v17, v8
	s_wait_loadcnt_dscnt 0x0
	v_dual_mul_f32 v117, v20, v13 :: v_dual_fmac_f32 v116, v19, v10
	s_delay_alu instid0(VALU_DEP_3)
	v_add_f32_e32 v0, v0, v2
	v_add_f32_e32 v110, v27, v139
	ds_load_b64 v[26:27], v104 offset:600
	v_mul_f32_e32 v2, v21, v13
	v_fma_f32 v3, v18, v10, -v3
	v_mul_f32_e32 v109, v22, v15
	v_dual_add_f32 v110, v110, v141 :: v_dual_fmac_f32 v117, v21, v12
	s_delay_alu instid0(VALU_DEP_4) | instskip(NEXT) | instid1(VALU_DEP_2)
	v_fma_f32 v2, v20, v12, -v2
	v_dual_fmac_f32 v109, v23, v14 :: v_dual_add_f32 v110, v110, v143
	s_delay_alu instid0(VALU_DEP_1) | instskip(NEXT) | instid1(VALU_DEP_1)
	v_add_f32_e32 v110, v110, v145
	v_add_f32_e32 v105, v110, v105
	s_wait_dscnt 0x0
	v_mul_f32_e32 v110, v26, v25
	s_delay_alu instid0(VALU_DEP_2) | instskip(NEXT) | instid1(VALU_DEP_1)
	v_add_f32_e32 v4, v105, v106
	v_dual_fmac_f32 v110, v27, v24 :: v_dual_add_f32 v1, v4, v111
	v_fma_f32 v4, v16, v8, -v5
	s_delay_alu instid0(VALU_DEP_2) | instskip(NEXT) | instid1(VALU_DEP_2)
	v_add_f32_e32 v1, v1, v112
	v_add_f32_e32 v0, v0, v4
	v_mul_f32_e32 v4, v23, v15
	s_delay_alu instid0(VALU_DEP_3) | instskip(NEXT) | instid1(VALU_DEP_3)
	v_add_f32_e32 v1, v1, v115
	v_dual_add_f32 v0, v0, v3 :: v_dual_mul_f32 v3, v27, v25
	s_delay_alu instid0(VALU_DEP_3) | instskip(NEXT) | instid1(VALU_DEP_2)
	v_fma_f32 v4, v22, v14, -v4
	v_dual_add_f32 v1, v1, v116 :: v_dual_add_f32 v0, v0, v2
	s_delay_alu instid0(VALU_DEP_3) | instskip(NEXT) | instid1(VALU_DEP_2)
	v_fma_f32 v2, v26, v24, -v3
	v_dual_add_f32 v1, v1, v117 :: v_dual_add_f32 v0, v0, v4
	s_delay_alu instid0(VALU_DEP_1) | instskip(NEXT) | instid1(VALU_DEP_1)
	v_dual_add_f32 v1, v1, v109 :: v_dual_add_f32 v0, v0, v2
	v_add_f32_e32 v1, v1, v110
	s_delay_alu instid0(VALU_DEP_1)
	v_dual_sub_f32 v0, v113, v0 :: v_dual_sub_f32 v1, v114, v1
	scratch_store_b64 off, v[0:1], off
	s_wait_alu 0xfffe
	s_cbranch_vccz .LBB37_316
; %bb.242:
	global_load_b32 v0, v104, s[2:3] offset:144
	s_wait_loadcnt 0x0
	v_cmp_ne_u32_e32 vcc_lo, 37, v0
	s_cbranch_vccz .LBB37_244
; %bb.243:
	v_lshlrev_b32_e32 v0, 3, v0
	s_delay_alu instid0(VALU_DEP_1)
	v_mov_b32_e32 v4, v0
	scratch_load_b64 v[0:1], v4, off offset:-8
	scratch_load_b64 v[2:3], off, off offset:288
	s_wait_loadcnt 0x1
	scratch_store_b64 off, v[0:1], off offset:288
	s_wait_loadcnt 0x0
	scratch_store_b64 v4, v[2:3], off offset:-8
.LBB37_244:
	v_mov_b32_e32 v0, 0
	global_load_b32 v1, v0, s[2:3] offset:140
	s_wait_loadcnt 0x0
	v_cmp_eq_u32_e32 vcc_lo, 36, v1
	s_cbranch_vccnz .LBB37_246
; %bb.245:
	v_lshlrev_b32_e32 v1, 3, v1
	s_delay_alu instid0(VALU_DEP_1)
	v_mov_b32_e32 v5, v1
	scratch_load_b64 v[1:2], v5, off offset:-8
	scratch_load_b64 v[3:4], off, off offset:280
	s_wait_loadcnt 0x1
	scratch_store_b64 off, v[1:2], off offset:280
	s_wait_loadcnt 0x0
	scratch_store_b64 v5, v[3:4], off offset:-8
.LBB37_246:
	global_load_b32 v0, v0, s[2:3] offset:136
	s_wait_loadcnt 0x0
	v_cmp_eq_u32_e32 vcc_lo, 35, v0
	s_cbranch_vccnz .LBB37_248
; %bb.247:
	v_lshlrev_b32_e32 v0, 3, v0
	s_delay_alu instid0(VALU_DEP_1)
	v_mov_b32_e32 v4, v0
	scratch_load_b64 v[0:1], v4, off offset:-8
	scratch_load_b64 v[2:3], off, off offset:272
	s_wait_loadcnt 0x1
	scratch_store_b64 off, v[0:1], off offset:272
	s_wait_loadcnt 0x0
	scratch_store_b64 v4, v[2:3], off offset:-8
.LBB37_248:
	v_mov_b32_e32 v0, 0
	global_load_b32 v1, v0, s[2:3] offset:132
	s_wait_loadcnt 0x0
	v_cmp_eq_u32_e32 vcc_lo, 34, v1
	s_cbranch_vccnz .LBB37_250
; %bb.249:
	v_lshlrev_b32_e32 v1, 3, v1
	s_delay_alu instid0(VALU_DEP_1)
	v_mov_b32_e32 v5, v1
	scratch_load_b64 v[1:2], v5, off offset:-8
	scratch_load_b64 v[3:4], off, off offset:264
	s_wait_loadcnt 0x1
	scratch_store_b64 off, v[1:2], off offset:264
	s_wait_loadcnt 0x0
	scratch_store_b64 v5, v[3:4], off offset:-8
.LBB37_250:
	global_load_b32 v0, v0, s[2:3] offset:128
	s_wait_loadcnt 0x0
	v_cmp_eq_u32_e32 vcc_lo, 33, v0
	s_cbranch_vccnz .LBB37_252
; %bb.251:
	v_lshlrev_b32_e32 v0, 3, v0
	s_delay_alu instid0(VALU_DEP_1)
	v_mov_b32_e32 v4, v0
	scratch_load_b64 v[0:1], v4, off offset:-8
	scratch_load_b64 v[2:3], off, off offset:256
	s_wait_loadcnt 0x1
	scratch_store_b64 off, v[0:1], off offset:256
	s_wait_loadcnt 0x0
	scratch_store_b64 v4, v[2:3], off offset:-8
.LBB37_252:
	;; [unrolled: 31-line block ×17, first 2 shown]
	v_mov_b32_e32 v0, 0
	global_load_b32 v1, v0, s[2:3] offset:4
	s_wait_loadcnt 0x0
	v_cmp_eq_u32_e32 vcc_lo, 2, v1
	s_cbranch_vccnz .LBB37_314
; %bb.313:
	v_lshlrev_b32_e32 v1, 3, v1
	s_delay_alu instid0(VALU_DEP_1)
	v_mov_b32_e32 v5, v1
	scratch_load_b64 v[1:2], v5, off offset:-8
	scratch_load_b64 v[3:4], off, off offset:8
	s_wait_loadcnt 0x1
	scratch_store_b64 off, v[1:2], off offset:8
	s_wait_loadcnt 0x0
	scratch_store_b64 v5, v[3:4], off offset:-8
.LBB37_314:
	global_load_b32 v0, v0, s[2:3]
	s_wait_loadcnt 0x0
	v_cmp_eq_u32_e32 vcc_lo, 1, v0
	s_cbranch_vccnz .LBB37_316
; %bb.315:
	v_lshlrev_b32_e32 v0, 3, v0
	s_delay_alu instid0(VALU_DEP_1)
	v_mov_b32_e32 v4, v0
	scratch_load_b64 v[0:1], v4, off offset:-8
	scratch_load_b64 v[2:3], off, off
	s_wait_loadcnt 0x1
	scratch_store_b64 off, v[0:1], off
	s_wait_loadcnt 0x0
	scratch_store_b64 v4, v[2:3], off offset:-8
.LBB37_316:
	s_clause 0x12
	scratch_load_b128 v[0:3], off, off
	scratch_load_b128 v[4:7], off, off offset:16
	scratch_load_b128 v[8:11], off, off offset:32
	;; [unrolled: 1-line block ×18, first 2 shown]
	s_wait_loadcnt 0x12
	s_clause 0x1
	global_store_b64 v[28:29], v[0:1], off
	global_store_b64 v[30:31], v[2:3], off
	s_wait_loadcnt 0x11
	s_clause 0x1
	global_store_b64 v[32:33], v[4:5], off
	global_store_b64 v[34:35], v[6:7], off
	;; [unrolled: 4-line block ×19, first 2 shown]
	s_nop 0
	s_sendmsg sendmsg(MSG_DEALLOC_VGPRS)
	s_endpgm
	.section	.rodata,"a",@progbits
	.p2align	6, 0x0
	.amdhsa_kernel _ZN9rocsolver6v33100L18getri_kernel_smallILi38E19rocblas_complex_numIfEPS3_EEvT1_iilPiilS6_bb
		.amdhsa_group_segment_fixed_size 612
		.amdhsa_private_segment_fixed_size 320
		.amdhsa_kernarg_size 60
		.amdhsa_user_sgpr_count 2
		.amdhsa_user_sgpr_dispatch_ptr 0
		.amdhsa_user_sgpr_queue_ptr 0
		.amdhsa_user_sgpr_kernarg_segment_ptr 1
		.amdhsa_user_sgpr_dispatch_id 0
		.amdhsa_user_sgpr_private_segment_size 0
		.amdhsa_wavefront_size32 1
		.amdhsa_uses_dynamic_stack 0
		.amdhsa_enable_private_segment 1
		.amdhsa_system_sgpr_workgroup_id_x 1
		.amdhsa_system_sgpr_workgroup_id_y 0
		.amdhsa_system_sgpr_workgroup_id_z 0
		.amdhsa_system_sgpr_workgroup_info 0
		.amdhsa_system_vgpr_workitem_id 0
		.amdhsa_next_free_vgpr 250
		.amdhsa_next_free_sgpr 19
		.amdhsa_reserve_vcc 1
		.amdhsa_float_round_mode_32 0
		.amdhsa_float_round_mode_16_64 0
		.amdhsa_float_denorm_mode_32 3
		.amdhsa_float_denorm_mode_16_64 3
		.amdhsa_fp16_overflow 0
		.amdhsa_workgroup_processor_mode 1
		.amdhsa_memory_ordered 1
		.amdhsa_forward_progress 1
		.amdhsa_inst_pref_size 255
		.amdhsa_round_robin_scheduling 0
		.amdhsa_exception_fp_ieee_invalid_op 0
		.amdhsa_exception_fp_denorm_src 0
		.amdhsa_exception_fp_ieee_div_zero 0
		.amdhsa_exception_fp_ieee_overflow 0
		.amdhsa_exception_fp_ieee_underflow 0
		.amdhsa_exception_fp_ieee_inexact 0
		.amdhsa_exception_int_div_zero 0
	.end_amdhsa_kernel
	.section	.text._ZN9rocsolver6v33100L18getri_kernel_smallILi38E19rocblas_complex_numIfEPS3_EEvT1_iilPiilS6_bb,"axG",@progbits,_ZN9rocsolver6v33100L18getri_kernel_smallILi38E19rocblas_complex_numIfEPS3_EEvT1_iilPiilS6_bb,comdat
.Lfunc_end37:
	.size	_ZN9rocsolver6v33100L18getri_kernel_smallILi38E19rocblas_complex_numIfEPS3_EEvT1_iilPiilS6_bb, .Lfunc_end37-_ZN9rocsolver6v33100L18getri_kernel_smallILi38E19rocblas_complex_numIfEPS3_EEvT1_iilPiilS6_bb
                                        ; -- End function
	.set _ZN9rocsolver6v33100L18getri_kernel_smallILi38E19rocblas_complex_numIfEPS3_EEvT1_iilPiilS6_bb.num_vgpr, 250
	.set _ZN9rocsolver6v33100L18getri_kernel_smallILi38E19rocblas_complex_numIfEPS3_EEvT1_iilPiilS6_bb.num_agpr, 0
	.set _ZN9rocsolver6v33100L18getri_kernel_smallILi38E19rocblas_complex_numIfEPS3_EEvT1_iilPiilS6_bb.numbered_sgpr, 19
	.set _ZN9rocsolver6v33100L18getri_kernel_smallILi38E19rocblas_complex_numIfEPS3_EEvT1_iilPiilS6_bb.num_named_barrier, 0
	.set _ZN9rocsolver6v33100L18getri_kernel_smallILi38E19rocblas_complex_numIfEPS3_EEvT1_iilPiilS6_bb.private_seg_size, 320
	.set _ZN9rocsolver6v33100L18getri_kernel_smallILi38E19rocblas_complex_numIfEPS3_EEvT1_iilPiilS6_bb.uses_vcc, 1
	.set _ZN9rocsolver6v33100L18getri_kernel_smallILi38E19rocblas_complex_numIfEPS3_EEvT1_iilPiilS6_bb.uses_flat_scratch, 1
	.set _ZN9rocsolver6v33100L18getri_kernel_smallILi38E19rocblas_complex_numIfEPS3_EEvT1_iilPiilS6_bb.has_dyn_sized_stack, 0
	.set _ZN9rocsolver6v33100L18getri_kernel_smallILi38E19rocblas_complex_numIfEPS3_EEvT1_iilPiilS6_bb.has_recursion, 0
	.set _ZN9rocsolver6v33100L18getri_kernel_smallILi38E19rocblas_complex_numIfEPS3_EEvT1_iilPiilS6_bb.has_indirect_call, 0
	.section	.AMDGPU.csdata,"",@progbits
; Kernel info:
; codeLenInByte = 53164
; TotalNumSgprs: 21
; NumVgprs: 250
; ScratchSize: 320
; MemoryBound: 0
; FloatMode: 240
; IeeeMode: 1
; LDSByteSize: 612 bytes/workgroup (compile time only)
; SGPRBlocks: 0
; VGPRBlocks: 31
; NumSGPRsForWavesPerEU: 21
; NumVGPRsForWavesPerEU: 250
; Occupancy: 5
; WaveLimiterHint : 1
; COMPUTE_PGM_RSRC2:SCRATCH_EN: 1
; COMPUTE_PGM_RSRC2:USER_SGPR: 2
; COMPUTE_PGM_RSRC2:TRAP_HANDLER: 0
; COMPUTE_PGM_RSRC2:TGID_X_EN: 1
; COMPUTE_PGM_RSRC2:TGID_Y_EN: 0
; COMPUTE_PGM_RSRC2:TGID_Z_EN: 0
; COMPUTE_PGM_RSRC2:TIDIG_COMP_CNT: 0
	.section	.text._ZN9rocsolver6v33100L18getri_kernel_smallILi39E19rocblas_complex_numIfEPS3_EEvT1_iilPiilS6_bb,"axG",@progbits,_ZN9rocsolver6v33100L18getri_kernel_smallILi39E19rocblas_complex_numIfEPS3_EEvT1_iilPiilS6_bb,comdat
	.globl	_ZN9rocsolver6v33100L18getri_kernel_smallILi39E19rocblas_complex_numIfEPS3_EEvT1_iilPiilS6_bb ; -- Begin function _ZN9rocsolver6v33100L18getri_kernel_smallILi39E19rocblas_complex_numIfEPS3_EEvT1_iilPiilS6_bb
	.p2align	8
	.type	_ZN9rocsolver6v33100L18getri_kernel_smallILi39E19rocblas_complex_numIfEPS3_EEvT1_iilPiilS6_bb,@function
_ZN9rocsolver6v33100L18getri_kernel_smallILi39E19rocblas_complex_numIfEPS3_EEvT1_iilPiilS6_bb: ; @_ZN9rocsolver6v33100L18getri_kernel_smallILi39E19rocblas_complex_numIfEPS3_EEvT1_iilPiilS6_bb
; %bb.0:
	s_mov_b32 s2, exec_lo
	v_cmpx_gt_u32_e32 39, v0
	s_cbranch_execz .LBB38_170
; %bb.1:
	s_clause 0x2
	s_load_b32 s2, s[0:1], 0x38
	s_load_b128 s[12:15], s[0:1], 0x10
	s_load_b128 s[4:7], s[0:1], 0x28
	s_mov_b32 s16, ttmp9
	s_wait_kmcnt 0x0
	s_bitcmp1_b32 s2, 8
	s_cselect_b32 s18, -1, 0
	s_bfe_u32 s2, s2, 0x10008
	s_ashr_i32 s17, ttmp9, 31
	s_cmp_eq_u32 s2, 0
                                        ; implicit-def: $sgpr2_sgpr3
	s_cbranch_scc1 .LBB38_3
; %bb.2:
	s_load_b32 s2, s[0:1], 0x20
	s_mul_u64 s[4:5], s[4:5], s[16:17]
	s_delay_alu instid0(SALU_CYCLE_1) | instskip(NEXT) | instid1(SALU_CYCLE_1)
	s_lshl_b64 s[4:5], s[4:5], 2
	s_add_nc_u64 s[4:5], s[14:15], s[4:5]
	s_wait_kmcnt 0x0
	s_ashr_i32 s3, s2, 31
	s_delay_alu instid0(SALU_CYCLE_1) | instskip(NEXT) | instid1(SALU_CYCLE_1)
	s_lshl_b64 s[2:3], s[2:3], 2
	s_add_nc_u64 s[2:3], s[4:5], s[2:3]
.LBB38_3:
	s_clause 0x1
	s_load_b128 s[8:11], s[0:1], 0x0
	s_load_b32 s4, s[0:1], 0x38
	s_mul_u64 s[0:1], s[12:13], s[16:17]
	v_lshlrev_b32_e32 v7, 3, v0
	s_lshl_b64 s[0:1], s[0:1], 3
	s_wait_kmcnt 0x0
	v_add3_u32 v3, s11, s11, v0
	s_ashr_i32 s13, s10, 31
	s_mov_b32 s12, s10
	s_add_nc_u64 s[0:1], s[8:9], s[0:1]
	s_lshl_b64 s[12:13], s[12:13], 3
	v_add_nc_u32_e32 v5, s11, v3
	v_ashrrev_i32_e32 v4, 31, v3
	s_add_nc_u64 s[0:1], s[0:1], s[12:13]
	s_ashr_i32 s9, s11, 31
	v_add_co_u32 v24, s5, s0, v7
	v_add_nc_u32_e32 v8, s11, v5
	v_ashrrev_i32_e32 v6, 31, v5
	s_mov_b32 s8, s11
	v_lshlrev_b64_e32 v[3:4], 3, v[3:4]
	v_add_co_ci_u32_e64 v25, null, s1, 0, s5
	v_add_nc_u32_e32 v10, s11, v8
	s_lshl_b64 s[8:9], s[8:9], 3
	v_lshlrev_b64_e32 v[5:6], 3, v[5:6]
	v_add_co_u32 v26, vcc_lo, v24, s8
	v_ashrrev_i32_e32 v9, 31, v8
	v_add_co_ci_u32_e64 v27, null, s9, v25, vcc_lo
	v_add_co_u32 v28, vcc_lo, s0, v3
	v_ashrrev_i32_e32 v11, 31, v10
	v_add_nc_u32_e32 v3, s11, v10
	s_wait_alu 0xfffd
	v_add_co_ci_u32_e64 v29, null, s1, v4, vcc_lo
	v_add_co_u32 v30, vcc_lo, s0, v5
	v_lshlrev_b64_e32 v[8:9], 3, v[8:9]
	s_wait_alu 0xfffd
	v_add_co_ci_u32_e64 v31, null, s1, v6, vcc_lo
	v_lshlrev_b64_e32 v[5:6], 3, v[10:11]
	v_add_nc_u32_e32 v10, s11, v3
	v_ashrrev_i32_e32 v4, 31, v3
	v_add_co_u32 v32, vcc_lo, s0, v8
	s_wait_alu 0xfffd
	v_add_co_ci_u32_e64 v33, null, s1, v9, vcc_lo
	v_ashrrev_i32_e32 v11, 31, v10
	v_add_nc_u32_e32 v8, s11, v10
	v_lshlrev_b64_e32 v[3:4], 3, v[3:4]
	v_add_co_u32 v34, vcc_lo, s0, v5
	s_wait_alu 0xfffd
	v_add_co_ci_u32_e64 v35, null, s1, v6, vcc_lo
	v_lshlrev_b64_e32 v[5:6], 3, v[10:11]
	v_ashrrev_i32_e32 v9, 31, v8
	v_add_nc_u32_e32 v10, s11, v8
	v_add_co_u32 v36, vcc_lo, s0, v3
	s_wait_alu 0xfffd
	v_add_co_ci_u32_e64 v37, null, s1, v4, vcc_lo
	v_lshlrev_b64_e32 v[3:4], 3, v[8:9]
	v_ashrrev_i32_e32 v11, 31, v10
	v_add_nc_u32_e32 v8, s11, v10
	;; [unrolled: 6-line block ×29, first 2 shown]
	v_add_co_u32 v92, vcc_lo, s0, v3
	s_wait_alu 0xfffd
	v_add_co_ci_u32_e64 v93, null, s1, v4, vcc_lo
	v_lshlrev_b64_e32 v[3:4], 3, v[8:9]
	v_add_nc_u32_e32 v8, s11, v10
	v_ashrrev_i32_e32 v11, 31, v10
	v_add_co_u32 v94, vcc_lo, s0, v5
	s_wait_alu 0xfffd
	v_add_co_ci_u32_e64 v95, null, s1, v6, vcc_lo
	v_ashrrev_i32_e32 v9, 31, v8
	v_lshlrev_b64_e32 v[5:6], 3, v[10:11]
	v_add_co_u32 v96, vcc_lo, s0, v3
	s_wait_alu 0xfffd
	v_add_co_ci_u32_e64 v97, null, s1, v4, vcc_lo
	v_lshlrev_b64_e32 v[3:4], 3, v[8:9]
	s_delay_alu instid0(VALU_DEP_4)
	v_add_co_u32 v98, vcc_lo, s0, v5
	s_wait_alu 0xfffd
	v_add_co_ci_u32_e64 v99, null, s1, v6, vcc_lo
	global_load_b64 v[1:2], v7, s[0:1]
	v_add_co_u32 v100, vcc_lo, s0, v3
	s_wait_alu 0xfffd
	v_add_co_ci_u32_e64 v101, null, s1, v4, vcc_lo
	s_clause 0x1f
	global_load_b64 v[3:4], v[26:27], off
	global_load_b64 v[8:9], v[28:29], off
	;; [unrolled: 1-line block ×32, first 2 shown]
	s_clause 0x5
	global_load_b64 v[148:149], v[90:91], off
	global_load_b64 v[150:151], v[92:93], off
	;; [unrolled: 1-line block ×6, first 2 shown]
	s_mov_b32 s1, -1
	s_bitcmp0_b32 s4, 0
	s_wait_loadcnt 0x25
	scratch_store_b128 off, v[1:4], off
	s_wait_loadcnt 0x23
	scratch_store_b128 off, v[8:11], off offset:16
	s_wait_loadcnt 0x21
	scratch_store_b128 off, v[12:15], off offset:32
	;; [unrolled: 2-line block ×18, first 2 shown]
	s_wait_loadcnt 0x0
	scratch_store_b64 off, v[5:6], off offset:304
	s_cbranch_scc1 .LBB38_168
; %bb.4:
	v_cmp_eq_u32_e64 s0, 0, v0
	s_and_saveexec_b32 s1, s0
; %bb.5:
	v_mov_b32_e32 v1, 0
	ds_store_b32 v1, v1 offset:312
; %bb.6:
	s_wait_alu 0xfffe
	s_or_b32 exec_lo, exec_lo, s1
	s_wait_storecnt_dscnt 0x0
	s_barrier_signal -1
	s_barrier_wait -1
	global_inv scope:SCOPE_SE
	scratch_load_b64 v[1:2], v7, off
	s_wait_loadcnt 0x0
	v_cmp_eq_f32_e32 vcc_lo, 0, v1
	v_cmp_eq_f32_e64 s1, 0, v2
	s_and_b32 s1, vcc_lo, s1
	s_wait_alu 0xfffe
	s_and_saveexec_b32 s4, s1
	s_cbranch_execz .LBB38_10
; %bb.7:
	v_mov_b32_e32 v1, 0
	s_mov_b32 s5, 0
	ds_load_b32 v2, v1 offset:312
	s_wait_dscnt 0x0
	v_readfirstlane_b32 s1, v2
	v_add_nc_u32_e32 v2, 1, v0
	s_cmp_eq_u32 s1, 0
	s_delay_alu instid0(VALU_DEP_1)
	v_cmp_gt_i32_e32 vcc_lo, s1, v2
	s_cselect_b32 s8, -1, 0
	s_wait_alu 0xfffe
	s_or_b32 s8, s8, vcc_lo
	s_wait_alu 0xfffe
	s_and_b32 exec_lo, exec_lo, s8
	s_cbranch_execz .LBB38_10
; %bb.8:
	v_mov_b32_e32 v3, s1
.LBB38_9:                               ; =>This Inner Loop Header: Depth=1
	ds_cmpstore_rtn_b32 v3, v1, v2, v3 offset:312
	s_wait_dscnt 0x0
	v_cmp_ne_u32_e32 vcc_lo, 0, v3
	v_cmp_le_i32_e64 s1, v3, v2
	s_and_b32 s1, vcc_lo, s1
	s_wait_alu 0xfffe
	s_and_b32 s1, exec_lo, s1
	s_wait_alu 0xfffe
	s_or_b32 s5, s1, s5
	s_wait_alu 0xfffe
	s_and_not1_b32 exec_lo, exec_lo, s5
	s_cbranch_execnz .LBB38_9
.LBB38_10:
	s_wait_alu 0xfffe
	s_or_b32 exec_lo, exec_lo, s4
	v_mov_b32_e32 v1, 0
	s_barrier_signal -1
	s_barrier_wait -1
	global_inv scope:SCOPE_SE
	ds_load_b32 v2, v1 offset:312
	s_and_saveexec_b32 s1, s0
	s_cbranch_execz .LBB38_12
; %bb.11:
	s_lshl_b64 s[4:5], s[16:17], 2
	s_wait_alu 0xfffe
	s_add_nc_u64 s[4:5], s[6:7], s[4:5]
	s_wait_dscnt 0x0
	global_store_b32 v1, v2, s[4:5]
.LBB38_12:
	s_wait_alu 0xfffe
	s_or_b32 exec_lo, exec_lo, s1
	s_wait_dscnt 0x0
	v_cmp_ne_u32_e32 vcc_lo, 0, v2
	s_mov_b32 s1, 0
	s_cbranch_vccnz .LBB38_168
; %bb.13:
	v_mov_b32_e32 v8, v7
                                        ; implicit-def: $vgpr3
                                        ; implicit-def: $vgpr5
	scratch_load_b64 v[1:2], v8, off
	s_wait_loadcnt 0x0
	v_cmp_ngt_f32_e64 s1, |v1|, |v2|
	s_wait_alu 0xfffe
	s_and_saveexec_b32 s4, s1
	s_wait_alu 0xfffe
	s_xor_b32 s1, exec_lo, s4
	s_cbranch_execz .LBB38_15
; %bb.14:
	v_div_scale_f32 v3, null, v2, v2, v1
	v_div_scale_f32 v6, vcc_lo, v1, v2, v1
	s_delay_alu instid0(VALU_DEP_2) | instskip(NEXT) | instid1(TRANS32_DEP_1)
	v_rcp_f32_e32 v4, v3
	v_fma_f32 v5, -v3, v4, 1.0
	s_delay_alu instid0(VALU_DEP_1) | instskip(NEXT) | instid1(VALU_DEP_1)
	v_fmac_f32_e32 v4, v5, v4
	v_mul_f32_e32 v5, v6, v4
	s_delay_alu instid0(VALU_DEP_1) | instskip(NEXT) | instid1(VALU_DEP_1)
	v_fma_f32 v9, -v3, v5, v6
	v_fmac_f32_e32 v5, v9, v4
	s_delay_alu instid0(VALU_DEP_1) | instskip(SKIP_1) | instid1(VALU_DEP_1)
	v_fma_f32 v3, -v3, v5, v6
	s_wait_alu 0xfffd
	v_div_fmas_f32 v3, v3, v4, v5
	s_delay_alu instid0(VALU_DEP_1) | instskip(NEXT) | instid1(VALU_DEP_1)
	v_div_fixup_f32 v3, v3, v2, v1
	v_fmac_f32_e32 v2, v1, v3
	s_delay_alu instid0(VALU_DEP_1) | instskip(NEXT) | instid1(VALU_DEP_1)
	v_div_scale_f32 v1, null, v2, v2, 1.0
	v_rcp_f32_e32 v4, v1
	s_delay_alu instid0(TRANS32_DEP_1) | instskip(NEXT) | instid1(VALU_DEP_1)
	v_fma_f32 v5, -v1, v4, 1.0
	v_fmac_f32_e32 v4, v5, v4
	v_div_scale_f32 v5, vcc_lo, 1.0, v2, 1.0
	s_delay_alu instid0(VALU_DEP_1) | instskip(NEXT) | instid1(VALU_DEP_1)
	v_mul_f32_e32 v6, v5, v4
	v_fma_f32 v9, -v1, v6, v5
	s_delay_alu instid0(VALU_DEP_1) | instskip(NEXT) | instid1(VALU_DEP_1)
	v_fmac_f32_e32 v6, v9, v4
	v_fma_f32 v1, -v1, v6, v5
	s_wait_alu 0xfffd
	s_delay_alu instid0(VALU_DEP_1) | instskip(NEXT) | instid1(VALU_DEP_1)
	v_div_fmas_f32 v1, v1, v4, v6
	v_div_fixup_f32 v1, v1, v2, 1.0
	s_delay_alu instid0(VALU_DEP_1) | instskip(SKIP_1) | instid1(VALU_DEP_2)
	v_mul_f32_e32 v3, v3, v1
	v_xor_b32_e32 v4, 0x80000000, v1
                                        ; implicit-def: $vgpr1_vgpr2
	v_xor_b32_e32 v5, 0x80000000, v3
.LBB38_15:
	s_wait_alu 0xfffe
	s_and_not1_saveexec_b32 s1, s1
	s_cbranch_execz .LBB38_17
; %bb.16:
	v_div_scale_f32 v3, null, v1, v1, v2
	v_div_scale_f32 v6, vcc_lo, v2, v1, v2
	s_delay_alu instid0(VALU_DEP_2) | instskip(NEXT) | instid1(TRANS32_DEP_1)
	v_rcp_f32_e32 v4, v3
	v_fma_f32 v5, -v3, v4, 1.0
	s_delay_alu instid0(VALU_DEP_1) | instskip(NEXT) | instid1(VALU_DEP_1)
	v_fmac_f32_e32 v4, v5, v4
	v_mul_f32_e32 v5, v6, v4
	s_delay_alu instid0(VALU_DEP_1) | instskip(NEXT) | instid1(VALU_DEP_1)
	v_fma_f32 v9, -v3, v5, v6
	v_fmac_f32_e32 v5, v9, v4
	s_delay_alu instid0(VALU_DEP_1) | instskip(SKIP_1) | instid1(VALU_DEP_1)
	v_fma_f32 v3, -v3, v5, v6
	s_wait_alu 0xfffd
	v_div_fmas_f32 v3, v3, v4, v5
	s_delay_alu instid0(VALU_DEP_1) | instskip(NEXT) | instid1(VALU_DEP_1)
	v_div_fixup_f32 v4, v3, v1, v2
	v_fmac_f32_e32 v1, v2, v4
	s_delay_alu instid0(VALU_DEP_1) | instskip(SKIP_1) | instid1(VALU_DEP_2)
	v_div_scale_f32 v2, null, v1, v1, 1.0
	v_div_scale_f32 v6, vcc_lo, 1.0, v1, 1.0
	v_rcp_f32_e32 v3, v2
	s_delay_alu instid0(TRANS32_DEP_1) | instskip(NEXT) | instid1(VALU_DEP_1)
	v_fma_f32 v5, -v2, v3, 1.0
	v_fmac_f32_e32 v3, v5, v3
	s_delay_alu instid0(VALU_DEP_1) | instskip(NEXT) | instid1(VALU_DEP_1)
	v_mul_f32_e32 v5, v6, v3
	v_fma_f32 v9, -v2, v5, v6
	s_delay_alu instid0(VALU_DEP_1) | instskip(NEXT) | instid1(VALU_DEP_1)
	v_fmac_f32_e32 v5, v9, v3
	v_fma_f32 v2, -v2, v5, v6
	s_wait_alu 0xfffd
	s_delay_alu instid0(VALU_DEP_1) | instskip(NEXT) | instid1(VALU_DEP_1)
	v_div_fmas_f32 v2, v2, v3, v5
	v_div_fixup_f32 v3, v2, v1, 1.0
	s_delay_alu instid0(VALU_DEP_1)
	v_xor_b32_e32 v5, 0x80000000, v3
	v_mul_f32_e64 v4, v4, -v3
.LBB38_17:
	s_wait_alu 0xfffe
	s_or_b32 exec_lo, exec_lo, s1
	scratch_store_b64 v8, v[3:4], off
	scratch_load_b64 v[2:3], off, off offset:8
	v_xor_b32_e32 v6, 0x80000000, v4
	v_add_nc_u32_e32 v1, 0x140, v7
	s_wait_loadcnt 0x0
	ds_store_2addr_b64 v7, v[5:6], v[2:3] offset1:40
	s_wait_storecnt_dscnt 0x0
	s_barrier_signal -1
	s_barrier_wait -1
	global_inv scope:SCOPE_SE
	s_and_saveexec_b32 s1, s0
	s_cbranch_execz .LBB38_19
; %bb.18:
	scratch_load_b64 v[2:3], v8, off
	ds_load_b64 v[4:5], v1
	v_mov_b32_e32 v6, 0
	ds_load_b64 v[9:10], v6 offset:8
	s_wait_loadcnt_dscnt 0x1
	v_mul_f32_e32 v6, v4, v3
	v_mul_f32_e32 v3, v5, v3
	s_delay_alu instid0(VALU_DEP_2) | instskip(NEXT) | instid1(VALU_DEP_2)
	v_fmac_f32_e32 v6, v5, v2
	v_fma_f32 v2, v4, v2, -v3
	s_delay_alu instid0(VALU_DEP_2) | instskip(NEXT) | instid1(VALU_DEP_2)
	v_add_f32_e32 v4, 0, v6
	v_add_f32_e32 v2, 0, v2
	s_wait_dscnt 0x0
	s_delay_alu instid0(VALU_DEP_2) | instskip(NEXT) | instid1(VALU_DEP_2)
	v_mul_f32_e32 v5, v4, v10
	v_mul_f32_e32 v3, v2, v10
	s_delay_alu instid0(VALU_DEP_2) | instskip(NEXT) | instid1(VALU_DEP_2)
	v_fma_f32 v2, v2, v9, -v5
	v_fmac_f32_e32 v3, v4, v9
	scratch_store_b64 off, v[2:3], off offset:8
.LBB38_19:
	s_wait_alu 0xfffe
	s_or_b32 exec_lo, exec_lo, s1
	s_wait_loadcnt 0x0
	s_wait_storecnt 0x0
	s_barrier_signal -1
	s_barrier_wait -1
	global_inv scope:SCOPE_SE
	scratch_load_b64 v[2:3], off, off offset:16
	s_mov_b32 s1, exec_lo
	s_wait_loadcnt 0x0
	ds_store_b64 v1, v[2:3]
	s_wait_dscnt 0x0
	s_barrier_signal -1
	s_barrier_wait -1
	global_inv scope:SCOPE_SE
	v_cmpx_gt_u32_e32 2, v0
	s_cbranch_execz .LBB38_23
; %bb.20:
	scratch_load_b64 v[2:3], v8, off
	ds_load_b64 v[4:5], v1
	s_wait_loadcnt_dscnt 0x0
	v_mul_f32_e32 v6, v5, v3
	v_mul_f32_e32 v9, v4, v3
	s_delay_alu instid0(VALU_DEP_2) | instskip(NEXT) | instid1(VALU_DEP_2)
	v_fma_f32 v3, v4, v2, -v6
	v_fmac_f32_e32 v9, v5, v2
	s_delay_alu instid0(VALU_DEP_1)
	v_dual_add_f32 v3, 0, v3 :: v_dual_add_f32 v2, 0, v9
	s_and_saveexec_b32 s4, s0
	s_cbranch_execz .LBB38_22
; %bb.21:
	scratch_load_b64 v[4:5], off, off offset:8
	v_mov_b32_e32 v6, 0
	ds_load_b64 v[9:10], v6 offset:328
	s_wait_loadcnt_dscnt 0x0
	v_mul_f32_e32 v6, v9, v5
	v_mul_f32_e32 v5, v10, v5
	s_delay_alu instid0(VALU_DEP_2) | instskip(NEXT) | instid1(VALU_DEP_2)
	v_fmac_f32_e32 v6, v10, v4
	v_fma_f32 v4, v9, v4, -v5
	s_delay_alu instid0(VALU_DEP_1)
	v_dual_add_f32 v2, v2, v6 :: v_dual_add_f32 v3, v3, v4
.LBB38_22:
	s_wait_alu 0xfffe
	s_or_b32 exec_lo, exec_lo, s4
	v_mov_b32_e32 v4, 0
	ds_load_b64 v[4:5], v4 offset:16
	s_wait_dscnt 0x0
	v_mul_f32_e32 v9, v2, v5
	v_mul_f32_e32 v6, v3, v5
	s_delay_alu instid0(VALU_DEP_2) | instskip(NEXT) | instid1(VALU_DEP_2)
	v_fma_f32 v5, v3, v4, -v9
	v_fmac_f32_e32 v6, v2, v4
	scratch_store_b64 off, v[5:6], off offset:16
.LBB38_23:
	s_wait_alu 0xfffe
	s_or_b32 exec_lo, exec_lo, s1
	s_wait_loadcnt 0x0
	s_wait_storecnt 0x0
	s_barrier_signal -1
	s_barrier_wait -1
	global_inv scope:SCOPE_SE
	scratch_load_b64 v[3:4], off, off offset:24
	v_add_nc_u32_e32 v2, -1, v0
	s_mov_b32 s0, exec_lo
	s_wait_loadcnt 0x0
	ds_store_b64 v1, v[3:4]
	s_wait_dscnt 0x0
	s_barrier_signal -1
	s_barrier_wait -1
	global_inv scope:SCOPE_SE
	v_cmpx_gt_u32_e32 3, v0
	s_cbranch_execz .LBB38_27
; %bb.24:
	v_dual_mov_b32 v3, 0 :: v_dual_add_nc_u32 v4, -1, v0
	v_dual_mov_b32 v6, v7 :: v_dual_add_nc_u32 v5, 0x140, v7
	v_mov_b32_e32 v9, 0
	s_mov_b32 s1, 0
.LBB38_25:                              ; =>This Inner Loop Header: Depth=1
	scratch_load_b64 v[10:11], v6, off
	ds_load_b64 v[12:13], v5
	v_add_nc_u32_e32 v4, 1, v4
	v_add_nc_u32_e32 v5, 8, v5
	s_delay_alu instid0(VALU_DEP_2)
	v_cmp_lt_u32_e32 vcc_lo, 1, v4
	s_wait_alu 0xfffe
	s_or_b32 s1, vcc_lo, s1
	s_wait_loadcnt_dscnt 0x0
	v_mul_f32_e32 v14, v13, v11
	v_mul_f32_e32 v11, v12, v11
	s_delay_alu instid0(VALU_DEP_2) | instskip(NEXT) | instid1(VALU_DEP_2)
	v_fma_f32 v12, v12, v10, -v14
	v_fmac_f32_e32 v11, v13, v10
	s_delay_alu instid0(VALU_DEP_2) | instskip(NEXT) | instid1(VALU_DEP_2)
	v_dual_add_f32 v9, v9, v12 :: v_dual_add_nc_u32 v6, 8, v6
	v_add_f32_e32 v3, v3, v11
	s_wait_alu 0xfffe
	s_and_not1_b32 exec_lo, exec_lo, s1
	s_cbranch_execnz .LBB38_25
; %bb.26:
	s_or_b32 exec_lo, exec_lo, s1
	v_mov_b32_e32 v4, 0
	ds_load_b64 v[4:5], v4 offset:24
	s_wait_dscnt 0x0
	v_mul_f32_e32 v10, v3, v5
	v_mul_f32_e32 v6, v9, v5
	s_delay_alu instid0(VALU_DEP_2) | instskip(NEXT) | instid1(VALU_DEP_2)
	v_fma_f32 v5, v9, v4, -v10
	v_fmac_f32_e32 v6, v3, v4
	scratch_store_b64 off, v[5:6], off offset:24
.LBB38_27:
	s_wait_alu 0xfffe
	s_or_b32 exec_lo, exec_lo, s0
	s_wait_loadcnt 0x0
	s_wait_storecnt 0x0
	s_barrier_signal -1
	s_barrier_wait -1
	global_inv scope:SCOPE_SE
	scratch_load_b64 v[3:4], off, off offset:32
	s_mov_b32 s0, exec_lo
	s_wait_loadcnt 0x0
	ds_store_b64 v1, v[3:4]
	s_wait_dscnt 0x0
	s_barrier_signal -1
	s_barrier_wait -1
	global_inv scope:SCOPE_SE
	v_cmpx_gt_u32_e32 4, v0
	s_cbranch_execz .LBB38_31
; %bb.28:
	v_dual_mov_b32 v3, 0 :: v_dual_add_nc_u32 v4, -1, v0
	v_dual_mov_b32 v6, v7 :: v_dual_add_nc_u32 v5, 0x140, v7
	v_mov_b32_e32 v9, 0
	s_mov_b32 s1, 0
.LBB38_29:                              ; =>This Inner Loop Header: Depth=1
	scratch_load_b64 v[10:11], v6, off
	ds_load_b64 v[12:13], v5
	v_add_nc_u32_e32 v4, 1, v4
	v_add_nc_u32_e32 v5, 8, v5
	s_delay_alu instid0(VALU_DEP_2)
	v_cmp_lt_u32_e32 vcc_lo, 2, v4
	s_wait_alu 0xfffe
	s_or_b32 s1, vcc_lo, s1
	s_wait_loadcnt_dscnt 0x0
	v_mul_f32_e32 v14, v13, v11
	v_mul_f32_e32 v11, v12, v11
	s_delay_alu instid0(VALU_DEP_2) | instskip(NEXT) | instid1(VALU_DEP_2)
	v_fma_f32 v12, v12, v10, -v14
	v_fmac_f32_e32 v11, v13, v10
	s_delay_alu instid0(VALU_DEP_2) | instskip(NEXT) | instid1(VALU_DEP_2)
	v_dual_add_f32 v9, v9, v12 :: v_dual_add_nc_u32 v6, 8, v6
	v_add_f32_e32 v3, v3, v11
	s_wait_alu 0xfffe
	s_and_not1_b32 exec_lo, exec_lo, s1
	s_cbranch_execnz .LBB38_29
; %bb.30:
	s_or_b32 exec_lo, exec_lo, s1
	v_mov_b32_e32 v4, 0
	ds_load_b64 v[4:5], v4 offset:32
	s_wait_dscnt 0x0
	v_mul_f32_e32 v10, v3, v5
	v_mul_f32_e32 v6, v9, v5
	s_delay_alu instid0(VALU_DEP_2) | instskip(NEXT) | instid1(VALU_DEP_2)
	v_fma_f32 v5, v9, v4, -v10
	v_fmac_f32_e32 v6, v3, v4
	scratch_store_b64 off, v[5:6], off offset:32
.LBB38_31:
	s_wait_alu 0xfffe
	s_or_b32 exec_lo, exec_lo, s0
	s_wait_loadcnt 0x0
	s_wait_storecnt 0x0
	s_barrier_signal -1
	s_barrier_wait -1
	global_inv scope:SCOPE_SE
	scratch_load_b64 v[3:4], off, off offset:40
	;; [unrolled: 55-line block ×19, first 2 shown]
	s_mov_b32 s0, exec_lo
	s_wait_loadcnt 0x0
	ds_store_b64 v1, v[3:4]
	s_wait_dscnt 0x0
	s_barrier_signal -1
	s_barrier_wait -1
	global_inv scope:SCOPE_SE
	v_cmpx_gt_u32_e32 22, v0
	s_cbranch_execz .LBB38_103
; %bb.100:
	v_dual_mov_b32 v3, 0 :: v_dual_add_nc_u32 v4, -1, v0
	v_dual_mov_b32 v6, v7 :: v_dual_add_nc_u32 v5, 0x140, v7
	v_mov_b32_e32 v9, 0
	s_mov_b32 s1, 0
.LBB38_101:                             ; =>This Inner Loop Header: Depth=1
	scratch_load_b64 v[10:11], v6, off
	ds_load_b64 v[12:13], v5
	v_add_nc_u32_e32 v4, 1, v4
	v_add_nc_u32_e32 v5, 8, v5
	s_delay_alu instid0(VALU_DEP_2)
	v_cmp_lt_u32_e32 vcc_lo, 20, v4
	s_wait_alu 0xfffe
	s_or_b32 s1, vcc_lo, s1
	s_wait_loadcnt_dscnt 0x0
	v_mul_f32_e32 v14, v13, v11
	v_mul_f32_e32 v11, v12, v11
	s_delay_alu instid0(VALU_DEP_2) | instskip(NEXT) | instid1(VALU_DEP_2)
	v_fma_f32 v12, v12, v10, -v14
	v_fmac_f32_e32 v11, v13, v10
	s_delay_alu instid0(VALU_DEP_2) | instskip(NEXT) | instid1(VALU_DEP_2)
	v_dual_add_f32 v9, v9, v12 :: v_dual_add_nc_u32 v6, 8, v6
	v_add_f32_e32 v3, v3, v11
	s_wait_alu 0xfffe
	s_and_not1_b32 exec_lo, exec_lo, s1
	s_cbranch_execnz .LBB38_101
; %bb.102:
	s_or_b32 exec_lo, exec_lo, s1
	v_mov_b32_e32 v4, 0
	ds_load_b64 v[4:5], v4 offset:176
	s_wait_dscnt 0x0
	v_mul_f32_e32 v10, v3, v5
	v_mul_f32_e32 v6, v9, v5
	s_delay_alu instid0(VALU_DEP_2) | instskip(NEXT) | instid1(VALU_DEP_2)
	v_fma_f32 v5, v9, v4, -v10
	v_fmac_f32_e32 v6, v3, v4
	scratch_store_b64 off, v[5:6], off offset:176
.LBB38_103:
	s_wait_alu 0xfffe
	s_or_b32 exec_lo, exec_lo, s0
	s_wait_loadcnt 0x0
	s_wait_storecnt 0x0
	s_barrier_signal -1
	s_barrier_wait -1
	global_inv scope:SCOPE_SE
	scratch_load_b64 v[3:4], off, off offset:184
	s_mov_b32 s0, exec_lo
	s_wait_loadcnt 0x0
	ds_store_b64 v1, v[3:4]
	s_wait_dscnt 0x0
	s_barrier_signal -1
	s_barrier_wait -1
	global_inv scope:SCOPE_SE
	v_cmpx_gt_u32_e32 23, v0
	s_cbranch_execz .LBB38_107
; %bb.104:
	v_dual_mov_b32 v3, 0 :: v_dual_add_nc_u32 v4, -1, v0
	v_dual_mov_b32 v6, v7 :: v_dual_add_nc_u32 v5, 0x140, v7
	v_mov_b32_e32 v9, 0
	s_mov_b32 s1, 0
.LBB38_105:                             ; =>This Inner Loop Header: Depth=1
	scratch_load_b64 v[10:11], v6, off
	ds_load_b64 v[12:13], v5
	v_add_nc_u32_e32 v4, 1, v4
	v_add_nc_u32_e32 v5, 8, v5
	s_delay_alu instid0(VALU_DEP_2)
	v_cmp_lt_u32_e32 vcc_lo, 21, v4
	s_wait_alu 0xfffe
	s_or_b32 s1, vcc_lo, s1
	s_wait_loadcnt_dscnt 0x0
	v_mul_f32_e32 v14, v13, v11
	v_mul_f32_e32 v11, v12, v11
	s_delay_alu instid0(VALU_DEP_2) | instskip(NEXT) | instid1(VALU_DEP_2)
	v_fma_f32 v12, v12, v10, -v14
	v_fmac_f32_e32 v11, v13, v10
	s_delay_alu instid0(VALU_DEP_2) | instskip(NEXT) | instid1(VALU_DEP_2)
	v_dual_add_f32 v9, v9, v12 :: v_dual_add_nc_u32 v6, 8, v6
	v_add_f32_e32 v3, v3, v11
	s_wait_alu 0xfffe
	s_and_not1_b32 exec_lo, exec_lo, s1
	s_cbranch_execnz .LBB38_105
; %bb.106:
	s_or_b32 exec_lo, exec_lo, s1
	v_mov_b32_e32 v4, 0
	ds_load_b64 v[4:5], v4 offset:184
	s_wait_dscnt 0x0
	v_mul_f32_e32 v10, v3, v5
	v_mul_f32_e32 v6, v9, v5
	s_delay_alu instid0(VALU_DEP_2) | instskip(NEXT) | instid1(VALU_DEP_2)
	v_fma_f32 v5, v9, v4, -v10
	v_fmac_f32_e32 v6, v3, v4
	scratch_store_b64 off, v[5:6], off offset:184
.LBB38_107:
	s_wait_alu 0xfffe
	s_or_b32 exec_lo, exec_lo, s0
	s_wait_loadcnt 0x0
	s_wait_storecnt 0x0
	s_barrier_signal -1
	s_barrier_wait -1
	global_inv scope:SCOPE_SE
	scratch_load_b64 v[3:4], off, off offset:192
	;; [unrolled: 55-line block ×15, first 2 shown]
	s_mov_b32 s0, exec_lo
	s_wait_loadcnt 0x0
	ds_store_b64 v1, v[3:4]
	s_wait_dscnt 0x0
	s_barrier_signal -1
	s_barrier_wait -1
	global_inv scope:SCOPE_SE
	v_cmpx_gt_u32_e32 37, v0
	s_cbranch_execz .LBB38_163
; %bb.160:
	v_dual_mov_b32 v3, 0 :: v_dual_add_nc_u32 v4, -1, v0
	v_dual_mov_b32 v6, v7 :: v_dual_add_nc_u32 v5, 0x140, v7
	v_mov_b32_e32 v7, 0
	s_mov_b32 s1, 0
.LBB38_161:                             ; =>This Inner Loop Header: Depth=1
	scratch_load_b64 v[9:10], v6, off
	ds_load_b64 v[11:12], v5
	v_add_nc_u32_e32 v6, 8, v6
	v_add_nc_u32_e32 v4, 1, v4
	;; [unrolled: 1-line block ×3, first 2 shown]
	s_delay_alu instid0(VALU_DEP_2)
	v_cmp_lt_u32_e32 vcc_lo, 35, v4
	s_wait_alu 0xfffe
	s_or_b32 s1, vcc_lo, s1
	s_wait_loadcnt_dscnt 0x0
	v_mul_f32_e32 v13, v12, v10
	v_mul_f32_e32 v10, v11, v10
	s_delay_alu instid0(VALU_DEP_2) | instskip(NEXT) | instid1(VALU_DEP_1)
	v_fma_f32 v11, v11, v9, -v13
	v_dual_fmac_f32 v10, v12, v9 :: v_dual_add_f32 v7, v7, v11
	s_delay_alu instid0(VALU_DEP_1)
	v_add_f32_e32 v3, v3, v10
	s_wait_alu 0xfffe
	s_and_not1_b32 exec_lo, exec_lo, s1
	s_cbranch_execnz .LBB38_161
; %bb.162:
	s_or_b32 exec_lo, exec_lo, s1
	v_mov_b32_e32 v4, 0
	ds_load_b64 v[4:5], v4 offset:296
	s_wait_dscnt 0x0
	v_mul_f32_e32 v9, v3, v5
	v_mul_f32_e32 v6, v7, v5
	s_delay_alu instid0(VALU_DEP_2) | instskip(NEXT) | instid1(VALU_DEP_2)
	v_fma_f32 v5, v7, v4, -v9
	v_fmac_f32_e32 v6, v3, v4
	scratch_store_b64 off, v[5:6], off offset:296
.LBB38_163:
	s_wait_alu 0xfffe
	s_or_b32 exec_lo, exec_lo, s0
	s_wait_loadcnt 0x0
	s_wait_storecnt 0x0
	s_barrier_signal -1
	s_barrier_wait -1
	global_inv scope:SCOPE_SE
	scratch_load_b64 v[3:4], off, off offset:304
	s_mov_b32 s0, exec_lo
	s_wait_loadcnt 0x0
	ds_store_b64 v1, v[3:4]
	s_wait_dscnt 0x0
	s_barrier_signal -1
	s_barrier_wait -1
	global_inv scope:SCOPE_SE
	v_cmpx_ne_u32_e32 38, v0
	s_cbranch_execz .LBB38_167
; %bb.164:
	v_dual_mov_b32 v3, 0 :: v_dual_mov_b32 v4, 0
	s_mov_b32 s1, 0
.LBB38_165:                             ; =>This Inner Loop Header: Depth=1
	scratch_load_b64 v[5:6], v8, off
	ds_load_b64 v[9:10], v1
	v_add_nc_u32_e32 v2, 1, v2
	v_add_nc_u32_e32 v1, 8, v1
	;; [unrolled: 1-line block ×3, first 2 shown]
	s_delay_alu instid0(VALU_DEP_3)
	v_cmp_lt_u32_e32 vcc_lo, 36, v2
	s_wait_alu 0xfffe
	s_or_b32 s1, vcc_lo, s1
	s_wait_loadcnt_dscnt 0x0
	v_mul_f32_e32 v7, v10, v6
	v_mul_f32_e32 v6, v9, v6
	s_delay_alu instid0(VALU_DEP_2) | instskip(NEXT) | instid1(VALU_DEP_2)
	v_fma_f32 v7, v9, v5, -v7
	v_fmac_f32_e32 v6, v10, v5
	s_delay_alu instid0(VALU_DEP_1)
	v_dual_add_f32 v4, v4, v7 :: v_dual_add_f32 v3, v3, v6
	s_wait_alu 0xfffe
	s_and_not1_b32 exec_lo, exec_lo, s1
	s_cbranch_execnz .LBB38_165
; %bb.166:
	s_or_b32 exec_lo, exec_lo, s1
	v_mov_b32_e32 v1, 0
	ds_load_b64 v[1:2], v1 offset:304
	s_wait_dscnt 0x0
	v_mul_f32_e32 v6, v3, v2
	v_mul_f32_e32 v5, v4, v2
	s_delay_alu instid0(VALU_DEP_2) | instskip(NEXT) | instid1(VALU_DEP_2)
	v_fma_f32 v4, v4, v1, -v6
	v_fmac_f32_e32 v5, v3, v1
	scratch_store_b64 off, v[4:5], off offset:304
.LBB38_167:
	s_wait_alu 0xfffe
	s_or_b32 exec_lo, exec_lo, s0
	s_mov_b32 s1, -1
	s_wait_loadcnt 0x0
	s_wait_storecnt 0x0
	s_barrier_signal -1
	s_barrier_wait -1
	global_inv scope:SCOPE_SE
.LBB38_168:
	s_wait_alu 0xfffe
	s_and_b32 vcc_lo, exec_lo, s1
	s_wait_alu 0xfffe
	s_cbranch_vccz .LBB38_170
; %bb.169:
	v_mov_b32_e32 v1, 0
	s_lshl_b64 s[0:1], s[16:17], 2
	s_wait_alu 0xfffe
	s_add_nc_u64 s[0:1], s[6:7], s[0:1]
	global_load_b32 v1, v1, s[0:1]
	s_wait_loadcnt 0x0
	v_cmp_ne_u32_e32 vcc_lo, 0, v1
	s_cbranch_vccz .LBB38_171
.LBB38_170:
	s_nop 0
	s_sendmsg sendmsg(MSG_DEALLOC_VGPRS)
	s_endpgm
.LBB38_171:
	v_lshl_add_u32 v23, v0, 3, 0x140
	s_mov_b32 s0, exec_lo
	v_cmpx_eq_u32_e32 38, v0
	s_cbranch_execz .LBB38_173
; %bb.172:
	scratch_load_b64 v[1:2], off, off offset:296
	v_mov_b32_e32 v3, 0
	s_delay_alu instid0(VALU_DEP_1)
	v_mov_b32_e32 v4, v3
	scratch_store_b64 off, v[3:4], off offset:296
	s_wait_loadcnt 0x0
	ds_store_b64 v23, v[1:2]
.LBB38_173:
	s_wait_alu 0xfffe
	s_or_b32 exec_lo, exec_lo, s0
	s_wait_storecnt_dscnt 0x0
	s_barrier_signal -1
	s_barrier_wait -1
	global_inv scope:SCOPE_SE
	s_clause 0x1
	scratch_load_b64 v[2:3], off, off offset:304
	scratch_load_b64 v[4:5], off, off offset:296
	v_mov_b32_e32 v1, 0
	s_mov_b32 s0, exec_lo
	ds_load_b64 v[6:7], v1 offset:624
	s_wait_loadcnt_dscnt 0x100
	v_mul_f32_e32 v8, v7, v3
	v_mul_f32_e32 v3, v6, v3
	s_delay_alu instid0(VALU_DEP_2) | instskip(NEXT) | instid1(VALU_DEP_2)
	v_fma_f32 v6, v6, v2, -v8
	v_fmac_f32_e32 v3, v7, v2
	s_delay_alu instid0(VALU_DEP_1) | instskip(SKIP_1) | instid1(VALU_DEP_1)
	v_dual_add_f32 v2, 0, v6 :: v_dual_add_f32 v3, 0, v3
	s_wait_loadcnt 0x0
	v_dual_sub_f32 v2, v4, v2 :: v_dual_sub_f32 v3, v5, v3
	scratch_store_b64 off, v[2:3], off offset:296
	v_cmpx_lt_u32_e32 36, v0
	s_cbranch_execz .LBB38_175
; %bb.174:
	scratch_load_b64 v[3:4], off, off offset:288
	v_mov_b32_e32 v2, v1
	scratch_store_b64 off, v[1:2], off offset:288
	s_wait_loadcnt 0x0
	ds_store_b64 v23, v[3:4]
.LBB38_175:
	s_wait_alu 0xfffe
	s_or_b32 exec_lo, exec_lo, s0
	s_wait_storecnt_dscnt 0x0
	s_barrier_signal -1
	s_barrier_wait -1
	global_inv scope:SCOPE_SE
	s_clause 0x1
	scratch_load_b128 v[2:5], off, off offset:296
	scratch_load_b64 v[10:11], off, off offset:288
	ds_load_2addr_b64 v[6:9], v1 offset0:77 offset1:78
	s_mov_b32 s0, exec_lo
	s_wait_loadcnt_dscnt 0x100
	v_dual_mul_f32 v1, v7, v3 :: v_dual_mul_f32 v12, v8, v5
	v_mul_f32_e32 v3, v6, v3
	s_delay_alu instid0(VALU_DEP_2) | instskip(NEXT) | instid1(VALU_DEP_2)
	v_fma_f32 v1, v6, v2, -v1
	v_dual_fmac_f32 v12, v9, v4 :: v_dual_fmac_f32 v3, v7, v2
	s_delay_alu instid0(VALU_DEP_2) | instskip(NEXT) | instid1(VALU_DEP_2)
	v_add_f32_e32 v1, 0, v1
	v_add_f32_e32 v3, 0, v3
	v_mul_f32_e32 v5, v9, v5
	s_delay_alu instid0(VALU_DEP_1) | instskip(NEXT) | instid1(VALU_DEP_1)
	v_fma_f32 v2, v8, v4, -v5
	v_dual_add_f32 v1, v1, v2 :: v_dual_add_f32 v2, v3, v12
	s_wait_loadcnt 0x0
	s_delay_alu instid0(VALU_DEP_1)
	v_dual_sub_f32 v1, v10, v1 :: v_dual_sub_f32 v2, v11, v2
	scratch_store_b64 off, v[1:2], off offset:288
	v_cmpx_lt_u32_e32 35, v0
	s_cbranch_execz .LBB38_177
; %bb.176:
	scratch_load_b64 v[1:2], off, off offset:280
	v_mov_b32_e32 v3, 0
	s_delay_alu instid0(VALU_DEP_1)
	v_mov_b32_e32 v4, v3
	scratch_store_b64 off, v[3:4], off offset:280
	s_wait_loadcnt 0x0
	ds_store_b64 v23, v[1:2]
.LBB38_177:
	s_wait_alu 0xfffe
	s_or_b32 exec_lo, exec_lo, s0
	s_wait_storecnt_dscnt 0x0
	s_barrier_signal -1
	s_barrier_wait -1
	global_inv scope:SCOPE_SE
	s_clause 0x2
	scratch_load_b128 v[2:5], off, off offset:288
	scratch_load_b64 v[10:11], off, off offset:304
	scratch_load_b64 v[12:13], off, off offset:280
	v_mov_b32_e32 v1, 0
	ds_load_b128 v[6:9], v1 offset:608
	ds_load_b64 v[14:15], v1 offset:624
	s_mov_b32 s0, exec_lo
	s_wait_loadcnt_dscnt 0x201
	v_dual_mul_f32 v16, v7, v3 :: v_dual_mul_f32 v17, v8, v5
	s_wait_loadcnt_dscnt 0x100
	v_mul_f32_e32 v18, v14, v11
	v_mul_f32_e32 v3, v6, v3
	;; [unrolled: 1-line block ×3, first 2 shown]
	v_fma_f32 v6, v6, v2, -v16
	s_delay_alu instid0(VALU_DEP_4) | instskip(NEXT) | instid1(VALU_DEP_4)
	v_fmac_f32_e32 v18, v15, v10
	v_fmac_f32_e32 v3, v7, v2
	v_mul_f32_e32 v2, v15, v11
	s_delay_alu instid0(VALU_DEP_1) | instskip(SKIP_3) | instid1(VALU_DEP_1)
	v_fma_f32 v2, v14, v10, -v2
	v_fmac_f32_e32 v17, v9, v4
	v_fma_f32 v4, v8, v4, -v5
	v_add_f32_e32 v5, 0, v6
	v_add_f32_e32 v4, v5, v4
	s_delay_alu instid0(VALU_DEP_1) | instskip(SKIP_1) | instid1(VALU_DEP_1)
	v_dual_add_f32 v2, v4, v2 :: v_dual_add_f32 v3, 0, v3
	s_wait_loadcnt 0x0
	v_dual_sub_f32 v2, v12, v2 :: v_dual_add_f32 v3, v3, v17
	s_delay_alu instid0(VALU_DEP_1) | instskip(NEXT) | instid1(VALU_DEP_1)
	v_add_f32_e32 v3, v3, v18
	v_sub_f32_e32 v3, v13, v3
	scratch_store_b64 off, v[2:3], off offset:280
	v_cmpx_lt_u32_e32 34, v0
	s_cbranch_execz .LBB38_179
; %bb.178:
	scratch_load_b64 v[3:4], off, off offset:272
	v_mov_b32_e32 v2, v1
	scratch_store_b64 off, v[1:2], off offset:272
	s_wait_loadcnt 0x0
	ds_store_b64 v23, v[3:4]
.LBB38_179:
	s_wait_alu 0xfffe
	s_or_b32 exec_lo, exec_lo, s0
	s_wait_storecnt_dscnt 0x0
	s_barrier_signal -1
	s_barrier_wait -1
	global_inv scope:SCOPE_SE
	s_clause 0x2
	scratch_load_b128 v[2:5], off, off offset:280
	scratch_load_b128 v[6:9], off, off offset:296
	scratch_load_b64 v[18:19], off, off offset:272
	ds_load_2addr_b64 v[10:13], v1 offset0:75 offset1:76
	ds_load_2addr_b64 v[14:17], v1 offset0:77 offset1:78
	s_mov_b32 s0, exec_lo
	s_wait_loadcnt_dscnt 0x201
	v_dual_mul_f32 v1, v10, v3 :: v_dual_mul_f32 v20, v12, v5
	s_wait_loadcnt_dscnt 0x100
	v_dual_mul_f32 v3, v11, v3 :: v_dual_mul_f32 v22, v16, v9
	v_mul_f32_e32 v5, v13, v5
	s_delay_alu instid0(VALU_DEP_3) | instskip(NEXT) | instid1(VALU_DEP_3)
	v_dual_mul_f32 v21, v14, v7 :: v_dual_fmac_f32 v20, v13, v4
	v_fma_f32 v3, v10, v2, -v3
	s_delay_alu instid0(VALU_DEP_4) | instskip(SKIP_2) | instid1(VALU_DEP_4)
	v_dual_fmac_f32 v1, v11, v2 :: v_dual_fmac_f32 v22, v17, v8
	v_mul_f32_e32 v2, v15, v7
	v_fma_f32 v4, v12, v4, -v5
	v_add_f32_e32 v3, 0, v3
	v_fmac_f32_e32 v21, v15, v6
	s_delay_alu instid0(VALU_DEP_4) | instskip(NEXT) | instid1(VALU_DEP_3)
	v_fma_f32 v2, v14, v6, -v2
	v_add_f32_e32 v3, v3, v4
	s_delay_alu instid0(VALU_DEP_1) | instskip(NEXT) | instid1(VALU_DEP_1)
	v_dual_add_f32 v1, 0, v1 :: v_dual_add_f32 v2, v3, v2
	v_add_f32_e32 v1, v1, v20
	s_delay_alu instid0(VALU_DEP_1) | instskip(NEXT) | instid1(VALU_DEP_1)
	v_add_f32_e32 v1, v1, v21
	v_add_f32_e32 v3, v1, v22
	v_mul_f32_e32 v5, v17, v9
	s_delay_alu instid0(VALU_DEP_1) | instskip(NEXT) | instid1(VALU_DEP_1)
	v_fma_f32 v4, v16, v8, -v5
	v_add_f32_e32 v2, v2, v4
	s_wait_loadcnt 0x0
	s_delay_alu instid0(VALU_DEP_1)
	v_dual_sub_f32 v1, v18, v2 :: v_dual_sub_f32 v2, v19, v3
	scratch_store_b64 off, v[1:2], off offset:272
	v_cmpx_lt_u32_e32 33, v0
	s_cbranch_execz .LBB38_181
; %bb.180:
	scratch_load_b64 v[1:2], off, off offset:264
	v_mov_b32_e32 v3, 0
	s_delay_alu instid0(VALU_DEP_1)
	v_mov_b32_e32 v4, v3
	scratch_store_b64 off, v[3:4], off offset:264
	s_wait_loadcnt 0x0
	ds_store_b64 v23, v[1:2]
.LBB38_181:
	s_wait_alu 0xfffe
	s_or_b32 exec_lo, exec_lo, s0
	s_wait_storecnt_dscnt 0x0
	s_barrier_signal -1
	s_barrier_wait -1
	global_inv scope:SCOPE_SE
	s_clause 0x3
	scratch_load_b128 v[2:5], off, off offset:272
	scratch_load_b128 v[6:9], off, off offset:288
	scratch_load_b64 v[18:19], off, off offset:304
	scratch_load_b64 v[20:21], off, off offset:264
	v_mov_b32_e32 v1, 0
	ds_load_b128 v[10:13], v1 offset:592
	ds_load_b128 v[14:17], v1 offset:608
	ds_load_b64 v[102:103], v1 offset:624
	s_mov_b32 s0, exec_lo
	s_wait_loadcnt_dscnt 0x302
	v_mul_f32_e32 v22, v10, v3
	v_dual_mul_f32 v104, v12, v5 :: v_dual_mul_f32 v3, v11, v3
	v_mul_f32_e32 v5, v13, v5
	s_wait_loadcnt_dscnt 0x100
	s_delay_alu instid0(VALU_DEP_3)
	v_dual_mul_f32 v107, v102, v19 :: v_dual_fmac_f32 v22, v11, v2
	v_dual_mul_f32 v105, v14, v7 :: v_dual_mul_f32 v106, v16, v9
	v_fma_f32 v3, v10, v2, -v3
	v_mul_f32_e32 v2, v15, v7
	v_fmac_f32_e32 v104, v13, v4
	v_fma_f32 v4, v12, v4, -v5
	v_dual_add_f32 v5, 0, v22 :: v_dual_fmac_f32 v106, v17, v8
	v_add_f32_e32 v3, 0, v3
	v_fma_f32 v2, v14, v6, -v2
	v_fmac_f32_e32 v105, v15, v6
	v_fmac_f32_e32 v107, v103, v18
	s_delay_alu instid0(VALU_DEP_4) | instskip(SKIP_2) | instid1(VALU_DEP_3)
	v_add_f32_e32 v3, v3, v4
	v_mul_f32_e32 v7, v17, v9
	v_add_f32_e32 v4, v5, v104
	v_add_f32_e32 v2, v3, v2
	s_delay_alu instid0(VALU_DEP_3) | instskip(NEXT) | instid1(VALU_DEP_1)
	v_fma_f32 v6, v16, v8, -v7
	v_dual_add_f32 v3, v4, v105 :: v_dual_add_f32 v2, v2, v6
	v_mul_f32_e32 v5, v103, v19
	s_delay_alu instid0(VALU_DEP_2) | instskip(NEXT) | instid1(VALU_DEP_2)
	v_add_f32_e32 v3, v3, v106
	v_fma_f32 v4, v102, v18, -v5
	s_delay_alu instid0(VALU_DEP_1) | instskip(SKIP_1) | instid1(VALU_DEP_1)
	v_dual_add_f32 v2, v2, v4 :: v_dual_add_f32 v3, v3, v107
	s_wait_loadcnt 0x0
	v_dual_sub_f32 v2, v20, v2 :: v_dual_sub_f32 v3, v21, v3
	scratch_store_b64 off, v[2:3], off offset:264
	v_cmpx_lt_u32_e32 32, v0
	s_cbranch_execz .LBB38_183
; %bb.182:
	scratch_load_b64 v[3:4], off, off offset:256
	v_mov_b32_e32 v2, v1
	scratch_store_b64 off, v[1:2], off offset:256
	s_wait_loadcnt 0x0
	ds_store_b64 v23, v[3:4]
.LBB38_183:
	s_wait_alu 0xfffe
	s_or_b32 exec_lo, exec_lo, s0
	s_wait_storecnt_dscnt 0x0
	s_barrier_signal -1
	s_barrier_wait -1
	global_inv scope:SCOPE_SE
	s_clause 0x3
	scratch_load_b128 v[2:5], off, off offset:264
	scratch_load_b128 v[6:9], off, off offset:280
	;; [unrolled: 1-line block ×3, first 2 shown]
	scratch_load_b64 v[106:107], off, off offset:256
	ds_load_2addr_b64 v[14:17], v1 offset0:73 offset1:74
	ds_load_2addr_b64 v[18:21], v1 offset0:75 offset1:76
	ds_load_2addr_b64 v[102:105], v1 offset0:77 offset1:78
	s_mov_b32 s0, exec_lo
	s_wait_loadcnt_dscnt 0x302
	v_dual_mul_f32 v1, v14, v3 :: v_dual_mul_f32 v22, v16, v5
	v_mul_f32_e32 v3, v15, v3
	s_wait_loadcnt_dscnt 0x201
	v_dual_mul_f32 v5, v17, v5 :: v_dual_mul_f32 v108, v18, v7
	s_delay_alu instid0(VALU_DEP_3) | instskip(NEXT) | instid1(VALU_DEP_3)
	v_dual_mul_f32 v109, v20, v9 :: v_dual_fmac_f32 v22, v17, v4
	v_fma_f32 v3, v14, v2, -v3
	v_fmac_f32_e32 v1, v15, v2
	v_mul_f32_e32 v2, v19, v7
	v_fma_f32 v4, v16, v4, -v5
	s_delay_alu instid0(VALU_DEP_4)
	v_dual_fmac_f32 v108, v19, v6 :: v_dual_add_f32 v3, 0, v3
	s_wait_loadcnt_dscnt 0x100
	v_dual_mul_f32 v110, v102, v11 :: v_dual_mul_f32 v111, v104, v13
	v_fma_f32 v2, v18, v6, -v2
	v_fmac_f32_e32 v109, v21, v8
	v_add_f32_e32 v3, v3, v4
	s_delay_alu instid0(VALU_DEP_4) | instskip(SKIP_1) | instid1(VALU_DEP_3)
	v_dual_mul_f32 v5, v21, v9 :: v_dual_fmac_f32 v110, v103, v10
	v_dual_fmac_f32 v111, v105, v12 :: v_dual_mul_f32 v4, v103, v11
	v_add_f32_e32 v2, v3, v2
	s_delay_alu instid0(VALU_DEP_3) | instskip(SKIP_1) | instid1(VALU_DEP_4)
	v_fma_f32 v5, v20, v8, -v5
	v_mul_f32_e32 v3, v105, v13
	v_fma_f32 v4, v102, v10, -v4
	s_delay_alu instid0(VALU_DEP_3) | instskip(SKIP_1) | instid1(VALU_DEP_4)
	v_add_f32_e32 v2, v2, v5
	v_add_f32_e32 v1, 0, v1
	v_fma_f32 v3, v104, v12, -v3
	s_delay_alu instid0(VALU_DEP_2) | instskip(NEXT) | instid1(VALU_DEP_1)
	v_dual_add_f32 v2, v2, v4 :: v_dual_add_f32 v1, v1, v22
	v_dual_add_f32 v2, v2, v3 :: v_dual_add_f32 v1, v1, v108
	s_delay_alu instid0(VALU_DEP_1) | instskip(NEXT) | instid1(VALU_DEP_1)
	v_add_f32_e32 v1, v1, v109
	v_add_f32_e32 v1, v1, v110
	s_delay_alu instid0(VALU_DEP_1) | instskip(SKIP_1) | instid1(VALU_DEP_1)
	v_add_f32_e32 v3, v1, v111
	s_wait_loadcnt 0x0
	v_dual_sub_f32 v1, v106, v2 :: v_dual_sub_f32 v2, v107, v3
	scratch_store_b64 off, v[1:2], off offset:256
	v_cmpx_lt_u32_e32 31, v0
	s_cbranch_execz .LBB38_185
; %bb.184:
	scratch_load_b64 v[1:2], off, off offset:248
	v_mov_b32_e32 v3, 0
	s_delay_alu instid0(VALU_DEP_1)
	v_mov_b32_e32 v4, v3
	scratch_store_b64 off, v[3:4], off offset:248
	s_wait_loadcnt 0x0
	ds_store_b64 v23, v[1:2]
.LBB38_185:
	s_wait_alu 0xfffe
	s_or_b32 exec_lo, exec_lo, s0
	s_wait_storecnt_dscnt 0x0
	s_barrier_signal -1
	s_barrier_wait -1
	global_inv scope:SCOPE_SE
	s_clause 0x4
	scratch_load_b128 v[2:5], off, off offset:256
	scratch_load_b128 v[6:9], off, off offset:272
	scratch_load_b128 v[10:13], off, off offset:288
	scratch_load_b64 v[106:107], off, off offset:304
	scratch_load_b64 v[108:109], off, off offset:248
	v_mov_b32_e32 v1, 0
	ds_load_b128 v[14:17], v1 offset:576
	ds_load_b128 v[18:21], v1 offset:592
	;; [unrolled: 1-line block ×3, first 2 shown]
	ds_load_b64 v[110:111], v1 offset:624
	s_mov_b32 s0, exec_lo
	s_wait_loadcnt_dscnt 0x403
	v_mul_f32_e32 v22, v14, v3
	s_wait_loadcnt_dscnt 0x302
	v_dual_mul_f32 v114, v20, v9 :: v_dual_mul_f32 v3, v15, v3
	v_dual_mul_f32 v112, v16, v5 :: v_dual_mul_f32 v113, v18, v7
	v_mul_f32_e32 v5, v17, v5
	s_wait_loadcnt_dscnt 0x100
	v_dual_mul_f32 v117, v110, v107 :: v_dual_fmac_f32 v22, v15, v2
	v_fma_f32 v3, v14, v2, -v3
	v_mul_f32_e32 v2, v19, v7
	v_fmac_f32_e32 v112, v17, v4
	v_fma_f32 v4, v16, v4, -v5
	v_dual_add_f32 v5, 0, v22 :: v_dual_fmac_f32 v114, v21, v8
	v_add_f32_e32 v3, 0, v3
	v_fma_f32 v2, v18, v6, -v2
	v_fmac_f32_e32 v113, v19, v6
	v_dual_mul_f32 v115, v102, v11 :: v_dual_mul_f32 v116, v104, v13
	s_delay_alu instid0(VALU_DEP_4) | instskip(SKIP_1) | instid1(VALU_DEP_3)
	v_add_f32_e32 v3, v3, v4
	v_mul_f32_e32 v7, v21, v9
	v_dual_add_f32 v4, v5, v112 :: v_dual_fmac_f32 v115, v103, v10
	s_delay_alu instid0(VALU_DEP_4) | instskip(NEXT) | instid1(VALU_DEP_4)
	v_fmac_f32_e32 v116, v105, v12
	v_add_f32_e32 v2, v3, v2
	s_delay_alu instid0(VALU_DEP_4) | instskip(SKIP_3) | instid1(VALU_DEP_4)
	v_fma_f32 v6, v20, v8, -v7
	v_mul_f32_e32 v5, v103, v11
	v_add_f32_e32 v3, v4, v113
	v_mul_f32_e32 v4, v105, v13
	v_add_f32_e32 v2, v2, v6
	s_delay_alu instid0(VALU_DEP_4) | instskip(SKIP_3) | instid1(VALU_DEP_4)
	v_fma_f32 v5, v102, v10, -v5
	v_mul_f32_e32 v6, v111, v107
	v_add_f32_e32 v3, v3, v114
	v_fma_f32 v4, v104, v12, -v4
	v_add_f32_e32 v2, v2, v5
	s_delay_alu instid0(VALU_DEP_4) | instskip(NEXT) | instid1(VALU_DEP_2)
	v_fma_f32 v5, v110, v106, -v6
	v_dual_add_f32 v3, v3, v115 :: v_dual_add_f32 v2, v2, v4
	s_delay_alu instid0(VALU_DEP_1) | instskip(SKIP_1) | instid1(VALU_DEP_1)
	v_dual_fmac_f32 v117, v111, v106 :: v_dual_add_f32 v2, v2, v5
	s_wait_loadcnt 0x0
	v_dual_add_f32 v3, v3, v116 :: v_dual_sub_f32 v2, v108, v2
	s_delay_alu instid0(VALU_DEP_1) | instskip(NEXT) | instid1(VALU_DEP_1)
	v_add_f32_e32 v3, v3, v117
	v_sub_f32_e32 v3, v109, v3
	scratch_store_b64 off, v[2:3], off offset:248
	v_cmpx_lt_u32_e32 30, v0
	s_cbranch_execz .LBB38_187
; %bb.186:
	scratch_load_b64 v[3:4], off, off offset:240
	v_mov_b32_e32 v2, v1
	scratch_store_b64 off, v[1:2], off offset:240
	s_wait_loadcnt 0x0
	ds_store_b64 v23, v[3:4]
.LBB38_187:
	s_wait_alu 0xfffe
	s_or_b32 exec_lo, exec_lo, s0
	s_wait_storecnt_dscnt 0x0
	s_barrier_signal -1
	s_barrier_wait -1
	global_inv scope:SCOPE_SE
	s_clause 0x4
	scratch_load_b128 v[2:5], off, off offset:248
	scratch_load_b128 v[6:9], off, off offset:264
	;; [unrolled: 1-line block ×4, first 2 shown]
	scratch_load_b64 v[114:115], off, off offset:240
	ds_load_2addr_b64 v[18:21], v1 offset0:71 offset1:72
	ds_load_2addr_b64 v[102:105], v1 offset0:73 offset1:74
	;; [unrolled: 1-line block ×4, first 2 shown]
	s_mov_b32 s0, exec_lo
	s_wait_loadcnt_dscnt 0x403
	v_dual_mul_f32 v1, v18, v3 :: v_dual_mul_f32 v22, v20, v5
	v_mul_f32_e32 v3, v19, v3
	s_wait_loadcnt_dscnt 0x302
	v_dual_mul_f32 v5, v21, v5 :: v_dual_mul_f32 v116, v102, v7
	s_delay_alu instid0(VALU_DEP_3) | instskip(NEXT) | instid1(VALU_DEP_3)
	v_dual_mul_f32 v117, v104, v9 :: v_dual_fmac_f32 v22, v21, v4
	v_fma_f32 v3, v18, v2, -v3
	v_fmac_f32_e32 v1, v19, v2
	v_mul_f32_e32 v2, v103, v7
	v_fma_f32 v4, v20, v4, -v5
	s_delay_alu instid0(VALU_DEP_4)
	v_dual_fmac_f32 v116, v103, v6 :: v_dual_add_f32 v3, 0, v3
	s_wait_loadcnt_dscnt 0x201
	v_dual_mul_f32 v118, v106, v11 :: v_dual_mul_f32 v119, v108, v13
	v_fma_f32 v2, v102, v6, -v2
	s_wait_loadcnt_dscnt 0x100
	v_dual_mul_f32 v120, v110, v15 :: v_dual_mul_f32 v121, v112, v17
	v_add_f32_e32 v3, v3, v4
	v_mul_f32_e32 v5, v105, v9
	v_dual_fmac_f32 v117, v105, v8 :: v_dual_fmac_f32 v118, v107, v10
	v_mul_f32_e32 v4, v107, v11
	s_delay_alu instid0(VALU_DEP_4) | instskip(NEXT) | instid1(VALU_DEP_4)
	v_add_f32_e32 v2, v3, v2
	v_fma_f32 v5, v104, v8, -v5
	v_mul_f32_e32 v3, v109, v13
	v_fmac_f32_e32 v121, v113, v16
	v_fma_f32 v4, v106, v10, -v4
	v_fmac_f32_e32 v120, v111, v14
	v_add_f32_e32 v2, v2, v5
	v_add_f32_e32 v1, 0, v1
	v_mul_f32_e32 v5, v111, v15
	v_fma_f32 v3, v108, v12, -v3
	s_delay_alu instid0(VALU_DEP_3) | instskip(SKIP_1) | instid1(VALU_DEP_4)
	v_dual_add_f32 v2, v2, v4 :: v_dual_add_f32 v1, v1, v22
	v_mul_f32_e32 v4, v113, v17
	v_fma_f32 v5, v110, v14, -v5
	s_delay_alu instid0(VALU_DEP_3) | instskip(SKIP_1) | instid1(VALU_DEP_4)
	v_dual_add_f32 v2, v2, v3 :: v_dual_add_f32 v1, v1, v116
	v_fmac_f32_e32 v119, v109, v12
	v_fma_f32 v3, v112, v16, -v4
	s_delay_alu instid0(VALU_DEP_3) | instskip(NEXT) | instid1(VALU_DEP_1)
	v_add_f32_e32 v2, v2, v5
	v_dual_add_f32 v1, v1, v117 :: v_dual_add_f32 v2, v2, v3
	s_delay_alu instid0(VALU_DEP_1) | instskip(NEXT) | instid1(VALU_DEP_1)
	v_add_f32_e32 v1, v1, v118
	v_add_f32_e32 v1, v1, v119
	s_delay_alu instid0(VALU_DEP_1) | instskip(NEXT) | instid1(VALU_DEP_1)
	v_add_f32_e32 v1, v1, v120
	v_add_f32_e32 v3, v1, v121
	s_wait_loadcnt 0x0
	s_delay_alu instid0(VALU_DEP_1)
	v_dual_sub_f32 v1, v114, v2 :: v_dual_sub_f32 v2, v115, v3
	scratch_store_b64 off, v[1:2], off offset:240
	v_cmpx_lt_u32_e32 29, v0
	s_cbranch_execz .LBB38_189
; %bb.188:
	scratch_load_b64 v[1:2], off, off offset:232
	v_mov_b32_e32 v3, 0
	s_delay_alu instid0(VALU_DEP_1)
	v_mov_b32_e32 v4, v3
	scratch_store_b64 off, v[3:4], off offset:232
	s_wait_loadcnt 0x0
	ds_store_b64 v23, v[1:2]
.LBB38_189:
	s_wait_alu 0xfffe
	s_or_b32 exec_lo, exec_lo, s0
	s_wait_storecnt_dscnt 0x0
	s_barrier_signal -1
	s_barrier_wait -1
	global_inv scope:SCOPE_SE
	s_clause 0x5
	scratch_load_b128 v[2:5], off, off offset:240
	scratch_load_b128 v[6:9], off, off offset:256
	;; [unrolled: 1-line block ×4, first 2 shown]
	scratch_load_b64 v[114:115], off, off offset:304
	scratch_load_b64 v[116:117], off, off offset:232
	v_mov_b32_e32 v1, 0
	ds_load_b128 v[18:21], v1 offset:560
	ds_load_b128 v[102:105], v1 offset:576
	;; [unrolled: 1-line block ×4, first 2 shown]
	ds_load_b64 v[118:119], v1 offset:624
	s_mov_b32 s0, exec_lo
	s_wait_loadcnt_dscnt 0x504
	v_mul_f32_e32 v22, v18, v3
	s_wait_loadcnt_dscnt 0x302
	v_dual_mul_f32 v3, v19, v3 :: v_dual_mul_f32 v124, v108, v13
	v_dual_mul_f32 v120, v20, v5 :: v_dual_mul_f32 v121, v102, v7
	v_mul_f32_e32 v5, v21, v5
	s_delay_alu instid0(VALU_DEP_3) | instskip(SKIP_3) | instid1(VALU_DEP_3)
	v_fma_f32 v3, v18, v2, -v3
	s_wait_loadcnt_dscnt 0x100
	v_dual_mul_f32 v127, v118, v115 :: v_dual_fmac_f32 v22, v19, v2
	v_mul_f32_e32 v2, v103, v7
	v_dual_fmac_f32 v120, v21, v4 :: v_dual_add_f32 v3, 0, v3
	v_fma_f32 v4, v20, v4, -v5
	v_dual_mul_f32 v122, v104, v9 :: v_dual_mul_f32 v123, v106, v11
	v_add_f32_e32 v5, 0, v22
	v_fma_f32 v2, v102, v6, -v2
	s_delay_alu instid0(VALU_DEP_4) | instskip(SKIP_3) | instid1(VALU_DEP_4)
	v_add_f32_e32 v3, v3, v4
	v_mul_f32_e32 v7, v105, v9
	v_dual_fmac_f32 v122, v105, v8 :: v_dual_fmac_f32 v121, v103, v6
	v_add_f32_e32 v4, v5, v120
	v_add_f32_e32 v2, v3, v2
	s_delay_alu instid0(VALU_DEP_4)
	v_fma_f32 v6, v104, v8, -v7
	v_mul_f32_e32 v5, v107, v11
	v_dual_fmac_f32 v123, v107, v10 :: v_dual_fmac_f32 v124, v109, v12
	v_add_f32_e32 v3, v4, v121
	v_mul_f32_e32 v4, v109, v13
	v_add_f32_e32 v2, v2, v6
	v_fma_f32 v5, v106, v10, -v5
	v_mul_f32_e32 v6, v111, v15
	v_add_f32_e32 v3, v3, v122
	v_fma_f32 v4, v108, v12, -v4
	v_dual_mul_f32 v125, v110, v15 :: v_dual_mul_f32 v126, v112, v17
	s_delay_alu instid0(VALU_DEP_3) | instskip(SKIP_2) | instid1(VALU_DEP_4)
	v_dual_add_f32 v2, v2, v5 :: v_dual_add_f32 v3, v3, v123
	v_mul_f32_e32 v5, v113, v17
	v_fma_f32 v6, v110, v14, -v6
	v_dual_fmac_f32 v125, v111, v14 :: v_dual_fmac_f32 v126, v113, v16
	s_delay_alu instid0(VALU_DEP_4) | instskip(SKIP_3) | instid1(VALU_DEP_4)
	v_add_f32_e32 v2, v2, v4
	v_add_f32_e32 v3, v3, v124
	v_mul_f32_e32 v4, v119, v115
	v_fma_f32 v5, v112, v16, -v5
	v_add_f32_e32 v2, v2, v6
	v_fmac_f32_e32 v127, v119, v114
	s_delay_alu instid0(VALU_DEP_4) | instskip(NEXT) | instid1(VALU_DEP_3)
	v_fma_f32 v4, v118, v114, -v4
	v_add_f32_e32 v2, v2, v5
	s_delay_alu instid0(VALU_DEP_1) | instskip(NEXT) | instid1(VALU_DEP_1)
	v_dual_add_f32 v3, v3, v125 :: v_dual_add_f32 v2, v2, v4
	v_add_f32_e32 v3, v3, v126
	s_wait_loadcnt 0x0
	s_delay_alu instid0(VALU_DEP_1) | instskip(NEXT) | instid1(VALU_DEP_1)
	v_dual_sub_f32 v2, v116, v2 :: v_dual_add_f32 v3, v3, v127
	v_sub_f32_e32 v3, v117, v3
	scratch_store_b64 off, v[2:3], off offset:232
	v_cmpx_lt_u32_e32 28, v0
	s_cbranch_execz .LBB38_191
; %bb.190:
	scratch_load_b64 v[3:4], off, off offset:224
	v_mov_b32_e32 v2, v1
	scratch_store_b64 off, v[1:2], off offset:224
	s_wait_loadcnt 0x0
	ds_store_b64 v23, v[3:4]
.LBB38_191:
	s_wait_alu 0xfffe
	s_or_b32 exec_lo, exec_lo, s0
	s_wait_storecnt_dscnt 0x0
	s_barrier_signal -1
	s_barrier_wait -1
	global_inv scope:SCOPE_SE
	s_clause 0x5
	scratch_load_b128 v[2:5], off, off offset:232
	scratch_load_b128 v[6:9], off, off offset:248
	;; [unrolled: 1-line block ×5, first 2 shown]
	scratch_load_b64 v[122:123], off, off offset:224
	ds_load_2addr_b64 v[102:105], v1 offset0:69 offset1:70
	ds_load_2addr_b64 v[106:109], v1 offset0:71 offset1:72
	;; [unrolled: 1-line block ×5, first 2 shown]
	s_mov_b32 s0, exec_lo
	s_wait_loadcnt_dscnt 0x504
	v_dual_mul_f32 v1, v102, v3 :: v_dual_mul_f32 v22, v104, v5
	v_mul_f32_e32 v3, v103, v3
	s_wait_loadcnt_dscnt 0x403
	v_dual_mul_f32 v5, v105, v5 :: v_dual_mul_f32 v124, v106, v7
	s_delay_alu instid0(VALU_DEP_3) | instskip(NEXT) | instid1(VALU_DEP_3)
	v_dual_mul_f32 v125, v108, v9 :: v_dual_fmac_f32 v22, v105, v4
	v_fma_f32 v3, v102, v2, -v3
	v_fmac_f32_e32 v1, v103, v2
	v_mul_f32_e32 v2, v107, v7
	v_fma_f32 v4, v104, v4, -v5
	s_delay_alu instid0(VALU_DEP_4)
	v_dual_fmac_f32 v124, v107, v6 :: v_dual_add_f32 v3, 0, v3
	s_wait_loadcnt_dscnt 0x100
	v_dual_mul_f32 v130, v118, v19 :: v_dual_mul_f32 v131, v120, v21
	v_fma_f32 v2, v106, v6, -v2
	v_dual_mul_f32 v126, v110, v11 :: v_dual_mul_f32 v127, v112, v13
	v_add_f32_e32 v3, v3, v4
	v_dual_mul_f32 v5, v109, v9 :: v_dual_mul_f32 v128, v114, v15
	v_dual_mul_f32 v129, v116, v17 :: v_dual_mul_f32 v4, v111, v11
	s_delay_alu instid0(VALU_DEP_3) | instskip(NEXT) | instid1(VALU_DEP_3)
	v_add_f32_e32 v2, v3, v2
	v_fma_f32 v5, v108, v8, -v5
	v_dual_mul_f32 v3, v113, v13 :: v_dual_fmac_f32 v130, v119, v18
	s_delay_alu instid0(VALU_DEP_4) | instskip(SKIP_1) | instid1(VALU_DEP_4)
	v_fma_f32 v4, v110, v10, -v4
	v_dual_fmac_f32 v125, v109, v8 :: v_dual_fmac_f32 v126, v111, v10
	v_add_f32_e32 v2, v2, v5
	v_add_f32_e32 v1, 0, v1
	v_fma_f32 v3, v112, v12, -v3
	v_dual_fmac_f32 v128, v115, v14 :: v_dual_fmac_f32 v129, v117, v16
	s_delay_alu instid0(VALU_DEP_3) | instskip(SKIP_1) | instid1(VALU_DEP_2)
	v_dual_add_f32 v2, v2, v4 :: v_dual_add_f32 v1, v1, v22
	v_mul_f32_e32 v4, v117, v17
	v_dual_fmac_f32 v131, v121, v20 :: v_dual_add_f32 v2, v2, v3
	s_delay_alu instid0(VALU_DEP_3) | instskip(NEXT) | instid1(VALU_DEP_3)
	v_add_f32_e32 v1, v1, v124
	v_fma_f32 v4, v116, v16, -v4
	v_mul_f32_e32 v5, v115, v15
	v_mul_f32_e32 v3, v119, v19
	s_delay_alu instid0(VALU_DEP_4) | instskip(NEXT) | instid1(VALU_DEP_3)
	v_add_f32_e32 v1, v1, v125
	v_fma_f32 v5, v114, v14, -v5
	v_fmac_f32_e32 v127, v113, v12
	s_delay_alu instid0(VALU_DEP_4) | instskip(NEXT) | instid1(VALU_DEP_3)
	v_fma_f32 v3, v118, v18, -v3
	v_add_f32_e32 v2, v2, v5
	s_delay_alu instid0(VALU_DEP_1) | instskip(SKIP_1) | instid1(VALU_DEP_2)
	v_dual_mul_f32 v5, v121, v21 :: v_dual_add_f32 v2, v2, v4
	v_add_f32_e32 v1, v1, v126
	v_fma_f32 v4, v120, v20, -v5
	s_delay_alu instid0(VALU_DEP_3) | instskip(NEXT) | instid1(VALU_DEP_1)
	v_add_f32_e32 v2, v2, v3
	v_dual_add_f32 v1, v1, v127 :: v_dual_add_f32 v2, v2, v4
	s_delay_alu instid0(VALU_DEP_1) | instskip(NEXT) | instid1(VALU_DEP_1)
	v_add_f32_e32 v1, v1, v128
	v_add_f32_e32 v1, v1, v129
	s_delay_alu instid0(VALU_DEP_1) | instskip(NEXT) | instid1(VALU_DEP_1)
	v_add_f32_e32 v1, v1, v130
	v_add_f32_e32 v3, v1, v131
	s_wait_loadcnt 0x0
	s_delay_alu instid0(VALU_DEP_1)
	v_dual_sub_f32 v1, v122, v2 :: v_dual_sub_f32 v2, v123, v3
	scratch_store_b64 off, v[1:2], off offset:224
	v_cmpx_lt_u32_e32 27, v0
	s_cbranch_execz .LBB38_193
; %bb.192:
	scratch_load_b64 v[1:2], off, off offset:216
	v_mov_b32_e32 v3, 0
	s_delay_alu instid0(VALU_DEP_1)
	v_mov_b32_e32 v4, v3
	scratch_store_b64 off, v[3:4], off offset:216
	s_wait_loadcnt 0x0
	ds_store_b64 v23, v[1:2]
.LBB38_193:
	s_wait_alu 0xfffe
	s_or_b32 exec_lo, exec_lo, s0
	s_wait_storecnt_dscnt 0x0
	s_barrier_signal -1
	s_barrier_wait -1
	global_inv scope:SCOPE_SE
	s_clause 0x6
	scratch_load_b128 v[2:5], off, off offset:224
	scratch_load_b128 v[6:9], off, off offset:240
	;; [unrolled: 1-line block ×5, first 2 shown]
	scratch_load_b64 v[122:123], off, off offset:304
	scratch_load_b64 v[124:125], off, off offset:216
	v_mov_b32_e32 v1, 0
	ds_load_b128 v[102:105], v1 offset:544
	ds_load_b128 v[106:109], v1 offset:560
	;; [unrolled: 1-line block ×5, first 2 shown]
	ds_load_b64 v[126:127], v1 offset:624
	s_mov_b32 s0, exec_lo
	s_wait_loadcnt_dscnt 0x605
	v_mul_f32_e32 v22, v102, v3
	v_dual_mul_f32 v3, v103, v3 :: v_dual_mul_f32 v128, v104, v5
	s_wait_loadcnt_dscnt 0x302
	v_dual_mul_f32 v129, v106, v7 :: v_dual_mul_f32 v134, v116, v17
	v_mul_f32_e32 v5, v105, v5
	s_delay_alu instid0(VALU_DEP_3) | instskip(SKIP_3) | instid1(VALU_DEP_3)
	v_fma_f32 v3, v102, v2, -v3
	s_wait_loadcnt_dscnt 0x100
	v_dual_mul_f32 v137, v126, v123 :: v_dual_fmac_f32 v22, v103, v2
	v_mul_f32_e32 v2, v107, v7
	v_dual_fmac_f32 v128, v105, v4 :: v_dual_add_f32 v3, 0, v3
	v_fma_f32 v4, v104, v4, -v5
	v_dual_mul_f32 v130, v108, v9 :: v_dual_mul_f32 v131, v110, v11
	v_add_f32_e32 v5, 0, v22
	v_fma_f32 v2, v106, v6, -v2
	s_delay_alu instid0(VALU_DEP_4) | instskip(SKIP_3) | instid1(VALU_DEP_4)
	v_add_f32_e32 v3, v3, v4
	v_mul_f32_e32 v7, v109, v9
	v_dual_fmac_f32 v130, v109, v8 :: v_dual_fmac_f32 v129, v107, v6
	v_add_f32_e32 v4, v5, v128
	v_add_f32_e32 v2, v3, v2
	s_delay_alu instid0(VALU_DEP_4)
	v_fma_f32 v6, v108, v8, -v7
	v_dual_mul_f32 v5, v111, v11 :: v_dual_mul_f32 v132, v112, v13
	v_mul_f32_e32 v133, v114, v15
	v_add_f32_e32 v3, v4, v129
	v_mul_f32_e32 v4, v113, v13
	v_add_f32_e32 v2, v2, v6
	v_fma_f32 v5, v110, v10, -v5
	v_dual_fmac_f32 v131, v111, v10 :: v_dual_fmac_f32 v132, v113, v12
	v_mul_f32_e32 v6, v115, v15
	s_delay_alu instid0(VALU_DEP_3) | instskip(SKIP_2) | instid1(VALU_DEP_4)
	v_dual_add_f32 v3, v3, v130 :: v_dual_add_f32 v2, v2, v5
	v_fma_f32 v4, v112, v12, -v4
	v_mul_f32_e32 v5, v117, v17
	v_fma_f32 v6, v114, v14, -v6
	s_delay_alu instid0(VALU_DEP_4) | instskip(SKIP_3) | instid1(VALU_DEP_4)
	v_add_f32_e32 v3, v3, v131
	v_dual_mul_f32 v135, v118, v19 :: v_dual_mul_f32 v136, v120, v21
	v_dual_add_f32 v2, v2, v4 :: v_dual_fmac_f32 v133, v115, v14
	v_fmac_f32_e32 v134, v117, v16
	v_add_f32_e32 v3, v3, v132
	v_mul_f32_e32 v4, v119, v19
	v_fma_f32 v5, v116, v16, -v5
	v_add_f32_e32 v2, v2, v6
	v_dual_mul_f32 v6, v121, v21 :: v_dual_fmac_f32 v135, v119, v18
	v_dual_add_f32 v3, v3, v133 :: v_dual_fmac_f32 v136, v121, v20
	v_fma_f32 v4, v118, v18, -v4
	s_delay_alu instid0(VALU_DEP_4) | instskip(NEXT) | instid1(VALU_DEP_4)
	v_add_f32_e32 v2, v2, v5
	v_fma_f32 v6, v120, v20, -v6
	s_delay_alu instid0(VALU_DEP_4) | instskip(NEXT) | instid1(VALU_DEP_3)
	v_add_f32_e32 v3, v3, v134
	v_dual_mul_f32 v5, v127, v123 :: v_dual_add_f32 v2, v2, v4
	s_delay_alu instid0(VALU_DEP_2) | instskip(NEXT) | instid1(VALU_DEP_2)
	v_add_f32_e32 v3, v3, v135
	v_fma_f32 v4, v126, v122, -v5
	s_delay_alu instid0(VALU_DEP_3) | instskip(NEXT) | instid1(VALU_DEP_1)
	v_add_f32_e32 v2, v2, v6
	v_dual_fmac_f32 v137, v127, v122 :: v_dual_add_f32 v2, v2, v4
	s_wait_loadcnt 0x0
	s_delay_alu instid0(VALU_DEP_1) | instskip(NEXT) | instid1(VALU_DEP_1)
	v_dual_add_f32 v3, v3, v136 :: v_dual_sub_f32 v2, v124, v2
	v_add_f32_e32 v3, v3, v137
	s_delay_alu instid0(VALU_DEP_1)
	v_sub_f32_e32 v3, v125, v3
	scratch_store_b64 off, v[2:3], off offset:216
	v_cmpx_lt_u32_e32 26, v0
	s_cbranch_execz .LBB38_195
; %bb.194:
	scratch_load_b64 v[3:4], off, off offset:208
	v_mov_b32_e32 v2, v1
	scratch_store_b64 off, v[1:2], off offset:208
	s_wait_loadcnt 0x0
	ds_store_b64 v23, v[3:4]
.LBB38_195:
	s_wait_alu 0xfffe
	s_or_b32 exec_lo, exec_lo, s0
	s_wait_storecnt_dscnt 0x0
	s_barrier_signal -1
	s_barrier_wait -1
	global_inv scope:SCOPE_SE
	s_clause 0x6
	scratch_load_b128 v[2:5], off, off offset:216
	scratch_load_b128 v[6:9], off, off offset:232
	;; [unrolled: 1-line block ×6, first 2 shown]
	scratch_load_b64 v[130:131], off, off offset:208
	ds_load_2addr_b64 v[106:109], v1 offset0:67 offset1:68
	ds_load_2addr_b64 v[110:113], v1 offset0:69 offset1:70
	;; [unrolled: 1-line block ×6, first 2 shown]
	s_mov_b32 s0, exec_lo
	s_wait_loadcnt_dscnt 0x605
	v_dual_mul_f32 v1, v106, v3 :: v_dual_mul_f32 v22, v108, v5
	v_mul_f32_e32 v3, v107, v3
	s_wait_loadcnt_dscnt 0x504
	v_dual_mul_f32 v5, v109, v5 :: v_dual_mul_f32 v132, v110, v7
	s_delay_alu instid0(VALU_DEP_3) | instskip(NEXT) | instid1(VALU_DEP_3)
	v_dual_mul_f32 v133, v112, v9 :: v_dual_fmac_f32 v22, v109, v4
	v_fma_f32 v3, v106, v2, -v3
	v_fmac_f32_e32 v1, v107, v2
	v_mul_f32_e32 v2, v111, v7
	v_fma_f32 v4, v108, v4, -v5
	s_delay_alu instid0(VALU_DEP_4)
	v_dual_fmac_f32 v132, v111, v6 :: v_dual_add_f32 v3, 0, v3
	s_wait_loadcnt_dscnt 0x201
	v_dual_mul_f32 v138, v122, v19 :: v_dual_mul_f32 v139, v124, v21
	v_fma_f32 v2, v110, v6, -v2
	v_dual_mul_f32 v134, v114, v11 :: v_dual_mul_f32 v135, v116, v13
	v_add_f32_e32 v3, v3, v4
	v_dual_mul_f32 v5, v113, v9 :: v_dual_mul_f32 v136, v118, v15
	v_dual_mul_f32 v137, v120, v17 :: v_dual_mul_f32 v4, v115, v11
	s_delay_alu instid0(VALU_DEP_3) | instskip(NEXT) | instid1(VALU_DEP_3)
	v_add_f32_e32 v2, v3, v2
	v_fma_f32 v5, v112, v8, -v5
	v_dual_mul_f32 v3, v117, v13 :: v_dual_fmac_f32 v138, v123, v18
	s_delay_alu instid0(VALU_DEP_4) | instskip(SKIP_1) | instid1(VALU_DEP_4)
	v_fma_f32 v4, v114, v10, -v4
	v_dual_fmac_f32 v133, v113, v8 :: v_dual_fmac_f32 v134, v115, v10
	v_add_f32_e32 v2, v2, v5
	v_add_f32_e32 v1, 0, v1
	v_fma_f32 v3, v116, v12, -v3
	v_fmac_f32_e32 v136, v119, v14
	s_wait_loadcnt_dscnt 0x100
	v_dual_mul_f32 v140, v126, v103 :: v_dual_mul_f32 v141, v128, v105
	v_dual_add_f32 v1, v1, v22 :: v_dual_add_f32 v2, v2, v4
	v_mul_f32_e32 v4, v121, v17
	v_fmac_f32_e32 v139, v125, v20
	s_delay_alu instid0(VALU_DEP_4) | instskip(NEXT) | instid1(VALU_DEP_4)
	v_fmac_f32_e32 v141, v129, v104
	v_dual_add_f32 v1, v1, v132 :: v_dual_add_f32 v2, v2, v3
	s_delay_alu instid0(VALU_DEP_4) | instskip(SKIP_1) | instid1(VALU_DEP_3)
	v_fma_f32 v4, v120, v16, -v4
	v_mul_f32_e32 v5, v119, v15
	v_dual_fmac_f32 v140, v127, v102 :: v_dual_add_f32 v1, v1, v133
	s_delay_alu instid0(VALU_DEP_2) | instskip(SKIP_1) | instid1(VALU_DEP_2)
	v_fma_f32 v5, v118, v14, -v5
	v_fmac_f32_e32 v135, v117, v12
	v_dual_add_f32 v1, v1, v134 :: v_dual_add_f32 v2, v2, v5
	s_delay_alu instid0(VALU_DEP_1) | instskip(SKIP_1) | instid1(VALU_DEP_3)
	v_add_f32_e32 v2, v2, v4
	v_mul_f32_e32 v4, v127, v103
	v_add_f32_e32 v1, v1, v135
	s_delay_alu instid0(VALU_DEP_2) | instskip(SKIP_1) | instid1(VALU_DEP_1)
	v_fma_f32 v4, v126, v102, -v4
	v_mul_f32_e32 v5, v125, v21
	v_fma_f32 v5, v124, v20, -v5
	v_mul_f32_e32 v3, v123, v19
	s_delay_alu instid0(VALU_DEP_1) | instskip(NEXT) | instid1(VALU_DEP_1)
	v_fma_f32 v3, v122, v18, -v3
	v_dual_fmac_f32 v137, v121, v16 :: v_dual_add_f32 v2, v2, v3
	v_mul_f32_e32 v3, v129, v105
	s_delay_alu instid0(VALU_DEP_2) | instskip(NEXT) | instid1(VALU_DEP_2)
	v_add_f32_e32 v2, v2, v5
	v_fma_f32 v3, v128, v104, -v3
	s_delay_alu instid0(VALU_DEP_2) | instskip(NEXT) | instid1(VALU_DEP_1)
	v_add_f32_e32 v2, v2, v4
	v_dual_add_f32 v1, v1, v136 :: v_dual_add_f32 v2, v2, v3
	s_delay_alu instid0(VALU_DEP_1) | instskip(NEXT) | instid1(VALU_DEP_1)
	v_add_f32_e32 v1, v1, v137
	v_add_f32_e32 v1, v1, v138
	s_delay_alu instid0(VALU_DEP_1) | instskip(NEXT) | instid1(VALU_DEP_1)
	v_add_f32_e32 v1, v1, v139
	v_add_f32_e32 v1, v1, v140
	s_delay_alu instid0(VALU_DEP_1) | instskip(SKIP_1) | instid1(VALU_DEP_1)
	v_add_f32_e32 v3, v1, v141
	s_wait_loadcnt 0x0
	v_dual_sub_f32 v1, v130, v2 :: v_dual_sub_f32 v2, v131, v3
	scratch_store_b64 off, v[1:2], off offset:208
	v_cmpx_lt_u32_e32 25, v0
	s_cbranch_execz .LBB38_197
; %bb.196:
	scratch_load_b64 v[1:2], off, off offset:200
	v_mov_b32_e32 v3, 0
	s_delay_alu instid0(VALU_DEP_1)
	v_mov_b32_e32 v4, v3
	scratch_store_b64 off, v[3:4], off offset:200
	s_wait_loadcnt 0x0
	ds_store_b64 v23, v[1:2]
.LBB38_197:
	s_wait_alu 0xfffe
	s_or_b32 exec_lo, exec_lo, s0
	s_wait_storecnt_dscnt 0x0
	s_barrier_signal -1
	s_barrier_wait -1
	global_inv scope:SCOPE_SE
	s_clause 0x7
	scratch_load_b128 v[2:5], off, off offset:208
	scratch_load_b128 v[6:9], off, off offset:224
	scratch_load_b128 v[10:13], off, off offset:240
	scratch_load_b128 v[14:17], off, off offset:256
	scratch_load_b128 v[18:21], off, off offset:272
	scratch_load_b128 v[102:105], off, off offset:288
	scratch_load_b64 v[130:131], off, off offset:304
	scratch_load_b64 v[132:133], off, off offset:200
	v_mov_b32_e32 v1, 0
	ds_load_b128 v[106:109], v1 offset:528
	ds_load_b128 v[110:113], v1 offset:544
	;; [unrolled: 1-line block ×6, first 2 shown]
	ds_load_b64 v[134:135], v1 offset:624
	s_mov_b32 s0, exec_lo
	s_wait_loadcnt_dscnt 0x706
	v_mul_f32_e32 v22, v106, v3
	v_dual_mul_f32 v3, v107, v3 :: v_dual_mul_f32 v136, v108, v5
	s_wait_loadcnt_dscnt 0x302
	v_dual_mul_f32 v137, v110, v7 :: v_dual_mul_f32 v144, v124, v21
	v_mul_f32_e32 v5, v109, v5
	s_wait_loadcnt_dscnt 0x100
	v_dual_mul_f32 v147, v134, v131 :: v_dual_fmac_f32 v22, v107, v2
	v_fma_f32 v3, v106, v2, -v3
	v_dual_mul_f32 v138, v112, v9 :: v_dual_mul_f32 v139, v114, v11
	v_mul_f32_e32 v2, v111, v7
	s_delay_alu instid0(VALU_DEP_3) | instskip(SKIP_1) | instid1(VALU_DEP_4)
	v_dual_fmac_f32 v136, v109, v4 :: v_dual_add_f32 v3, 0, v3
	v_fma_f32 v4, v108, v4, -v5
	v_dual_add_f32 v5, 0, v22 :: v_dual_fmac_f32 v138, v113, v8
	v_fmac_f32_e32 v137, v111, v6
	v_fma_f32 v2, v110, v6, -v2
	s_delay_alu instid0(VALU_DEP_4) | instskip(SKIP_3) | instid1(VALU_DEP_4)
	v_add_f32_e32 v3, v3, v4
	v_mul_f32_e32 v7, v113, v9
	v_add_f32_e32 v4, v5, v136
	v_dual_mul_f32 v140, v116, v13 :: v_dual_mul_f32 v141, v118, v15
	v_add_f32_e32 v2, v3, v2
	s_delay_alu instid0(VALU_DEP_4)
	v_fma_f32 v6, v112, v8, -v7
	v_mul_f32_e32 v5, v115, v11
	v_add_f32_e32 v3, v4, v137
	v_dual_mul_f32 v4, v117, v13 :: v_dual_fmac_f32 v139, v115, v10
	v_fmac_f32_e32 v140, v117, v12
	v_add_f32_e32 v2, v2, v6
	v_fma_f32 v5, v114, v10, -v5
	v_mul_f32_e32 v6, v119, v15
	v_add_f32_e32 v3, v3, v138
	v_fma_f32 v4, v116, v12, -v4
	v_dual_mul_f32 v142, v120, v17 :: v_dual_mul_f32 v143, v122, v19
	s_delay_alu instid0(VALU_DEP_3) | instskip(SKIP_1) | instid1(VALU_DEP_3)
	v_dual_add_f32 v2, v2, v5 :: v_dual_add_f32 v3, v3, v139
	v_mul_f32_e32 v5, v121, v17
	v_dual_fmac_f32 v141, v119, v14 :: v_dual_fmac_f32 v142, v121, v16
	v_fma_f32 v6, v118, v14, -v6
	s_delay_alu instid0(VALU_DEP_4) | instskip(SKIP_4) | instid1(VALU_DEP_4)
	v_add_f32_e32 v2, v2, v4
	v_add_f32_e32 v3, v3, v140
	v_mul_f32_e32 v4, v123, v19
	v_fma_f32 v5, v120, v16, -v5
	v_fmac_f32_e32 v143, v123, v18
	v_dual_add_f32 v2, v2, v6 :: v_dual_add_f32 v3, v3, v141
	v_fmac_f32_e32 v144, v125, v20
	v_mul_f32_e32 v6, v125, v21
	v_fma_f32 v4, v122, v18, -v4
	s_delay_alu instid0(VALU_DEP_4) | instskip(SKIP_1) | instid1(VALU_DEP_2)
	v_dual_add_f32 v2, v2, v5 :: v_dual_add_f32 v3, v3, v142
	v_dual_mul_f32 v145, v126, v103 :: v_dual_mul_f32 v146, v128, v105
	v_dual_mul_f32 v5, v127, v103 :: v_dual_add_f32 v2, v2, v4
	v_fma_f32 v6, v124, v20, -v6
	s_delay_alu instid0(VALU_DEP_4) | instskip(NEXT) | instid1(VALU_DEP_4)
	v_dual_add_f32 v3, v3, v143 :: v_dual_mul_f32 v4, v129, v105
	v_dual_fmac_f32 v145, v127, v102 :: v_dual_fmac_f32 v146, v129, v104
	s_delay_alu instid0(VALU_DEP_4) | instskip(NEXT) | instid1(VALU_DEP_3)
	v_fma_f32 v5, v126, v102, -v5
	v_dual_add_f32 v2, v2, v6 :: v_dual_add_f32 v3, v3, v144
	v_mul_f32_e32 v6, v135, v131
	v_fma_f32 v4, v128, v104, -v4
	s_delay_alu instid0(VALU_DEP_3) | instskip(NEXT) | instid1(VALU_DEP_4)
	v_dual_fmac_f32 v147, v135, v130 :: v_dual_add_f32 v2, v2, v5
	v_add_f32_e32 v3, v3, v145
	s_delay_alu instid0(VALU_DEP_4) | instskip(NEXT) | instid1(VALU_DEP_2)
	v_fma_f32 v5, v134, v130, -v6
	v_dual_add_f32 v2, v2, v4 :: v_dual_add_f32 v3, v3, v146
	s_delay_alu instid0(VALU_DEP_1) | instskip(SKIP_1) | instid1(VALU_DEP_1)
	v_dual_add_f32 v2, v2, v5 :: v_dual_add_f32 v3, v3, v147
	s_wait_loadcnt 0x0
	v_dual_sub_f32 v2, v132, v2 :: v_dual_sub_f32 v3, v133, v3
	scratch_store_b64 off, v[2:3], off offset:200
	v_cmpx_lt_u32_e32 24, v0
	s_cbranch_execz .LBB38_199
; %bb.198:
	scratch_load_b64 v[3:4], off, off offset:192
	v_mov_b32_e32 v2, v1
	scratch_store_b64 off, v[1:2], off offset:192
	s_wait_loadcnt 0x0
	ds_store_b64 v23, v[3:4]
.LBB38_199:
	s_wait_alu 0xfffe
	s_or_b32 exec_lo, exec_lo, s0
	s_wait_storecnt_dscnt 0x0
	s_barrier_signal -1
	s_barrier_wait -1
	global_inv scope:SCOPE_SE
	s_clause 0x7
	scratch_load_b128 v[2:5], off, off offset:200
	scratch_load_b128 v[6:9], off, off offset:216
	;; [unrolled: 1-line block ×7, first 2 shown]
	scratch_load_b64 v[138:139], off, off offset:192
	ds_load_2addr_b64 v[110:113], v1 offset0:65 offset1:66
	ds_load_2addr_b64 v[114:117], v1 offset0:67 offset1:68
	;; [unrolled: 1-line block ×7, first 2 shown]
	s_mov_b32 s0, exec_lo
	s_wait_loadcnt_dscnt 0x706
	v_dual_mul_f32 v1, v110, v3 :: v_dual_mul_f32 v22, v112, v5
	v_mul_f32_e32 v3, v111, v3
	s_wait_loadcnt_dscnt 0x605
	v_dual_mul_f32 v5, v113, v5 :: v_dual_mul_f32 v140, v114, v7
	s_delay_alu instid0(VALU_DEP_3) | instskip(NEXT) | instid1(VALU_DEP_3)
	v_dual_mul_f32 v141, v116, v9 :: v_dual_fmac_f32 v22, v113, v4
	v_fma_f32 v3, v110, v2, -v3
	v_fmac_f32_e32 v1, v111, v2
	v_mul_f32_e32 v2, v115, v7
	v_fma_f32 v4, v112, v4, -v5
	s_delay_alu instid0(VALU_DEP_4)
	v_dual_fmac_f32 v140, v115, v6 :: v_dual_add_f32 v3, 0, v3
	s_wait_loadcnt_dscnt 0x302
	v_dual_mul_f32 v146, v126, v19 :: v_dual_mul_f32 v147, v128, v21
	v_fma_f32 v2, v114, v6, -v2
	v_dual_mul_f32 v142, v118, v11 :: v_dual_mul_f32 v143, v120, v13
	v_add_f32_e32 v3, v3, v4
	v_dual_mul_f32 v5, v117, v9 :: v_dual_mul_f32 v144, v122, v15
	v_dual_mul_f32 v145, v124, v17 :: v_dual_mul_f32 v4, v119, v11
	s_delay_alu instid0(VALU_DEP_3) | instskip(NEXT) | instid1(VALU_DEP_3)
	v_add_f32_e32 v2, v3, v2
	v_fma_f32 v5, v116, v8, -v5
	v_dual_mul_f32 v3, v121, v13 :: v_dual_fmac_f32 v146, v127, v18
	s_delay_alu instid0(VALU_DEP_4) | instskip(SKIP_1) | instid1(VALU_DEP_4)
	v_fma_f32 v4, v118, v10, -v4
	v_dual_fmac_f32 v141, v117, v8 :: v_dual_fmac_f32 v142, v119, v10
	v_add_f32_e32 v2, v2, v5
	v_add_f32_e32 v1, 0, v1
	v_fma_f32 v3, v120, v12, -v3
	v_fmac_f32_e32 v144, v123, v14
	s_wait_loadcnt_dscnt 0x201
	v_dual_mul_f32 v148, v130, v103 :: v_dual_mul_f32 v149, v132, v105
	v_dual_add_f32 v1, v1, v22 :: v_dual_add_f32 v2, v2, v4
	v_mul_f32_e32 v4, v125, v17
	s_wait_loadcnt_dscnt 0x100
	v_dual_mul_f32 v150, v134, v107 :: v_dual_mul_f32 v151, v136, v109
	s_delay_alu instid0(VALU_DEP_3) | instskip(NEXT) | instid1(VALU_DEP_3)
	v_dual_add_f32 v1, v1, v140 :: v_dual_add_f32 v2, v2, v3
	v_fma_f32 v4, v124, v16, -v4
	v_mul_f32_e32 v5, v123, v15
	v_fmac_f32_e32 v149, v133, v104
	s_delay_alu instid0(VALU_DEP_4) | instskip(SKIP_1) | instid1(VALU_DEP_4)
	v_add_f32_e32 v1, v1, v141
	v_dual_fmac_f32 v151, v137, v108 :: v_dual_fmac_f32 v148, v131, v102
	v_fma_f32 v5, v122, v14, -v5
	v_fmac_f32_e32 v143, v121, v12
	s_delay_alu instid0(VALU_DEP_4) | instskip(SKIP_1) | instid1(VALU_DEP_4)
	v_add_f32_e32 v1, v1, v142
	v_fmac_f32_e32 v150, v135, v106
	v_add_f32_e32 v2, v2, v5
	s_delay_alu instid0(VALU_DEP_1) | instskip(SKIP_2) | instid1(VALU_DEP_2)
	v_add_f32_e32 v2, v2, v4
	v_mul_f32_e32 v4, v131, v103
	v_add_f32_e32 v1, v1, v143
	v_fma_f32 v4, v130, v102, -v4
	v_mul_f32_e32 v5, v129, v21
	s_delay_alu instid0(VALU_DEP_3) | instskip(NEXT) | instid1(VALU_DEP_2)
	v_add_f32_e32 v1, v1, v144
	v_fma_f32 v5, v128, v20, -v5
	v_mul_f32_e32 v3, v127, v19
	s_delay_alu instid0(VALU_DEP_1) | instskip(NEXT) | instid1(VALU_DEP_1)
	v_fma_f32 v3, v126, v18, -v3
	v_dual_fmac_f32 v145, v125, v16 :: v_dual_add_f32 v2, v2, v3
	v_mul_f32_e32 v3, v133, v105
	s_delay_alu instid0(VALU_DEP_2) | instskip(NEXT) | instid1(VALU_DEP_2)
	v_dual_add_f32 v2, v2, v5 :: v_dual_mul_f32 v5, v135, v107
	v_fma_f32 v3, v132, v104, -v3
	s_delay_alu instid0(VALU_DEP_2) | instskip(SKIP_1) | instid1(VALU_DEP_4)
	v_dual_add_f32 v2, v2, v4 :: v_dual_add_f32 v1, v1, v145
	v_mul_f32_e32 v4, v137, v109
	v_fma_f32 v5, v134, v106, -v5
	s_delay_alu instid0(VALU_DEP_3) | instskip(NEXT) | instid1(VALU_DEP_3)
	v_dual_add_f32 v2, v2, v3 :: v_dual_fmac_f32 v147, v129, v20
	v_fma_f32 v3, v136, v108, -v4
	s_delay_alu instid0(VALU_DEP_2) | instskip(NEXT) | instid1(VALU_DEP_1)
	v_dual_add_f32 v2, v2, v5 :: v_dual_add_f32 v1, v1, v146
	v_add_f32_e32 v2, v2, v3
	s_delay_alu instid0(VALU_DEP_2) | instskip(NEXT) | instid1(VALU_DEP_1)
	v_add_f32_e32 v1, v1, v147
	v_add_f32_e32 v1, v1, v148
	s_delay_alu instid0(VALU_DEP_1) | instskip(NEXT) | instid1(VALU_DEP_1)
	v_add_f32_e32 v1, v1, v149
	v_add_f32_e32 v1, v1, v150
	s_delay_alu instid0(VALU_DEP_1) | instskip(SKIP_1) | instid1(VALU_DEP_1)
	v_add_f32_e32 v3, v1, v151
	s_wait_loadcnt 0x0
	v_dual_sub_f32 v1, v138, v2 :: v_dual_sub_f32 v2, v139, v3
	scratch_store_b64 off, v[1:2], off offset:192
	v_cmpx_lt_u32_e32 23, v0
	s_cbranch_execz .LBB38_201
; %bb.200:
	scratch_load_b64 v[1:2], off, off offset:184
	v_mov_b32_e32 v3, 0
	s_delay_alu instid0(VALU_DEP_1)
	v_mov_b32_e32 v4, v3
	scratch_store_b64 off, v[3:4], off offset:184
	s_wait_loadcnt 0x0
	ds_store_b64 v23, v[1:2]
.LBB38_201:
	s_wait_alu 0xfffe
	s_or_b32 exec_lo, exec_lo, s0
	s_wait_storecnt_dscnt 0x0
	s_barrier_signal -1
	s_barrier_wait -1
	global_inv scope:SCOPE_SE
	s_clause 0x8
	scratch_load_b128 v[2:5], off, off offset:192
	scratch_load_b128 v[6:9], off, off offset:208
	;; [unrolled: 1-line block ×7, first 2 shown]
	scratch_load_b64 v[138:139], off, off offset:304
	scratch_load_b64 v[140:141], off, off offset:184
	v_mov_b32_e32 v1, 0
	ds_load_b128 v[110:113], v1 offset:512
	ds_load_b128 v[114:117], v1 offset:528
	;; [unrolled: 1-line block ×7, first 2 shown]
	ds_load_b64 v[142:143], v1 offset:624
	s_mov_b32 s0, exec_lo
	s_wait_loadcnt_dscnt 0x807
	v_mul_f32_e32 v22, v110, v3
	v_dual_mul_f32 v3, v111, v3 :: v_dual_mul_f32 v144, v112, v5
	s_wait_loadcnt_dscnt 0x706
	v_mul_f32_e32 v145, v114, v7
	v_mul_f32_e32 v5, v113, v5
	s_wait_loadcnt_dscnt 0x302
	v_mul_f32_e32 v154, v132, v105
	v_fma_f32 v3, v110, v2, -v3
	s_wait_loadcnt_dscnt 0x100
	v_dual_mul_f32 v157, v142, v139 :: v_dual_fmac_f32 v22, v111, v2
	v_mul_f32_e32 v2, v115, v7
	s_delay_alu instid0(VALU_DEP_3) | instskip(SKIP_4) | instid1(VALU_DEP_4)
	v_dual_fmac_f32 v144, v113, v4 :: v_dual_add_f32 v3, 0, v3
	v_fma_f32 v4, v112, v4, -v5
	v_dual_mul_f32 v146, v116, v9 :: v_dual_mul_f32 v147, v118, v11
	v_add_f32_e32 v5, 0, v22
	v_fma_f32 v2, v114, v6, -v2
	v_add_f32_e32 v3, v3, v4
	v_mul_f32_e32 v7, v117, v9
	v_dual_fmac_f32 v146, v117, v8 :: v_dual_fmac_f32 v145, v115, v6
	v_add_f32_e32 v4, v5, v144
	s_delay_alu instid0(VALU_DEP_4) | instskip(NEXT) | instid1(VALU_DEP_4)
	v_add_f32_e32 v2, v3, v2
	v_fma_f32 v6, v116, v8, -v7
	v_dual_mul_f32 v5, v119, v11 :: v_dual_mul_f32 v148, v120, v13
	v_mul_f32_e32 v149, v122, v15
	v_add_f32_e32 v3, v4, v145
	v_mul_f32_e32 v4, v121, v13
	v_add_f32_e32 v2, v2, v6
	v_fma_f32 v5, v118, v10, -v5
	v_dual_fmac_f32 v147, v119, v10 :: v_dual_fmac_f32 v148, v121, v12
	v_mul_f32_e32 v6, v123, v15
	s_delay_alu instid0(VALU_DEP_3) | instskip(SKIP_2) | instid1(VALU_DEP_4)
	v_dual_add_f32 v3, v3, v146 :: v_dual_add_f32 v2, v2, v5
	v_fma_f32 v4, v120, v12, -v4
	v_mul_f32_e32 v5, v125, v17
	v_fma_f32 v6, v122, v14, -v6
	s_delay_alu instid0(VALU_DEP_4) | instskip(SKIP_3) | instid1(VALU_DEP_4)
	v_dual_add_f32 v3, v3, v147 :: v_dual_mul_f32 v150, v124, v17
	v_mul_f32_e32 v151, v126, v19
	v_add_f32_e32 v2, v2, v4
	v_dual_mul_f32 v152, v128, v21 :: v_dual_mul_f32 v153, v130, v103
	v_dual_fmac_f32 v149, v123, v14 :: v_dual_fmac_f32 v150, v125, v16
	s_delay_alu instid0(VALU_DEP_3) | instskip(SKIP_3) | instid1(VALU_DEP_4)
	v_dual_add_f32 v3, v3, v148 :: v_dual_add_f32 v2, v2, v6
	v_mul_f32_e32 v4, v127, v19
	v_fma_f32 v5, v124, v16, -v5
	v_dual_mul_f32 v6, v129, v21 :: v_dual_fmac_f32 v151, v127, v18
	v_dual_add_f32 v3, v3, v149 :: v_dual_fmac_f32 v152, v129, v20
	s_delay_alu instid0(VALU_DEP_4) | instskip(NEXT) | instid1(VALU_DEP_4)
	v_fma_f32 v4, v126, v18, -v4
	v_add_f32_e32 v2, v2, v5
	s_delay_alu instid0(VALU_DEP_4) | instskip(NEXT) | instid1(VALU_DEP_4)
	v_fma_f32 v6, v128, v20, -v6
	v_add_f32_e32 v3, v3, v150
	v_mul_f32_e32 v5, v131, v103
	v_dual_mul_f32 v155, v134, v107 :: v_dual_mul_f32 v156, v136, v109
	s_delay_alu instid0(VALU_DEP_3) | instskip(SKIP_1) | instid1(VALU_DEP_4)
	v_dual_add_f32 v2, v2, v4 :: v_dual_add_f32 v3, v3, v151
	v_mul_f32_e32 v4, v133, v105
	v_fma_f32 v5, v130, v102, -v5
	v_dual_fmac_f32 v153, v131, v102 :: v_dual_fmac_f32 v154, v133, v104
	s_delay_alu instid0(VALU_DEP_4) | instskip(SKIP_2) | instid1(VALU_DEP_3)
	v_dual_add_f32 v2, v2, v6 :: v_dual_add_f32 v3, v3, v152
	v_mul_f32_e32 v6, v135, v107
	v_fma_f32 v4, v132, v104, -v4
	v_dual_fmac_f32 v155, v135, v106 :: v_dual_add_f32 v2, v2, v5
	s_delay_alu instid0(VALU_DEP_4) | instskip(SKIP_3) | instid1(VALU_DEP_4)
	v_add_f32_e32 v3, v3, v153
	v_mul_f32_e32 v5, v137, v109
	v_fma_f32 v6, v134, v106, -v6
	v_fmac_f32_e32 v156, v137, v108
	v_dual_add_f32 v2, v2, v4 :: v_dual_add_f32 v3, v3, v154
	v_mul_f32_e32 v4, v143, v139
	v_fma_f32 v5, v136, v108, -v5
	s_delay_alu instid0(VALU_DEP_3) | instskip(SKIP_1) | instid1(VALU_DEP_4)
	v_dual_add_f32 v2, v2, v6 :: v_dual_add_f32 v3, v3, v155
	v_fmac_f32_e32 v157, v143, v138
	v_fma_f32 v4, v142, v138, -v4
	s_delay_alu instid0(VALU_DEP_3) | instskip(NEXT) | instid1(VALU_DEP_1)
	v_add_f32_e32 v2, v2, v5
	v_add_f32_e32 v2, v2, v4
	s_wait_loadcnt 0x0
	s_delay_alu instid0(VALU_DEP_1) | instskip(NEXT) | instid1(VALU_DEP_1)
	v_dual_add_f32 v3, v3, v156 :: v_dual_sub_f32 v2, v140, v2
	v_add_f32_e32 v3, v3, v157
	s_delay_alu instid0(VALU_DEP_1)
	v_sub_f32_e32 v3, v141, v3
	scratch_store_b64 off, v[2:3], off offset:184
	v_cmpx_lt_u32_e32 22, v0
	s_cbranch_execz .LBB38_203
; %bb.202:
	scratch_load_b64 v[3:4], off, off offset:176
	v_mov_b32_e32 v2, v1
	scratch_store_b64 off, v[1:2], off offset:176
	s_wait_loadcnt 0x0
	ds_store_b64 v23, v[3:4]
.LBB38_203:
	s_wait_alu 0xfffe
	s_or_b32 exec_lo, exec_lo, s0
	s_wait_storecnt_dscnt 0x0
	s_barrier_signal -1
	s_barrier_wait -1
	global_inv scope:SCOPE_SE
	s_clause 0x8
	scratch_load_b128 v[2:5], off, off offset:184
	scratch_load_b128 v[6:9], off, off offset:200
	;; [unrolled: 1-line block ×8, first 2 shown]
	scratch_load_b64 v[146:147], off, off offset:176
	ds_load_2addr_b64 v[114:117], v1 offset0:63 offset1:64
	ds_load_2addr_b64 v[118:121], v1 offset0:65 offset1:66
	;; [unrolled: 1-line block ×8, first 2 shown]
	s_mov_b32 s0, exec_lo
	s_wait_loadcnt_dscnt 0x807
	v_dual_mul_f32 v1, v114, v3 :: v_dual_mul_f32 v22, v116, v5
	v_mul_f32_e32 v3, v115, v3
	s_wait_loadcnt_dscnt 0x706
	v_dual_mul_f32 v5, v117, v5 :: v_dual_mul_f32 v148, v118, v7
	s_delay_alu instid0(VALU_DEP_3) | instskip(NEXT) | instid1(VALU_DEP_3)
	v_dual_mul_f32 v149, v120, v9 :: v_dual_fmac_f32 v22, v117, v4
	v_fma_f32 v3, v114, v2, -v3
	v_fmac_f32_e32 v1, v115, v2
	v_mul_f32_e32 v2, v119, v7
	v_fma_f32 v4, v116, v4, -v5
	s_delay_alu instid0(VALU_DEP_4)
	v_dual_fmac_f32 v148, v119, v6 :: v_dual_add_f32 v3, 0, v3
	s_wait_loadcnt_dscnt 0x403
	v_dual_mul_f32 v154, v130, v19 :: v_dual_mul_f32 v155, v132, v21
	v_fma_f32 v2, v118, v6, -v2
	v_dual_mul_f32 v150, v122, v11 :: v_dual_mul_f32 v151, v124, v13
	v_add_f32_e32 v3, v3, v4
	v_dual_mul_f32 v5, v121, v9 :: v_dual_mul_f32 v152, v126, v15
	v_dual_mul_f32 v153, v128, v17 :: v_dual_mul_f32 v4, v123, v11
	s_delay_alu instid0(VALU_DEP_3) | instskip(NEXT) | instid1(VALU_DEP_3)
	v_add_f32_e32 v2, v3, v2
	v_fma_f32 v5, v120, v8, -v5
	v_dual_mul_f32 v3, v125, v13 :: v_dual_fmac_f32 v154, v131, v18
	s_delay_alu instid0(VALU_DEP_4) | instskip(SKIP_1) | instid1(VALU_DEP_4)
	v_fma_f32 v4, v122, v10, -v4
	v_dual_fmac_f32 v149, v121, v8 :: v_dual_fmac_f32 v150, v123, v10
	v_add_f32_e32 v2, v2, v5
	v_add_f32_e32 v1, 0, v1
	v_fma_f32 v3, v124, v12, -v3
	v_fmac_f32_e32 v152, v127, v14
	s_wait_loadcnt_dscnt 0x302
	v_dual_mul_f32 v156, v134, v103 :: v_dual_mul_f32 v157, v136, v105
	v_dual_add_f32 v1, v1, v22 :: v_dual_add_f32 v2, v2, v4
	v_mul_f32_e32 v4, v129, v17
	s_wait_loadcnt_dscnt 0x100
	v_dual_mul_f32 v160, v142, v111 :: v_dual_mul_f32 v161, v144, v113
	s_delay_alu instid0(VALU_DEP_3) | instskip(NEXT) | instid1(VALU_DEP_3)
	v_dual_add_f32 v1, v1, v148 :: v_dual_add_f32 v2, v2, v3
	v_fma_f32 v4, v128, v16, -v4
	v_mul_f32_e32 v5, v127, v15
	v_dual_mul_f32 v158, v138, v107 :: v_dual_mul_f32 v159, v140, v109
	s_delay_alu instid0(VALU_DEP_4) | instskip(SKIP_1) | instid1(VALU_DEP_4)
	v_add_f32_e32 v1, v1, v149
	v_fmac_f32_e32 v161, v145, v112
	v_fma_f32 v5, v126, v14, -v5
	v_dual_fmac_f32 v151, v125, v12 :: v_dual_fmac_f32 v156, v135, v102
	s_delay_alu instid0(VALU_DEP_4) | instskip(NEXT) | instid1(VALU_DEP_3)
	v_add_f32_e32 v1, v1, v150
	v_dual_fmac_f32 v159, v141, v108 :: v_dual_add_f32 v2, v2, v5
	v_fmac_f32_e32 v158, v139, v106
	v_fmac_f32_e32 v160, v143, v110
	s_delay_alu instid0(VALU_DEP_3) | instskip(SKIP_2) | instid1(VALU_DEP_2)
	v_add_f32_e32 v2, v2, v4
	v_mul_f32_e32 v4, v135, v103
	v_add_f32_e32 v1, v1, v151
	v_fma_f32 v4, v134, v102, -v4
	v_mul_f32_e32 v5, v133, v21
	s_delay_alu instid0(VALU_DEP_3) | instskip(NEXT) | instid1(VALU_DEP_2)
	v_add_f32_e32 v1, v1, v152
	v_fma_f32 v5, v132, v20, -v5
	v_mul_f32_e32 v3, v131, v19
	s_delay_alu instid0(VALU_DEP_1) | instskip(NEXT) | instid1(VALU_DEP_1)
	v_fma_f32 v3, v130, v18, -v3
	v_dual_fmac_f32 v153, v129, v16 :: v_dual_add_f32 v2, v2, v3
	v_mul_f32_e32 v3, v137, v105
	s_delay_alu instid0(VALU_DEP_2) | instskip(NEXT) | instid1(VALU_DEP_2)
	v_dual_add_f32 v2, v2, v5 :: v_dual_mul_f32 v5, v139, v107
	v_fma_f32 v3, v136, v104, -v3
	s_delay_alu instid0(VALU_DEP_2) | instskip(SKIP_1) | instid1(VALU_DEP_4)
	v_dual_add_f32 v2, v2, v4 :: v_dual_add_f32 v1, v1, v153
	v_mul_f32_e32 v4, v141, v109
	v_fma_f32 v5, v138, v106, -v5
	s_delay_alu instid0(VALU_DEP_3) | instskip(SKIP_1) | instid1(VALU_DEP_4)
	v_dual_add_f32 v2, v2, v3 :: v_dual_fmac_f32 v155, v133, v20
	v_mul_f32_e32 v3, v143, v111
	v_fma_f32 v4, v140, v108, -v4
	s_delay_alu instid0(VALU_DEP_3) | instskip(SKIP_1) | instid1(VALU_DEP_4)
	v_dual_add_f32 v2, v2, v5 :: v_dual_add_f32 v1, v1, v154
	v_mul_f32_e32 v5, v145, v113
	v_fma_f32 v3, v142, v110, -v3
	s_delay_alu instid0(VALU_DEP_3) | instskip(SKIP_1) | instid1(VALU_DEP_4)
	v_add_f32_e32 v2, v2, v4
	v_fmac_f32_e32 v157, v137, v104
	v_fma_f32 v4, v144, v112, -v5
	s_delay_alu instid0(VALU_DEP_3) | instskip(NEXT) | instid1(VALU_DEP_1)
	v_add_f32_e32 v2, v2, v3
	v_dual_add_f32 v1, v1, v155 :: v_dual_add_f32 v2, v2, v4
	s_delay_alu instid0(VALU_DEP_1) | instskip(NEXT) | instid1(VALU_DEP_1)
	v_add_f32_e32 v1, v1, v156
	v_add_f32_e32 v1, v1, v157
	s_delay_alu instid0(VALU_DEP_1) | instskip(NEXT) | instid1(VALU_DEP_1)
	v_add_f32_e32 v1, v1, v158
	v_add_f32_e32 v1, v1, v159
	;; [unrolled: 3-line block ×3, first 2 shown]
	s_wait_loadcnt 0x0
	s_delay_alu instid0(VALU_DEP_1)
	v_dual_sub_f32 v1, v146, v2 :: v_dual_sub_f32 v2, v147, v3
	scratch_store_b64 off, v[1:2], off offset:176
	v_cmpx_lt_u32_e32 21, v0
	s_cbranch_execz .LBB38_205
; %bb.204:
	scratch_load_b64 v[1:2], off, off offset:168
	v_mov_b32_e32 v3, 0
	s_delay_alu instid0(VALU_DEP_1)
	v_mov_b32_e32 v4, v3
	scratch_store_b64 off, v[3:4], off offset:168
	s_wait_loadcnt 0x0
	ds_store_b64 v23, v[1:2]
.LBB38_205:
	s_wait_alu 0xfffe
	s_or_b32 exec_lo, exec_lo, s0
	s_wait_storecnt_dscnt 0x0
	s_barrier_signal -1
	s_barrier_wait -1
	global_inv scope:SCOPE_SE
	s_clause 0x9
	scratch_load_b128 v[2:5], off, off offset:176
	scratch_load_b128 v[6:9], off, off offset:192
	;; [unrolled: 1-line block ×8, first 2 shown]
	scratch_load_b64 v[146:147], off, off offset:304
	scratch_load_b64 v[148:149], off, off offset:168
	v_mov_b32_e32 v1, 0
	ds_load_b128 v[114:117], v1 offset:496
	ds_load_b128 v[118:121], v1 offset:512
	;; [unrolled: 1-line block ×8, first 2 shown]
	ds_load_b64 v[150:151], v1 offset:624
	s_mov_b32 s0, exec_lo
	s_wait_loadcnt_dscnt 0x908
	v_mul_f32_e32 v22, v114, v3
	s_wait_loadcnt_dscnt 0x807
	v_dual_mul_f32 v152, v116, v5 :: v_dual_mul_f32 v153, v118, v7
	v_mul_f32_e32 v3, v115, v3
	s_delay_alu instid0(VALU_DEP_3)
	v_dual_mul_f32 v5, v117, v5 :: v_dual_fmac_f32 v22, v115, v2
	s_wait_loadcnt_dscnt 0x302
	v_mul_f32_e32 v164, v140, v109
	v_dual_mul_f32 v154, v120, v9 :: v_dual_mul_f32 v155, v122, v11
	s_wait_loadcnt_dscnt 0x100
	v_mul_f32_e32 v167, v150, v147
	v_fma_f32 v3, v114, v2, -v3
	v_mul_f32_e32 v2, v119, v7
	v_fmac_f32_e32 v152, v117, v4
	v_fma_f32 v4, v116, v4, -v5
	v_dual_add_f32 v5, 0, v22 :: v_dual_fmac_f32 v154, v121, v8
	v_add_f32_e32 v3, 0, v3
	v_fmac_f32_e32 v153, v119, v6
	v_fma_f32 v2, v118, v6, -v2
	v_dual_mul_f32 v156, v124, v13 :: v_dual_mul_f32 v157, v126, v15
	s_delay_alu instid0(VALU_DEP_4) | instskip(SKIP_2) | instid1(VALU_DEP_4)
	v_add_f32_e32 v3, v3, v4
	v_mul_f32_e32 v7, v121, v9
	v_dual_add_f32 v4, v5, v152 :: v_dual_fmac_f32 v155, v123, v10
	v_fmac_f32_e32 v156, v125, v12
	s_delay_alu instid0(VALU_DEP_4) | instskip(NEXT) | instid1(VALU_DEP_4)
	v_add_f32_e32 v2, v3, v2
	v_fma_f32 v6, v120, v8, -v7
	v_mul_f32_e32 v5, v123, v11
	v_add_f32_e32 v3, v4, v153
	v_mul_f32_e32 v4, v125, v13
	v_dual_mul_f32 v158, v128, v17 :: v_dual_mul_f32 v159, v130, v19
	v_add_f32_e32 v2, v2, v6
	v_fma_f32 v5, v122, v10, -v5
	v_mul_f32_e32 v6, v127, v15
	v_add_f32_e32 v3, v3, v154
	v_fma_f32 v4, v124, v12, -v4
	v_dual_fmac_f32 v157, v127, v14 :: v_dual_fmac_f32 v158, v129, v16
	s_delay_alu instid0(VALU_DEP_3) | instskip(SKIP_3) | instid1(VALU_DEP_4)
	v_dual_add_f32 v2, v2, v5 :: v_dual_add_f32 v3, v3, v155
	v_mul_f32_e32 v5, v129, v17
	v_fma_f32 v6, v126, v14, -v6
	v_dual_mul_f32 v160, v132, v21 :: v_dual_mul_f32 v161, v134, v103
	v_add_f32_e32 v2, v2, v4
	v_add_f32_e32 v3, v3, v156
	v_mul_f32_e32 v4, v131, v19
	v_fma_f32 v5, v128, v16, -v5
	v_fmac_f32_e32 v159, v131, v18
	s_delay_alu instid0(VALU_DEP_4) | instskip(SKIP_3) | instid1(VALU_DEP_4)
	v_dual_add_f32 v2, v2, v6 :: v_dual_add_f32 v3, v3, v157
	v_fmac_f32_e32 v160, v133, v20
	v_mul_f32_e32 v6, v133, v21
	v_fma_f32 v4, v130, v18, -v4
	v_dual_add_f32 v2, v2, v5 :: v_dual_add_f32 v3, v3, v158
	v_mul_f32_e32 v5, v135, v103
	s_delay_alu instid0(VALU_DEP_4) | instskip(SKIP_1) | instid1(VALU_DEP_4)
	v_fma_f32 v6, v132, v20, -v6
	v_dual_mul_f32 v162, v136, v105 :: v_dual_mul_f32 v163, v138, v107
	v_dual_add_f32 v2, v2, v4 :: v_dual_add_f32 v3, v3, v159
	v_dual_mul_f32 v4, v137, v105 :: v_dual_fmac_f32 v161, v135, v102
	s_delay_alu instid0(VALU_DEP_3) | instskip(SKIP_1) | instid1(VALU_DEP_4)
	v_fmac_f32_e32 v162, v137, v104
	v_fma_f32 v5, v134, v102, -v5
	v_dual_add_f32 v2, v2, v6 :: v_dual_add_f32 v3, v3, v160
	v_mul_f32_e32 v6, v139, v107
	v_fma_f32 v4, v136, v104, -v4
	s_delay_alu instid0(VALU_DEP_3) | instskip(NEXT) | instid1(VALU_DEP_4)
	v_dual_fmac_f32 v163, v139, v106 :: v_dual_add_f32 v2, v2, v5
	v_add_f32_e32 v3, v3, v161
	v_mul_f32_e32 v5, v141, v109
	v_fma_f32 v6, v138, v106, -v6
	v_dual_mul_f32 v165, v142, v111 :: v_dual_mul_f32 v166, v144, v113
	s_delay_alu instid0(VALU_DEP_4) | instskip(SKIP_3) | instid1(VALU_DEP_4)
	v_dual_add_f32 v2, v2, v4 :: v_dual_add_f32 v3, v3, v162
	v_fmac_f32_e32 v164, v141, v108
	v_mul_f32_e32 v4, v143, v111
	v_fma_f32 v5, v140, v108, -v5
	v_dual_add_f32 v2, v2, v6 :: v_dual_add_f32 v3, v3, v163
	v_dual_mul_f32 v6, v145, v113 :: v_dual_fmac_f32 v165, v143, v110
	s_delay_alu instid0(VALU_DEP_4) | instskip(NEXT) | instid1(VALU_DEP_3)
	v_fma_f32 v4, v142, v110, -v4
	v_dual_add_f32 v2, v2, v5 :: v_dual_add_f32 v3, v3, v164
	v_dual_mul_f32 v5, v151, v147 :: v_dual_fmac_f32 v166, v145, v112
	s_delay_alu instid0(VALU_DEP_4) | instskip(NEXT) | instid1(VALU_DEP_3)
	v_fma_f32 v6, v144, v112, -v6
	v_dual_add_f32 v2, v2, v4 :: v_dual_add_f32 v3, v3, v165
	s_delay_alu instid0(VALU_DEP_3) | instskip(NEXT) | instid1(VALU_DEP_2)
	v_fma_f32 v4, v150, v146, -v5
	v_add_f32_e32 v3, v3, v166
	s_delay_alu instid0(VALU_DEP_3) | instskip(NEXT) | instid1(VALU_DEP_1)
	v_add_f32_e32 v2, v2, v6
	v_dual_fmac_f32 v167, v151, v146 :: v_dual_add_f32 v2, v2, v4
	s_wait_loadcnt 0x0
	s_delay_alu instid0(VALU_DEP_1) | instskip(NEXT) | instid1(VALU_DEP_1)
	v_dual_add_f32 v3, v3, v167 :: v_dual_sub_f32 v2, v148, v2
	v_sub_f32_e32 v3, v149, v3
	scratch_store_b64 off, v[2:3], off offset:168
	v_cmpx_lt_u32_e32 20, v0
	s_cbranch_execz .LBB38_207
; %bb.206:
	scratch_load_b64 v[3:4], off, off offset:160
	v_mov_b32_e32 v2, v1
	scratch_store_b64 off, v[1:2], off offset:160
	s_wait_loadcnt 0x0
	ds_store_b64 v23, v[3:4]
.LBB38_207:
	s_wait_alu 0xfffe
	s_or_b32 exec_lo, exec_lo, s0
	s_wait_storecnt_dscnt 0x0
	s_barrier_signal -1
	s_barrier_wait -1
	global_inv scope:SCOPE_SE
	s_clause 0x9
	scratch_load_b128 v[2:5], off, off offset:168
	scratch_load_b128 v[6:9], off, off offset:184
	;; [unrolled: 1-line block ×9, first 2 shown]
	scratch_load_b64 v[154:155], off, off offset:160
	ds_load_2addr_b64 v[118:121], v1 offset0:61 offset1:62
	ds_load_2addr_b64 v[122:125], v1 offset0:63 offset1:64
	;; [unrolled: 1-line block ×9, first 2 shown]
	s_mov_b32 s0, exec_lo
	s_wait_loadcnt_dscnt 0x908
	v_dual_mul_f32 v1, v118, v3 :: v_dual_mul_f32 v22, v120, v5
	v_mul_f32_e32 v3, v119, v3
	s_wait_loadcnt_dscnt 0x807
	v_dual_mul_f32 v5, v121, v5 :: v_dual_mul_f32 v156, v122, v7
	s_delay_alu instid0(VALU_DEP_3) | instskip(NEXT) | instid1(VALU_DEP_3)
	v_dual_mul_f32 v157, v124, v9 :: v_dual_fmac_f32 v22, v121, v4
	v_fma_f32 v3, v118, v2, -v3
	v_fmac_f32_e32 v1, v119, v2
	v_mul_f32_e32 v2, v123, v7
	v_fma_f32 v4, v120, v4, -v5
	s_delay_alu instid0(VALU_DEP_4)
	v_dual_fmac_f32 v156, v123, v6 :: v_dual_add_f32 v3, 0, v3
	s_wait_loadcnt_dscnt 0x504
	v_dual_mul_f32 v162, v134, v19 :: v_dual_mul_f32 v163, v136, v21
	v_fma_f32 v2, v122, v6, -v2
	v_dual_mul_f32 v158, v126, v11 :: v_dual_mul_f32 v159, v128, v13
	v_add_f32_e32 v3, v3, v4
	v_dual_mul_f32 v5, v125, v9 :: v_dual_mul_f32 v160, v130, v15
	v_dual_mul_f32 v161, v132, v17 :: v_dual_mul_f32 v4, v127, v11
	s_delay_alu instid0(VALU_DEP_3) | instskip(NEXT) | instid1(VALU_DEP_3)
	v_add_f32_e32 v2, v3, v2
	v_fma_f32 v5, v124, v8, -v5
	v_dual_mul_f32 v3, v129, v13 :: v_dual_fmac_f32 v162, v135, v18
	s_delay_alu instid0(VALU_DEP_4) | instskip(SKIP_1) | instid1(VALU_DEP_4)
	v_fma_f32 v4, v126, v10, -v4
	v_dual_fmac_f32 v157, v125, v8 :: v_dual_fmac_f32 v158, v127, v10
	v_add_f32_e32 v2, v2, v5
	v_add_f32_e32 v1, 0, v1
	v_fma_f32 v3, v128, v12, -v3
	v_fmac_f32_e32 v160, v131, v14
	s_wait_loadcnt_dscnt 0x403
	v_dual_mul_f32 v164, v138, v103 :: v_dual_mul_f32 v165, v140, v105
	v_dual_add_f32 v1, v1, v22 :: v_dual_add_f32 v2, v2, v4
	v_mul_f32_e32 v4, v133, v17
	s_wait_loadcnt_dscnt 0x201
	v_dual_mul_f32 v168, v146, v111 :: v_dual_mul_f32 v169, v148, v113
	s_delay_alu instid0(VALU_DEP_3) | instskip(NEXT) | instid1(VALU_DEP_3)
	v_dual_add_f32 v1, v1, v156 :: v_dual_add_f32 v2, v2, v3
	v_fma_f32 v4, v132, v16, -v4
	v_mul_f32_e32 v5, v131, v15
	v_dual_mul_f32 v166, v142, v107 :: v_dual_mul_f32 v167, v144, v109
	s_wait_loadcnt_dscnt 0x100
	v_dual_add_f32 v1, v1, v157 :: v_dual_mul_f32 v170, v150, v115
	v_mul_f32_e32 v171, v152, v117
	v_fma_f32 v5, v130, v14, -v5
	v_fmac_f32_e32 v159, v129, v12
	s_delay_alu instid0(VALU_DEP_4) | instskip(SKIP_1) | instid1(VALU_DEP_4)
	v_add_f32_e32 v1, v1, v158
	v_dual_fmac_f32 v164, v139, v102 :: v_dual_fmac_f32 v165, v141, v104
	v_add_f32_e32 v2, v2, v5
	v_dual_fmac_f32 v166, v143, v106 :: v_dual_fmac_f32 v169, v149, v112
	v_dual_fmac_f32 v171, v153, v116 :: v_dual_fmac_f32 v168, v147, v110
	s_delay_alu instid0(VALU_DEP_3) | instskip(SKIP_2) | instid1(VALU_DEP_2)
	v_add_f32_e32 v2, v2, v4
	v_mul_f32_e32 v4, v139, v103
	v_dual_add_f32 v1, v1, v159 :: v_dual_fmac_f32 v170, v151, v114
	v_fma_f32 v4, v138, v102, -v4
	v_mul_f32_e32 v5, v137, v21
	s_delay_alu instid0(VALU_DEP_3) | instskip(NEXT) | instid1(VALU_DEP_2)
	v_add_f32_e32 v1, v1, v160
	v_fma_f32 v5, v136, v20, -v5
	v_mul_f32_e32 v3, v135, v19
	s_delay_alu instid0(VALU_DEP_1) | instskip(NEXT) | instid1(VALU_DEP_1)
	v_fma_f32 v3, v134, v18, -v3
	v_dual_fmac_f32 v161, v133, v16 :: v_dual_add_f32 v2, v2, v3
	v_mul_f32_e32 v3, v141, v105
	s_delay_alu instid0(VALU_DEP_2) | instskip(NEXT) | instid1(VALU_DEP_2)
	v_dual_add_f32 v2, v2, v5 :: v_dual_mul_f32 v5, v143, v107
	v_fma_f32 v3, v140, v104, -v3
	s_delay_alu instid0(VALU_DEP_2) | instskip(SKIP_1) | instid1(VALU_DEP_4)
	v_dual_add_f32 v2, v2, v4 :: v_dual_add_f32 v1, v1, v161
	v_mul_f32_e32 v4, v145, v109
	v_fma_f32 v5, v142, v106, -v5
	s_delay_alu instid0(VALU_DEP_3) | instskip(NEXT) | instid1(VALU_DEP_3)
	v_dual_add_f32 v2, v2, v3 :: v_dual_fmac_f32 v163, v137, v20
	v_fma_f32 v4, v144, v108, -v4
	s_delay_alu instid0(VALU_DEP_2) | instskip(SKIP_1) | instid1(VALU_DEP_2)
	v_add_f32_e32 v2, v2, v5
	v_mul_f32_e32 v5, v149, v113
	v_dual_add_f32 v1, v1, v162 :: v_dual_add_f32 v2, v2, v4
	s_delay_alu instid0(VALU_DEP_2) | instskip(SKIP_1) | instid1(VALU_DEP_3)
	v_fma_f32 v5, v148, v112, -v5
	v_mul_f32_e32 v3, v147, v111
	v_add_f32_e32 v1, v1, v163
	v_mul_f32_e32 v4, v151, v115
	s_delay_alu instid0(VALU_DEP_3) | instskip(NEXT) | instid1(VALU_DEP_3)
	v_fma_f32 v3, v146, v110, -v3
	v_add_f32_e32 v1, v1, v164
	s_delay_alu instid0(VALU_DEP_3) | instskip(NEXT) | instid1(VALU_DEP_3)
	v_fma_f32 v4, v150, v114, -v4
	v_dual_add_f32 v2, v2, v3 :: v_dual_mul_f32 v3, v153, v117
	s_delay_alu instid0(VALU_DEP_1) | instskip(NEXT) | instid1(VALU_DEP_4)
	v_add_f32_e32 v2, v2, v5
	v_add_f32_e32 v1, v1, v165
	s_delay_alu instid0(VALU_DEP_3) | instskip(NEXT) | instid1(VALU_DEP_3)
	v_fma_f32 v3, v152, v116, -v3
	v_add_f32_e32 v2, v2, v4
	v_fmac_f32_e32 v167, v145, v108
	s_delay_alu instid0(VALU_DEP_2) | instskip(NEXT) | instid1(VALU_DEP_1)
	v_dual_add_f32 v1, v1, v166 :: v_dual_add_f32 v2, v2, v3
	v_add_f32_e32 v1, v1, v167
	s_delay_alu instid0(VALU_DEP_1) | instskip(NEXT) | instid1(VALU_DEP_1)
	v_add_f32_e32 v1, v1, v168
	v_add_f32_e32 v1, v1, v169
	s_delay_alu instid0(VALU_DEP_1) | instskip(NEXT) | instid1(VALU_DEP_1)
	v_add_f32_e32 v1, v1, v170
	v_add_f32_e32 v3, v1, v171
	s_wait_loadcnt 0x0
	s_delay_alu instid0(VALU_DEP_1)
	v_dual_sub_f32 v1, v154, v2 :: v_dual_sub_f32 v2, v155, v3
	scratch_store_b64 off, v[1:2], off offset:160
	v_cmpx_lt_u32_e32 19, v0
	s_cbranch_execz .LBB38_209
; %bb.208:
	scratch_load_b64 v[1:2], off, off offset:152
	v_mov_b32_e32 v3, 0
	s_delay_alu instid0(VALU_DEP_1)
	v_mov_b32_e32 v4, v3
	scratch_store_b64 off, v[3:4], off offset:152
	s_wait_loadcnt 0x0
	ds_store_b64 v23, v[1:2]
.LBB38_209:
	s_wait_alu 0xfffe
	s_or_b32 exec_lo, exec_lo, s0
	s_wait_storecnt_dscnt 0x0
	s_barrier_signal -1
	s_barrier_wait -1
	global_inv scope:SCOPE_SE
	s_clause 0xa
	scratch_load_b128 v[2:5], off, off offset:160
	scratch_load_b128 v[6:9], off, off offset:176
	;; [unrolled: 1-line block ×9, first 2 shown]
	scratch_load_b64 v[154:155], off, off offset:304
	scratch_load_b64 v[156:157], off, off offset:152
	v_mov_b32_e32 v1, 0
	ds_load_b128 v[118:121], v1 offset:480
	ds_load_b128 v[122:125], v1 offset:496
	;; [unrolled: 1-line block ×9, first 2 shown]
	ds_load_b64 v[158:159], v1 offset:624
	s_mov_b32 s0, exec_lo
	s_wait_loadcnt_dscnt 0xa09
	v_mul_f32_e32 v22, v118, v3
	s_wait_loadcnt_dscnt 0x908
	v_dual_mul_f32 v160, v120, v5 :: v_dual_mul_f32 v161, v122, v7
	v_mul_f32_e32 v3, v119, v3
	s_delay_alu instid0(VALU_DEP_3)
	v_dual_mul_f32 v5, v121, v5 :: v_dual_fmac_f32 v22, v119, v2
	s_wait_loadcnt_dscnt 0x807
	v_dual_mul_f32 v162, v124, v9 :: v_dual_mul_f32 v163, v126, v11
	s_wait_loadcnt_dscnt 0x100
	v_dual_mul_f32 v174, v148, v113 :: v_dual_mul_f32 v177, v158, v155
	v_fma_f32 v3, v118, v2, -v3
	v_mul_f32_e32 v2, v123, v7
	v_fmac_f32_e32 v160, v121, v4
	v_fma_f32 v4, v120, v4, -v5
	v_dual_add_f32 v5, 0, v22 :: v_dual_fmac_f32 v162, v125, v8
	v_add_f32_e32 v3, 0, v3
	v_fmac_f32_e32 v161, v123, v6
	v_fma_f32 v2, v122, v6, -v2
	v_dual_mul_f32 v164, v128, v13 :: v_dual_mul_f32 v165, v130, v15
	s_delay_alu instid0(VALU_DEP_4) | instskip(SKIP_2) | instid1(VALU_DEP_4)
	v_add_f32_e32 v3, v3, v4
	v_mul_f32_e32 v7, v125, v9
	v_dual_add_f32 v4, v5, v160 :: v_dual_fmac_f32 v163, v127, v10
	v_fmac_f32_e32 v164, v129, v12
	s_delay_alu instid0(VALU_DEP_4) | instskip(NEXT) | instid1(VALU_DEP_4)
	v_add_f32_e32 v2, v3, v2
	v_fma_f32 v6, v124, v8, -v7
	v_mul_f32_e32 v5, v127, v11
	v_add_f32_e32 v3, v4, v161
	v_mul_f32_e32 v4, v129, v13
	v_dual_mul_f32 v166, v132, v17 :: v_dual_mul_f32 v167, v134, v19
	v_add_f32_e32 v2, v2, v6
	v_fma_f32 v5, v126, v10, -v5
	v_mul_f32_e32 v6, v131, v15
	v_add_f32_e32 v3, v3, v162
	v_fma_f32 v4, v128, v12, -v4
	v_dual_fmac_f32 v165, v131, v14 :: v_dual_fmac_f32 v166, v133, v16
	s_delay_alu instid0(VALU_DEP_3) | instskip(SKIP_3) | instid1(VALU_DEP_4)
	v_dual_add_f32 v2, v2, v5 :: v_dual_add_f32 v3, v3, v163
	v_mul_f32_e32 v5, v133, v17
	v_fma_f32 v6, v130, v14, -v6
	v_dual_mul_f32 v168, v136, v21 :: v_dual_mul_f32 v169, v138, v103
	v_add_f32_e32 v2, v2, v4
	v_add_f32_e32 v3, v3, v164
	v_mul_f32_e32 v4, v135, v19
	v_fma_f32 v5, v132, v16, -v5
	v_fmac_f32_e32 v167, v135, v18
	s_delay_alu instid0(VALU_DEP_4) | instskip(SKIP_3) | instid1(VALU_DEP_4)
	v_dual_add_f32 v2, v2, v6 :: v_dual_add_f32 v3, v3, v165
	v_fmac_f32_e32 v168, v137, v20
	v_mul_f32_e32 v6, v137, v21
	v_fma_f32 v4, v134, v18, -v4
	v_dual_add_f32 v2, v2, v5 :: v_dual_add_f32 v3, v3, v166
	v_mul_f32_e32 v5, v139, v103
	s_delay_alu instid0(VALU_DEP_4) | instskip(SKIP_1) | instid1(VALU_DEP_4)
	v_fma_f32 v6, v136, v20, -v6
	v_dual_mul_f32 v170, v140, v105 :: v_dual_mul_f32 v171, v142, v107
	v_dual_add_f32 v2, v2, v4 :: v_dual_add_f32 v3, v3, v167
	v_dual_mul_f32 v4, v141, v105 :: v_dual_fmac_f32 v169, v139, v102
	s_delay_alu instid0(VALU_DEP_3) | instskip(SKIP_1) | instid1(VALU_DEP_4)
	v_fmac_f32_e32 v170, v141, v104
	v_fma_f32 v5, v138, v102, -v5
	v_dual_add_f32 v2, v2, v6 :: v_dual_add_f32 v3, v3, v168
	v_mul_f32_e32 v6, v143, v107
	v_fma_f32 v4, v140, v104, -v4
	s_delay_alu instid0(VALU_DEP_3) | instskip(NEXT) | instid1(VALU_DEP_4)
	v_dual_fmac_f32 v171, v143, v106 :: v_dual_add_f32 v2, v2, v5
	v_add_f32_e32 v3, v3, v169
	v_dual_mul_f32 v172, v144, v109 :: v_dual_mul_f32 v173, v146, v111
	v_mul_f32_e32 v5, v145, v109
	v_fma_f32 v6, v142, v106, -v6
	s_delay_alu instid0(VALU_DEP_4) | instskip(NEXT) | instid1(VALU_DEP_4)
	v_dual_add_f32 v2, v2, v4 :: v_dual_add_f32 v3, v3, v170
	v_fmac_f32_e32 v172, v145, v108
	v_mul_f32_e32 v4, v147, v111
	v_fma_f32 v5, v144, v108, -v5
	s_delay_alu instid0(VALU_DEP_4) | instskip(SKIP_1) | instid1(VALU_DEP_4)
	v_dual_add_f32 v2, v2, v6 :: v_dual_add_f32 v3, v3, v171
	v_dual_mul_f32 v6, v149, v113 :: v_dual_fmac_f32 v173, v147, v110
	v_fma_f32 v4, v146, v110, -v4
	s_delay_alu instid0(VALU_DEP_3) | instskip(SKIP_3) | instid1(VALU_DEP_4)
	v_dual_add_f32 v2, v2, v5 :: v_dual_add_f32 v3, v3, v172
	v_dual_mul_f32 v175, v150, v115 :: v_dual_mul_f32 v176, v152, v117
	v_dual_mul_f32 v5, v151, v115 :: v_dual_fmac_f32 v174, v149, v112
	v_fma_f32 v6, v148, v112, -v6
	v_dual_add_f32 v2, v2, v4 :: v_dual_add_f32 v3, v3, v173
	s_delay_alu instid0(VALU_DEP_4) | instskip(NEXT) | instid1(VALU_DEP_4)
	v_dual_mul_f32 v4, v153, v117 :: v_dual_fmac_f32 v175, v151, v114
	v_fma_f32 v5, v150, v114, -v5
	s_delay_alu instid0(VALU_DEP_3) | instskip(NEXT) | instid1(VALU_DEP_4)
	v_dual_fmac_f32 v176, v153, v116 :: v_dual_add_f32 v3, v3, v174
	v_add_f32_e32 v2, v2, v6
	v_mul_f32_e32 v6, v159, v155
	v_fma_f32 v4, v152, v116, -v4
	v_fmac_f32_e32 v177, v159, v154
	s_delay_alu instid0(VALU_DEP_4) | instskip(NEXT) | instid1(VALU_DEP_4)
	v_dual_add_f32 v3, v3, v175 :: v_dual_add_f32 v2, v2, v5
	v_fma_f32 v5, v158, v154, -v6
	s_delay_alu instid0(VALU_DEP_2) | instskip(NEXT) | instid1(VALU_DEP_1)
	v_add_f32_e32 v3, v3, v176
	v_dual_add_f32 v2, v2, v4 :: v_dual_add_f32 v3, v3, v177
	s_wait_loadcnt 0x0
	s_delay_alu instid0(VALU_DEP_1) | instskip(NEXT) | instid1(VALU_DEP_1)
	v_dual_add_f32 v2, v2, v5 :: v_dual_sub_f32 v3, v157, v3
	v_sub_f32_e32 v2, v156, v2
	scratch_store_b64 off, v[2:3], off offset:152
	v_cmpx_lt_u32_e32 18, v0
	s_cbranch_execz .LBB38_211
; %bb.210:
	scratch_load_b64 v[3:4], off, off offset:144
	v_mov_b32_e32 v2, v1
	scratch_store_b64 off, v[1:2], off offset:144
	s_wait_loadcnt 0x0
	ds_store_b64 v23, v[3:4]
.LBB38_211:
	s_wait_alu 0xfffe
	s_or_b32 exec_lo, exec_lo, s0
	s_wait_storecnt_dscnt 0x0
	s_barrier_signal -1
	s_barrier_wait -1
	global_inv scope:SCOPE_SE
	s_clause 0xa
	scratch_load_b128 v[2:5], off, off offset:152
	scratch_load_b128 v[6:9], off, off offset:168
	;; [unrolled: 1-line block ×10, first 2 shown]
	scratch_load_b64 v[162:163], off, off offset:144
	ds_load_2addr_b64 v[122:125], v1 offset0:59 offset1:60
	ds_load_2addr_b64 v[126:129], v1 offset0:61 offset1:62
	;; [unrolled: 1-line block ×10, first 2 shown]
	s_mov_b32 s0, exec_lo
	s_wait_loadcnt_dscnt 0xa09
	v_dual_mul_f32 v1, v122, v3 :: v_dual_mul_f32 v22, v124, v5
	v_mul_f32_e32 v3, v123, v3
	s_wait_loadcnt_dscnt 0x908
	v_dual_mul_f32 v5, v125, v5 :: v_dual_mul_f32 v164, v126, v7
	s_delay_alu instid0(VALU_DEP_3) | instskip(NEXT) | instid1(VALU_DEP_3)
	v_dual_mul_f32 v165, v128, v9 :: v_dual_fmac_f32 v22, v125, v4
	v_fma_f32 v3, v122, v2, -v3
	v_fmac_f32_e32 v1, v123, v2
	v_mul_f32_e32 v2, v127, v7
	v_fma_f32 v4, v124, v4, -v5
	s_delay_alu instid0(VALU_DEP_4)
	v_dual_fmac_f32 v164, v127, v6 :: v_dual_add_f32 v3, 0, v3
	s_wait_loadcnt_dscnt 0x605
	v_dual_mul_f32 v170, v138, v19 :: v_dual_mul_f32 v171, v140, v21
	v_fma_f32 v2, v126, v6, -v2
	v_dual_mul_f32 v166, v130, v11 :: v_dual_mul_f32 v167, v132, v13
	v_add_f32_e32 v3, v3, v4
	v_dual_mul_f32 v5, v129, v9 :: v_dual_mul_f32 v168, v134, v15
	v_dual_mul_f32 v169, v136, v17 :: v_dual_mul_f32 v4, v131, v11
	s_delay_alu instid0(VALU_DEP_3) | instskip(NEXT) | instid1(VALU_DEP_3)
	v_add_f32_e32 v2, v3, v2
	v_fma_f32 v5, v128, v8, -v5
	v_dual_mul_f32 v3, v133, v13 :: v_dual_fmac_f32 v170, v139, v18
	s_delay_alu instid0(VALU_DEP_4) | instskip(SKIP_1) | instid1(VALU_DEP_4)
	v_fma_f32 v4, v130, v10, -v4
	v_dual_fmac_f32 v165, v129, v8 :: v_dual_fmac_f32 v166, v131, v10
	v_add_f32_e32 v2, v2, v5
	v_add_f32_e32 v1, 0, v1
	v_fma_f32 v3, v132, v12, -v3
	v_fmac_f32_e32 v168, v135, v14
	s_wait_loadcnt_dscnt 0x504
	v_dual_mul_f32 v172, v142, v103 :: v_dual_mul_f32 v173, v144, v105
	v_dual_add_f32 v1, v1, v22 :: v_dual_add_f32 v2, v2, v4
	v_mul_f32_e32 v4, v137, v17
	s_wait_loadcnt_dscnt 0x302
	v_dual_mul_f32 v176, v150, v111 :: v_dual_mul_f32 v177, v152, v113
	s_delay_alu instid0(VALU_DEP_3) | instskip(NEXT) | instid1(VALU_DEP_3)
	v_dual_add_f32 v1, v1, v164 :: v_dual_add_f32 v2, v2, v3
	v_fma_f32 v4, v136, v16, -v4
	v_mul_f32_e32 v5, v135, v15
	v_dual_mul_f32 v174, v146, v107 :: v_dual_mul_f32 v175, v148, v109
	s_wait_loadcnt_dscnt 0x201
	v_dual_add_f32 v1, v1, v165 :: v_dual_mul_f32 v178, v154, v115
	v_mul_f32_e32 v179, v156, v117
	v_fma_f32 v5, v134, v14, -v5
	v_fmac_f32_e32 v167, v133, v12
	s_delay_alu instid0(VALU_DEP_4) | instskip(SKIP_1) | instid1(VALU_DEP_4)
	v_add_f32_e32 v1, v1, v166
	v_dual_fmac_f32 v172, v143, v102 :: v_dual_fmac_f32 v173, v145, v104
	v_add_f32_e32 v2, v2, v5
	v_fmac_f32_e32 v174, v147, v106
	s_wait_loadcnt_dscnt 0x100
	v_dual_mul_f32 v180, v158, v119 :: v_dual_mul_f32 v181, v160, v121
	v_fmac_f32_e32 v175, v149, v108
	v_add_f32_e32 v2, v2, v4
	v_mul_f32_e32 v4, v143, v103
	s_delay_alu instid0(VALU_DEP_4) | instskip(SKIP_2) | instid1(VALU_DEP_4)
	v_dual_add_f32 v1, v1, v167 :: v_dual_fmac_f32 v180, v159, v118
	v_fmac_f32_e32 v177, v153, v112
	v_fmac_f32_e32 v179, v157, v116
	v_fma_f32 v4, v142, v102, -v4
	v_mul_f32_e32 v5, v141, v21
	v_add_f32_e32 v1, v1, v168
	v_dual_fmac_f32 v181, v161, v120 :: v_dual_fmac_f32 v176, v151, v110
	v_fmac_f32_e32 v178, v155, v114
	s_delay_alu instid0(VALU_DEP_4) | instskip(SKIP_1) | instid1(VALU_DEP_1)
	v_fma_f32 v5, v140, v20, -v5
	v_mul_f32_e32 v3, v139, v19
	v_fma_f32 v3, v138, v18, -v3
	s_delay_alu instid0(VALU_DEP_1) | instskip(SKIP_1) | instid1(VALU_DEP_2)
	v_dual_fmac_f32 v169, v137, v16 :: v_dual_add_f32 v2, v2, v3
	v_mul_f32_e32 v3, v145, v105
	v_dual_add_f32 v2, v2, v5 :: v_dual_mul_f32 v5, v147, v107
	s_delay_alu instid0(VALU_DEP_2) | instskip(NEXT) | instid1(VALU_DEP_2)
	v_fma_f32 v3, v144, v104, -v3
	v_dual_add_f32 v2, v2, v4 :: v_dual_add_f32 v1, v1, v169
	v_mul_f32_e32 v4, v149, v109
	s_delay_alu instid0(VALU_DEP_4) | instskip(NEXT) | instid1(VALU_DEP_3)
	v_fma_f32 v5, v146, v106, -v5
	v_dual_add_f32 v2, v2, v3 :: v_dual_fmac_f32 v171, v141, v20
	s_delay_alu instid0(VALU_DEP_3) | instskip(NEXT) | instid1(VALU_DEP_2)
	v_fma_f32 v4, v148, v108, -v4
	v_add_f32_e32 v2, v2, v5
	v_mul_f32_e32 v5, v153, v113
	s_delay_alu instid0(VALU_DEP_2) | instskip(NEXT) | instid1(VALU_DEP_2)
	v_dual_add_f32 v1, v1, v170 :: v_dual_add_f32 v2, v2, v4
	v_fma_f32 v5, v152, v112, -v5
	v_mul_f32_e32 v3, v151, v111
	s_delay_alu instid0(VALU_DEP_3) | instskip(SKIP_1) | instid1(VALU_DEP_3)
	v_add_f32_e32 v1, v1, v171
	v_mul_f32_e32 v4, v155, v115
	v_fma_f32 v3, v150, v110, -v3
	s_delay_alu instid0(VALU_DEP_3) | instskip(NEXT) | instid1(VALU_DEP_3)
	v_add_f32_e32 v1, v1, v172
	v_fma_f32 v4, v154, v114, -v4
	s_delay_alu instid0(VALU_DEP_3) | instskip(NEXT) | instid1(VALU_DEP_1)
	v_dual_add_f32 v2, v2, v3 :: v_dual_mul_f32 v3, v157, v117
	v_add_f32_e32 v2, v2, v5
	s_delay_alu instid0(VALU_DEP_4) | instskip(SKIP_1) | instid1(VALU_DEP_4)
	v_add_f32_e32 v1, v1, v173
	v_mul_f32_e32 v5, v159, v119
	v_fma_f32 v3, v156, v116, -v3
	s_delay_alu instid0(VALU_DEP_3) | instskip(SKIP_1) | instid1(VALU_DEP_4)
	v_dual_add_f32 v2, v2, v4 :: v_dual_add_f32 v1, v1, v174
	v_mul_f32_e32 v4, v161, v121
	v_fma_f32 v5, v158, v118, -v5
	s_delay_alu instid0(VALU_DEP_3) | instskip(NEXT) | instid1(VALU_DEP_4)
	v_add_f32_e32 v2, v2, v3
	v_add_f32_e32 v1, v1, v175
	s_delay_alu instid0(VALU_DEP_4) | instskip(NEXT) | instid1(VALU_DEP_2)
	v_fma_f32 v3, v160, v120, -v4
	v_dual_add_f32 v2, v2, v5 :: v_dual_add_f32 v1, v1, v176
	s_delay_alu instid0(VALU_DEP_1) | instskip(NEXT) | instid1(VALU_DEP_1)
	v_dual_add_f32 v2, v2, v3 :: v_dual_add_f32 v1, v1, v177
	v_add_f32_e32 v1, v1, v178
	s_delay_alu instid0(VALU_DEP_1) | instskip(NEXT) | instid1(VALU_DEP_1)
	v_add_f32_e32 v1, v1, v179
	v_add_f32_e32 v1, v1, v180
	s_delay_alu instid0(VALU_DEP_1) | instskip(SKIP_1) | instid1(VALU_DEP_1)
	v_add_f32_e32 v3, v1, v181
	s_wait_loadcnt 0x0
	v_dual_sub_f32 v1, v162, v2 :: v_dual_sub_f32 v2, v163, v3
	scratch_store_b64 off, v[1:2], off offset:144
	v_cmpx_lt_u32_e32 17, v0
	s_cbranch_execz .LBB38_213
; %bb.212:
	scratch_load_b64 v[1:2], off, off offset:136
	v_mov_b32_e32 v3, 0
	s_delay_alu instid0(VALU_DEP_1)
	v_mov_b32_e32 v4, v3
	scratch_store_b64 off, v[3:4], off offset:136
	s_wait_loadcnt 0x0
	ds_store_b64 v23, v[1:2]
.LBB38_213:
	s_wait_alu 0xfffe
	s_or_b32 exec_lo, exec_lo, s0
	s_wait_storecnt_dscnt 0x0
	s_barrier_signal -1
	s_barrier_wait -1
	global_inv scope:SCOPE_SE
	s_clause 0xb
	scratch_load_b128 v[2:5], off, off offset:144
	scratch_load_b128 v[6:9], off, off offset:160
	;; [unrolled: 1-line block ×10, first 2 shown]
	scratch_load_b64 v[162:163], off, off offset:304
	scratch_load_b64 v[164:165], off, off offset:136
	v_mov_b32_e32 v1, 0
	ds_load_b128 v[122:125], v1 offset:464
	ds_load_b128 v[126:129], v1 offset:480
	;; [unrolled: 1-line block ×10, first 2 shown]
	ds_load_b64 v[166:167], v1 offset:624
	s_mov_b32 s0, exec_lo
	s_wait_loadcnt_dscnt 0xb0a
	v_mul_f32_e32 v22, v122, v3
	s_wait_loadcnt_dscnt 0xa09
	v_dual_mul_f32 v168, v124, v5 :: v_dual_mul_f32 v169, v126, v7
	v_mul_f32_e32 v5, v125, v5
	v_dual_mul_f32 v3, v123, v3 :: v_dual_mul_f32 v170, v128, v9
	s_wait_loadcnt_dscnt 0x908
	v_dual_mul_f32 v171, v130, v11 :: v_dual_fmac_f32 v22, v123, v2
	s_wait_loadcnt_dscnt 0x302
	v_mul_f32_e32 v184, v156, v117
	v_fma_f32 v3, v122, v2, -v3
	s_wait_loadcnt_dscnt 0x100
	v_mul_f32_e32 v187, v166, v163
	v_mul_f32_e32 v2, v127, v7
	v_fmac_f32_e32 v168, v125, v4
	v_fma_f32 v4, v124, v4, -v5
	v_add_f32_e32 v3, 0, v3
	v_dual_add_f32 v5, 0, v22 :: v_dual_fmac_f32 v170, v129, v8
	v_fmac_f32_e32 v169, v127, v6
	v_fma_f32 v2, v126, v6, -v2
	s_delay_alu instid0(VALU_DEP_4) | instskip(SKIP_3) | instid1(VALU_DEP_4)
	v_add_f32_e32 v3, v3, v4
	v_mul_f32_e32 v7, v129, v9
	v_add_f32_e32 v4, v5, v168
	v_dual_mul_f32 v172, v132, v13 :: v_dual_mul_f32 v173, v134, v15
	v_add_f32_e32 v2, v3, v2
	s_delay_alu instid0(VALU_DEP_4)
	v_fma_f32 v6, v128, v8, -v7
	v_mul_f32_e32 v5, v131, v11
	v_add_f32_e32 v3, v4, v169
	v_dual_mul_f32 v4, v133, v13 :: v_dual_fmac_f32 v171, v131, v10
	v_fmac_f32_e32 v172, v133, v12
	v_add_f32_e32 v2, v2, v6
	v_fma_f32 v5, v130, v10, -v5
	v_mul_f32_e32 v6, v135, v15
	v_add_f32_e32 v3, v3, v170
	v_fma_f32 v4, v132, v12, -v4
	v_dual_mul_f32 v174, v136, v17 :: v_dual_mul_f32 v175, v138, v19
	s_delay_alu instid0(VALU_DEP_3) | instskip(SKIP_1) | instid1(VALU_DEP_3)
	v_dual_add_f32 v2, v2, v5 :: v_dual_add_f32 v3, v3, v171
	v_mul_f32_e32 v5, v137, v17
	v_dual_fmac_f32 v173, v135, v14 :: v_dual_fmac_f32 v174, v137, v16
	v_fma_f32 v6, v134, v14, -v6
	s_delay_alu instid0(VALU_DEP_4) | instskip(SKIP_4) | instid1(VALU_DEP_4)
	v_add_f32_e32 v2, v2, v4
	v_dual_add_f32 v3, v3, v172 :: v_dual_mul_f32 v176, v140, v21
	v_mul_f32_e32 v177, v142, v103
	v_mul_f32_e32 v4, v139, v19
	v_fma_f32 v5, v136, v16, -v5
	v_dual_add_f32 v2, v2, v6 :: v_dual_add_f32 v3, v3, v173
	v_fmac_f32_e32 v176, v141, v20
	v_dual_mul_f32 v6, v141, v21 :: v_dual_fmac_f32 v175, v139, v18
	v_fma_f32 v4, v138, v18, -v4
	s_delay_alu instid0(VALU_DEP_4) | instskip(SKIP_1) | instid1(VALU_DEP_4)
	v_dual_add_f32 v2, v2, v5 :: v_dual_add_f32 v3, v3, v174
	v_mul_f32_e32 v5, v143, v103
	v_fma_f32 v6, v140, v20, -v6
	v_dual_mul_f32 v178, v144, v105 :: v_dual_mul_f32 v179, v146, v107
	s_delay_alu instid0(VALU_DEP_4) | instskip(SKIP_1) | instid1(VALU_DEP_3)
	v_dual_add_f32 v2, v2, v4 :: v_dual_add_f32 v3, v3, v175
	v_dual_mul_f32 v4, v145, v105 :: v_dual_fmac_f32 v177, v143, v102
	v_fmac_f32_e32 v178, v145, v104
	v_fma_f32 v5, v142, v102, -v5
	s_delay_alu instid0(VALU_DEP_4) | instskip(SKIP_2) | instid1(VALU_DEP_3)
	v_dual_add_f32 v2, v2, v6 :: v_dual_add_f32 v3, v3, v176
	v_mul_f32_e32 v6, v147, v107
	v_fma_f32 v4, v144, v104, -v4
	v_dual_fmac_f32 v179, v147, v106 :: v_dual_add_f32 v2, v2, v5
	s_delay_alu instid0(VALU_DEP_4) | instskip(SKIP_3) | instid1(VALU_DEP_4)
	v_add_f32_e32 v3, v3, v177
	v_dual_mul_f32 v180, v148, v109 :: v_dual_mul_f32 v181, v150, v111
	v_mul_f32_e32 v5, v149, v109
	v_fma_f32 v6, v146, v106, -v6
	v_dual_add_f32 v2, v2, v4 :: v_dual_add_f32 v3, v3, v178
	s_delay_alu instid0(VALU_DEP_4) | instskip(SKIP_2) | instid1(VALU_DEP_4)
	v_fmac_f32_e32 v180, v149, v108
	v_mul_f32_e32 v4, v151, v111
	v_fma_f32 v5, v148, v108, -v5
	v_dual_add_f32 v2, v2, v6 :: v_dual_add_f32 v3, v3, v179
	v_dual_mul_f32 v182, v152, v113 :: v_dual_mul_f32 v183, v154, v115
	v_dual_mul_f32 v6, v153, v113 :: v_dual_fmac_f32 v181, v151, v110
	v_fma_f32 v4, v150, v110, -v4
	s_delay_alu instid0(VALU_DEP_4) | instskip(NEXT) | instid1(VALU_DEP_4)
	v_dual_add_f32 v2, v2, v5 :: v_dual_add_f32 v3, v3, v180
	v_dual_mul_f32 v5, v155, v115 :: v_dual_fmac_f32 v182, v153, v112
	s_delay_alu instid0(VALU_DEP_4) | instskip(NEXT) | instid1(VALU_DEP_3)
	v_fma_f32 v6, v152, v112, -v6
	v_dual_add_f32 v2, v2, v4 :: v_dual_add_f32 v3, v3, v181
	v_dual_mul_f32 v4, v157, v117 :: v_dual_fmac_f32 v183, v155, v114
	s_delay_alu instid0(VALU_DEP_4) | instskip(NEXT) | instid1(VALU_DEP_3)
	v_fma_f32 v5, v154, v114, -v5
	v_dual_fmac_f32 v184, v157, v116 :: v_dual_add_f32 v3, v3, v182
	s_delay_alu instid0(VALU_DEP_4) | instskip(SKIP_3) | instid1(VALU_DEP_4)
	v_add_f32_e32 v2, v2, v6
	v_dual_mul_f32 v185, v158, v119 :: v_dual_mul_f32 v186, v160, v121
	v_mul_f32_e32 v6, v159, v119
	v_fma_f32 v4, v156, v116, -v4
	v_dual_add_f32 v3, v3, v183 :: v_dual_add_f32 v2, v2, v5
	s_delay_alu instid0(VALU_DEP_4) | instskip(SKIP_2) | instid1(VALU_DEP_4)
	v_fmac_f32_e32 v185, v159, v118
	v_mul_f32_e32 v5, v161, v121
	v_fma_f32 v6, v158, v118, -v6
	v_add_f32_e32 v3, v3, v184
	v_add_f32_e32 v2, v2, v4
	v_mul_f32_e32 v4, v167, v163
	v_dual_fmac_f32 v186, v161, v120 :: v_dual_fmac_f32 v187, v167, v162
	v_fma_f32 v5, v160, v120, -v5
	s_delay_alu instid0(VALU_DEP_4) | instskip(NEXT) | instid1(VALU_DEP_4)
	v_dual_add_f32 v3, v3, v185 :: v_dual_add_f32 v2, v2, v6
	v_fma_f32 v4, v166, v162, -v4
	s_delay_alu instid0(VALU_DEP_2) | instskip(NEXT) | instid1(VALU_DEP_1)
	v_dual_add_f32 v3, v3, v186 :: v_dual_add_f32 v2, v2, v5
	v_dual_add_f32 v3, v3, v187 :: v_dual_add_f32 v2, v2, v4
	s_wait_loadcnt 0x0
	s_delay_alu instid0(VALU_DEP_1)
	v_dual_sub_f32 v3, v165, v3 :: v_dual_sub_f32 v2, v164, v2
	scratch_store_b64 off, v[2:3], off offset:136
	v_cmpx_lt_u32_e32 16, v0
	s_cbranch_execz .LBB38_215
; %bb.214:
	scratch_load_b64 v[3:4], off, off offset:128
	v_mov_b32_e32 v2, v1
	scratch_store_b64 off, v[1:2], off offset:128
	s_wait_loadcnt 0x0
	ds_store_b64 v23, v[3:4]
.LBB38_215:
	s_wait_alu 0xfffe
	s_or_b32 exec_lo, exec_lo, s0
	s_wait_storecnt_dscnt 0x0
	s_barrier_signal -1
	s_barrier_wait -1
	global_inv scope:SCOPE_SE
	s_clause 0xb
	scratch_load_b128 v[2:5], off, off offset:136
	scratch_load_b128 v[6:9], off, off offset:152
	;; [unrolled: 1-line block ×11, first 2 shown]
	scratch_load_b64 v[170:171], off, off offset:128
	ds_load_2addr_b64 v[126:129], v1 offset0:57 offset1:58
	ds_load_2addr_b64 v[130:133], v1 offset0:59 offset1:60
	ds_load_2addr_b64 v[134:137], v1 offset0:61 offset1:62
	ds_load_2addr_b64 v[138:141], v1 offset0:63 offset1:64
	ds_load_2addr_b64 v[142:145], v1 offset0:65 offset1:66
	ds_load_2addr_b64 v[146:149], v1 offset0:67 offset1:68
	ds_load_2addr_b64 v[150:153], v1 offset0:69 offset1:70
	ds_load_2addr_b64 v[154:157], v1 offset0:71 offset1:72
	ds_load_2addr_b64 v[158:161], v1 offset0:73 offset1:74
	ds_load_2addr_b64 v[162:165], v1 offset0:75 offset1:76
	ds_load_2addr_b64 v[166:169], v1 offset0:77 offset1:78
	s_mov_b32 s0, exec_lo
	s_wait_loadcnt_dscnt 0xb0a
	v_dual_mul_f32 v1, v126, v3 :: v_dual_mul_f32 v22, v128, v5
	v_mul_f32_e32 v3, v127, v3
	s_wait_loadcnt_dscnt 0xa09
	v_dual_mul_f32 v5, v129, v5 :: v_dual_mul_f32 v172, v130, v7
	s_delay_alu instid0(VALU_DEP_3) | instskip(NEXT) | instid1(VALU_DEP_3)
	v_dual_mul_f32 v173, v132, v9 :: v_dual_fmac_f32 v22, v129, v4
	v_fma_f32 v3, v126, v2, -v3
	v_fmac_f32_e32 v1, v127, v2
	v_mul_f32_e32 v2, v131, v7
	v_fma_f32 v4, v128, v4, -v5
	s_delay_alu instid0(VALU_DEP_4)
	v_dual_fmac_f32 v172, v131, v6 :: v_dual_add_f32 v3, 0, v3
	s_wait_loadcnt_dscnt 0x706
	v_dual_mul_f32 v178, v142, v19 :: v_dual_mul_f32 v179, v144, v21
	v_fma_f32 v2, v130, v6, -v2
	v_dual_mul_f32 v174, v134, v11 :: v_dual_mul_f32 v175, v136, v13
	v_add_f32_e32 v3, v3, v4
	v_dual_mul_f32 v5, v133, v9 :: v_dual_mul_f32 v176, v138, v15
	v_dual_mul_f32 v177, v140, v17 :: v_dual_mul_f32 v4, v135, v11
	s_delay_alu instid0(VALU_DEP_3) | instskip(NEXT) | instid1(VALU_DEP_3)
	v_add_f32_e32 v2, v3, v2
	v_fma_f32 v5, v132, v8, -v5
	v_dual_mul_f32 v3, v137, v13 :: v_dual_fmac_f32 v178, v143, v18
	s_delay_alu instid0(VALU_DEP_4) | instskip(SKIP_1) | instid1(VALU_DEP_4)
	v_fma_f32 v4, v134, v10, -v4
	v_dual_fmac_f32 v173, v133, v8 :: v_dual_fmac_f32 v174, v135, v10
	v_add_f32_e32 v2, v2, v5
	v_add_f32_e32 v1, 0, v1
	v_fma_f32 v3, v136, v12, -v3
	v_fmac_f32_e32 v176, v139, v14
	s_wait_loadcnt_dscnt 0x605
	v_dual_mul_f32 v180, v146, v103 :: v_dual_mul_f32 v181, v148, v105
	v_dual_add_f32 v1, v1, v22 :: v_dual_add_f32 v2, v2, v4
	v_mul_f32_e32 v4, v141, v17
	s_wait_loadcnt_dscnt 0x403
	v_dual_mul_f32 v184, v154, v111 :: v_dual_mul_f32 v185, v156, v113
	s_delay_alu instid0(VALU_DEP_3) | instskip(NEXT) | instid1(VALU_DEP_3)
	v_dual_add_f32 v1, v1, v172 :: v_dual_add_f32 v2, v2, v3
	v_fma_f32 v4, v140, v16, -v4
	v_mul_f32_e32 v5, v139, v15
	v_dual_mul_f32 v182, v150, v107 :: v_dual_mul_f32 v183, v152, v109
	s_wait_loadcnt_dscnt 0x100
	v_dual_add_f32 v1, v1, v173 :: v_dual_mul_f32 v190, v166, v123
	v_mul_f32_e32 v191, v168, v125
	v_fma_f32 v5, v138, v14, -v5
	v_fmac_f32_e32 v175, v137, v12
	s_delay_alu instid0(VALU_DEP_4)
	v_add_f32_e32 v1, v1, v174
	v_fmac_f32_e32 v180, v147, v102
	v_dual_mul_f32 v186, v158, v115 :: v_dual_mul_f32 v187, v160, v117
	v_add_f32_e32 v2, v2, v5
	v_dual_fmac_f32 v182, v151, v106 :: v_dual_fmac_f32 v181, v149, v104
	v_dual_mul_f32 v188, v162, v119 :: v_dual_mul_f32 v189, v164, v121
	s_delay_alu instid0(VALU_DEP_3) | instskip(SKIP_2) | instid1(VALU_DEP_4)
	v_add_f32_e32 v2, v2, v4
	v_mul_f32_e32 v4, v147, v103
	v_add_f32_e32 v1, v1, v175
	v_dual_fmac_f32 v183, v153, v108 :: v_dual_fmac_f32 v188, v163, v118
	v_fmac_f32_e32 v187, v161, v116
	s_delay_alu instid0(VALU_DEP_4) | instskip(SKIP_4) | instid1(VALU_DEP_4)
	v_fma_f32 v4, v146, v102, -v4
	v_mul_f32_e32 v5, v145, v21
	v_add_f32_e32 v1, v1, v176
	v_dual_fmac_f32 v189, v165, v120 :: v_dual_fmac_f32 v184, v155, v110
	v_fmac_f32_e32 v191, v169, v124
	v_fma_f32 v5, v144, v20, -v5
	v_mul_f32_e32 v3, v143, v19
	v_fmac_f32_e32 v190, v167, v122
	v_fmac_f32_e32 v186, v159, v114
	s_delay_alu instid0(VALU_DEP_3) | instskip(NEXT) | instid1(VALU_DEP_1)
	v_fma_f32 v3, v142, v18, -v3
	v_dual_fmac_f32 v177, v141, v16 :: v_dual_add_f32 v2, v2, v3
	v_mul_f32_e32 v3, v149, v105
	s_delay_alu instid0(VALU_DEP_2) | instskip(NEXT) | instid1(VALU_DEP_2)
	v_dual_add_f32 v2, v2, v5 :: v_dual_mul_f32 v5, v151, v107
	v_fma_f32 v3, v148, v104, -v3
	s_delay_alu instid0(VALU_DEP_2) | instskip(SKIP_1) | instid1(VALU_DEP_4)
	v_dual_add_f32 v2, v2, v4 :: v_dual_add_f32 v1, v1, v177
	v_mul_f32_e32 v4, v153, v109
	v_fma_f32 v5, v150, v106, -v5
	s_delay_alu instid0(VALU_DEP_3) | instskip(NEXT) | instid1(VALU_DEP_3)
	v_dual_add_f32 v2, v2, v3 :: v_dual_fmac_f32 v179, v145, v20
	v_fma_f32 v4, v152, v108, -v4
	s_delay_alu instid0(VALU_DEP_2) | instskip(SKIP_1) | instid1(VALU_DEP_2)
	v_add_f32_e32 v2, v2, v5
	v_mul_f32_e32 v5, v157, v113
	v_dual_add_f32 v1, v1, v178 :: v_dual_add_f32 v2, v2, v4
	s_delay_alu instid0(VALU_DEP_2) | instskip(SKIP_1) | instid1(VALU_DEP_3)
	v_fma_f32 v5, v156, v112, -v5
	v_mul_f32_e32 v3, v155, v111
	v_add_f32_e32 v1, v1, v179
	v_mul_f32_e32 v4, v159, v115
	s_delay_alu instid0(VALU_DEP_3) | instskip(NEXT) | instid1(VALU_DEP_3)
	v_fma_f32 v3, v154, v110, -v3
	v_add_f32_e32 v1, v1, v180
	s_delay_alu instid0(VALU_DEP_3) | instskip(NEXT) | instid1(VALU_DEP_3)
	v_fma_f32 v4, v158, v114, -v4
	v_add_f32_e32 v2, v2, v3
	s_delay_alu instid0(VALU_DEP_1) | instskip(NEXT) | instid1(VALU_DEP_4)
	v_add_f32_e32 v2, v2, v5
	v_add_f32_e32 v1, v1, v181
	s_delay_alu instid0(VALU_DEP_2) | instskip(SKIP_1) | instid1(VALU_DEP_2)
	v_dual_mul_f32 v5, v163, v119 :: v_dual_add_f32 v2, v2, v4
	v_mul_f32_e32 v4, v165, v121
	v_fma_f32 v5, v162, v118, -v5
	s_delay_alu instid0(VALU_DEP_2) | instskip(SKIP_1) | instid1(VALU_DEP_1)
	v_fma_f32 v4, v164, v120, -v4
	v_mul_f32_e32 v3, v161, v117
	v_fma_f32 v3, v160, v116, -v3
	s_delay_alu instid0(VALU_DEP_1) | instskip(NEXT) | instid1(VALU_DEP_1)
	v_dual_add_f32 v1, v1, v182 :: v_dual_add_f32 v2, v2, v3
	v_add_f32_e32 v1, v1, v183
	s_delay_alu instid0(VALU_DEP_2) | instskip(NEXT) | instid1(VALU_DEP_2)
	v_dual_mul_f32 v3, v167, v123 :: v_dual_add_f32 v2, v2, v5
	v_add_f32_e32 v1, v1, v184
	v_mul_f32_e32 v5, v169, v125
	s_delay_alu instid0(VALU_DEP_3) | instskip(NEXT) | instid1(VALU_DEP_4)
	v_fma_f32 v3, v166, v122, -v3
	v_add_f32_e32 v2, v2, v4
	v_fmac_f32_e32 v185, v157, v112
	s_delay_alu instid0(VALU_DEP_4) | instskip(NEXT) | instid1(VALU_DEP_2)
	v_fma_f32 v4, v168, v124, -v5
	v_dual_add_f32 v2, v2, v3 :: v_dual_add_f32 v1, v1, v185
	s_delay_alu instid0(VALU_DEP_1) | instskip(NEXT) | instid1(VALU_DEP_1)
	v_dual_add_f32 v2, v2, v4 :: v_dual_add_f32 v1, v1, v186
	v_add_f32_e32 v1, v1, v187
	s_delay_alu instid0(VALU_DEP_1) | instskip(NEXT) | instid1(VALU_DEP_1)
	v_add_f32_e32 v1, v1, v188
	v_add_f32_e32 v1, v1, v189
	s_delay_alu instid0(VALU_DEP_1) | instskip(NEXT) | instid1(VALU_DEP_1)
	v_add_f32_e32 v1, v1, v190
	v_add_f32_e32 v3, v1, v191
	s_wait_loadcnt 0x0
	s_delay_alu instid0(VALU_DEP_1)
	v_dual_sub_f32 v1, v170, v2 :: v_dual_sub_f32 v2, v171, v3
	scratch_store_b64 off, v[1:2], off offset:128
	v_cmpx_lt_u32_e32 15, v0
	s_cbranch_execz .LBB38_217
; %bb.216:
	scratch_load_b64 v[1:2], off, off offset:120
	v_mov_b32_e32 v3, 0
	s_delay_alu instid0(VALU_DEP_1)
	v_mov_b32_e32 v4, v3
	scratch_store_b64 off, v[3:4], off offset:120
	s_wait_loadcnt 0x0
	ds_store_b64 v23, v[1:2]
.LBB38_217:
	s_wait_alu 0xfffe
	s_or_b32 exec_lo, exec_lo, s0
	s_wait_storecnt_dscnt 0x0
	s_barrier_signal -1
	s_barrier_wait -1
	global_inv scope:SCOPE_SE
	s_clause 0xc
	scratch_load_b128 v[2:5], off, off offset:128
	scratch_load_b128 v[6:9], off, off offset:144
	;; [unrolled: 1-line block ×11, first 2 shown]
	scratch_load_b64 v[170:171], off, off offset:304
	scratch_load_b64 v[172:173], off, off offset:120
	v_mov_b32_e32 v1, 0
	ds_load_b128 v[126:129], v1 offset:448
	ds_load_b128 v[130:133], v1 offset:464
	;; [unrolled: 1-line block ×11, first 2 shown]
	ds_load_b64 v[174:175], v1 offset:624
	s_mov_b32 s0, exec_lo
	s_wait_loadcnt_dscnt 0xc0b
	v_mul_f32_e32 v22, v126, v3
	s_wait_loadcnt_dscnt 0xb0a
	v_dual_mul_f32 v176, v128, v5 :: v_dual_mul_f32 v177, v130, v7
	v_mul_f32_e32 v5, v129, v5
	s_wait_loadcnt_dscnt 0xa09
	v_dual_mul_f32 v178, v132, v9 :: v_dual_mul_f32 v179, v134, v11
	v_mul_f32_e32 v3, v127, v3
	v_fmac_f32_e32 v22, v127, v2
	s_wait_loadcnt_dscnt 0x908
	v_dual_mul_f32 v180, v136, v13 :: v_dual_mul_f32 v181, v138, v15
	s_wait_loadcnt_dscnt 0x100
	v_dual_mul_f32 v194, v164, v121 :: v_dual_mul_f32 v197, v174, v171
	v_fma_f32 v3, v126, v2, -v3
	v_mul_f32_e32 v2, v131, v7
	v_fmac_f32_e32 v176, v129, v4
	v_fma_f32 v4, v128, v4, -v5
	v_dual_add_f32 v5, 0, v22 :: v_dual_fmac_f32 v178, v133, v8
	v_add_f32_e32 v3, 0, v3
	v_fmac_f32_e32 v177, v131, v6
	v_fma_f32 v2, v130, v6, -v2
	v_dual_fmac_f32 v179, v135, v10 :: v_dual_fmac_f32 v180, v137, v12
	s_delay_alu instid0(VALU_DEP_4) | instskip(SKIP_3) | instid1(VALU_DEP_4)
	v_add_f32_e32 v3, v3, v4
	v_mul_f32_e32 v7, v133, v9
	v_add_f32_e32 v4, v5, v176
	v_dual_mul_f32 v182, v140, v17 :: v_dual_mul_f32 v183, v142, v19
	v_add_f32_e32 v2, v3, v2
	s_delay_alu instid0(VALU_DEP_4)
	v_fma_f32 v6, v132, v8, -v7
	v_mul_f32_e32 v5, v135, v11
	v_add_f32_e32 v3, v4, v177
	v_dual_mul_f32 v4, v137, v13 :: v_dual_fmac_f32 v181, v139, v14
	v_fmac_f32_e32 v182, v141, v16
	v_add_f32_e32 v2, v2, v6
	v_fma_f32 v5, v134, v10, -v5
	v_mul_f32_e32 v6, v139, v15
	v_add_f32_e32 v3, v3, v178
	v_fma_f32 v4, v136, v12, -v4
	v_dual_mul_f32 v184, v144, v21 :: v_dual_mul_f32 v185, v146, v103
	s_delay_alu instid0(VALU_DEP_3) | instskip(SKIP_2) | instid1(VALU_DEP_3)
	v_dual_add_f32 v2, v2, v5 :: v_dual_add_f32 v3, v3, v179
	v_mul_f32_e32 v5, v141, v17
	v_fma_f32 v6, v138, v14, -v6
	v_dual_fmac_f32 v183, v143, v18 :: v_dual_add_f32 v2, v2, v4
	s_delay_alu instid0(VALU_DEP_4) | instskip(SKIP_3) | instid1(VALU_DEP_4)
	v_add_f32_e32 v3, v3, v180
	v_mul_f32_e32 v4, v143, v19
	v_fma_f32 v5, v140, v16, -v5
	v_fmac_f32_e32 v184, v145, v20
	v_dual_add_f32 v2, v2, v6 :: v_dual_add_f32 v3, v3, v181
	v_mul_f32_e32 v6, v145, v21
	v_fma_f32 v4, v142, v18, -v4
	v_dual_mul_f32 v186, v148, v105 :: v_dual_mul_f32 v187, v150, v107
	s_delay_alu instid0(VALU_DEP_4) | instskip(SKIP_2) | instid1(VALU_DEP_4)
	v_dual_add_f32 v2, v2, v5 :: v_dual_add_f32 v3, v3, v182
	v_mul_f32_e32 v5, v147, v103
	v_fma_f32 v6, v144, v20, -v6
	v_dual_fmac_f32 v185, v147, v102 :: v_dual_fmac_f32 v186, v149, v104
	s_delay_alu instid0(VALU_DEP_4) | instskip(SKIP_3) | instid1(VALU_DEP_4)
	v_dual_add_f32 v2, v2, v4 :: v_dual_add_f32 v3, v3, v183
	v_mul_f32_e32 v4, v149, v105
	v_fma_f32 v5, v146, v102, -v5
	v_fmac_f32_e32 v187, v151, v106
	v_dual_add_f32 v2, v2, v6 :: v_dual_add_f32 v3, v3, v184
	v_mul_f32_e32 v6, v151, v107
	v_fma_f32 v4, v148, v104, -v4
	v_dual_mul_f32 v188, v152, v109 :: v_dual_mul_f32 v189, v154, v111
	s_delay_alu instid0(VALU_DEP_4) | instskip(SKIP_4) | instid1(VALU_DEP_4)
	v_add_f32_e32 v2, v2, v5
	v_add_f32_e32 v3, v3, v185
	v_mul_f32_e32 v5, v153, v109
	v_fma_f32 v6, v150, v106, -v6
	v_fmac_f32_e32 v188, v153, v108
	v_dual_add_f32 v2, v2, v4 :: v_dual_add_f32 v3, v3, v186
	v_mul_f32_e32 v4, v155, v111
	v_fma_f32 v5, v152, v108, -v5
	v_dual_mul_f32 v190, v156, v113 :: v_dual_mul_f32 v191, v158, v115
	s_delay_alu instid0(VALU_DEP_4) | instskip(SKIP_2) | instid1(VALU_DEP_3)
	v_dual_add_f32 v2, v2, v6 :: v_dual_add_f32 v3, v3, v187
	v_dual_mul_f32 v6, v157, v113 :: v_dual_fmac_f32 v189, v155, v110
	v_fma_f32 v4, v154, v110, -v4
	v_dual_add_f32 v2, v2, v5 :: v_dual_add_f32 v3, v3, v188
	v_dual_mul_f32 v192, v160, v117 :: v_dual_mul_f32 v193, v162, v119
	v_dual_mul_f32 v5, v159, v115 :: v_dual_fmac_f32 v190, v157, v112
	v_fma_f32 v6, v156, v112, -v6
	s_delay_alu instid0(VALU_DEP_4) | instskip(SKIP_1) | instid1(VALU_DEP_4)
	v_dual_add_f32 v2, v2, v4 :: v_dual_add_f32 v3, v3, v189
	v_dual_mul_f32 v4, v161, v117 :: v_dual_fmac_f32 v191, v159, v114
	v_fma_f32 v5, v158, v114, -v5
	s_delay_alu instid0(VALU_DEP_3) | instskip(NEXT) | instid1(VALU_DEP_4)
	v_dual_fmac_f32 v192, v161, v116 :: v_dual_add_f32 v3, v3, v190
	v_add_f32_e32 v2, v2, v6
	v_mul_f32_e32 v6, v163, v119
	v_fma_f32 v4, v160, v116, -v4
	v_fmac_f32_e32 v193, v163, v118
	s_delay_alu instid0(VALU_DEP_4) | instskip(SKIP_3) | instid1(VALU_DEP_4)
	v_dual_add_f32 v3, v3, v191 :: v_dual_add_f32 v2, v2, v5
	v_mul_f32_e32 v5, v165, v121
	v_fma_f32 v6, v162, v118, -v6
	v_dual_mul_f32 v195, v166, v123 :: v_dual_mul_f32 v196, v168, v125
	v_add_f32_e32 v3, v3, v192
	v_add_f32_e32 v2, v2, v4
	v_mul_f32_e32 v4, v167, v123
	s_delay_alu instid0(VALU_DEP_4) | instskip(SKIP_1) | instid1(VALU_DEP_4)
	v_dual_fmac_f32 v194, v165, v120 :: v_dual_fmac_f32 v195, v167, v122
	v_fma_f32 v5, v164, v120, -v5
	v_dual_add_f32 v3, v3, v193 :: v_dual_add_f32 v2, v2, v6
	v_mul_f32_e32 v6, v169, v125
	v_fma_f32 v4, v166, v122, -v4
	v_fmac_f32_e32 v197, v175, v170
	s_delay_alu instid0(VALU_DEP_4) | instskip(SKIP_2) | instid1(VALU_DEP_3)
	v_dual_add_f32 v3, v3, v194 :: v_dual_add_f32 v2, v2, v5
	v_dual_mul_f32 v5, v175, v171 :: v_dual_fmac_f32 v196, v169, v124
	v_fma_f32 v6, v168, v124, -v6
	v_dual_add_f32 v3, v3, v195 :: v_dual_add_f32 v2, v2, v4
	s_delay_alu instid0(VALU_DEP_3) | instskip(NEXT) | instid1(VALU_DEP_2)
	v_fma_f32 v4, v174, v170, -v5
	v_dual_add_f32 v3, v3, v196 :: v_dual_add_f32 v2, v2, v6
	s_delay_alu instid0(VALU_DEP_1) | instskip(SKIP_1) | instid1(VALU_DEP_1)
	v_dual_add_f32 v3, v3, v197 :: v_dual_add_f32 v2, v2, v4
	s_wait_loadcnt 0x0
	v_dual_sub_f32 v3, v173, v3 :: v_dual_sub_f32 v2, v172, v2
	scratch_store_b64 off, v[2:3], off offset:120
	v_cmpx_lt_u32_e32 14, v0
	s_cbranch_execz .LBB38_219
; %bb.218:
	scratch_load_b64 v[3:4], off, off offset:112
	v_mov_b32_e32 v2, v1
	scratch_store_b64 off, v[1:2], off offset:112
	s_wait_loadcnt 0x0
	ds_store_b64 v23, v[3:4]
.LBB38_219:
	s_wait_alu 0xfffe
	s_or_b32 exec_lo, exec_lo, s0
	s_wait_storecnt_dscnt 0x0
	s_barrier_signal -1
	s_barrier_wait -1
	global_inv scope:SCOPE_SE
	s_clause 0xc
	scratch_load_b128 v[2:5], off, off offset:120
	scratch_load_b128 v[6:9], off, off offset:136
	;; [unrolled: 1-line block ×12, first 2 shown]
	scratch_load_b64 v[178:179], off, off offset:112
	ds_load_2addr_b64 v[130:133], v1 offset0:55 offset1:56
	ds_load_2addr_b64 v[134:137], v1 offset0:57 offset1:58
	;; [unrolled: 1-line block ×12, first 2 shown]
	s_mov_b32 s0, exec_lo
	s_wait_loadcnt_dscnt 0xc0b
	v_dual_mul_f32 v1, v130, v3 :: v_dual_mul_f32 v22, v132, v5
	v_mul_f32_e32 v3, v131, v3
	s_wait_loadcnt_dscnt 0xb0a
	v_dual_mul_f32 v5, v133, v5 :: v_dual_mul_f32 v180, v134, v7
	s_delay_alu instid0(VALU_DEP_3) | instskip(NEXT) | instid1(VALU_DEP_3)
	v_dual_mul_f32 v181, v136, v9 :: v_dual_fmac_f32 v22, v133, v4
	v_fma_f32 v3, v130, v2, -v3
	v_fmac_f32_e32 v1, v131, v2
	v_mul_f32_e32 v2, v135, v7
	v_fma_f32 v4, v132, v4, -v5
	s_delay_alu instid0(VALU_DEP_4)
	v_dual_fmac_f32 v180, v135, v6 :: v_dual_add_f32 v3, 0, v3
	s_wait_loadcnt_dscnt 0x807
	v_dual_mul_f32 v186, v146, v19 :: v_dual_mul_f32 v187, v148, v21
	v_fma_f32 v2, v134, v6, -v2
	v_dual_mul_f32 v182, v138, v11 :: v_dual_mul_f32 v183, v140, v13
	v_add_f32_e32 v3, v3, v4
	v_dual_mul_f32 v5, v137, v9 :: v_dual_mul_f32 v184, v142, v15
	v_dual_mul_f32 v185, v144, v17 :: v_dual_mul_f32 v4, v139, v11
	s_delay_alu instid0(VALU_DEP_3) | instskip(NEXT) | instid1(VALU_DEP_3)
	v_add_f32_e32 v2, v3, v2
	v_fma_f32 v5, v136, v8, -v5
	v_dual_mul_f32 v3, v141, v13 :: v_dual_fmac_f32 v186, v147, v18
	s_delay_alu instid0(VALU_DEP_4) | instskip(SKIP_1) | instid1(VALU_DEP_4)
	v_fma_f32 v4, v138, v10, -v4
	v_dual_fmac_f32 v181, v137, v8 :: v_dual_fmac_f32 v182, v139, v10
	v_add_f32_e32 v2, v2, v5
	v_add_f32_e32 v1, 0, v1
	v_fma_f32 v3, v140, v12, -v3
	v_fmac_f32_e32 v184, v143, v14
	s_wait_loadcnt_dscnt 0x706
	v_dual_mul_f32 v188, v150, v103 :: v_dual_mul_f32 v189, v152, v105
	v_dual_add_f32 v1, v1, v22 :: v_dual_add_f32 v2, v2, v4
	v_mul_f32_e32 v4, v145, v17
	s_wait_loadcnt_dscnt 0x504
	v_dual_mul_f32 v192, v158, v111 :: v_dual_mul_f32 v193, v160, v113
	s_delay_alu instid0(VALU_DEP_3) | instskip(NEXT) | instid1(VALU_DEP_3)
	v_dual_add_f32 v1, v1, v180 :: v_dual_add_f32 v2, v2, v3
	v_fma_f32 v4, v144, v16, -v4
	v_mul_f32_e32 v5, v143, v15
	v_dual_mul_f32 v190, v154, v107 :: v_dual_mul_f32 v191, v156, v109
	s_wait_loadcnt_dscnt 0x201
	v_dual_add_f32 v1, v1, v181 :: v_dual_mul_f32 v198, v170, v123
	v_mul_f32_e32 v199, v172, v125
	v_fma_f32 v5, v142, v14, -v5
	v_fmac_f32_e32 v183, v141, v12
	s_delay_alu instid0(VALU_DEP_4)
	v_add_f32_e32 v1, v1, v182
	v_fmac_f32_e32 v188, v151, v102
	v_dual_mul_f32 v194, v162, v115 :: v_dual_mul_f32 v195, v164, v117
	v_add_f32_e32 v2, v2, v5
	v_dual_fmac_f32 v190, v155, v106 :: v_dual_fmac_f32 v189, v153, v104
	v_dual_mul_f32 v196, v166, v119 :: v_dual_mul_f32 v197, v168, v121
	s_delay_alu instid0(VALU_DEP_3) | instskip(SKIP_2) | instid1(VALU_DEP_4)
	v_add_f32_e32 v2, v2, v4
	v_mul_f32_e32 v4, v151, v103
	v_add_f32_e32 v1, v1, v183
	v_dual_fmac_f32 v191, v157, v108 :: v_dual_fmac_f32 v196, v167, v118
	v_fmac_f32_e32 v193, v161, v112
	s_delay_alu instid0(VALU_DEP_4) | instskip(SKIP_4) | instid1(VALU_DEP_3)
	v_fma_f32 v4, v150, v102, -v4
	v_mul_f32_e32 v5, v149, v21
	s_wait_loadcnt_dscnt 0x100
	v_dual_add_f32 v1, v1, v184 :: v_dual_mul_f32 v200, v174, v127
	v_dual_mul_f32 v201, v176, v129 :: v_dual_fmac_f32 v192, v159, v110
	v_fma_f32 v5, v148, v20, -v5
	v_mul_f32_e32 v3, v147, v19
	v_fmac_f32_e32 v199, v173, v124
	s_delay_alu instid0(VALU_DEP_4) | instskip(SKIP_1) | instid1(VALU_DEP_4)
	v_dual_fmac_f32 v201, v177, v128 :: v_dual_fmac_f32 v198, v171, v122
	v_fmac_f32_e32 v194, v163, v114
	v_fma_f32 v3, v146, v18, -v3
	v_dual_fmac_f32 v185, v145, v16 :: v_dual_fmac_f32 v200, v175, v126
	s_delay_alu instid0(VALU_DEP_2) | instskip(NEXT) | instid1(VALU_DEP_1)
	v_dual_add_f32 v2, v2, v3 :: v_dual_mul_f32 v3, v153, v105
	v_dual_add_f32 v2, v2, v5 :: v_dual_mul_f32 v5, v155, v107
	s_delay_alu instid0(VALU_DEP_2) | instskip(NEXT) | instid1(VALU_DEP_2)
	v_fma_f32 v3, v152, v104, -v3
	v_dual_add_f32 v2, v2, v4 :: v_dual_add_f32 v1, v1, v185
	v_mul_f32_e32 v4, v157, v109
	s_delay_alu instid0(VALU_DEP_4) | instskip(NEXT) | instid1(VALU_DEP_3)
	v_fma_f32 v5, v154, v106, -v5
	v_dual_add_f32 v2, v2, v3 :: v_dual_fmac_f32 v187, v149, v20
	s_delay_alu instid0(VALU_DEP_3) | instskip(NEXT) | instid1(VALU_DEP_2)
	v_fma_f32 v4, v156, v108, -v4
	v_add_f32_e32 v2, v2, v5
	v_mul_f32_e32 v5, v161, v113
	s_delay_alu instid0(VALU_DEP_2) | instskip(NEXT) | instid1(VALU_DEP_2)
	v_dual_add_f32 v1, v1, v186 :: v_dual_add_f32 v2, v2, v4
	v_fma_f32 v5, v160, v112, -v5
	v_mul_f32_e32 v3, v159, v111
	s_delay_alu instid0(VALU_DEP_3) | instskip(SKIP_1) | instid1(VALU_DEP_3)
	v_add_f32_e32 v1, v1, v187
	v_mul_f32_e32 v4, v163, v115
	v_fma_f32 v3, v158, v110, -v3
	s_delay_alu instid0(VALU_DEP_3) | instskip(NEXT) | instid1(VALU_DEP_3)
	v_add_f32_e32 v1, v1, v188
	v_fma_f32 v4, v162, v114, -v4
	s_delay_alu instid0(VALU_DEP_3) | instskip(NEXT) | instid1(VALU_DEP_1)
	v_add_f32_e32 v2, v2, v3
	v_add_f32_e32 v2, v2, v5
	s_delay_alu instid0(VALU_DEP_4) | instskip(NEXT) | instid1(VALU_DEP_2)
	v_add_f32_e32 v1, v1, v189
	v_dual_mul_f32 v5, v167, v119 :: v_dual_add_f32 v2, v2, v4
	v_mul_f32_e32 v4, v169, v121
	s_delay_alu instid0(VALU_DEP_2) | instskip(NEXT) | instid1(VALU_DEP_2)
	v_fma_f32 v5, v166, v118, -v5
	v_fma_f32 v4, v168, v120, -v4
	v_mul_f32_e32 v3, v165, v117
	s_delay_alu instid0(VALU_DEP_1) | instskip(NEXT) | instid1(VALU_DEP_1)
	v_fma_f32 v3, v164, v116, -v3
	v_dual_add_f32 v1, v1, v190 :: v_dual_add_f32 v2, v2, v3
	s_delay_alu instid0(VALU_DEP_1) | instskip(NEXT) | instid1(VALU_DEP_2)
	v_add_f32_e32 v1, v1, v191
	v_dual_mul_f32 v3, v171, v123 :: v_dual_add_f32 v2, v2, v5
	v_mul_f32_e32 v5, v173, v125
	s_delay_alu instid0(VALU_DEP_2) | instskip(NEXT) | instid1(VALU_DEP_3)
	v_fma_f32 v3, v170, v122, -v3
	v_add_f32_e32 v2, v2, v4
	v_dual_add_f32 v1, v1, v192 :: v_dual_mul_f32 v4, v175, v127
	s_delay_alu instid0(VALU_DEP_4) | instskip(NEXT) | instid1(VALU_DEP_2)
	v_fma_f32 v5, v172, v124, -v5
	v_dual_add_f32 v2, v2, v3 :: v_dual_add_f32 v1, v1, v193
	v_fmac_f32_e32 v195, v165, v116
	s_delay_alu instid0(VALU_DEP_4) | instskip(SKIP_1) | instid1(VALU_DEP_4)
	v_fma_f32 v4, v174, v126, -v4
	v_mul_f32_e32 v3, v177, v129
	v_dual_add_f32 v2, v2, v5 :: v_dual_add_f32 v1, v1, v194
	s_delay_alu instid0(VALU_DEP_2) | instskip(NEXT) | instid1(VALU_DEP_2)
	v_fma_f32 v3, v176, v128, -v3
	v_dual_add_f32 v2, v2, v4 :: v_dual_add_f32 v1, v1, v195
	s_delay_alu instid0(VALU_DEP_1) | instskip(NEXT) | instid1(VALU_DEP_2)
	v_dual_fmac_f32 v197, v169, v120 :: v_dual_add_f32 v2, v2, v3
	v_add_f32_e32 v1, v1, v196
	s_delay_alu instid0(VALU_DEP_1) | instskip(NEXT) | instid1(VALU_DEP_1)
	v_add_f32_e32 v1, v1, v197
	v_add_f32_e32 v1, v1, v198
	s_delay_alu instid0(VALU_DEP_1) | instskip(NEXT) | instid1(VALU_DEP_1)
	v_add_f32_e32 v1, v1, v199
	v_add_f32_e32 v1, v1, v200
	s_delay_alu instid0(VALU_DEP_1) | instskip(SKIP_1) | instid1(VALU_DEP_1)
	v_add_f32_e32 v3, v1, v201
	s_wait_loadcnt 0x0
	v_dual_sub_f32 v1, v178, v2 :: v_dual_sub_f32 v2, v179, v3
	scratch_store_b64 off, v[1:2], off offset:112
	v_cmpx_lt_u32_e32 13, v0
	s_cbranch_execz .LBB38_221
; %bb.220:
	scratch_load_b64 v[1:2], off, off offset:104
	v_mov_b32_e32 v3, 0
	s_delay_alu instid0(VALU_DEP_1)
	v_mov_b32_e32 v4, v3
	scratch_store_b64 off, v[3:4], off offset:104
	s_wait_loadcnt 0x0
	ds_store_b64 v23, v[1:2]
.LBB38_221:
	s_wait_alu 0xfffe
	s_or_b32 exec_lo, exec_lo, s0
	s_wait_storecnt_dscnt 0x0
	s_barrier_signal -1
	s_barrier_wait -1
	global_inv scope:SCOPE_SE
	s_clause 0xd
	scratch_load_b128 v[2:5], off, off offset:112
	scratch_load_b128 v[6:9], off, off offset:128
	;; [unrolled: 1-line block ×12, first 2 shown]
	scratch_load_b64 v[178:179], off, off offset:304
	scratch_load_b64 v[180:181], off, off offset:104
	v_mov_b32_e32 v1, 0
	ds_load_b128 v[130:133], v1 offset:432
	ds_load_b128 v[134:137], v1 offset:448
	;; [unrolled: 1-line block ×12, first 2 shown]
	ds_load_b64 v[182:183], v1 offset:624
	s_mov_b32 s0, exec_lo
	s_wait_loadcnt_dscnt 0xd0c
	v_mul_f32_e32 v22, v130, v3
	s_wait_loadcnt_dscnt 0xc0b
	v_dual_mul_f32 v184, v132, v5 :: v_dual_mul_f32 v185, v134, v7
	v_mul_f32_e32 v5, v133, v5
	s_wait_loadcnt_dscnt 0xb0a
	v_dual_mul_f32 v186, v136, v9 :: v_dual_mul_f32 v187, v138, v11
	v_dual_mul_f32 v3, v131, v3 :: v_dual_mul_f32 v188, v140, v13
	s_wait_loadcnt_dscnt 0xa09
	v_dual_mul_f32 v189, v142, v15 :: v_dual_fmac_f32 v22, v131, v2
	s_wait_loadcnt_dscnt 0x302
	v_mul_f32_e32 v204, v172, v125
	v_fma_f32 v3, v130, v2, -v3
	s_wait_loadcnt_dscnt 0x100
	v_mul_f32_e32 v207, v182, v179
	v_mul_f32_e32 v2, v135, v7
	v_fmac_f32_e32 v184, v133, v4
	v_fma_f32 v4, v132, v4, -v5
	v_add_f32_e32 v3, 0, v3
	v_dual_add_f32 v5, 0, v22 :: v_dual_fmac_f32 v186, v137, v8
	v_fmac_f32_e32 v185, v135, v6
	v_fma_f32 v2, v134, v6, -v2
	s_delay_alu instid0(VALU_DEP_4) | instskip(SKIP_3) | instid1(VALU_DEP_4)
	v_add_f32_e32 v3, v3, v4
	v_mul_f32_e32 v7, v137, v9
	v_dual_add_f32 v4, v5, v184 :: v_dual_fmac_f32 v187, v139, v10
	v_fmac_f32_e32 v188, v141, v12
	v_add_f32_e32 v2, v3, v2
	s_delay_alu instid0(VALU_DEP_4)
	v_fma_f32 v6, v136, v8, -v7
	v_mul_f32_e32 v5, v139, v11
	v_add_f32_e32 v3, v4, v185
	v_mul_f32_e32 v4, v141, v13
	v_dual_mul_f32 v190, v144, v17 :: v_dual_mul_f32 v191, v146, v19
	v_add_f32_e32 v2, v2, v6
	v_fma_f32 v5, v138, v10, -v5
	v_mul_f32_e32 v6, v143, v15
	v_add_f32_e32 v3, v3, v186
	v_fma_f32 v4, v140, v12, -v4
	v_dual_fmac_f32 v189, v143, v14 :: v_dual_fmac_f32 v190, v145, v16
	s_delay_alu instid0(VALU_DEP_3) | instskip(SKIP_3) | instid1(VALU_DEP_4)
	v_dual_add_f32 v2, v2, v5 :: v_dual_add_f32 v3, v3, v187
	v_mul_f32_e32 v5, v145, v17
	v_fma_f32 v6, v142, v14, -v6
	v_dual_mul_f32 v192, v148, v21 :: v_dual_mul_f32 v193, v150, v103
	v_add_f32_e32 v2, v2, v4
	v_add_f32_e32 v3, v3, v188
	v_mul_f32_e32 v4, v147, v19
	v_fma_f32 v5, v144, v16, -v5
	v_fmac_f32_e32 v191, v147, v18
	s_delay_alu instid0(VALU_DEP_4) | instskip(SKIP_3) | instid1(VALU_DEP_4)
	v_dual_add_f32 v2, v2, v6 :: v_dual_add_f32 v3, v3, v189
	v_fmac_f32_e32 v192, v149, v20
	v_mul_f32_e32 v6, v149, v21
	v_fma_f32 v4, v146, v18, -v4
	v_dual_add_f32 v2, v2, v5 :: v_dual_add_f32 v3, v3, v190
	v_mul_f32_e32 v5, v151, v103
	s_delay_alu instid0(VALU_DEP_4) | instskip(SKIP_1) | instid1(VALU_DEP_4)
	v_fma_f32 v6, v148, v20, -v6
	v_dual_mul_f32 v194, v152, v105 :: v_dual_mul_f32 v195, v154, v107
	v_dual_add_f32 v2, v2, v4 :: v_dual_add_f32 v3, v3, v191
	v_dual_mul_f32 v4, v153, v105 :: v_dual_fmac_f32 v193, v151, v102
	s_delay_alu instid0(VALU_DEP_3) | instskip(SKIP_1) | instid1(VALU_DEP_4)
	v_fmac_f32_e32 v194, v153, v104
	v_fma_f32 v5, v150, v102, -v5
	v_dual_add_f32 v2, v2, v6 :: v_dual_add_f32 v3, v3, v192
	v_mul_f32_e32 v6, v155, v107
	v_fma_f32 v4, v152, v104, -v4
	s_delay_alu instid0(VALU_DEP_3) | instskip(NEXT) | instid1(VALU_DEP_4)
	v_dual_fmac_f32 v195, v155, v106 :: v_dual_add_f32 v2, v2, v5
	v_add_f32_e32 v3, v3, v193
	v_dual_mul_f32 v196, v156, v109 :: v_dual_mul_f32 v197, v158, v111
	v_mul_f32_e32 v5, v157, v109
	v_fma_f32 v6, v154, v106, -v6
	s_delay_alu instid0(VALU_DEP_4) | instskip(NEXT) | instid1(VALU_DEP_4)
	v_dual_add_f32 v2, v2, v4 :: v_dual_add_f32 v3, v3, v194
	v_fmac_f32_e32 v196, v157, v108
	v_mul_f32_e32 v4, v159, v111
	v_fma_f32 v5, v156, v108, -v5
	s_delay_alu instid0(VALU_DEP_4) | instskip(SKIP_3) | instid1(VALU_DEP_4)
	v_dual_add_f32 v2, v2, v6 :: v_dual_add_f32 v3, v3, v195
	v_dual_mul_f32 v198, v160, v113 :: v_dual_mul_f32 v199, v162, v115
	v_dual_mul_f32 v6, v161, v113 :: v_dual_fmac_f32 v197, v159, v110
	v_fma_f32 v4, v158, v110, -v4
	v_dual_add_f32 v2, v2, v5 :: v_dual_add_f32 v3, v3, v196
	v_dual_mul_f32 v200, v164, v117 :: v_dual_mul_f32 v201, v166, v119
	v_dual_mul_f32 v5, v163, v115 :: v_dual_fmac_f32 v198, v161, v112
	v_fma_f32 v6, v160, v112, -v6
	s_delay_alu instid0(VALU_DEP_4) | instskip(SKIP_1) | instid1(VALU_DEP_4)
	v_dual_add_f32 v2, v2, v4 :: v_dual_add_f32 v3, v3, v197
	v_dual_mul_f32 v4, v165, v117 :: v_dual_fmac_f32 v199, v163, v114
	v_fma_f32 v5, v162, v114, -v5
	s_delay_alu instid0(VALU_DEP_3) | instskip(NEXT) | instid1(VALU_DEP_4)
	v_dual_fmac_f32 v200, v165, v116 :: v_dual_add_f32 v3, v3, v198
	v_add_f32_e32 v2, v2, v6
	v_mul_f32_e32 v6, v167, v119
	v_fma_f32 v4, v164, v116, -v4
	v_dual_mul_f32 v202, v168, v121 :: v_dual_mul_f32 v203, v170, v123
	s_delay_alu instid0(VALU_DEP_4) | instskip(SKIP_3) | instid1(VALU_DEP_4)
	v_dual_add_f32 v3, v3, v199 :: v_dual_add_f32 v2, v2, v5
	v_fmac_f32_e32 v201, v167, v118
	v_mul_f32_e32 v5, v169, v121
	v_fma_f32 v6, v166, v118, -v6
	v_add_f32_e32 v3, v3, v200
	v_add_f32_e32 v2, v2, v4
	v_mul_f32_e32 v4, v171, v123
	v_dual_fmac_f32 v202, v169, v120 :: v_dual_fmac_f32 v203, v171, v122
	v_fma_f32 v5, v168, v120, -v5
	s_delay_alu instid0(VALU_DEP_4) | instskip(SKIP_3) | instid1(VALU_DEP_4)
	v_dual_add_f32 v3, v3, v201 :: v_dual_add_f32 v2, v2, v6
	v_mul_f32_e32 v6, v173, v125
	v_fma_f32 v4, v170, v122, -v4
	v_dual_mul_f32 v205, v174, v127 :: v_dual_mul_f32 v206, v176, v129
	v_dual_add_f32 v2, v2, v5 :: v_dual_mul_f32 v5, v175, v127
	v_dual_add_f32 v3, v3, v202 :: v_dual_fmac_f32 v204, v173, v124
	v_fma_f32 v6, v172, v124, -v6
	s_delay_alu instid0(VALU_DEP_3) | instskip(NEXT) | instid1(VALU_DEP_3)
	v_dual_add_f32 v2, v2, v4 :: v_dual_fmac_f32 v205, v175, v126
	v_dual_add_f32 v3, v3, v203 :: v_dual_mul_f32 v4, v177, v129
	v_fma_f32 v5, v174, v126, -v5
	v_dual_fmac_f32 v206, v177, v128 :: v_dual_fmac_f32 v207, v183, v178
	s_delay_alu instid0(VALU_DEP_3) | instskip(SKIP_2) | instid1(VALU_DEP_3)
	v_dual_add_f32 v3, v3, v204 :: v_dual_add_f32 v2, v2, v6
	v_mul_f32_e32 v6, v183, v179
	v_fma_f32 v4, v176, v128, -v4
	v_add_f32_e32 v3, v3, v205
	s_delay_alu instid0(VALU_DEP_4) | instskip(NEXT) | instid1(VALU_DEP_4)
	v_add_f32_e32 v2, v2, v5
	v_fma_f32 v5, v182, v178, -v6
	s_delay_alu instid0(VALU_DEP_2) | instskip(NEXT) | instid1(VALU_DEP_1)
	v_dual_add_f32 v3, v3, v206 :: v_dual_add_f32 v2, v2, v4
	v_dual_add_f32 v3, v3, v207 :: v_dual_add_f32 v2, v2, v5
	s_wait_loadcnt 0x0
	s_delay_alu instid0(VALU_DEP_1)
	v_dual_sub_f32 v3, v181, v3 :: v_dual_sub_f32 v2, v180, v2
	scratch_store_b64 off, v[2:3], off offset:104
	v_cmpx_lt_u32_e32 12, v0
	s_cbranch_execz .LBB38_223
; %bb.222:
	scratch_load_b64 v[3:4], off, off offset:96
	v_mov_b32_e32 v2, v1
	scratch_store_b64 off, v[1:2], off offset:96
	s_wait_loadcnt 0x0
	ds_store_b64 v23, v[3:4]
.LBB38_223:
	s_wait_alu 0xfffe
	s_or_b32 exec_lo, exec_lo, s0
	s_wait_storecnt_dscnt 0x0
	s_barrier_signal -1
	s_barrier_wait -1
	global_inv scope:SCOPE_SE
	s_clause 0xd
	scratch_load_b128 v[2:5], off, off offset:104
	scratch_load_b128 v[6:9], off, off offset:120
	;; [unrolled: 1-line block ×13, first 2 shown]
	scratch_load_b64 v[186:187], off, off offset:96
	ds_load_2addr_b64 v[134:137], v1 offset0:53 offset1:54
	ds_load_2addr_b64 v[138:141], v1 offset0:55 offset1:56
	;; [unrolled: 1-line block ×13, first 2 shown]
	s_mov_b32 s0, exec_lo
	s_wait_loadcnt_dscnt 0xd0c
	v_dual_mul_f32 v1, v134, v3 :: v_dual_mul_f32 v22, v136, v5
	v_mul_f32_e32 v3, v135, v3
	s_wait_loadcnt_dscnt 0xc0b
	v_dual_mul_f32 v5, v137, v5 :: v_dual_mul_f32 v188, v138, v7
	s_delay_alu instid0(VALU_DEP_3) | instskip(NEXT) | instid1(VALU_DEP_3)
	v_dual_mul_f32 v189, v140, v9 :: v_dual_fmac_f32 v22, v137, v4
	v_fma_f32 v3, v134, v2, -v3
	v_fmac_f32_e32 v1, v135, v2
	v_mul_f32_e32 v2, v139, v7
	v_fma_f32 v4, v136, v4, -v5
	s_delay_alu instid0(VALU_DEP_4)
	v_dual_fmac_f32 v188, v139, v6 :: v_dual_add_f32 v3, 0, v3
	s_wait_loadcnt_dscnt 0x908
	v_dual_mul_f32 v194, v150, v19 :: v_dual_mul_f32 v195, v152, v21
	v_fma_f32 v2, v138, v6, -v2
	v_dual_mul_f32 v190, v142, v11 :: v_dual_mul_f32 v191, v144, v13
	v_add_f32_e32 v3, v3, v4
	v_dual_mul_f32 v5, v141, v9 :: v_dual_mul_f32 v192, v146, v15
	v_dual_mul_f32 v193, v148, v17 :: v_dual_mul_f32 v4, v143, v11
	s_delay_alu instid0(VALU_DEP_3) | instskip(NEXT) | instid1(VALU_DEP_3)
	v_add_f32_e32 v2, v3, v2
	v_fma_f32 v5, v140, v8, -v5
	v_dual_mul_f32 v3, v145, v13 :: v_dual_fmac_f32 v194, v151, v18
	s_delay_alu instid0(VALU_DEP_4) | instskip(SKIP_1) | instid1(VALU_DEP_4)
	v_fma_f32 v4, v142, v10, -v4
	v_dual_fmac_f32 v189, v141, v8 :: v_dual_fmac_f32 v190, v143, v10
	v_add_f32_e32 v2, v2, v5
	v_add_f32_e32 v1, 0, v1
	v_fma_f32 v3, v144, v12, -v3
	v_fmac_f32_e32 v192, v147, v14
	s_wait_loadcnt_dscnt 0x807
	v_dual_mul_f32 v196, v154, v103 :: v_dual_mul_f32 v197, v156, v105
	v_dual_add_f32 v1, v1, v22 :: v_dual_add_f32 v2, v2, v4
	v_mul_f32_e32 v4, v149, v17
	s_wait_loadcnt_dscnt 0x605
	v_dual_mul_f32 v200, v162, v111 :: v_dual_mul_f32 v201, v164, v113
	s_delay_alu instid0(VALU_DEP_3) | instskip(NEXT) | instid1(VALU_DEP_3)
	v_dual_add_f32 v1, v1, v188 :: v_dual_add_f32 v2, v2, v3
	v_fma_f32 v4, v148, v16, -v4
	v_mul_f32_e32 v5, v147, v15
	v_dual_mul_f32 v198, v158, v107 :: v_dual_mul_f32 v199, v160, v109
	s_wait_loadcnt_dscnt 0x302
	v_dual_add_f32 v1, v1, v189 :: v_dual_mul_f32 v206, v174, v123
	v_mul_f32_e32 v207, v176, v125
	v_fma_f32 v5, v146, v14, -v5
	v_fmac_f32_e32 v191, v145, v12
	s_delay_alu instid0(VALU_DEP_4)
	v_add_f32_e32 v1, v1, v190
	v_fmac_f32_e32 v196, v155, v102
	v_dual_mul_f32 v202, v166, v115 :: v_dual_mul_f32 v203, v168, v117
	v_add_f32_e32 v2, v2, v5
	v_dual_fmac_f32 v198, v159, v106 :: v_dual_fmac_f32 v197, v157, v104
	v_dual_mul_f32 v204, v170, v119 :: v_dual_mul_f32 v205, v172, v121
	s_delay_alu instid0(VALU_DEP_3) | instskip(SKIP_2) | instid1(VALU_DEP_4)
	v_add_f32_e32 v2, v2, v4
	v_mul_f32_e32 v4, v155, v103
	v_add_f32_e32 v1, v1, v191
	v_dual_fmac_f32 v199, v161, v108 :: v_dual_fmac_f32 v204, v171, v118
	v_fmac_f32_e32 v201, v165, v112
	s_delay_alu instid0(VALU_DEP_4) | instskip(SKIP_4) | instid1(VALU_DEP_3)
	v_fma_f32 v4, v154, v102, -v4
	v_mul_f32_e32 v5, v153, v21
	s_wait_loadcnt_dscnt 0x201
	v_dual_add_f32 v1, v1, v192 :: v_dual_mul_f32 v208, v178, v127
	v_dual_mul_f32 v209, v180, v129 :: v_dual_fmac_f32 v200, v163, v110
	v_fma_f32 v5, v152, v20, -v5
	v_mul_f32_e32 v3, v151, v19
	s_wait_loadcnt_dscnt 0x100
	v_dual_mul_f32 v210, v182, v131 :: v_dual_mul_f32 v211, v184, v133
	v_fmac_f32_e32 v207, v177, v124
	v_fmac_f32_e32 v209, v181, v128
	v_fma_f32 v3, v150, v18, -v3
	v_fmac_f32_e32 v193, v149, v16
	v_dual_fmac_f32 v211, v185, v132 :: v_dual_fmac_f32 v206, v175, v122
	v_fmac_f32_e32 v202, v167, v114
	s_delay_alu instid0(VALU_DEP_4) | instskip(SKIP_2) | instid1(VALU_DEP_3)
	v_dual_add_f32 v2, v2, v3 :: v_dual_mul_f32 v3, v157, v105
	v_fmac_f32_e32 v208, v179, v126
	v_fmac_f32_e32 v210, v183, v130
	v_dual_add_f32 v2, v2, v5 :: v_dual_mul_f32 v5, v159, v107
	s_delay_alu instid0(VALU_DEP_4) | instskip(NEXT) | instid1(VALU_DEP_2)
	v_fma_f32 v3, v156, v104, -v3
	v_dual_add_f32 v2, v2, v4 :: v_dual_add_f32 v1, v1, v193
	v_mul_f32_e32 v4, v161, v109
	s_delay_alu instid0(VALU_DEP_4) | instskip(NEXT) | instid1(VALU_DEP_3)
	v_fma_f32 v5, v158, v106, -v5
	v_dual_add_f32 v2, v2, v3 :: v_dual_fmac_f32 v195, v153, v20
	s_delay_alu instid0(VALU_DEP_3) | instskip(NEXT) | instid1(VALU_DEP_2)
	v_fma_f32 v4, v160, v108, -v4
	v_add_f32_e32 v2, v2, v5
	v_mul_f32_e32 v5, v165, v113
	s_delay_alu instid0(VALU_DEP_2) | instskip(NEXT) | instid1(VALU_DEP_2)
	v_dual_add_f32 v1, v1, v194 :: v_dual_add_f32 v2, v2, v4
	v_fma_f32 v5, v164, v112, -v5
	v_mul_f32_e32 v3, v163, v111
	s_delay_alu instid0(VALU_DEP_3) | instskip(SKIP_1) | instid1(VALU_DEP_3)
	v_add_f32_e32 v1, v1, v195
	v_mul_f32_e32 v4, v167, v115
	v_fma_f32 v3, v162, v110, -v3
	s_delay_alu instid0(VALU_DEP_3) | instskip(NEXT) | instid1(VALU_DEP_3)
	v_add_f32_e32 v1, v1, v196
	v_fma_f32 v4, v166, v114, -v4
	s_delay_alu instid0(VALU_DEP_3) | instskip(NEXT) | instid1(VALU_DEP_1)
	v_add_f32_e32 v2, v2, v3
	v_add_f32_e32 v2, v2, v5
	s_delay_alu instid0(VALU_DEP_4) | instskip(NEXT) | instid1(VALU_DEP_2)
	v_add_f32_e32 v1, v1, v197
	v_dual_mul_f32 v5, v171, v119 :: v_dual_add_f32 v2, v2, v4
	v_mul_f32_e32 v4, v173, v121
	s_delay_alu instid0(VALU_DEP_2) | instskip(NEXT) | instid1(VALU_DEP_2)
	v_fma_f32 v5, v170, v118, -v5
	v_fma_f32 v4, v172, v120, -v4
	v_mul_f32_e32 v3, v169, v117
	s_delay_alu instid0(VALU_DEP_1) | instskip(NEXT) | instid1(VALU_DEP_1)
	v_fma_f32 v3, v168, v116, -v3
	v_dual_add_f32 v1, v1, v198 :: v_dual_add_f32 v2, v2, v3
	s_delay_alu instid0(VALU_DEP_1) | instskip(NEXT) | instid1(VALU_DEP_2)
	v_add_f32_e32 v1, v1, v199
	v_dual_mul_f32 v3, v175, v123 :: v_dual_add_f32 v2, v2, v5
	v_mul_f32_e32 v5, v177, v125
	s_delay_alu instid0(VALU_DEP_2) | instskip(NEXT) | instid1(VALU_DEP_3)
	v_fma_f32 v3, v174, v122, -v3
	v_add_f32_e32 v2, v2, v4
	v_dual_add_f32 v1, v1, v200 :: v_dual_mul_f32 v4, v179, v127
	s_delay_alu instid0(VALU_DEP_4) | instskip(NEXT) | instid1(VALU_DEP_2)
	v_fma_f32 v5, v176, v124, -v5
	v_dual_add_f32 v2, v2, v3 :: v_dual_add_f32 v1, v1, v201
	v_fmac_f32_e32 v203, v169, v116
	v_mul_f32_e32 v3, v181, v129
	v_fma_f32 v4, v178, v126, -v4
	s_delay_alu instid0(VALU_DEP_4) | instskip(SKIP_1) | instid1(VALU_DEP_4)
	v_dual_add_f32 v2, v2, v5 :: v_dual_add_f32 v1, v1, v202
	v_mul_f32_e32 v5, v183, v131
	v_fma_f32 v3, v180, v128, -v3
	s_delay_alu instid0(VALU_DEP_3) | instskip(SKIP_1) | instid1(VALU_DEP_4)
	v_dual_add_f32 v2, v2, v4 :: v_dual_add_f32 v1, v1, v203
	v_fmac_f32_e32 v205, v173, v120
	v_fma_f32 v5, v182, v130, -v5
	v_mul_f32_e32 v4, v185, v133
	s_delay_alu instid0(VALU_DEP_4) | instskip(NEXT) | instid1(VALU_DEP_2)
	v_dual_add_f32 v2, v2, v3 :: v_dual_add_f32 v1, v1, v204
	v_fma_f32 v3, v184, v132, -v4
	s_delay_alu instid0(VALU_DEP_2) | instskip(NEXT) | instid1(VALU_DEP_1)
	v_add_f32_e32 v2, v2, v5
	v_dual_add_f32 v1, v1, v205 :: v_dual_add_f32 v2, v2, v3
	s_delay_alu instid0(VALU_DEP_1) | instskip(NEXT) | instid1(VALU_DEP_1)
	v_add_f32_e32 v1, v1, v206
	v_add_f32_e32 v1, v1, v207
	s_delay_alu instid0(VALU_DEP_1) | instskip(NEXT) | instid1(VALU_DEP_1)
	v_add_f32_e32 v1, v1, v208
	v_add_f32_e32 v1, v1, v209
	;; [unrolled: 3-line block ×3, first 2 shown]
	s_wait_loadcnt 0x0
	s_delay_alu instid0(VALU_DEP_1)
	v_dual_sub_f32 v1, v186, v2 :: v_dual_sub_f32 v2, v187, v3
	scratch_store_b64 off, v[1:2], off offset:96
	v_cmpx_lt_u32_e32 11, v0
	s_cbranch_execz .LBB38_225
; %bb.224:
	scratch_load_b64 v[1:2], off, off offset:88
	v_mov_b32_e32 v3, 0
	s_delay_alu instid0(VALU_DEP_1)
	v_mov_b32_e32 v4, v3
	scratch_store_b64 off, v[3:4], off offset:88
	s_wait_loadcnt 0x0
	ds_store_b64 v23, v[1:2]
.LBB38_225:
	s_wait_alu 0xfffe
	s_or_b32 exec_lo, exec_lo, s0
	s_wait_storecnt_dscnt 0x0
	s_barrier_signal -1
	s_barrier_wait -1
	global_inv scope:SCOPE_SE
	s_clause 0xe
	scratch_load_b128 v[2:5], off, off offset:96
	scratch_load_b128 v[6:9], off, off offset:112
	;; [unrolled: 1-line block ×13, first 2 shown]
	scratch_load_b64 v[186:187], off, off offset:304
	scratch_load_b64 v[188:189], off, off offset:88
	v_mov_b32_e32 v1, 0
	ds_load_b128 v[134:137], v1 offset:416
	ds_load_b128 v[138:141], v1 offset:432
	;; [unrolled: 1-line block ×13, first 2 shown]
	ds_load_b64 v[190:191], v1 offset:624
	s_mov_b32 s0, exec_lo
	s_wait_loadcnt_dscnt 0xe0d
	v_mul_f32_e32 v22, v134, v3
	s_wait_loadcnt_dscnt 0xd0c
	v_dual_mul_f32 v192, v136, v5 :: v_dual_mul_f32 v193, v138, v7
	v_mul_f32_e32 v5, v137, v5
	s_wait_loadcnt_dscnt 0xc0b
	v_dual_mul_f32 v194, v140, v9 :: v_dual_mul_f32 v195, v142, v11
	s_wait_loadcnt_dscnt 0xb0a
	v_dual_mul_f32 v196, v144, v13 :: v_dual_mul_f32 v197, v146, v15
	v_mul_f32_e32 v3, v135, v3
	v_fmac_f32_e32 v22, v135, v2
	s_delay_alu instid0(VALU_DEP_3)
	v_dual_fmac_f32 v195, v143, v10 :: v_dual_fmac_f32 v196, v145, v12
	s_wait_loadcnt_dscnt 0x100
	v_dual_mul_f32 v214, v180, v129 :: v_dual_mul_f32 v217, v190, v187
	v_fma_f32 v3, v134, v2, -v3
	v_mul_f32_e32 v2, v139, v7
	v_fmac_f32_e32 v192, v137, v4
	v_fma_f32 v4, v136, v4, -v5
	v_dual_add_f32 v5, 0, v22 :: v_dual_fmac_f32 v194, v141, v8
	v_add_f32_e32 v3, 0, v3
	v_fmac_f32_e32 v193, v139, v6
	v_fma_f32 v2, v138, v6, -v2
	v_dual_mul_f32 v198, v148, v17 :: v_dual_mul_f32 v199, v150, v19
	s_delay_alu instid0(VALU_DEP_4) | instskip(SKIP_2) | instid1(VALU_DEP_4)
	v_add_f32_e32 v3, v3, v4
	v_mul_f32_e32 v7, v141, v9
	v_dual_add_f32 v4, v5, v192 :: v_dual_fmac_f32 v197, v147, v14
	v_fmac_f32_e32 v198, v149, v16
	s_delay_alu instid0(VALU_DEP_4) | instskip(NEXT) | instid1(VALU_DEP_4)
	v_add_f32_e32 v2, v3, v2
	v_fma_f32 v6, v140, v8, -v7
	v_mul_f32_e32 v5, v143, v11
	v_add_f32_e32 v3, v4, v193
	v_mul_f32_e32 v4, v145, v13
	v_dual_mul_f32 v200, v152, v21 :: v_dual_mul_f32 v201, v154, v103
	v_add_f32_e32 v2, v2, v6
	v_fma_f32 v5, v142, v10, -v5
	v_mul_f32_e32 v6, v147, v15
	v_add_f32_e32 v3, v3, v194
	v_fma_f32 v4, v144, v12, -v4
	v_dual_mul_f32 v202, v156, v105 :: v_dual_mul_f32 v203, v158, v107
	s_delay_alu instid0(VALU_DEP_3) | instskip(SKIP_2) | instid1(VALU_DEP_3)
	v_dual_add_f32 v2, v2, v5 :: v_dual_add_f32 v3, v3, v195
	v_mul_f32_e32 v5, v149, v17
	v_fma_f32 v6, v146, v14, -v6
	v_dual_fmac_f32 v199, v151, v18 :: v_dual_add_f32 v2, v2, v4
	s_delay_alu instid0(VALU_DEP_4) | instskip(SKIP_3) | instid1(VALU_DEP_4)
	v_add_f32_e32 v3, v3, v196
	v_mul_f32_e32 v4, v151, v19
	v_fma_f32 v5, v148, v16, -v5
	v_fmac_f32_e32 v200, v153, v20
	v_dual_add_f32 v2, v2, v6 :: v_dual_add_f32 v3, v3, v197
	v_mul_f32_e32 v6, v153, v21
	v_fma_f32 v4, v150, v18, -v4
	v_dual_fmac_f32 v201, v155, v102 :: v_dual_fmac_f32 v202, v157, v104
	s_delay_alu instid0(VALU_DEP_4) | instskip(SKIP_3) | instid1(VALU_DEP_4)
	v_dual_add_f32 v2, v2, v5 :: v_dual_add_f32 v3, v3, v198
	v_mul_f32_e32 v5, v155, v103
	v_fma_f32 v6, v152, v20, -v6
	v_dual_mul_f32 v204, v160, v109 :: v_dual_mul_f32 v205, v162, v111
	v_dual_add_f32 v2, v2, v4 :: v_dual_add_f32 v3, v3, v199
	v_mul_f32_e32 v4, v157, v105
	v_fma_f32 v5, v154, v102, -v5
	v_fmac_f32_e32 v203, v159, v106
	s_delay_alu instid0(VALU_DEP_4) | instskip(SKIP_3) | instid1(VALU_DEP_4)
	v_dual_add_f32 v2, v2, v6 :: v_dual_add_f32 v3, v3, v200
	v_mul_f32_e32 v6, v159, v107
	v_fma_f32 v4, v156, v104, -v4
	v_fmac_f32_e32 v204, v161, v108
	v_add_f32_e32 v2, v2, v5
	v_add_f32_e32 v3, v3, v201
	v_mul_f32_e32 v5, v161, v109
	v_fma_f32 v6, v158, v106, -v6
	v_dual_mul_f32 v206, v164, v113 :: v_dual_mul_f32 v207, v166, v115
	s_delay_alu instid0(VALU_DEP_4) | instskip(SKIP_3) | instid1(VALU_DEP_4)
	v_dual_add_f32 v2, v2, v4 :: v_dual_add_f32 v3, v3, v202
	v_mul_f32_e32 v4, v163, v111
	v_fma_f32 v5, v160, v108, -v5
	v_fmac_f32_e32 v205, v163, v110
	v_dual_add_f32 v2, v2, v6 :: v_dual_add_f32 v3, v3, v203
	v_mul_f32_e32 v6, v165, v113
	v_fma_f32 v4, v162, v110, -v4
	v_fmac_f32_e32 v206, v165, v112
	s_delay_alu instid0(VALU_DEP_4) | instskip(SKIP_2) | instid1(VALU_DEP_3)
	v_dual_add_f32 v2, v2, v5 :: v_dual_add_f32 v3, v3, v204
	v_dual_mul_f32 v5, v167, v115 :: v_dual_mul_f32 v208, v168, v117
	v_mul_f32_e32 v209, v170, v119
	v_dual_add_f32 v2, v2, v4 :: v_dual_add_f32 v3, v3, v205
	v_fma_f32 v6, v164, v112, -v6
	v_dual_mul_f32 v4, v169, v117 :: v_dual_fmac_f32 v207, v167, v114
	v_fma_f32 v5, v166, v114, -v5
	s_delay_alu instid0(VALU_DEP_4) | instskip(NEXT) | instid1(VALU_DEP_4)
	v_dual_add_f32 v3, v3, v206 :: v_dual_fmac_f32 v208, v169, v116
	v_add_f32_e32 v2, v2, v6
	v_mul_f32_e32 v6, v171, v119
	v_dual_mul_f32 v210, v172, v121 :: v_dual_mul_f32 v211, v174, v123
	s_delay_alu instid0(VALU_DEP_4) | instskip(SKIP_3) | instid1(VALU_DEP_4)
	v_add_f32_e32 v3, v3, v207
	v_fma_f32 v4, v168, v116, -v4
	v_dual_add_f32 v2, v2, v5 :: v_dual_fmac_f32 v209, v171, v118
	v_fma_f32 v6, v170, v118, -v6
	v_add_f32_e32 v3, v3, v208
	s_delay_alu instid0(VALU_DEP_3) | instskip(SKIP_1) | instid1(VALU_DEP_3)
	v_dual_mul_f32 v5, v173, v121 :: v_dual_add_f32 v2, v2, v4
	v_dual_fmac_f32 v210, v173, v120 :: v_dual_fmac_f32 v211, v175, v122
	v_add_f32_e32 v3, v3, v209
	v_dual_mul_f32 v212, v176, v125 :: v_dual_mul_f32 v213, v178, v127
	v_mul_f32_e32 v4, v175, v123
	v_fma_f32 v5, v172, v120, -v5
	v_add_f32_e32 v2, v2, v6
	v_dual_mul_f32 v6, v177, v125 :: v_dual_add_f32 v3, v3, v210
	s_delay_alu instid0(VALU_DEP_4) | instskip(SKIP_1) | instid1(VALU_DEP_4)
	v_fma_f32 v4, v174, v122, -v4
	v_fmac_f32_e32 v212, v177, v124
	v_dual_add_f32 v2, v2, v5 :: v_dual_mul_f32 v5, v179, v127
	s_delay_alu instid0(VALU_DEP_4) | instskip(SKIP_1) | instid1(VALU_DEP_3)
	v_add_f32_e32 v3, v3, v211
	v_fma_f32 v6, v176, v124, -v6
	v_dual_fmac_f32 v213, v179, v126 :: v_dual_add_f32 v2, v2, v4
	s_delay_alu instid0(VALU_DEP_3) | instskip(SKIP_2) | instid1(VALU_DEP_3)
	v_dual_mul_f32 v4, v181, v129 :: v_dual_add_f32 v3, v3, v212
	v_dual_mul_f32 v215, v182, v131 :: v_dual_mul_f32 v216, v184, v133
	v_fma_f32 v5, v178, v126, -v5
	v_dual_add_f32 v2, v2, v6 :: v_dual_add_f32 v3, v3, v213
	s_delay_alu instid0(VALU_DEP_3) | instskip(SKIP_2) | instid1(VALU_DEP_3)
	v_dual_fmac_f32 v214, v181, v128 :: v_dual_fmac_f32 v215, v183, v130
	v_mul_f32_e32 v6, v183, v131
	v_fma_f32 v4, v180, v128, -v4
	v_dual_add_f32 v2, v2, v5 :: v_dual_add_f32 v3, v3, v214
	v_mul_f32_e32 v5, v185, v133
	s_delay_alu instid0(VALU_DEP_4) | instskip(SKIP_1) | instid1(VALU_DEP_4)
	v_fma_f32 v6, v182, v130, -v6
	v_dual_fmac_f32 v216, v185, v132 :: v_dual_fmac_f32 v217, v191, v186
	v_dual_add_f32 v2, v2, v4 :: v_dual_add_f32 v3, v3, v215
	v_mul_f32_e32 v4, v191, v187
	v_fma_f32 v5, v184, v132, -v5
	s_delay_alu instid0(VALU_DEP_3) | instskip(NEXT) | instid1(VALU_DEP_3)
	v_dual_add_f32 v2, v2, v6 :: v_dual_add_f32 v3, v3, v216
	v_fma_f32 v4, v190, v186, -v4
	s_delay_alu instid0(VALU_DEP_2) | instskip(SKIP_1) | instid1(VALU_DEP_1)
	v_add_f32_e32 v3, v3, v217
	s_wait_loadcnt 0x0
	v_dual_add_f32 v2, v2, v5 :: v_dual_sub_f32 v3, v189, v3
	s_delay_alu instid0(VALU_DEP_1) | instskip(NEXT) | instid1(VALU_DEP_1)
	v_add_f32_e32 v2, v2, v4
	v_sub_f32_e32 v2, v188, v2
	scratch_store_b64 off, v[2:3], off offset:88
	v_cmpx_lt_u32_e32 10, v0
	s_cbranch_execz .LBB38_227
; %bb.226:
	scratch_load_b64 v[3:4], off, off offset:80
	v_mov_b32_e32 v2, v1
	scratch_store_b64 off, v[1:2], off offset:80
	s_wait_loadcnt 0x0
	ds_store_b64 v23, v[3:4]
.LBB38_227:
	s_wait_alu 0xfffe
	s_or_b32 exec_lo, exec_lo, s0
	s_wait_storecnt_dscnt 0x0
	s_barrier_signal -1
	s_barrier_wait -1
	global_inv scope:SCOPE_SE
	s_clause 0xe
	scratch_load_b128 v[2:5], off, off offset:88
	scratch_load_b128 v[6:9], off, off offset:104
	;; [unrolled: 1-line block ×14, first 2 shown]
	scratch_load_b64 v[194:195], off, off offset:80
	ds_load_2addr_b64 v[138:141], v1 offset0:51 offset1:52
	ds_load_2addr_b64 v[142:145], v1 offset0:53 offset1:54
	;; [unrolled: 1-line block ×14, first 2 shown]
	s_mov_b32 s0, exec_lo
	s_wait_loadcnt_dscnt 0xe0d
	v_dual_mul_f32 v1, v138, v3 :: v_dual_mul_f32 v22, v140, v5
	v_mul_f32_e32 v3, v139, v3
	s_wait_loadcnt_dscnt 0xd0c
	v_dual_mul_f32 v5, v141, v5 :: v_dual_mul_f32 v196, v142, v7
	s_delay_alu instid0(VALU_DEP_3) | instskip(NEXT) | instid1(VALU_DEP_3)
	v_dual_mul_f32 v197, v144, v9 :: v_dual_fmac_f32 v22, v141, v4
	v_fma_f32 v3, v138, v2, -v3
	v_fmac_f32_e32 v1, v139, v2
	v_mul_f32_e32 v2, v143, v7
	v_fma_f32 v4, v140, v4, -v5
	s_delay_alu instid0(VALU_DEP_4)
	v_dual_fmac_f32 v196, v143, v6 :: v_dual_add_f32 v3, 0, v3
	s_wait_loadcnt_dscnt 0xa09
	v_dual_mul_f32 v202, v154, v19 :: v_dual_mul_f32 v203, v156, v21
	v_fma_f32 v2, v142, v6, -v2
	v_dual_mul_f32 v198, v146, v11 :: v_dual_mul_f32 v199, v148, v13
	v_add_f32_e32 v3, v3, v4
	v_dual_mul_f32 v5, v145, v9 :: v_dual_mul_f32 v200, v150, v15
	v_dual_mul_f32 v201, v152, v17 :: v_dual_mul_f32 v4, v147, v11
	s_delay_alu instid0(VALU_DEP_3) | instskip(NEXT) | instid1(VALU_DEP_3)
	v_add_f32_e32 v2, v3, v2
	v_fma_f32 v5, v144, v8, -v5
	v_dual_mul_f32 v3, v149, v13 :: v_dual_fmac_f32 v202, v155, v18
	s_delay_alu instid0(VALU_DEP_4) | instskip(SKIP_1) | instid1(VALU_DEP_4)
	v_fma_f32 v4, v146, v10, -v4
	v_dual_fmac_f32 v197, v145, v8 :: v_dual_fmac_f32 v198, v147, v10
	v_add_f32_e32 v2, v2, v5
	v_add_f32_e32 v1, 0, v1
	v_fma_f32 v3, v148, v12, -v3
	v_fmac_f32_e32 v200, v151, v14
	s_wait_loadcnt_dscnt 0x908
	v_dual_mul_f32 v204, v158, v103 :: v_dual_mul_f32 v205, v160, v105
	v_dual_add_f32 v1, v1, v22 :: v_dual_add_f32 v2, v2, v4
	v_mul_f32_e32 v4, v153, v17
	s_wait_loadcnt_dscnt 0x706
	v_dual_mul_f32 v208, v166, v111 :: v_dual_mul_f32 v209, v168, v113
	s_delay_alu instid0(VALU_DEP_3) | instskip(NEXT) | instid1(VALU_DEP_3)
	v_dual_add_f32 v1, v1, v196 :: v_dual_add_f32 v2, v2, v3
	v_fma_f32 v4, v152, v16, -v4
	v_mul_f32_e32 v5, v151, v15
	v_dual_mul_f32 v206, v162, v107 :: v_dual_mul_f32 v207, v164, v109
	s_wait_loadcnt_dscnt 0x403
	v_dual_add_f32 v1, v1, v197 :: v_dual_mul_f32 v214, v178, v123
	v_mul_f32_e32 v215, v180, v125
	v_fma_f32 v5, v150, v14, -v5
	v_fmac_f32_e32 v199, v149, v12
	s_delay_alu instid0(VALU_DEP_4)
	v_add_f32_e32 v1, v1, v198
	v_fmac_f32_e32 v204, v159, v102
	v_dual_mul_f32 v210, v170, v115 :: v_dual_mul_f32 v211, v172, v117
	v_add_f32_e32 v2, v2, v5
	v_dual_fmac_f32 v206, v163, v106 :: v_dual_fmac_f32 v205, v161, v104
	v_dual_mul_f32 v212, v174, v119 :: v_dual_mul_f32 v213, v176, v121
	s_delay_alu instid0(VALU_DEP_3) | instskip(SKIP_2) | instid1(VALU_DEP_4)
	v_add_f32_e32 v2, v2, v4
	v_mul_f32_e32 v4, v159, v103
	v_add_f32_e32 v1, v1, v199
	v_dual_fmac_f32 v207, v165, v108 :: v_dual_fmac_f32 v212, v175, v118
	s_wait_loadcnt_dscnt 0x100
	v_dual_mul_f32 v220, v190, v135 :: v_dual_mul_f32 v221, v192, v137
	v_fma_f32 v4, v158, v102, -v4
	v_mul_f32_e32 v5, v157, v21
	v_dual_add_f32 v1, v1, v200 :: v_dual_fmac_f32 v208, v167, v110
	v_dual_fmac_f32 v209, v169, v112 :: v_dual_mul_f32 v216, v182, v127
	v_mul_f32_e32 v217, v184, v129
	s_delay_alu instid0(VALU_DEP_4) | instskip(SKIP_2) | instid1(VALU_DEP_4)
	v_fma_f32 v5, v156, v20, -v5
	v_mul_f32_e32 v3, v155, v19
	v_dual_mul_f32 v218, v186, v131 :: v_dual_mul_f32 v219, v188, v133
	v_fmac_f32_e32 v217, v185, v128
	v_fmac_f32_e32 v221, v193, v136
	s_delay_alu instid0(VALU_DEP_4) | instskip(SKIP_3) | instid1(VALU_DEP_4)
	v_fma_f32 v3, v154, v18, -v3
	v_fmac_f32_e32 v201, v153, v16
	v_dual_fmac_f32 v219, v189, v132 :: v_dual_fmac_f32 v214, v179, v122
	v_fmac_f32_e32 v210, v171, v114
	v_dual_add_f32 v2, v2, v3 :: v_dual_mul_f32 v3, v161, v105
	v_fmac_f32_e32 v220, v191, v134
	v_fmac_f32_e32 v216, v183, v126
	;; [unrolled: 1-line block ×3, first 2 shown]
	s_delay_alu instid0(VALU_DEP_4) | instskip(SKIP_1) | instid1(VALU_DEP_2)
	v_dual_add_f32 v2, v2, v5 :: v_dual_mul_f32 v5, v163, v107
	v_fma_f32 v3, v160, v104, -v3
	v_dual_add_f32 v2, v2, v4 :: v_dual_add_f32 v1, v1, v201
	v_mul_f32_e32 v4, v165, v109
	s_delay_alu instid0(VALU_DEP_4) | instskip(NEXT) | instid1(VALU_DEP_3)
	v_fma_f32 v5, v162, v106, -v5
	v_dual_add_f32 v2, v2, v3 :: v_dual_fmac_f32 v203, v157, v20
	s_delay_alu instid0(VALU_DEP_3) | instskip(NEXT) | instid1(VALU_DEP_2)
	v_fma_f32 v4, v164, v108, -v4
	v_add_f32_e32 v2, v2, v5
	v_mul_f32_e32 v5, v169, v113
	s_delay_alu instid0(VALU_DEP_2) | instskip(NEXT) | instid1(VALU_DEP_2)
	v_dual_add_f32 v1, v1, v202 :: v_dual_add_f32 v2, v2, v4
	v_fma_f32 v5, v168, v112, -v5
	v_mul_f32_e32 v3, v167, v111
	s_delay_alu instid0(VALU_DEP_3) | instskip(SKIP_1) | instid1(VALU_DEP_3)
	v_add_f32_e32 v1, v1, v203
	v_mul_f32_e32 v4, v171, v115
	v_fma_f32 v3, v166, v110, -v3
	s_delay_alu instid0(VALU_DEP_3) | instskip(NEXT) | instid1(VALU_DEP_3)
	v_add_f32_e32 v1, v1, v204
	v_fma_f32 v4, v170, v114, -v4
	s_delay_alu instid0(VALU_DEP_3) | instskip(NEXT) | instid1(VALU_DEP_1)
	v_add_f32_e32 v2, v2, v3
	v_add_f32_e32 v2, v2, v5
	s_delay_alu instid0(VALU_DEP_4) | instskip(NEXT) | instid1(VALU_DEP_2)
	v_add_f32_e32 v1, v1, v205
	v_dual_mul_f32 v5, v175, v119 :: v_dual_add_f32 v2, v2, v4
	v_mul_f32_e32 v4, v177, v121
	s_delay_alu instid0(VALU_DEP_2) | instskip(NEXT) | instid1(VALU_DEP_2)
	v_fma_f32 v5, v174, v118, -v5
	v_fma_f32 v4, v176, v120, -v4
	v_mul_f32_e32 v3, v173, v117
	s_delay_alu instid0(VALU_DEP_1) | instskip(NEXT) | instid1(VALU_DEP_1)
	v_fma_f32 v3, v172, v116, -v3
	v_dual_add_f32 v1, v1, v206 :: v_dual_add_f32 v2, v2, v3
	s_delay_alu instid0(VALU_DEP_1) | instskip(NEXT) | instid1(VALU_DEP_2)
	v_add_f32_e32 v1, v1, v207
	v_dual_mul_f32 v3, v179, v123 :: v_dual_add_f32 v2, v2, v5
	v_mul_f32_e32 v5, v181, v125
	s_delay_alu instid0(VALU_DEP_2) | instskip(NEXT) | instid1(VALU_DEP_3)
	v_fma_f32 v3, v178, v122, -v3
	v_add_f32_e32 v2, v2, v4
	v_dual_add_f32 v1, v1, v208 :: v_dual_mul_f32 v4, v183, v127
	s_delay_alu instid0(VALU_DEP_4) | instskip(NEXT) | instid1(VALU_DEP_2)
	v_fma_f32 v5, v180, v124, -v5
	v_dual_add_f32 v2, v2, v3 :: v_dual_add_f32 v1, v1, v209
	v_fmac_f32_e32 v211, v173, v116
	v_mul_f32_e32 v3, v185, v129
	v_fma_f32 v4, v182, v126, -v4
	s_delay_alu instid0(VALU_DEP_4) | instskip(SKIP_1) | instid1(VALU_DEP_4)
	v_dual_add_f32 v2, v2, v5 :: v_dual_add_f32 v1, v1, v210
	v_mul_f32_e32 v5, v187, v131
	v_fma_f32 v3, v184, v128, -v3
	s_delay_alu instid0(VALU_DEP_3) | instskip(SKIP_3) | instid1(VALU_DEP_4)
	v_dual_add_f32 v2, v2, v4 :: v_dual_add_f32 v1, v1, v211
	v_fmac_f32_e32 v213, v177, v120
	v_mul_f32_e32 v4, v189, v133
	v_fma_f32 v5, v186, v130, -v5
	v_dual_add_f32 v2, v2, v3 :: v_dual_add_f32 v1, v1, v212
	v_mul_f32_e32 v3, v191, v135
	s_delay_alu instid0(VALU_DEP_4) | instskip(NEXT) | instid1(VALU_DEP_3)
	v_fma_f32 v4, v188, v132, -v4
	v_add_f32_e32 v2, v2, v5
	s_delay_alu instid0(VALU_DEP_4) | instskip(SKIP_2) | instid1(VALU_DEP_4)
	v_add_f32_e32 v1, v1, v213
	v_mul_f32_e32 v5, v193, v137
	v_fma_f32 v3, v190, v134, -v3
	v_add_f32_e32 v2, v2, v4
	v_fmac_f32_e32 v215, v181, v124
	s_delay_alu instid0(VALU_DEP_4) | instskip(NEXT) | instid1(VALU_DEP_3)
	v_fma_f32 v4, v192, v136, -v5
	v_dual_add_f32 v2, v2, v3 :: v_dual_add_f32 v1, v1, v214
	s_delay_alu instid0(VALU_DEP_1) | instskip(NEXT) | instid1(VALU_DEP_1)
	v_dual_add_f32 v2, v2, v4 :: v_dual_add_f32 v1, v1, v215
	v_add_f32_e32 v1, v1, v216
	s_delay_alu instid0(VALU_DEP_1) | instskip(NEXT) | instid1(VALU_DEP_1)
	v_add_f32_e32 v1, v1, v217
	v_add_f32_e32 v1, v1, v218
	s_delay_alu instid0(VALU_DEP_1) | instskip(NEXT) | instid1(VALU_DEP_1)
	v_add_f32_e32 v1, v1, v219
	v_add_f32_e32 v1, v1, v220
	s_delay_alu instid0(VALU_DEP_1) | instskip(SKIP_1) | instid1(VALU_DEP_1)
	v_add_f32_e32 v3, v1, v221
	s_wait_loadcnt 0x0
	v_dual_sub_f32 v1, v194, v2 :: v_dual_sub_f32 v2, v195, v3
	scratch_store_b64 off, v[1:2], off offset:80
	v_cmpx_lt_u32_e32 9, v0
	s_cbranch_execz .LBB38_229
; %bb.228:
	scratch_load_b64 v[1:2], off, off offset:72
	v_mov_b32_e32 v3, 0
	s_delay_alu instid0(VALU_DEP_1)
	v_mov_b32_e32 v4, v3
	scratch_store_b64 off, v[3:4], off offset:72
	s_wait_loadcnt 0x0
	ds_store_b64 v23, v[1:2]
.LBB38_229:
	s_wait_alu 0xfffe
	s_or_b32 exec_lo, exec_lo, s0
	s_wait_storecnt_dscnt 0x0
	s_barrier_signal -1
	s_barrier_wait -1
	global_inv scope:SCOPE_SE
	s_clause 0xf
	scratch_load_b128 v[2:5], off, off offset:80
	scratch_load_b128 v[6:9], off, off offset:96
	;; [unrolled: 1-line block ×14, first 2 shown]
	scratch_load_b64 v[194:195], off, off offset:304
	scratch_load_b64 v[196:197], off, off offset:72
	v_mov_b32_e32 v1, 0
	ds_load_b128 v[138:141], v1 offset:400
	ds_load_b128 v[142:145], v1 offset:416
	;; [unrolled: 1-line block ×14, first 2 shown]
	ds_load_b64 v[198:199], v1 offset:624
	s_mov_b32 s0, exec_lo
	s_wait_loadcnt_dscnt 0xf0e
	v_mul_f32_e32 v22, v138, v3
	s_wait_loadcnt_dscnt 0xe0d
	v_dual_mul_f32 v200, v140, v5 :: v_dual_mul_f32 v201, v142, v7
	v_mul_f32_e32 v5, v141, v5
	s_wait_loadcnt_dscnt 0xd0c
	v_dual_mul_f32 v202, v144, v9 :: v_dual_mul_f32 v203, v146, v11
	s_wait_loadcnt_dscnt 0xc0b
	v_dual_mul_f32 v204, v148, v13 :: v_dual_mul_f32 v205, v150, v15
	v_dual_mul_f32 v3, v139, v3 :: v_dual_mul_f32 v206, v152, v17
	s_wait_loadcnt_dscnt 0xb0a
	v_dual_mul_f32 v207, v154, v19 :: v_dual_fmac_f32 v22, v139, v2
	s_wait_loadcnt_dscnt 0x302
	v_mul_f32_e32 v224, v188, v133
	v_fma_f32 v3, v138, v2, -v3
	s_wait_loadcnt_dscnt 0x100
	v_mul_f32_e32 v227, v198, v195
	v_mul_f32_e32 v2, v143, v7
	v_fmac_f32_e32 v200, v141, v4
	v_fma_f32 v4, v140, v4, -v5
	v_add_f32_e32 v3, 0, v3
	v_dual_add_f32 v5, 0, v22 :: v_dual_fmac_f32 v202, v145, v8
	v_fmac_f32_e32 v201, v143, v6
	v_fma_f32 v2, v142, v6, -v2
	s_delay_alu instid0(VALU_DEP_4) | instskip(SKIP_3) | instid1(VALU_DEP_4)
	v_add_f32_e32 v3, v3, v4
	v_mul_f32_e32 v7, v145, v9
	v_dual_add_f32 v4, v5, v200 :: v_dual_fmac_f32 v203, v147, v10
	v_fmac_f32_e32 v204, v149, v12
	v_add_f32_e32 v2, v3, v2
	s_delay_alu instid0(VALU_DEP_4)
	v_fma_f32 v6, v144, v8, -v7
	v_mul_f32_e32 v5, v147, v11
	v_add_f32_e32 v3, v4, v201
	v_dual_mul_f32 v4, v149, v13 :: v_dual_fmac_f32 v205, v151, v14
	v_fmac_f32_e32 v206, v153, v16
	v_add_f32_e32 v2, v2, v6
	v_fma_f32 v5, v146, v10, -v5
	v_mul_f32_e32 v6, v151, v15
	v_add_f32_e32 v3, v3, v202
	v_fma_f32 v4, v148, v12, -v4
	v_dual_mul_f32 v208, v156, v21 :: v_dual_mul_f32 v209, v158, v103
	s_delay_alu instid0(VALU_DEP_3) | instskip(SKIP_3) | instid1(VALU_DEP_4)
	v_dual_add_f32 v2, v2, v5 :: v_dual_add_f32 v3, v3, v203
	v_mul_f32_e32 v5, v153, v17
	v_fma_f32 v6, v150, v14, -v6
	v_dual_mul_f32 v210, v160, v105 :: v_dual_mul_f32 v211, v162, v107
	v_add_f32_e32 v2, v2, v4
	v_add_f32_e32 v3, v3, v204
	v_mul_f32_e32 v4, v155, v19
	v_fma_f32 v5, v152, v16, -v5
	v_fmac_f32_e32 v207, v155, v18
	s_delay_alu instid0(VALU_DEP_4) | instskip(SKIP_3) | instid1(VALU_DEP_4)
	v_dual_add_f32 v2, v2, v6 :: v_dual_add_f32 v3, v3, v205
	v_fmac_f32_e32 v208, v157, v20
	v_mul_f32_e32 v6, v157, v21
	v_fma_f32 v4, v154, v18, -v4
	v_dual_add_f32 v2, v2, v5 :: v_dual_add_f32 v3, v3, v206
	v_mul_f32_e32 v5, v159, v103
	s_delay_alu instid0(VALU_DEP_4) | instskip(SKIP_1) | instid1(VALU_DEP_4)
	v_fma_f32 v6, v156, v20, -v6
	v_dual_fmac_f32 v209, v159, v102 :: v_dual_fmac_f32 v210, v161, v104
	v_dual_add_f32 v2, v2, v4 :: v_dual_add_f32 v3, v3, v207
	v_mul_f32_e32 v4, v161, v105
	v_fma_f32 v5, v158, v102, -v5
	v_fmac_f32_e32 v211, v163, v106
	s_delay_alu instid0(VALU_DEP_4) | instskip(SKIP_3) | instid1(VALU_DEP_4)
	v_dual_add_f32 v2, v2, v6 :: v_dual_add_f32 v3, v3, v208
	v_mul_f32_e32 v6, v163, v107
	v_fma_f32 v4, v160, v104, -v4
	v_dual_mul_f32 v212, v164, v109 :: v_dual_mul_f32 v213, v166, v111
	v_add_f32_e32 v2, v2, v5
	v_add_f32_e32 v3, v3, v209
	v_mul_f32_e32 v5, v165, v109
	v_fma_f32 v6, v162, v106, -v6
	v_fmac_f32_e32 v212, v165, v108
	s_delay_alu instid0(VALU_DEP_4) | instskip(SKIP_3) | instid1(VALU_DEP_4)
	v_dual_add_f32 v2, v2, v4 :: v_dual_add_f32 v3, v3, v210
	v_mul_f32_e32 v4, v167, v111
	v_fma_f32 v5, v164, v108, -v5
	v_dual_mul_f32 v214, v168, v113 :: v_dual_mul_f32 v215, v170, v115
	v_dual_add_f32 v2, v2, v6 :: v_dual_add_f32 v3, v3, v211
	v_dual_mul_f32 v6, v169, v113 :: v_dual_fmac_f32 v213, v167, v110
	v_fma_f32 v4, v166, v110, -v4
	s_delay_alu instid0(VALU_DEP_3) | instskip(SKIP_3) | instid1(VALU_DEP_4)
	v_dual_add_f32 v2, v2, v5 :: v_dual_add_f32 v3, v3, v212
	v_dual_mul_f32 v216, v172, v117 :: v_dual_mul_f32 v217, v174, v119
	v_dual_mul_f32 v5, v171, v115 :: v_dual_fmac_f32 v214, v169, v112
	v_fma_f32 v6, v168, v112, -v6
	v_dual_add_f32 v2, v2, v4 :: v_dual_add_f32 v3, v3, v213
	v_dual_mul_f32 v4, v173, v117 :: v_dual_fmac_f32 v215, v171, v114
	s_delay_alu instid0(VALU_DEP_4) | instskip(NEXT) | instid1(VALU_DEP_3)
	v_fma_f32 v5, v170, v114, -v5
	v_dual_fmac_f32 v216, v173, v116 :: v_dual_add_f32 v3, v3, v214
	s_delay_alu instid0(VALU_DEP_4) | instskip(SKIP_3) | instid1(VALU_DEP_4)
	v_add_f32_e32 v2, v2, v6
	v_mul_f32_e32 v6, v175, v119
	v_fma_f32 v4, v172, v116, -v4
	v_dual_mul_f32 v218, v176, v121 :: v_dual_mul_f32 v219, v178, v123
	v_dual_add_f32 v3, v3, v215 :: v_dual_add_f32 v2, v2, v5
	v_fmac_f32_e32 v217, v175, v118
	v_mul_f32_e32 v5, v177, v121
	v_fma_f32 v6, v174, v118, -v6
	s_delay_alu instid0(VALU_DEP_4) | instskip(SKIP_4) | instid1(VALU_DEP_4)
	v_add_f32_e32 v3, v3, v216
	v_add_f32_e32 v2, v2, v4
	v_mul_f32_e32 v4, v179, v123
	v_dual_fmac_f32 v218, v177, v120 :: v_dual_fmac_f32 v219, v179, v122
	v_fma_f32 v5, v176, v120, -v5
	v_dual_add_f32 v3, v3, v217 :: v_dual_add_f32 v2, v2, v6
	v_dual_mul_f32 v220, v180, v125 :: v_dual_mul_f32 v221, v182, v127
	s_delay_alu instid0(VALU_DEP_2) | instskip(SKIP_1) | instid1(VALU_DEP_4)
	v_dual_mul_f32 v6, v181, v125 :: v_dual_add_f32 v3, v3, v218
	v_fma_f32 v4, v178, v122, -v4
	v_dual_add_f32 v2, v2, v5 :: v_dual_mul_f32 v5, v183, v127
	s_delay_alu instid0(VALU_DEP_3) | instskip(NEXT) | instid1(VALU_DEP_4)
	v_dual_fmac_f32 v220, v181, v124 :: v_dual_add_f32 v3, v3, v219
	v_fma_f32 v6, v180, v124, -v6
	s_delay_alu instid0(VALU_DEP_3) | instskip(SKIP_1) | instid1(VALU_DEP_4)
	v_dual_add_f32 v2, v2, v4 :: v_dual_fmac_f32 v221, v183, v126
	v_dual_mul_f32 v222, v184, v129 :: v_dual_mul_f32 v223, v186, v131
	v_dual_mul_f32 v4, v185, v129 :: v_dual_add_f32 v3, v3, v220
	v_fma_f32 v5, v182, v126, -v5
	s_delay_alu instid0(VALU_DEP_4)
	v_add_f32_e32 v2, v2, v6
	v_mul_f32_e32 v6, v187, v131
	v_dual_fmac_f32 v222, v185, v128 :: v_dual_fmac_f32 v223, v187, v130
	v_fma_f32 v4, v184, v128, -v4
	v_add_f32_e32 v3, v3, v221
	v_add_f32_e32 v2, v2, v5
	v_dual_mul_f32 v225, v190, v135 :: v_dual_mul_f32 v226, v192, v137
	v_mul_f32_e32 v5, v189, v133
	v_fma_f32 v6, v186, v130, -v6
	s_delay_alu instid0(VALU_DEP_4) | instskip(SKIP_3) | instid1(VALU_DEP_4)
	v_dual_add_f32 v3, v3, v222 :: v_dual_add_f32 v2, v2, v4
	v_mul_f32_e32 v4, v191, v135
	v_dual_fmac_f32 v224, v189, v132 :: v_dual_fmac_f32 v225, v191, v134
	v_fma_f32 v5, v188, v132, -v5
	v_dual_add_f32 v3, v3, v223 :: v_dual_add_f32 v2, v2, v6
	v_mul_f32_e32 v6, v193, v137
	v_fma_f32 v4, v190, v134, -v4
	v_fmac_f32_e32 v227, v199, v194
	s_delay_alu instid0(VALU_DEP_4) | instskip(SKIP_2) | instid1(VALU_DEP_3)
	v_dual_add_f32 v3, v3, v224 :: v_dual_add_f32 v2, v2, v5
	v_dual_mul_f32 v5, v199, v195 :: v_dual_fmac_f32 v226, v193, v136
	v_fma_f32 v6, v192, v136, -v6
	v_dual_add_f32 v3, v3, v225 :: v_dual_add_f32 v2, v2, v4
	s_delay_alu instid0(VALU_DEP_3) | instskip(NEXT) | instid1(VALU_DEP_2)
	v_fma_f32 v4, v198, v194, -v5
	v_add_f32_e32 v3, v3, v226
	s_delay_alu instid0(VALU_DEP_1) | instskip(SKIP_1) | instid1(VALU_DEP_1)
	v_dual_add_f32 v2, v2, v6 :: v_dual_add_f32 v3, v3, v227
	s_wait_loadcnt 0x0
	v_dual_add_f32 v2, v2, v4 :: v_dual_sub_f32 v3, v197, v3
	s_delay_alu instid0(VALU_DEP_1)
	v_sub_f32_e32 v2, v196, v2
	scratch_store_b64 off, v[2:3], off offset:72
	v_cmpx_lt_u32_e32 8, v0
	s_cbranch_execz .LBB38_231
; %bb.230:
	scratch_load_b64 v[3:4], off, off offset:64
	v_mov_b32_e32 v2, v1
	scratch_store_b64 off, v[1:2], off offset:64
	s_wait_loadcnt 0x0
	ds_store_b64 v23, v[3:4]
.LBB38_231:
	s_wait_alu 0xfffe
	s_or_b32 exec_lo, exec_lo, s0
	s_wait_storecnt_dscnt 0x0
	s_barrier_signal -1
	s_barrier_wait -1
	global_inv scope:SCOPE_SE
	s_clause 0xf
	scratch_load_b128 v[2:5], off, off offset:72
	scratch_load_b128 v[6:9], off, off offset:88
	;; [unrolled: 1-line block ×15, first 2 shown]
	scratch_load_b64 v[202:203], off, off offset:64
	ds_load_2addr_b64 v[142:145], v1 offset0:49 offset1:50
	ds_load_2addr_b64 v[146:149], v1 offset0:51 offset1:52
	;; [unrolled: 1-line block ×15, first 2 shown]
	s_mov_b32 s0, exec_lo
	s_wait_loadcnt_dscnt 0xf0e
	v_dual_mul_f32 v1, v142, v3 :: v_dual_mul_f32 v22, v144, v5
	v_mul_f32_e32 v3, v143, v3
	s_wait_loadcnt_dscnt 0xe0d
	v_dual_mul_f32 v5, v145, v5 :: v_dual_mul_f32 v204, v146, v7
	s_delay_alu instid0(VALU_DEP_3) | instskip(NEXT) | instid1(VALU_DEP_3)
	v_dual_mul_f32 v205, v148, v9 :: v_dual_fmac_f32 v22, v145, v4
	v_fma_f32 v3, v142, v2, -v3
	v_fmac_f32_e32 v1, v143, v2
	v_mul_f32_e32 v2, v147, v7
	v_fma_f32 v4, v144, v4, -v5
	s_delay_alu instid0(VALU_DEP_4)
	v_dual_fmac_f32 v204, v147, v6 :: v_dual_add_f32 v3, 0, v3
	s_wait_loadcnt_dscnt 0xb0a
	v_dual_mul_f32 v210, v158, v19 :: v_dual_mul_f32 v211, v160, v21
	v_fma_f32 v2, v146, v6, -v2
	v_dual_mul_f32 v206, v150, v11 :: v_dual_mul_f32 v207, v152, v13
	v_add_f32_e32 v3, v3, v4
	v_dual_mul_f32 v5, v149, v9 :: v_dual_mul_f32 v208, v154, v15
	v_dual_mul_f32 v209, v156, v17 :: v_dual_mul_f32 v4, v151, v11
	s_delay_alu instid0(VALU_DEP_3) | instskip(NEXT) | instid1(VALU_DEP_3)
	v_add_f32_e32 v2, v3, v2
	v_fma_f32 v5, v148, v8, -v5
	v_dual_mul_f32 v3, v153, v13 :: v_dual_fmac_f32 v210, v159, v18
	s_delay_alu instid0(VALU_DEP_4) | instskip(SKIP_1) | instid1(VALU_DEP_4)
	v_fma_f32 v4, v150, v10, -v4
	v_dual_fmac_f32 v205, v149, v8 :: v_dual_fmac_f32 v206, v151, v10
	v_add_f32_e32 v2, v2, v5
	v_add_f32_e32 v1, 0, v1
	v_fma_f32 v3, v152, v12, -v3
	v_fmac_f32_e32 v208, v155, v14
	s_wait_loadcnt_dscnt 0xa09
	v_dual_mul_f32 v212, v162, v103 :: v_dual_mul_f32 v213, v164, v105
	v_dual_add_f32 v1, v1, v22 :: v_dual_add_f32 v2, v2, v4
	v_mul_f32_e32 v4, v157, v17
	s_wait_loadcnt_dscnt 0x807
	v_dual_mul_f32 v216, v170, v111 :: v_dual_mul_f32 v217, v172, v113
	s_delay_alu instid0(VALU_DEP_3) | instskip(NEXT) | instid1(VALU_DEP_3)
	v_dual_add_f32 v1, v1, v204 :: v_dual_add_f32 v2, v2, v3
	v_fma_f32 v4, v156, v16, -v4
	v_mul_f32_e32 v5, v155, v15
	v_dual_mul_f32 v214, v166, v107 :: v_dual_mul_f32 v215, v168, v109
	s_wait_loadcnt_dscnt 0x504
	v_dual_add_f32 v1, v1, v205 :: v_dual_mul_f32 v222, v182, v123
	v_mul_f32_e32 v223, v184, v125
	v_fma_f32 v5, v154, v14, -v5
	v_fmac_f32_e32 v207, v153, v12
	s_delay_alu instid0(VALU_DEP_4)
	v_add_f32_e32 v1, v1, v206
	v_fmac_f32_e32 v212, v163, v102
	v_dual_mul_f32 v218, v174, v115 :: v_dual_mul_f32 v219, v176, v117
	v_add_f32_e32 v2, v2, v5
	v_dual_fmac_f32 v214, v167, v106 :: v_dual_fmac_f32 v213, v165, v104
	v_dual_mul_f32 v220, v178, v119 :: v_dual_mul_f32 v221, v180, v121
	s_delay_alu instid0(VALU_DEP_3) | instskip(SKIP_2) | instid1(VALU_DEP_4)
	v_add_f32_e32 v2, v2, v4
	v_mul_f32_e32 v4, v163, v103
	v_add_f32_e32 v1, v1, v207
	v_dual_fmac_f32 v215, v169, v108 :: v_dual_fmac_f32 v220, v179, v118
	s_wait_loadcnt_dscnt 0x201
	v_dual_mul_f32 v228, v194, v135 :: v_dual_mul_f32 v229, v196, v137
	v_fma_f32 v4, v162, v102, -v4
	v_mul_f32_e32 v5, v161, v21
	v_dual_add_f32 v1, v1, v208 :: v_dual_fmac_f32 v216, v171, v110
	v_dual_fmac_f32 v217, v173, v112 :: v_dual_mul_f32 v224, v186, v127
	v_mul_f32_e32 v225, v188, v129
	s_delay_alu instid0(VALU_DEP_4) | instskip(SKIP_4) | instid1(VALU_DEP_3)
	v_fma_f32 v5, v160, v20, -v5
	v_mul_f32_e32 v3, v159, v19
	s_wait_loadcnt_dscnt 0x100
	v_dual_mul_f32 v230, v198, v139 :: v_dual_mul_f32 v231, v200, v141
	v_dual_mul_f32 v226, v190, v131 :: v_dual_mul_f32 v227, v192, v133
	v_fma_f32 v3, v158, v18, -v3
	v_fmac_f32_e32 v209, v157, v16
	v_fmac_f32_e32 v223, v185, v124
	;; [unrolled: 1-line block ×3, first 2 shown]
	s_delay_alu instid0(VALU_DEP_4) | instskip(SKIP_3) | instid1(VALU_DEP_4)
	v_dual_fmac_f32 v227, v193, v132 :: v_dual_add_f32 v2, v2, v3
	v_mul_f32_e32 v3, v165, v105
	v_dual_fmac_f32 v231, v201, v140 :: v_dual_fmac_f32 v222, v183, v122
	v_fmac_f32_e32 v218, v175, v114
	v_dual_add_f32 v2, v2, v5 :: v_dual_mul_f32 v5, v167, v107
	s_delay_alu instid0(VALU_DEP_4) | instskip(SKIP_2) | instid1(VALU_DEP_4)
	v_fma_f32 v3, v164, v104, -v3
	v_fmac_f32_e32 v228, v195, v134
	v_fmac_f32_e32 v224, v187, v126
	v_dual_add_f32 v2, v2, v4 :: v_dual_add_f32 v1, v1, v209
	v_mul_f32_e32 v4, v169, v109
	v_fma_f32 v5, v166, v106, -v5
	v_fmac_f32_e32 v230, v199, v138
	s_delay_alu instid0(VALU_DEP_4) | instskip(NEXT) | instid1(VALU_DEP_4)
	v_dual_add_f32 v2, v2, v3 :: v_dual_fmac_f32 v211, v161, v20
	v_fma_f32 v4, v168, v108, -v4
	v_fmac_f32_e32 v226, v191, v130
	s_delay_alu instid0(VALU_DEP_3) | instskip(SKIP_1) | instid1(VALU_DEP_2)
	v_add_f32_e32 v2, v2, v5
	v_mul_f32_e32 v5, v173, v113
	v_dual_add_f32 v1, v1, v210 :: v_dual_add_f32 v2, v2, v4
	s_delay_alu instid0(VALU_DEP_2) | instskip(SKIP_1) | instid1(VALU_DEP_3)
	v_fma_f32 v5, v172, v112, -v5
	v_mul_f32_e32 v3, v171, v111
	v_add_f32_e32 v1, v1, v211
	v_mul_f32_e32 v4, v175, v115
	s_delay_alu instid0(VALU_DEP_3) | instskip(NEXT) | instid1(VALU_DEP_3)
	v_fma_f32 v3, v170, v110, -v3
	v_add_f32_e32 v1, v1, v212
	s_delay_alu instid0(VALU_DEP_3) | instskip(NEXT) | instid1(VALU_DEP_3)
	v_fma_f32 v4, v174, v114, -v4
	v_add_f32_e32 v2, v2, v3
	s_delay_alu instid0(VALU_DEP_1) | instskip(NEXT) | instid1(VALU_DEP_4)
	v_add_f32_e32 v2, v2, v5
	v_add_f32_e32 v1, v1, v213
	s_delay_alu instid0(VALU_DEP_2) | instskip(SKIP_1) | instid1(VALU_DEP_2)
	v_dual_mul_f32 v5, v179, v119 :: v_dual_add_f32 v2, v2, v4
	v_mul_f32_e32 v4, v181, v121
	v_fma_f32 v5, v178, v118, -v5
	s_delay_alu instid0(VALU_DEP_2) | instskip(SKIP_1) | instid1(VALU_DEP_1)
	v_fma_f32 v4, v180, v120, -v4
	v_mul_f32_e32 v3, v177, v117
	v_fma_f32 v3, v176, v116, -v3
	s_delay_alu instid0(VALU_DEP_1) | instskip(NEXT) | instid1(VALU_DEP_1)
	v_dual_add_f32 v1, v1, v214 :: v_dual_add_f32 v2, v2, v3
	v_add_f32_e32 v1, v1, v215
	s_delay_alu instid0(VALU_DEP_2) | instskip(SKIP_1) | instid1(VALU_DEP_2)
	v_dual_mul_f32 v3, v183, v123 :: v_dual_add_f32 v2, v2, v5
	v_mul_f32_e32 v5, v185, v125
	v_fma_f32 v3, v182, v122, -v3
	s_delay_alu instid0(VALU_DEP_3) | instskip(SKIP_1) | instid1(VALU_DEP_4)
	v_add_f32_e32 v2, v2, v4
	v_dual_add_f32 v1, v1, v216 :: v_dual_mul_f32 v4, v187, v127
	v_fma_f32 v5, v184, v124, -v5
	s_delay_alu instid0(VALU_DEP_2) | instskip(SKIP_3) | instid1(VALU_DEP_4)
	v_dual_add_f32 v2, v2, v3 :: v_dual_add_f32 v1, v1, v217
	v_fmac_f32_e32 v219, v177, v116
	v_mul_f32_e32 v3, v189, v129
	v_fma_f32 v4, v186, v126, -v4
	v_dual_add_f32 v2, v2, v5 :: v_dual_add_f32 v1, v1, v218
	v_mul_f32_e32 v5, v191, v131
	s_delay_alu instid0(VALU_DEP_4) | instskip(NEXT) | instid1(VALU_DEP_3)
	v_fma_f32 v3, v188, v128, -v3
	v_dual_add_f32 v2, v2, v4 :: v_dual_add_f32 v1, v1, v219
	v_fmac_f32_e32 v221, v181, v120
	v_mul_f32_e32 v4, v193, v133
	v_fma_f32 v5, v190, v130, -v5
	s_delay_alu instid0(VALU_DEP_4) | instskip(SKIP_1) | instid1(VALU_DEP_4)
	v_dual_add_f32 v2, v2, v3 :: v_dual_add_f32 v1, v1, v220
	v_mul_f32_e32 v3, v195, v135
	v_fma_f32 v4, v192, v132, -v4
	s_delay_alu instid0(VALU_DEP_3) | instskip(NEXT) | instid1(VALU_DEP_4)
	v_add_f32_e32 v2, v2, v5
	v_add_f32_e32 v1, v1, v221
	v_mul_f32_e32 v5, v197, v137
	v_fma_f32 v3, v194, v134, -v3
	s_delay_alu instid0(VALU_DEP_3) | instskip(SKIP_1) | instid1(VALU_DEP_4)
	v_dual_add_f32 v2, v2, v4 :: v_dual_add_f32 v1, v1, v222
	v_mul_f32_e32 v4, v199, v139
	v_fma_f32 v5, v196, v136, -v5
	s_delay_alu instid0(VALU_DEP_3) | instskip(NEXT) | instid1(VALU_DEP_4)
	v_add_f32_e32 v2, v2, v3
	v_add_f32_e32 v1, v1, v223
	v_mul_f32_e32 v3, v201, v141
	v_fma_f32 v4, v198, v138, -v4
	s_delay_alu instid0(VALU_DEP_3) | instskip(NEXT) | instid1(VALU_DEP_3)
	v_dual_add_f32 v2, v2, v5 :: v_dual_add_f32 v1, v1, v224
	v_fma_f32 v3, v200, v140, -v3
	s_delay_alu instid0(VALU_DEP_2) | instskip(NEXT) | instid1(VALU_DEP_1)
	v_add_f32_e32 v2, v2, v4
	v_dual_fmac_f32 v225, v189, v128 :: v_dual_add_f32 v2, v2, v3
	s_delay_alu instid0(VALU_DEP_1) | instskip(NEXT) | instid1(VALU_DEP_1)
	v_add_f32_e32 v1, v1, v225
	v_add_f32_e32 v1, v1, v226
	s_delay_alu instid0(VALU_DEP_1) | instskip(NEXT) | instid1(VALU_DEP_1)
	v_add_f32_e32 v1, v1, v227
	v_add_f32_e32 v1, v1, v228
	;; [unrolled: 3-line block ×3, first 2 shown]
	s_delay_alu instid0(VALU_DEP_1) | instskip(SKIP_1) | instid1(VALU_DEP_1)
	v_add_f32_e32 v3, v1, v231
	s_wait_loadcnt 0x0
	v_dual_sub_f32 v1, v202, v2 :: v_dual_sub_f32 v2, v203, v3
	scratch_store_b64 off, v[1:2], off offset:64
	v_cmpx_lt_u32_e32 7, v0
	s_cbranch_execz .LBB38_233
; %bb.232:
	scratch_load_b64 v[1:2], off, off offset:56
	v_mov_b32_e32 v3, 0
	s_delay_alu instid0(VALU_DEP_1)
	v_mov_b32_e32 v4, v3
	scratch_store_b64 off, v[3:4], off offset:56
	s_wait_loadcnt 0x0
	ds_store_b64 v23, v[1:2]
.LBB38_233:
	s_wait_alu 0xfffe
	s_or_b32 exec_lo, exec_lo, s0
	s_wait_storecnt_dscnt 0x0
	s_barrier_signal -1
	s_barrier_wait -1
	global_inv scope:SCOPE_SE
	s_clause 0x10
	scratch_load_b128 v[2:5], off, off offset:64
	scratch_load_b128 v[6:9], off, off offset:80
	scratch_load_b128 v[10:13], off, off offset:96
	scratch_load_b128 v[14:17], off, off offset:112
	scratch_load_b128 v[18:21], off, off offset:128
	scratch_load_b128 v[102:105], off, off offset:144
	scratch_load_b128 v[106:109], off, off offset:160
	scratch_load_b128 v[110:113], off, off offset:176
	scratch_load_b128 v[114:117], off, off offset:192
	scratch_load_b128 v[118:121], off, off offset:208
	scratch_load_b128 v[122:125], off, off offset:224
	scratch_load_b128 v[126:129], off, off offset:240
	scratch_load_b128 v[130:133], off, off offset:256
	scratch_load_b128 v[134:137], off, off offset:272
	scratch_load_b128 v[138:141], off, off offset:288
	scratch_load_b64 v[202:203], off, off offset:304
	scratch_load_b64 v[204:205], off, off offset:56
	v_mov_b32_e32 v1, 0
	ds_load_b128 v[142:145], v1 offset:384
	ds_load_b128 v[146:149], v1 offset:400
	;; [unrolled: 1-line block ×15, first 2 shown]
	ds_load_b64 v[206:207], v1 offset:624
	s_mov_b32 s0, exec_lo
	s_wait_loadcnt_dscnt 0x100f
	v_mul_f32_e32 v22, v142, v3
	s_wait_loadcnt_dscnt 0xf0e
	v_dual_mul_f32 v208, v144, v5 :: v_dual_mul_f32 v209, v146, v7
	v_mul_f32_e32 v5, v145, v5
	s_wait_loadcnt_dscnt 0xe0d
	v_dual_mul_f32 v210, v148, v9 :: v_dual_mul_f32 v211, v150, v11
	s_wait_loadcnt_dscnt 0xd0c
	v_dual_mul_f32 v212, v152, v13 :: v_dual_mul_f32 v213, v154, v15
	s_wait_loadcnt_dscnt 0xc0b
	v_dual_mul_f32 v214, v156, v17 :: v_dual_mul_f32 v215, v158, v19
	v_mul_f32_e32 v3, v143, v3
	v_fmac_f32_e32 v22, v143, v2
	v_dual_fmac_f32 v211, v151, v10 :: v_dual_fmac_f32 v212, v153, v12
	s_wait_loadcnt_dscnt 0x100
	v_dual_mul_f32 v234, v196, v137 :: v_dual_mul_f32 v237, v206, v203
	v_fma_f32 v3, v142, v2, -v3
	v_mul_f32_e32 v2, v147, v7
	v_fmac_f32_e32 v208, v145, v4
	v_fma_f32 v4, v144, v4, -v5
	v_dual_add_f32 v5, 0, v22 :: v_dual_fmac_f32 v210, v149, v8
	v_add_f32_e32 v3, 0, v3
	v_fmac_f32_e32 v209, v147, v6
	v_fma_f32 v2, v146, v6, -v2
	v_dual_fmac_f32 v213, v155, v14 :: v_dual_fmac_f32 v214, v157, v16
	s_delay_alu instid0(VALU_DEP_4) | instskip(SKIP_3) | instid1(VALU_DEP_4)
	v_add_f32_e32 v3, v3, v4
	v_mul_f32_e32 v7, v149, v9
	v_add_f32_e32 v4, v5, v208
	v_dual_mul_f32 v216, v160, v21 :: v_dual_mul_f32 v217, v162, v103
	v_add_f32_e32 v2, v3, v2
	s_delay_alu instid0(VALU_DEP_4)
	v_fma_f32 v6, v148, v8, -v7
	v_mul_f32_e32 v5, v151, v11
	v_add_f32_e32 v3, v4, v209
	v_mul_f32_e32 v4, v153, v13
	v_dual_mul_f32 v218, v164, v105 :: v_dual_mul_f32 v219, v166, v107
	v_add_f32_e32 v2, v2, v6
	v_fma_f32 v5, v150, v10, -v5
	v_mul_f32_e32 v6, v155, v15
	v_add_f32_e32 v3, v3, v210
	v_fma_f32 v4, v152, v12, -v4
	v_dual_fmac_f32 v217, v163, v102 :: v_dual_fmac_f32 v218, v165, v104
	s_delay_alu instid0(VALU_DEP_3) | instskip(SKIP_2) | instid1(VALU_DEP_3)
	v_dual_add_f32 v2, v2, v5 :: v_dual_add_f32 v3, v3, v211
	v_mul_f32_e32 v5, v157, v17
	v_fma_f32 v6, v154, v14, -v6
	v_dual_fmac_f32 v215, v159, v18 :: v_dual_add_f32 v2, v2, v4
	s_delay_alu instid0(VALU_DEP_4) | instskip(SKIP_3) | instid1(VALU_DEP_4)
	v_add_f32_e32 v3, v3, v212
	v_mul_f32_e32 v4, v159, v19
	v_fma_f32 v5, v156, v16, -v5
	v_fmac_f32_e32 v216, v161, v20
	v_dual_add_f32 v2, v2, v6 :: v_dual_add_f32 v3, v3, v213
	v_mul_f32_e32 v6, v161, v21
	v_fma_f32 v4, v158, v18, -v4
	v_dual_mul_f32 v220, v168, v109 :: v_dual_mul_f32 v221, v170, v111
	s_delay_alu instid0(VALU_DEP_4) | instskip(SKIP_3) | instid1(VALU_DEP_4)
	v_dual_add_f32 v2, v2, v5 :: v_dual_add_f32 v3, v3, v214
	v_mul_f32_e32 v5, v163, v103
	v_fma_f32 v6, v160, v20, -v6
	v_dual_mul_f32 v222, v172, v113 :: v_dual_mul_f32 v223, v174, v115
	v_dual_add_f32 v2, v2, v4 :: v_dual_add_f32 v3, v3, v215
	v_mul_f32_e32 v4, v165, v105
	v_fma_f32 v5, v162, v102, -v5
	v_fmac_f32_e32 v219, v167, v106
	s_delay_alu instid0(VALU_DEP_4) | instskip(SKIP_3) | instid1(VALU_DEP_4)
	v_dual_add_f32 v2, v2, v6 :: v_dual_add_f32 v3, v3, v216
	v_mul_f32_e32 v6, v167, v107
	v_fma_f32 v4, v164, v104, -v4
	v_fmac_f32_e32 v220, v169, v108
	v_add_f32_e32 v2, v2, v5
	v_add_f32_e32 v3, v3, v217
	v_mul_f32_e32 v5, v169, v109
	v_fma_f32 v6, v166, v106, -v6
	s_delay_alu instid0(VALU_DEP_4) | instskip(NEXT) | instid1(VALU_DEP_4)
	v_dual_fmac_f32 v221, v171, v110 :: v_dual_add_f32 v2, v2, v4
	v_add_f32_e32 v3, v3, v218
	v_mul_f32_e32 v4, v171, v111
	v_fma_f32 v5, v168, v108, -v5
	v_fmac_f32_e32 v222, v173, v112
	s_delay_alu instid0(VALU_DEP_4) | instskip(SKIP_3) | instid1(VALU_DEP_4)
	v_dual_add_f32 v2, v2, v6 :: v_dual_add_f32 v3, v3, v219
	v_mul_f32_e32 v6, v173, v113
	v_fma_f32 v4, v170, v110, -v4
	v_dual_mul_f32 v224, v176, v117 :: v_dual_mul_f32 v225, v178, v119
	v_dual_add_f32 v2, v2, v5 :: v_dual_add_f32 v3, v3, v220
	v_mul_f32_e32 v5, v175, v115
	v_fma_f32 v6, v172, v112, -v6
	s_delay_alu instid0(VALU_DEP_3) | instskip(NEXT) | instid1(VALU_DEP_4)
	v_dual_fmac_f32 v223, v175, v114 :: v_dual_add_f32 v2, v2, v4
	v_add_f32_e32 v3, v3, v221
	v_mul_f32_e32 v4, v177, v117
	v_fma_f32 v5, v174, v114, -v5
	v_fmac_f32_e32 v224, v177, v116
	v_dual_mul_f32 v226, v180, v121 :: v_dual_mul_f32 v227, v182, v123
	v_add_f32_e32 v3, v3, v222
	v_add_f32_e32 v2, v2, v6
	v_mul_f32_e32 v6, v179, v119
	v_fma_f32 v4, v176, v116, -v4
	v_fmac_f32_e32 v225, v179, v118
	s_delay_alu instid0(VALU_DEP_4) | instskip(NEXT) | instid1(VALU_DEP_4)
	v_dual_add_f32 v3, v3, v223 :: v_dual_add_f32 v2, v2, v5
	v_fma_f32 v6, v178, v118, -v6
	v_mul_f32_e32 v5, v181, v121
	v_dual_fmac_f32 v226, v181, v120 :: v_dual_fmac_f32 v227, v183, v122
	s_delay_alu instid0(VALU_DEP_4) | instskip(SKIP_3) | instid1(VALU_DEP_4)
	v_add_f32_e32 v3, v3, v224
	v_add_f32_e32 v2, v2, v4
	v_dual_mul_f32 v228, v184, v125 :: v_dual_mul_f32 v229, v186, v127
	v_mul_f32_e32 v4, v183, v123
	v_add_f32_e32 v3, v3, v225
	v_fma_f32 v5, v180, v120, -v5
	v_add_f32_e32 v2, v2, v6
	v_mul_f32_e32 v6, v185, v125
	v_fma_f32 v4, v182, v122, -v4
	v_dual_add_f32 v3, v3, v226 :: v_dual_fmac_f32 v228, v185, v124
	s_delay_alu instid0(VALU_DEP_4) | instskip(SKIP_1) | instid1(VALU_DEP_3)
	v_dual_add_f32 v2, v2, v5 :: v_dual_mul_f32 v5, v187, v127
	v_dual_mul_f32 v230, v188, v129 :: v_dual_mul_f32 v231, v190, v131
	v_add_f32_e32 v3, v3, v227
	v_fma_f32 v6, v184, v124, -v6
	s_delay_alu instid0(VALU_DEP_4) | instskip(NEXT) | instid1(VALU_DEP_3)
	v_dual_add_f32 v2, v2, v4 :: v_dual_fmac_f32 v229, v187, v126
	v_dual_mul_f32 v4, v189, v129 :: v_dual_add_f32 v3, v3, v228
	v_fma_f32 v5, v186, v126, -v5
	s_delay_alu instid0(VALU_DEP_3) | instskip(SKIP_1) | instid1(VALU_DEP_4)
	v_add_f32_e32 v2, v2, v6
	v_dual_fmac_f32 v230, v189, v128 :: v_dual_fmac_f32 v231, v191, v130
	v_add_f32_e32 v3, v3, v229
	v_dual_mul_f32 v232, v192, v133 :: v_dual_mul_f32 v233, v194, v135
	v_mul_f32_e32 v6, v191, v131
	v_fma_f32 v4, v188, v128, -v4
	s_delay_alu instid0(VALU_DEP_4) | instskip(SKIP_1) | instid1(VALU_DEP_4)
	v_dual_add_f32 v2, v2, v5 :: v_dual_add_f32 v3, v3, v230
	v_mul_f32_e32 v5, v193, v133
	v_fma_f32 v6, v190, v130, -v6
	v_dual_fmac_f32 v232, v193, v132 :: v_dual_fmac_f32 v233, v195, v134
	s_delay_alu instid0(VALU_DEP_4) | instskip(SKIP_3) | instid1(VALU_DEP_4)
	v_dual_add_f32 v2, v2, v4 :: v_dual_add_f32 v3, v3, v231
	v_mul_f32_e32 v4, v195, v135
	v_fma_f32 v5, v192, v132, -v5
	v_dual_mul_f32 v235, v198, v139 :: v_dual_mul_f32 v236, v200, v141
	v_dual_add_f32 v2, v2, v6 :: v_dual_add_f32 v3, v3, v232
	s_delay_alu instid0(VALU_DEP_4) | instskip(SKIP_2) | instid1(VALU_DEP_4)
	v_fma_f32 v4, v194, v134, -v4
	v_fmac_f32_e32 v234, v197, v136
	v_mul_f32_e32 v6, v197, v137
	v_dual_add_f32 v2, v2, v5 :: v_dual_fmac_f32 v235, v199, v138
	v_add_f32_e32 v3, v3, v233
	v_mul_f32_e32 v5, v199, v139
	s_delay_alu instid0(VALU_DEP_4) | instskip(NEXT) | instid1(VALU_DEP_4)
	v_fma_f32 v6, v196, v136, -v6
	v_add_f32_e32 v2, v2, v4
	v_dual_fmac_f32 v236, v201, v140 :: v_dual_fmac_f32 v237, v207, v202
	v_dual_add_f32 v3, v3, v234 :: v_dual_mul_f32 v4, v201, v141
	v_fma_f32 v5, v198, v138, -v5
	s_delay_alu instid0(VALU_DEP_2) | instskip(SKIP_1) | instid1(VALU_DEP_4)
	v_dual_add_f32 v3, v3, v235 :: v_dual_add_f32 v2, v2, v6
	v_mul_f32_e32 v6, v207, v203
	v_fma_f32 v4, v200, v140, -v4
	s_delay_alu instid0(VALU_DEP_3) | instskip(NEXT) | instid1(VALU_DEP_1)
	v_add_f32_e32 v3, v3, v236
	v_add_f32_e32 v3, v3, v237
	v_add_f32_e32 v2, v2, v5
	v_fma_f32 v5, v206, v202, -v6
	s_wait_loadcnt 0x0
	s_delay_alu instid0(VALU_DEP_2) | instskip(NEXT) | instid1(VALU_DEP_1)
	v_dual_sub_f32 v3, v205, v3 :: v_dual_add_f32 v2, v2, v4
	v_add_f32_e32 v2, v2, v5
	s_delay_alu instid0(VALU_DEP_1)
	v_sub_f32_e32 v2, v204, v2
	scratch_store_b64 off, v[2:3], off offset:56
	v_cmpx_lt_u32_e32 6, v0
	s_cbranch_execz .LBB38_235
; %bb.234:
	scratch_load_b64 v[3:4], off, off offset:48
	v_mov_b32_e32 v2, v1
	scratch_store_b64 off, v[1:2], off offset:48
	s_wait_loadcnt 0x0
	ds_store_b64 v23, v[3:4]
.LBB38_235:
	s_wait_alu 0xfffe
	s_or_b32 exec_lo, exec_lo, s0
	s_wait_storecnt_dscnt 0x0
	s_barrier_signal -1
	s_barrier_wait -1
	global_inv scope:SCOPE_SE
	s_clause 0x10
	scratch_load_b128 v[2:5], off, off offset:56
	scratch_load_b128 v[6:9], off, off offset:72
	;; [unrolled: 1-line block ×16, first 2 shown]
	scratch_load_b64 v[210:211], off, off offset:48
	ds_load_2addr_b64 v[146:149], v1 offset0:47 offset1:48
	ds_load_2addr_b64 v[150:153], v1 offset0:49 offset1:50
	;; [unrolled: 1-line block ×16, first 2 shown]
	s_mov_b32 s0, exec_lo
	s_wait_loadcnt_dscnt 0x100f
	v_dual_mul_f32 v1, v146, v3 :: v_dual_mul_f32 v22, v148, v5
	v_mul_f32_e32 v3, v147, v3
	s_wait_loadcnt_dscnt 0xf0e
	v_dual_mul_f32 v5, v149, v5 :: v_dual_mul_f32 v212, v150, v7
	s_delay_alu instid0(VALU_DEP_3) | instskip(NEXT) | instid1(VALU_DEP_3)
	v_dual_mul_f32 v213, v152, v9 :: v_dual_fmac_f32 v22, v149, v4
	v_fma_f32 v3, v146, v2, -v3
	v_fmac_f32_e32 v1, v147, v2
	v_mul_f32_e32 v2, v151, v7
	v_fma_f32 v4, v148, v4, -v5
	s_delay_alu instid0(VALU_DEP_4)
	v_dual_fmac_f32 v212, v151, v6 :: v_dual_add_f32 v3, 0, v3
	s_wait_loadcnt_dscnt 0xc0b
	v_dual_mul_f32 v218, v162, v19 :: v_dual_mul_f32 v219, v164, v21
	v_fma_f32 v2, v150, v6, -v2
	v_dual_mul_f32 v214, v154, v11 :: v_dual_mul_f32 v215, v156, v13
	v_add_f32_e32 v3, v3, v4
	v_dual_mul_f32 v5, v153, v9 :: v_dual_mul_f32 v216, v158, v15
	v_dual_mul_f32 v217, v160, v17 :: v_dual_mul_f32 v4, v155, v11
	s_delay_alu instid0(VALU_DEP_3) | instskip(NEXT) | instid1(VALU_DEP_3)
	v_add_f32_e32 v2, v3, v2
	v_fma_f32 v5, v152, v8, -v5
	v_dual_mul_f32 v3, v157, v13 :: v_dual_fmac_f32 v218, v163, v18
	s_delay_alu instid0(VALU_DEP_4) | instskip(SKIP_1) | instid1(VALU_DEP_4)
	v_fma_f32 v4, v154, v10, -v4
	v_dual_fmac_f32 v213, v153, v8 :: v_dual_fmac_f32 v214, v155, v10
	v_add_f32_e32 v2, v2, v5
	v_add_f32_e32 v1, 0, v1
	v_fma_f32 v3, v156, v12, -v3
	v_fmac_f32_e32 v216, v159, v14
	s_wait_loadcnt_dscnt 0xb0a
	v_dual_mul_f32 v220, v166, v103 :: v_dual_mul_f32 v221, v168, v105
	v_dual_add_f32 v1, v1, v22 :: v_dual_add_f32 v2, v2, v4
	v_mul_f32_e32 v4, v161, v17
	s_wait_loadcnt_dscnt 0x908
	v_dual_mul_f32 v224, v174, v111 :: v_dual_mul_f32 v225, v176, v113
	s_delay_alu instid0(VALU_DEP_3) | instskip(NEXT) | instid1(VALU_DEP_3)
	v_dual_add_f32 v1, v1, v212 :: v_dual_add_f32 v2, v2, v3
	v_fma_f32 v4, v160, v16, -v4
	v_mul_f32_e32 v5, v159, v15
	v_dual_mul_f32 v222, v170, v107 :: v_dual_mul_f32 v223, v172, v109
	s_wait_loadcnt_dscnt 0x605
	v_dual_add_f32 v1, v1, v213 :: v_dual_mul_f32 v230, v186, v123
	v_mul_f32_e32 v231, v188, v125
	v_fma_f32 v5, v158, v14, -v5
	v_fmac_f32_e32 v215, v157, v12
	s_delay_alu instid0(VALU_DEP_4)
	v_add_f32_e32 v1, v1, v214
	v_fmac_f32_e32 v220, v167, v102
	v_dual_mul_f32 v226, v178, v115 :: v_dual_mul_f32 v227, v180, v117
	v_add_f32_e32 v2, v2, v5
	v_dual_fmac_f32 v222, v171, v106 :: v_dual_fmac_f32 v221, v169, v104
	v_dual_mul_f32 v228, v182, v119 :: v_dual_mul_f32 v229, v184, v121
	s_delay_alu instid0(VALU_DEP_3) | instskip(SKIP_2) | instid1(VALU_DEP_4)
	v_add_f32_e32 v2, v2, v4
	v_mul_f32_e32 v4, v167, v103
	v_add_f32_e32 v1, v1, v215
	v_dual_fmac_f32 v223, v173, v108 :: v_dual_fmac_f32 v228, v183, v118
	s_wait_loadcnt_dscnt 0x302
	v_dual_mul_f32 v236, v198, v135 :: v_dual_mul_f32 v237, v200, v137
	v_fma_f32 v4, v166, v102, -v4
	v_mul_f32_e32 v5, v165, v21
	v_dual_add_f32 v1, v1, v216 :: v_dual_fmac_f32 v224, v175, v110
	v_dual_fmac_f32 v225, v177, v112 :: v_dual_mul_f32 v232, v190, v127
	v_mul_f32_e32 v233, v192, v129
	s_delay_alu instid0(VALU_DEP_4) | instskip(SKIP_4) | instid1(VALU_DEP_3)
	v_fma_f32 v5, v164, v20, -v5
	v_mul_f32_e32 v3, v163, v19
	s_wait_loadcnt_dscnt 0x201
	v_dual_mul_f32 v238, v202, v139 :: v_dual_mul_f32 v239, v204, v141
	v_dual_mul_f32 v234, v194, v131 :: v_dual_mul_f32 v235, v196, v133
	v_fma_f32 v3, v162, v18, -v3
	v_fmac_f32_e32 v217, v161, v16
	s_wait_loadcnt_dscnt 0x100
	v_dual_fmac_f32 v231, v189, v124 :: v_dual_mul_f32 v240, v206, v143
	s_delay_alu instid0(VALU_DEP_3) | instskip(SKIP_1) | instid1(VALU_DEP_3)
	v_dual_mul_f32 v241, v208, v145 :: v_dual_add_f32 v2, v2, v3
	v_mul_f32_e32 v3, v169, v105
	v_dual_fmac_f32 v233, v193, v128 :: v_dual_fmac_f32 v240, v207, v142
	s_delay_alu instid0(VALU_DEP_3) | instskip(SKIP_1) | instid1(VALU_DEP_4)
	v_dual_fmac_f32 v237, v201, v136 :: v_dual_add_f32 v2, v2, v5
	v_mul_f32_e32 v5, v171, v107
	v_fma_f32 v3, v168, v104, -v3
	v_dual_fmac_f32 v230, v187, v122 :: v_dual_fmac_f32 v239, v205, v140
	s_delay_alu instid0(VALU_DEP_4) | instskip(SKIP_3) | instid1(VALU_DEP_4)
	v_dual_add_f32 v2, v2, v4 :: v_dual_add_f32 v1, v1, v217
	v_mul_f32_e32 v4, v173, v109
	v_fma_f32 v5, v170, v106, -v5
	v_fmac_f32_e32 v226, v179, v114
	v_dual_add_f32 v2, v2, v3 :: v_dual_fmac_f32 v219, v165, v20
	s_delay_alu instid0(VALU_DEP_4) | instskip(SKIP_1) | instid1(VALU_DEP_3)
	v_fma_f32 v4, v172, v108, -v4
	v_dual_fmac_f32 v241, v209, v144 :: v_dual_fmac_f32 v236, v199, v134
	v_add_f32_e32 v2, v2, v5
	v_mul_f32_e32 v5, v177, v113
	v_add_f32_e32 v1, v1, v218
	v_fmac_f32_e32 v232, v191, v126
	v_fmac_f32_e32 v238, v203, v138
	v_add_f32_e32 v2, v2, v4
	v_fma_f32 v5, v176, v112, -v5
	v_mul_f32_e32 v3, v175, v111
	v_add_f32_e32 v1, v1, v219
	v_mul_f32_e32 v4, v179, v115
	v_fmac_f32_e32 v234, v195, v130
	s_delay_alu instid0(VALU_DEP_4) | instskip(NEXT) | instid1(VALU_DEP_4)
	v_fma_f32 v3, v174, v110, -v3
	v_add_f32_e32 v1, v1, v220
	s_delay_alu instid0(VALU_DEP_4) | instskip(NEXT) | instid1(VALU_DEP_3)
	v_fma_f32 v4, v178, v114, -v4
	v_add_f32_e32 v2, v2, v3
	s_delay_alu instid0(VALU_DEP_1) | instskip(NEXT) | instid1(VALU_DEP_4)
	v_add_f32_e32 v2, v2, v5
	v_add_f32_e32 v1, v1, v221
	s_delay_alu instid0(VALU_DEP_2) | instskip(SKIP_1) | instid1(VALU_DEP_2)
	v_dual_mul_f32 v5, v183, v119 :: v_dual_add_f32 v2, v2, v4
	v_mul_f32_e32 v4, v185, v121
	v_fma_f32 v5, v182, v118, -v5
	s_delay_alu instid0(VALU_DEP_2) | instskip(SKIP_1) | instid1(VALU_DEP_1)
	v_fma_f32 v4, v184, v120, -v4
	v_mul_f32_e32 v3, v181, v117
	v_fma_f32 v3, v180, v116, -v3
	s_delay_alu instid0(VALU_DEP_1) | instskip(NEXT) | instid1(VALU_DEP_1)
	v_dual_add_f32 v1, v1, v222 :: v_dual_add_f32 v2, v2, v3
	v_add_f32_e32 v1, v1, v223
	s_delay_alu instid0(VALU_DEP_2) | instskip(SKIP_1) | instid1(VALU_DEP_2)
	v_dual_mul_f32 v3, v187, v123 :: v_dual_add_f32 v2, v2, v5
	v_mul_f32_e32 v5, v189, v125
	v_fma_f32 v3, v186, v122, -v3
	s_delay_alu instid0(VALU_DEP_3) | instskip(SKIP_1) | instid1(VALU_DEP_4)
	v_add_f32_e32 v2, v2, v4
	v_dual_add_f32 v1, v1, v224 :: v_dual_mul_f32 v4, v191, v127
	v_fma_f32 v5, v188, v124, -v5
	s_delay_alu instid0(VALU_DEP_2) | instskip(SKIP_3) | instid1(VALU_DEP_4)
	v_dual_add_f32 v2, v2, v3 :: v_dual_add_f32 v1, v1, v225
	v_fmac_f32_e32 v227, v181, v116
	v_mul_f32_e32 v3, v193, v129
	v_fma_f32 v4, v190, v126, -v4
	v_dual_add_f32 v2, v2, v5 :: v_dual_add_f32 v1, v1, v226
	v_mul_f32_e32 v5, v195, v131
	s_delay_alu instid0(VALU_DEP_4) | instskip(NEXT) | instid1(VALU_DEP_3)
	v_fma_f32 v3, v192, v128, -v3
	v_dual_add_f32 v2, v2, v4 :: v_dual_add_f32 v1, v1, v227
	v_fmac_f32_e32 v229, v185, v120
	v_mul_f32_e32 v4, v197, v133
	v_fma_f32 v5, v194, v130, -v5
	s_delay_alu instid0(VALU_DEP_4) | instskip(SKIP_1) | instid1(VALU_DEP_4)
	v_dual_add_f32 v2, v2, v3 :: v_dual_add_f32 v1, v1, v228
	v_mul_f32_e32 v3, v199, v135
	v_fma_f32 v4, v196, v132, -v4
	s_delay_alu instid0(VALU_DEP_3) | instskip(NEXT) | instid1(VALU_DEP_4)
	v_add_f32_e32 v2, v2, v5
	v_add_f32_e32 v1, v1, v229
	v_mul_f32_e32 v5, v201, v137
	v_fma_f32 v3, v198, v134, -v3
	s_delay_alu instid0(VALU_DEP_3) | instskip(SKIP_1) | instid1(VALU_DEP_4)
	v_dual_add_f32 v2, v2, v4 :: v_dual_add_f32 v1, v1, v230
	v_mul_f32_e32 v4, v203, v139
	v_fma_f32 v5, v200, v136, -v5
	s_delay_alu instid0(VALU_DEP_3) | instskip(NEXT) | instid1(VALU_DEP_4)
	v_add_f32_e32 v2, v2, v3
	v_add_f32_e32 v1, v1, v231
	v_mul_f32_e32 v3, v205, v141
	v_fma_f32 v4, v202, v138, -v4
	s_delay_alu instid0(VALU_DEP_4) | instskip(NEXT) | instid1(VALU_DEP_3)
	v_dual_add_f32 v2, v2, v5 :: v_dual_mul_f32 v5, v207, v143
	v_fma_f32 v3, v204, v140, -v3
	s_delay_alu instid0(VALU_DEP_2) | instskip(SKIP_3) | instid1(VALU_DEP_4)
	v_add_f32_e32 v2, v2, v4
	v_add_f32_e32 v1, v1, v232
	v_mul_f32_e32 v4, v209, v145
	v_fma_f32 v5, v206, v142, -v5
	v_dual_add_f32 v2, v2, v3 :: v_dual_fmac_f32 v235, v197, v132
	s_delay_alu instid0(VALU_DEP_3) | instskip(NEXT) | instid1(VALU_DEP_2)
	v_fma_f32 v3, v208, v144, -v4
	v_add_f32_e32 v2, v2, v5
	s_delay_alu instid0(VALU_DEP_1) | instskip(NEXT) | instid1(VALU_DEP_1)
	v_dual_add_f32 v1, v1, v233 :: v_dual_add_f32 v2, v2, v3
	v_add_f32_e32 v1, v1, v234
	s_delay_alu instid0(VALU_DEP_1) | instskip(NEXT) | instid1(VALU_DEP_1)
	v_add_f32_e32 v1, v1, v235
	v_add_f32_e32 v1, v1, v236
	s_delay_alu instid0(VALU_DEP_1) | instskip(NEXT) | instid1(VALU_DEP_1)
	v_add_f32_e32 v1, v1, v237
	;; [unrolled: 3-line block ×3, first 2 shown]
	v_add_f32_e32 v1, v1, v240
	s_delay_alu instid0(VALU_DEP_1) | instskip(SKIP_1) | instid1(VALU_DEP_1)
	v_add_f32_e32 v3, v1, v241
	s_wait_loadcnt 0x0
	v_dual_sub_f32 v1, v210, v2 :: v_dual_sub_f32 v2, v211, v3
	scratch_store_b64 off, v[1:2], off offset:48
	v_cmpx_lt_u32_e32 5, v0
	s_cbranch_execz .LBB38_237
; %bb.236:
	scratch_load_b64 v[1:2], off, off offset:40
	v_mov_b32_e32 v3, 0
	s_delay_alu instid0(VALU_DEP_1)
	v_mov_b32_e32 v4, v3
	scratch_store_b64 off, v[3:4], off offset:40
	s_wait_loadcnt 0x0
	ds_store_b64 v23, v[1:2]
.LBB38_237:
	s_wait_alu 0xfffe
	s_or_b32 exec_lo, exec_lo, s0
	s_wait_storecnt_dscnt 0x0
	s_barrier_signal -1
	s_barrier_wait -1
	global_inv scope:SCOPE_SE
	s_clause 0x11
	scratch_load_b128 v[2:5], off, off offset:48
	scratch_load_b128 v[6:9], off, off offset:64
	;; [unrolled: 1-line block ×16, first 2 shown]
	scratch_load_b64 v[210:211], off, off offset:304
	scratch_load_b64 v[212:213], off, off offset:40
	v_mov_b32_e32 v1, 0
	ds_load_b128 v[146:149], v1 offset:368
	ds_load_b128 v[150:153], v1 offset:384
	ds_load_b128 v[154:157], v1 offset:400
	ds_load_b128 v[158:161], v1 offset:416
	ds_load_b128 v[162:165], v1 offset:432
	ds_load_b128 v[166:169], v1 offset:448
	ds_load_b128 v[170:173], v1 offset:464
	ds_load_b128 v[174:177], v1 offset:480
	ds_load_b128 v[178:181], v1 offset:496
	ds_load_b128 v[182:185], v1 offset:512
	ds_load_b128 v[186:189], v1 offset:528
	ds_load_b128 v[190:193], v1 offset:544
	ds_load_b128 v[194:197], v1 offset:560
	ds_load_b128 v[198:201], v1 offset:576
	ds_load_b128 v[202:205], v1 offset:592
	ds_load_b128 v[206:209], v1 offset:608
	ds_load_b64 v[214:215], v1 offset:624
	s_mov_b32 s0, exec_lo
	s_wait_loadcnt_dscnt 0x1110
	v_mul_f32_e32 v22, v146, v3
	s_wait_loadcnt_dscnt 0x100f
	v_dual_mul_f32 v216, v148, v5 :: v_dual_mul_f32 v217, v150, v7
	v_mul_f32_e32 v5, v149, v5
	s_wait_loadcnt_dscnt 0xf0e
	v_dual_mul_f32 v218, v152, v9 :: v_dual_mul_f32 v219, v154, v11
	s_wait_loadcnt_dscnt 0xe0d
	v_dual_mul_f32 v220, v156, v13 :: v_dual_mul_f32 v221, v158, v15
	;; [unrolled: 2-line block ×3, first 2 shown]
	v_mul_f32_e32 v3, v147, v3
	s_delay_alu instid0(VALU_DEP_3)
	v_dual_fmac_f32 v219, v155, v10 :: v_dual_fmac_f32 v220, v157, v12
	v_fmac_f32_e32 v22, v147, v2
	s_wait_loadcnt_dscnt 0x302
	v_mul_f32_e32 v244, v204, v141
	v_fma_f32 v3, v146, v2, -v3
	s_wait_loadcnt_dscnt 0x100
	v_mul_f32_e32 v247, v214, v211
	v_mul_f32_e32 v2, v151, v7
	v_fmac_f32_e32 v216, v149, v4
	v_fma_f32 v4, v148, v4, -v5
	v_add_f32_e32 v3, 0, v3
	v_dual_add_f32 v5, 0, v22 :: v_dual_fmac_f32 v218, v153, v8
	v_fmac_f32_e32 v217, v151, v6
	v_fma_f32 v2, v150, v6, -v2
	s_delay_alu instid0(VALU_DEP_4) | instskip(SKIP_3) | instid1(VALU_DEP_4)
	v_add_f32_e32 v3, v3, v4
	v_mul_f32_e32 v7, v153, v9
	v_dual_add_f32 v4, v5, v216 :: v_dual_fmac_f32 v221, v159, v14
	v_fmac_f32_e32 v222, v161, v16
	v_add_f32_e32 v2, v3, v2
	s_delay_alu instid0(VALU_DEP_4)
	v_fma_f32 v6, v152, v8, -v7
	v_mul_f32_e32 v5, v155, v11
	v_add_f32_e32 v3, v4, v217
	v_mul_f32_e32 v4, v157, v13
	v_dual_mul_f32 v224, v164, v21 :: v_dual_mul_f32 v225, v166, v103
	v_add_f32_e32 v2, v2, v6
	v_fma_f32 v5, v154, v10, -v5
	v_mul_f32_e32 v6, v159, v15
	v_add_f32_e32 v3, v3, v218
	v_fma_f32 v4, v156, v12, -v4
	v_dual_mul_f32 v226, v168, v105 :: v_dual_mul_f32 v227, v170, v107
	s_delay_alu instid0(VALU_DEP_3) | instskip(SKIP_2) | instid1(VALU_DEP_4)
	v_dual_add_f32 v2, v2, v5 :: v_dual_add_f32 v3, v3, v219
	v_mul_f32_e32 v5, v161, v17
	v_fma_f32 v6, v158, v14, -v6
	v_dual_fmac_f32 v225, v167, v102 :: v_dual_fmac_f32 v226, v169, v104
	s_delay_alu instid0(VALU_DEP_4) | instskip(SKIP_4) | instid1(VALU_DEP_4)
	v_add_f32_e32 v2, v2, v4
	v_add_f32_e32 v3, v3, v220
	v_mul_f32_e32 v4, v163, v19
	v_fma_f32 v5, v160, v16, -v5
	v_fmac_f32_e32 v223, v163, v18
	v_dual_add_f32 v2, v2, v6 :: v_dual_add_f32 v3, v3, v221
	v_fmac_f32_e32 v224, v165, v20
	v_mul_f32_e32 v6, v165, v21
	v_fma_f32 v4, v162, v18, -v4
	s_delay_alu instid0(VALU_DEP_4) | instskip(SKIP_1) | instid1(VALU_DEP_4)
	v_dual_add_f32 v2, v2, v5 :: v_dual_add_f32 v3, v3, v222
	v_mul_f32_e32 v5, v167, v103
	v_fma_f32 v6, v164, v20, -v6
	v_dual_mul_f32 v228, v172, v109 :: v_dual_mul_f32 v229, v174, v111
	s_delay_alu instid0(VALU_DEP_4) | instskip(SKIP_3) | instid1(VALU_DEP_4)
	v_dual_add_f32 v2, v2, v4 :: v_dual_add_f32 v3, v3, v223
	v_mul_f32_e32 v4, v169, v105
	v_fma_f32 v5, v166, v102, -v5
	v_fmac_f32_e32 v227, v171, v106
	v_dual_add_f32 v2, v2, v6 :: v_dual_add_f32 v3, v3, v224
	v_mul_f32_e32 v6, v171, v107
	v_fma_f32 v4, v168, v104, -v4
	v_fmac_f32_e32 v228, v173, v108
	s_delay_alu instid0(VALU_DEP_4) | instskip(SKIP_4) | instid1(VALU_DEP_4)
	v_add_f32_e32 v2, v2, v5
	v_add_f32_e32 v3, v3, v225
	v_mul_f32_e32 v5, v173, v109
	v_fma_f32 v6, v170, v106, -v6
	v_dual_mul_f32 v230, v176, v113 :: v_dual_mul_f32 v231, v178, v115
	v_dual_add_f32 v2, v2, v4 :: v_dual_add_f32 v3, v3, v226
	v_mul_f32_e32 v4, v175, v111
	v_fma_f32 v5, v172, v108, -v5
	v_fmac_f32_e32 v229, v175, v110
	s_delay_alu instid0(VALU_DEP_4) | instskip(SKIP_3) | instid1(VALU_DEP_4)
	v_dual_add_f32 v2, v2, v6 :: v_dual_add_f32 v3, v3, v227
	v_mul_f32_e32 v6, v177, v113
	v_fma_f32 v4, v174, v110, -v4
	v_fmac_f32_e32 v230, v177, v112
	v_dual_add_f32 v2, v2, v5 :: v_dual_add_f32 v3, v3, v228
	v_dual_mul_f32 v5, v179, v115 :: v_dual_mul_f32 v232, v180, v117
	v_mul_f32_e32 v233, v182, v119
	s_delay_alu instid0(VALU_DEP_3) | instskip(SKIP_3) | instid1(VALU_DEP_4)
	v_dual_add_f32 v2, v2, v4 :: v_dual_add_f32 v3, v3, v229
	v_fma_f32 v6, v176, v112, -v6
	v_dual_mul_f32 v4, v181, v117 :: v_dual_fmac_f32 v231, v179, v114
	v_fma_f32 v5, v178, v114, -v5
	v_dual_add_f32 v3, v3, v230 :: v_dual_fmac_f32 v232, v181, v116
	s_delay_alu instid0(VALU_DEP_4) | instskip(SKIP_2) | instid1(VALU_DEP_4)
	v_add_f32_e32 v2, v2, v6
	v_mul_f32_e32 v6, v183, v119
	v_dual_mul_f32 v234, v184, v121 :: v_dual_mul_f32 v235, v186, v123
	v_add_f32_e32 v3, v3, v231
	v_fma_f32 v4, v180, v116, -v4
	v_dual_add_f32 v2, v2, v5 :: v_dual_fmac_f32 v233, v183, v118
	v_fma_f32 v6, v182, v118, -v6
	s_delay_alu instid0(VALU_DEP_4) | instskip(NEXT) | instid1(VALU_DEP_3)
	v_add_f32_e32 v3, v3, v232
	v_dual_mul_f32 v5, v185, v121 :: v_dual_add_f32 v2, v2, v4
	v_dual_fmac_f32 v234, v185, v120 :: v_dual_fmac_f32 v235, v187, v122
	s_delay_alu instid0(VALU_DEP_3)
	v_add_f32_e32 v3, v3, v233
	v_dual_mul_f32 v236, v188, v125 :: v_dual_mul_f32 v237, v190, v127
	v_mul_f32_e32 v4, v187, v123
	v_fma_f32 v5, v184, v120, -v5
	v_add_f32_e32 v2, v2, v6
	v_dual_mul_f32 v6, v189, v125 :: v_dual_add_f32 v3, v3, v234
	s_delay_alu instid0(VALU_DEP_4) | instskip(SKIP_1) | instid1(VALU_DEP_4)
	v_fma_f32 v4, v186, v122, -v4
	v_fmac_f32_e32 v236, v189, v124
	v_dual_add_f32 v2, v2, v5 :: v_dual_mul_f32 v5, v191, v127
	s_delay_alu instid0(VALU_DEP_4) | instskip(SKIP_2) | instid1(VALU_DEP_4)
	v_dual_add_f32 v3, v3, v235 :: v_dual_mul_f32 v238, v192, v129
	v_mul_f32_e32 v239, v194, v131
	v_fma_f32 v6, v188, v124, -v6
	v_dual_add_f32 v2, v2, v4 :: v_dual_fmac_f32 v237, v191, v126
	s_delay_alu instid0(VALU_DEP_4) | instskip(SKIP_1) | instid1(VALU_DEP_3)
	v_dual_mul_f32 v4, v193, v129 :: v_dual_add_f32 v3, v3, v236
	v_fma_f32 v5, v190, v126, -v5
	v_add_f32_e32 v2, v2, v6
	v_dual_fmac_f32 v238, v193, v128 :: v_dual_fmac_f32 v239, v195, v130
	s_delay_alu instid0(VALU_DEP_4) | instskip(SKIP_3) | instid1(VALU_DEP_4)
	v_add_f32_e32 v3, v3, v237
	v_dual_mul_f32 v240, v196, v133 :: v_dual_mul_f32 v241, v198, v135
	v_mul_f32_e32 v6, v195, v131
	v_fma_f32 v4, v192, v128, -v4
	v_dual_add_f32 v2, v2, v5 :: v_dual_add_f32 v3, v3, v238
	v_mul_f32_e32 v5, v197, v133
	s_delay_alu instid0(VALU_DEP_4) | instskip(SKIP_1) | instid1(VALU_DEP_4)
	v_fma_f32 v6, v194, v130, -v6
	v_dual_fmac_f32 v240, v197, v132 :: v_dual_fmac_f32 v241, v199, v134
	v_dual_add_f32 v2, v2, v4 :: v_dual_add_f32 v3, v3, v239
	v_dual_mul_f32 v242, v200, v137 :: v_dual_mul_f32 v243, v202, v139
	v_mul_f32_e32 v4, v199, v135
	v_fma_f32 v5, v196, v132, -v5
	s_delay_alu instid0(VALU_DEP_4) | instskip(SKIP_1) | instid1(VALU_DEP_4)
	v_dual_add_f32 v2, v2, v6 :: v_dual_add_f32 v3, v3, v240
	v_mul_f32_e32 v6, v201, v137
	v_fma_f32 v4, v198, v134, -v4
	v_fmac_f32_e32 v242, v201, v136
	s_delay_alu instid0(VALU_DEP_4) | instskip(SKIP_4) | instid1(VALU_DEP_4)
	v_dual_add_f32 v2, v2, v5 :: v_dual_fmac_f32 v243, v203, v138
	v_add_f32_e32 v3, v3, v241
	v_dual_mul_f32 v245, v206, v143 :: v_dual_mul_f32 v246, v208, v145
	v_mul_f32_e32 v5, v203, v139
	v_fma_f32 v6, v200, v136, -v6
	v_dual_add_f32 v2, v2, v4 :: v_dual_add_f32 v3, v3, v242
	v_mul_f32_e32 v4, v205, v141
	s_delay_alu instid0(VALU_DEP_4) | instskip(SKIP_1) | instid1(VALU_DEP_4)
	v_fma_f32 v5, v202, v138, -v5
	v_dual_fmac_f32 v244, v205, v140 :: v_dual_fmac_f32 v245, v207, v142
	v_dual_add_f32 v3, v3, v243 :: v_dual_add_f32 v2, v2, v6
	s_delay_alu instid0(VALU_DEP_4) | instskip(SKIP_2) | instid1(VALU_DEP_4)
	v_fma_f32 v4, v204, v140, -v4
	v_mul_f32_e32 v6, v207, v143
	v_fmac_f32_e32 v247, v215, v210
	v_dual_add_f32 v3, v3, v244 :: v_dual_add_f32 v2, v2, v5
	v_fmac_f32_e32 v246, v209, v144
	v_mul_f32_e32 v5, v209, v145
	v_fma_f32 v6, v206, v142, -v6
	s_delay_alu instid0(VALU_DEP_4) | instskip(SKIP_1) | instid1(VALU_DEP_4)
	v_dual_add_f32 v3, v3, v245 :: v_dual_add_f32 v2, v2, v4
	v_mul_f32_e32 v4, v215, v211
	v_fma_f32 v5, v208, v144, -v5
	s_delay_alu instid0(VALU_DEP_2) | instskip(NEXT) | instid1(VALU_DEP_4)
	v_fma_f32 v4, v214, v210, -v4
	v_add_f32_e32 v3, v3, v246
	s_delay_alu instid0(VALU_DEP_1) | instskip(SKIP_1) | instid1(VALU_DEP_1)
	v_dual_add_f32 v3, v3, v247 :: v_dual_add_f32 v2, v2, v6
	s_wait_loadcnt 0x0
	v_dual_sub_f32 v3, v213, v3 :: v_dual_add_f32 v2, v2, v5
	s_delay_alu instid0(VALU_DEP_1) | instskip(NEXT) | instid1(VALU_DEP_1)
	v_add_f32_e32 v2, v2, v4
	v_sub_f32_e32 v2, v212, v2
	scratch_store_b64 off, v[2:3], off offset:40
	v_cmpx_lt_u32_e32 4, v0
	s_cbranch_execz .LBB38_239
; %bb.238:
	scratch_load_b64 v[3:4], off, off offset:32
	v_mov_b32_e32 v2, v1
	scratch_store_b64 off, v[1:2], off offset:32
	s_wait_loadcnt 0x0
	ds_store_b64 v23, v[3:4]
.LBB38_239:
	s_wait_alu 0xfffe
	s_or_b32 exec_lo, exec_lo, s0
	s_wait_storecnt_dscnt 0x0
	s_barrier_signal -1
	s_barrier_wait -1
	global_inv scope:SCOPE_SE
	s_clause 0x11
	scratch_load_b128 v[2:5], off, off offset:40
	scratch_load_b128 v[6:9], off, off offset:56
	;; [unrolled: 1-line block ×17, first 2 shown]
	scratch_load_b64 v[218:219], off, off offset:32
	ds_load_2addr_b64 v[150:153], v1 offset0:45 offset1:46
	ds_load_2addr_b64 v[154:157], v1 offset0:47 offset1:48
	;; [unrolled: 1-line block ×17, first 2 shown]
	s_mov_b32 s0, exec_lo
	s_wait_loadcnt_dscnt 0x1110
	v_dual_mul_f32 v1, v150, v3 :: v_dual_mul_f32 v22, v152, v5
	v_mul_f32_e32 v3, v151, v3
	s_wait_loadcnt_dscnt 0x100f
	v_dual_mul_f32 v5, v153, v5 :: v_dual_mul_f32 v220, v154, v7
	s_delay_alu instid0(VALU_DEP_3) | instskip(NEXT) | instid1(VALU_DEP_3)
	v_dual_mul_f32 v221, v156, v9 :: v_dual_fmac_f32 v22, v153, v4
	v_fma_f32 v3, v150, v2, -v3
	v_fmac_f32_e32 v1, v151, v2
	v_mul_f32_e32 v2, v155, v7
	v_fma_f32 v4, v152, v4, -v5
	s_delay_alu instid0(VALU_DEP_4)
	v_dual_fmac_f32 v220, v155, v6 :: v_dual_add_f32 v3, 0, v3
	s_wait_loadcnt_dscnt 0xd0c
	v_dual_mul_f32 v226, v166, v19 :: v_dual_mul_f32 v227, v168, v21
	v_fma_f32 v2, v154, v6, -v2
	v_dual_mul_f32 v222, v158, v11 :: v_dual_mul_f32 v223, v160, v13
	v_add_f32_e32 v3, v3, v4
	v_dual_mul_f32 v5, v157, v9 :: v_dual_mul_f32 v224, v162, v15
	v_dual_mul_f32 v225, v164, v17 :: v_dual_mul_f32 v4, v159, v11
	s_delay_alu instid0(VALU_DEP_3) | instskip(NEXT) | instid1(VALU_DEP_3)
	v_add_f32_e32 v2, v3, v2
	v_fma_f32 v5, v156, v8, -v5
	v_dual_mul_f32 v3, v161, v13 :: v_dual_fmac_f32 v226, v167, v18
	s_delay_alu instid0(VALU_DEP_4) | instskip(SKIP_1) | instid1(VALU_DEP_4)
	v_fma_f32 v4, v158, v10, -v4
	v_dual_fmac_f32 v221, v157, v8 :: v_dual_fmac_f32 v222, v159, v10
	v_add_f32_e32 v2, v2, v5
	v_add_f32_e32 v1, 0, v1
	v_fma_f32 v3, v160, v12, -v3
	v_fmac_f32_e32 v224, v163, v14
	s_wait_loadcnt_dscnt 0xc0b
	v_dual_mul_f32 v228, v170, v103 :: v_dual_mul_f32 v229, v172, v105
	v_dual_add_f32 v1, v1, v22 :: v_dual_add_f32 v2, v2, v4
	v_mul_f32_e32 v4, v165, v17
	s_wait_loadcnt_dscnt 0xa09
	v_dual_mul_f32 v232, v178, v111 :: v_dual_mul_f32 v233, v180, v113
	s_delay_alu instid0(VALU_DEP_3) | instskip(NEXT) | instid1(VALU_DEP_3)
	v_dual_add_f32 v1, v1, v220 :: v_dual_add_f32 v2, v2, v3
	v_fma_f32 v4, v164, v16, -v4
	v_mul_f32_e32 v5, v163, v15
	v_dual_mul_f32 v230, v174, v107 :: v_dual_mul_f32 v231, v176, v109
	s_wait_loadcnt_dscnt 0x706
	v_dual_add_f32 v1, v1, v221 :: v_dual_mul_f32 v238, v190, v123
	v_mul_f32_e32 v239, v192, v125
	v_fma_f32 v5, v162, v14, -v5
	v_fmac_f32_e32 v223, v161, v12
	s_delay_alu instid0(VALU_DEP_4)
	v_add_f32_e32 v1, v1, v222
	v_fmac_f32_e32 v228, v171, v102
	v_dual_mul_f32 v234, v182, v115 :: v_dual_mul_f32 v235, v184, v117
	v_add_f32_e32 v2, v2, v5
	v_dual_fmac_f32 v230, v175, v106 :: v_dual_fmac_f32 v229, v173, v104
	v_dual_mul_f32 v236, v186, v119 :: v_dual_mul_f32 v237, v188, v121
	s_delay_alu instid0(VALU_DEP_3) | instskip(SKIP_2) | instid1(VALU_DEP_4)
	v_add_f32_e32 v2, v2, v4
	v_mul_f32_e32 v4, v171, v103
	v_add_f32_e32 v1, v1, v223
	v_dual_fmac_f32 v231, v177, v108 :: v_dual_fmac_f32 v236, v187, v118
	s_wait_loadcnt_dscnt 0x403
	v_dual_mul_f32 v244, v202, v135 :: v_dual_mul_f32 v245, v204, v137
	v_fma_f32 v4, v170, v102, -v4
	v_mul_f32_e32 v5, v169, v21
	v_dual_add_f32 v1, v1, v224 :: v_dual_fmac_f32 v232, v179, v110
	v_dual_fmac_f32 v233, v181, v112 :: v_dual_mul_f32 v240, v194, v127
	v_mul_f32_e32 v241, v196, v129
	s_delay_alu instid0(VALU_DEP_4) | instskip(SKIP_4) | instid1(VALU_DEP_3)
	v_fma_f32 v5, v168, v20, -v5
	v_mul_f32_e32 v3, v167, v19
	s_wait_loadcnt_dscnt 0x302
	v_dual_mul_f32 v246, v206, v139 :: v_dual_mul_f32 v247, v208, v141
	v_dual_mul_f32 v242, v198, v131 :: v_dual_mul_f32 v243, v200, v133
	v_fma_f32 v3, v166, v18, -v3
	v_fmac_f32_e32 v225, v165, v16
	s_wait_loadcnt_dscnt 0x201
	v_dual_fmac_f32 v239, v193, v124 :: v_dual_mul_f32 v248, v210, v143
	s_delay_alu instid0(VALU_DEP_3) | instskip(SKIP_1) | instid1(VALU_DEP_3)
	v_dual_mul_f32 v249, v212, v145 :: v_dual_add_f32 v2, v2, v3
	v_mul_f32_e32 v3, v173, v105
	v_dual_fmac_f32 v241, v197, v128 :: v_dual_fmac_f32 v248, v211, v142
	s_wait_loadcnt_dscnt 0x100
	v_dual_mul_f32 v250, v214, v147 :: v_dual_mul_f32 v251, v216, v149
	v_dual_add_f32 v2, v2, v5 :: v_dual_mul_f32 v5, v175, v107
	v_fma_f32 v3, v172, v104, -v3
	v_fmac_f32_e32 v238, v191, v122
	v_fmac_f32_e32 v234, v183, v114
	s_delay_alu instid0(VALU_DEP_4) | instskip(SKIP_2) | instid1(VALU_DEP_3)
	v_dual_add_f32 v2, v2, v4 :: v_dual_add_f32 v1, v1, v225
	v_mul_f32_e32 v4, v177, v109
	v_fma_f32 v5, v174, v106, -v5
	v_dual_fmac_f32 v245, v205, v136 :: v_dual_add_f32 v2, v2, v3
	v_fmac_f32_e32 v227, v169, v20
	s_delay_alu instid0(VALU_DEP_4) | instskip(SKIP_1) | instid1(VALU_DEP_4)
	v_fma_f32 v4, v176, v108, -v4
	v_fmac_f32_e32 v247, v209, v140
	v_dual_fmac_f32 v249, v213, v144 :: v_dual_add_f32 v2, v2, v5
	v_mul_f32_e32 v5, v181, v113
	v_add_f32_e32 v1, v1, v226
	v_dual_fmac_f32 v251, v217, v148 :: v_dual_fmac_f32 v244, v203, v134
	s_delay_alu instid0(VALU_DEP_4) | instskip(NEXT) | instid1(VALU_DEP_4)
	v_add_f32_e32 v2, v2, v4
	v_fma_f32 v5, v180, v112, -v5
	v_mul_f32_e32 v3, v179, v111
	v_add_f32_e32 v1, v1, v227
	v_mul_f32_e32 v4, v183, v115
	v_fmac_f32_e32 v240, v195, v126
	v_fmac_f32_e32 v246, v207, v138
	v_fma_f32 v3, v178, v110, -v3
	v_add_f32_e32 v1, v1, v228
	v_fma_f32 v4, v182, v114, -v4
	v_fmac_f32_e32 v242, v199, v130
	v_fmac_f32_e32 v250, v215, v146
	v_add_f32_e32 v2, v2, v3
	s_delay_alu instid0(VALU_DEP_1) | instskip(SKIP_1) | instid1(VALU_DEP_2)
	v_add_f32_e32 v2, v2, v5
	v_add_f32_e32 v1, v1, v229
	v_dual_mul_f32 v5, v187, v119 :: v_dual_add_f32 v2, v2, v4
	v_mul_f32_e32 v4, v189, v121
	s_delay_alu instid0(VALU_DEP_2) | instskip(NEXT) | instid1(VALU_DEP_2)
	v_fma_f32 v5, v186, v118, -v5
	v_fma_f32 v4, v188, v120, -v4
	v_mul_f32_e32 v3, v185, v117
	s_delay_alu instid0(VALU_DEP_1) | instskip(NEXT) | instid1(VALU_DEP_1)
	v_fma_f32 v3, v184, v116, -v3
	v_dual_add_f32 v1, v1, v230 :: v_dual_add_f32 v2, v2, v3
	s_delay_alu instid0(VALU_DEP_1) | instskip(NEXT) | instid1(VALU_DEP_2)
	v_add_f32_e32 v1, v1, v231
	v_dual_mul_f32 v3, v191, v123 :: v_dual_add_f32 v2, v2, v5
	v_mul_f32_e32 v5, v193, v125
	s_delay_alu instid0(VALU_DEP_2) | instskip(NEXT) | instid1(VALU_DEP_3)
	v_fma_f32 v3, v190, v122, -v3
	v_add_f32_e32 v2, v2, v4
	v_dual_add_f32 v1, v1, v232 :: v_dual_mul_f32 v4, v195, v127
	s_delay_alu instid0(VALU_DEP_4) | instskip(NEXT) | instid1(VALU_DEP_2)
	v_fma_f32 v5, v192, v124, -v5
	v_dual_add_f32 v2, v2, v3 :: v_dual_add_f32 v1, v1, v233
	v_fmac_f32_e32 v235, v185, v116
	v_mul_f32_e32 v3, v197, v129
	v_fma_f32 v4, v194, v126, -v4
	s_delay_alu instid0(VALU_DEP_4) | instskip(SKIP_1) | instid1(VALU_DEP_4)
	v_dual_add_f32 v2, v2, v5 :: v_dual_add_f32 v1, v1, v234
	v_mul_f32_e32 v5, v199, v131
	v_fma_f32 v3, v196, v128, -v3
	s_delay_alu instid0(VALU_DEP_3) | instskip(SKIP_3) | instid1(VALU_DEP_4)
	v_dual_add_f32 v2, v2, v4 :: v_dual_add_f32 v1, v1, v235
	v_fmac_f32_e32 v237, v189, v120
	v_mul_f32_e32 v4, v201, v133
	v_fma_f32 v5, v198, v130, -v5
	v_dual_add_f32 v2, v2, v3 :: v_dual_add_f32 v1, v1, v236
	v_mul_f32_e32 v3, v203, v135
	s_delay_alu instid0(VALU_DEP_4) | instskip(NEXT) | instid1(VALU_DEP_3)
	v_fma_f32 v4, v200, v132, -v4
	v_add_f32_e32 v2, v2, v5
	s_delay_alu instid0(VALU_DEP_4) | instskip(SKIP_2) | instid1(VALU_DEP_3)
	v_add_f32_e32 v1, v1, v237
	v_mul_f32_e32 v5, v205, v137
	v_fma_f32 v3, v202, v134, -v3
	v_dual_add_f32 v2, v2, v4 :: v_dual_add_f32 v1, v1, v238
	v_mul_f32_e32 v4, v207, v139
	s_delay_alu instid0(VALU_DEP_4) | instskip(NEXT) | instid1(VALU_DEP_3)
	v_fma_f32 v5, v204, v136, -v5
	v_add_f32_e32 v2, v2, v3
	s_delay_alu instid0(VALU_DEP_4) | instskip(SKIP_2) | instid1(VALU_DEP_4)
	v_add_f32_e32 v1, v1, v239
	v_mul_f32_e32 v3, v209, v141
	v_fma_f32 v4, v206, v138, -v4
	v_dual_add_f32 v2, v2, v5 :: v_dual_mul_f32 v5, v211, v143
	s_delay_alu instid0(VALU_DEP_3) | instskip(NEXT) | instid1(VALU_DEP_2)
	v_fma_f32 v3, v208, v140, -v3
	v_add_f32_e32 v2, v2, v4
	v_add_f32_e32 v1, v1, v240
	v_mul_f32_e32 v4, v213, v145
	v_fma_f32 v5, v210, v142, -v5
	s_delay_alu instid0(VALU_DEP_3) | instskip(SKIP_3) | instid1(VALU_DEP_4)
	v_dual_add_f32 v2, v2, v3 :: v_dual_add_f32 v1, v1, v241
	v_fmac_f32_e32 v243, v201, v132
	v_mul_f32_e32 v3, v215, v147
	v_fma_f32 v4, v212, v144, -v4
	v_dual_add_f32 v2, v2, v5 :: v_dual_add_f32 v1, v1, v242
	v_mul_f32_e32 v5, v217, v149
	s_delay_alu instid0(VALU_DEP_4) | instskip(NEXT) | instid1(VALU_DEP_3)
	v_fma_f32 v3, v214, v146, -v3
	v_add_f32_e32 v2, v2, v4
	s_delay_alu instid0(VALU_DEP_3) | instskip(NEXT) | instid1(VALU_DEP_2)
	v_fma_f32 v4, v216, v148, -v5
	v_add_f32_e32 v2, v2, v3
	s_delay_alu instid0(VALU_DEP_1) | instskip(NEXT) | instid1(VALU_DEP_1)
	v_dual_add_f32 v1, v1, v243 :: v_dual_add_f32 v2, v2, v4
	v_add_f32_e32 v1, v1, v244
	s_delay_alu instid0(VALU_DEP_1) | instskip(NEXT) | instid1(VALU_DEP_1)
	v_add_f32_e32 v1, v1, v245
	v_add_f32_e32 v1, v1, v246
	s_delay_alu instid0(VALU_DEP_1) | instskip(NEXT) | instid1(VALU_DEP_1)
	v_add_f32_e32 v1, v1, v247
	;; [unrolled: 3-line block ×3, first 2 shown]
	v_add_f32_e32 v1, v1, v250
	s_delay_alu instid0(VALU_DEP_1) | instskip(SKIP_1) | instid1(VALU_DEP_1)
	v_add_f32_e32 v3, v1, v251
	s_wait_loadcnt 0x0
	v_dual_sub_f32 v1, v218, v2 :: v_dual_sub_f32 v2, v219, v3
	scratch_store_b64 off, v[1:2], off offset:32
	v_cmpx_lt_u32_e32 3, v0
	s_cbranch_execz .LBB38_241
; %bb.240:
	scratch_load_b64 v[1:2], off, off offset:24
	v_mov_b32_e32 v3, 0
	s_delay_alu instid0(VALU_DEP_1)
	v_mov_b32_e32 v4, v3
	scratch_store_b64 off, v[3:4], off offset:24
	s_wait_loadcnt 0x0
	ds_store_b64 v23, v[1:2]
.LBB38_241:
	s_wait_alu 0xfffe
	s_or_b32 exec_lo, exec_lo, s0
	s_wait_storecnt_dscnt 0x0
	s_barrier_signal -1
	s_barrier_wait -1
	global_inv scope:SCOPE_SE
	s_clause 0x4
	scratch_load_b128 v[5:8], off, off offset:32
	scratch_load_b128 v[1:4], off, off offset:48
	;; [unrolled: 1-line block ×5, first 2 shown]
	v_mov_b32_e32 v21, 0
	ds_load_b128 v[102:105], v21 offset:352
	ds_load_b128 v[106:109], v21 offset:368
	;; [unrolled: 1-line block ×3, first 2 shown]
	scratch_load_b64 v[114:115], off, off offset:24
	s_mov_b32 s0, exec_lo
	s_wait_loadcnt_dscnt 0x502
	v_mul_f32_e32 v22, v103, v6
	v_dual_mul_f32 v116, v102, v6 :: v_dual_mul_f32 v117, v104, v8
	v_mul_f32_e32 v6, v105, v8
	s_delay_alu instid0(VALU_DEP_3) | instskip(NEXT) | instid1(VALU_DEP_3)
	v_fma_f32 v22, v102, v5, -v22
	v_dual_fmac_f32 v116, v103, v5 :: v_dual_fmac_f32 v117, v105, v7
	s_wait_loadcnt_dscnt 0x401
	v_mul_f32_e32 v103, v106, v2
	v_fma_f32 v102, v104, v7, -v6
	ds_load_b128 v[5:8], v21 offset:400
	s_wait_loadcnt_dscnt 0x301
	v_dual_mul_f32 v104, v108, v4 :: v_dual_mul_f32 v105, v110, v10
	v_dual_mul_f32 v4, v109, v4 :: v_dual_fmac_f32 v103, v107, v1
	v_mul_f32_e32 v10, v111, v10
	s_delay_alu instid0(VALU_DEP_3)
	v_dual_mul_f32 v118, v112, v12 :: v_dual_fmac_f32 v105, v111, v9
	v_mul_f32_e32 v12, v113, v12
	v_mul_f32_e32 v2, v107, v2
	v_fmac_f32_e32 v104, v109, v3
	v_fma_f32 v107, v108, v3, -v4
	v_fma_f32 v108, v110, v9, -v10
	v_fmac_f32_e32 v118, v113, v11
	v_fma_f32 v109, v112, v11, -v12
	ds_load_b128 v[9:12], v21 offset:416
	s_wait_loadcnt_dscnt 0x201
	v_dual_mul_f32 v111, v7, v16 :: v_dual_mul_f32 v110, v5, v14
	v_mul_f32_e32 v14, v6, v14
	v_mul_f32_e32 v16, v8, v16
	s_delay_alu instid0(VALU_DEP_3)
	v_fmac_f32_e32 v111, v8, v15
	v_fma_f32 v106, v106, v1, -v2
	scratch_load_b128 v[1:4], off, off offset:112
	v_fmac_f32_e32 v110, v6, v13
	v_fma_f32 v13, v5, v13, -v14
	v_fma_f32 v14, v7, v15, -v16
	ds_load_b128 v[5:8], v21 offset:432
	s_wait_loadcnt_dscnt 0x201
	v_mul_f32_e32 v15, v9, v18
	v_mul_f32_e32 v16, v10, v18
	;; [unrolled: 1-line block ×3, first 2 shown]
	s_delay_alu instid0(VALU_DEP_3) | instskip(NEXT) | instid1(VALU_DEP_3)
	v_dual_mul_f32 v20, v12, v20 :: v_dual_fmac_f32 v15, v10, v17
	v_fma_f32 v16, v9, v17, -v16
	s_delay_alu instid0(VALU_DEP_3) | instskip(NEXT) | instid1(VALU_DEP_3)
	v_fmac_f32_e32 v18, v12, v19
	v_fma_f32 v17, v11, v19, -v20
	scratch_load_b128 v[9:12], off, off offset:128
	s_wait_loadcnt_dscnt 0x100
	v_mul_f32_e32 v19, v5, v2
	v_mul_f32_e32 v2, v6, v2
	;; [unrolled: 1-line block ×3, first 2 shown]
	s_delay_alu instid0(VALU_DEP_3) | instskip(NEXT) | instid1(VALU_DEP_3)
	v_dual_mul_f32 v4, v8, v4 :: v_dual_fmac_f32 v19, v6, v1
	v_fma_f32 v112, v5, v1, -v2
	s_delay_alu instid0(VALU_DEP_3) | instskip(NEXT) | instid1(VALU_DEP_3)
	v_fmac_f32_e32 v20, v8, v3
	v_fma_f32 v113, v7, v3, -v4
	ds_load_b128 v[1:4], v21 offset:448
	ds_load_b128 v[5:8], v21 offset:464
	s_wait_loadcnt_dscnt 0x1
	v_mul_f32_e32 v119, v1, v10
	v_mul_f32_e32 v10, v2, v10
	s_delay_alu instid0(VALU_DEP_2) | instskip(NEXT) | instid1(VALU_DEP_2)
	v_dual_mul_f32 v120, v3, v12 :: v_dual_fmac_f32 v119, v2, v9
	v_fma_f32 v121, v1, v9, -v10
	v_mul_f32_e32 v1, v4, v12
	s_delay_alu instid0(VALU_DEP_3) | instskip(NEXT) | instid1(VALU_DEP_2)
	v_fmac_f32_e32 v120, v4, v11
	v_fma_f32 v122, v3, v11, -v1
	s_clause 0x1
	scratch_load_b128 v[1:4], off, off offset:144
	scratch_load_b128 v[9:12], off, off offset:160
	s_wait_loadcnt_dscnt 0x100
	v_mul_f32_e32 v123, v5, v2
	v_dual_mul_f32 v2, v6, v2 :: v_dual_mul_f32 v125, v7, v4
	s_delay_alu instid0(VALU_DEP_2) | instskip(NEXT) | instid1(VALU_DEP_2)
	v_fmac_f32_e32 v123, v6, v1
	v_fma_f32 v124, v5, v1, -v2
	v_mul_f32_e32 v1, v8, v4
	s_delay_alu instid0(VALU_DEP_4) | instskip(NEXT) | instid1(VALU_DEP_2)
	v_fmac_f32_e32 v125, v8, v3
	v_fma_f32 v126, v7, v3, -v1
	ds_load_b128 v[1:4], v21 offset:480
	ds_load_b128 v[5:8], v21 offset:496
	s_wait_loadcnt_dscnt 0x1
	v_mul_f32_e32 v127, v1, v10
	v_mul_f32_e32 v129, v3, v12
	s_delay_alu instid0(VALU_DEP_2) | instskip(NEXT) | instid1(VALU_DEP_2)
	v_fmac_f32_e32 v127, v2, v9
	v_dual_mul_f32 v2, v2, v10 :: v_dual_fmac_f32 v129, v4, v11
	s_delay_alu instid0(VALU_DEP_1) | instskip(SKIP_1) | instid1(VALU_DEP_1)
	v_fma_f32 v128, v1, v9, -v2
	v_mul_f32_e32 v1, v4, v12
	v_fma_f32 v130, v3, v11, -v1
	s_clause 0x1
	scratch_load_b128 v[1:4], off, off offset:176
	scratch_load_b128 v[9:12], off, off offset:192
	s_wait_loadcnt_dscnt 0x100
	v_mul_f32_e32 v131, v5, v2
	v_dual_mul_f32 v133, v7, v4 :: v_dual_mul_f32 v2, v6, v2
	s_delay_alu instid0(VALU_DEP_2) | instskip(NEXT) | instid1(VALU_DEP_2)
	v_fmac_f32_e32 v131, v6, v1
	v_fmac_f32_e32 v133, v8, v3
	s_delay_alu instid0(VALU_DEP_3) | instskip(SKIP_1) | instid1(VALU_DEP_1)
	v_fma_f32 v132, v5, v1, -v2
	v_mul_f32_e32 v1, v8, v4
	v_fma_f32 v134, v7, v3, -v1
	ds_load_b128 v[1:4], v21 offset:512
	ds_load_b128 v[5:8], v21 offset:528
	s_wait_loadcnt_dscnt 0x1
	v_mul_f32_e32 v135, v1, v10
	v_mul_f32_e32 v137, v3, v12
	s_delay_alu instid0(VALU_DEP_2) | instskip(NEXT) | instid1(VALU_DEP_2)
	v_fmac_f32_e32 v135, v2, v9
	v_dual_mul_f32 v2, v2, v10 :: v_dual_fmac_f32 v137, v4, v11
	s_delay_alu instid0(VALU_DEP_1) | instskip(SKIP_1) | instid1(VALU_DEP_1)
	v_fma_f32 v136, v1, v9, -v2
	v_mul_f32_e32 v1, v4, v12
	v_fma_f32 v138, v3, v11, -v1
	s_clause 0x1
	scratch_load_b128 v[1:4], off, off offset:208
	scratch_load_b128 v[9:12], off, off offset:224
	s_wait_loadcnt_dscnt 0x100
	v_mul_f32_e32 v139, v5, v2
	v_mul_f32_e32 v2, v6, v2
	s_delay_alu instid0(VALU_DEP_1) | instskip(SKIP_1) | instid1(VALU_DEP_1)
	v_fma_f32 v140, v5, v1, -v2
	v_add_f32_e32 v2, 0, v116
	v_add_f32_e32 v2, v2, v117
	s_delay_alu instid0(VALU_DEP_1) | instskip(NEXT) | instid1(VALU_DEP_1)
	v_add_f32_e32 v2, v2, v103
	v_add_f32_e32 v2, v2, v104
	v_mul_f32_e32 v141, v7, v4
	v_fmac_f32_e32 v139, v6, v1
	s_delay_alu instid0(VALU_DEP_2) | instskip(NEXT) | instid1(VALU_DEP_1)
	v_dual_add_f32 v2, v2, v105 :: v_dual_fmac_f32 v141, v8, v3
	v_dual_add_f32 v2, v2, v118 :: v_dual_mul_f32 v1, v8, v4
	s_delay_alu instid0(VALU_DEP_1) | instskip(NEXT) | instid1(VALU_DEP_2)
	v_add_f32_e32 v2, v2, v110
	v_fma_f32 v142, v7, v3, -v1
	s_delay_alu instid0(VALU_DEP_2) | instskip(NEXT) | instid1(VALU_DEP_1)
	v_dual_add_f32 v1, 0, v22 :: v_dual_add_f32 v2, v2, v111
	v_dual_add_f32 v1, v1, v102 :: v_dual_add_f32 v2, v2, v15
	s_delay_alu instid0(VALU_DEP_1) | instskip(NEXT) | instid1(VALU_DEP_2)
	v_add_f32_e32 v1, v1, v106
	v_add_f32_e32 v5, v2, v18
	s_delay_alu instid0(VALU_DEP_2) | instskip(SKIP_2) | instid1(VALU_DEP_1)
	v_add_f32_e32 v1, v1, v107
	scratch_load_b64 v[106:107], off, off offset:304
	v_add_f32_e32 v1, v1, v108
	v_add_f32_e32 v1, v1, v109
	s_delay_alu instid0(VALU_DEP_1) | instskip(SKIP_1) | instid1(VALU_DEP_2)
	v_add_f32_e32 v1, v1, v13
	v_add_f32_e32 v13, v5, v19
	;; [unrolled: 1-line block ×3, first 2 shown]
	s_delay_alu instid0(VALU_DEP_2) | instskip(NEXT) | instid1(VALU_DEP_2)
	v_add_f32_e32 v13, v13, v20
	v_add_f32_e32 v1, v1, v16
	s_delay_alu instid0(VALU_DEP_2) | instskip(NEXT) | instid1(VALU_DEP_2)
	v_add_f32_e32 v13, v13, v119
	v_add_f32_e32 v1, v1, v17
	s_delay_alu instid0(VALU_DEP_2) | instskip(NEXT) | instid1(VALU_DEP_2)
	v_add_f32_e32 v18, v13, v120
	v_add_f32_e32 v6, v1, v112
	scratch_load_b128 v[1:4], off, off offset:240
	v_add_f32_e32 v18, v18, v123
	v_add_f32_e32 v14, v6, v113
	ds_load_b128 v[5:8], v21 offset:544
	v_add_f32_e32 v18, v18, v125
	v_add_f32_e32 v14, v14, v121
	s_delay_alu instid0(VALU_DEP_2) | instskip(NEXT) | instid1(VALU_DEP_2)
	v_add_f32_e32 v102, v18, v127
	v_add_f32_e32 v17, v14, v122
	ds_load_b128 v[13:16], v21 offset:560
	v_add_f32_e32 v102, v102, v129
	s_delay_alu instid0(VALU_DEP_1)
	v_add_f32_e32 v102, v102, v131
	s_wait_loadcnt_dscnt 0x201
	v_mul_f32_e32 v22, v5, v10
	v_mul_f32_e32 v10, v6, v10
	;; [unrolled: 1-line block ×4, first 2 shown]
	v_add_f32_e32 v102, v102, v133
	v_fmac_f32_e32 v22, v6, v9
	v_fma_f32 v111, v5, v9, -v10
	v_fmac_f32_e32 v110, v8, v11
	v_fma_f32 v112, v7, v11, -v12
	s_clause 0x1
	scratch_load_b128 v[5:8], off, off offset:256
	scratch_load_b128 v[9:12], off, off offset:272
	s_wait_loadcnt_dscnt 0x200
	v_mul_f32_e32 v116, v15, v4
	v_mul_f32_e32 v4, v16, v4
	v_add_f32_e32 v17, v17, v124
	v_mul_f32_e32 v113, v13, v2
	v_mul_f32_e32 v2, v14, v2
	v_fmac_f32_e32 v116, v16, v3
	v_fma_f32 v118, v15, v3, -v4
	v_add_f32_e32 v17, v17, v126
	s_delay_alu instid0(VALU_DEP_4) | instskip(SKIP_1) | instid1(VALU_DEP_3)
	v_fma_f32 v117, v13, v1, -v2
	v_add_f32_e32 v13, v102, v135
	v_add_f32_e32 v17, v17, v128
	s_delay_alu instid0(VALU_DEP_2) | instskip(NEXT) | instid1(VALU_DEP_2)
	v_add_f32_e32 v102, v13, v137
	v_add_f32_e32 v103, v17, v130
	scratch_load_b128 v[17:20], off, off offset:288
	v_add_f32_e32 v109, v102, v139
	s_delay_alu instid0(VALU_DEP_1) | instskip(NEXT) | instid1(VALU_DEP_1)
	v_dual_add_f32 v103, v103, v132 :: v_dual_add_f32 v120, v109, v141
	v_add_f32_e32 v103, v103, v134
	s_delay_alu instid0(VALU_DEP_1)
	v_dual_add_f32 v22, v120, v22 :: v_dual_add_f32 v103, v103, v136
	v_fmac_f32_e32 v113, v14, v1
	ds_load_b128 v[1:4], v21 offset:576
	v_add_f32_e32 v22, v22, v110
	v_add_f32_e32 v14, v103, v138
	ds_load_b128 v[102:105], v21 offset:608
	v_add_f32_e32 v22, v22, v113
	v_add_f32_e32 v108, v14, v140
	ds_load_b128 v[13:16], v21 offset:592
	v_dual_add_f32 v22, v22, v116 :: v_dual_add_f32 v119, v108, v142
	ds_load_b64 v[108:109], v21 offset:624
	v_add_f32_e32 v111, v119, v111
	s_wait_loadcnt_dscnt 0x203
	v_mul_f32_e32 v119, v1, v6
	v_mul_f32_e32 v6, v2, v6
	;; [unrolled: 1-line block ×3, first 2 shown]
	v_add_f32_e32 v111, v111, v112
	s_delay_alu instid0(VALU_DEP_4) | instskip(NEXT) | instid1(VALU_DEP_4)
	v_dual_mul_f32 v8, v4, v8 :: v_dual_fmac_f32 v119, v2, v5
	v_fma_f32 v1, v1, v5, -v6
	s_delay_alu instid0(VALU_DEP_4)
	v_fmac_f32_e32 v110, v4, v7
	s_wait_loadcnt_dscnt 0x101
	v_dual_mul_f32 v112, v13, v10 :: v_dual_add_f32 v111, v111, v117
	v_fma_f32 v2, v3, v7, -v8
	v_dual_add_f32 v4, v22, v119 :: v_dual_mul_f32 v113, v15, v12
	s_wait_dscnt 0x0
	s_delay_alu instid0(VALU_DEP_3) | instskip(SKIP_1) | instid1(VALU_DEP_2)
	v_dual_mul_f32 v116, v108, v107 :: v_dual_add_f32 v111, v111, v118
	v_dual_mul_f32 v5, v16, v12 :: v_dual_fmac_f32 v112, v14, v9
	v_dual_fmac_f32 v113, v16, v11 :: v_dual_fmac_f32 v116, v109, v106
	s_delay_alu instid0(VALU_DEP_3) | instskip(NEXT) | instid1(VALU_DEP_3)
	v_add_f32_e32 v1, v111, v1
	v_fma_f32 v5, v15, v11, -v5
	s_delay_alu instid0(VALU_DEP_2) | instskip(SKIP_3) | instid1(VALU_DEP_2)
	v_add_f32_e32 v1, v1, v2
	s_wait_loadcnt 0x0
	v_dual_mul_f32 v117, v102, v18 :: v_dual_mul_f32 v118, v104, v20
	v_mul_f32_e32 v3, v14, v10
	v_dual_fmac_f32 v117, v103, v17 :: v_dual_fmac_f32 v118, v105, v19
	s_delay_alu instid0(VALU_DEP_2) | instskip(SKIP_2) | instid1(VALU_DEP_2)
	v_fma_f32 v3, v13, v9, -v3
	v_add_f32_e32 v2, v4, v110
	v_mul_f32_e32 v4, v103, v18
	v_dual_add_f32 v2, v2, v112 :: v_dual_add_f32 v1, v1, v3
	v_mul_f32_e32 v3, v105, v20
	s_delay_alu instid0(VALU_DEP_3) | instskip(NEXT) | instid1(VALU_DEP_3)
	v_fma_f32 v4, v102, v17, -v4
	v_add_f32_e32 v2, v2, v113
	s_delay_alu instid0(VALU_DEP_3) | instskip(NEXT) | instid1(VALU_DEP_2)
	v_fma_f32 v3, v104, v19, -v3
	v_add_f32_e32 v2, v2, v117
	s_delay_alu instid0(VALU_DEP_1) | instskip(NEXT) | instid1(VALU_DEP_1)
	v_dual_add_f32 v1, v1, v5 :: v_dual_add_f32 v2, v2, v118
	v_dual_mul_f32 v5, v109, v107 :: v_dual_add_f32 v2, v2, v116
	s_delay_alu instid0(VALU_DEP_2) | instskip(NEXT) | instid1(VALU_DEP_2)
	v_add_f32_e32 v1, v1, v4
	v_fma_f32 v4, v108, v106, -v5
	s_delay_alu instid0(VALU_DEP_2) | instskip(NEXT) | instid1(VALU_DEP_1)
	v_dual_sub_f32 v2, v115, v2 :: v_dual_add_f32 v1, v1, v3
	v_add_f32_e32 v1, v1, v4
	s_delay_alu instid0(VALU_DEP_1)
	v_sub_f32_e32 v1, v114, v1
	scratch_store_b64 off, v[1:2], off offset:24
	v_cmpx_lt_u32_e32 2, v0
	s_cbranch_execz .LBB38_243
; %bb.242:
	scratch_load_b64 v[1:2], off, off offset:16
	v_mov_b32_e32 v22, v21
	scratch_store_b64 off, v[21:22], off offset:16
	s_wait_loadcnt 0x0
	ds_store_b64 v23, v[1:2]
.LBB38_243:
	s_wait_alu 0xfffe
	s_or_b32 exec_lo, exec_lo, s0
	s_wait_storecnt_dscnt 0x0
	s_barrier_signal -1
	s_barrier_wait -1
	global_inv scope:SCOPE_SE
	s_clause 0x4
	scratch_load_b128 v[5:8], off, off offset:24
	scratch_load_b128 v[1:4], off, off offset:40
	;; [unrolled: 1-line block ×5, first 2 shown]
	ds_load_2addr_b64 v[102:105], v21 offset0:43 offset1:44
	ds_load_2addr_b64 v[106:109], v21 offset0:45 offset1:46
	;; [unrolled: 1-line block ×3, first 2 shown]
	scratch_load_b64 v[114:115], off, off offset:16
	s_mov_b32 s0, exec_lo
	s_wait_loadcnt_dscnt 0x502
	v_dual_mul_f32 v22, v103, v6 :: v_dual_mul_f32 v117, v104, v8
	v_mul_f32_e32 v116, v102, v6
	v_mul_f32_e32 v6, v105, v8
	s_wait_loadcnt_dscnt 0x300
	v_mul_f32_e32 v118, v112, v12
	v_fma_f32 v22, v102, v5, -v22
	v_dual_fmac_f32 v117, v105, v7 :: v_dual_fmac_f32 v116, v103, v5
	v_mul_f32_e32 v105, v110, v10
	v_mul_f32_e32 v103, v106, v2
	v_fma_f32 v102, v104, v7, -v6
	ds_load_2addr_b64 v[5:8], v21 offset0:49 offset1:50
	v_mul_f32_e32 v104, v108, v4
	v_dual_mul_f32 v4, v109, v4 :: v_dual_fmac_f32 v105, v111, v9
	v_mul_f32_e32 v10, v111, v10
	v_mul_f32_e32 v12, v113, v12
	;; [unrolled: 1-line block ×3, first 2 shown]
	v_dual_fmac_f32 v103, v107, v1 :: v_dual_fmac_f32 v104, v109, v3
	v_fma_f32 v107, v108, v3, -v4
	v_fma_f32 v108, v110, v9, -v10
	v_fmac_f32_e32 v118, v113, v11
	v_fma_f32 v109, v112, v11, -v12
	ds_load_2addr_b64 v[9:12], v21 offset0:51 offset1:52
	s_wait_loadcnt_dscnt 0x201
	v_dual_mul_f32 v111, v7, v16 :: v_dual_mul_f32 v110, v5, v14
	s_delay_alu instid0(VALU_DEP_1)
	v_dual_mul_f32 v14, v6, v14 :: v_dual_fmac_f32 v111, v8, v15
	v_fma_f32 v106, v106, v1, -v2
	scratch_load_b128 v[1:4], off, off offset:104
	v_mul_f32_e32 v16, v8, v16
	v_fmac_f32_e32 v110, v6, v13
	v_fma_f32 v13, v5, v13, -v14
	s_delay_alu instid0(VALU_DEP_3)
	v_fma_f32 v14, v7, v15, -v16
	s_wait_loadcnt_dscnt 0x200
	v_mul_f32_e32 v15, v9, v18
	v_mul_f32_e32 v16, v10, v18
	;; [unrolled: 1-line block ×4, first 2 shown]
	ds_load_2addr_b64 v[5:8], v21 offset0:53 offset1:54
	v_fmac_f32_e32 v15, v10, v17
	v_fma_f32 v16, v9, v17, -v16
	v_fmac_f32_e32 v18, v12, v19
	v_fma_f32 v17, v11, v19, -v20
	scratch_load_b128 v[9:12], off, off offset:120
	s_wait_loadcnt_dscnt 0x100
	v_mul_f32_e32 v19, v5, v2
	v_mul_f32_e32 v2, v6, v2
	;; [unrolled: 1-line block ×3, first 2 shown]
	s_delay_alu instid0(VALU_DEP_3) | instskip(NEXT) | instid1(VALU_DEP_3)
	v_dual_mul_f32 v4, v8, v4 :: v_dual_fmac_f32 v19, v6, v1
	v_fma_f32 v112, v5, v1, -v2
	s_delay_alu instid0(VALU_DEP_3) | instskip(NEXT) | instid1(VALU_DEP_3)
	v_fmac_f32_e32 v20, v8, v3
	v_fma_f32 v113, v7, v3, -v4
	ds_load_2addr_b64 v[1:4], v21 offset0:55 offset1:56
	ds_load_2addr_b64 v[5:8], v21 offset0:57 offset1:58
	s_wait_loadcnt_dscnt 0x1
	v_mul_f32_e32 v119, v1, v10
	v_mul_f32_e32 v10, v2, v10
	s_delay_alu instid0(VALU_DEP_2) | instskip(NEXT) | instid1(VALU_DEP_2)
	v_dual_mul_f32 v120, v3, v12 :: v_dual_fmac_f32 v119, v2, v9
	v_fma_f32 v121, v1, v9, -v10
	v_mul_f32_e32 v1, v4, v12
	s_delay_alu instid0(VALU_DEP_3) | instskip(NEXT) | instid1(VALU_DEP_2)
	v_fmac_f32_e32 v120, v4, v11
	v_fma_f32 v122, v3, v11, -v1
	s_clause 0x1
	scratch_load_b128 v[1:4], off, off offset:136
	scratch_load_b128 v[9:12], off, off offset:152
	s_wait_loadcnt_dscnt 0x100
	v_mul_f32_e32 v123, v5, v2
	v_dual_mul_f32 v2, v6, v2 :: v_dual_mul_f32 v125, v7, v4
	s_delay_alu instid0(VALU_DEP_2) | instskip(NEXT) | instid1(VALU_DEP_2)
	v_fmac_f32_e32 v123, v6, v1
	v_fma_f32 v124, v5, v1, -v2
	v_mul_f32_e32 v1, v8, v4
	s_delay_alu instid0(VALU_DEP_4) | instskip(NEXT) | instid1(VALU_DEP_2)
	v_fmac_f32_e32 v125, v8, v3
	v_fma_f32 v126, v7, v3, -v1
	ds_load_2addr_b64 v[1:4], v21 offset0:59 offset1:60
	ds_load_2addr_b64 v[5:8], v21 offset0:61 offset1:62
	s_wait_loadcnt_dscnt 0x1
	v_mul_f32_e32 v127, v1, v10
	v_mul_f32_e32 v129, v3, v12
	s_delay_alu instid0(VALU_DEP_2) | instskip(NEXT) | instid1(VALU_DEP_2)
	v_fmac_f32_e32 v127, v2, v9
	v_dual_mul_f32 v2, v2, v10 :: v_dual_fmac_f32 v129, v4, v11
	s_delay_alu instid0(VALU_DEP_1) | instskip(SKIP_1) | instid1(VALU_DEP_1)
	v_fma_f32 v128, v1, v9, -v2
	v_mul_f32_e32 v1, v4, v12
	v_fma_f32 v130, v3, v11, -v1
	s_clause 0x1
	scratch_load_b128 v[1:4], off, off offset:168
	scratch_load_b128 v[9:12], off, off offset:184
	s_wait_loadcnt_dscnt 0x100
	v_mul_f32_e32 v131, v5, v2
	v_dual_mul_f32 v2, v6, v2 :: v_dual_mul_f32 v133, v7, v4
	s_delay_alu instid0(VALU_DEP_2) | instskip(NEXT) | instid1(VALU_DEP_2)
	v_fmac_f32_e32 v131, v6, v1
	v_fma_f32 v132, v5, v1, -v2
	v_mul_f32_e32 v1, v8, v4
	s_delay_alu instid0(VALU_DEP_4) | instskip(NEXT) | instid1(VALU_DEP_2)
	v_fmac_f32_e32 v133, v8, v3
	v_fma_f32 v134, v7, v3, -v1
	ds_load_2addr_b64 v[1:4], v21 offset0:63 offset1:64
	ds_load_2addr_b64 v[5:8], v21 offset0:65 offset1:66
	s_wait_loadcnt_dscnt 0x1
	v_mul_f32_e32 v135, v1, v10
	v_mul_f32_e32 v137, v3, v12
	s_delay_alu instid0(VALU_DEP_2) | instskip(NEXT) | instid1(VALU_DEP_2)
	v_fmac_f32_e32 v135, v2, v9
	v_dual_mul_f32 v2, v2, v10 :: v_dual_fmac_f32 v137, v4, v11
	s_delay_alu instid0(VALU_DEP_1) | instskip(SKIP_1) | instid1(VALU_DEP_1)
	v_fma_f32 v136, v1, v9, -v2
	v_mul_f32_e32 v1, v4, v12
	;; [unrolled: 25-line block ×3, first 2 shown]
	v_fma_f32 v146, v3, v11, -v1
	s_clause 0x1
	scratch_load_b128 v[1:4], off, off offset:232
	scratch_load_b128 v[9:12], off, off offset:248
	s_wait_loadcnt_dscnt 0x100
	v_mul_f32_e32 v147, v5, v2
	v_mul_f32_e32 v2, v6, v2
	s_delay_alu instid0(VALU_DEP_1) | instskip(SKIP_1) | instid1(VALU_DEP_1)
	v_fma_f32 v148, v5, v1, -v2
	v_add_f32_e32 v2, 0, v116
	v_add_f32_e32 v2, v2, v117
	s_delay_alu instid0(VALU_DEP_1) | instskip(NEXT) | instid1(VALU_DEP_1)
	v_add_f32_e32 v2, v2, v103
	v_add_f32_e32 v2, v2, v104
	s_delay_alu instid0(VALU_DEP_1) | instskip(NEXT) | instid1(VALU_DEP_1)
	v_add_f32_e32 v2, v2, v105
	v_add_f32_e32 v2, v2, v118
	s_delay_alu instid0(VALU_DEP_1) | instskip(NEXT) | instid1(VALU_DEP_1)
	v_add_f32_e32 v2, v2, v110
	v_add_f32_e32 v2, v2, v111
	s_delay_alu instid0(VALU_DEP_1) | instskip(SKIP_1) | instid1(VALU_DEP_2)
	v_add_f32_e32 v2, v2, v15
	v_fmac_f32_e32 v147, v6, v1
	v_dual_mul_f32 v149, v7, v4 :: v_dual_add_f32 v2, v2, v18
	s_delay_alu instid0(VALU_DEP_1) | instskip(NEXT) | instid1(VALU_DEP_1)
	v_dual_mul_f32 v1, v8, v4 :: v_dual_add_f32 v2, v2, v19
	v_fma_f32 v150, v7, v3, -v1
	v_add_f32_e32 v1, 0, v22
	s_delay_alu instid0(VALU_DEP_3) | instskip(NEXT) | instid1(VALU_DEP_2)
	v_dual_fmac_f32 v149, v8, v3 :: v_dual_add_f32 v2, v2, v20
	v_add_f32_e32 v1, v1, v102
	s_delay_alu instid0(VALU_DEP_2) | instskip(NEXT) | instid1(VALU_DEP_2)
	v_add_f32_e32 v5, v2, v119
	v_add_f32_e32 v1, v1, v106
	s_delay_alu instid0(VALU_DEP_2) | instskip(NEXT) | instid1(VALU_DEP_2)
	v_add_f32_e32 v5, v5, v120
	;; [unrolled: 3-line block ×3, first 2 shown]
	v_add_f32_e32 v1, v1, v108
	s_delay_alu instid0(VALU_DEP_1) | instskip(NEXT) | instid1(VALU_DEP_1)
	v_add_f32_e32 v1, v1, v109
	v_add_f32_e32 v1, v1, v13
	s_delay_alu instid0(VALU_DEP_1) | instskip(SKIP_1) | instid1(VALU_DEP_1)
	v_add_f32_e32 v1, v1, v14
	v_add_f32_e32 v14, v5, v125
	;; [unrolled: 1-line block ×3, first 2 shown]
	s_delay_alu instid0(VALU_DEP_1) | instskip(NEXT) | instid1(VALU_DEP_1)
	v_dual_add_f32 v14, v14, v129 :: v_dual_add_f32 v1, v1, v16
	v_add_f32_e32 v1, v1, v17
	s_delay_alu instid0(VALU_DEP_1) | instskip(NEXT) | instid1(VALU_DEP_1)
	v_add_f32_e32 v1, v1, v112
	v_add_f32_e32 v1, v1, v113
	s_delay_alu instid0(VALU_DEP_1) | instskip(NEXT) | instid1(VALU_DEP_1)
	v_add_f32_e32 v1, v1, v121
	v_add_f32_e32 v6, v1, v122
	ds_load_2addr_b64 v[1:4], v21 offset0:71 offset1:72
	v_add_f32_e32 v6, v6, v124
	s_delay_alu instid0(VALU_DEP_1)
	v_add_f32_e32 v13, v6, v126
	ds_load_2addr_b64 v[5:8], v21 offset0:73 offset1:74
	s_wait_loadcnt_dscnt 0x1
	v_mul_f32_e32 v22, v1, v10
	v_mul_f32_e32 v106, v3, v12
	;; [unrolled: 1-line block ×4, first 2 shown]
	s_delay_alu instid0(VALU_DEP_4) | instskip(NEXT) | instid1(VALU_DEP_4)
	v_fmac_f32_e32 v22, v2, v9
	v_fmac_f32_e32 v106, v4, v11
	s_delay_alu instid0(VALU_DEP_4) | instskip(NEXT) | instid1(VALU_DEP_4)
	v_fma_f32 v107, v1, v9, -v10
	v_fma_f32 v108, v3, v11, -v12
	s_clause 0x1
	scratch_load_b128 v[1:4], off, off offset:264
	scratch_load_b128 v[9:12], off, off offset:280
	v_add_f32_e32 v13, v13, v128
	v_add_f32_e32 v17, v14, v131
	s_delay_alu instid0(VALU_DEP_1) | instskip(SKIP_3) | instid1(VALU_DEP_2)
	v_add_f32_e32 v17, v17, v133
	s_wait_loadcnt_dscnt 0x100
	v_mul_f32_e32 v111, v7, v4
	v_mul_f32_e32 v4, v8, v4
	v_fmac_f32_e32 v111, v8, v3
	v_add_f32_e32 v13, v13, v130
	s_delay_alu instid0(VALU_DEP_3) | instskip(NEXT) | instid1(VALU_DEP_2)
	v_fma_f32 v3, v7, v3, -v4
	v_add_f32_e32 v13, v13, v132
	s_delay_alu instid0(VALU_DEP_1) | instskip(SKIP_2) | instid1(VALU_DEP_1)
	v_add_f32_e32 v18, v13, v134
	scratch_load_b128 v[13:16], off, off offset:296
	v_dual_add_f32 v17, v17, v135 :: v_dual_add_f32 v18, v18, v136
	v_dual_add_f32 v17, v17, v137 :: v_dual_add_f32 v18, v18, v138
	s_delay_alu instid0(VALU_DEP_1)
	v_dual_add_f32 v103, v17, v139 :: v_dual_add_f32 v102, v18, v140
	ds_load_2addr_b64 v[17:20], v21 offset0:75 offset1:76
	v_dual_add_f32 v110, v103, v141 :: v_dual_add_f32 v109, v102, v142
	ds_load_2addr_b64 v[102:105], v21 offset0:77 offset1:78
	v_add_f32_e32 v21, v109, v144
	v_dual_add_f32 v109, v110, v143 :: v_dual_mul_f32 v110, v5, v2
	v_mul_f32_e32 v2, v6, v2
	s_delay_alu instid0(VALU_DEP_2) | instskip(NEXT) | instid1(VALU_DEP_2)
	v_dual_add_f32 v21, v21, v146 :: v_dual_fmac_f32 v110, v6, v1
	v_fma_f32 v2, v5, v1, -v2
	s_delay_alu instid0(VALU_DEP_2) | instskip(SKIP_3) | instid1(VALU_DEP_3)
	v_add_f32_e32 v21, v21, v148
	s_wait_loadcnt_dscnt 0x101
	v_mul_f32_e32 v112, v17, v10
	v_dual_add_f32 v109, v109, v145 :: v_dual_mul_f32 v6, v18, v10
	v_dual_mul_f32 v4, v20, v12 :: v_dual_add_f32 v21, v21, v150
	s_delay_alu instid0(VALU_DEP_2) | instskip(NEXT) | instid1(VALU_DEP_2)
	v_dual_fmac_f32 v112, v18, v9 :: v_dual_add_f32 v109, v109, v147
	v_fma_f32 v4, v19, v11, -v4
	s_delay_alu instid0(VALU_DEP_3) | instskip(NEXT) | instid1(VALU_DEP_3)
	v_add_f32_e32 v21, v21, v107
	v_add_f32_e32 v109, v109, v149
	s_delay_alu instid0(VALU_DEP_2) | instskip(NEXT) | instid1(VALU_DEP_2)
	v_add_f32_e32 v1, v21, v108
	v_add_f32_e32 v22, v109, v22
	s_delay_alu instid0(VALU_DEP_2) | instskip(NEXT) | instid1(VALU_DEP_2)
	v_add_f32_e32 v1, v1, v2
	v_add_f32_e32 v5, v22, v106
	v_mul_f32_e32 v113, v19, v12
	s_delay_alu instid0(VALU_DEP_3) | instskip(NEXT) | instid1(VALU_DEP_3)
	v_add_f32_e32 v1, v1, v3
	v_add_f32_e32 v2, v5, v110
	v_fma_f32 v5, v17, v9, -v6
	s_delay_alu instid0(VALU_DEP_4) | instskip(NEXT) | instid1(VALU_DEP_2)
	v_fmac_f32_e32 v113, v20, v11
	v_dual_add_f32 v2, v2, v111 :: v_dual_add_f32 v1, v1, v5
	s_delay_alu instid0(VALU_DEP_1) | instskip(NEXT) | instid1(VALU_DEP_1)
	v_add_f32_e32 v2, v2, v112
	v_dual_add_f32 v1, v1, v4 :: v_dual_add_f32 v2, v2, v113
	s_wait_loadcnt_dscnt 0x0
	v_mul_f32_e32 v116, v102, v14
	v_mul_f32_e32 v3, v103, v14
	v_mul_f32_e32 v107, v104, v16
	s_delay_alu instid0(VALU_DEP_3) | instskip(NEXT) | instid1(VALU_DEP_3)
	v_dual_mul_f32 v5, v105, v16 :: v_dual_fmac_f32 v116, v103, v13
	v_fma_f32 v3, v102, v13, -v3
	s_delay_alu instid0(VALU_DEP_3) | instskip(NEXT) | instid1(VALU_DEP_3)
	v_fmac_f32_e32 v107, v105, v15
	v_fma_f32 v4, v104, v15, -v5
	s_delay_alu instid0(VALU_DEP_3) | instskip(NEXT) | instid1(VALU_DEP_1)
	v_dual_add_f32 v2, v2, v116 :: v_dual_add_f32 v1, v1, v3
	v_dual_add_f32 v2, v2, v107 :: v_dual_add_f32 v1, v1, v4
	s_delay_alu instid0(VALU_DEP_1)
	v_dual_sub_f32 v2, v115, v2 :: v_dual_sub_f32 v1, v114, v1
	scratch_store_b64 off, v[1:2], off offset:16
	v_cmpx_lt_u32_e32 1, v0
	s_cbranch_execz .LBB38_245
; %bb.244:
	scratch_load_b64 v[1:2], off, off offset:8
	v_mov_b32_e32 v3, 0
	s_delay_alu instid0(VALU_DEP_1)
	v_mov_b32_e32 v4, v3
	scratch_store_b64 off, v[3:4], off offset:8
	s_wait_loadcnt 0x0
	ds_store_b64 v23, v[1:2]
.LBB38_245:
	s_wait_alu 0xfffe
	s_or_b32 exec_lo, exec_lo, s0
	s_wait_storecnt_dscnt 0x0
	s_barrier_signal -1
	s_barrier_wait -1
	global_inv scope:SCOPE_SE
	s_clause 0x4
	scratch_load_b128 v[5:8], off, off offset:16
	scratch_load_b128 v[1:4], off, off offset:32
	;; [unrolled: 1-line block ×5, first 2 shown]
	v_mov_b32_e32 v102, 0
	ds_load_b128 v[103:106], v102 offset:336
	ds_load_b128 v[107:110], v102 offset:352
	;; [unrolled: 1-line block ×3, first 2 shown]
	scratch_load_b64 v[21:22], off, off offset:8
	s_mov_b32 s0, exec_lo
	s_wait_loadcnt_dscnt 0x502
	v_mul_f32_e32 v115, v104, v6
	v_dual_mul_f32 v116, v103, v6 :: v_dual_mul_f32 v117, v105, v8
	v_mul_f32_e32 v6, v106, v8
	s_delay_alu instid0(VALU_DEP_3) | instskip(NEXT) | instid1(VALU_DEP_3)
	v_fma_f32 v103, v103, v5, -v115
	v_dual_fmac_f32 v116, v104, v5 :: v_dual_fmac_f32 v117, v106, v7
	s_delay_alu instid0(VALU_DEP_3)
	v_fma_f32 v104, v105, v7, -v6
	ds_load_b128 v[5:8], v102 offset:384
	s_wait_loadcnt_dscnt 0x402
	v_dual_mul_f32 v105, v107, v2 :: v_dual_mul_f32 v106, v109, v4
	s_wait_loadcnt_dscnt 0x301
	v_dual_mul_f32 v115, v111, v10 :: v_dual_mul_f32 v4, v110, v4
	v_mul_f32_e32 v10, v112, v10
	v_mul_f32_e32 v118, v113, v12
	;; [unrolled: 1-line block ×4, first 2 shown]
	v_dual_fmac_f32 v105, v108, v1 :: v_dual_fmac_f32 v106, v110, v3
	v_fma_f32 v108, v109, v3, -v4
	v_fmac_f32_e32 v115, v112, v9
	v_fma_f32 v109, v111, v9, -v10
	v_fmac_f32_e32 v118, v114, v11
	v_fma_f32 v110, v113, v11, -v12
	ds_load_b128 v[9:12], v102 offset:400
	s_wait_loadcnt_dscnt 0x201
	v_mul_f32_e32 v111, v5, v14
	v_mul_f32_e32 v14, v6, v14
	;; [unrolled: 1-line block ×3, first 2 shown]
	s_delay_alu instid0(VALU_DEP_3)
	v_dual_mul_f32 v16, v8, v16 :: v_dual_fmac_f32 v111, v6, v13
	v_fma_f32 v107, v107, v1, -v2
	scratch_load_b128 v[1:4], off, off offset:96
	v_fma_f32 v13, v5, v13, -v14
	v_fmac_f32_e32 v112, v8, v15
	v_fma_f32 v14, v7, v15, -v16
	ds_load_b128 v[5:8], v102 offset:416
	s_wait_loadcnt_dscnt 0x201
	v_mul_f32_e32 v15, v9, v18
	v_mul_f32_e32 v16, v10, v18
	;; [unrolled: 1-line block ×3, first 2 shown]
	s_delay_alu instid0(VALU_DEP_3) | instskip(NEXT) | instid1(VALU_DEP_3)
	v_dual_mul_f32 v20, v12, v20 :: v_dual_fmac_f32 v15, v10, v17
	v_fma_f32 v16, v9, v17, -v16
	s_delay_alu instid0(VALU_DEP_3) | instskip(NEXT) | instid1(VALU_DEP_3)
	v_fmac_f32_e32 v18, v12, v19
	v_fma_f32 v17, v11, v19, -v20
	scratch_load_b128 v[9:12], off, off offset:112
	s_wait_loadcnt_dscnt 0x100
	v_mul_f32_e32 v19, v5, v2
	v_mul_f32_e32 v2, v6, v2
	;; [unrolled: 1-line block ×3, first 2 shown]
	s_delay_alu instid0(VALU_DEP_3) | instskip(NEXT) | instid1(VALU_DEP_3)
	v_dual_mul_f32 v4, v8, v4 :: v_dual_fmac_f32 v19, v6, v1
	v_fma_f32 v113, v5, v1, -v2
	s_delay_alu instid0(VALU_DEP_3) | instskip(NEXT) | instid1(VALU_DEP_3)
	v_fmac_f32_e32 v20, v8, v3
	v_fma_f32 v114, v7, v3, -v4
	ds_load_b128 v[1:4], v102 offset:432
	ds_load_b128 v[5:8], v102 offset:448
	s_wait_loadcnt_dscnt 0x1
	v_mul_f32_e32 v119, v1, v10
	v_mul_f32_e32 v10, v2, v10
	s_delay_alu instid0(VALU_DEP_2) | instskip(NEXT) | instid1(VALU_DEP_2)
	v_dual_mul_f32 v120, v3, v12 :: v_dual_fmac_f32 v119, v2, v9
	v_fma_f32 v121, v1, v9, -v10
	v_mul_f32_e32 v1, v4, v12
	s_delay_alu instid0(VALU_DEP_3) | instskip(NEXT) | instid1(VALU_DEP_2)
	v_fmac_f32_e32 v120, v4, v11
	v_fma_f32 v122, v3, v11, -v1
	s_clause 0x1
	scratch_load_b128 v[1:4], off, off offset:128
	scratch_load_b128 v[9:12], off, off offset:144
	s_wait_loadcnt_dscnt 0x100
	v_mul_f32_e32 v123, v5, v2
	v_dual_mul_f32 v2, v6, v2 :: v_dual_mul_f32 v125, v7, v4
	s_delay_alu instid0(VALU_DEP_2) | instskip(NEXT) | instid1(VALU_DEP_2)
	v_fmac_f32_e32 v123, v6, v1
	v_fma_f32 v124, v5, v1, -v2
	v_mul_f32_e32 v1, v8, v4
	s_delay_alu instid0(VALU_DEP_4) | instskip(NEXT) | instid1(VALU_DEP_2)
	v_fmac_f32_e32 v125, v8, v3
	v_fma_f32 v126, v7, v3, -v1
	ds_load_b128 v[1:4], v102 offset:464
	ds_load_b128 v[5:8], v102 offset:480
	s_wait_loadcnt_dscnt 0x1
	v_mul_f32_e32 v127, v1, v10
	v_mul_f32_e32 v129, v3, v12
	s_delay_alu instid0(VALU_DEP_2) | instskip(NEXT) | instid1(VALU_DEP_2)
	v_fmac_f32_e32 v127, v2, v9
	v_dual_mul_f32 v2, v2, v10 :: v_dual_fmac_f32 v129, v4, v11
	s_delay_alu instid0(VALU_DEP_1) | instskip(SKIP_1) | instid1(VALU_DEP_1)
	v_fma_f32 v128, v1, v9, -v2
	v_mul_f32_e32 v1, v4, v12
	v_fma_f32 v130, v3, v11, -v1
	s_clause 0x1
	scratch_load_b128 v[1:4], off, off offset:160
	scratch_load_b128 v[9:12], off, off offset:176
	s_wait_loadcnt_dscnt 0x100
	v_mul_f32_e32 v131, v5, v2
	v_dual_mul_f32 v133, v7, v4 :: v_dual_mul_f32 v2, v6, v2
	s_delay_alu instid0(VALU_DEP_2) | instskip(NEXT) | instid1(VALU_DEP_2)
	v_fmac_f32_e32 v131, v6, v1
	v_fmac_f32_e32 v133, v8, v3
	s_delay_alu instid0(VALU_DEP_3) | instskip(SKIP_1) | instid1(VALU_DEP_1)
	v_fma_f32 v132, v5, v1, -v2
	v_mul_f32_e32 v1, v8, v4
	v_fma_f32 v134, v7, v3, -v1
	ds_load_b128 v[1:4], v102 offset:496
	ds_load_b128 v[5:8], v102 offset:512
	s_wait_loadcnt_dscnt 0x1
	v_mul_f32_e32 v135, v1, v10
	v_mul_f32_e32 v137, v3, v12
	s_delay_alu instid0(VALU_DEP_2) | instskip(NEXT) | instid1(VALU_DEP_2)
	v_fmac_f32_e32 v135, v2, v9
	v_dual_mul_f32 v2, v2, v10 :: v_dual_fmac_f32 v137, v4, v11
	s_delay_alu instid0(VALU_DEP_1) | instskip(SKIP_1) | instid1(VALU_DEP_1)
	v_fma_f32 v136, v1, v9, -v2
	v_mul_f32_e32 v1, v4, v12
	v_fma_f32 v138, v3, v11, -v1
	s_clause 0x1
	scratch_load_b128 v[1:4], off, off offset:192
	scratch_load_b128 v[9:12], off, off offset:208
	s_wait_loadcnt_dscnt 0x100
	v_mul_f32_e32 v139, v5, v2
	v_dual_mul_f32 v2, v6, v2 :: v_dual_mul_f32 v141, v7, v4
	s_delay_alu instid0(VALU_DEP_2) | instskip(NEXT) | instid1(VALU_DEP_2)
	v_fmac_f32_e32 v139, v6, v1
	v_fma_f32 v140, v5, v1, -v2
	v_mul_f32_e32 v1, v8, v4
	s_delay_alu instid0(VALU_DEP_4) | instskip(NEXT) | instid1(VALU_DEP_2)
	v_fmac_f32_e32 v141, v8, v3
	v_fma_f32 v142, v7, v3, -v1
	ds_load_b128 v[1:4], v102 offset:528
	ds_load_b128 v[5:8], v102 offset:544
	s_wait_loadcnt_dscnt 0x1
	v_mul_f32_e32 v143, v1, v10
	v_mul_f32_e32 v145, v3, v12
	s_delay_alu instid0(VALU_DEP_2) | instskip(NEXT) | instid1(VALU_DEP_2)
	v_fmac_f32_e32 v143, v2, v9
	v_dual_mul_f32 v2, v2, v10 :: v_dual_fmac_f32 v145, v4, v11
	s_delay_alu instid0(VALU_DEP_1) | instskip(SKIP_1) | instid1(VALU_DEP_1)
	v_fma_f32 v144, v1, v9, -v2
	v_mul_f32_e32 v1, v4, v12
	v_fma_f32 v146, v3, v11, -v1
	s_clause 0x1
	scratch_load_b128 v[1:4], off, off offset:224
	scratch_load_b128 v[9:12], off, off offset:240
	s_wait_loadcnt_dscnt 0x100
	v_mul_f32_e32 v147, v5, v2
	v_mul_f32_e32 v2, v6, v2
	s_delay_alu instid0(VALU_DEP_1) | instskip(SKIP_1) | instid1(VALU_DEP_1)
	v_fma_f32 v148, v5, v1, -v2
	v_add_f32_e32 v2, 0, v116
	v_add_f32_e32 v2, v2, v117
	s_delay_alu instid0(VALU_DEP_1) | instskip(NEXT) | instid1(VALU_DEP_1)
	v_add_f32_e32 v2, v2, v105
	v_add_f32_e32 v2, v2, v106
	s_delay_alu instid0(VALU_DEP_1) | instskip(NEXT) | instid1(VALU_DEP_1)
	;; [unrolled: 3-line block ×4, first 2 shown]
	v_dual_add_f32 v2, v2, v15 :: v_dual_mul_f32 v149, v7, v4
	v_add_f32_e32 v2, v2, v18
	s_delay_alu instid0(VALU_DEP_1) | instskip(NEXT) | instid1(VALU_DEP_3)
	v_add_f32_e32 v2, v2, v19
	v_fmac_f32_e32 v149, v8, v3
	v_fmac_f32_e32 v147, v6, v1
	s_delay_alu instid0(VALU_DEP_3) | instskip(NEXT) | instid1(VALU_DEP_1)
	v_add_f32_e32 v2, v2, v20
	v_add_f32_e32 v5, v2, v119
	s_delay_alu instid0(VALU_DEP_1) | instskip(NEXT) | instid1(VALU_DEP_1)
	v_add_f32_e32 v5, v5, v120
	v_add_f32_e32 v5, v5, v123
	v_mul_f32_e32 v1, v8, v4
	s_delay_alu instid0(VALU_DEP_1) | instskip(SKIP_1) | instid1(VALU_DEP_1)
	v_fma_f32 v150, v7, v3, -v1
	v_add_f32_e32 v1, 0, v103
	v_add_f32_e32 v1, v1, v104
	s_delay_alu instid0(VALU_DEP_1) | instskip(NEXT) | instid1(VALU_DEP_1)
	v_add_f32_e32 v1, v1, v107
	v_add_f32_e32 v1, v1, v108
	scratch_load_b64 v[107:108], off, off offset:304
	v_add_f32_e32 v1, v1, v109
	s_delay_alu instid0(VALU_DEP_1) | instskip(NEXT) | instid1(VALU_DEP_1)
	v_add_f32_e32 v1, v1, v110
	v_add_f32_e32 v1, v1, v13
	s_delay_alu instid0(VALU_DEP_1) | instskip(SKIP_1) | instid1(VALU_DEP_1)
	v_add_f32_e32 v1, v1, v14
	v_add_f32_e32 v14, v5, v125
	v_dual_add_f32 v1, v1, v16 :: v_dual_add_f32 v14, v14, v127
	s_delay_alu instid0(VALU_DEP_1) | instskip(NEXT) | instid1(VALU_DEP_2)
	v_add_f32_e32 v1, v1, v17
	v_add_f32_e32 v14, v14, v129
	s_delay_alu instid0(VALU_DEP_2) | instskip(NEXT) | instid1(VALU_DEP_2)
	v_add_f32_e32 v1, v1, v113
	v_add_f32_e32 v17, v14, v131
	s_delay_alu instid0(VALU_DEP_2) | instskip(NEXT) | instid1(VALU_DEP_2)
	v_add_f32_e32 v1, v1, v114
	v_add_f32_e32 v17, v17, v133
	s_delay_alu instid0(VALU_DEP_2) | instskip(NEXT) | instid1(VALU_DEP_1)
	v_add_f32_e32 v1, v1, v121
	v_add_f32_e32 v6, v1, v122
	ds_load_b128 v[1:4], v102 offset:560
	v_dual_add_f32 v17, v17, v135 :: v_dual_add_f32 v6, v6, v124
	s_delay_alu instid0(VALU_DEP_1) | instskip(NEXT) | instid1(VALU_DEP_2)
	v_add_f32_e32 v17, v17, v137
	v_add_f32_e32 v13, v6, v126
	ds_load_b128 v[5:8], v102 offset:576
	s_wait_loadcnt_dscnt 0x101
	v_mul_f32_e32 v111, v1, v10
	v_mul_f32_e32 v10, v2, v10
	;; [unrolled: 1-line block ×3, first 2 shown]
	v_dual_mul_f32 v12, v4, v12 :: v_dual_add_f32 v17, v17, v139
	s_delay_alu instid0(VALU_DEP_4) | instskip(NEXT) | instid1(VALU_DEP_4)
	v_fmac_f32_e32 v111, v2, v9
	v_fma_f32 v113, v1, v9, -v10
	s_delay_alu instid0(VALU_DEP_4) | instskip(NEXT) | instid1(VALU_DEP_4)
	v_fmac_f32_e32 v112, v4, v11
	v_fma_f32 v114, v3, v11, -v12
	s_clause 0x1
	scratch_load_b128 v[1:4], off, off offset:256
	scratch_load_b128 v[9:12], off, off offset:272
	v_add_f32_e32 v103, v17, v141
	s_delay_alu instid0(VALU_DEP_1) | instskip(SKIP_2) | instid1(VALU_DEP_1)
	v_add_f32_e32 v110, v103, v143
	ds_load_b128 v[103:106], v102 offset:608
	v_add_f32_e32 v116, v110, v145
	v_add_f32_e32 v116, v116, v147
	s_delay_alu instid0(VALU_DEP_1) | instskip(NEXT) | instid1(VALU_DEP_1)
	v_add_f32_e32 v116, v116, v149
	v_add_f32_e32 v111, v116, v111
	s_delay_alu instid0(VALU_DEP_1) | instskip(SKIP_3) | instid1(VALU_DEP_2)
	v_add_f32_e32 v111, v111, v112
	s_wait_loadcnt_dscnt 0x101
	v_dual_mul_f32 v117, v5, v2 :: v_dual_mul_f32 v118, v7, v4
	v_dual_add_f32 v13, v13, v128 :: v_dual_mul_f32 v2, v6, v2
	v_dual_mul_f32 v4, v8, v4 :: v_dual_fmac_f32 v117, v6, v1
	s_delay_alu instid0(VALU_DEP_2) | instskip(NEXT) | instid1(VALU_DEP_3)
	v_dual_fmac_f32 v118, v8, v3 :: v_dual_add_f32 v13, v13, v130
	v_fma_f32 v2, v5, v1, -v2
	s_delay_alu instid0(VALU_DEP_3) | instskip(NEXT) | instid1(VALU_DEP_3)
	v_fma_f32 v1, v7, v3, -v4
	v_dual_add_f32 v4, v111, v117 :: v_dual_add_f32 v13, v13, v132
	s_delay_alu instid0(VALU_DEP_1) | instskip(SKIP_2) | instid1(VALU_DEP_1)
	v_add_f32_e32 v18, v13, v134
	scratch_load_b128 v[13:16], off, off offset:288
	v_add_f32_e32 v18, v18, v136
	v_add_f32_e32 v18, v18, v138
	s_delay_alu instid0(VALU_DEP_1) | instskip(NEXT) | instid1(VALU_DEP_1)
	v_add_f32_e32 v18, v18, v140
	v_add_f32_e32 v18, v18, v142
	s_delay_alu instid0(VALU_DEP_1) | instskip(SKIP_4) | instid1(VALU_DEP_2)
	v_add_f32_e32 v109, v18, v144
	ds_load_b128 v[17:20], v102 offset:592
	s_wait_loadcnt_dscnt 0x100
	v_dual_mul_f32 v3, v18, v10 :: v_dual_mul_f32 v116, v19, v12
	v_mul_f32_e32 v5, v20, v12
	v_fma_f32 v3, v17, v9, -v3
	s_delay_alu instid0(VALU_DEP_3) | instskip(NEXT) | instid1(VALU_DEP_3)
	v_fmac_f32_e32 v116, v20, v11
	v_fma_f32 v5, v19, v11, -v5
	s_wait_loadcnt 0x0
	v_mul_f32_e32 v119, v103, v14
	s_delay_alu instid0(VALU_DEP_1) | instskip(SKIP_4) | instid1(VALU_DEP_1)
	v_fmac_f32_e32 v119, v104, v13
	v_add_f32_e32 v115, v109, v146
	ds_load_b64 v[109:110], v102 offset:624
	s_wait_dscnt 0x0
	v_mul_f32_e32 v112, v109, v108
	v_dual_add_f32 v115, v115, v148 :: v_dual_fmac_f32 v112, v110, v107
	s_delay_alu instid0(VALU_DEP_1) | instskip(NEXT) | instid1(VALU_DEP_1)
	v_add_f32_e32 v115, v115, v150
	v_add_f32_e32 v113, v115, v113
	v_mul_f32_e32 v115, v17, v10
	s_delay_alu instid0(VALU_DEP_2) | instskip(NEXT) | instid1(VALU_DEP_2)
	v_add_f32_e32 v113, v113, v114
	v_dual_fmac_f32 v115, v18, v9 :: v_dual_mul_f32 v114, v105, v16
	s_delay_alu instid0(VALU_DEP_2) | instskip(NEXT) | instid1(VALU_DEP_2)
	v_add_f32_e32 v2, v113, v2
	v_fmac_f32_e32 v114, v106, v15
	s_delay_alu instid0(VALU_DEP_2) | instskip(NEXT) | instid1(VALU_DEP_1)
	v_dual_add_f32 v1, v2, v1 :: v_dual_add_f32 v2, v4, v118
	v_dual_mul_f32 v4, v104, v14 :: v_dual_add_f32 v1, v1, v3
	s_delay_alu instid0(VALU_DEP_2) | instskip(SKIP_1) | instid1(VALU_DEP_3)
	v_add_f32_e32 v2, v2, v115
	v_mul_f32_e32 v3, v106, v16
	v_fma_f32 v4, v103, v13, -v4
	s_delay_alu instid0(VALU_DEP_3) | instskip(SKIP_1) | instid1(VALU_DEP_4)
	v_dual_add_f32 v1, v1, v5 :: v_dual_add_f32 v2, v2, v116
	v_mul_f32_e32 v5, v110, v108
	v_fma_f32 v3, v105, v15, -v3
	s_delay_alu instid0(VALU_DEP_3) | instskip(NEXT) | instid1(VALU_DEP_3)
	v_dual_add_f32 v1, v1, v4 :: v_dual_add_f32 v2, v2, v119
	v_fma_f32 v4, v109, v107, -v5
	s_delay_alu instid0(VALU_DEP_2) | instskip(NEXT) | instid1(VALU_DEP_1)
	v_dual_add_f32 v1, v1, v3 :: v_dual_add_f32 v2, v2, v114
	v_add_f32_e32 v1, v1, v4
	s_delay_alu instid0(VALU_DEP_1) | instskip(NEXT) | instid1(VALU_DEP_1)
	v_dual_add_f32 v2, v2, v112 :: v_dual_sub_f32 v1, v21, v1
	v_sub_f32_e32 v2, v22, v2
	scratch_store_b64 off, v[1:2], off offset:8
	v_cmpx_ne_u32_e32 0, v0
	s_cbranch_execz .LBB38_247
; %bb.246:
	scratch_load_b64 v[0:1], off, off
	v_mov_b32_e32 v103, v102
	scratch_store_b64 off, v[102:103], off
	s_wait_loadcnt 0x0
	ds_store_b64 v23, v[0:1]
.LBB38_247:
	s_wait_alu 0xfffe
	s_or_b32 exec_lo, exec_lo, s0
	s_wait_storecnt_dscnt 0x0
	s_barrier_signal -1
	s_barrier_wait -1
	global_inv scope:SCOPE_SE
	s_clause 0x6
	scratch_load_b128 v[0:3], off, off offset:8
	scratch_load_b128 v[4:7], off, off offset:24
	;; [unrolled: 1-line block ×7, first 2 shown]
	ds_load_2addr_b64 v[107:110], v102 offset0:41 offset1:42
	ds_load_2addr_b64 v[111:114], v102 offset0:43 offset1:44
	scratch_load_b64 v[115:116], off, off
	s_and_b32 vcc_lo, exec_lo, s18
	s_wait_loadcnt_dscnt 0x701
	v_mul_f32_e32 v117, v108, v1
	v_dual_mul_f32 v118, v107, v1 :: v_dual_mul_f32 v119, v109, v3
	s_delay_alu instid0(VALU_DEP_1) | instskip(NEXT) | instid1(VALU_DEP_2)
	v_dual_mul_f32 v1, v110, v3 :: v_dual_fmac_f32 v118, v108, v0
	v_fmac_f32_e32 v119, v110, v2
	s_delay_alu instid0(VALU_DEP_2)
	v_fma_f32 v108, v109, v2, -v1
	s_wait_loadcnt_dscnt 0x600
	v_mul_f32_e32 v110, v113, v7
	v_fma_f32 v107, v107, v0, -v117
	ds_load_2addr_b64 v[0:3], v102 offset0:45 offset1:46
	v_mul_f32_e32 v109, v111, v5
	v_mul_f32_e32 v5, v112, v5
	;; [unrolled: 1-line block ×3, first 2 shown]
	s_delay_alu instid0(VALU_DEP_3) | instskip(NEXT) | instid1(VALU_DEP_3)
	v_dual_fmac_f32 v110, v114, v6 :: v_dual_fmac_f32 v109, v112, v4
	v_fma_f32 v111, v111, v4, -v5
	s_delay_alu instid0(VALU_DEP_3)
	v_fma_f32 v112, v113, v6, -v7
	ds_load_2addr_b64 v[4:7], v102 offset0:47 offset1:48
	s_wait_loadcnt_dscnt 0x501
	v_mul_f32_e32 v113, v0, v9
	v_dual_mul_f32 v9, v1, v9 :: v_dual_mul_f32 v114, v2, v11
	v_mul_f32_e32 v11, v3, v11
	s_delay_alu instid0(VALU_DEP_3) | instskip(NEXT) | instid1(VALU_DEP_3)
	v_fmac_f32_e32 v113, v1, v8
	v_fma_f32 v117, v0, v8, -v9
	s_delay_alu instid0(VALU_DEP_4) | instskip(NEXT) | instid1(VALU_DEP_4)
	v_fmac_f32_e32 v114, v3, v10
	v_fma_f32 v120, v2, v10, -v11
	ds_load_2addr_b64 v[0:3], v102 offset0:49 offset1:50
	s_wait_loadcnt_dscnt 0x401
	v_mul_f32_e32 v121, v4, v13
	v_dual_mul_f32 v8, v5, v13 :: v_dual_mul_f32 v13, v6, v15
	v_mul_f32_e32 v9, v7, v15
	s_delay_alu instid0(VALU_DEP_3) | instskip(NEXT) | instid1(VALU_DEP_3)
	v_fmac_f32_e32 v121, v5, v12
	v_fma_f32 v12, v4, v12, -v8
	s_delay_alu instid0(VALU_DEP_4) | instskip(NEXT) | instid1(VALU_DEP_4)
	v_fmac_f32_e32 v13, v7, v14
	;; [unrolled: 11-line block ×4, first 2 shown]
	v_fma_f32 v22, v6, v22, -v9
	ds_load_2addr_b64 v[4:7], v102 offset0:55 offset1:56
	s_wait_loadcnt_dscnt 0x101
	v_mul_f32_e32 v23, v0, v104
	v_mul_f32_e32 v8, v1, v104
	;; [unrolled: 1-line block ×4, first 2 shown]
	s_delay_alu instid0(VALU_DEP_4) | instskip(NEXT) | instid1(VALU_DEP_4)
	v_fmac_f32_e32 v23, v1, v103
	v_fma_f32 v103, v0, v103, -v8
	s_delay_alu instid0(VALU_DEP_4) | instskip(NEXT) | instid1(VALU_DEP_4)
	v_fmac_f32_e32 v104, v3, v105
	v_fma_f32 v105, v2, v105, -v9
	s_clause 0x1
	scratch_load_b128 v[0:3], off, off offset:120
	scratch_load_b128 v[8:11], off, off offset:136
	s_wait_loadcnt_dscnt 0x100
	v_mul_f32_e32 v106, v4, v1
	v_mul_f32_e32 v1, v5, v1
	s_delay_alu instid0(VALU_DEP_2) | instskip(NEXT) | instid1(VALU_DEP_2)
	v_dual_mul_f32 v123, v6, v3 :: v_dual_fmac_f32 v106, v5, v0
	v_fma_f32 v122, v4, v0, -v1
	v_mul_f32_e32 v0, v7, v3
	s_delay_alu instid0(VALU_DEP_3) | instskip(NEXT) | instid1(VALU_DEP_2)
	v_fmac_f32_e32 v123, v7, v2
	v_fma_f32 v124, v6, v2, -v0
	ds_load_2addr_b64 v[0:3], v102 offset0:57 offset1:58
	ds_load_2addr_b64 v[4:7], v102 offset0:59 offset1:60
	s_wait_loadcnt_dscnt 0x1
	v_mul_f32_e32 v125, v0, v9
	v_mul_f32_e32 v127, v2, v11
	s_delay_alu instid0(VALU_DEP_2) | instskip(SKIP_1) | instid1(VALU_DEP_3)
	v_fmac_f32_e32 v125, v1, v8
	v_mul_f32_e32 v1, v1, v9
	v_fmac_f32_e32 v127, v3, v10
	s_delay_alu instid0(VALU_DEP_2) | instskip(SKIP_1) | instid1(VALU_DEP_1)
	v_fma_f32 v126, v0, v8, -v1
	v_mul_f32_e32 v0, v3, v11
	v_fma_f32 v128, v2, v10, -v0
	s_clause 0x1
	scratch_load_b128 v[0:3], off, off offset:152
	scratch_load_b128 v[8:11], off, off offset:168
	s_wait_loadcnt_dscnt 0x100
	v_mul_f32_e32 v129, v4, v1
	v_mul_f32_e32 v1, v5, v1
	s_delay_alu instid0(VALU_DEP_2) | instskip(NEXT) | instid1(VALU_DEP_2)
	v_fmac_f32_e32 v129, v5, v0
	v_fma_f32 v130, v4, v0, -v1
	v_mul_f32_e32 v131, v6, v3
	v_mul_f32_e32 v0, v7, v3
	s_delay_alu instid0(VALU_DEP_2) | instskip(NEXT) | instid1(VALU_DEP_2)
	v_fmac_f32_e32 v131, v7, v2
	v_fma_f32 v132, v6, v2, -v0
	ds_load_2addr_b64 v[0:3], v102 offset0:61 offset1:62
	ds_load_2addr_b64 v[4:7], v102 offset0:63 offset1:64
	s_wait_loadcnt_dscnt 0x1
	v_mul_f32_e32 v133, v0, v9
	v_mul_f32_e32 v135, v2, v11
	s_delay_alu instid0(VALU_DEP_2) | instskip(SKIP_1) | instid1(VALU_DEP_3)
	v_fmac_f32_e32 v133, v1, v8
	v_mul_f32_e32 v1, v1, v9
	v_fmac_f32_e32 v135, v3, v10
	s_delay_alu instid0(VALU_DEP_2) | instskip(SKIP_1) | instid1(VALU_DEP_1)
	v_fma_f32 v134, v0, v8, -v1
	v_mul_f32_e32 v0, v3, v11
	v_fma_f32 v136, v2, v10, -v0
	s_clause 0x1
	scratch_load_b128 v[0:3], off, off offset:184
	scratch_load_b128 v[8:11], off, off offset:200
	s_wait_loadcnt_dscnt 0x100
	v_mul_f32_e32 v137, v4, v1
	v_mul_f32_e32 v1, v5, v1
	v_mul_f32_e32 v139, v6, v3
	s_delay_alu instid0(VALU_DEP_3) | instskip(NEXT) | instid1(VALU_DEP_3)
	v_fmac_f32_e32 v137, v5, v0
	v_fma_f32 v138, v4, v0, -v1
	v_mul_f32_e32 v0, v7, v3
	s_delay_alu instid0(VALU_DEP_4) | instskip(NEXT) | instid1(VALU_DEP_2)
	v_fmac_f32_e32 v139, v7, v2
	v_fma_f32 v140, v6, v2, -v0
	ds_load_2addr_b64 v[0:3], v102 offset0:65 offset1:66
	ds_load_2addr_b64 v[4:7], v102 offset0:67 offset1:68
	s_wait_loadcnt_dscnt 0x1
	v_mul_f32_e32 v141, v0, v9
	v_mul_f32_e32 v143, v2, v11
	s_delay_alu instid0(VALU_DEP_2) | instskip(SKIP_1) | instid1(VALU_DEP_3)
	v_fmac_f32_e32 v141, v1, v8
	v_mul_f32_e32 v1, v1, v9
	v_fmac_f32_e32 v143, v3, v10
	s_delay_alu instid0(VALU_DEP_2) | instskip(SKIP_1) | instid1(VALU_DEP_1)
	v_fma_f32 v142, v0, v8, -v1
	v_mul_f32_e32 v0, v3, v11
	v_fma_f32 v144, v2, v10, -v0
	s_clause 0x1
	scratch_load_b128 v[0:3], off, off offset:216
	scratch_load_b128 v[8:11], off, off offset:232
	s_wait_loadcnt_dscnt 0x100
	v_mul_f32_e32 v145, v4, v1
	v_mul_f32_e32 v1, v5, v1
	s_delay_alu instid0(VALU_DEP_2) | instskip(NEXT) | instid1(VALU_DEP_2)
	v_fmac_f32_e32 v145, v5, v0
	v_fma_f32 v146, v4, v0, -v1
	v_dual_mul_f32 v0, v7, v3 :: v_dual_add_f32 v1, 0, v118
	s_delay_alu instid0(VALU_DEP_1) | instskip(SKIP_1) | instid1(VALU_DEP_1)
	v_fma_f32 v148, v6, v2, -v0
	v_add_f32_e32 v0, 0, v107
	v_dual_add_f32 v1, v1, v119 :: v_dual_add_f32 v0, v0, v108
	s_delay_alu instid0(VALU_DEP_1) | instskip(NEXT) | instid1(VALU_DEP_1)
	v_dual_add_f32 v1, v1, v109 :: v_dual_add_f32 v0, v0, v111
	v_dual_add_f32 v1, v1, v110 :: v_dual_add_f32 v0, v0, v112
	s_delay_alu instid0(VALU_DEP_1) | instskip(NEXT) | instid1(VALU_DEP_1)
	v_add_f32_e32 v1, v1, v113
	v_dual_add_f32 v0, v0, v117 :: v_dual_add_f32 v1, v1, v114
	s_delay_alu instid0(VALU_DEP_1) | instskip(NEXT) | instid1(VALU_DEP_1)
	v_dual_add_f32 v0, v0, v120 :: v_dual_add_f32 v1, v1, v121
	v_dual_add_f32 v0, v0, v12 :: v_dual_add_f32 v1, v1, v13
	s_delay_alu instid0(VALU_DEP_1) | instskip(NEXT) | instid1(VALU_DEP_1)
	v_dual_add_f32 v0, v0, v14 :: v_dual_add_f32 v1, v1, v15
	;; [unrolled: 3-line block ×4, first 2 shown]
	v_dual_add_f32 v4, v0, v103 :: v_dual_add_f32 v5, v5, v104
	s_delay_alu instid0(VALU_DEP_1) | instskip(NEXT) | instid1(VALU_DEP_2)
	v_add_f32_e32 v4, v4, v105
	v_add_f32_e32 v12, v5, v106
	s_delay_alu instid0(VALU_DEP_2) | instskip(NEXT) | instid1(VALU_DEP_2)
	v_add_f32_e32 v4, v4, v122
	v_add_f32_e32 v12, v12, v123
	s_delay_alu instid0(VALU_DEP_2) | instskip(NEXT) | instid1(VALU_DEP_1)
	v_add_f32_e32 v13, v4, v124
	v_dual_add_f32 v12, v12, v125 :: v_dual_add_f32 v13, v13, v126
	s_delay_alu instid0(VALU_DEP_1) | instskip(NEXT) | instid1(VALU_DEP_1)
	v_dual_add_f32 v12, v12, v127 :: v_dual_add_f32 v13, v13, v128
	v_dual_add_f32 v12, v12, v129 :: v_dual_add_f32 v13, v13, v130
	s_delay_alu instid0(VALU_DEP_1) | instskip(SKIP_4) | instid1(VALU_DEP_1)
	v_dual_add_f32 v17, v12, v131 :: v_dual_add_f32 v16, v13, v132
	scratch_load_b128 v[12:15], off, off offset:280
	v_dual_add_f32 v20, v16, v134 :: v_dual_add_f32 v21, v17, v133
	scratch_load_b128 v[16:19], off, off offset:296
	v_add_f32_e32 v20, v20, v136
	v_add_f32_e32 v20, v20, v138
	s_delay_alu instid0(VALU_DEP_1) | instskip(NEXT) | instid1(VALU_DEP_1)
	v_dual_add_f32 v20, v20, v140 :: v_dual_add_f32 v21, v21, v135
	v_dual_add_f32 v104, v20, v142 :: v_dual_add_f32 v21, v21, v137
	s_delay_alu instid0(VALU_DEP_1) | instskip(NEXT) | instid1(VALU_DEP_2)
	v_add_f32_e32 v107, v104, v144
	v_add_f32_e32 v103, v21, v139
	ds_load_2addr_b64 v[20:23], v102 offset0:73 offset1:74
	v_add_f32_e32 v118, v107, v146
	v_add_f32_e32 v103, v103, v141
	ds_load_2addr_b64 v[107:110], v102 offset0:77 offset1:78
	v_dual_add_f32 v118, v118, v148 :: v_dual_add_f32 v117, v103, v143
	ds_load_2addr_b64 v[103:106], v102 offset0:75 offset1:76
	v_mul_f32_e32 v147, v6, v3
	s_delay_alu instid0(VALU_DEP_1)
	v_fmac_f32_e32 v147, v7, v2
	ds_load_2addr_b64 v[0:3], v102 offset0:69 offset1:70
	ds_load_2addr_b64 v[4:7], v102 offset0:71 offset1:72
	v_add_f32_e32 v102, v117, v145
	s_wait_loadcnt_dscnt 0x201
	v_mul_f32_e32 v111, v0, v9
	v_dual_mul_f32 v9, v1, v9 :: v_dual_mul_f32 v112, v2, v11
	v_mul_f32_e32 v11, v3, v11
	s_delay_alu instid0(VALU_DEP_3) | instskip(NEXT) | instid1(VALU_DEP_3)
	v_fmac_f32_e32 v111, v1, v8
	v_fma_f32 v113, v0, v8, -v9
	s_delay_alu instid0(VALU_DEP_4) | instskip(NEXT) | instid1(VALU_DEP_4)
	v_fmac_f32_e32 v112, v3, v10
	v_fma_f32 v114, v2, v10, -v11
	s_clause 0x1
	scratch_load_b128 v[0:3], off, off offset:248
	scratch_load_b128 v[8:11], off, off offset:264
	v_add_f32_e32 v113, v118, v113
	s_wait_loadcnt_dscnt 0x100
	v_mul_f32_e32 v117, v4, v1
	v_mul_f32_e32 v1, v5, v1
	;; [unrolled: 1-line block ×3, first 2 shown]
	s_wait_loadcnt 0x0
	v_dual_mul_f32 v3, v7, v3 :: v_dual_mul_f32 v118, v20, v9
	v_fmac_f32_e32 v117, v5, v0
	v_fma_f32 v0, v4, v0, -v1
	v_add_f32_e32 v4, v113, v114
	s_delay_alu instid0(VALU_DEP_4)
	v_fma_f32 v1, v6, v2, -v3
	v_fmac_f32_e32 v119, v7, v2
	v_mul_f32_e32 v7, v21, v9
	v_fmac_f32_e32 v118, v21, v8
	v_add_f32_e32 v0, v4, v0
	v_dual_mul_f32 v2, v103, v13 :: v_dual_mul_f32 v3, v105, v15
	s_delay_alu instid0(VALU_DEP_4) | instskip(SKIP_1) | instid1(VALU_DEP_4)
	v_fma_f32 v7, v20, v8, -v7
	v_mul_f32_e32 v6, v107, v17
	v_add_f32_e32 v0, v0, v1
	v_add_f32_e32 v102, v102, v147
	v_dual_fmac_f32 v2, v104, v12 :: v_dual_fmac_f32 v3, v106, v14
	v_mul_f32_e32 v9, v109, v19
	s_delay_alu instid0(VALU_DEP_4) | instskip(NEXT) | instid1(VALU_DEP_4)
	v_add_f32_e32 v0, v0, v7
	v_add_f32_e32 v102, v102, v111
	v_mul_f32_e32 v111, v22, v11
	v_dual_mul_f32 v7, v106, v15 :: v_dual_fmac_f32 v6, v108, v16
	v_fmac_f32_e32 v9, v110, v18
	s_delay_alu instid0(VALU_DEP_4) | instskip(NEXT) | instid1(VALU_DEP_4)
	v_add_f32_e32 v5, v102, v112
	v_fmac_f32_e32 v111, v23, v10
	s_delay_alu instid0(VALU_DEP_4) | instskip(NEXT) | instid1(VALU_DEP_3)
	v_fma_f32 v7, v105, v14, -v7
	v_dual_add_f32 v4, v5, v117 :: v_dual_mul_f32 v5, v23, v11
	s_delay_alu instid0(VALU_DEP_1) | instskip(SKIP_1) | instid1(VALU_DEP_3)
	v_add_f32_e32 v1, v4, v119
	v_mul_f32_e32 v4, v104, v13
	v_fma_f32 v5, v22, v10, -v5
	s_delay_alu instid0(VALU_DEP_3) | instskip(NEXT) | instid1(VALU_DEP_3)
	v_add_f32_e32 v1, v1, v118
	v_fma_f32 v4, v103, v12, -v4
	s_delay_alu instid0(VALU_DEP_3) | instskip(SKIP_1) | instid1(VALU_DEP_2)
	v_add_f32_e32 v0, v0, v5
	v_mul_f32_e32 v5, v108, v17
	v_dual_add_f32 v1, v1, v111 :: v_dual_add_f32 v0, v0, v4
	s_delay_alu instid0(VALU_DEP_2) | instskip(NEXT) | instid1(VALU_DEP_2)
	v_fma_f32 v4, v107, v16, -v5
	v_dual_add_f32 v1, v1, v2 :: v_dual_mul_f32 v2, v110, v19
	s_delay_alu instid0(VALU_DEP_3) | instskip(NEXT) | instid1(VALU_DEP_2)
	v_add_f32_e32 v0, v0, v7
	v_add_f32_e32 v1, v1, v3
	s_delay_alu instid0(VALU_DEP_3) | instskip(NEXT) | instid1(VALU_DEP_2)
	v_fma_f32 v2, v109, v18, -v2
	v_dual_add_f32 v0, v0, v4 :: v_dual_add_f32 v1, v1, v6
	s_delay_alu instid0(VALU_DEP_1) | instskip(NEXT) | instid1(VALU_DEP_1)
	v_dual_add_f32 v0, v0, v2 :: v_dual_add_f32 v1, v1, v9
	v_dual_sub_f32 v0, v115, v0 :: v_dual_sub_f32 v1, v116, v1
	scratch_store_b64 off, v[0:1], off
	s_wait_alu 0xfffe
	s_cbranch_vccz .LBB38_324
; %bb.248:
	v_mov_b32_e32 v0, 0
	global_load_b32 v1, v0, s[2:3] offset:148
	s_wait_loadcnt 0x0
	v_cmp_ne_u32_e32 vcc_lo, 38, v1
	s_cbranch_vccz .LBB38_250
; %bb.249:
	v_lshlrev_b32_e32 v1, 3, v1
	s_delay_alu instid0(VALU_DEP_1)
	v_mov_b32_e32 v5, v1
	scratch_load_b64 v[1:2], v5, off offset:-8
	scratch_load_b64 v[3:4], off, off offset:296
	s_wait_loadcnt 0x1
	scratch_store_b64 off, v[1:2], off offset:296
	s_wait_loadcnt 0x0
	scratch_store_b64 v5, v[3:4], off offset:-8
.LBB38_250:
	global_load_b32 v0, v0, s[2:3] offset:144
	s_wait_loadcnt 0x0
	v_cmp_eq_u32_e32 vcc_lo, 37, v0
	s_cbranch_vccnz .LBB38_252
; %bb.251:
	v_lshlrev_b32_e32 v0, 3, v0
	s_delay_alu instid0(VALU_DEP_1)
	v_mov_b32_e32 v4, v0
	scratch_load_b64 v[0:1], v4, off offset:-8
	scratch_load_b64 v[2:3], off, off offset:288
	s_wait_loadcnt 0x1
	scratch_store_b64 off, v[0:1], off offset:288
	s_wait_loadcnt 0x0
	scratch_store_b64 v4, v[2:3], off offset:-8
.LBB38_252:
	v_mov_b32_e32 v0, 0
	global_load_b32 v1, v0, s[2:3] offset:140
	s_wait_loadcnt 0x0
	v_cmp_eq_u32_e32 vcc_lo, 36, v1
	s_cbranch_vccnz .LBB38_254
; %bb.253:
	v_lshlrev_b32_e32 v1, 3, v1
	s_delay_alu instid0(VALU_DEP_1)
	v_mov_b32_e32 v5, v1
	scratch_load_b64 v[1:2], v5, off offset:-8
	scratch_load_b64 v[3:4], off, off offset:280
	s_wait_loadcnt 0x1
	scratch_store_b64 off, v[1:2], off offset:280
	s_wait_loadcnt 0x0
	scratch_store_b64 v5, v[3:4], off offset:-8
.LBB38_254:
	global_load_b32 v0, v0, s[2:3] offset:136
	s_wait_loadcnt 0x0
	v_cmp_eq_u32_e32 vcc_lo, 35, v0
	s_cbranch_vccnz .LBB38_256
; %bb.255:
	v_lshlrev_b32_e32 v0, 3, v0
	s_delay_alu instid0(VALU_DEP_1)
	v_mov_b32_e32 v4, v0
	scratch_load_b64 v[0:1], v4, off offset:-8
	scratch_load_b64 v[2:3], off, off offset:272
	s_wait_loadcnt 0x1
	scratch_store_b64 off, v[0:1], off offset:272
	s_wait_loadcnt 0x0
	scratch_store_b64 v4, v[2:3], off offset:-8
.LBB38_256:
	v_mov_b32_e32 v0, 0
	global_load_b32 v1, v0, s[2:3] offset:132
	s_wait_loadcnt 0x0
	v_cmp_eq_u32_e32 vcc_lo, 34, v1
	s_cbranch_vccnz .LBB38_258
; %bb.257:
	v_lshlrev_b32_e32 v1, 3, v1
	s_delay_alu instid0(VALU_DEP_1)
	v_mov_b32_e32 v5, v1
	scratch_load_b64 v[1:2], v5, off offset:-8
	scratch_load_b64 v[3:4], off, off offset:264
	s_wait_loadcnt 0x1
	scratch_store_b64 off, v[1:2], off offset:264
	s_wait_loadcnt 0x0
	scratch_store_b64 v5, v[3:4], off offset:-8
.LBB38_258:
	global_load_b32 v0, v0, s[2:3] offset:128
	s_wait_loadcnt 0x0
	v_cmp_eq_u32_e32 vcc_lo, 33, v0
	s_cbranch_vccnz .LBB38_260
; %bb.259:
	v_lshlrev_b32_e32 v0, 3, v0
	s_delay_alu instid0(VALU_DEP_1)
	v_mov_b32_e32 v4, v0
	scratch_load_b64 v[0:1], v4, off offset:-8
	scratch_load_b64 v[2:3], off, off offset:256
	s_wait_loadcnt 0x1
	scratch_store_b64 off, v[0:1], off offset:256
	s_wait_loadcnt 0x0
	scratch_store_b64 v4, v[2:3], off offset:-8
.LBB38_260:
	v_mov_b32_e32 v0, 0
	global_load_b32 v1, v0, s[2:3] offset:124
	s_wait_loadcnt 0x0
	v_cmp_eq_u32_e32 vcc_lo, 32, v1
	s_cbranch_vccnz .LBB38_262
; %bb.261:
	v_lshlrev_b32_e32 v1, 3, v1
	s_delay_alu instid0(VALU_DEP_1)
	v_mov_b32_e32 v5, v1
	scratch_load_b64 v[1:2], v5, off offset:-8
	scratch_load_b64 v[3:4], off, off offset:248
	s_wait_loadcnt 0x1
	scratch_store_b64 off, v[1:2], off offset:248
	s_wait_loadcnt 0x0
	scratch_store_b64 v5, v[3:4], off offset:-8
.LBB38_262:
	global_load_b32 v0, v0, s[2:3] offset:120
	s_wait_loadcnt 0x0
	v_cmp_eq_u32_e32 vcc_lo, 31, v0
	s_cbranch_vccnz .LBB38_264
; %bb.263:
	v_lshlrev_b32_e32 v0, 3, v0
	s_delay_alu instid0(VALU_DEP_1)
	v_mov_b32_e32 v4, v0
	scratch_load_b64 v[0:1], v4, off offset:-8
	scratch_load_b64 v[2:3], off, off offset:240
	s_wait_loadcnt 0x1
	scratch_store_b64 off, v[0:1], off offset:240
	s_wait_loadcnt 0x0
	scratch_store_b64 v4, v[2:3], off offset:-8
.LBB38_264:
	v_mov_b32_e32 v0, 0
	global_load_b32 v1, v0, s[2:3] offset:116
	s_wait_loadcnt 0x0
	v_cmp_eq_u32_e32 vcc_lo, 30, v1
	s_cbranch_vccnz .LBB38_266
; %bb.265:
	v_lshlrev_b32_e32 v1, 3, v1
	s_delay_alu instid0(VALU_DEP_1)
	v_mov_b32_e32 v5, v1
	scratch_load_b64 v[1:2], v5, off offset:-8
	scratch_load_b64 v[3:4], off, off offset:232
	s_wait_loadcnt 0x1
	scratch_store_b64 off, v[1:2], off offset:232
	s_wait_loadcnt 0x0
	scratch_store_b64 v5, v[3:4], off offset:-8
.LBB38_266:
	global_load_b32 v0, v0, s[2:3] offset:112
	s_wait_loadcnt 0x0
	v_cmp_eq_u32_e32 vcc_lo, 29, v0
	s_cbranch_vccnz .LBB38_268
; %bb.267:
	v_lshlrev_b32_e32 v0, 3, v0
	s_delay_alu instid0(VALU_DEP_1)
	v_mov_b32_e32 v4, v0
	scratch_load_b64 v[0:1], v4, off offset:-8
	scratch_load_b64 v[2:3], off, off offset:224
	s_wait_loadcnt 0x1
	scratch_store_b64 off, v[0:1], off offset:224
	s_wait_loadcnt 0x0
	scratch_store_b64 v4, v[2:3], off offset:-8
.LBB38_268:
	v_mov_b32_e32 v0, 0
	global_load_b32 v1, v0, s[2:3] offset:108
	s_wait_loadcnt 0x0
	v_cmp_eq_u32_e32 vcc_lo, 28, v1
	s_cbranch_vccnz .LBB38_270
; %bb.269:
	v_lshlrev_b32_e32 v1, 3, v1
	s_delay_alu instid0(VALU_DEP_1)
	v_mov_b32_e32 v5, v1
	scratch_load_b64 v[1:2], v5, off offset:-8
	scratch_load_b64 v[3:4], off, off offset:216
	s_wait_loadcnt 0x1
	scratch_store_b64 off, v[1:2], off offset:216
	s_wait_loadcnt 0x0
	scratch_store_b64 v5, v[3:4], off offset:-8
.LBB38_270:
	global_load_b32 v0, v0, s[2:3] offset:104
	s_wait_loadcnt 0x0
	v_cmp_eq_u32_e32 vcc_lo, 27, v0
	s_cbranch_vccnz .LBB38_272
; %bb.271:
	v_lshlrev_b32_e32 v0, 3, v0
	s_delay_alu instid0(VALU_DEP_1)
	v_mov_b32_e32 v4, v0
	scratch_load_b64 v[0:1], v4, off offset:-8
	scratch_load_b64 v[2:3], off, off offset:208
	s_wait_loadcnt 0x1
	scratch_store_b64 off, v[0:1], off offset:208
	s_wait_loadcnt 0x0
	scratch_store_b64 v4, v[2:3], off offset:-8
.LBB38_272:
	v_mov_b32_e32 v0, 0
	global_load_b32 v1, v0, s[2:3] offset:100
	s_wait_loadcnt 0x0
	v_cmp_eq_u32_e32 vcc_lo, 26, v1
	s_cbranch_vccnz .LBB38_274
; %bb.273:
	v_lshlrev_b32_e32 v1, 3, v1
	s_delay_alu instid0(VALU_DEP_1)
	v_mov_b32_e32 v5, v1
	scratch_load_b64 v[1:2], v5, off offset:-8
	scratch_load_b64 v[3:4], off, off offset:200
	s_wait_loadcnt 0x1
	scratch_store_b64 off, v[1:2], off offset:200
	s_wait_loadcnt 0x0
	scratch_store_b64 v5, v[3:4], off offset:-8
.LBB38_274:
	global_load_b32 v0, v0, s[2:3] offset:96
	s_wait_loadcnt 0x0
	v_cmp_eq_u32_e32 vcc_lo, 25, v0
	s_cbranch_vccnz .LBB38_276
; %bb.275:
	v_lshlrev_b32_e32 v0, 3, v0
	s_delay_alu instid0(VALU_DEP_1)
	v_mov_b32_e32 v4, v0
	scratch_load_b64 v[0:1], v4, off offset:-8
	scratch_load_b64 v[2:3], off, off offset:192
	s_wait_loadcnt 0x1
	scratch_store_b64 off, v[0:1], off offset:192
	s_wait_loadcnt 0x0
	scratch_store_b64 v4, v[2:3], off offset:-8
.LBB38_276:
	v_mov_b32_e32 v0, 0
	global_load_b32 v1, v0, s[2:3] offset:92
	s_wait_loadcnt 0x0
	v_cmp_eq_u32_e32 vcc_lo, 24, v1
	s_cbranch_vccnz .LBB38_278
; %bb.277:
	v_lshlrev_b32_e32 v1, 3, v1
	s_delay_alu instid0(VALU_DEP_1)
	v_mov_b32_e32 v5, v1
	scratch_load_b64 v[1:2], v5, off offset:-8
	scratch_load_b64 v[3:4], off, off offset:184
	s_wait_loadcnt 0x1
	scratch_store_b64 off, v[1:2], off offset:184
	s_wait_loadcnt 0x0
	scratch_store_b64 v5, v[3:4], off offset:-8
.LBB38_278:
	global_load_b32 v0, v0, s[2:3] offset:88
	s_wait_loadcnt 0x0
	v_cmp_eq_u32_e32 vcc_lo, 23, v0
	s_cbranch_vccnz .LBB38_280
; %bb.279:
	v_lshlrev_b32_e32 v0, 3, v0
	s_delay_alu instid0(VALU_DEP_1)
	v_mov_b32_e32 v4, v0
	scratch_load_b64 v[0:1], v4, off offset:-8
	scratch_load_b64 v[2:3], off, off offset:176
	s_wait_loadcnt 0x1
	scratch_store_b64 off, v[0:1], off offset:176
	s_wait_loadcnt 0x0
	scratch_store_b64 v4, v[2:3], off offset:-8
.LBB38_280:
	v_mov_b32_e32 v0, 0
	global_load_b32 v1, v0, s[2:3] offset:84
	s_wait_loadcnt 0x0
	v_cmp_eq_u32_e32 vcc_lo, 22, v1
	s_cbranch_vccnz .LBB38_282
; %bb.281:
	v_lshlrev_b32_e32 v1, 3, v1
	s_delay_alu instid0(VALU_DEP_1)
	v_mov_b32_e32 v5, v1
	scratch_load_b64 v[1:2], v5, off offset:-8
	scratch_load_b64 v[3:4], off, off offset:168
	s_wait_loadcnt 0x1
	scratch_store_b64 off, v[1:2], off offset:168
	s_wait_loadcnt 0x0
	scratch_store_b64 v5, v[3:4], off offset:-8
.LBB38_282:
	global_load_b32 v0, v0, s[2:3] offset:80
	s_wait_loadcnt 0x0
	v_cmp_eq_u32_e32 vcc_lo, 21, v0
	s_cbranch_vccnz .LBB38_284
; %bb.283:
	v_lshlrev_b32_e32 v0, 3, v0
	s_delay_alu instid0(VALU_DEP_1)
	v_mov_b32_e32 v4, v0
	scratch_load_b64 v[0:1], v4, off offset:-8
	scratch_load_b64 v[2:3], off, off offset:160
	s_wait_loadcnt 0x1
	scratch_store_b64 off, v[0:1], off offset:160
	s_wait_loadcnt 0x0
	scratch_store_b64 v4, v[2:3], off offset:-8
.LBB38_284:
	v_mov_b32_e32 v0, 0
	global_load_b32 v1, v0, s[2:3] offset:76
	s_wait_loadcnt 0x0
	v_cmp_eq_u32_e32 vcc_lo, 20, v1
	s_cbranch_vccnz .LBB38_286
; %bb.285:
	v_lshlrev_b32_e32 v1, 3, v1
	s_delay_alu instid0(VALU_DEP_1)
	v_mov_b32_e32 v5, v1
	scratch_load_b64 v[1:2], v5, off offset:-8
	scratch_load_b64 v[3:4], off, off offset:152
	s_wait_loadcnt 0x1
	scratch_store_b64 off, v[1:2], off offset:152
	s_wait_loadcnt 0x0
	scratch_store_b64 v5, v[3:4], off offset:-8
.LBB38_286:
	global_load_b32 v0, v0, s[2:3] offset:72
	s_wait_loadcnt 0x0
	v_cmp_eq_u32_e32 vcc_lo, 19, v0
	s_cbranch_vccnz .LBB38_288
; %bb.287:
	v_lshlrev_b32_e32 v0, 3, v0
	s_delay_alu instid0(VALU_DEP_1)
	v_mov_b32_e32 v4, v0
	scratch_load_b64 v[0:1], v4, off offset:-8
	scratch_load_b64 v[2:3], off, off offset:144
	s_wait_loadcnt 0x1
	scratch_store_b64 off, v[0:1], off offset:144
	s_wait_loadcnt 0x0
	scratch_store_b64 v4, v[2:3], off offset:-8
.LBB38_288:
	v_mov_b32_e32 v0, 0
	global_load_b32 v1, v0, s[2:3] offset:68
	s_wait_loadcnt 0x0
	v_cmp_eq_u32_e32 vcc_lo, 18, v1
	s_cbranch_vccnz .LBB38_290
; %bb.289:
	v_lshlrev_b32_e32 v1, 3, v1
	s_delay_alu instid0(VALU_DEP_1)
	v_mov_b32_e32 v5, v1
	scratch_load_b64 v[1:2], v5, off offset:-8
	scratch_load_b64 v[3:4], off, off offset:136
	s_wait_loadcnt 0x1
	scratch_store_b64 off, v[1:2], off offset:136
	s_wait_loadcnt 0x0
	scratch_store_b64 v5, v[3:4], off offset:-8
.LBB38_290:
	global_load_b32 v0, v0, s[2:3] offset:64
	s_wait_loadcnt 0x0
	v_cmp_eq_u32_e32 vcc_lo, 17, v0
	s_cbranch_vccnz .LBB38_292
; %bb.291:
	v_lshlrev_b32_e32 v0, 3, v0
	s_delay_alu instid0(VALU_DEP_1)
	v_mov_b32_e32 v4, v0
	scratch_load_b64 v[0:1], v4, off offset:-8
	scratch_load_b64 v[2:3], off, off offset:128
	s_wait_loadcnt 0x1
	scratch_store_b64 off, v[0:1], off offset:128
	s_wait_loadcnt 0x0
	scratch_store_b64 v4, v[2:3], off offset:-8
.LBB38_292:
	v_mov_b32_e32 v0, 0
	global_load_b32 v1, v0, s[2:3] offset:60
	s_wait_loadcnt 0x0
	v_cmp_eq_u32_e32 vcc_lo, 16, v1
	s_cbranch_vccnz .LBB38_294
; %bb.293:
	v_lshlrev_b32_e32 v1, 3, v1
	s_delay_alu instid0(VALU_DEP_1)
	v_mov_b32_e32 v5, v1
	scratch_load_b64 v[1:2], v5, off offset:-8
	scratch_load_b64 v[3:4], off, off offset:120
	s_wait_loadcnt 0x1
	scratch_store_b64 off, v[1:2], off offset:120
	s_wait_loadcnt 0x0
	scratch_store_b64 v5, v[3:4], off offset:-8
.LBB38_294:
	global_load_b32 v0, v0, s[2:3] offset:56
	s_wait_loadcnt 0x0
	v_cmp_eq_u32_e32 vcc_lo, 15, v0
	s_cbranch_vccnz .LBB38_296
; %bb.295:
	v_lshlrev_b32_e32 v0, 3, v0
	s_delay_alu instid0(VALU_DEP_1)
	v_mov_b32_e32 v4, v0
	scratch_load_b64 v[0:1], v4, off offset:-8
	scratch_load_b64 v[2:3], off, off offset:112
	s_wait_loadcnt 0x1
	scratch_store_b64 off, v[0:1], off offset:112
	s_wait_loadcnt 0x0
	scratch_store_b64 v4, v[2:3], off offset:-8
.LBB38_296:
	v_mov_b32_e32 v0, 0
	global_load_b32 v1, v0, s[2:3] offset:52
	s_wait_loadcnt 0x0
	v_cmp_eq_u32_e32 vcc_lo, 14, v1
	s_cbranch_vccnz .LBB38_298
; %bb.297:
	v_lshlrev_b32_e32 v1, 3, v1
	s_delay_alu instid0(VALU_DEP_1)
	v_mov_b32_e32 v5, v1
	scratch_load_b64 v[1:2], v5, off offset:-8
	scratch_load_b64 v[3:4], off, off offset:104
	s_wait_loadcnt 0x1
	scratch_store_b64 off, v[1:2], off offset:104
	s_wait_loadcnt 0x0
	scratch_store_b64 v5, v[3:4], off offset:-8
.LBB38_298:
	global_load_b32 v0, v0, s[2:3] offset:48
	s_wait_loadcnt 0x0
	v_cmp_eq_u32_e32 vcc_lo, 13, v0
	s_cbranch_vccnz .LBB38_300
; %bb.299:
	v_lshlrev_b32_e32 v0, 3, v0
	s_delay_alu instid0(VALU_DEP_1)
	v_mov_b32_e32 v4, v0
	scratch_load_b64 v[0:1], v4, off offset:-8
	scratch_load_b64 v[2:3], off, off offset:96
	s_wait_loadcnt 0x1
	scratch_store_b64 off, v[0:1], off offset:96
	s_wait_loadcnt 0x0
	scratch_store_b64 v4, v[2:3], off offset:-8
.LBB38_300:
	v_mov_b32_e32 v0, 0
	global_load_b32 v1, v0, s[2:3] offset:44
	s_wait_loadcnt 0x0
	v_cmp_eq_u32_e32 vcc_lo, 12, v1
	s_cbranch_vccnz .LBB38_302
; %bb.301:
	v_lshlrev_b32_e32 v1, 3, v1
	s_delay_alu instid0(VALU_DEP_1)
	v_mov_b32_e32 v5, v1
	scratch_load_b64 v[1:2], v5, off offset:-8
	scratch_load_b64 v[3:4], off, off offset:88
	s_wait_loadcnt 0x1
	scratch_store_b64 off, v[1:2], off offset:88
	s_wait_loadcnt 0x0
	scratch_store_b64 v5, v[3:4], off offset:-8
.LBB38_302:
	global_load_b32 v0, v0, s[2:3] offset:40
	s_wait_loadcnt 0x0
	v_cmp_eq_u32_e32 vcc_lo, 11, v0
	s_cbranch_vccnz .LBB38_304
; %bb.303:
	v_lshlrev_b32_e32 v0, 3, v0
	s_delay_alu instid0(VALU_DEP_1)
	v_mov_b32_e32 v4, v0
	scratch_load_b64 v[0:1], v4, off offset:-8
	scratch_load_b64 v[2:3], off, off offset:80
	s_wait_loadcnt 0x1
	scratch_store_b64 off, v[0:1], off offset:80
	s_wait_loadcnt 0x0
	scratch_store_b64 v4, v[2:3], off offset:-8
.LBB38_304:
	v_mov_b32_e32 v0, 0
	global_load_b32 v1, v0, s[2:3] offset:36
	s_wait_loadcnt 0x0
	v_cmp_eq_u32_e32 vcc_lo, 10, v1
	s_cbranch_vccnz .LBB38_306
; %bb.305:
	v_lshlrev_b32_e32 v1, 3, v1
	s_delay_alu instid0(VALU_DEP_1)
	v_mov_b32_e32 v5, v1
	scratch_load_b64 v[1:2], v5, off offset:-8
	scratch_load_b64 v[3:4], off, off offset:72
	s_wait_loadcnt 0x1
	scratch_store_b64 off, v[1:2], off offset:72
	s_wait_loadcnt 0x0
	scratch_store_b64 v5, v[3:4], off offset:-8
.LBB38_306:
	global_load_b32 v0, v0, s[2:3] offset:32
	s_wait_loadcnt 0x0
	v_cmp_eq_u32_e32 vcc_lo, 9, v0
	s_cbranch_vccnz .LBB38_308
; %bb.307:
	v_lshlrev_b32_e32 v0, 3, v0
	s_delay_alu instid0(VALU_DEP_1)
	v_mov_b32_e32 v4, v0
	scratch_load_b64 v[0:1], v4, off offset:-8
	scratch_load_b64 v[2:3], off, off offset:64
	s_wait_loadcnt 0x1
	scratch_store_b64 off, v[0:1], off offset:64
	s_wait_loadcnt 0x0
	scratch_store_b64 v4, v[2:3], off offset:-8
.LBB38_308:
	v_mov_b32_e32 v0, 0
	global_load_b32 v1, v0, s[2:3] offset:28
	s_wait_loadcnt 0x0
	v_cmp_eq_u32_e32 vcc_lo, 8, v1
	s_cbranch_vccnz .LBB38_310
; %bb.309:
	v_lshlrev_b32_e32 v1, 3, v1
	s_delay_alu instid0(VALU_DEP_1)
	v_mov_b32_e32 v5, v1
	scratch_load_b64 v[1:2], v5, off offset:-8
	scratch_load_b64 v[3:4], off, off offset:56
	s_wait_loadcnt 0x1
	scratch_store_b64 off, v[1:2], off offset:56
	s_wait_loadcnt 0x0
	scratch_store_b64 v5, v[3:4], off offset:-8
.LBB38_310:
	global_load_b32 v0, v0, s[2:3] offset:24
	s_wait_loadcnt 0x0
	v_cmp_eq_u32_e32 vcc_lo, 7, v0
	s_cbranch_vccnz .LBB38_312
; %bb.311:
	v_lshlrev_b32_e32 v0, 3, v0
	s_delay_alu instid0(VALU_DEP_1)
	v_mov_b32_e32 v4, v0
	scratch_load_b64 v[0:1], v4, off offset:-8
	scratch_load_b64 v[2:3], off, off offset:48
	s_wait_loadcnt 0x1
	scratch_store_b64 off, v[0:1], off offset:48
	s_wait_loadcnt 0x0
	scratch_store_b64 v4, v[2:3], off offset:-8
.LBB38_312:
	v_mov_b32_e32 v0, 0
	global_load_b32 v1, v0, s[2:3] offset:20
	s_wait_loadcnt 0x0
	v_cmp_eq_u32_e32 vcc_lo, 6, v1
	s_cbranch_vccnz .LBB38_314
; %bb.313:
	v_lshlrev_b32_e32 v1, 3, v1
	s_delay_alu instid0(VALU_DEP_1)
	v_mov_b32_e32 v5, v1
	scratch_load_b64 v[1:2], v5, off offset:-8
	scratch_load_b64 v[3:4], off, off offset:40
	s_wait_loadcnt 0x1
	scratch_store_b64 off, v[1:2], off offset:40
	s_wait_loadcnt 0x0
	scratch_store_b64 v5, v[3:4], off offset:-8
.LBB38_314:
	global_load_b32 v0, v0, s[2:3] offset:16
	s_wait_loadcnt 0x0
	v_cmp_eq_u32_e32 vcc_lo, 5, v0
	s_cbranch_vccnz .LBB38_316
; %bb.315:
	v_lshlrev_b32_e32 v0, 3, v0
	s_delay_alu instid0(VALU_DEP_1)
	v_mov_b32_e32 v4, v0
	scratch_load_b64 v[0:1], v4, off offset:-8
	scratch_load_b64 v[2:3], off, off offset:32
	s_wait_loadcnt 0x1
	scratch_store_b64 off, v[0:1], off offset:32
	s_wait_loadcnt 0x0
	scratch_store_b64 v4, v[2:3], off offset:-8
.LBB38_316:
	v_mov_b32_e32 v0, 0
	global_load_b32 v1, v0, s[2:3] offset:12
	s_wait_loadcnt 0x0
	v_cmp_eq_u32_e32 vcc_lo, 4, v1
	s_cbranch_vccnz .LBB38_318
; %bb.317:
	v_lshlrev_b32_e32 v1, 3, v1
	s_delay_alu instid0(VALU_DEP_1)
	v_mov_b32_e32 v5, v1
	scratch_load_b64 v[1:2], v5, off offset:-8
	scratch_load_b64 v[3:4], off, off offset:24
	s_wait_loadcnt 0x1
	scratch_store_b64 off, v[1:2], off offset:24
	s_wait_loadcnt 0x0
	scratch_store_b64 v5, v[3:4], off offset:-8
.LBB38_318:
	global_load_b32 v0, v0, s[2:3] offset:8
	s_wait_loadcnt 0x0
	v_cmp_eq_u32_e32 vcc_lo, 3, v0
	s_cbranch_vccnz .LBB38_320
; %bb.319:
	v_lshlrev_b32_e32 v0, 3, v0
	s_delay_alu instid0(VALU_DEP_1)
	v_mov_b32_e32 v4, v0
	scratch_load_b64 v[0:1], v4, off offset:-8
	scratch_load_b64 v[2:3], off, off offset:16
	s_wait_loadcnt 0x1
	scratch_store_b64 off, v[0:1], off offset:16
	s_wait_loadcnt 0x0
	scratch_store_b64 v4, v[2:3], off offset:-8
.LBB38_320:
	v_mov_b32_e32 v0, 0
	global_load_b32 v1, v0, s[2:3] offset:4
	s_wait_loadcnt 0x0
	v_cmp_eq_u32_e32 vcc_lo, 2, v1
	s_cbranch_vccnz .LBB38_322
; %bb.321:
	v_lshlrev_b32_e32 v1, 3, v1
	s_delay_alu instid0(VALU_DEP_1)
	v_mov_b32_e32 v5, v1
	scratch_load_b64 v[1:2], v5, off offset:-8
	scratch_load_b64 v[3:4], off, off offset:8
	s_wait_loadcnt 0x1
	scratch_store_b64 off, v[1:2], off offset:8
	s_wait_loadcnt 0x0
	scratch_store_b64 v5, v[3:4], off offset:-8
.LBB38_322:
	global_load_b32 v0, v0, s[2:3]
	s_wait_loadcnt 0x0
	v_cmp_eq_u32_e32 vcc_lo, 1, v0
	s_cbranch_vccnz .LBB38_324
; %bb.323:
	v_lshlrev_b32_e32 v0, 3, v0
	s_delay_alu instid0(VALU_DEP_1)
	v_mov_b32_e32 v4, v0
	scratch_load_b64 v[0:1], v4, off offset:-8
	scratch_load_b64 v[2:3], off, off
	s_wait_loadcnt 0x1
	scratch_store_b64 off, v[0:1], off
	s_wait_loadcnt 0x0
	scratch_store_b64 v4, v[2:3], off offset:-8
.LBB38_324:
	s_clause 0x13
	scratch_load_b128 v[0:3], off, off
	scratch_load_b128 v[4:7], off, off offset:16
	scratch_load_b128 v[8:11], off, off offset:32
	scratch_load_b128 v[12:15], off, off offset:48
	scratch_load_b128 v[16:19], off, off offset:64
	scratch_load_b128 v[20:23], off, off offset:80
	scratch_load_b128 v[102:105], off, off offset:96
	scratch_load_b128 v[106:109], off, off offset:112
	scratch_load_b128 v[110:113], off, off offset:128
	scratch_load_b128 v[114:117], off, off offset:144
	scratch_load_b128 v[118:121], off, off offset:160
	scratch_load_b128 v[122:125], off, off offset:176
	scratch_load_b128 v[126:129], off, off offset:192
	scratch_load_b128 v[130:133], off, off offset:208
	scratch_load_b128 v[134:137], off, off offset:224
	scratch_load_b128 v[138:141], off, off offset:240
	scratch_load_b128 v[142:145], off, off offset:256
	scratch_load_b128 v[146:149], off, off offset:272
	scratch_load_b128 v[150:153], off, off offset:288
	scratch_load_b64 v[154:155], off, off offset:304
	s_wait_loadcnt 0x13
	s_clause 0x1
	global_store_b64 v[24:25], v[0:1], off
	global_store_b64 v[26:27], v[2:3], off
	s_wait_loadcnt 0x12
	s_clause 0x1
	global_store_b64 v[28:29], v[4:5], off
	global_store_b64 v[30:31], v[6:7], off
	s_wait_loadcnt 0x11
	s_clause 0x1
	global_store_b64 v[32:33], v[8:9], off
	global_store_b64 v[34:35], v[10:11], off
	s_wait_loadcnt 0x10
	s_clause 0x1
	global_store_b64 v[36:37], v[12:13], off
	global_store_b64 v[38:39], v[14:15], off
	s_wait_loadcnt 0xf
	s_clause 0x1
	global_store_b64 v[40:41], v[16:17], off
	global_store_b64 v[42:43], v[18:19], off
	s_wait_loadcnt 0xe
	s_clause 0x1
	global_store_b64 v[44:45], v[20:21], off
	global_store_b64 v[46:47], v[22:23], off
	s_wait_loadcnt 0xd
	s_clause 0x1
	global_store_b64 v[48:49], v[102:103], off
	global_store_b64 v[50:51], v[104:105], off
	s_wait_loadcnt 0xc
	s_clause 0x1
	global_store_b64 v[52:53], v[106:107], off
	global_store_b64 v[54:55], v[108:109], off
	s_wait_loadcnt 0xb
	s_clause 0x1
	global_store_b64 v[56:57], v[110:111], off
	global_store_b64 v[58:59], v[112:113], off
	s_wait_loadcnt 0xa
	s_clause 0x1
	global_store_b64 v[60:61], v[114:115], off
	global_store_b64 v[62:63], v[116:117], off
	s_wait_loadcnt 0x9
	s_clause 0x1
	global_store_b64 v[64:65], v[118:119], off
	global_store_b64 v[66:67], v[120:121], off
	s_wait_loadcnt 0x8
	s_clause 0x1
	global_store_b64 v[68:69], v[122:123], off
	global_store_b64 v[70:71], v[124:125], off
	s_wait_loadcnt 0x7
	s_clause 0x1
	global_store_b64 v[72:73], v[126:127], off
	global_store_b64 v[74:75], v[128:129], off
	s_wait_loadcnt 0x6
	s_clause 0x1
	global_store_b64 v[76:77], v[130:131], off
	global_store_b64 v[78:79], v[132:133], off
	s_wait_loadcnt 0x5
	s_clause 0x1
	global_store_b64 v[80:81], v[134:135], off
	global_store_b64 v[82:83], v[136:137], off
	s_wait_loadcnt 0x4
	s_clause 0x1
	global_store_b64 v[84:85], v[138:139], off
	global_store_b64 v[86:87], v[140:141], off
	s_wait_loadcnt 0x3
	s_clause 0x1
	global_store_b64 v[88:89], v[142:143], off
	global_store_b64 v[90:91], v[144:145], off
	s_wait_loadcnt 0x2
	s_clause 0x1
	global_store_b64 v[92:93], v[146:147], off
	global_store_b64 v[94:95], v[148:149], off
	s_wait_loadcnt 0x1
	s_clause 0x1
	global_store_b64 v[96:97], v[150:151], off
	global_store_b64 v[98:99], v[152:153], off
	s_wait_loadcnt 0x0
	global_store_b64 v[100:101], v[154:155], off
	s_nop 0
	s_sendmsg sendmsg(MSG_DEALLOC_VGPRS)
	s_endpgm
	.section	.rodata,"a",@progbits
	.p2align	6, 0x0
	.amdhsa_kernel _ZN9rocsolver6v33100L18getri_kernel_smallILi39E19rocblas_complex_numIfEPS3_EEvT1_iilPiilS6_bb
		.amdhsa_group_segment_fixed_size 632
		.amdhsa_private_segment_fixed_size 320
		.amdhsa_kernarg_size 60
		.amdhsa_user_sgpr_count 2
		.amdhsa_user_sgpr_dispatch_ptr 0
		.amdhsa_user_sgpr_queue_ptr 0
		.amdhsa_user_sgpr_kernarg_segment_ptr 1
		.amdhsa_user_sgpr_dispatch_id 0
		.amdhsa_user_sgpr_private_segment_size 0
		.amdhsa_wavefront_size32 1
		.amdhsa_uses_dynamic_stack 0
		.amdhsa_enable_private_segment 1
		.amdhsa_system_sgpr_workgroup_id_x 1
		.amdhsa_system_sgpr_workgroup_id_y 0
		.amdhsa_system_sgpr_workgroup_id_z 0
		.amdhsa_system_sgpr_workgroup_info 0
		.amdhsa_system_vgpr_workitem_id 0
		.amdhsa_next_free_vgpr 252
		.amdhsa_next_free_sgpr 19
		.amdhsa_reserve_vcc 1
		.amdhsa_float_round_mode_32 0
		.amdhsa_float_round_mode_16_64 0
		.amdhsa_float_denorm_mode_32 3
		.amdhsa_float_denorm_mode_16_64 3
		.amdhsa_fp16_overflow 0
		.amdhsa_workgroup_processor_mode 1
		.amdhsa_memory_ordered 1
		.amdhsa_forward_progress 1
		.amdhsa_inst_pref_size 255
		.amdhsa_round_robin_scheduling 0
		.amdhsa_exception_fp_ieee_invalid_op 0
		.amdhsa_exception_fp_denorm_src 0
		.amdhsa_exception_fp_ieee_div_zero 0
		.amdhsa_exception_fp_ieee_overflow 0
		.amdhsa_exception_fp_ieee_underflow 0
		.amdhsa_exception_fp_ieee_inexact 0
		.amdhsa_exception_int_div_zero 0
	.end_amdhsa_kernel
	.section	.text._ZN9rocsolver6v33100L18getri_kernel_smallILi39E19rocblas_complex_numIfEPS3_EEvT1_iilPiilS6_bb,"axG",@progbits,_ZN9rocsolver6v33100L18getri_kernel_smallILi39E19rocblas_complex_numIfEPS3_EEvT1_iilPiilS6_bb,comdat
.Lfunc_end38:
	.size	_ZN9rocsolver6v33100L18getri_kernel_smallILi39E19rocblas_complex_numIfEPS3_EEvT1_iilPiilS6_bb, .Lfunc_end38-_ZN9rocsolver6v33100L18getri_kernel_smallILi39E19rocblas_complex_numIfEPS3_EEvT1_iilPiilS6_bb
                                        ; -- End function
	.set _ZN9rocsolver6v33100L18getri_kernel_smallILi39E19rocblas_complex_numIfEPS3_EEvT1_iilPiilS6_bb.num_vgpr, 252
	.set _ZN9rocsolver6v33100L18getri_kernel_smallILi39E19rocblas_complex_numIfEPS3_EEvT1_iilPiilS6_bb.num_agpr, 0
	.set _ZN9rocsolver6v33100L18getri_kernel_smallILi39E19rocblas_complex_numIfEPS3_EEvT1_iilPiilS6_bb.numbered_sgpr, 19
	.set _ZN9rocsolver6v33100L18getri_kernel_smallILi39E19rocblas_complex_numIfEPS3_EEvT1_iilPiilS6_bb.num_named_barrier, 0
	.set _ZN9rocsolver6v33100L18getri_kernel_smallILi39E19rocblas_complex_numIfEPS3_EEvT1_iilPiilS6_bb.private_seg_size, 320
	.set _ZN9rocsolver6v33100L18getri_kernel_smallILi39E19rocblas_complex_numIfEPS3_EEvT1_iilPiilS6_bb.uses_vcc, 1
	.set _ZN9rocsolver6v33100L18getri_kernel_smallILi39E19rocblas_complex_numIfEPS3_EEvT1_iilPiilS6_bb.uses_flat_scratch, 1
	.set _ZN9rocsolver6v33100L18getri_kernel_smallILi39E19rocblas_complex_numIfEPS3_EEvT1_iilPiilS6_bb.has_dyn_sized_stack, 0
	.set _ZN9rocsolver6v33100L18getri_kernel_smallILi39E19rocblas_complex_numIfEPS3_EEvT1_iilPiilS6_bb.has_recursion, 0
	.set _ZN9rocsolver6v33100L18getri_kernel_smallILi39E19rocblas_complex_numIfEPS3_EEvT1_iilPiilS6_bb.has_indirect_call, 0
	.section	.AMDGPU.csdata,"",@progbits
; Kernel info:
; codeLenInByte = 55676
; TotalNumSgprs: 21
; NumVgprs: 252
; ScratchSize: 320
; MemoryBound: 0
; FloatMode: 240
; IeeeMode: 1
; LDSByteSize: 632 bytes/workgroup (compile time only)
; SGPRBlocks: 0
; VGPRBlocks: 31
; NumSGPRsForWavesPerEU: 21
; NumVGPRsForWavesPerEU: 252
; Occupancy: 5
; WaveLimiterHint : 1
; COMPUTE_PGM_RSRC2:SCRATCH_EN: 1
; COMPUTE_PGM_RSRC2:USER_SGPR: 2
; COMPUTE_PGM_RSRC2:TRAP_HANDLER: 0
; COMPUTE_PGM_RSRC2:TGID_X_EN: 1
; COMPUTE_PGM_RSRC2:TGID_Y_EN: 0
; COMPUTE_PGM_RSRC2:TGID_Z_EN: 0
; COMPUTE_PGM_RSRC2:TIDIG_COMP_CNT: 0
	.section	.text._ZN9rocsolver6v33100L18getri_kernel_smallILi40E19rocblas_complex_numIfEPS3_EEvT1_iilPiilS6_bb,"axG",@progbits,_ZN9rocsolver6v33100L18getri_kernel_smallILi40E19rocblas_complex_numIfEPS3_EEvT1_iilPiilS6_bb,comdat
	.globl	_ZN9rocsolver6v33100L18getri_kernel_smallILi40E19rocblas_complex_numIfEPS3_EEvT1_iilPiilS6_bb ; -- Begin function _ZN9rocsolver6v33100L18getri_kernel_smallILi40E19rocblas_complex_numIfEPS3_EEvT1_iilPiilS6_bb
	.p2align	8
	.type	_ZN9rocsolver6v33100L18getri_kernel_smallILi40E19rocblas_complex_numIfEPS3_EEvT1_iilPiilS6_bb,@function
_ZN9rocsolver6v33100L18getri_kernel_smallILi40E19rocblas_complex_numIfEPS3_EEvT1_iilPiilS6_bb: ; @_ZN9rocsolver6v33100L18getri_kernel_smallILi40E19rocblas_complex_numIfEPS3_EEvT1_iilPiilS6_bb
; %bb.0:
	s_mov_b32 s2, exec_lo
	v_cmpx_gt_u32_e32 40, v0
	s_cbranch_execz .LBB39_174
; %bb.1:
	s_clause 0x2
	s_load_b32 s2, s[0:1], 0x38
	s_load_b128 s[12:15], s[0:1], 0x10
	s_load_b128 s[4:7], s[0:1], 0x28
	s_mov_b32 s16, ttmp9
	s_wait_kmcnt 0x0
	s_bitcmp1_b32 s2, 8
	s_cselect_b32 s18, -1, 0
	s_bfe_u32 s2, s2, 0x10008
	s_ashr_i32 s17, ttmp9, 31
	s_cmp_eq_u32 s2, 0
                                        ; implicit-def: $sgpr2_sgpr3
	s_cbranch_scc1 .LBB39_3
; %bb.2:
	s_load_b32 s2, s[0:1], 0x20
	s_mul_u64 s[4:5], s[4:5], s[16:17]
	s_delay_alu instid0(SALU_CYCLE_1) | instskip(NEXT) | instid1(SALU_CYCLE_1)
	s_lshl_b64 s[4:5], s[4:5], 2
	s_add_nc_u64 s[4:5], s[14:15], s[4:5]
	s_wait_kmcnt 0x0
	s_ashr_i32 s3, s2, 31
	s_delay_alu instid0(SALU_CYCLE_1) | instskip(NEXT) | instid1(SALU_CYCLE_1)
	s_lshl_b64 s[2:3], s[2:3], 2
	s_add_nc_u64 s[2:3], s[4:5], s[2:3]
.LBB39_3:
	s_clause 0x1
	s_load_b128 s[8:11], s[0:1], 0x0
	s_load_b32 s4, s[0:1], 0x38
	s_mul_u64 s[0:1], s[12:13], s[16:17]
	v_lshlrev_b32_e32 v13, 3, v0
	s_lshl_b64 s[0:1], s[0:1], 3
	s_wait_kmcnt 0x0
	v_add3_u32 v3, s11, s11, v0
	s_ashr_i32 s13, s10, 31
	s_mov_b32 s12, s10
	s_add_nc_u64 s[0:1], s[8:9], s[0:1]
	s_lshl_b64 s[12:13], s[12:13], 3
	v_add_nc_u32_e32 v5, s11, v3
	v_ashrrev_i32_e32 v4, 31, v3
	s_add_nc_u64 s[0:1], s[0:1], s[12:13]
	s_ashr_i32 s9, s11, 31
	v_add_co_u32 v28, s5, s0, v13
	v_add_nc_u32_e32 v7, s11, v5
	s_mov_b32 s8, s11
	v_lshlrev_b64_e32 v[3:4], 3, v[3:4]
	v_add_co_ci_u32_e64 v29, null, s1, 0, s5
	s_delay_alu instid0(VALU_DEP_3) | instskip(SKIP_3) | instid1(VALU_DEP_1)
	v_add_nc_u32_e32 v9, s11, v7
	s_lshl_b64 s[8:9], s[8:9], 3
	v_ashrrev_i32_e32 v6, 31, v5
	v_add_co_u32 v30, vcc_lo, v28, s8
	v_add_co_ci_u32_e64 v31, null, s9, v29, vcc_lo
	v_add_co_u32 v32, vcc_lo, s0, v3
	v_add_nc_u32_e32 v3, s11, v9
	v_lshlrev_b64_e32 v[5:6], 3, v[5:6]
	v_ashrrev_i32_e32 v8, 31, v7
	v_ashrrev_i32_e32 v10, 31, v9
	s_wait_alu 0xfffd
	v_add_co_ci_u32_e64 v33, null, s1, v4, vcc_lo
	v_add_nc_u32_e32 v11, s11, v3
	v_ashrrev_i32_e32 v4, 31, v3
	v_lshlrev_b64_e32 v[7:8], 3, v[7:8]
	v_add_co_u32 v34, vcc_lo, s0, v5
	s_wait_alu 0xfffd
	v_add_co_ci_u32_e64 v35, null, s1, v6, vcc_lo
	v_lshlrev_b64_e32 v[5:6], 3, v[9:10]
	v_add_nc_u32_e32 v16, s11, v11
	v_lshlrev_b64_e32 v[14:15], 3, v[3:4]
	v_ashrrev_i32_e32 v12, 31, v11
	v_add_co_u32 v36, vcc_lo, s0, v7
	s_delay_alu instid0(VALU_DEP_4)
	v_ashrrev_i32_e32 v17, 31, v16
	v_add_nc_u32_e32 v18, s11, v16
	s_wait_alu 0xfffd
	v_add_co_ci_u32_e64 v37, null, s1, v8, vcc_lo
	v_add_co_u32 v38, vcc_lo, s0, v5
	v_lshlrev_b64_e32 v[11:12], 3, v[11:12]
	s_wait_alu 0xfffd
	v_add_co_ci_u32_e64 v39, null, s1, v6, vcc_lo
	v_add_co_u32 v40, vcc_lo, s0, v14
	s_wait_alu 0xfffd
	v_add_co_ci_u32_e64 v41, null, s1, v15, vcc_lo
	v_lshlrev_b64_e32 v[14:15], 3, v[16:17]
	v_ashrrev_i32_e32 v19, 31, v18
	v_add_nc_u32_e32 v16, s11, v18
	v_add_co_u32 v42, vcc_lo, s0, v11
	s_wait_alu 0xfffd
	v_add_co_ci_u32_e64 v43, null, s1, v12, vcc_lo
	v_lshlrev_b64_e32 v[11:12], 3, v[18:19]
	v_ashrrev_i32_e32 v17, 31, v16
	v_add_nc_u32_e32 v18, s11, v16
	;; [unrolled: 6-line block ×24, first 2 shown]
	v_add_co_u32 v88, vcc_lo, s0, v14
	s_wait_alu 0xfffd
	v_add_co_ci_u32_e64 v89, null, s1, v15, vcc_lo
	v_lshlrev_b64_e32 v[14:15], 3, v[16:17]
	v_add_nc_u32_e32 v16, s11, v18
	v_ashrrev_i32_e32 v19, 31, v18
	v_add_co_u32 v90, vcc_lo, s0, v11
	s_wait_alu 0xfffd
	v_add_co_ci_u32_e64 v91, null, s1, v12, vcc_lo
	v_add_nc_u32_e32 v26, s11, v16
	v_lshlrev_b64_e32 v[11:12], 3, v[18:19]
	v_add_co_u32 v92, vcc_lo, s0, v14
	s_wait_alu 0xfffd
	v_add_co_ci_u32_e64 v93, null, s1, v15, vcc_lo
	v_ashrrev_i32_e32 v27, 31, v26
	s_delay_alu instid0(VALU_DEP_4) | instskip(SKIP_2) | instid1(VALU_DEP_3)
	v_add_co_u32 v94, vcc_lo, s0, v11
	s_wait_alu 0xfffd
	v_add_co_ci_u32_e64 v95, null, s1, v12, vcc_lo
	v_lshlrev_b64_e32 v[11:12], 3, v[26:27]
	v_add_nc_u32_e32 v26, s11, v26
	v_ashrrev_i32_e32 v17, 31, v16
	s_clause 0x4
	global_load_b64 v[1:2], v13, s[0:1]
	global_load_b64 v[3:4], v[30:31], off
	global_load_b64 v[5:6], v[32:33], off
	;; [unrolled: 1-line block ×4, first 2 shown]
	s_bitcmp0_b32 s4, 0
	v_add_nc_u32_e32 v100, s11, v26
	v_ashrrev_i32_e32 v27, 31, v26
	v_lshlrev_b64_e32 v[14:15], 3, v[16:17]
	s_delay_alu instid0(VALU_DEP_3) | instskip(SKIP_1) | instid1(VALU_DEP_4)
	v_add_nc_u32_e32 v102, s11, v100
	v_ashrrev_i32_e32 v101, 31, v100
	v_lshlrev_b64_e32 v[26:27], 3, v[26:27]
	s_delay_alu instid0(VALU_DEP_4) | instskip(NEXT) | instid1(VALU_DEP_4)
	v_add_co_u32 v96, vcc_lo, s0, v14
	v_add_nc_u32_e32 v104, s11, v102
	s_delay_alu instid0(VALU_DEP_4)
	v_lshlrev_b64_e32 v[106:107], 3, v[100:101]
	v_ashrrev_i32_e32 v103, 31, v102
	s_wait_alu 0xfffd
	v_add_co_ci_u32_e64 v97, null, s1, v15, vcc_lo
	v_add_co_u32 v98, vcc_lo, s0, v11
	v_ashrrev_i32_e32 v105, 31, v104
	s_wait_alu 0xfffd
	v_add_co_ci_u32_e64 v99, null, s1, v12, vcc_lo
	v_add_co_u32 v100, vcc_lo, s0, v26
	s_wait_alu 0xfffd
	v_add_co_ci_u32_e64 v101, null, s1, v27, vcc_lo
	v_lshlrev_b64_e32 v[26:27], 3, v[102:103]
	v_add_co_u32 v102, vcc_lo, s0, v106
	s_wait_alu 0xfffd
	v_add_co_ci_u32_e64 v103, null, s1, v107, vcc_lo
	v_lshlrev_b64_e32 v[106:107], 3, v[104:105]
	s_delay_alu instid0(VALU_DEP_4)
	v_add_co_u32 v104, vcc_lo, s0, v26
	s_wait_alu 0xfffd
	v_add_co_ci_u32_e64 v105, null, s1, v27, vcc_lo
	s_clause 0xf
	global_load_b64 v[11:12], v[38:39], off
	global_load_b64 v[14:15], v[40:41], off
	;; [unrolled: 1-line block ×16, first 2 shown]
	v_add_co_u32 v106, vcc_lo, s0, v106
	s_clause 0xb
	global_load_b64 v[126:127], v[70:71], off
	global_load_b64 v[128:129], v[72:73], off
	;; [unrolled: 1-line block ×12, first 2 shown]
	s_wait_alu 0xfffd
	v_add_co_ci_u32_e64 v107, null, s1, v107, vcc_lo
	s_clause 0x6
	global_load_b64 v[150:151], v[94:95], off
	global_load_b64 v[152:153], v[96:97], off
	global_load_b64 v[154:155], v[98:99], off
	global_load_b64 v[156:157], v[100:101], off
	global_load_b64 v[158:159], v[102:103], off
	global_load_b64 v[160:161], v[104:105], off
	global_load_b64 v[162:163], v[106:107], off
	s_mov_b32 s1, -1
	s_wait_loadcnt 0x26
	scratch_store_b128 off, v[1:4], off
	s_wait_loadcnt 0x24
	scratch_store_b128 off, v[5:8], off offset:16
	s_wait_loadcnt 0x22
	scratch_store_b128 off, v[9:12], off offset:32
	;; [unrolled: 2-line block ×19, first 2 shown]
	s_cbranch_scc1 .LBB39_172
; %bb.4:
	v_cmp_eq_u32_e64 s0, 0, v0
	s_and_saveexec_b32 s1, s0
; %bb.5:
	v_mov_b32_e32 v1, 0
	ds_store_b32 v1, v1 offset:640
; %bb.6:
	s_wait_alu 0xfffe
	s_or_b32 exec_lo, exec_lo, s1
	s_wait_storecnt_dscnt 0x0
	s_barrier_signal -1
	s_barrier_wait -1
	global_inv scope:SCOPE_SE
	scratch_load_b64 v[1:2], v13, off
	s_wait_loadcnt 0x0
	v_cmp_eq_f32_e32 vcc_lo, 0, v1
	v_cmp_eq_f32_e64 s1, 0, v2
	s_and_b32 s1, vcc_lo, s1
	s_wait_alu 0xfffe
	s_and_saveexec_b32 s4, s1
	s_cbranch_execz .LBB39_10
; %bb.7:
	v_mov_b32_e32 v1, 0
	s_mov_b32 s5, 0
	ds_load_b32 v2, v1 offset:640
	s_wait_dscnt 0x0
	v_readfirstlane_b32 s1, v2
	v_add_nc_u32_e32 v2, 1, v0
	s_cmp_eq_u32 s1, 0
	s_delay_alu instid0(VALU_DEP_1)
	v_cmp_gt_i32_e32 vcc_lo, s1, v2
	s_cselect_b32 s8, -1, 0
	s_wait_alu 0xfffe
	s_or_b32 s8, s8, vcc_lo
	s_wait_alu 0xfffe
	s_and_b32 exec_lo, exec_lo, s8
	s_cbranch_execz .LBB39_10
; %bb.8:
	v_mov_b32_e32 v3, s1
.LBB39_9:                               ; =>This Inner Loop Header: Depth=1
	ds_cmpstore_rtn_b32 v3, v1, v2, v3 offset:640
	s_wait_dscnt 0x0
	v_cmp_ne_u32_e32 vcc_lo, 0, v3
	v_cmp_le_i32_e64 s1, v3, v2
	s_and_b32 s1, vcc_lo, s1
	s_wait_alu 0xfffe
	s_and_b32 s1, exec_lo, s1
	s_wait_alu 0xfffe
	s_or_b32 s5, s1, s5
	s_wait_alu 0xfffe
	s_and_not1_b32 exec_lo, exec_lo, s5
	s_cbranch_execnz .LBB39_9
.LBB39_10:
	s_wait_alu 0xfffe
	s_or_b32 exec_lo, exec_lo, s4
	v_mov_b32_e32 v1, 0
	s_barrier_signal -1
	s_barrier_wait -1
	global_inv scope:SCOPE_SE
	ds_load_b32 v2, v1 offset:640
	s_and_saveexec_b32 s1, s0
	s_cbranch_execz .LBB39_12
; %bb.11:
	s_lshl_b64 s[4:5], s[16:17], 2
	s_wait_alu 0xfffe
	s_add_nc_u64 s[4:5], s[6:7], s[4:5]
	s_wait_dscnt 0x0
	global_store_b32 v1, v2, s[4:5]
.LBB39_12:
	s_wait_alu 0xfffe
	s_or_b32 exec_lo, exec_lo, s1
	s_wait_dscnt 0x0
	v_cmp_ne_u32_e32 vcc_lo, 0, v2
	s_mov_b32 s1, 0
	s_cbranch_vccnz .LBB39_172
; %bb.13:
	v_mov_b32_e32 v7, v13
                                        ; implicit-def: $vgpr3
                                        ; implicit-def: $vgpr5
	scratch_load_b64 v[1:2], v7, off
	s_wait_loadcnt 0x0
	v_cmp_ngt_f32_e64 s1, |v1|, |v2|
	s_wait_alu 0xfffe
	s_and_saveexec_b32 s4, s1
	s_wait_alu 0xfffe
	s_xor_b32 s1, exec_lo, s4
	s_cbranch_execz .LBB39_15
; %bb.14:
	v_div_scale_f32 v3, null, v2, v2, v1
	v_div_scale_f32 v6, vcc_lo, v1, v2, v1
	s_delay_alu instid0(VALU_DEP_2) | instskip(NEXT) | instid1(TRANS32_DEP_1)
	v_rcp_f32_e32 v4, v3
	v_fma_f32 v5, -v3, v4, 1.0
	s_delay_alu instid0(VALU_DEP_1) | instskip(NEXT) | instid1(VALU_DEP_1)
	v_fmac_f32_e32 v4, v5, v4
	v_mul_f32_e32 v5, v6, v4
	s_delay_alu instid0(VALU_DEP_1) | instskip(NEXT) | instid1(VALU_DEP_1)
	v_fma_f32 v8, -v3, v5, v6
	v_fmac_f32_e32 v5, v8, v4
	s_delay_alu instid0(VALU_DEP_1) | instskip(SKIP_1) | instid1(VALU_DEP_1)
	v_fma_f32 v3, -v3, v5, v6
	s_wait_alu 0xfffd
	v_div_fmas_f32 v3, v3, v4, v5
	s_delay_alu instid0(VALU_DEP_1) | instskip(NEXT) | instid1(VALU_DEP_1)
	v_div_fixup_f32 v3, v3, v2, v1
	v_fmac_f32_e32 v2, v1, v3
	s_delay_alu instid0(VALU_DEP_1) | instskip(NEXT) | instid1(VALU_DEP_1)
	v_div_scale_f32 v1, null, v2, v2, 1.0
	v_rcp_f32_e32 v4, v1
	s_delay_alu instid0(TRANS32_DEP_1) | instskip(NEXT) | instid1(VALU_DEP_1)
	v_fma_f32 v5, -v1, v4, 1.0
	v_fmac_f32_e32 v4, v5, v4
	v_div_scale_f32 v5, vcc_lo, 1.0, v2, 1.0
	s_delay_alu instid0(VALU_DEP_1) | instskip(NEXT) | instid1(VALU_DEP_1)
	v_mul_f32_e32 v6, v5, v4
	v_fma_f32 v8, -v1, v6, v5
	s_delay_alu instid0(VALU_DEP_1) | instskip(NEXT) | instid1(VALU_DEP_1)
	v_fmac_f32_e32 v6, v8, v4
	v_fma_f32 v1, -v1, v6, v5
	s_wait_alu 0xfffd
	s_delay_alu instid0(VALU_DEP_1) | instskip(NEXT) | instid1(VALU_DEP_1)
	v_div_fmas_f32 v1, v1, v4, v6
	v_div_fixup_f32 v1, v1, v2, 1.0
	s_delay_alu instid0(VALU_DEP_1) | instskip(SKIP_1) | instid1(VALU_DEP_2)
	v_mul_f32_e32 v3, v3, v1
	v_xor_b32_e32 v4, 0x80000000, v1
                                        ; implicit-def: $vgpr1_vgpr2
	v_xor_b32_e32 v5, 0x80000000, v3
.LBB39_15:
	s_wait_alu 0xfffe
	s_and_not1_saveexec_b32 s1, s1
	s_cbranch_execz .LBB39_17
; %bb.16:
	v_div_scale_f32 v3, null, v1, v1, v2
	v_div_scale_f32 v6, vcc_lo, v2, v1, v2
	s_delay_alu instid0(VALU_DEP_2) | instskip(NEXT) | instid1(TRANS32_DEP_1)
	v_rcp_f32_e32 v4, v3
	v_fma_f32 v5, -v3, v4, 1.0
	s_delay_alu instid0(VALU_DEP_1) | instskip(NEXT) | instid1(VALU_DEP_1)
	v_fmac_f32_e32 v4, v5, v4
	v_mul_f32_e32 v5, v6, v4
	s_delay_alu instid0(VALU_DEP_1) | instskip(NEXT) | instid1(VALU_DEP_1)
	v_fma_f32 v8, -v3, v5, v6
	v_fmac_f32_e32 v5, v8, v4
	s_delay_alu instid0(VALU_DEP_1) | instskip(SKIP_1) | instid1(VALU_DEP_1)
	v_fma_f32 v3, -v3, v5, v6
	s_wait_alu 0xfffd
	v_div_fmas_f32 v3, v3, v4, v5
	s_delay_alu instid0(VALU_DEP_1) | instskip(NEXT) | instid1(VALU_DEP_1)
	v_div_fixup_f32 v4, v3, v1, v2
	v_fmac_f32_e32 v1, v2, v4
	s_delay_alu instid0(VALU_DEP_1) | instskip(SKIP_1) | instid1(VALU_DEP_2)
	v_div_scale_f32 v2, null, v1, v1, 1.0
	v_div_scale_f32 v6, vcc_lo, 1.0, v1, 1.0
	v_rcp_f32_e32 v3, v2
	s_delay_alu instid0(TRANS32_DEP_1) | instskip(NEXT) | instid1(VALU_DEP_1)
	v_fma_f32 v5, -v2, v3, 1.0
	v_fmac_f32_e32 v3, v5, v3
	s_delay_alu instid0(VALU_DEP_1) | instskip(NEXT) | instid1(VALU_DEP_1)
	v_mul_f32_e32 v5, v6, v3
	v_fma_f32 v8, -v2, v5, v6
	s_delay_alu instid0(VALU_DEP_1) | instskip(NEXT) | instid1(VALU_DEP_1)
	v_fmac_f32_e32 v5, v8, v3
	v_fma_f32 v2, -v2, v5, v6
	s_wait_alu 0xfffd
	s_delay_alu instid0(VALU_DEP_1) | instskip(NEXT) | instid1(VALU_DEP_1)
	v_div_fmas_f32 v2, v2, v3, v5
	v_div_fixup_f32 v3, v2, v1, 1.0
	s_delay_alu instid0(VALU_DEP_1)
	v_xor_b32_e32 v5, 0x80000000, v3
	v_mul_f32_e64 v4, v4, -v3
.LBB39_17:
	s_wait_alu 0xfffe
	s_or_b32 exec_lo, exec_lo, s1
	scratch_store_b64 v7, v[3:4], off
	scratch_load_b64 v[2:3], off, off offset:8
	v_xor_b32_e32 v6, 0x80000000, v4
	v_add_nc_u32_e32 v1, 0x140, v13
	s_wait_loadcnt 0x0
	ds_store_2addr_b64 v13, v[5:6], v[2:3] offset1:40
	s_wait_storecnt_dscnt 0x0
	s_barrier_signal -1
	s_barrier_wait -1
	global_inv scope:SCOPE_SE
	s_and_saveexec_b32 s1, s0
	s_cbranch_execz .LBB39_19
; %bb.18:
	scratch_load_b64 v[2:3], v7, off
	ds_load_b64 v[4:5], v1
	v_mov_b32_e32 v6, 0
	ds_load_b64 v[8:9], v6 offset:8
	s_wait_loadcnt_dscnt 0x1
	v_mul_f32_e32 v6, v4, v3
	v_mul_f32_e32 v3, v5, v3
	s_delay_alu instid0(VALU_DEP_2) | instskip(NEXT) | instid1(VALU_DEP_2)
	v_fmac_f32_e32 v6, v5, v2
	v_fma_f32 v2, v4, v2, -v3
	s_delay_alu instid0(VALU_DEP_2) | instskip(SKIP_1) | instid1(VALU_DEP_1)
	v_add_f32_e32 v4, 0, v6
	s_wait_dscnt 0x0
	v_dual_add_f32 v2, 0, v2 :: v_dual_mul_f32 v5, v4, v9
	s_delay_alu instid0(VALU_DEP_1) | instskip(NEXT) | instid1(VALU_DEP_1)
	v_mul_f32_e32 v3, v2, v9
	v_fmac_f32_e32 v3, v4, v8
	s_delay_alu instid0(VALU_DEP_3)
	v_fma_f32 v2, v2, v8, -v5
	scratch_store_b64 off, v[2:3], off offset:8
.LBB39_19:
	s_wait_alu 0xfffe
	s_or_b32 exec_lo, exec_lo, s1
	s_wait_loadcnt 0x0
	s_wait_storecnt 0x0
	s_barrier_signal -1
	s_barrier_wait -1
	global_inv scope:SCOPE_SE
	scratch_load_b64 v[2:3], off, off offset:16
	s_mov_b32 s1, exec_lo
	s_wait_loadcnt 0x0
	ds_store_b64 v1, v[2:3]
	s_wait_dscnt 0x0
	s_barrier_signal -1
	s_barrier_wait -1
	global_inv scope:SCOPE_SE
	v_cmpx_gt_u32_e32 2, v0
	s_cbranch_execz .LBB39_23
; %bb.20:
	scratch_load_b64 v[2:3], v7, off
	ds_load_b64 v[4:5], v1
	s_wait_loadcnt_dscnt 0x0
	v_mul_f32_e32 v6, v5, v3
	v_mul_f32_e32 v8, v4, v3
	s_delay_alu instid0(VALU_DEP_2) | instskip(NEXT) | instid1(VALU_DEP_1)
	v_fma_f32 v3, v4, v2, -v6
	v_dual_fmac_f32 v8, v5, v2 :: v_dual_add_f32 v3, 0, v3
	s_delay_alu instid0(VALU_DEP_1)
	v_add_f32_e32 v2, 0, v8
	s_and_saveexec_b32 s4, s0
	s_cbranch_execz .LBB39_22
; %bb.21:
	scratch_load_b64 v[4:5], off, off offset:8
	v_mov_b32_e32 v6, 0
	ds_load_b64 v[8:9], v6 offset:328
	s_wait_loadcnt_dscnt 0x0
	v_mul_f32_e32 v6, v8, v5
	v_mul_f32_e32 v5, v9, v5
	s_delay_alu instid0(VALU_DEP_2) | instskip(NEXT) | instid1(VALU_DEP_2)
	v_fmac_f32_e32 v6, v9, v4
	v_fma_f32 v4, v8, v4, -v5
	s_delay_alu instid0(VALU_DEP_1)
	v_dual_add_f32 v2, v2, v6 :: v_dual_add_f32 v3, v3, v4
.LBB39_22:
	s_wait_alu 0xfffe
	s_or_b32 exec_lo, exec_lo, s4
	v_mov_b32_e32 v4, 0
	ds_load_b64 v[4:5], v4 offset:16
	s_wait_dscnt 0x0
	v_mul_f32_e32 v8, v2, v5
	v_mul_f32_e32 v6, v3, v5
	s_delay_alu instid0(VALU_DEP_2) | instskip(NEXT) | instid1(VALU_DEP_2)
	v_fma_f32 v5, v3, v4, -v8
	v_fmac_f32_e32 v6, v2, v4
	scratch_store_b64 off, v[5:6], off offset:16
.LBB39_23:
	s_wait_alu 0xfffe
	s_or_b32 exec_lo, exec_lo, s1
	s_wait_loadcnt 0x0
	s_wait_storecnt 0x0
	s_barrier_signal -1
	s_barrier_wait -1
	global_inv scope:SCOPE_SE
	scratch_load_b64 v[3:4], off, off offset:24
	v_add_nc_u32_e32 v2, -1, v0
	s_mov_b32 s0, exec_lo
	s_wait_loadcnt 0x0
	ds_store_b64 v1, v[3:4]
	s_wait_dscnt 0x0
	s_barrier_signal -1
	s_barrier_wait -1
	global_inv scope:SCOPE_SE
	v_cmpx_gt_u32_e32 3, v0
	s_cbranch_execz .LBB39_27
; %bb.24:
	v_dual_mov_b32 v3, 0 :: v_dual_add_nc_u32 v4, -1, v0
	v_dual_mov_b32 v6, v13 :: v_dual_add_nc_u32 v5, 0x140, v13
	v_mov_b32_e32 v8, 0
	s_mov_b32 s1, 0
.LBB39_25:                              ; =>This Inner Loop Header: Depth=1
	scratch_load_b64 v[9:10], v6, off
	ds_load_b64 v[11:12], v5
	v_add_nc_u32_e32 v6, 8, v6
	s_wait_loadcnt_dscnt 0x0
	v_dual_mul_f32 v14, v12, v10 :: v_dual_add_nc_u32 v5, 8, v5
	v_mul_f32_e32 v10, v11, v10
	s_delay_alu instid0(VALU_DEP_2) | instskip(NEXT) | instid1(VALU_DEP_2)
	v_fma_f32 v11, v11, v9, -v14
	v_fmac_f32_e32 v10, v12, v9
	v_add_nc_u32_e32 v4, 1, v4
	s_delay_alu instid0(VALU_DEP_2) | instskip(NEXT) | instid1(VALU_DEP_2)
	v_dual_add_f32 v8, v8, v11 :: v_dual_add_f32 v3, v3, v10
	v_cmp_lt_u32_e32 vcc_lo, 1, v4
	s_wait_alu 0xfffe
	s_or_b32 s1, vcc_lo, s1
	s_wait_alu 0xfffe
	s_and_not1_b32 exec_lo, exec_lo, s1
	s_cbranch_execnz .LBB39_25
; %bb.26:
	s_or_b32 exec_lo, exec_lo, s1
	v_mov_b32_e32 v4, 0
	ds_load_b64 v[4:5], v4 offset:24
	s_wait_dscnt 0x0
	v_mul_f32_e32 v9, v3, v5
	v_mul_f32_e32 v6, v8, v5
	s_delay_alu instid0(VALU_DEP_2) | instskip(NEXT) | instid1(VALU_DEP_2)
	v_fma_f32 v5, v8, v4, -v9
	v_fmac_f32_e32 v6, v3, v4
	scratch_store_b64 off, v[5:6], off offset:24
.LBB39_27:
	s_wait_alu 0xfffe
	s_or_b32 exec_lo, exec_lo, s0
	s_wait_loadcnt 0x0
	s_wait_storecnt 0x0
	s_barrier_signal -1
	s_barrier_wait -1
	global_inv scope:SCOPE_SE
	scratch_load_b64 v[3:4], off, off offset:32
	s_mov_b32 s0, exec_lo
	s_wait_loadcnt 0x0
	ds_store_b64 v1, v[3:4]
	s_wait_dscnt 0x0
	s_barrier_signal -1
	s_barrier_wait -1
	global_inv scope:SCOPE_SE
	v_cmpx_gt_u32_e32 4, v0
	s_cbranch_execz .LBB39_31
; %bb.28:
	v_dual_mov_b32 v3, 0 :: v_dual_add_nc_u32 v4, -1, v0
	v_dual_mov_b32 v6, v13 :: v_dual_add_nc_u32 v5, 0x140, v13
	v_mov_b32_e32 v8, 0
	s_mov_b32 s1, 0
.LBB39_29:                              ; =>This Inner Loop Header: Depth=1
	scratch_load_b64 v[9:10], v6, off
	ds_load_b64 v[11:12], v5
	v_add_nc_u32_e32 v6, 8, v6
	s_wait_loadcnt_dscnt 0x0
	v_dual_mul_f32 v14, v12, v10 :: v_dual_add_nc_u32 v5, 8, v5
	v_mul_f32_e32 v10, v11, v10
	s_delay_alu instid0(VALU_DEP_2) | instskip(NEXT) | instid1(VALU_DEP_2)
	v_fma_f32 v11, v11, v9, -v14
	v_fmac_f32_e32 v10, v12, v9
	v_add_nc_u32_e32 v4, 1, v4
	s_delay_alu instid0(VALU_DEP_2) | instskip(NEXT) | instid1(VALU_DEP_2)
	v_dual_add_f32 v8, v8, v11 :: v_dual_add_f32 v3, v3, v10
	v_cmp_lt_u32_e32 vcc_lo, 2, v4
	s_wait_alu 0xfffe
	s_or_b32 s1, vcc_lo, s1
	s_wait_alu 0xfffe
	s_and_not1_b32 exec_lo, exec_lo, s1
	s_cbranch_execnz .LBB39_29
; %bb.30:
	s_or_b32 exec_lo, exec_lo, s1
	v_mov_b32_e32 v4, 0
	ds_load_b64 v[4:5], v4 offset:32
	s_wait_dscnt 0x0
	v_mul_f32_e32 v9, v3, v5
	v_mul_f32_e32 v6, v8, v5
	s_delay_alu instid0(VALU_DEP_2) | instskip(NEXT) | instid1(VALU_DEP_2)
	v_fma_f32 v5, v8, v4, -v9
	v_fmac_f32_e32 v6, v3, v4
	scratch_store_b64 off, v[5:6], off offset:32
.LBB39_31:
	s_wait_alu 0xfffe
	s_or_b32 exec_lo, exec_lo, s0
	s_wait_loadcnt 0x0
	s_wait_storecnt 0x0
	s_barrier_signal -1
	s_barrier_wait -1
	global_inv scope:SCOPE_SE
	scratch_load_b64 v[3:4], off, off offset:40
	;; [unrolled: 53-line block ×19, first 2 shown]
	s_mov_b32 s0, exec_lo
	s_wait_loadcnt 0x0
	ds_store_b64 v1, v[3:4]
	s_wait_dscnt 0x0
	s_barrier_signal -1
	s_barrier_wait -1
	global_inv scope:SCOPE_SE
	v_cmpx_gt_u32_e32 22, v0
	s_cbranch_execz .LBB39_103
; %bb.100:
	v_dual_mov_b32 v3, 0 :: v_dual_add_nc_u32 v4, -1, v0
	v_dual_mov_b32 v6, v13 :: v_dual_add_nc_u32 v5, 0x140, v13
	v_mov_b32_e32 v8, 0
	s_mov_b32 s1, 0
.LBB39_101:                             ; =>This Inner Loop Header: Depth=1
	scratch_load_b64 v[9:10], v6, off
	ds_load_b64 v[11:12], v5
	v_add_nc_u32_e32 v6, 8, v6
	s_wait_loadcnt_dscnt 0x0
	v_dual_mul_f32 v14, v12, v10 :: v_dual_add_nc_u32 v5, 8, v5
	v_mul_f32_e32 v10, v11, v10
	s_delay_alu instid0(VALU_DEP_2) | instskip(NEXT) | instid1(VALU_DEP_2)
	v_fma_f32 v11, v11, v9, -v14
	v_fmac_f32_e32 v10, v12, v9
	v_add_nc_u32_e32 v4, 1, v4
	s_delay_alu instid0(VALU_DEP_2) | instskip(NEXT) | instid1(VALU_DEP_2)
	v_dual_add_f32 v8, v8, v11 :: v_dual_add_f32 v3, v3, v10
	v_cmp_lt_u32_e32 vcc_lo, 20, v4
	s_wait_alu 0xfffe
	s_or_b32 s1, vcc_lo, s1
	s_wait_alu 0xfffe
	s_and_not1_b32 exec_lo, exec_lo, s1
	s_cbranch_execnz .LBB39_101
; %bb.102:
	s_or_b32 exec_lo, exec_lo, s1
	v_mov_b32_e32 v4, 0
	ds_load_b64 v[4:5], v4 offset:176
	s_wait_dscnt 0x0
	v_mul_f32_e32 v9, v3, v5
	v_mul_f32_e32 v6, v8, v5
	s_delay_alu instid0(VALU_DEP_2) | instskip(NEXT) | instid1(VALU_DEP_2)
	v_fma_f32 v5, v8, v4, -v9
	v_fmac_f32_e32 v6, v3, v4
	scratch_store_b64 off, v[5:6], off offset:176
.LBB39_103:
	s_wait_alu 0xfffe
	s_or_b32 exec_lo, exec_lo, s0
	s_wait_loadcnt 0x0
	s_wait_storecnt 0x0
	s_barrier_signal -1
	s_barrier_wait -1
	global_inv scope:SCOPE_SE
	scratch_load_b64 v[3:4], off, off offset:184
	s_mov_b32 s0, exec_lo
	s_wait_loadcnt 0x0
	ds_store_b64 v1, v[3:4]
	s_wait_dscnt 0x0
	s_barrier_signal -1
	s_barrier_wait -1
	global_inv scope:SCOPE_SE
	v_cmpx_gt_u32_e32 23, v0
	s_cbranch_execz .LBB39_107
; %bb.104:
	v_dual_mov_b32 v3, 0 :: v_dual_add_nc_u32 v4, -1, v0
	v_dual_mov_b32 v6, v13 :: v_dual_add_nc_u32 v5, 0x140, v13
	v_mov_b32_e32 v8, 0
	s_mov_b32 s1, 0
.LBB39_105:                             ; =>This Inner Loop Header: Depth=1
	scratch_load_b64 v[9:10], v6, off
	ds_load_b64 v[11:12], v5
	v_add_nc_u32_e32 v6, 8, v6
	s_wait_loadcnt_dscnt 0x0
	v_dual_mul_f32 v14, v12, v10 :: v_dual_add_nc_u32 v5, 8, v5
	v_mul_f32_e32 v10, v11, v10
	s_delay_alu instid0(VALU_DEP_2) | instskip(NEXT) | instid1(VALU_DEP_2)
	v_fma_f32 v11, v11, v9, -v14
	v_fmac_f32_e32 v10, v12, v9
	v_add_nc_u32_e32 v4, 1, v4
	s_delay_alu instid0(VALU_DEP_2) | instskip(NEXT) | instid1(VALU_DEP_2)
	v_dual_add_f32 v8, v8, v11 :: v_dual_add_f32 v3, v3, v10
	v_cmp_lt_u32_e32 vcc_lo, 21, v4
	s_wait_alu 0xfffe
	s_or_b32 s1, vcc_lo, s1
	s_wait_alu 0xfffe
	s_and_not1_b32 exec_lo, exec_lo, s1
	s_cbranch_execnz .LBB39_105
; %bb.106:
	s_or_b32 exec_lo, exec_lo, s1
	v_mov_b32_e32 v4, 0
	ds_load_b64 v[4:5], v4 offset:184
	s_wait_dscnt 0x0
	v_mul_f32_e32 v9, v3, v5
	v_mul_f32_e32 v6, v8, v5
	s_delay_alu instid0(VALU_DEP_2) | instskip(NEXT) | instid1(VALU_DEP_2)
	v_fma_f32 v5, v8, v4, -v9
	v_fmac_f32_e32 v6, v3, v4
	scratch_store_b64 off, v[5:6], off offset:184
.LBB39_107:
	s_wait_alu 0xfffe
	s_or_b32 exec_lo, exec_lo, s0
	s_wait_loadcnt 0x0
	s_wait_storecnt 0x0
	s_barrier_signal -1
	s_barrier_wait -1
	global_inv scope:SCOPE_SE
	scratch_load_b64 v[3:4], off, off offset:192
	;; [unrolled: 53-line block ×16, first 2 shown]
	s_mov_b32 s0, exec_lo
	s_wait_loadcnt 0x0
	ds_store_b64 v1, v[3:4]
	s_wait_dscnt 0x0
	s_barrier_signal -1
	s_barrier_wait -1
	global_inv scope:SCOPE_SE
	v_cmpx_gt_u32_e32 38, v0
	s_cbranch_execz .LBB39_167
; %bb.164:
	v_dual_mov_b32 v3, 0 :: v_dual_add_nc_u32 v4, -1, v0
	v_dual_mov_b32 v6, v13 :: v_dual_add_nc_u32 v5, 0x140, v13
	v_mov_b32_e32 v8, 0
	s_mov_b32 s1, 0
.LBB39_165:                             ; =>This Inner Loop Header: Depth=1
	scratch_load_b64 v[9:10], v6, off
	ds_load_b64 v[11:12], v5
	v_add_nc_u32_e32 v6, 8, v6
	v_add_nc_u32_e32 v4, 1, v4
	;; [unrolled: 1-line block ×3, first 2 shown]
	s_delay_alu instid0(VALU_DEP_2)
	v_cmp_lt_u32_e32 vcc_lo, 36, v4
	s_wait_alu 0xfffe
	s_or_b32 s1, vcc_lo, s1
	s_wait_loadcnt_dscnt 0x0
	v_mul_f32_e32 v13, v12, v10
	v_mul_f32_e32 v10, v11, v10
	s_delay_alu instid0(VALU_DEP_2) | instskip(NEXT) | instid1(VALU_DEP_2)
	v_fma_f32 v11, v11, v9, -v13
	v_fmac_f32_e32 v10, v12, v9
	s_delay_alu instid0(VALU_DEP_1)
	v_dual_add_f32 v8, v8, v11 :: v_dual_add_f32 v3, v3, v10
	s_wait_alu 0xfffe
	s_and_not1_b32 exec_lo, exec_lo, s1
	s_cbranch_execnz .LBB39_165
; %bb.166:
	s_or_b32 exec_lo, exec_lo, s1
	v_mov_b32_e32 v4, 0
	ds_load_b64 v[4:5], v4 offset:304
	s_wait_dscnt 0x0
	v_mul_f32_e32 v9, v3, v5
	v_mul_f32_e32 v6, v8, v5
	s_delay_alu instid0(VALU_DEP_2) | instskip(NEXT) | instid1(VALU_DEP_2)
	v_fma_f32 v5, v8, v4, -v9
	v_fmac_f32_e32 v6, v3, v4
	scratch_store_b64 off, v[5:6], off offset:304
.LBB39_167:
	s_wait_alu 0xfffe
	s_or_b32 exec_lo, exec_lo, s0
	s_wait_loadcnt 0x0
	s_wait_storecnt 0x0
	s_barrier_signal -1
	s_barrier_wait -1
	global_inv scope:SCOPE_SE
	scratch_load_b64 v[3:4], off, off offset:312
	s_mov_b32 s0, exec_lo
	s_wait_loadcnt 0x0
	ds_store_b64 v1, v[3:4]
	s_wait_dscnt 0x0
	s_barrier_signal -1
	s_barrier_wait -1
	global_inv scope:SCOPE_SE
	v_cmpx_ne_u32_e32 39, v0
	s_cbranch_execz .LBB39_171
; %bb.168:
	v_dual_mov_b32 v3, 0 :: v_dual_mov_b32 v4, 0
	s_mov_b32 s1, 0
.LBB39_169:                             ; =>This Inner Loop Header: Depth=1
	scratch_load_b64 v[5:6], v7, off
	ds_load_b64 v[8:9], v1
	v_add_nc_u32_e32 v2, 1, v2
	v_add_nc_u32_e32 v1, 8, v1
	;; [unrolled: 1-line block ×3, first 2 shown]
	s_delay_alu instid0(VALU_DEP_3)
	v_cmp_lt_u32_e32 vcc_lo, 37, v2
	s_wait_alu 0xfffe
	s_or_b32 s1, vcc_lo, s1
	s_wait_loadcnt_dscnt 0x0
	v_mul_f32_e32 v10, v9, v6
	v_mul_f32_e32 v6, v8, v6
	s_delay_alu instid0(VALU_DEP_2) | instskip(NEXT) | instid1(VALU_DEP_2)
	v_fma_f32 v8, v8, v5, -v10
	v_fmac_f32_e32 v6, v9, v5
	s_delay_alu instid0(VALU_DEP_1)
	v_dual_add_f32 v4, v4, v8 :: v_dual_add_f32 v3, v3, v6
	s_wait_alu 0xfffe
	s_and_not1_b32 exec_lo, exec_lo, s1
	s_cbranch_execnz .LBB39_169
; %bb.170:
	s_or_b32 exec_lo, exec_lo, s1
	v_mov_b32_e32 v1, 0
	ds_load_b64 v[1:2], v1 offset:312
	s_wait_dscnt 0x0
	v_mul_f32_e32 v6, v3, v2
	v_mul_f32_e32 v5, v4, v2
	s_delay_alu instid0(VALU_DEP_2) | instskip(NEXT) | instid1(VALU_DEP_2)
	v_fma_f32 v4, v4, v1, -v6
	v_fmac_f32_e32 v5, v3, v1
	scratch_store_b64 off, v[4:5], off offset:312
.LBB39_171:
	s_wait_alu 0xfffe
	s_or_b32 exec_lo, exec_lo, s0
	s_mov_b32 s1, -1
	s_wait_loadcnt 0x0
	s_wait_storecnt 0x0
	s_barrier_signal -1
	s_barrier_wait -1
	global_inv scope:SCOPE_SE
.LBB39_172:
	s_wait_alu 0xfffe
	s_and_b32 vcc_lo, exec_lo, s1
	s_wait_alu 0xfffe
	s_cbranch_vccz .LBB39_174
; %bb.173:
	v_mov_b32_e32 v1, 0
	s_lshl_b64 s[0:1], s[16:17], 2
	s_wait_alu 0xfffe
	s_add_nc_u64 s[0:1], s[6:7], s[0:1]
	global_load_b32 v1, v1, s[0:1]
	s_wait_loadcnt 0x0
	v_cmp_ne_u32_e32 vcc_lo, 0, v1
	s_cbranch_vccz .LBB39_175
.LBB39_174:
	s_nop 0
	s_sendmsg sendmsg(MSG_DEALLOC_VGPRS)
	s_endpgm
.LBB39_175:
	v_lshl_add_u32 v23, v0, 3, 0x140
	s_mov_b32 s0, exec_lo
	v_cmpx_eq_u32_e32 39, v0
	s_cbranch_execz .LBB39_177
; %bb.176:
	scratch_load_b64 v[1:2], off, off offset:304
	v_mov_b32_e32 v3, 0
	s_delay_alu instid0(VALU_DEP_1)
	v_mov_b32_e32 v4, v3
	scratch_store_b64 off, v[3:4], off offset:304
	s_wait_loadcnt 0x0
	ds_store_b64 v23, v[1:2]
.LBB39_177:
	s_wait_alu 0xfffe
	s_or_b32 exec_lo, exec_lo, s0
	s_wait_storecnt_dscnt 0x0
	s_barrier_signal -1
	s_barrier_wait -1
	global_inv scope:SCOPE_SE
	s_clause 0x1
	scratch_load_b64 v[2:3], off, off offset:312
	scratch_load_b64 v[4:5], off, off offset:304
	v_mov_b32_e32 v1, 0
	s_mov_b32 s0, exec_lo
	ds_load_b64 v[6:7], v1 offset:632
	s_wait_loadcnt_dscnt 0x100
	v_mul_f32_e32 v8, v7, v3
	v_mul_f32_e32 v3, v6, v3
	s_delay_alu instid0(VALU_DEP_2) | instskip(NEXT) | instid1(VALU_DEP_2)
	v_fma_f32 v6, v6, v2, -v8
	v_fmac_f32_e32 v3, v7, v2
	s_delay_alu instid0(VALU_DEP_1) | instskip(SKIP_1) | instid1(VALU_DEP_1)
	v_dual_add_f32 v2, 0, v6 :: v_dual_add_f32 v3, 0, v3
	s_wait_loadcnt 0x0
	v_dual_sub_f32 v2, v4, v2 :: v_dual_sub_f32 v3, v5, v3
	scratch_store_b64 off, v[2:3], off offset:304
	v_cmpx_lt_u32_e32 37, v0
	s_cbranch_execz .LBB39_179
; %bb.178:
	scratch_load_b64 v[3:4], off, off offset:296
	v_mov_b32_e32 v2, v1
	scratch_store_b64 off, v[1:2], off offset:296
	s_wait_loadcnt 0x0
	ds_store_b64 v23, v[3:4]
.LBB39_179:
	s_wait_alu 0xfffe
	s_or_b32 exec_lo, exec_lo, s0
	s_wait_storecnt_dscnt 0x0
	s_barrier_signal -1
	s_barrier_wait -1
	global_inv scope:SCOPE_SE
	s_clause 0x1
	scratch_load_b128 v[2:5], off, off offset:304
	scratch_load_b64 v[10:11], off, off offset:296
	ds_load_b128 v[6:9], v1 offset:624
	s_mov_b32 s0, exec_lo
	s_wait_loadcnt_dscnt 0x100
	v_dual_mul_f32 v1, v7, v3 :: v_dual_mul_f32 v12, v8, v5
	v_mul_f32_e32 v3, v6, v3
	s_delay_alu instid0(VALU_DEP_2) | instskip(NEXT) | instid1(VALU_DEP_2)
	v_fma_f32 v1, v6, v2, -v1
	v_dual_fmac_f32 v12, v9, v4 :: v_dual_fmac_f32 v3, v7, v2
	s_delay_alu instid0(VALU_DEP_2) | instskip(NEXT) | instid1(VALU_DEP_2)
	v_add_f32_e32 v1, 0, v1
	v_add_f32_e32 v3, 0, v3
	v_mul_f32_e32 v5, v9, v5
	s_delay_alu instid0(VALU_DEP_1) | instskip(NEXT) | instid1(VALU_DEP_1)
	v_fma_f32 v2, v8, v4, -v5
	v_dual_add_f32 v1, v1, v2 :: v_dual_add_f32 v2, v3, v12
	s_wait_loadcnt 0x0
	s_delay_alu instid0(VALU_DEP_1)
	v_dual_sub_f32 v1, v10, v1 :: v_dual_sub_f32 v2, v11, v2
	scratch_store_b64 off, v[1:2], off offset:296
	v_cmpx_lt_u32_e32 36, v0
	s_cbranch_execz .LBB39_181
; %bb.180:
	scratch_load_b64 v[1:2], off, off offset:288
	v_mov_b32_e32 v3, 0
	s_delay_alu instid0(VALU_DEP_1)
	v_mov_b32_e32 v4, v3
	scratch_store_b64 off, v[3:4], off offset:288
	s_wait_loadcnt 0x0
	ds_store_b64 v23, v[1:2]
.LBB39_181:
	s_wait_alu 0xfffe
	s_or_b32 exec_lo, exec_lo, s0
	s_wait_storecnt_dscnt 0x0
	s_barrier_signal -1
	s_barrier_wait -1
	global_inv scope:SCOPE_SE
	s_clause 0x2
	scratch_load_b128 v[2:5], off, off offset:296
	scratch_load_b64 v[10:11], off, off offset:312
	scratch_load_b64 v[12:13], off, off offset:288
	v_mov_b32_e32 v1, 0
	ds_load_2addr_b64 v[6:9], v1 offset0:77 offset1:78
	ds_load_b64 v[14:15], v1 offset:632
	s_mov_b32 s0, exec_lo
	s_wait_loadcnt_dscnt 0x201
	v_dual_mul_f32 v16, v7, v3 :: v_dual_mul_f32 v17, v8, v5
	s_wait_loadcnt_dscnt 0x100
	v_mul_f32_e32 v18, v14, v11
	v_mul_f32_e32 v3, v6, v3
	;; [unrolled: 1-line block ×3, first 2 shown]
	v_fma_f32 v6, v6, v2, -v16
	s_delay_alu instid0(VALU_DEP_4) | instskip(NEXT) | instid1(VALU_DEP_4)
	v_fmac_f32_e32 v18, v15, v10
	v_fmac_f32_e32 v3, v7, v2
	v_mul_f32_e32 v2, v15, v11
	s_delay_alu instid0(VALU_DEP_1) | instskip(SKIP_3) | instid1(VALU_DEP_1)
	v_fma_f32 v2, v14, v10, -v2
	v_fmac_f32_e32 v17, v9, v4
	v_fma_f32 v4, v8, v4, -v5
	v_add_f32_e32 v5, 0, v6
	v_add_f32_e32 v4, v5, v4
	s_delay_alu instid0(VALU_DEP_1) | instskip(SKIP_1) | instid1(VALU_DEP_1)
	v_dual_add_f32 v2, v4, v2 :: v_dual_add_f32 v3, 0, v3
	s_wait_loadcnt 0x0
	v_dual_sub_f32 v2, v12, v2 :: v_dual_add_f32 v3, v3, v17
	s_delay_alu instid0(VALU_DEP_1) | instskip(NEXT) | instid1(VALU_DEP_1)
	v_add_f32_e32 v3, v3, v18
	v_sub_f32_e32 v3, v13, v3
	scratch_store_b64 off, v[2:3], off offset:288
	v_cmpx_lt_u32_e32 35, v0
	s_cbranch_execz .LBB39_183
; %bb.182:
	scratch_load_b64 v[3:4], off, off offset:280
	v_mov_b32_e32 v2, v1
	scratch_store_b64 off, v[1:2], off offset:280
	s_wait_loadcnt 0x0
	ds_store_b64 v23, v[3:4]
.LBB39_183:
	s_wait_alu 0xfffe
	s_or_b32 exec_lo, exec_lo, s0
	s_wait_storecnt_dscnt 0x0
	s_barrier_signal -1
	s_barrier_wait -1
	global_inv scope:SCOPE_SE
	s_clause 0x2
	scratch_load_b128 v[2:5], off, off offset:288
	scratch_load_b128 v[6:9], off, off offset:304
	scratch_load_b64 v[18:19], off, off offset:280
	ds_load_b128 v[10:13], v1 offset:608
	ds_load_b128 v[14:17], v1 offset:624
	s_mov_b32 s0, exec_lo
	s_wait_loadcnt_dscnt 0x201
	v_dual_mul_f32 v1, v10, v3 :: v_dual_mul_f32 v20, v12, v5
	s_wait_loadcnt_dscnt 0x100
	v_dual_mul_f32 v3, v11, v3 :: v_dual_mul_f32 v22, v16, v9
	v_mul_f32_e32 v5, v13, v5
	s_delay_alu instid0(VALU_DEP_3) | instskip(NEXT) | instid1(VALU_DEP_3)
	v_dual_mul_f32 v21, v14, v7 :: v_dual_fmac_f32 v20, v13, v4
	v_fma_f32 v3, v10, v2, -v3
	s_delay_alu instid0(VALU_DEP_4) | instskip(SKIP_2) | instid1(VALU_DEP_4)
	v_dual_fmac_f32 v1, v11, v2 :: v_dual_fmac_f32 v22, v17, v8
	v_mul_f32_e32 v2, v15, v7
	v_fma_f32 v4, v12, v4, -v5
	v_add_f32_e32 v3, 0, v3
	v_fmac_f32_e32 v21, v15, v6
	s_delay_alu instid0(VALU_DEP_4) | instskip(NEXT) | instid1(VALU_DEP_3)
	v_fma_f32 v2, v14, v6, -v2
	v_add_f32_e32 v3, v3, v4
	s_delay_alu instid0(VALU_DEP_1) | instskip(NEXT) | instid1(VALU_DEP_1)
	v_dual_add_f32 v1, 0, v1 :: v_dual_add_f32 v2, v3, v2
	v_add_f32_e32 v1, v1, v20
	s_delay_alu instid0(VALU_DEP_1) | instskip(NEXT) | instid1(VALU_DEP_1)
	v_add_f32_e32 v1, v1, v21
	v_add_f32_e32 v3, v1, v22
	v_mul_f32_e32 v5, v17, v9
	s_delay_alu instid0(VALU_DEP_1) | instskip(NEXT) | instid1(VALU_DEP_1)
	v_fma_f32 v4, v16, v8, -v5
	v_add_f32_e32 v2, v2, v4
	s_wait_loadcnt 0x0
	s_delay_alu instid0(VALU_DEP_1)
	v_dual_sub_f32 v1, v18, v2 :: v_dual_sub_f32 v2, v19, v3
	scratch_store_b64 off, v[1:2], off offset:280
	v_cmpx_lt_u32_e32 34, v0
	s_cbranch_execz .LBB39_185
; %bb.184:
	scratch_load_b64 v[1:2], off, off offset:272
	v_mov_b32_e32 v3, 0
	s_delay_alu instid0(VALU_DEP_1)
	v_mov_b32_e32 v4, v3
	scratch_store_b64 off, v[3:4], off offset:272
	s_wait_loadcnt 0x0
	ds_store_b64 v23, v[1:2]
.LBB39_185:
	s_wait_alu 0xfffe
	s_or_b32 exec_lo, exec_lo, s0
	s_wait_storecnt_dscnt 0x0
	s_barrier_signal -1
	s_barrier_wait -1
	global_inv scope:SCOPE_SE
	s_clause 0x3
	scratch_load_b128 v[2:5], off, off offset:280
	scratch_load_b128 v[6:9], off, off offset:296
	scratch_load_b64 v[18:19], off, off offset:312
	scratch_load_b64 v[20:21], off, off offset:272
	v_mov_b32_e32 v1, 0
	ds_load_2addr_b64 v[10:13], v1 offset0:75 offset1:76
	ds_load_2addr_b64 v[14:17], v1 offset0:77 offset1:78
	ds_load_b64 v[24:25], v1 offset:632
	s_mov_b32 s0, exec_lo
	s_wait_loadcnt_dscnt 0x302
	v_mul_f32_e32 v22, v10, v3
	v_dual_mul_f32 v26, v12, v5 :: v_dual_mul_f32 v3, v11, v3
	s_wait_loadcnt_dscnt 0x100
	v_mul_f32_e32 v109, v24, v19
	s_delay_alu instid0(VALU_DEP_3)
	v_dual_mul_f32 v5, v13, v5 :: v_dual_fmac_f32 v22, v11, v2
	v_dual_mul_f32 v27, v14, v7 :: v_dual_mul_f32 v108, v16, v9
	v_fma_f32 v3, v10, v2, -v3
	v_mul_f32_e32 v2, v15, v7
	v_fmac_f32_e32 v26, v13, v4
	v_fma_f32 v4, v12, v4, -v5
	v_dual_add_f32 v5, 0, v22 :: v_dual_fmac_f32 v108, v17, v8
	v_add_f32_e32 v3, 0, v3
	v_fma_f32 v2, v14, v6, -v2
	v_fmac_f32_e32 v27, v15, v6
	v_fmac_f32_e32 v109, v25, v18
	s_delay_alu instid0(VALU_DEP_4) | instskip(NEXT) | instid1(VALU_DEP_1)
	v_dual_add_f32 v3, v3, v4 :: v_dual_add_f32 v4, v5, v26
	v_dual_mul_f32 v7, v17, v9 :: v_dual_add_f32 v2, v3, v2
	s_delay_alu instid0(VALU_DEP_2) | instskip(NEXT) | instid1(VALU_DEP_2)
	v_add_f32_e32 v3, v4, v27
	v_fma_f32 v6, v16, v8, -v7
	s_delay_alu instid0(VALU_DEP_1) | instskip(NEXT) | instid1(VALU_DEP_1)
	v_dual_mul_f32 v5, v25, v19 :: v_dual_add_f32 v2, v2, v6
	v_fma_f32 v4, v24, v18, -v5
	s_delay_alu instid0(VALU_DEP_1) | instskip(SKIP_1) | instid1(VALU_DEP_1)
	v_add_f32_e32 v2, v2, v4
	s_wait_loadcnt 0x0
	v_dual_add_f32 v3, v3, v108 :: v_dual_sub_f32 v2, v20, v2
	s_delay_alu instid0(VALU_DEP_1) | instskip(NEXT) | instid1(VALU_DEP_1)
	v_add_f32_e32 v3, v3, v109
	v_sub_f32_e32 v3, v21, v3
	scratch_store_b64 off, v[2:3], off offset:272
	v_cmpx_lt_u32_e32 33, v0
	s_cbranch_execz .LBB39_187
; %bb.186:
	scratch_load_b64 v[3:4], off, off offset:264
	v_mov_b32_e32 v2, v1
	scratch_store_b64 off, v[1:2], off offset:264
	s_wait_loadcnt 0x0
	ds_store_b64 v23, v[3:4]
.LBB39_187:
	s_wait_alu 0xfffe
	s_or_b32 exec_lo, exec_lo, s0
	s_wait_storecnt_dscnt 0x0
	s_barrier_signal -1
	s_barrier_wait -1
	global_inv scope:SCOPE_SE
	s_clause 0x3
	scratch_load_b128 v[2:5], off, off offset:272
	scratch_load_b128 v[6:9], off, off offset:288
	;; [unrolled: 1-line block ×3, first 2 shown]
	scratch_load_b64 v[108:109], off, off offset:264
	ds_load_b128 v[14:17], v1 offset:592
	ds_load_b128 v[18:21], v1 offset:608
	;; [unrolled: 1-line block ×3, first 2 shown]
	s_mov_b32 s0, exec_lo
	s_wait_loadcnt_dscnt 0x302
	v_dual_mul_f32 v1, v14, v3 :: v_dual_mul_f32 v22, v16, v5
	v_mul_f32_e32 v3, v15, v3
	s_wait_loadcnt_dscnt 0x201
	v_dual_mul_f32 v5, v17, v5 :: v_dual_mul_f32 v110, v18, v7
	s_delay_alu instid0(VALU_DEP_3) | instskip(NEXT) | instid1(VALU_DEP_3)
	v_dual_mul_f32 v111, v20, v9 :: v_dual_fmac_f32 v22, v17, v4
	v_fma_f32 v3, v14, v2, -v3
	v_fmac_f32_e32 v1, v15, v2
	v_mul_f32_e32 v2, v19, v7
	v_fma_f32 v4, v16, v4, -v5
	s_wait_loadcnt_dscnt 0x100
	v_dual_mul_f32 v112, v24, v11 :: v_dual_mul_f32 v113, v26, v13
	v_dual_add_f32 v3, 0, v3 :: v_dual_fmac_f32 v110, v19, v6
	v_fma_f32 v2, v18, v6, -v2
	s_delay_alu instid0(VALU_DEP_3) | instskip(NEXT) | instid1(VALU_DEP_3)
	v_dual_fmac_f32 v112, v25, v10 :: v_dual_fmac_f32 v113, v27, v12
	v_dual_add_f32 v3, v3, v4 :: v_dual_mul_f32 v4, v25, v11
	s_delay_alu instid0(VALU_DEP_1) | instskip(NEXT) | instid1(VALU_DEP_2)
	v_dual_add_f32 v1, 0, v1 :: v_dual_add_f32 v2, v3, v2
	v_fma_f32 v4, v24, v10, -v4
	v_mul_f32_e32 v5, v21, v9
	v_mul_f32_e32 v3, v27, v13
	s_delay_alu instid0(VALU_DEP_2) | instskip(SKIP_1) | instid1(VALU_DEP_3)
	v_fma_f32 v5, v20, v8, -v5
	v_add_f32_e32 v1, v1, v22
	v_fma_f32 v3, v26, v12, -v3
	s_delay_alu instid0(VALU_DEP_2) | instskip(NEXT) | instid1(VALU_DEP_1)
	v_dual_add_f32 v2, v2, v5 :: v_dual_add_f32 v1, v1, v110
	v_add_f32_e32 v2, v2, v4
	s_delay_alu instid0(VALU_DEP_1) | instskip(NEXT) | instid1(VALU_DEP_1)
	v_dual_fmac_f32 v111, v21, v8 :: v_dual_add_f32 v2, v2, v3
	v_add_f32_e32 v1, v1, v111
	s_delay_alu instid0(VALU_DEP_1) | instskip(NEXT) | instid1(VALU_DEP_1)
	v_add_f32_e32 v1, v1, v112
	v_add_f32_e32 v3, v1, v113
	s_wait_loadcnt 0x0
	s_delay_alu instid0(VALU_DEP_1)
	v_dual_sub_f32 v1, v108, v2 :: v_dual_sub_f32 v2, v109, v3
	scratch_store_b64 off, v[1:2], off offset:264
	v_cmpx_lt_u32_e32 32, v0
	s_cbranch_execz .LBB39_189
; %bb.188:
	scratch_load_b64 v[1:2], off, off offset:256
	v_mov_b32_e32 v3, 0
	s_delay_alu instid0(VALU_DEP_1)
	v_mov_b32_e32 v4, v3
	scratch_store_b64 off, v[3:4], off offset:256
	s_wait_loadcnt 0x0
	ds_store_b64 v23, v[1:2]
.LBB39_189:
	s_wait_alu 0xfffe
	s_or_b32 exec_lo, exec_lo, s0
	s_wait_storecnt_dscnt 0x0
	s_barrier_signal -1
	s_barrier_wait -1
	global_inv scope:SCOPE_SE
	s_clause 0x4
	scratch_load_b128 v[2:5], off, off offset:264
	scratch_load_b128 v[6:9], off, off offset:280
	;; [unrolled: 1-line block ×3, first 2 shown]
	scratch_load_b64 v[108:109], off, off offset:312
	scratch_load_b64 v[110:111], off, off offset:256
	v_mov_b32_e32 v1, 0
	ds_load_2addr_b64 v[14:17], v1 offset0:73 offset1:74
	ds_load_2addr_b64 v[18:21], v1 offset0:75 offset1:76
	;; [unrolled: 1-line block ×3, first 2 shown]
	ds_load_b64 v[112:113], v1 offset:632
	s_mov_b32 s0, exec_lo
	s_wait_loadcnt_dscnt 0x403
	v_mul_f32_e32 v22, v14, v3
	s_wait_loadcnt_dscnt 0x302
	v_dual_mul_f32 v116, v20, v9 :: v_dual_mul_f32 v3, v15, v3
	v_dual_mul_f32 v114, v16, v5 :: v_dual_mul_f32 v115, v18, v7
	s_wait_loadcnt_dscnt 0x100
	v_dual_mul_f32 v119, v112, v109 :: v_dual_fmac_f32 v22, v15, v2
	v_mul_f32_e32 v5, v17, v5
	v_fma_f32 v3, v14, v2, -v3
	v_mul_f32_e32 v2, v19, v7
	v_fmac_f32_e32 v114, v17, v4
	v_fmac_f32_e32 v116, v21, v8
	v_fma_f32 v4, v16, v4, -v5
	v_add_f32_e32 v3, 0, v3
	v_add_f32_e32 v5, 0, v22
	v_fma_f32 v2, v18, v6, -v2
	v_fmac_f32_e32 v115, v19, v6
	v_dual_mul_f32 v117, v24, v11 :: v_dual_mul_f32 v118, v26, v13
	s_delay_alu instid0(VALU_DEP_4) | instskip(SKIP_1) | instid1(VALU_DEP_3)
	v_dual_add_f32 v3, v3, v4 :: v_dual_add_f32 v4, v5, v114
	v_mul_f32_e32 v7, v21, v9
	v_dual_mul_f32 v5, v25, v11 :: v_dual_fmac_f32 v118, v27, v12
	s_delay_alu instid0(VALU_DEP_3) | instskip(NEXT) | instid1(VALU_DEP_3)
	v_add_f32_e32 v2, v3, v2
	v_fma_f32 v6, v20, v8, -v7
	s_delay_alu instid0(VALU_DEP_1) | instskip(SKIP_3) | instid1(VALU_DEP_3)
	v_add_f32_e32 v2, v2, v6
	v_dual_mul_f32 v6, v113, v109 :: v_dual_add_f32 v3, v4, v115
	v_mul_f32_e32 v4, v27, v13
	v_fma_f32 v5, v24, v10, -v5
	v_add_f32_e32 v3, v3, v116
	s_delay_alu instid0(VALU_DEP_2) | instskip(NEXT) | instid1(VALU_DEP_4)
	v_dual_fmac_f32 v117, v25, v10 :: v_dual_add_f32 v2, v2, v5
	v_fma_f32 v4, v26, v12, -v4
	v_fma_f32 v5, v112, v108, -v6
	s_delay_alu instid0(VALU_DEP_2) | instskip(SKIP_1) | instid1(VALU_DEP_2)
	v_dual_add_f32 v3, v3, v117 :: v_dual_add_f32 v2, v2, v4
	v_fmac_f32_e32 v119, v113, v108
	v_dual_add_f32 v3, v3, v118 :: v_dual_add_f32 v2, v2, v5
	s_wait_loadcnt 0x0
	s_delay_alu instid0(VALU_DEP_1) | instskip(NEXT) | instid1(VALU_DEP_1)
	v_dual_add_f32 v3, v3, v119 :: v_dual_sub_f32 v2, v110, v2
	v_sub_f32_e32 v3, v111, v3
	scratch_store_b64 off, v[2:3], off offset:256
	v_cmpx_lt_u32_e32 31, v0
	s_cbranch_execz .LBB39_191
; %bb.190:
	scratch_load_b64 v[3:4], off, off offset:248
	v_mov_b32_e32 v2, v1
	scratch_store_b64 off, v[1:2], off offset:248
	s_wait_loadcnt 0x0
	ds_store_b64 v23, v[3:4]
.LBB39_191:
	s_wait_alu 0xfffe
	s_or_b32 exec_lo, exec_lo, s0
	s_wait_storecnt_dscnt 0x0
	s_barrier_signal -1
	s_barrier_wait -1
	global_inv scope:SCOPE_SE
	s_clause 0x4
	scratch_load_b128 v[2:5], off, off offset:256
	scratch_load_b128 v[6:9], off, off offset:272
	;; [unrolled: 1-line block ×4, first 2 shown]
	scratch_load_b64 v[116:117], off, off offset:248
	ds_load_b128 v[18:21], v1 offset:576
	ds_load_b128 v[24:27], v1 offset:592
	;; [unrolled: 1-line block ×4, first 2 shown]
	s_mov_b32 s0, exec_lo
	s_wait_loadcnt_dscnt 0x403
	v_dual_mul_f32 v1, v18, v3 :: v_dual_mul_f32 v22, v20, v5
	v_mul_f32_e32 v3, v19, v3
	s_wait_loadcnt_dscnt 0x302
	v_dual_mul_f32 v118, v24, v7 :: v_dual_mul_f32 v119, v26, v9
	s_delay_alu instid0(VALU_DEP_3) | instskip(NEXT) | instid1(VALU_DEP_3)
	v_dual_fmac_f32 v1, v19, v2 :: v_dual_fmac_f32 v22, v21, v4
	v_fma_f32 v3, v18, v2, -v3
	v_mul_f32_e32 v2, v25, v7
	s_wait_loadcnt_dscnt 0x201
	v_dual_mul_f32 v120, v108, v11 :: v_dual_mul_f32 v121, v110, v13
	s_delay_alu instid0(VALU_DEP_3) | instskip(NEXT) | instid1(VALU_DEP_3)
	v_dual_fmac_f32 v118, v25, v6 :: v_dual_add_f32 v3, 0, v3
	v_fma_f32 v2, v24, v6, -v2
	v_mul_f32_e32 v5, v21, v5
	s_delay_alu instid0(VALU_DEP_4) | instskip(SKIP_2) | instid1(VALU_DEP_3)
	v_dual_fmac_f32 v120, v109, v10 :: v_dual_add_f32 v1, 0, v1
	s_wait_loadcnt_dscnt 0x100
	v_dual_mul_f32 v122, v112, v15 :: v_dual_mul_f32 v123, v114, v17
	v_fma_f32 v4, v20, v4, -v5
	v_mul_f32_e32 v5, v27, v9
	s_delay_alu instid0(VALU_DEP_3) | instskip(NEXT) | instid1(VALU_DEP_4)
	v_dual_fmac_f32 v119, v27, v8 :: v_dual_fmac_f32 v122, v113, v14
	v_fmac_f32_e32 v123, v115, v16
	s_delay_alu instid0(VALU_DEP_3) | instskip(SKIP_1) | instid1(VALU_DEP_1)
	v_fma_f32 v5, v26, v8, -v5
	v_dual_add_f32 v3, v3, v4 :: v_dual_mul_f32 v4, v109, v11
	v_add_f32_e32 v2, v3, v2
	v_mul_f32_e32 v3, v111, v13
	s_delay_alu instid0(VALU_DEP_3) | instskip(NEXT) | instid1(VALU_DEP_3)
	v_fma_f32 v4, v108, v10, -v4
	v_dual_add_f32 v2, v2, v5 :: v_dual_add_f32 v1, v1, v22
	v_mul_f32_e32 v5, v113, v15
	s_delay_alu instid0(VALU_DEP_4) | instskip(NEXT) | instid1(VALU_DEP_3)
	v_fma_f32 v3, v110, v12, -v3
	v_dual_add_f32 v2, v2, v4 :: v_dual_add_f32 v1, v1, v118
	v_mul_f32_e32 v4, v115, v17
	v_fmac_f32_e32 v121, v111, v12
	v_fma_f32 v5, v112, v14, -v5
	s_delay_alu instid0(VALU_DEP_4) | instskip(SKIP_2) | instid1(VALU_DEP_2)
	v_add_f32_e32 v2, v2, v3
	v_add_f32_e32 v1, v1, v119
	v_fma_f32 v3, v114, v16, -v4
	v_dual_add_f32 v2, v2, v5 :: v_dual_add_f32 v1, v1, v120
	s_delay_alu instid0(VALU_DEP_1) | instskip(NEXT) | instid1(VALU_DEP_1)
	v_dual_add_f32 v2, v2, v3 :: v_dual_add_f32 v1, v1, v121
	v_add_f32_e32 v1, v1, v122
	s_delay_alu instid0(VALU_DEP_1) | instskip(SKIP_1) | instid1(VALU_DEP_1)
	v_add_f32_e32 v3, v1, v123
	s_wait_loadcnt 0x0
	v_dual_sub_f32 v1, v116, v2 :: v_dual_sub_f32 v2, v117, v3
	scratch_store_b64 off, v[1:2], off offset:248
	v_cmpx_lt_u32_e32 30, v0
	s_cbranch_execz .LBB39_193
; %bb.192:
	scratch_load_b64 v[1:2], off, off offset:240
	v_mov_b32_e32 v3, 0
	s_delay_alu instid0(VALU_DEP_1)
	v_mov_b32_e32 v4, v3
	scratch_store_b64 off, v[3:4], off offset:240
	s_wait_loadcnt 0x0
	ds_store_b64 v23, v[1:2]
.LBB39_193:
	s_wait_alu 0xfffe
	s_or_b32 exec_lo, exec_lo, s0
	s_wait_storecnt_dscnt 0x0
	s_barrier_signal -1
	s_barrier_wait -1
	global_inv scope:SCOPE_SE
	s_clause 0x5
	scratch_load_b128 v[2:5], off, off offset:248
	scratch_load_b128 v[6:9], off, off offset:264
	scratch_load_b128 v[10:13], off, off offset:280
	scratch_load_b128 v[14:17], off, off offset:296
	scratch_load_b64 v[116:117], off, off offset:312
	scratch_load_b64 v[118:119], off, off offset:240
	v_mov_b32_e32 v1, 0
	ds_load_2addr_b64 v[18:21], v1 offset0:71 offset1:72
	ds_load_2addr_b64 v[24:27], v1 offset0:73 offset1:74
	;; [unrolled: 1-line block ×4, first 2 shown]
	ds_load_b64 v[120:121], v1 offset:632
	s_mov_b32 s0, exec_lo
	s_wait_loadcnt_dscnt 0x504
	v_mul_f32_e32 v22, v18, v3
	v_dual_mul_f32 v122, v20, v5 :: v_dual_mul_f32 v3, v19, v3
	s_wait_loadcnt_dscnt 0x403
	v_dual_mul_f32 v123, v24, v7 :: v_dual_mul_f32 v124, v26, v9
	v_mul_f32_e32 v5, v21, v5
	s_wait_loadcnt_dscnt 0x100
	v_dual_mul_f32 v129, v120, v117 :: v_dual_fmac_f32 v22, v19, v2
	v_fma_f32 v3, v18, v2, -v3
	v_mul_f32_e32 v2, v25, v7
	v_fmac_f32_e32 v122, v21, v4
	v_fmac_f32_e32 v124, v27, v8
	v_fma_f32 v4, v20, v4, -v5
	v_add_f32_e32 v3, 0, v3
	v_add_f32_e32 v5, 0, v22
	v_mul_f32_e32 v7, v27, v9
	v_fma_f32 v2, v24, v6, -v2
	v_fmac_f32_e32 v123, v25, v6
	s_delay_alu instid0(VALU_DEP_4) | instskip(SKIP_3) | instid1(VALU_DEP_4)
	v_dual_add_f32 v3, v3, v4 :: v_dual_add_f32 v4, v5, v122
	v_mul_f32_e32 v5, v109, v11
	v_fma_f32 v6, v26, v8, -v7
	v_dual_mul_f32 v125, v108, v11 :: v_dual_mul_f32 v126, v110, v13
	v_dual_add_f32 v2, v3, v2 :: v_dual_add_f32 v3, v4, v123
	v_mul_f32_e32 v4, v111, v13
	v_fma_f32 v5, v108, v10, -v5
	s_delay_alu instid0(VALU_DEP_4) | instskip(NEXT) | instid1(VALU_DEP_4)
	v_fmac_f32_e32 v126, v111, v12
	v_add_f32_e32 v2, v2, v6
	v_fmac_f32_e32 v125, v109, v10
	v_dual_add_f32 v3, v3, v124 :: v_dual_mul_f32 v6, v113, v15
	v_fma_f32 v4, v110, v12, -v4
	s_delay_alu instid0(VALU_DEP_4) | instskip(SKIP_1) | instid1(VALU_DEP_4)
	v_dual_add_f32 v2, v2, v5 :: v_dual_mul_f32 v127, v112, v15
	v_mul_f32_e32 v128, v114, v17
	v_add_f32_e32 v3, v3, v125
	v_fma_f32 v6, v112, v14, -v6
	s_delay_alu instid0(VALU_DEP_4) | instskip(NEXT) | instid1(VALU_DEP_4)
	v_dual_add_f32 v2, v2, v4 :: v_dual_mul_f32 v5, v115, v17
	v_dual_fmac_f32 v127, v113, v14 :: v_dual_fmac_f32 v128, v115, v16
	s_delay_alu instid0(VALU_DEP_4) | instskip(NEXT) | instid1(VALU_DEP_3)
	v_dual_add_f32 v3, v3, v126 :: v_dual_mul_f32 v4, v121, v117
	v_add_f32_e32 v2, v2, v6
	s_delay_alu instid0(VALU_DEP_4) | instskip(NEXT) | instid1(VALU_DEP_3)
	v_fma_f32 v5, v114, v16, -v5
	v_add_f32_e32 v3, v3, v127
	s_delay_alu instid0(VALU_DEP_4) | instskip(NEXT) | instid1(VALU_DEP_2)
	v_fma_f32 v4, v120, v116, -v4
	v_dual_add_f32 v2, v2, v5 :: v_dual_add_f32 v3, v3, v128
	s_delay_alu instid0(VALU_DEP_1) | instskip(SKIP_1) | instid1(VALU_DEP_1)
	v_add_f32_e32 v2, v2, v4
	s_wait_loadcnt 0x0
	v_dual_fmac_f32 v129, v121, v116 :: v_dual_sub_f32 v2, v118, v2
	s_delay_alu instid0(VALU_DEP_1) | instskip(NEXT) | instid1(VALU_DEP_1)
	v_add_f32_e32 v3, v3, v129
	v_sub_f32_e32 v3, v119, v3
	scratch_store_b64 off, v[2:3], off offset:240
	v_cmpx_lt_u32_e32 29, v0
	s_cbranch_execz .LBB39_195
; %bb.194:
	scratch_load_b64 v[3:4], off, off offset:232
	v_mov_b32_e32 v2, v1
	scratch_store_b64 off, v[1:2], off offset:232
	s_wait_loadcnt 0x0
	ds_store_b64 v23, v[3:4]
.LBB39_195:
	s_wait_alu 0xfffe
	s_or_b32 exec_lo, exec_lo, s0
	s_wait_storecnt_dscnt 0x0
	s_barrier_signal -1
	s_barrier_wait -1
	global_inv scope:SCOPE_SE
	s_clause 0x5
	scratch_load_b128 v[2:5], off, off offset:240
	scratch_load_b128 v[6:9], off, off offset:256
	;; [unrolled: 1-line block ×5, first 2 shown]
	scratch_load_b64 v[124:125], off, off offset:232
	ds_load_b128 v[24:27], v1 offset:560
	ds_load_b128 v[108:111], v1 offset:576
	;; [unrolled: 1-line block ×5, first 2 shown]
	s_mov_b32 s0, exec_lo
	s_wait_loadcnt_dscnt 0x504
	v_dual_mul_f32 v1, v24, v3 :: v_dual_mul_f32 v22, v26, v5
	v_mul_f32_e32 v3, v25, v3
	s_wait_loadcnt_dscnt 0x403
	v_dual_mul_f32 v5, v27, v5 :: v_dual_mul_f32 v126, v108, v7
	s_delay_alu instid0(VALU_DEP_3) | instskip(NEXT) | instid1(VALU_DEP_3)
	v_dual_mul_f32 v127, v110, v9 :: v_dual_fmac_f32 v22, v27, v4
	v_fma_f32 v3, v24, v2, -v3
	v_fmac_f32_e32 v1, v25, v2
	v_mul_f32_e32 v2, v109, v7
	v_fma_f32 v4, v26, v4, -v5
	s_wait_loadcnt_dscnt 0x302
	v_dual_mul_f32 v128, v112, v11 :: v_dual_mul_f32 v129, v114, v13
	v_dual_add_f32 v3, 0, v3 :: v_dual_fmac_f32 v126, v109, v6
	s_wait_loadcnt_dscnt 0x201
	v_dual_mul_f32 v130, v116, v15 :: v_dual_mul_f32 v131, v118, v17
	s_delay_alu instid0(VALU_DEP_3) | instskip(SKIP_1) | instid1(VALU_DEP_3)
	v_dual_mul_f32 v5, v111, v9 :: v_dual_fmac_f32 v128, v113, v10
	v_fma_f32 v2, v108, v6, -v2
	v_dual_add_f32 v3, v3, v4 :: v_dual_fmac_f32 v130, v117, v14
	s_delay_alu instid0(VALU_DEP_3)
	v_fma_f32 v5, v110, v8, -v5
	v_mul_f32_e32 v4, v113, v11
	s_wait_loadcnt_dscnt 0x100
	v_dual_mul_f32 v132, v120, v19 :: v_dual_mul_f32 v133, v122, v21
	v_add_f32_e32 v2, v3, v2
	v_mul_f32_e32 v3, v115, v13
	v_fma_f32 v4, v112, v10, -v4
	s_delay_alu instid0(VALU_DEP_4) | instskip(NEXT) | instid1(VALU_DEP_4)
	v_dual_fmac_f32 v132, v121, v18 :: v_dual_fmac_f32 v131, v119, v16
	v_add_f32_e32 v2, v2, v5
	v_add_f32_e32 v1, 0, v1
	v_fma_f32 v3, v114, v12, -v3
	v_fmac_f32_e32 v133, v123, v20
	s_delay_alu instid0(VALU_DEP_3) | instskip(SKIP_1) | instid1(VALU_DEP_2)
	v_dual_add_f32 v2, v2, v4 :: v_dual_add_f32 v1, v1, v22
	v_mul_f32_e32 v4, v119, v17
	v_dual_fmac_f32 v127, v111, v8 :: v_dual_add_f32 v2, v2, v3
	s_delay_alu instid0(VALU_DEP_3) | instskip(NEXT) | instid1(VALU_DEP_3)
	v_add_f32_e32 v1, v1, v126
	v_fma_f32 v4, v118, v16, -v4
	v_mul_f32_e32 v5, v117, v15
	v_mul_f32_e32 v3, v121, v19
	s_delay_alu instid0(VALU_DEP_4) | instskip(NEXT) | instid1(VALU_DEP_3)
	v_add_f32_e32 v1, v1, v127
	v_fma_f32 v5, v116, v14, -v5
	v_fmac_f32_e32 v129, v115, v12
	s_delay_alu instid0(VALU_DEP_4) | instskip(NEXT) | instid1(VALU_DEP_3)
	v_fma_f32 v3, v120, v18, -v3
	v_add_f32_e32 v2, v2, v5
	s_delay_alu instid0(VALU_DEP_1) | instskip(SKIP_1) | instid1(VALU_DEP_2)
	v_dual_mul_f32 v5, v123, v21 :: v_dual_add_f32 v2, v2, v4
	v_add_f32_e32 v1, v1, v128
	v_fma_f32 v4, v122, v20, -v5
	s_delay_alu instid0(VALU_DEP_2) | instskip(NEXT) | instid1(VALU_DEP_1)
	v_dual_add_f32 v2, v2, v3 :: v_dual_add_f32 v1, v1, v129
	v_dual_add_f32 v2, v2, v4 :: v_dual_add_f32 v1, v1, v130
	s_delay_alu instid0(VALU_DEP_1) | instskip(NEXT) | instid1(VALU_DEP_1)
	v_add_f32_e32 v1, v1, v131
	v_add_f32_e32 v1, v1, v132
	s_delay_alu instid0(VALU_DEP_1) | instskip(SKIP_1) | instid1(VALU_DEP_1)
	v_add_f32_e32 v3, v1, v133
	s_wait_loadcnt 0x0
	v_dual_sub_f32 v1, v124, v2 :: v_dual_sub_f32 v2, v125, v3
	scratch_store_b64 off, v[1:2], off offset:232
	v_cmpx_lt_u32_e32 28, v0
	s_cbranch_execz .LBB39_197
; %bb.196:
	scratch_load_b64 v[1:2], off, off offset:224
	v_mov_b32_e32 v3, 0
	s_delay_alu instid0(VALU_DEP_1)
	v_mov_b32_e32 v4, v3
	scratch_store_b64 off, v[3:4], off offset:224
	s_wait_loadcnt 0x0
	ds_store_b64 v23, v[1:2]
.LBB39_197:
	s_wait_alu 0xfffe
	s_or_b32 exec_lo, exec_lo, s0
	s_wait_storecnt_dscnt 0x0
	s_barrier_signal -1
	s_barrier_wait -1
	global_inv scope:SCOPE_SE
	s_clause 0x6
	scratch_load_b128 v[2:5], off, off offset:232
	scratch_load_b128 v[6:9], off, off offset:248
	scratch_load_b128 v[10:13], off, off offset:264
	scratch_load_b128 v[14:17], off, off offset:280
	scratch_load_b128 v[18:21], off, off offset:296
	scratch_load_b64 v[124:125], off, off offset:312
	scratch_load_b64 v[126:127], off, off offset:224
	v_mov_b32_e32 v1, 0
	ds_load_2addr_b64 v[24:27], v1 offset0:69 offset1:70
	ds_load_2addr_b64 v[108:111], v1 offset0:71 offset1:72
	;; [unrolled: 1-line block ×5, first 2 shown]
	ds_load_b64 v[128:129], v1 offset:632
	s_mov_b32 s0, exec_lo
	s_wait_loadcnt_dscnt 0x605
	v_mul_f32_e32 v22, v24, v3
	v_dual_mul_f32 v3, v25, v3 :: v_dual_mul_f32 v130, v26, v5
	s_wait_loadcnt_dscnt 0x302
	v_dual_mul_f32 v131, v108, v7 :: v_dual_mul_f32 v136, v118, v17
	v_mul_f32_e32 v5, v27, v5
	s_delay_alu instid0(VALU_DEP_3)
	v_fma_f32 v3, v24, v2, -v3
	v_dual_mul_f32 v132, v110, v9 :: v_dual_mul_f32 v133, v112, v11
	s_wait_loadcnt_dscnt 0x100
	v_dual_mul_f32 v139, v128, v125 :: v_dual_fmac_f32 v22, v25, v2
	v_mul_f32_e32 v2, v109, v7
	v_dual_fmac_f32 v130, v27, v4 :: v_dual_add_f32 v3, 0, v3
	v_fma_f32 v4, v26, v4, -v5
	s_delay_alu instid0(VALU_DEP_4) | instskip(SKIP_2) | instid1(VALU_DEP_4)
	v_dual_add_f32 v5, 0, v22 :: v_dual_fmac_f32 v132, v111, v8
	v_mul_f32_e32 v7, v111, v9
	v_fma_f32 v2, v108, v6, -v2
	v_add_f32_e32 v3, v3, v4
	v_fmac_f32_e32 v131, v109, v6
	v_add_f32_e32 v4, v5, v130
	v_mul_f32_e32 v5, v113, v11
	v_fma_f32 v6, v110, v8, -v7
	v_add_f32_e32 v2, v3, v2
	v_dual_mul_f32 v134, v114, v13 :: v_dual_mul_f32 v135, v116, v15
	v_dual_add_f32 v3, v4, v131 :: v_dual_mul_f32 v4, v115, v13
	v_fma_f32 v5, v112, v10, -v5
	s_delay_alu instid0(VALU_DEP_4)
	v_add_f32_e32 v2, v2, v6
	v_fmac_f32_e32 v133, v113, v10
	v_mul_f32_e32 v6, v117, v15
	v_fmac_f32_e32 v134, v115, v12
	v_add_f32_e32 v3, v3, v132
	v_fma_f32 v4, v114, v12, -v4
	v_add_f32_e32 v2, v2, v5
	v_mul_f32_e32 v5, v119, v17
	v_fma_f32 v6, v116, v14, -v6
	v_add_f32_e32 v3, v3, v133
	v_dual_fmac_f32 v135, v117, v14 :: v_dual_fmac_f32 v136, v119, v16
	v_add_f32_e32 v2, v2, v4
	v_mul_f32_e32 v4, v121, v19
	v_fma_f32 v5, v118, v16, -v5
	v_dual_mul_f32 v137, v120, v19 :: v_dual_mul_f32 v138, v122, v21
	s_delay_alu instid0(VALU_DEP_4) | instskip(SKIP_1) | instid1(VALU_DEP_3)
	v_add_f32_e32 v2, v2, v6
	v_add_f32_e32 v3, v3, v134
	v_dual_mul_f32 v6, v123, v21 :: v_dual_fmac_f32 v137, v121, v18
	v_fma_f32 v4, v120, v18, -v4
	s_delay_alu instid0(VALU_DEP_3) | instskip(SKIP_1) | instid1(VALU_DEP_4)
	v_dual_add_f32 v2, v2, v5 :: v_dual_add_f32 v3, v3, v135
	v_dual_mul_f32 v5, v129, v125 :: v_dual_fmac_f32 v138, v123, v20
	v_fma_f32 v6, v122, v20, -v6
	s_delay_alu instid0(VALU_DEP_3) | instskip(NEXT) | instid1(VALU_DEP_4)
	v_add_f32_e32 v2, v2, v4
	v_add_f32_e32 v3, v3, v136
	s_delay_alu instid0(VALU_DEP_4) | instskip(NEXT) | instid1(VALU_DEP_2)
	v_fma_f32 v4, v128, v124, -v5
	v_dual_add_f32 v2, v2, v6 :: v_dual_add_f32 v3, v3, v137
	s_delay_alu instid0(VALU_DEP_1) | instskip(SKIP_1) | instid1(VALU_DEP_1)
	v_dual_add_f32 v2, v2, v4 :: v_dual_add_f32 v3, v3, v138
	s_wait_loadcnt 0x0
	v_dual_fmac_f32 v139, v129, v124 :: v_dual_sub_f32 v2, v126, v2
	s_delay_alu instid0(VALU_DEP_1) | instskip(NEXT) | instid1(VALU_DEP_1)
	v_add_f32_e32 v3, v3, v139
	v_sub_f32_e32 v3, v127, v3
	scratch_store_b64 off, v[2:3], off offset:224
	v_cmpx_lt_u32_e32 27, v0
	s_cbranch_execz .LBB39_199
; %bb.198:
	scratch_load_b64 v[3:4], off, off offset:216
	v_mov_b32_e32 v2, v1
	scratch_store_b64 off, v[1:2], off offset:216
	s_wait_loadcnt 0x0
	ds_store_b64 v23, v[3:4]
.LBB39_199:
	s_wait_alu 0xfffe
	s_or_b32 exec_lo, exec_lo, s0
	s_wait_storecnt_dscnt 0x0
	s_barrier_signal -1
	s_barrier_wait -1
	global_inv scope:SCOPE_SE
	s_clause 0x6
	scratch_load_b128 v[2:5], off, off offset:224
	scratch_load_b128 v[6:9], off, off offset:240
	;; [unrolled: 1-line block ×6, first 2 shown]
	scratch_load_b64 v[132:133], off, off offset:216
	ds_load_b128 v[108:111], v1 offset:544
	ds_load_b128 v[112:115], v1 offset:560
	;; [unrolled: 1-line block ×6, first 2 shown]
	s_mov_b32 s0, exec_lo
	s_wait_loadcnt_dscnt 0x605
	v_dual_mul_f32 v1, v108, v3 :: v_dual_mul_f32 v22, v110, v5
	v_mul_f32_e32 v3, v109, v3
	s_wait_loadcnt_dscnt 0x504
	v_dual_mul_f32 v5, v111, v5 :: v_dual_mul_f32 v134, v112, v7
	v_mul_f32_e32 v135, v114, v9
	s_wait_loadcnt_dscnt 0x100
	v_mul_f32_e32 v142, v128, v25
	v_fma_f32 v3, v108, v2, -v3
	v_dual_mul_f32 v143, v130, v27 :: v_dual_fmac_f32 v22, v111, v4
	v_fmac_f32_e32 v1, v109, v2
	v_mul_f32_e32 v2, v113, v7
	v_fma_f32 v4, v110, v4, -v5
	v_dual_add_f32 v3, 0, v3 :: v_dual_fmac_f32 v134, v113, v6
	v_dual_mul_f32 v136, v116, v11 :: v_dual_mul_f32 v137, v118, v13
	v_dual_mul_f32 v138, v120, v15 :: v_dual_mul_f32 v139, v122, v17
	s_delay_alu instid0(VALU_DEP_2) | instskip(SKIP_1) | instid1(VALU_DEP_3)
	v_dual_mul_f32 v5, v115, v9 :: v_dual_fmac_f32 v136, v117, v10
	v_fma_f32 v2, v112, v6, -v2
	v_dual_add_f32 v3, v3, v4 :: v_dual_fmac_f32 v138, v121, v14
	s_delay_alu instid0(VALU_DEP_3) | instskip(SKIP_2) | instid1(VALU_DEP_4)
	v_fma_f32 v5, v114, v8, -v5
	v_mul_f32_e32 v4, v117, v11
	v_dual_mul_f32 v140, v124, v19 :: v_dual_mul_f32 v141, v126, v21
	v_add_f32_e32 v2, v3, v2
	v_mul_f32_e32 v3, v119, v13
	s_delay_alu instid0(VALU_DEP_4) | instskip(NEXT) | instid1(VALU_DEP_4)
	v_fma_f32 v4, v116, v10, -v4
	v_dual_fmac_f32 v140, v125, v18 :: v_dual_fmac_f32 v139, v123, v16
	s_delay_alu instid0(VALU_DEP_4) | instskip(SKIP_3) | instid1(VALU_DEP_4)
	v_add_f32_e32 v2, v2, v5
	v_add_f32_e32 v1, 0, v1
	v_fma_f32 v3, v118, v12, -v3
	v_fmac_f32_e32 v141, v127, v20
	v_dual_fmac_f32 v143, v131, v26 :: v_dual_add_f32 v2, v2, v4
	s_delay_alu instid0(VALU_DEP_4) | instskip(SKIP_2) | instid1(VALU_DEP_3)
	v_dual_add_f32 v1, v1, v22 :: v_dual_mul_f32 v4, v123, v17
	v_fmac_f32_e32 v135, v115, v8
	v_fmac_f32_e32 v142, v129, v24
	v_dual_add_f32 v2, v2, v3 :: v_dual_add_f32 v1, v1, v134
	s_delay_alu instid0(VALU_DEP_4) | instskip(SKIP_1) | instid1(VALU_DEP_3)
	v_fma_f32 v4, v122, v16, -v4
	v_mul_f32_e32 v5, v121, v15
	v_add_f32_e32 v1, v1, v135
	s_delay_alu instid0(VALU_DEP_2) | instskip(NEXT) | instid1(VALU_DEP_1)
	v_fma_f32 v5, v120, v14, -v5
	v_dual_fmac_f32 v137, v119, v12 :: v_dual_add_f32 v2, v2, v5
	s_delay_alu instid0(VALU_DEP_1) | instskip(NEXT) | instid1(VALU_DEP_1)
	v_dual_mul_f32 v5, v127, v21 :: v_dual_add_f32 v2, v2, v4
	v_fma_f32 v5, v126, v20, -v5
	v_mul_f32_e32 v3, v125, v19
	v_mul_f32_e32 v4, v129, v25
	s_delay_alu instid0(VALU_DEP_2) | instskip(SKIP_1) | instid1(VALU_DEP_3)
	v_fma_f32 v3, v124, v18, -v3
	v_add_f32_e32 v1, v1, v136
	v_fma_f32 v4, v128, v24, -v4
	s_delay_alu instid0(VALU_DEP_3) | instskip(NEXT) | instid1(VALU_DEP_1)
	v_add_f32_e32 v2, v2, v3
	v_dual_mul_f32 v3, v131, v27 :: v_dual_add_f32 v2, v2, v5
	s_delay_alu instid0(VALU_DEP_4) | instskip(NEXT) | instid1(VALU_DEP_2)
	v_add_f32_e32 v1, v1, v137
	v_fma_f32 v3, v130, v26, -v3
	s_delay_alu instid0(VALU_DEP_2) | instskip(NEXT) | instid1(VALU_DEP_1)
	v_dual_add_f32 v2, v2, v4 :: v_dual_add_f32 v1, v1, v138
	v_add_f32_e32 v2, v2, v3
	s_delay_alu instid0(VALU_DEP_2) | instskip(NEXT) | instid1(VALU_DEP_1)
	v_add_f32_e32 v1, v1, v139
	v_add_f32_e32 v1, v1, v140
	s_delay_alu instid0(VALU_DEP_1) | instskip(NEXT) | instid1(VALU_DEP_1)
	v_add_f32_e32 v1, v1, v141
	v_add_f32_e32 v1, v1, v142
	s_delay_alu instid0(VALU_DEP_1) | instskip(SKIP_1) | instid1(VALU_DEP_1)
	v_add_f32_e32 v3, v1, v143
	s_wait_loadcnt 0x0
	v_dual_sub_f32 v1, v132, v2 :: v_dual_sub_f32 v2, v133, v3
	scratch_store_b64 off, v[1:2], off offset:216
	v_cmpx_lt_u32_e32 26, v0
	s_cbranch_execz .LBB39_201
; %bb.200:
	scratch_load_b64 v[1:2], off, off offset:208
	v_mov_b32_e32 v3, 0
	s_delay_alu instid0(VALU_DEP_1)
	v_mov_b32_e32 v4, v3
	scratch_store_b64 off, v[3:4], off offset:208
	s_wait_loadcnt 0x0
	ds_store_b64 v23, v[1:2]
.LBB39_201:
	s_wait_alu 0xfffe
	s_or_b32 exec_lo, exec_lo, s0
	s_wait_storecnt_dscnt 0x0
	s_barrier_signal -1
	s_barrier_wait -1
	global_inv scope:SCOPE_SE
	s_clause 0x7
	scratch_load_b128 v[2:5], off, off offset:216
	scratch_load_b128 v[6:9], off, off offset:232
	;; [unrolled: 1-line block ×6, first 2 shown]
	scratch_load_b64 v[132:133], off, off offset:312
	scratch_load_b64 v[134:135], off, off offset:208
	v_mov_b32_e32 v1, 0
	ds_load_2addr_b64 v[108:111], v1 offset0:67 offset1:68
	ds_load_2addr_b64 v[112:115], v1 offset0:69 offset1:70
	;; [unrolled: 1-line block ×6, first 2 shown]
	ds_load_b64 v[136:137], v1 offset:632
	s_mov_b32 s0, exec_lo
	s_wait_loadcnt_dscnt 0x706
	v_mul_f32_e32 v22, v108, v3
	v_dual_mul_f32 v3, v109, v3 :: v_dual_mul_f32 v138, v110, v5
	s_wait_loadcnt_dscnt 0x302
	v_dual_mul_f32 v139, v112, v7 :: v_dual_mul_f32 v146, v126, v21
	v_mul_f32_e32 v5, v111, v5
	s_delay_alu instid0(VALU_DEP_3)
	v_fma_f32 v3, v108, v2, -v3
	v_dual_mul_f32 v140, v114, v9 :: v_dual_mul_f32 v141, v116, v11
	s_wait_loadcnt_dscnt 0x100
	v_dual_mul_f32 v149, v136, v133 :: v_dual_fmac_f32 v22, v109, v2
	v_mul_f32_e32 v2, v113, v7
	v_dual_fmac_f32 v138, v111, v4 :: v_dual_add_f32 v3, 0, v3
	v_fma_f32 v4, v110, v4, -v5
	s_delay_alu instid0(VALU_DEP_4) | instskip(SKIP_2) | instid1(VALU_DEP_4)
	v_dual_add_f32 v5, 0, v22 :: v_dual_fmac_f32 v140, v115, v8
	v_mul_f32_e32 v7, v115, v9
	v_fma_f32 v2, v112, v6, -v2
	v_add_f32_e32 v3, v3, v4
	v_fmac_f32_e32 v139, v113, v6
	v_add_f32_e32 v4, v5, v138
	v_mul_f32_e32 v5, v117, v11
	v_fma_f32 v6, v114, v8, -v7
	v_add_f32_e32 v2, v3, v2
	v_dual_mul_f32 v142, v118, v13 :: v_dual_mul_f32 v143, v120, v15
	v_dual_add_f32 v3, v4, v139 :: v_dual_mul_f32 v4, v119, v13
	v_fma_f32 v5, v116, v10, -v5
	s_delay_alu instid0(VALU_DEP_4)
	v_add_f32_e32 v2, v2, v6
	v_fmac_f32_e32 v141, v117, v10
	v_mul_f32_e32 v6, v121, v15
	v_fmac_f32_e32 v142, v119, v12
	v_add_f32_e32 v3, v3, v140
	v_fma_f32 v4, v118, v12, -v4
	v_add_f32_e32 v2, v2, v5
	v_dual_mul_f32 v144, v122, v17 :: v_dual_mul_f32 v145, v124, v19
	s_delay_alu instid0(VALU_DEP_4)
	v_add_f32_e32 v3, v3, v141
	v_mul_f32_e32 v5, v123, v17
	v_fma_f32 v6, v120, v14, -v6
	v_dual_add_f32 v2, v2, v4 :: v_dual_fmac_f32 v143, v121, v14
	v_fmac_f32_e32 v144, v123, v16
	v_mul_f32_e32 v4, v125, v19
	v_fma_f32 v5, v122, v16, -v5
	s_delay_alu instid0(VALU_DEP_4) | instskip(SKIP_3) | instid1(VALU_DEP_3)
	v_add_f32_e32 v2, v2, v6
	v_add_f32_e32 v3, v3, v142
	v_dual_mul_f32 v6, v127, v21 :: v_dual_fmac_f32 v145, v125, v18
	v_fma_f32 v4, v124, v18, -v4
	v_dual_add_f32 v2, v2, v5 :: v_dual_add_f32 v3, v3, v143
	s_delay_alu instid0(VALU_DEP_3) | instskip(SKIP_1) | instid1(VALU_DEP_3)
	v_fma_f32 v6, v126, v20, -v6
	v_dual_mul_f32 v147, v128, v25 :: v_dual_mul_f32 v148, v130, v27
	v_add_f32_e32 v2, v2, v4
	s_delay_alu instid0(VALU_DEP_4) | instskip(SKIP_1) | instid1(VALU_DEP_4)
	v_add_f32_e32 v3, v3, v144
	v_dual_mul_f32 v5, v129, v25 :: v_dual_fmac_f32 v146, v127, v20
	v_dual_mul_f32 v4, v131, v27 :: v_dual_fmac_f32 v147, v129, v24
	s_delay_alu instid0(VALU_DEP_3) | instskip(NEXT) | instid1(VALU_DEP_3)
	v_dual_add_f32 v2, v2, v6 :: v_dual_add_f32 v3, v3, v145
	v_fma_f32 v5, v128, v24, -v5
	v_mul_f32_e32 v6, v137, v133
	v_dual_fmac_f32 v148, v131, v26 :: v_dual_fmac_f32 v149, v137, v132
	s_delay_alu instid0(VALU_DEP_4) | instskip(SKIP_3) | instid1(VALU_DEP_4)
	v_add_f32_e32 v3, v3, v146
	v_fma_f32 v4, v130, v26, -v4
	v_add_f32_e32 v2, v2, v5
	v_fma_f32 v5, v136, v132, -v6
	v_add_f32_e32 v3, v3, v147
	s_delay_alu instid0(VALU_DEP_1) | instskip(NEXT) | instid1(VALU_DEP_1)
	v_add_f32_e32 v3, v3, v148
	v_dual_add_f32 v2, v2, v4 :: v_dual_add_f32 v3, v3, v149
	s_wait_loadcnt 0x0
	s_delay_alu instid0(VALU_DEP_1) | instskip(NEXT) | instid1(VALU_DEP_1)
	v_dual_add_f32 v2, v2, v5 :: v_dual_sub_f32 v3, v135, v3
	v_sub_f32_e32 v2, v134, v2
	scratch_store_b64 off, v[2:3], off offset:208
	v_cmpx_lt_u32_e32 25, v0
	s_cbranch_execz .LBB39_203
; %bb.202:
	scratch_load_b64 v[3:4], off, off offset:200
	v_mov_b32_e32 v2, v1
	scratch_store_b64 off, v[1:2], off offset:200
	s_wait_loadcnt 0x0
	ds_store_b64 v23, v[3:4]
.LBB39_203:
	s_wait_alu 0xfffe
	s_or_b32 exec_lo, exec_lo, s0
	s_wait_storecnt_dscnt 0x0
	s_barrier_signal -1
	s_barrier_wait -1
	global_inv scope:SCOPE_SE
	s_clause 0x7
	scratch_load_b128 v[2:5], off, off offset:208
	scratch_load_b128 v[6:9], off, off offset:224
	;; [unrolled: 1-line block ×7, first 2 shown]
	scratch_load_b64 v[140:141], off, off offset:200
	ds_load_b128 v[112:115], v1 offset:528
	ds_load_b128 v[116:119], v1 offset:544
	;; [unrolled: 1-line block ×7, first 2 shown]
	s_mov_b32 s0, exec_lo
	s_wait_loadcnt_dscnt 0x706
	v_dual_mul_f32 v1, v112, v3 :: v_dual_mul_f32 v22, v114, v5
	v_mul_f32_e32 v3, v113, v3
	s_wait_loadcnt_dscnt 0x605
	v_dual_mul_f32 v5, v115, v5 :: v_dual_mul_f32 v142, v116, v7
	v_mul_f32_e32 v143, v118, v9
	s_wait_loadcnt_dscnt 0x201
	v_mul_f32_e32 v150, v132, v25
	v_fma_f32 v3, v112, v2, -v3
	s_wait_loadcnt_dscnt 0x100
	v_dual_mul_f32 v153, v138, v111 :: v_dual_fmac_f32 v22, v115, v4
	v_fmac_f32_e32 v1, v113, v2
	v_mul_f32_e32 v2, v117, v7
	v_fma_f32 v4, v114, v4, -v5
	v_dual_add_f32 v3, 0, v3 :: v_dual_fmac_f32 v142, v117, v6
	v_dual_mul_f32 v144, v120, v11 :: v_dual_mul_f32 v145, v122, v13
	v_dual_mul_f32 v146, v124, v15 :: v_dual_mul_f32 v147, v126, v17
	s_delay_alu instid0(VALU_DEP_2) | instskip(SKIP_1) | instid1(VALU_DEP_3)
	v_dual_mul_f32 v5, v119, v9 :: v_dual_fmac_f32 v144, v121, v10
	v_fma_f32 v2, v116, v6, -v2
	v_dual_add_f32 v3, v3, v4 :: v_dual_fmac_f32 v146, v125, v14
	s_delay_alu instid0(VALU_DEP_3) | instskip(SKIP_1) | instid1(VALU_DEP_3)
	v_fma_f32 v5, v118, v8, -v5
	v_dual_mul_f32 v148, v128, v19 :: v_dual_mul_f32 v149, v130, v21
	v_add_f32_e32 v2, v3, v2
	v_dual_mul_f32 v4, v121, v11 :: v_dual_mul_f32 v3, v123, v13
	s_delay_alu instid0(VALU_DEP_3) | instskip(NEXT) | instid1(VALU_DEP_3)
	v_dual_fmac_f32 v148, v129, v18 :: v_dual_fmac_f32 v147, v127, v16
	v_add_f32_e32 v2, v2, v5
	v_add_f32_e32 v1, 0, v1
	s_delay_alu instid0(VALU_DEP_4) | instskip(SKIP_2) | instid1(VALU_DEP_3)
	v_fma_f32 v4, v120, v10, -v4
	v_fma_f32 v3, v122, v12, -v3
	v_dual_mul_f32 v151, v134, v27 :: v_dual_mul_f32 v152, v136, v109
	v_dual_add_f32 v1, v1, v22 :: v_dual_add_f32 v2, v2, v4
	v_mul_f32_e32 v4, v127, v17
	v_fmac_f32_e32 v143, v119, v8
	s_delay_alu instid0(VALU_DEP_4) | instskip(NEXT) | instid1(VALU_DEP_4)
	v_fmac_f32_e32 v151, v135, v26
	v_dual_add_f32 v1, v1, v142 :: v_dual_add_f32 v2, v2, v3
	s_delay_alu instid0(VALU_DEP_4) | instskip(SKIP_2) | instid1(VALU_DEP_4)
	v_fma_f32 v4, v126, v16, -v4
	v_mul_f32_e32 v5, v125, v15
	v_fmac_f32_e32 v153, v139, v110
	v_add_f32_e32 v1, v1, v143
	v_fmac_f32_e32 v150, v133, v24
	v_fmac_f32_e32 v152, v137, v108
	v_fma_f32 v5, v124, v14, -v5
	s_delay_alu instid0(VALU_DEP_1) | instskip(NEXT) | instid1(VALU_DEP_1)
	v_dual_fmac_f32 v145, v123, v12 :: v_dual_add_f32 v2, v2, v5
	v_dual_mul_f32 v5, v131, v21 :: v_dual_add_f32 v2, v2, v4
	s_delay_alu instid0(VALU_DEP_1) | instskip(SKIP_2) | instid1(VALU_DEP_2)
	v_fma_f32 v5, v130, v20, -v5
	v_mul_f32_e32 v3, v129, v19
	v_mul_f32_e32 v4, v133, v25
	v_fma_f32 v3, v128, v18, -v3
	v_add_f32_e32 v1, v1, v144
	s_delay_alu instid0(VALU_DEP_3) | instskip(NEXT) | instid1(VALU_DEP_3)
	v_fma_f32 v4, v132, v24, -v4
	v_add_f32_e32 v2, v2, v3
	s_delay_alu instid0(VALU_DEP_1) | instskip(NEXT) | instid1(VALU_DEP_4)
	v_dual_mul_f32 v3, v135, v27 :: v_dual_add_f32 v2, v2, v5
	v_add_f32_e32 v1, v1, v145
	v_mul_f32_e32 v5, v137, v109
	s_delay_alu instid0(VALU_DEP_3) | instskip(NEXT) | instid1(VALU_DEP_3)
	v_fma_f32 v3, v134, v26, -v3
	v_dual_add_f32 v2, v2, v4 :: v_dual_add_f32 v1, v1, v146
	v_mul_f32_e32 v4, v139, v111
	v_fmac_f32_e32 v149, v131, v20
	v_fma_f32 v5, v136, v108, -v5
	s_delay_alu instid0(VALU_DEP_4) | instskip(SKIP_2) | instid1(VALU_DEP_2)
	v_add_f32_e32 v2, v2, v3
	v_add_f32_e32 v1, v1, v147
	v_fma_f32 v3, v138, v110, -v4
	v_dual_add_f32 v2, v2, v5 :: v_dual_add_f32 v1, v1, v148
	s_delay_alu instid0(VALU_DEP_1) | instskip(NEXT) | instid1(VALU_DEP_1)
	v_dual_add_f32 v2, v2, v3 :: v_dual_add_f32 v1, v1, v149
	v_add_f32_e32 v1, v1, v150
	s_delay_alu instid0(VALU_DEP_1) | instskip(NEXT) | instid1(VALU_DEP_1)
	v_add_f32_e32 v1, v1, v151
	v_add_f32_e32 v1, v1, v152
	s_delay_alu instid0(VALU_DEP_1) | instskip(SKIP_1) | instid1(VALU_DEP_1)
	v_add_f32_e32 v3, v1, v153
	s_wait_loadcnt 0x0
	v_dual_sub_f32 v1, v140, v2 :: v_dual_sub_f32 v2, v141, v3
	scratch_store_b64 off, v[1:2], off offset:200
	v_cmpx_lt_u32_e32 24, v0
	s_cbranch_execz .LBB39_205
; %bb.204:
	scratch_load_b64 v[1:2], off, off offset:192
	v_mov_b32_e32 v3, 0
	s_delay_alu instid0(VALU_DEP_1)
	v_mov_b32_e32 v4, v3
	scratch_store_b64 off, v[3:4], off offset:192
	s_wait_loadcnt 0x0
	ds_store_b64 v23, v[1:2]
.LBB39_205:
	s_wait_alu 0xfffe
	s_or_b32 exec_lo, exec_lo, s0
	s_wait_storecnt_dscnt 0x0
	s_barrier_signal -1
	s_barrier_wait -1
	global_inv scope:SCOPE_SE
	s_clause 0x8
	scratch_load_b128 v[2:5], off, off offset:200
	scratch_load_b128 v[6:9], off, off offset:216
	;; [unrolled: 1-line block ×7, first 2 shown]
	scratch_load_b64 v[140:141], off, off offset:312
	scratch_load_b64 v[142:143], off, off offset:192
	v_mov_b32_e32 v1, 0
	ds_load_2addr_b64 v[112:115], v1 offset0:65 offset1:66
	ds_load_2addr_b64 v[116:119], v1 offset0:67 offset1:68
	;; [unrolled: 1-line block ×7, first 2 shown]
	ds_load_b64 v[144:145], v1 offset:632
	s_mov_b32 s0, exec_lo
	s_wait_loadcnt_dscnt 0x807
	v_mul_f32_e32 v22, v112, v3
	v_dual_mul_f32 v3, v113, v3 :: v_dual_mul_f32 v146, v114, v5
	s_wait_loadcnt_dscnt 0x403
	v_dual_mul_f32 v147, v116, v7 :: v_dual_mul_f32 v154, v130, v21
	v_mul_f32_e32 v5, v115, v5
	s_delay_alu instid0(VALU_DEP_3)
	v_fma_f32 v3, v112, v2, -v3
	v_dual_mul_f32 v148, v118, v9 :: v_dual_mul_f32 v149, v120, v11
	s_wait_loadcnt_dscnt 0x100
	v_dual_mul_f32 v159, v144, v141 :: v_dual_fmac_f32 v22, v113, v2
	v_mul_f32_e32 v2, v117, v7
	v_dual_fmac_f32 v146, v115, v4 :: v_dual_add_f32 v3, 0, v3
	v_fma_f32 v4, v114, v4, -v5
	s_delay_alu instid0(VALU_DEP_4) | instskip(SKIP_2) | instid1(VALU_DEP_4)
	v_dual_add_f32 v5, 0, v22 :: v_dual_fmac_f32 v148, v119, v8
	v_mul_f32_e32 v7, v119, v9
	v_fma_f32 v2, v116, v6, -v2
	v_add_f32_e32 v3, v3, v4
	v_fmac_f32_e32 v147, v117, v6
	v_add_f32_e32 v4, v5, v146
	v_mul_f32_e32 v5, v121, v11
	v_fma_f32 v6, v118, v8, -v7
	v_add_f32_e32 v2, v3, v2
	v_dual_mul_f32 v150, v122, v13 :: v_dual_mul_f32 v151, v124, v15
	v_dual_add_f32 v3, v4, v147 :: v_dual_mul_f32 v4, v123, v13
	v_fma_f32 v5, v120, v10, -v5
	s_delay_alu instid0(VALU_DEP_4)
	v_add_f32_e32 v2, v2, v6
	v_fmac_f32_e32 v149, v121, v10
	v_mul_f32_e32 v6, v125, v15
	v_fmac_f32_e32 v150, v123, v12
	v_add_f32_e32 v3, v3, v148
	v_fma_f32 v4, v122, v12, -v4
	v_add_f32_e32 v2, v2, v5
	v_dual_mul_f32 v152, v126, v17 :: v_dual_mul_f32 v153, v128, v19
	s_delay_alu instid0(VALU_DEP_4)
	v_add_f32_e32 v3, v3, v149
	v_mul_f32_e32 v5, v127, v17
	v_fma_f32 v6, v124, v14, -v6
	v_dual_add_f32 v2, v2, v4 :: v_dual_fmac_f32 v151, v125, v14
	v_fmac_f32_e32 v152, v127, v16
	v_mul_f32_e32 v4, v129, v19
	v_fma_f32 v5, v126, v16, -v5
	s_delay_alu instid0(VALU_DEP_4) | instskip(SKIP_3) | instid1(VALU_DEP_3)
	v_add_f32_e32 v2, v2, v6
	v_add_f32_e32 v3, v3, v150
	v_dual_mul_f32 v6, v131, v21 :: v_dual_fmac_f32 v153, v129, v18
	v_fma_f32 v4, v128, v18, -v4
	v_dual_add_f32 v2, v2, v5 :: v_dual_add_f32 v3, v3, v151
	s_delay_alu instid0(VALU_DEP_3) | instskip(SKIP_1) | instid1(VALU_DEP_3)
	v_fma_f32 v6, v130, v20, -v6
	v_dual_mul_f32 v155, v132, v25 :: v_dual_mul_f32 v156, v134, v27
	v_add_f32_e32 v2, v2, v4
	s_delay_alu instid0(VALU_DEP_4) | instskip(SKIP_1) | instid1(VALU_DEP_4)
	v_add_f32_e32 v3, v3, v152
	v_dual_mul_f32 v5, v133, v25 :: v_dual_fmac_f32 v154, v131, v20
	v_dual_mul_f32 v4, v135, v27 :: v_dual_fmac_f32 v155, v133, v24
	s_delay_alu instid0(VALU_DEP_3) | instskip(NEXT) | instid1(VALU_DEP_3)
	v_dual_add_f32 v2, v2, v6 :: v_dual_add_f32 v3, v3, v153
	v_fma_f32 v5, v132, v24, -v5
	v_dual_mul_f32 v157, v136, v109 :: v_dual_mul_f32 v158, v138, v111
	s_delay_alu instid0(VALU_DEP_3) | instskip(NEXT) | instid1(VALU_DEP_2)
	v_dual_mul_f32 v6, v137, v109 :: v_dual_add_f32 v3, v3, v154
	v_dual_fmac_f32 v156, v135, v26 :: v_dual_fmac_f32 v157, v137, v108
	v_fma_f32 v4, v134, v26, -v4
	s_delay_alu instid0(VALU_DEP_3) | instskip(SKIP_3) | instid1(VALU_DEP_4)
	v_dual_add_f32 v2, v2, v5 :: v_dual_add_f32 v3, v3, v155
	v_mul_f32_e32 v5, v139, v111
	v_fma_f32 v6, v136, v108, -v6
	v_dual_fmac_f32 v158, v139, v110 :: v_dual_fmac_f32 v159, v145, v140
	v_add_f32_e32 v2, v2, v4
	v_dual_add_f32 v3, v3, v156 :: v_dual_mul_f32 v4, v145, v141
	v_fma_f32 v5, v138, v110, -v5
	s_delay_alu instid0(VALU_DEP_2) | instskip(NEXT) | instid1(VALU_DEP_3)
	v_dual_add_f32 v2, v2, v6 :: v_dual_add_f32 v3, v3, v157
	v_fma_f32 v4, v144, v140, -v4
	s_delay_alu instid0(VALU_DEP_2) | instskip(NEXT) | instid1(VALU_DEP_1)
	v_dual_add_f32 v2, v2, v5 :: v_dual_add_f32 v3, v3, v158
	v_dual_add_f32 v2, v2, v4 :: v_dual_add_f32 v3, v3, v159
	s_wait_loadcnt 0x0
	s_delay_alu instid0(VALU_DEP_1)
	v_dual_sub_f32 v2, v142, v2 :: v_dual_sub_f32 v3, v143, v3
	scratch_store_b64 off, v[2:3], off offset:192
	v_cmpx_lt_u32_e32 23, v0
	s_cbranch_execz .LBB39_207
; %bb.206:
	scratch_load_b64 v[3:4], off, off offset:184
	v_mov_b32_e32 v2, v1
	scratch_store_b64 off, v[1:2], off offset:184
	s_wait_loadcnt 0x0
	ds_store_b64 v23, v[3:4]
.LBB39_207:
	s_wait_alu 0xfffe
	s_or_b32 exec_lo, exec_lo, s0
	s_wait_storecnt_dscnt 0x0
	s_barrier_signal -1
	s_barrier_wait -1
	global_inv scope:SCOPE_SE
	s_clause 0x8
	scratch_load_b128 v[2:5], off, off offset:192
	scratch_load_b128 v[6:9], off, off offset:208
	;; [unrolled: 1-line block ×8, first 2 shown]
	scratch_load_b64 v[148:149], off, off offset:184
	ds_load_b128 v[116:119], v1 offset:512
	ds_load_b128 v[120:123], v1 offset:528
	;; [unrolled: 1-line block ×8, first 2 shown]
	s_mov_b32 s0, exec_lo
	s_wait_loadcnt_dscnt 0x807
	v_dual_mul_f32 v1, v116, v3 :: v_dual_mul_f32 v22, v118, v5
	v_mul_f32_e32 v3, v117, v3
	s_wait_loadcnt_dscnt 0x706
	v_dual_mul_f32 v5, v119, v5 :: v_dual_mul_f32 v150, v120, v7
	v_mul_f32_e32 v151, v122, v9
	s_wait_loadcnt_dscnt 0x201
	v_mul_f32_e32 v160, v140, v109
	v_fma_f32 v3, v116, v2, -v3
	s_wait_loadcnt_dscnt 0x100
	v_dual_mul_f32 v163, v146, v115 :: v_dual_fmac_f32 v22, v119, v4
	v_fmac_f32_e32 v1, v117, v2
	v_mul_f32_e32 v2, v121, v7
	v_fma_f32 v4, v118, v4, -v5
	v_dual_add_f32 v3, 0, v3 :: v_dual_fmac_f32 v150, v121, v6
	v_dual_mul_f32 v152, v124, v11 :: v_dual_mul_f32 v153, v126, v13
	v_dual_mul_f32 v154, v128, v15 :: v_dual_mul_f32 v155, v130, v17
	s_delay_alu instid0(VALU_DEP_2) | instskip(SKIP_1) | instid1(VALU_DEP_3)
	v_dual_mul_f32 v5, v123, v9 :: v_dual_fmac_f32 v152, v125, v10
	v_fma_f32 v2, v120, v6, -v2
	v_dual_add_f32 v3, v3, v4 :: v_dual_fmac_f32 v154, v129, v14
	s_delay_alu instid0(VALU_DEP_3) | instskip(SKIP_1) | instid1(VALU_DEP_3)
	v_fma_f32 v5, v122, v8, -v5
	v_dual_mul_f32 v156, v132, v19 :: v_dual_mul_f32 v157, v134, v21
	v_add_f32_e32 v2, v3, v2
	v_dual_mul_f32 v4, v125, v11 :: v_dual_mul_f32 v3, v127, v13
	s_delay_alu instid0(VALU_DEP_3) | instskip(SKIP_1) | instid1(VALU_DEP_4)
	v_fmac_f32_e32 v156, v133, v18
	v_dual_mul_f32 v158, v136, v25 :: v_dual_mul_f32 v159, v138, v27
	v_add_f32_e32 v2, v2, v5
	v_add_f32_e32 v1, 0, v1
	v_fma_f32 v4, v124, v10, -v4
	v_fma_f32 v3, v126, v12, -v3
	v_fmac_f32_e32 v155, v131, v16
	v_dual_mul_f32 v161, v142, v111 :: v_dual_mul_f32 v162, v144, v113
	s_delay_alu instid0(VALU_DEP_4) | instskip(SKIP_2) | instid1(VALU_DEP_4)
	v_dual_add_f32 v1, v1, v22 :: v_dual_add_f32 v2, v2, v4
	v_mul_f32_e32 v4, v131, v17
	v_fmac_f32_e32 v151, v123, v8
	v_dual_fmac_f32 v159, v139, v26 :: v_dual_fmac_f32 v162, v145, v112
	s_delay_alu instid0(VALU_DEP_4) | instskip(NEXT) | instid1(VALU_DEP_4)
	v_add_f32_e32 v1, v1, v150
	v_fma_f32 v4, v130, v16, -v4
	v_mul_f32_e32 v5, v129, v15
	v_dual_add_f32 v2, v2, v3 :: v_dual_fmac_f32 v161, v143, v110
	s_delay_alu instid0(VALU_DEP_4) | instskip(SKIP_1) | instid1(VALU_DEP_4)
	v_add_f32_e32 v1, v1, v151
	v_fmac_f32_e32 v158, v137, v24
	v_fma_f32 v5, v128, v14, -v5
	v_fmac_f32_e32 v153, v127, v12
	v_dual_fmac_f32 v163, v147, v114 :: v_dual_fmac_f32 v160, v141, v108
	s_delay_alu instid0(VALU_DEP_3) | instskip(NEXT) | instid1(VALU_DEP_1)
	v_add_f32_e32 v2, v2, v5
	v_dual_mul_f32 v5, v135, v21 :: v_dual_add_f32 v2, v2, v4
	s_delay_alu instid0(VALU_DEP_1) | instskip(SKIP_2) | instid1(VALU_DEP_2)
	v_fma_f32 v5, v134, v20, -v5
	v_mul_f32_e32 v3, v133, v19
	v_mul_f32_e32 v4, v137, v25
	v_fma_f32 v3, v132, v18, -v3
	v_add_f32_e32 v1, v1, v152
	s_delay_alu instid0(VALU_DEP_3) | instskip(NEXT) | instid1(VALU_DEP_3)
	v_fma_f32 v4, v136, v24, -v4
	v_add_f32_e32 v2, v2, v3
	s_delay_alu instid0(VALU_DEP_1) | instskip(NEXT) | instid1(VALU_DEP_4)
	v_dual_mul_f32 v3, v139, v27 :: v_dual_add_f32 v2, v2, v5
	v_add_f32_e32 v1, v1, v153
	s_delay_alu instid0(VALU_DEP_2) | instskip(NEXT) | instid1(VALU_DEP_2)
	v_fma_f32 v3, v138, v26, -v3
	v_dual_add_f32 v2, v2, v4 :: v_dual_add_f32 v1, v1, v154
	v_mul_f32_e32 v4, v143, v111
	s_delay_alu instid0(VALU_DEP_2) | instskip(SKIP_1) | instid1(VALU_DEP_3)
	v_dual_fmac_f32 v157, v135, v20 :: v_dual_add_f32 v2, v2, v3
	v_mul_f32_e32 v3, v145, v113
	v_fma_f32 v4, v142, v110, -v4
	v_mul_f32_e32 v5, v141, v109
	s_delay_alu instid0(VALU_DEP_3) | instskip(NEXT) | instid1(VALU_DEP_2)
	v_fma_f32 v3, v144, v112, -v3
	v_fma_f32 v5, v140, v108, -v5
	s_delay_alu instid0(VALU_DEP_1) | instskip(NEXT) | instid1(VALU_DEP_1)
	v_dual_add_f32 v1, v1, v155 :: v_dual_add_f32 v2, v2, v5
	v_dual_mul_f32 v5, v147, v115 :: v_dual_add_f32 v2, v2, v4
	s_delay_alu instid0(VALU_DEP_2) | instskip(NEXT) | instid1(VALU_DEP_2)
	v_add_f32_e32 v1, v1, v156
	v_fma_f32 v4, v146, v114, -v5
	s_delay_alu instid0(VALU_DEP_2) | instskip(NEXT) | instid1(VALU_DEP_1)
	v_dual_add_f32 v2, v2, v3 :: v_dual_add_f32 v1, v1, v157
	v_dual_add_f32 v2, v2, v4 :: v_dual_add_f32 v1, v1, v158
	s_delay_alu instid0(VALU_DEP_1) | instskip(NEXT) | instid1(VALU_DEP_1)
	v_add_f32_e32 v1, v1, v159
	v_add_f32_e32 v1, v1, v160
	s_delay_alu instid0(VALU_DEP_1) | instskip(NEXT) | instid1(VALU_DEP_1)
	v_add_f32_e32 v1, v1, v161
	v_add_f32_e32 v1, v1, v162
	s_delay_alu instid0(VALU_DEP_1) | instskip(SKIP_1) | instid1(VALU_DEP_1)
	v_add_f32_e32 v3, v1, v163
	s_wait_loadcnt 0x0
	v_dual_sub_f32 v1, v148, v2 :: v_dual_sub_f32 v2, v149, v3
	scratch_store_b64 off, v[1:2], off offset:184
	v_cmpx_lt_u32_e32 22, v0
	s_cbranch_execz .LBB39_209
; %bb.208:
	scratch_load_b64 v[1:2], off, off offset:176
	v_mov_b32_e32 v3, 0
	s_delay_alu instid0(VALU_DEP_1)
	v_mov_b32_e32 v4, v3
	scratch_store_b64 off, v[3:4], off offset:176
	s_wait_loadcnt 0x0
	ds_store_b64 v23, v[1:2]
.LBB39_209:
	s_wait_alu 0xfffe
	s_or_b32 exec_lo, exec_lo, s0
	s_wait_storecnt_dscnt 0x0
	s_barrier_signal -1
	s_barrier_wait -1
	global_inv scope:SCOPE_SE
	s_clause 0x9
	scratch_load_b128 v[2:5], off, off offset:184
	scratch_load_b128 v[6:9], off, off offset:200
	;; [unrolled: 1-line block ×8, first 2 shown]
	scratch_load_b64 v[148:149], off, off offset:312
	scratch_load_b64 v[150:151], off, off offset:176
	v_mov_b32_e32 v1, 0
	ds_load_2addr_b64 v[116:119], v1 offset0:63 offset1:64
	ds_load_2addr_b64 v[120:123], v1 offset0:65 offset1:66
	;; [unrolled: 1-line block ×8, first 2 shown]
	ds_load_b64 v[152:153], v1 offset:632
	s_mov_b32 s0, exec_lo
	s_wait_loadcnt_dscnt 0x908
	v_mul_f32_e32 v22, v116, v3
	v_dual_mul_f32 v3, v117, v3 :: v_dual_mul_f32 v154, v118, v5
	s_wait_loadcnt_dscnt 0x504
	v_dual_mul_f32 v155, v120, v7 :: v_dual_mul_f32 v162, v134, v21
	v_mul_f32_e32 v5, v119, v5
	s_delay_alu instid0(VALU_DEP_3)
	v_fma_f32 v3, v116, v2, -v3
	v_dual_mul_f32 v156, v122, v9 :: v_dual_mul_f32 v157, v124, v11
	s_wait_loadcnt_dscnt 0x100
	v_dual_mul_f32 v169, v152, v149 :: v_dual_fmac_f32 v22, v117, v2
	v_mul_f32_e32 v2, v121, v7
	v_dual_fmac_f32 v154, v119, v4 :: v_dual_add_f32 v3, 0, v3
	v_fma_f32 v4, v118, v4, -v5
	s_delay_alu instid0(VALU_DEP_4) | instskip(SKIP_2) | instid1(VALU_DEP_4)
	v_dual_add_f32 v5, 0, v22 :: v_dual_fmac_f32 v156, v123, v8
	v_mul_f32_e32 v7, v123, v9
	v_fma_f32 v2, v120, v6, -v2
	v_add_f32_e32 v3, v3, v4
	v_fmac_f32_e32 v155, v121, v6
	v_add_f32_e32 v4, v5, v154
	v_mul_f32_e32 v5, v125, v11
	v_fma_f32 v6, v122, v8, -v7
	v_add_f32_e32 v2, v3, v2
	v_dual_mul_f32 v158, v126, v13 :: v_dual_mul_f32 v159, v128, v15
	v_dual_add_f32 v3, v4, v155 :: v_dual_mul_f32 v4, v127, v13
	v_fma_f32 v5, v124, v10, -v5
	s_delay_alu instid0(VALU_DEP_4)
	v_add_f32_e32 v2, v2, v6
	v_fmac_f32_e32 v157, v125, v10
	v_mul_f32_e32 v6, v129, v15
	v_fmac_f32_e32 v158, v127, v12
	v_add_f32_e32 v3, v3, v156
	v_fma_f32 v4, v126, v12, -v4
	v_add_f32_e32 v2, v2, v5
	v_dual_mul_f32 v160, v130, v17 :: v_dual_mul_f32 v161, v132, v19
	s_delay_alu instid0(VALU_DEP_4)
	v_add_f32_e32 v3, v3, v157
	v_mul_f32_e32 v5, v131, v17
	v_fma_f32 v6, v128, v14, -v6
	v_dual_add_f32 v2, v2, v4 :: v_dual_fmac_f32 v159, v129, v14
	v_fmac_f32_e32 v160, v131, v16
	v_mul_f32_e32 v4, v133, v19
	v_fma_f32 v5, v130, v16, -v5
	s_delay_alu instid0(VALU_DEP_4) | instskip(SKIP_3) | instid1(VALU_DEP_3)
	v_add_f32_e32 v2, v2, v6
	v_add_f32_e32 v3, v3, v158
	v_dual_mul_f32 v6, v135, v21 :: v_dual_fmac_f32 v161, v133, v18
	v_fma_f32 v4, v132, v18, -v4
	v_dual_add_f32 v2, v2, v5 :: v_dual_add_f32 v3, v3, v159
	s_delay_alu instid0(VALU_DEP_3) | instskip(SKIP_1) | instid1(VALU_DEP_3)
	v_fma_f32 v6, v134, v20, -v6
	v_dual_mul_f32 v163, v136, v25 :: v_dual_mul_f32 v164, v138, v27
	v_add_f32_e32 v2, v2, v4
	s_delay_alu instid0(VALU_DEP_4) | instskip(SKIP_1) | instid1(VALU_DEP_4)
	v_add_f32_e32 v3, v3, v160
	v_dual_mul_f32 v5, v137, v25 :: v_dual_fmac_f32 v162, v135, v20
	v_dual_mul_f32 v4, v139, v27 :: v_dual_fmac_f32 v163, v137, v24
	s_delay_alu instid0(VALU_DEP_3) | instskip(NEXT) | instid1(VALU_DEP_3)
	v_dual_add_f32 v2, v2, v6 :: v_dual_add_f32 v3, v3, v161
	v_fma_f32 v5, v136, v24, -v5
	v_dual_mul_f32 v165, v140, v109 :: v_dual_mul_f32 v166, v142, v111
	s_delay_alu instid0(VALU_DEP_3) | instskip(NEXT) | instid1(VALU_DEP_2)
	v_dual_mul_f32 v6, v141, v109 :: v_dual_add_f32 v3, v3, v162
	v_dual_fmac_f32 v164, v139, v26 :: v_dual_fmac_f32 v165, v141, v108
	v_fma_f32 v4, v138, v26, -v4
	s_delay_alu instid0(VALU_DEP_3) | instskip(SKIP_3) | instid1(VALU_DEP_4)
	v_dual_add_f32 v2, v2, v5 :: v_dual_add_f32 v3, v3, v163
	v_mul_f32_e32 v5, v143, v111
	v_fma_f32 v6, v140, v108, -v6
	v_dual_mul_f32 v167, v144, v113 :: v_dual_mul_f32 v168, v146, v115
	v_add_f32_e32 v2, v2, v4
	v_dual_add_f32 v3, v3, v164 :: v_dual_mul_f32 v4, v145, v113
	s_delay_alu instid0(VALU_DEP_3) | instskip(SKIP_1) | instid1(VALU_DEP_3)
	v_dual_fmac_f32 v166, v143, v110 :: v_dual_fmac_f32 v167, v145, v112
	v_fma_f32 v5, v142, v110, -v5
	v_dual_add_f32 v2, v2, v6 :: v_dual_add_f32 v3, v3, v165
	v_mul_f32_e32 v6, v147, v115
	v_fma_f32 v4, v144, v112, -v4
	v_dual_fmac_f32 v168, v147, v114 :: v_dual_fmac_f32 v169, v153, v148
	s_delay_alu instid0(VALU_DEP_4) | instskip(SKIP_2) | instid1(VALU_DEP_3)
	v_dual_add_f32 v2, v2, v5 :: v_dual_add_f32 v3, v3, v166
	v_mul_f32_e32 v5, v153, v149
	v_fma_f32 v6, v146, v114, -v6
	v_dual_add_f32 v2, v2, v4 :: v_dual_add_f32 v3, v3, v167
	s_delay_alu instid0(VALU_DEP_3) | instskip(NEXT) | instid1(VALU_DEP_2)
	v_fma_f32 v4, v152, v148, -v5
	v_dual_add_f32 v2, v2, v6 :: v_dual_add_f32 v3, v3, v168
	s_delay_alu instid0(VALU_DEP_1) | instskip(SKIP_1) | instid1(VALU_DEP_1)
	v_dual_add_f32 v2, v2, v4 :: v_dual_add_f32 v3, v3, v169
	s_wait_loadcnt 0x0
	v_dual_sub_f32 v2, v150, v2 :: v_dual_sub_f32 v3, v151, v3
	scratch_store_b64 off, v[2:3], off offset:176
	v_cmpx_lt_u32_e32 21, v0
	s_cbranch_execz .LBB39_211
; %bb.210:
	scratch_load_b64 v[3:4], off, off offset:168
	v_mov_b32_e32 v2, v1
	scratch_store_b64 off, v[1:2], off offset:168
	s_wait_loadcnt 0x0
	ds_store_b64 v23, v[3:4]
.LBB39_211:
	s_wait_alu 0xfffe
	s_or_b32 exec_lo, exec_lo, s0
	s_wait_storecnt_dscnt 0x0
	s_barrier_signal -1
	s_barrier_wait -1
	global_inv scope:SCOPE_SE
	s_clause 0x9
	scratch_load_b128 v[2:5], off, off offset:176
	scratch_load_b128 v[6:9], off, off offset:192
	;; [unrolled: 1-line block ×9, first 2 shown]
	scratch_load_b64 v[156:157], off, off offset:168
	ds_load_b128 v[120:123], v1 offset:496
	ds_load_b128 v[124:127], v1 offset:512
	;; [unrolled: 1-line block ×9, first 2 shown]
	s_mov_b32 s0, exec_lo
	s_wait_loadcnt_dscnt 0x908
	v_dual_mul_f32 v1, v120, v3 :: v_dual_mul_f32 v22, v122, v5
	v_mul_f32_e32 v5, v123, v5
	v_mul_f32_e32 v3, v121, v3
	s_wait_loadcnt_dscnt 0x807
	v_dual_mul_f32 v158, v124, v7 :: v_dual_mul_f32 v159, v126, v9
	s_wait_loadcnt_dscnt 0x201
	v_dual_fmac_f32 v1, v121, v2 :: v_dual_mul_f32 v170, v148, v113
	v_fma_f32 v3, v120, v2, -v3
	s_wait_loadcnt_dscnt 0x100
	v_dual_mul_f32 v173, v154, v119 :: v_dual_fmac_f32 v22, v123, v4
	v_mul_f32_e32 v2, v125, v7
	v_fma_f32 v4, v122, v4, -v5
	v_dual_add_f32 v3, 0, v3 :: v_dual_fmac_f32 v158, v125, v6
	v_dual_mul_f32 v160, v128, v11 :: v_dual_mul_f32 v161, v130, v13
	v_dual_mul_f32 v162, v132, v15 :: v_dual_mul_f32 v163, v134, v17
	s_delay_alu instid0(VALU_DEP_2) | instskip(SKIP_1) | instid1(VALU_DEP_3)
	v_dual_mul_f32 v5, v127, v9 :: v_dual_fmac_f32 v160, v129, v10
	v_fma_f32 v2, v124, v6, -v2
	v_dual_add_f32 v3, v3, v4 :: v_dual_fmac_f32 v162, v133, v14
	s_delay_alu instid0(VALU_DEP_3) | instskip(SKIP_1) | instid1(VALU_DEP_3)
	v_fma_f32 v5, v126, v8, -v5
	v_dual_mul_f32 v164, v136, v19 :: v_dual_mul_f32 v165, v138, v21
	v_add_f32_e32 v2, v3, v2
	v_dual_mul_f32 v4, v129, v11 :: v_dual_mul_f32 v3, v131, v13
	s_delay_alu instid0(VALU_DEP_3) | instskip(SKIP_1) | instid1(VALU_DEP_4)
	v_fmac_f32_e32 v164, v137, v18
	v_dual_mul_f32 v166, v140, v25 :: v_dual_mul_f32 v167, v142, v27
	v_add_f32_e32 v2, v2, v5
	v_add_f32_e32 v1, 0, v1
	v_fma_f32 v4, v128, v10, -v4
	v_fma_f32 v3, v130, v12, -v3
	v_dual_fmac_f32 v163, v135, v16 :: v_dual_mul_f32 v168, v144, v109
	v_mul_f32_e32 v169, v146, v111
	s_delay_alu instid0(VALU_DEP_4) | instskip(SKIP_3) | instid1(VALU_DEP_4)
	v_dual_add_f32 v1, v1, v22 :: v_dual_add_f32 v2, v2, v4
	v_mul_f32_e32 v4, v135, v17
	v_fmac_f32_e32 v159, v127, v8
	v_dual_mul_f32 v171, v150, v115 :: v_dual_mul_f32 v172, v152, v117
	v_add_f32_e32 v1, v1, v158
	s_delay_alu instid0(VALU_DEP_4) | instskip(SKIP_2) | instid1(VALU_DEP_4)
	v_fma_f32 v4, v134, v16, -v4
	v_mul_f32_e32 v5, v133, v15
	v_dual_add_f32 v2, v2, v3 :: v_dual_fmac_f32 v169, v147, v110
	v_add_f32_e32 v1, v1, v159
	v_dual_fmac_f32 v167, v143, v26 :: v_dual_fmac_f32 v170, v149, v112
	s_delay_alu instid0(VALU_DEP_4) | instskip(SKIP_3) | instid1(VALU_DEP_4)
	v_fma_f32 v5, v132, v14, -v5
	v_fmac_f32_e32 v161, v131, v12
	v_dual_fmac_f32 v166, v141, v24 :: v_dual_fmac_f32 v173, v155, v118
	v_fmac_f32_e32 v168, v145, v108
	v_add_f32_e32 v2, v2, v5
	v_dual_mul_f32 v5, v139, v21 :: v_dual_fmac_f32 v172, v153, v116
	s_delay_alu instid0(VALU_DEP_2) | instskip(NEXT) | instid1(VALU_DEP_2)
	v_add_f32_e32 v2, v2, v4
	v_fma_f32 v5, v138, v20, -v5
	v_mul_f32_e32 v3, v137, v19
	v_mul_f32_e32 v4, v141, v25
	s_delay_alu instid0(VALU_DEP_2) | instskip(SKIP_1) | instid1(VALU_DEP_3)
	v_fma_f32 v3, v136, v18, -v3
	v_add_f32_e32 v1, v1, v160
	v_fma_f32 v4, v140, v24, -v4
	s_delay_alu instid0(VALU_DEP_3) | instskip(NEXT) | instid1(VALU_DEP_1)
	v_add_f32_e32 v2, v2, v3
	v_dual_mul_f32 v3, v143, v27 :: v_dual_add_f32 v2, v2, v5
	s_delay_alu instid0(VALU_DEP_4) | instskip(NEXT) | instid1(VALU_DEP_2)
	v_add_f32_e32 v1, v1, v161
	v_fma_f32 v3, v142, v26, -v3
	s_delay_alu instid0(VALU_DEP_2) | instskip(SKIP_1) | instid1(VALU_DEP_2)
	v_dual_add_f32 v2, v2, v4 :: v_dual_add_f32 v1, v1, v162
	v_mul_f32_e32 v4, v147, v111
	v_dual_fmac_f32 v165, v139, v20 :: v_dual_add_f32 v2, v2, v3
	v_mul_f32_e32 v3, v149, v113
	s_delay_alu instid0(VALU_DEP_3) | instskip(SKIP_1) | instid1(VALU_DEP_3)
	v_fma_f32 v4, v146, v110, -v4
	v_mul_f32_e32 v5, v145, v109
	v_fma_f32 v3, v148, v112, -v3
	s_delay_alu instid0(VALU_DEP_2) | instskip(NEXT) | instid1(VALU_DEP_1)
	v_fma_f32 v5, v144, v108, -v5
	v_dual_add_f32 v1, v1, v163 :: v_dual_add_f32 v2, v2, v5
	s_delay_alu instid0(VALU_DEP_1) | instskip(NEXT) | instid1(VALU_DEP_2)
	v_dual_mul_f32 v5, v151, v115 :: v_dual_add_f32 v2, v2, v4
	v_add_f32_e32 v1, v1, v164
	v_mul_f32_e32 v4, v153, v117
	s_delay_alu instid0(VALU_DEP_3) | instskip(NEXT) | instid1(VALU_DEP_4)
	v_fma_f32 v5, v150, v114, -v5
	v_dual_add_f32 v2, v2, v3 :: v_dual_fmac_f32 v171, v151, v114
	v_mul_f32_e32 v3, v155, v119
	s_delay_alu instid0(VALU_DEP_4) | instskip(NEXT) | instid1(VALU_DEP_3)
	v_fma_f32 v4, v152, v116, -v4
	v_add_f32_e32 v2, v2, v5
	v_add_f32_e32 v1, v1, v165
	s_delay_alu instid0(VALU_DEP_4) | instskip(NEXT) | instid1(VALU_DEP_2)
	v_fma_f32 v3, v154, v118, -v3
	v_dual_add_f32 v2, v2, v4 :: v_dual_add_f32 v1, v1, v166
	s_delay_alu instid0(VALU_DEP_1) | instskip(NEXT) | instid1(VALU_DEP_2)
	v_add_f32_e32 v2, v2, v3
	v_add_f32_e32 v1, v1, v167
	s_delay_alu instid0(VALU_DEP_1) | instskip(NEXT) | instid1(VALU_DEP_1)
	v_add_f32_e32 v1, v1, v168
	v_add_f32_e32 v1, v1, v169
	s_delay_alu instid0(VALU_DEP_1) | instskip(NEXT) | instid1(VALU_DEP_1)
	;; [unrolled: 3-line block ×3, first 2 shown]
	v_add_f32_e32 v1, v1, v172
	v_add_f32_e32 v3, v1, v173
	s_wait_loadcnt 0x0
	s_delay_alu instid0(VALU_DEP_1)
	v_dual_sub_f32 v1, v156, v2 :: v_dual_sub_f32 v2, v157, v3
	scratch_store_b64 off, v[1:2], off offset:168
	v_cmpx_lt_u32_e32 20, v0
	s_cbranch_execz .LBB39_213
; %bb.212:
	scratch_load_b64 v[1:2], off, off offset:160
	v_mov_b32_e32 v3, 0
	s_delay_alu instid0(VALU_DEP_1)
	v_mov_b32_e32 v4, v3
	scratch_store_b64 off, v[3:4], off offset:160
	s_wait_loadcnt 0x0
	ds_store_b64 v23, v[1:2]
.LBB39_213:
	s_wait_alu 0xfffe
	s_or_b32 exec_lo, exec_lo, s0
	s_wait_storecnt_dscnt 0x0
	s_barrier_signal -1
	s_barrier_wait -1
	global_inv scope:SCOPE_SE
	s_clause 0xa
	scratch_load_b128 v[2:5], off, off offset:168
	scratch_load_b128 v[6:9], off, off offset:184
	;; [unrolled: 1-line block ×9, first 2 shown]
	scratch_load_b64 v[156:157], off, off offset:312
	scratch_load_b64 v[158:159], off, off offset:160
	v_mov_b32_e32 v1, 0
	ds_load_2addr_b64 v[120:123], v1 offset0:61 offset1:62
	ds_load_2addr_b64 v[124:127], v1 offset0:63 offset1:64
	;; [unrolled: 1-line block ×9, first 2 shown]
	ds_load_b64 v[160:161], v1 offset:632
	s_mov_b32 s0, exec_lo
	s_wait_loadcnt_dscnt 0xa09
	v_mul_f32_e32 v22, v120, v3
	v_dual_mul_f32 v3, v121, v3 :: v_dual_mul_f32 v162, v122, v5
	s_wait_loadcnt_dscnt 0x605
	v_dual_mul_f32 v163, v124, v7 :: v_dual_mul_f32 v170, v138, v21
	v_mul_f32_e32 v5, v123, v5
	s_delay_alu instid0(VALU_DEP_3)
	v_fma_f32 v3, v120, v2, -v3
	v_dual_mul_f32 v164, v126, v9 :: v_dual_mul_f32 v165, v128, v11
	s_wait_loadcnt_dscnt 0x100
	v_dual_mul_f32 v179, v160, v157 :: v_dual_fmac_f32 v22, v121, v2
	v_mul_f32_e32 v2, v125, v7
	v_dual_fmac_f32 v162, v123, v4 :: v_dual_add_f32 v3, 0, v3
	v_fma_f32 v4, v122, v4, -v5
	s_delay_alu instid0(VALU_DEP_4) | instskip(SKIP_2) | instid1(VALU_DEP_4)
	v_dual_add_f32 v5, 0, v22 :: v_dual_fmac_f32 v164, v127, v8
	v_mul_f32_e32 v7, v127, v9
	v_fma_f32 v2, v124, v6, -v2
	v_add_f32_e32 v3, v3, v4
	v_fmac_f32_e32 v163, v125, v6
	v_add_f32_e32 v4, v5, v162
	v_mul_f32_e32 v5, v129, v11
	v_fma_f32 v6, v126, v8, -v7
	v_add_f32_e32 v2, v3, v2
	v_dual_mul_f32 v166, v130, v13 :: v_dual_mul_f32 v167, v132, v15
	v_dual_add_f32 v3, v4, v163 :: v_dual_mul_f32 v4, v131, v13
	v_fma_f32 v5, v128, v10, -v5
	s_delay_alu instid0(VALU_DEP_4)
	v_add_f32_e32 v2, v2, v6
	v_fmac_f32_e32 v165, v129, v10
	v_mul_f32_e32 v6, v133, v15
	v_fmac_f32_e32 v166, v131, v12
	v_add_f32_e32 v3, v3, v164
	v_fma_f32 v4, v130, v12, -v4
	v_add_f32_e32 v2, v2, v5
	v_dual_mul_f32 v168, v134, v17 :: v_dual_mul_f32 v169, v136, v19
	s_delay_alu instid0(VALU_DEP_4)
	v_add_f32_e32 v3, v3, v165
	v_mul_f32_e32 v5, v135, v17
	v_fma_f32 v6, v132, v14, -v6
	v_dual_add_f32 v2, v2, v4 :: v_dual_fmac_f32 v167, v133, v14
	v_fmac_f32_e32 v168, v135, v16
	v_mul_f32_e32 v4, v137, v19
	v_fma_f32 v5, v134, v16, -v5
	s_delay_alu instid0(VALU_DEP_4) | instskip(SKIP_3) | instid1(VALU_DEP_3)
	v_add_f32_e32 v2, v2, v6
	v_add_f32_e32 v3, v3, v166
	v_dual_mul_f32 v6, v139, v21 :: v_dual_fmac_f32 v169, v137, v18
	v_fma_f32 v4, v136, v18, -v4
	v_dual_add_f32 v2, v2, v5 :: v_dual_add_f32 v3, v3, v167
	s_delay_alu instid0(VALU_DEP_3) | instskip(SKIP_1) | instid1(VALU_DEP_3)
	v_fma_f32 v6, v138, v20, -v6
	v_dual_mul_f32 v171, v140, v25 :: v_dual_mul_f32 v172, v142, v27
	v_add_f32_e32 v2, v2, v4
	s_delay_alu instid0(VALU_DEP_4) | instskip(SKIP_1) | instid1(VALU_DEP_4)
	v_add_f32_e32 v3, v3, v168
	v_dual_mul_f32 v5, v141, v25 :: v_dual_fmac_f32 v170, v139, v20
	v_dual_mul_f32 v4, v143, v27 :: v_dual_fmac_f32 v171, v141, v24
	s_delay_alu instid0(VALU_DEP_3) | instskip(NEXT) | instid1(VALU_DEP_3)
	v_dual_add_f32 v2, v2, v6 :: v_dual_add_f32 v3, v3, v169
	v_fma_f32 v5, v140, v24, -v5
	v_dual_mul_f32 v173, v144, v109 :: v_dual_mul_f32 v174, v146, v111
	s_delay_alu instid0(VALU_DEP_3) | instskip(NEXT) | instid1(VALU_DEP_2)
	v_dual_mul_f32 v6, v145, v109 :: v_dual_add_f32 v3, v3, v170
	v_dual_fmac_f32 v172, v143, v26 :: v_dual_fmac_f32 v173, v145, v108
	v_fma_f32 v4, v142, v26, -v4
	s_delay_alu instid0(VALU_DEP_3) | instskip(SKIP_3) | instid1(VALU_DEP_4)
	v_dual_add_f32 v2, v2, v5 :: v_dual_add_f32 v3, v3, v171
	v_mul_f32_e32 v5, v147, v111
	v_fma_f32 v6, v144, v108, -v6
	v_dual_mul_f32 v175, v148, v113 :: v_dual_mul_f32 v176, v150, v115
	v_add_f32_e32 v2, v2, v4
	v_dual_add_f32 v3, v3, v172 :: v_dual_mul_f32 v4, v149, v113
	s_delay_alu instid0(VALU_DEP_3) | instskip(SKIP_1) | instid1(VALU_DEP_3)
	v_dual_fmac_f32 v174, v147, v110 :: v_dual_fmac_f32 v175, v149, v112
	v_fma_f32 v5, v146, v110, -v5
	v_dual_add_f32 v2, v2, v6 :: v_dual_add_f32 v3, v3, v173
	v_mul_f32_e32 v6, v151, v115
	v_fma_f32 v4, v148, v112, -v4
	v_dual_mul_f32 v177, v152, v117 :: v_dual_mul_f32 v178, v154, v119
	s_delay_alu instid0(VALU_DEP_4) | instskip(SKIP_1) | instid1(VALU_DEP_3)
	v_dual_add_f32 v2, v2, v5 :: v_dual_add_f32 v3, v3, v174
	v_dual_mul_f32 v5, v153, v117 :: v_dual_fmac_f32 v176, v151, v114
	v_fmac_f32_e32 v177, v153, v116
	v_fma_f32 v6, v150, v114, -v6
	s_delay_alu instid0(VALU_DEP_4) | instskip(SKIP_2) | instid1(VALU_DEP_3)
	v_dual_add_f32 v2, v2, v4 :: v_dual_add_f32 v3, v3, v175
	v_dual_mul_f32 v4, v155, v119 :: v_dual_fmac_f32 v179, v161, v156
	v_fma_f32 v5, v152, v116, -v5
	v_dual_add_f32 v2, v2, v6 :: v_dual_add_f32 v3, v3, v176
	v_fmac_f32_e32 v178, v155, v118
	s_delay_alu instid0(VALU_DEP_4) | instskip(NEXT) | instid1(VALU_DEP_3)
	v_fma_f32 v4, v154, v118, -v4
	v_add_f32_e32 v3, v3, v177
	s_delay_alu instid0(VALU_DEP_1) | instskip(SKIP_1) | instid1(VALU_DEP_2)
	v_dual_mul_f32 v6, v161, v157 :: v_dual_add_f32 v3, v3, v178
	v_add_f32_e32 v2, v2, v5
	v_fma_f32 v5, v160, v156, -v6
	s_delay_alu instid0(VALU_DEP_2) | instskip(SKIP_1) | instid1(VALU_DEP_1)
	v_dual_add_f32 v3, v3, v179 :: v_dual_add_f32 v2, v2, v4
	s_wait_loadcnt 0x0
	v_dual_sub_f32 v3, v159, v3 :: v_dual_add_f32 v2, v2, v5
	s_delay_alu instid0(VALU_DEP_1)
	v_sub_f32_e32 v2, v158, v2
	scratch_store_b64 off, v[2:3], off offset:160
	v_cmpx_lt_u32_e32 19, v0
	s_cbranch_execz .LBB39_215
; %bb.214:
	scratch_load_b64 v[3:4], off, off offset:152
	v_mov_b32_e32 v2, v1
	scratch_store_b64 off, v[1:2], off offset:152
	s_wait_loadcnt 0x0
	ds_store_b64 v23, v[3:4]
.LBB39_215:
	s_wait_alu 0xfffe
	s_or_b32 exec_lo, exec_lo, s0
	s_wait_storecnt_dscnt 0x0
	s_barrier_signal -1
	s_barrier_wait -1
	global_inv scope:SCOPE_SE
	s_clause 0xa
	scratch_load_b128 v[2:5], off, off offset:160
	scratch_load_b128 v[6:9], off, off offset:176
	;; [unrolled: 1-line block ×10, first 2 shown]
	scratch_load_b64 v[164:165], off, off offset:152
	ds_load_b128 v[124:127], v1 offset:480
	ds_load_b128 v[128:131], v1 offset:496
	;; [unrolled: 1-line block ×10, first 2 shown]
	s_mov_b32 s0, exec_lo
	s_wait_loadcnt_dscnt 0xa09
	v_dual_mul_f32 v1, v124, v3 :: v_dual_mul_f32 v22, v126, v5
	s_wait_loadcnt_dscnt 0x908
	v_dual_mul_f32 v5, v127, v5 :: v_dual_mul_f32 v166, v128, v7
	v_mul_f32_e32 v167, v130, v9
	v_mul_f32_e32 v3, v125, v3
	v_dual_fmac_f32 v1, v125, v2 :: v_dual_fmac_f32 v22, v127, v4
	s_wait_loadcnt_dscnt 0x100
	v_dual_mul_f32 v180, v156, v117 :: v_dual_mul_f32 v183, v162, v123
	s_delay_alu instid0(VALU_DEP_3) | instskip(SKIP_3) | instid1(VALU_DEP_4)
	v_fma_f32 v3, v124, v2, -v3
	v_mul_f32_e32 v2, v129, v7
	v_fma_f32 v4, v126, v4, -v5
	v_dual_mul_f32 v168, v132, v11 :: v_dual_mul_f32 v169, v134, v13
	v_dual_add_f32 v3, 0, v3 :: v_dual_fmac_f32 v166, v129, v6
	v_dual_mul_f32 v170, v136, v15 :: v_dual_mul_f32 v171, v138, v17
	s_delay_alu instid0(VALU_DEP_3) | instskip(SKIP_1) | instid1(VALU_DEP_3)
	v_dual_mul_f32 v5, v131, v9 :: v_dual_fmac_f32 v168, v133, v10
	v_fma_f32 v2, v128, v6, -v2
	v_dual_add_f32 v3, v3, v4 :: v_dual_fmac_f32 v170, v137, v14
	s_delay_alu instid0(VALU_DEP_3) | instskip(SKIP_1) | instid1(VALU_DEP_3)
	v_fma_f32 v5, v130, v8, -v5
	v_dual_mul_f32 v172, v140, v19 :: v_dual_mul_f32 v173, v142, v21
	v_add_f32_e32 v2, v3, v2
	v_dual_mul_f32 v3, v135, v13 :: v_dual_mul_f32 v4, v133, v11
	s_delay_alu instid0(VALU_DEP_3) | instskip(SKIP_1) | instid1(VALU_DEP_4)
	v_fmac_f32_e32 v172, v141, v18
	v_dual_mul_f32 v174, v144, v25 :: v_dual_mul_f32 v175, v146, v27
	v_add_f32_e32 v2, v2, v5
	v_add_f32_e32 v1, 0, v1
	v_fma_f32 v4, v132, v10, -v4
	v_fma_f32 v3, v134, v12, -v3
	v_dual_fmac_f32 v171, v139, v16 :: v_dual_mul_f32 v176, v148, v109
	v_mul_f32_e32 v177, v150, v111
	s_delay_alu instid0(VALU_DEP_4) | instskip(SKIP_3) | instid1(VALU_DEP_4)
	v_dual_add_f32 v1, v1, v22 :: v_dual_add_f32 v2, v2, v4
	v_mul_f32_e32 v4, v139, v17
	v_dual_fmac_f32 v167, v131, v8 :: v_dual_mul_f32 v178, v152, v113
	v_mul_f32_e32 v179, v154, v115
	v_add_f32_e32 v1, v1, v166
	s_delay_alu instid0(VALU_DEP_4) | instskip(SKIP_2) | instid1(VALU_DEP_4)
	v_fma_f32 v4, v138, v16, -v4
	v_mul_f32_e32 v5, v137, v15
	v_dual_add_f32 v2, v2, v3 :: v_dual_fmac_f32 v177, v151, v110
	v_add_f32_e32 v1, v1, v167
	v_dual_mul_f32 v181, v158, v119 :: v_dual_mul_f32 v182, v160, v121
	s_delay_alu instid0(VALU_DEP_4) | instskip(SKIP_3) | instid1(VALU_DEP_4)
	v_fma_f32 v5, v136, v14, -v5
	v_fmac_f32_e32 v169, v135, v12
	v_dual_fmac_f32 v174, v145, v24 :: v_dual_fmac_f32 v175, v147, v26
	v_fmac_f32_e32 v178, v153, v112
	v_add_f32_e32 v2, v2, v5
	v_mul_f32_e32 v5, v143, v21
	v_fmac_f32_e32 v181, v159, v118
	v_dual_fmac_f32 v183, v163, v122 :: v_dual_fmac_f32 v176, v149, v108
	s_delay_alu instid0(VALU_DEP_4) | instskip(NEXT) | instid1(VALU_DEP_4)
	v_add_f32_e32 v2, v2, v4
	v_fma_f32 v5, v142, v20, -v5
	v_mul_f32_e32 v3, v141, v19
	v_mul_f32_e32 v4, v145, v25
	v_fmac_f32_e32 v180, v157, v116
	v_fmac_f32_e32 v182, v161, v120
	s_delay_alu instid0(VALU_DEP_4) | instskip(SKIP_2) | instid1(VALU_DEP_3)
	v_fma_f32 v3, v140, v18, -v3
	v_add_f32_e32 v1, v1, v168
	v_fma_f32 v4, v144, v24, -v4
	v_add_f32_e32 v2, v2, v3
	s_delay_alu instid0(VALU_DEP_1) | instskip(NEXT) | instid1(VALU_DEP_4)
	v_dual_mul_f32 v3, v147, v27 :: v_dual_add_f32 v2, v2, v5
	v_add_f32_e32 v1, v1, v169
	s_delay_alu instid0(VALU_DEP_2) | instskip(NEXT) | instid1(VALU_DEP_2)
	v_fma_f32 v3, v146, v26, -v3
	v_dual_add_f32 v2, v2, v4 :: v_dual_add_f32 v1, v1, v170
	v_mul_f32_e32 v4, v151, v111
	s_delay_alu instid0(VALU_DEP_2) | instskip(SKIP_1) | instid1(VALU_DEP_3)
	v_dual_fmac_f32 v173, v143, v20 :: v_dual_add_f32 v2, v2, v3
	v_mul_f32_e32 v3, v153, v113
	v_fma_f32 v4, v150, v110, -v4
	v_mul_f32_e32 v5, v149, v109
	s_delay_alu instid0(VALU_DEP_3) | instskip(NEXT) | instid1(VALU_DEP_2)
	v_fma_f32 v3, v152, v112, -v3
	v_fma_f32 v5, v148, v108, -v5
	s_delay_alu instid0(VALU_DEP_1) | instskip(NEXT) | instid1(VALU_DEP_1)
	v_dual_add_f32 v1, v1, v171 :: v_dual_add_f32 v2, v2, v5
	v_dual_mul_f32 v5, v155, v115 :: v_dual_add_f32 v2, v2, v4
	s_delay_alu instid0(VALU_DEP_2) | instskip(SKIP_1) | instid1(VALU_DEP_3)
	v_add_f32_e32 v1, v1, v172
	v_mul_f32_e32 v4, v157, v117
	v_fma_f32 v5, v154, v114, -v5
	s_delay_alu instid0(VALU_DEP_4) | instskip(SKIP_1) | instid1(VALU_DEP_4)
	v_dual_add_f32 v2, v2, v3 :: v_dual_fmac_f32 v179, v155, v114
	v_mul_f32_e32 v3, v159, v119
	v_fma_f32 v4, v156, v116, -v4
	s_delay_alu instid0(VALU_DEP_3) | instskip(SKIP_1) | instid1(VALU_DEP_4)
	v_add_f32_e32 v2, v2, v5
	v_add_f32_e32 v1, v1, v173
	v_fma_f32 v3, v158, v118, -v3
	s_delay_alu instid0(VALU_DEP_2) | instskip(SKIP_1) | instid1(VALU_DEP_2)
	v_dual_add_f32 v2, v2, v4 :: v_dual_add_f32 v1, v1, v174
	v_dual_mul_f32 v4, v163, v123 :: v_dual_mul_f32 v5, v161, v121
	v_add_f32_e32 v2, v2, v3
	s_delay_alu instid0(VALU_DEP_2) | instskip(NEXT) | instid1(VALU_DEP_3)
	v_fma_f32 v3, v162, v122, -v4
	v_fma_f32 v5, v160, v120, -v5
	s_delay_alu instid0(VALU_DEP_1) | instskip(NEXT) | instid1(VALU_DEP_1)
	v_dual_add_f32 v1, v1, v175 :: v_dual_add_f32 v2, v2, v5
	v_dual_add_f32 v1, v1, v176 :: v_dual_add_f32 v2, v2, v3
	s_delay_alu instid0(VALU_DEP_1) | instskip(NEXT) | instid1(VALU_DEP_1)
	v_add_f32_e32 v1, v1, v177
	v_add_f32_e32 v1, v1, v178
	s_delay_alu instid0(VALU_DEP_1) | instskip(NEXT) | instid1(VALU_DEP_1)
	v_add_f32_e32 v1, v1, v179
	v_add_f32_e32 v1, v1, v180
	;; [unrolled: 3-line block ×3, first 2 shown]
	s_delay_alu instid0(VALU_DEP_1) | instskip(SKIP_1) | instid1(VALU_DEP_1)
	v_add_f32_e32 v3, v1, v183
	s_wait_loadcnt 0x0
	v_dual_sub_f32 v1, v164, v2 :: v_dual_sub_f32 v2, v165, v3
	scratch_store_b64 off, v[1:2], off offset:152
	v_cmpx_lt_u32_e32 18, v0
	s_cbranch_execz .LBB39_217
; %bb.216:
	scratch_load_b64 v[1:2], off, off offset:144
	v_mov_b32_e32 v3, 0
	s_delay_alu instid0(VALU_DEP_1)
	v_mov_b32_e32 v4, v3
	scratch_store_b64 off, v[3:4], off offset:144
	s_wait_loadcnt 0x0
	ds_store_b64 v23, v[1:2]
.LBB39_217:
	s_wait_alu 0xfffe
	s_or_b32 exec_lo, exec_lo, s0
	s_wait_storecnt_dscnt 0x0
	s_barrier_signal -1
	s_barrier_wait -1
	global_inv scope:SCOPE_SE
	s_clause 0xb
	scratch_load_b128 v[2:5], off, off offset:152
	scratch_load_b128 v[6:9], off, off offset:168
	;; [unrolled: 1-line block ×10, first 2 shown]
	scratch_load_b64 v[164:165], off, off offset:312
	scratch_load_b64 v[166:167], off, off offset:144
	v_mov_b32_e32 v1, 0
	ds_load_2addr_b64 v[124:127], v1 offset0:59 offset1:60
	ds_load_2addr_b64 v[128:131], v1 offset0:61 offset1:62
	;; [unrolled: 1-line block ×10, first 2 shown]
	ds_load_b64 v[168:169], v1 offset:632
	s_mov_b32 s0, exec_lo
	s_wait_loadcnt_dscnt 0xb0a
	v_mul_f32_e32 v22, v124, v3
	v_dual_mul_f32 v3, v125, v3 :: v_dual_mul_f32 v170, v126, v5
	s_wait_loadcnt_dscnt 0x706
	v_dual_mul_f32 v171, v128, v7 :: v_dual_mul_f32 v178, v142, v21
	v_mul_f32_e32 v5, v127, v5
	s_delay_alu instid0(VALU_DEP_3)
	v_fma_f32 v3, v124, v2, -v3
	v_dual_mul_f32 v172, v130, v9 :: v_dual_mul_f32 v173, v132, v11
	s_wait_loadcnt_dscnt 0x100
	v_dual_fmac_f32 v22, v125, v2 :: v_dual_mul_f32 v189, v168, v165
	v_mul_f32_e32 v2, v129, v7
	v_dual_fmac_f32 v170, v127, v4 :: v_dual_add_f32 v3, 0, v3
	v_fma_f32 v4, v126, v4, -v5
	s_delay_alu instid0(VALU_DEP_4) | instskip(SKIP_2) | instid1(VALU_DEP_4)
	v_dual_add_f32 v5, 0, v22 :: v_dual_fmac_f32 v172, v131, v8
	v_mul_f32_e32 v7, v131, v9
	v_fma_f32 v2, v128, v6, -v2
	v_add_f32_e32 v3, v3, v4
	v_fmac_f32_e32 v171, v129, v6
	v_add_f32_e32 v4, v5, v170
	v_mul_f32_e32 v5, v133, v11
	v_fma_f32 v6, v130, v8, -v7
	v_add_f32_e32 v2, v3, v2
	v_dual_mul_f32 v174, v134, v13 :: v_dual_mul_f32 v175, v136, v15
	v_dual_add_f32 v3, v4, v171 :: v_dual_mul_f32 v4, v135, v13
	v_fma_f32 v5, v132, v10, -v5
	s_delay_alu instid0(VALU_DEP_4)
	v_add_f32_e32 v2, v2, v6
	v_fmac_f32_e32 v173, v133, v10
	v_mul_f32_e32 v6, v137, v15
	v_fmac_f32_e32 v174, v135, v12
	v_add_f32_e32 v3, v3, v172
	v_fma_f32 v4, v134, v12, -v4
	v_add_f32_e32 v2, v2, v5
	v_dual_mul_f32 v176, v138, v17 :: v_dual_mul_f32 v177, v140, v19
	s_delay_alu instid0(VALU_DEP_4)
	v_add_f32_e32 v3, v3, v173
	v_mul_f32_e32 v5, v139, v17
	v_fma_f32 v6, v136, v14, -v6
	v_dual_add_f32 v2, v2, v4 :: v_dual_fmac_f32 v175, v137, v14
	v_fmac_f32_e32 v176, v139, v16
	v_mul_f32_e32 v4, v141, v19
	v_fma_f32 v5, v138, v16, -v5
	s_delay_alu instid0(VALU_DEP_4) | instskip(SKIP_3) | instid1(VALU_DEP_3)
	v_add_f32_e32 v2, v2, v6
	v_add_f32_e32 v3, v3, v174
	v_dual_mul_f32 v6, v143, v21 :: v_dual_fmac_f32 v177, v141, v18
	v_fma_f32 v4, v140, v18, -v4
	v_dual_add_f32 v2, v2, v5 :: v_dual_add_f32 v3, v3, v175
	s_delay_alu instid0(VALU_DEP_3) | instskip(SKIP_1) | instid1(VALU_DEP_3)
	v_fma_f32 v6, v142, v20, -v6
	v_dual_mul_f32 v179, v144, v25 :: v_dual_mul_f32 v180, v146, v27
	v_add_f32_e32 v2, v2, v4
	s_delay_alu instid0(VALU_DEP_4) | instskip(SKIP_1) | instid1(VALU_DEP_4)
	v_add_f32_e32 v3, v3, v176
	v_dual_mul_f32 v5, v145, v25 :: v_dual_fmac_f32 v178, v143, v20
	v_dual_mul_f32 v4, v147, v27 :: v_dual_fmac_f32 v179, v145, v24
	s_delay_alu instid0(VALU_DEP_3) | instskip(NEXT) | instid1(VALU_DEP_3)
	v_dual_add_f32 v2, v2, v6 :: v_dual_add_f32 v3, v3, v177
	v_fma_f32 v5, v144, v24, -v5
	v_dual_mul_f32 v181, v148, v109 :: v_dual_mul_f32 v182, v150, v111
	s_delay_alu instid0(VALU_DEP_3) | instskip(NEXT) | instid1(VALU_DEP_2)
	v_dual_mul_f32 v6, v149, v109 :: v_dual_add_f32 v3, v3, v178
	v_dual_fmac_f32 v180, v147, v26 :: v_dual_fmac_f32 v181, v149, v108
	v_fma_f32 v4, v146, v26, -v4
	s_delay_alu instid0(VALU_DEP_3) | instskip(SKIP_3) | instid1(VALU_DEP_4)
	v_dual_add_f32 v2, v2, v5 :: v_dual_add_f32 v3, v3, v179
	v_mul_f32_e32 v5, v151, v111
	v_fma_f32 v6, v148, v108, -v6
	v_dual_mul_f32 v183, v152, v113 :: v_dual_mul_f32 v184, v154, v115
	v_add_f32_e32 v2, v2, v4
	v_dual_add_f32 v3, v3, v180 :: v_dual_mul_f32 v4, v153, v113
	s_delay_alu instid0(VALU_DEP_3) | instskip(SKIP_1) | instid1(VALU_DEP_3)
	v_dual_fmac_f32 v182, v151, v110 :: v_dual_fmac_f32 v183, v153, v112
	v_fma_f32 v5, v150, v110, -v5
	v_dual_add_f32 v2, v2, v6 :: v_dual_add_f32 v3, v3, v181
	v_mul_f32_e32 v6, v155, v115
	v_fma_f32 v4, v152, v112, -v4
	v_dual_mul_f32 v185, v156, v117 :: v_dual_mul_f32 v186, v158, v119
	s_delay_alu instid0(VALU_DEP_4) | instskip(SKIP_1) | instid1(VALU_DEP_3)
	v_dual_add_f32 v2, v2, v5 :: v_dual_add_f32 v3, v3, v182
	v_dual_mul_f32 v5, v157, v117 :: v_dual_fmac_f32 v184, v155, v114
	v_fmac_f32_e32 v185, v157, v116
	v_fma_f32 v6, v154, v114, -v6
	s_delay_alu instid0(VALU_DEP_4) | instskip(SKIP_2) | instid1(VALU_DEP_3)
	v_dual_add_f32 v2, v2, v4 :: v_dual_add_f32 v3, v3, v183
	v_dual_mul_f32 v187, v160, v121 :: v_dual_mul_f32 v188, v162, v123
	v_mul_f32_e32 v4, v159, v119
	v_dual_add_f32 v2, v2, v6 :: v_dual_add_f32 v3, v3, v184
	v_fma_f32 v5, v156, v116, -v5
	v_dual_fmac_f32 v186, v159, v118 :: v_dual_fmac_f32 v189, v169, v164
	v_fmac_f32_e32 v187, v161, v120
	v_fma_f32 v4, v158, v118, -v4
	v_add_f32_e32 v3, v3, v185
	v_mul_f32_e32 v6, v161, v121
	v_dual_add_f32 v2, v2, v5 :: v_dual_mul_f32 v5, v163, v123
	v_fmac_f32_e32 v188, v163, v122
	s_delay_alu instid0(VALU_DEP_4) | instskip(NEXT) | instid1(VALU_DEP_4)
	v_add_f32_e32 v3, v3, v186
	v_fma_f32 v6, v160, v120, -v6
	s_delay_alu instid0(VALU_DEP_4) | instskip(SKIP_2) | instid1(VALU_DEP_3)
	v_add_f32_e32 v2, v2, v4
	v_mul_f32_e32 v4, v169, v165
	v_fma_f32 v5, v162, v122, -v5
	v_dual_add_f32 v3, v3, v187 :: v_dual_add_f32 v2, v2, v6
	s_delay_alu instid0(VALU_DEP_3) | instskip(NEXT) | instid1(VALU_DEP_2)
	v_fma_f32 v4, v168, v164, -v4
	v_add_f32_e32 v3, v3, v188
	s_delay_alu instid0(VALU_DEP_1) | instskip(SKIP_1) | instid1(VALU_DEP_1)
	v_add_f32_e32 v3, v3, v189
	s_wait_loadcnt 0x0
	v_dual_add_f32 v2, v2, v5 :: v_dual_sub_f32 v3, v167, v3
	s_delay_alu instid0(VALU_DEP_1) | instskip(NEXT) | instid1(VALU_DEP_1)
	v_add_f32_e32 v2, v2, v4
	v_sub_f32_e32 v2, v166, v2
	scratch_store_b64 off, v[2:3], off offset:144
	v_cmpx_lt_u32_e32 17, v0
	s_cbranch_execz .LBB39_219
; %bb.218:
	scratch_load_b64 v[3:4], off, off offset:136
	v_mov_b32_e32 v2, v1
	scratch_store_b64 off, v[1:2], off offset:136
	s_wait_loadcnt 0x0
	ds_store_b64 v23, v[3:4]
.LBB39_219:
	s_wait_alu 0xfffe
	s_or_b32 exec_lo, exec_lo, s0
	s_wait_storecnt_dscnt 0x0
	s_barrier_signal -1
	s_barrier_wait -1
	global_inv scope:SCOPE_SE
	s_clause 0xb
	scratch_load_b128 v[2:5], off, off offset:144
	scratch_load_b128 v[6:9], off, off offset:160
	;; [unrolled: 1-line block ×11, first 2 shown]
	scratch_load_b64 v[172:173], off, off offset:136
	ds_load_b128 v[128:131], v1 offset:464
	ds_load_b128 v[132:135], v1 offset:480
	;; [unrolled: 1-line block ×11, first 2 shown]
	s_mov_b32 s0, exec_lo
	s_wait_loadcnt_dscnt 0xb0a
	v_dual_mul_f32 v1, v128, v3 :: v_dual_mul_f32 v22, v130, v5
	s_wait_loadcnt_dscnt 0xa09
	v_dual_mul_f32 v5, v131, v5 :: v_dual_mul_f32 v174, v132, v7
	v_mul_f32_e32 v175, v134, v9
	v_mul_f32_e32 v3, v129, v3
	v_dual_fmac_f32 v1, v129, v2 :: v_dual_fmac_f32 v22, v131, v4
	s_wait_loadcnt_dscnt 0x908
	v_dual_mul_f32 v176, v136, v11 :: v_dual_mul_f32 v177, v138, v13
	s_wait_loadcnt_dscnt 0x201
	v_mul_f32_e32 v190, v164, v121
	v_fma_f32 v3, v128, v2, -v3
	s_wait_loadcnt_dscnt 0x100
	v_mul_f32_e32 v193, v170, v127
	v_mul_f32_e32 v2, v133, v7
	v_fma_f32 v4, v130, v4, -v5
	v_dual_mul_f32 v178, v140, v15 :: v_dual_mul_f32 v179, v142, v17
	v_dual_add_f32 v3, 0, v3 :: v_dual_fmac_f32 v174, v133, v6
	v_dual_mul_f32 v5, v135, v9 :: v_dual_fmac_f32 v176, v137, v10
	v_fma_f32 v2, v132, v6, -v2
	s_delay_alu instid0(VALU_DEP_3) | instskip(NEXT) | instid1(VALU_DEP_3)
	v_dual_add_f32 v3, v3, v4 :: v_dual_fmac_f32 v178, v141, v14
	v_fma_f32 v5, v134, v8, -v5
	v_dual_mul_f32 v180, v144, v19 :: v_dual_mul_f32 v181, v146, v21
	s_delay_alu instid0(VALU_DEP_3) | instskip(SKIP_3) | instid1(VALU_DEP_4)
	v_add_f32_e32 v2, v3, v2
	v_mul_f32_e32 v3, v139, v13
	v_dual_mul_f32 v182, v148, v25 :: v_dual_mul_f32 v183, v150, v27
	v_mul_f32_e32 v4, v137, v11
	v_add_f32_e32 v2, v2, v5
	v_dual_add_f32 v1, 0, v1 :: v_dual_fmac_f32 v180, v145, v18
	v_fma_f32 v3, v138, v12, -v3
	s_delay_alu instid0(VALU_DEP_4) | instskip(SKIP_1) | instid1(VALU_DEP_4)
	v_fma_f32 v4, v136, v10, -v4
	v_fmac_f32_e32 v179, v143, v16
	v_dual_add_f32 v1, v1, v22 :: v_dual_mul_f32 v184, v152, v109
	v_mul_f32_e32 v185, v154, v111
	s_delay_alu instid0(VALU_DEP_4) | instskip(NEXT) | instid1(VALU_DEP_3)
	v_add_f32_e32 v2, v2, v4
	v_dual_mul_f32 v4, v143, v17 :: v_dual_add_f32 v1, v1, v174
	v_dual_fmac_f32 v175, v135, v8 :: v_dual_mul_f32 v188, v160, v117
	v_mul_f32_e32 v189, v162, v119
	s_delay_alu instid0(VALU_DEP_3) | instskip(SKIP_4) | instid1(VALU_DEP_4)
	v_fma_f32 v4, v142, v16, -v4
	v_mul_f32_e32 v5, v141, v15
	v_add_f32_e32 v2, v2, v3
	v_dual_add_f32 v1, v1, v175 :: v_dual_mul_f32 v186, v156, v113
	v_mul_f32_e32 v187, v158, v115
	v_fma_f32 v5, v140, v14, -v5
	v_fmac_f32_e32 v177, v139, v12
	v_dual_fmac_f32 v182, v149, v24 :: v_dual_fmac_f32 v185, v155, v110
	v_dual_fmac_f32 v183, v151, v26 :: v_dual_fmac_f32 v186, v157, v112
	s_delay_alu instid0(VALU_DEP_4) | instskip(SKIP_2) | instid1(VALU_DEP_3)
	v_add_f32_e32 v2, v2, v5
	v_mul_f32_e32 v5, v147, v21
	v_dual_mul_f32 v191, v166, v123 :: v_dual_mul_f32 v192, v168, v125
	v_dual_fmac_f32 v189, v163, v118 :: v_dual_add_f32 v2, v2, v4
	s_delay_alu instid0(VALU_DEP_3) | instskip(SKIP_4) | instid1(VALU_DEP_4)
	v_fma_f32 v5, v146, v20, -v5
	v_mul_f32_e32 v3, v145, v19
	v_mul_f32_e32 v4, v149, v25
	v_dual_fmac_f32 v192, v169, v124 :: v_dual_fmac_f32 v191, v167, v122
	v_fmac_f32_e32 v184, v153, v108
	v_fma_f32 v3, v144, v18, -v3
	v_add_f32_e32 v1, v1, v176
	v_fma_f32 v4, v148, v24, -v4
	v_dual_fmac_f32 v193, v171, v126 :: v_dual_fmac_f32 v188, v161, v116
	s_delay_alu instid0(VALU_DEP_4) | instskip(SKIP_1) | instid1(VALU_DEP_2)
	v_add_f32_e32 v2, v2, v3
	v_dual_mul_f32 v3, v151, v27 :: v_dual_fmac_f32 v190, v165, v120
	v_add_f32_e32 v2, v2, v5
	v_add_f32_e32 v1, v1, v177
	s_delay_alu instid0(VALU_DEP_3) | instskip(NEXT) | instid1(VALU_DEP_2)
	v_fma_f32 v3, v150, v26, -v3
	v_dual_add_f32 v2, v2, v4 :: v_dual_add_f32 v1, v1, v178
	v_mul_f32_e32 v4, v155, v111
	s_delay_alu instid0(VALU_DEP_2) | instskip(SKIP_1) | instid1(VALU_DEP_3)
	v_dual_fmac_f32 v181, v147, v20 :: v_dual_add_f32 v2, v2, v3
	v_mul_f32_e32 v3, v157, v113
	v_fma_f32 v4, v154, v110, -v4
	v_mul_f32_e32 v5, v153, v109
	s_delay_alu instid0(VALU_DEP_3) | instskip(NEXT) | instid1(VALU_DEP_2)
	v_fma_f32 v3, v156, v112, -v3
	v_fma_f32 v5, v152, v108, -v5
	s_delay_alu instid0(VALU_DEP_1) | instskip(NEXT) | instid1(VALU_DEP_1)
	v_dual_add_f32 v1, v1, v179 :: v_dual_add_f32 v2, v2, v5
	v_dual_mul_f32 v5, v159, v115 :: v_dual_add_f32 v2, v2, v4
	s_delay_alu instid0(VALU_DEP_2) | instskip(SKIP_1) | instid1(VALU_DEP_3)
	v_add_f32_e32 v1, v1, v180
	v_mul_f32_e32 v4, v161, v117
	v_fma_f32 v5, v158, v114, -v5
	s_delay_alu instid0(VALU_DEP_4) | instskip(SKIP_1) | instid1(VALU_DEP_4)
	v_dual_add_f32 v2, v2, v3 :: v_dual_fmac_f32 v187, v159, v114
	v_mul_f32_e32 v3, v163, v119
	v_fma_f32 v4, v160, v116, -v4
	s_delay_alu instid0(VALU_DEP_3) | instskip(SKIP_1) | instid1(VALU_DEP_4)
	v_add_f32_e32 v2, v2, v5
	v_add_f32_e32 v1, v1, v181
	v_fma_f32 v3, v162, v118, -v3
	s_delay_alu instid0(VALU_DEP_3) | instskip(NEXT) | instid1(VALU_DEP_3)
	v_dual_add_f32 v2, v2, v4 :: v_dual_mul_f32 v5, v165, v121
	v_dual_add_f32 v1, v1, v182 :: v_dual_mul_f32 v4, v167, v123
	s_delay_alu instid0(VALU_DEP_2) | instskip(NEXT) | instid1(VALU_DEP_3)
	v_add_f32_e32 v2, v2, v3
	v_fma_f32 v5, v164, v120, -v5
	s_delay_alu instid0(VALU_DEP_3) | instskip(SKIP_2) | instid1(VALU_DEP_4)
	v_add_f32_e32 v1, v1, v183
	v_mul_f32_e32 v3, v169, v125
	v_fma_f32 v4, v166, v122, -v4
	v_dual_add_f32 v2, v2, v5 :: v_dual_mul_f32 v5, v171, v127
	s_delay_alu instid0(VALU_DEP_3) | instskip(NEXT) | instid1(VALU_DEP_2)
	v_fma_f32 v3, v168, v124, -v3
	v_add_f32_e32 v2, v2, v4
	v_add_f32_e32 v1, v1, v184
	s_delay_alu instid0(VALU_DEP_4) | instskip(NEXT) | instid1(VALU_DEP_2)
	v_fma_f32 v4, v170, v126, -v5
	v_dual_add_f32 v2, v2, v3 :: v_dual_add_f32 v1, v1, v185
	s_delay_alu instid0(VALU_DEP_1) | instskip(NEXT) | instid1(VALU_DEP_1)
	v_dual_add_f32 v2, v2, v4 :: v_dual_add_f32 v1, v1, v186
	v_add_f32_e32 v1, v1, v187
	s_delay_alu instid0(VALU_DEP_1) | instskip(NEXT) | instid1(VALU_DEP_1)
	v_add_f32_e32 v1, v1, v188
	v_add_f32_e32 v1, v1, v189
	s_delay_alu instid0(VALU_DEP_1) | instskip(NEXT) | instid1(VALU_DEP_1)
	v_add_f32_e32 v1, v1, v190
	;; [unrolled: 3-line block ×3, first 2 shown]
	v_add_f32_e32 v3, v1, v193
	s_wait_loadcnt 0x0
	s_delay_alu instid0(VALU_DEP_1)
	v_dual_sub_f32 v1, v172, v2 :: v_dual_sub_f32 v2, v173, v3
	scratch_store_b64 off, v[1:2], off offset:136
	v_cmpx_lt_u32_e32 16, v0
	s_cbranch_execz .LBB39_221
; %bb.220:
	scratch_load_b64 v[1:2], off, off offset:128
	v_mov_b32_e32 v3, 0
	s_delay_alu instid0(VALU_DEP_1)
	v_mov_b32_e32 v4, v3
	scratch_store_b64 off, v[3:4], off offset:128
	s_wait_loadcnt 0x0
	ds_store_b64 v23, v[1:2]
.LBB39_221:
	s_wait_alu 0xfffe
	s_or_b32 exec_lo, exec_lo, s0
	s_wait_storecnt_dscnt 0x0
	s_barrier_signal -1
	s_barrier_wait -1
	global_inv scope:SCOPE_SE
	s_clause 0xc
	scratch_load_b128 v[2:5], off, off offset:136
	scratch_load_b128 v[6:9], off, off offset:152
	;; [unrolled: 1-line block ×11, first 2 shown]
	scratch_load_b64 v[172:173], off, off offset:312
	scratch_load_b64 v[174:175], off, off offset:128
	v_mov_b32_e32 v1, 0
	ds_load_2addr_b64 v[128:131], v1 offset0:57 offset1:58
	ds_load_2addr_b64 v[132:135], v1 offset0:59 offset1:60
	ds_load_2addr_b64 v[136:139], v1 offset0:61 offset1:62
	ds_load_2addr_b64 v[140:143], v1 offset0:63 offset1:64
	ds_load_2addr_b64 v[144:147], v1 offset0:65 offset1:66
	ds_load_2addr_b64 v[148:151], v1 offset0:67 offset1:68
	ds_load_2addr_b64 v[152:155], v1 offset0:69 offset1:70
	ds_load_2addr_b64 v[156:159], v1 offset0:71 offset1:72
	ds_load_2addr_b64 v[160:163], v1 offset0:73 offset1:74
	ds_load_2addr_b64 v[164:167], v1 offset0:75 offset1:76
	ds_load_2addr_b64 v[168:171], v1 offset0:77 offset1:78
	ds_load_b64 v[176:177], v1 offset:632
	s_mov_b32 s0, exec_lo
	s_wait_loadcnt_dscnt 0xc0b
	v_mul_f32_e32 v22, v128, v3
	v_dual_mul_f32 v3, v129, v3 :: v_dual_mul_f32 v178, v130, v5
	s_wait_loadcnt_dscnt 0x807
	v_dual_mul_f32 v179, v132, v7 :: v_dual_mul_f32 v186, v146, v21
	v_mul_f32_e32 v5, v131, v5
	s_delay_alu instid0(VALU_DEP_3)
	v_fma_f32 v3, v128, v2, -v3
	v_dual_mul_f32 v180, v134, v9 :: v_dual_mul_f32 v181, v136, v11
	v_fmac_f32_e32 v22, v129, v2
	s_wait_loadcnt_dscnt 0x100
	v_dual_mul_f32 v2, v133, v7 :: v_dual_mul_f32 v199, v176, v173
	v_dual_fmac_f32 v178, v131, v4 :: v_dual_add_f32 v3, 0, v3
	v_fma_f32 v4, v130, v4, -v5
	v_dual_add_f32 v5, 0, v22 :: v_dual_fmac_f32 v180, v135, v8
	v_mul_f32_e32 v7, v135, v9
	v_fma_f32 v2, v132, v6, -v2
	s_delay_alu instid0(VALU_DEP_4)
	v_add_f32_e32 v3, v3, v4
	v_fmac_f32_e32 v179, v133, v6
	v_add_f32_e32 v4, v5, v178
	v_mul_f32_e32 v5, v137, v11
	v_fma_f32 v6, v134, v8, -v7
	v_add_f32_e32 v2, v3, v2
	v_dual_mul_f32 v182, v138, v13 :: v_dual_mul_f32 v183, v140, v15
	v_dual_add_f32 v3, v4, v179 :: v_dual_mul_f32 v4, v139, v13
	v_fma_f32 v5, v136, v10, -v5
	s_delay_alu instid0(VALU_DEP_4)
	v_add_f32_e32 v2, v2, v6
	v_fmac_f32_e32 v181, v137, v10
	v_mul_f32_e32 v6, v141, v15
	v_fmac_f32_e32 v182, v139, v12
	v_add_f32_e32 v3, v3, v180
	v_fma_f32 v4, v138, v12, -v4
	v_add_f32_e32 v2, v2, v5
	v_dual_mul_f32 v184, v142, v17 :: v_dual_mul_f32 v185, v144, v19
	s_delay_alu instid0(VALU_DEP_4)
	v_add_f32_e32 v3, v3, v181
	v_mul_f32_e32 v5, v143, v17
	v_fma_f32 v6, v140, v14, -v6
	v_dual_add_f32 v2, v2, v4 :: v_dual_fmac_f32 v183, v141, v14
	v_fmac_f32_e32 v184, v143, v16
	v_mul_f32_e32 v4, v145, v19
	v_fma_f32 v5, v142, v16, -v5
	s_delay_alu instid0(VALU_DEP_4) | instskip(SKIP_3) | instid1(VALU_DEP_3)
	v_add_f32_e32 v2, v2, v6
	v_add_f32_e32 v3, v3, v182
	v_dual_mul_f32 v6, v147, v21 :: v_dual_fmac_f32 v185, v145, v18
	v_fma_f32 v4, v144, v18, -v4
	v_dual_add_f32 v2, v2, v5 :: v_dual_add_f32 v3, v3, v183
	s_delay_alu instid0(VALU_DEP_3) | instskip(SKIP_1) | instid1(VALU_DEP_3)
	v_fma_f32 v6, v146, v20, -v6
	v_dual_mul_f32 v187, v148, v25 :: v_dual_mul_f32 v188, v150, v27
	v_add_f32_e32 v2, v2, v4
	s_delay_alu instid0(VALU_DEP_4) | instskip(SKIP_1) | instid1(VALU_DEP_4)
	v_add_f32_e32 v3, v3, v184
	v_dual_mul_f32 v5, v149, v25 :: v_dual_fmac_f32 v186, v147, v20
	v_dual_mul_f32 v4, v151, v27 :: v_dual_fmac_f32 v187, v149, v24
	s_delay_alu instid0(VALU_DEP_3) | instskip(NEXT) | instid1(VALU_DEP_3)
	v_dual_add_f32 v2, v2, v6 :: v_dual_add_f32 v3, v3, v185
	v_fma_f32 v5, v148, v24, -v5
	v_dual_mul_f32 v189, v152, v109 :: v_dual_mul_f32 v190, v154, v111
	s_delay_alu instid0(VALU_DEP_3) | instskip(NEXT) | instid1(VALU_DEP_2)
	v_dual_mul_f32 v6, v153, v109 :: v_dual_add_f32 v3, v3, v186
	v_dual_fmac_f32 v188, v151, v26 :: v_dual_fmac_f32 v189, v153, v108
	v_fma_f32 v4, v150, v26, -v4
	s_delay_alu instid0(VALU_DEP_3) | instskip(SKIP_3) | instid1(VALU_DEP_4)
	v_dual_add_f32 v2, v2, v5 :: v_dual_add_f32 v3, v3, v187
	v_mul_f32_e32 v5, v155, v111
	v_fma_f32 v6, v152, v108, -v6
	v_dual_mul_f32 v191, v156, v113 :: v_dual_mul_f32 v192, v158, v115
	v_add_f32_e32 v2, v2, v4
	v_dual_add_f32 v3, v3, v188 :: v_dual_mul_f32 v4, v157, v113
	s_delay_alu instid0(VALU_DEP_3) | instskip(SKIP_1) | instid1(VALU_DEP_3)
	v_dual_fmac_f32 v190, v155, v110 :: v_dual_fmac_f32 v191, v157, v112
	v_fma_f32 v5, v154, v110, -v5
	v_dual_add_f32 v2, v2, v6 :: v_dual_add_f32 v3, v3, v189
	v_mul_f32_e32 v6, v159, v115
	v_fma_f32 v4, v156, v112, -v4
	v_dual_mul_f32 v193, v160, v117 :: v_dual_mul_f32 v194, v162, v119
	s_delay_alu instid0(VALU_DEP_4) | instskip(SKIP_1) | instid1(VALU_DEP_3)
	v_dual_add_f32 v2, v2, v5 :: v_dual_add_f32 v3, v3, v190
	v_dual_mul_f32 v5, v161, v117 :: v_dual_fmac_f32 v192, v159, v114
	v_fmac_f32_e32 v193, v161, v116
	v_fma_f32 v6, v158, v114, -v6
	s_delay_alu instid0(VALU_DEP_4) | instskip(SKIP_2) | instid1(VALU_DEP_2)
	v_dual_add_f32 v2, v2, v4 :: v_dual_add_f32 v3, v3, v191
	v_dual_mul_f32 v195, v164, v121 :: v_dual_mul_f32 v196, v166, v123
	v_dual_mul_f32 v197, v168, v125 :: v_dual_mul_f32 v198, v170, v127
	v_dual_mul_f32 v4, v163, v119 :: v_dual_fmac_f32 v195, v165, v120
	v_fma_f32 v5, v160, v116, -v5
	v_dual_add_f32 v2, v2, v6 :: v_dual_add_f32 v3, v3, v192
	v_mul_f32_e32 v6, v165, v121
	v_dual_fmac_f32 v194, v163, v118 :: v_dual_fmac_f32 v197, v169, v124
	v_fma_f32 v4, v162, v118, -v4
	s_delay_alu instid0(VALU_DEP_4) | instskip(SKIP_3) | instid1(VALU_DEP_3)
	v_add_f32_e32 v3, v3, v193
	v_dual_add_f32 v2, v2, v5 :: v_dual_mul_f32 v5, v167, v123
	v_fma_f32 v6, v164, v120, -v6
	v_fmac_f32_e32 v196, v167, v122
	v_dual_add_f32 v3, v3, v194 :: v_dual_add_f32 v2, v2, v4
	v_mul_f32_e32 v4, v169, v125
	v_fma_f32 v5, v166, v122, -v5
	v_fmac_f32_e32 v198, v171, v126
	s_delay_alu instid0(VALU_DEP_4) | instskip(SKIP_2) | instid1(VALU_DEP_3)
	v_dual_add_f32 v3, v3, v195 :: v_dual_add_f32 v2, v2, v6
	v_dual_mul_f32 v6, v171, v127 :: v_dual_fmac_f32 v199, v177, v172
	v_fma_f32 v4, v168, v124, -v4
	v_add_f32_e32 v2, v2, v5
	v_mul_f32_e32 v5, v177, v173
	v_add_f32_e32 v3, v3, v196
	v_fma_f32 v6, v170, v126, -v6
	s_delay_alu instid0(VALU_DEP_2) | instskip(NEXT) | instid1(VALU_DEP_1)
	v_add_f32_e32 v3, v3, v197
	v_dual_add_f32 v3, v3, v198 :: v_dual_add_f32 v2, v2, v4
	v_fma_f32 v4, v176, v172, -v5
	s_delay_alu instid0(VALU_DEP_2) | instskip(SKIP_1) | instid1(VALU_DEP_1)
	v_dual_add_f32 v3, v3, v199 :: v_dual_add_f32 v2, v2, v6
	s_wait_loadcnt 0x0
	v_dual_sub_f32 v3, v175, v3 :: v_dual_add_f32 v2, v2, v4
	s_delay_alu instid0(VALU_DEP_1)
	v_sub_f32_e32 v2, v174, v2
	scratch_store_b64 off, v[2:3], off offset:128
	v_cmpx_lt_u32_e32 15, v0
	s_cbranch_execz .LBB39_223
; %bb.222:
	scratch_load_b64 v[3:4], off, off offset:120
	v_mov_b32_e32 v2, v1
	scratch_store_b64 off, v[1:2], off offset:120
	s_wait_loadcnt 0x0
	ds_store_b64 v23, v[3:4]
.LBB39_223:
	s_wait_alu 0xfffe
	s_or_b32 exec_lo, exec_lo, s0
	s_wait_storecnt_dscnt 0x0
	s_barrier_signal -1
	s_barrier_wait -1
	global_inv scope:SCOPE_SE
	s_clause 0xc
	scratch_load_b128 v[2:5], off, off offset:128
	scratch_load_b128 v[6:9], off, off offset:144
	;; [unrolled: 1-line block ×12, first 2 shown]
	scratch_load_b64 v[180:181], off, off offset:120
	ds_load_b128 v[132:135], v1 offset:448
	ds_load_b128 v[136:139], v1 offset:464
	;; [unrolled: 1-line block ×12, first 2 shown]
	s_mov_b32 s0, exec_lo
	s_wait_loadcnt_dscnt 0xc0b
	v_dual_mul_f32 v1, v132, v3 :: v_dual_mul_f32 v22, v134, v5
	s_wait_loadcnt_dscnt 0xb0a
	v_dual_mul_f32 v5, v135, v5 :: v_dual_mul_f32 v182, v136, v7
	v_mul_f32_e32 v183, v138, v9
	s_delay_alu instid0(VALU_DEP_3)
	v_fmac_f32_e32 v1, v133, v2
	v_dual_mul_f32 v3, v133, v3 :: v_dual_fmac_f32 v22, v135, v4
	s_wait_loadcnt_dscnt 0xa09
	v_dual_mul_f32 v184, v140, v11 :: v_dual_mul_f32 v185, v142, v13
	s_wait_loadcnt_dscnt 0x201
	v_mul_f32_e32 v200, v172, v125
	v_fma_f32 v3, v132, v2, -v3
	s_wait_loadcnt_dscnt 0x100
	v_mul_f32_e32 v203, v178, v131
	v_mul_f32_e32 v2, v137, v7
	v_fma_f32 v4, v134, v4, -v5
	v_dual_mul_f32 v186, v144, v15 :: v_dual_mul_f32 v187, v146, v17
	v_dual_add_f32 v3, 0, v3 :: v_dual_fmac_f32 v182, v137, v6
	v_dual_mul_f32 v5, v139, v9 :: v_dual_fmac_f32 v184, v141, v10
	v_fma_f32 v2, v136, v6, -v2
	s_delay_alu instid0(VALU_DEP_3) | instskip(NEXT) | instid1(VALU_DEP_3)
	v_dual_add_f32 v3, v3, v4 :: v_dual_fmac_f32 v186, v145, v14
	v_fma_f32 v5, v138, v8, -v5
	v_dual_mul_f32 v188, v148, v19 :: v_dual_mul_f32 v189, v150, v21
	s_delay_alu instid0(VALU_DEP_3) | instskip(SKIP_3) | instid1(VALU_DEP_4)
	v_add_f32_e32 v2, v3, v2
	v_mul_f32_e32 v3, v143, v13
	v_dual_mul_f32 v190, v152, v25 :: v_dual_mul_f32 v191, v154, v27
	v_mul_f32_e32 v4, v141, v11
	v_add_f32_e32 v2, v2, v5
	v_dual_add_f32 v1, 0, v1 :: v_dual_fmac_f32 v188, v149, v18
	v_fma_f32 v3, v142, v12, -v3
	s_delay_alu instid0(VALU_DEP_4) | instskip(SKIP_1) | instid1(VALU_DEP_4)
	v_fma_f32 v4, v140, v10, -v4
	v_fmac_f32_e32 v187, v147, v16
	v_dual_add_f32 v1, v1, v22 :: v_dual_mul_f32 v192, v156, v109
	v_mul_f32_e32 v193, v158, v111
	s_delay_alu instid0(VALU_DEP_4) | instskip(NEXT) | instid1(VALU_DEP_3)
	v_add_f32_e32 v2, v2, v4
	v_dual_mul_f32 v4, v147, v17 :: v_dual_add_f32 v1, v1, v182
	v_dual_fmac_f32 v183, v139, v8 :: v_dual_mul_f32 v196, v164, v117
	v_mul_f32_e32 v197, v166, v119
	s_delay_alu instid0(VALU_DEP_3) | instskip(SKIP_4) | instid1(VALU_DEP_4)
	v_fma_f32 v4, v146, v16, -v4
	v_mul_f32_e32 v5, v145, v15
	v_add_f32_e32 v2, v2, v3
	v_dual_add_f32 v1, v1, v183 :: v_dual_mul_f32 v194, v160, v113
	v_mul_f32_e32 v195, v162, v115
	v_fma_f32 v5, v144, v14, -v5
	v_fmac_f32_e32 v185, v143, v12
	v_dual_fmac_f32 v193, v159, v110 :: v_dual_fmac_f32 v190, v153, v24
	v_dual_mul_f32 v198, v168, v121 :: v_dual_mul_f32 v199, v170, v123
	s_delay_alu instid0(VALU_DEP_4) | instskip(SKIP_3) | instid1(VALU_DEP_3)
	v_add_f32_e32 v2, v2, v5
	v_mul_f32_e32 v5, v151, v21
	v_dual_fmac_f32 v191, v155, v26 :: v_dual_fmac_f32 v194, v161, v112
	v_dual_mul_f32 v201, v174, v127 :: v_dual_mul_f32 v202, v176, v129
	v_fma_f32 v5, v150, v20, -v5
	v_dual_mul_f32 v3, v149, v19 :: v_dual_add_f32 v2, v2, v4
	v_dual_mul_f32 v4, v153, v25 :: v_dual_fmac_f32 v199, v171, v122
	v_dual_fmac_f32 v197, v167, v118 :: v_dual_fmac_f32 v200, v173, v124
	s_delay_alu instid0(VALU_DEP_3) | instskip(SKIP_1) | instid1(VALU_DEP_4)
	v_fma_f32 v3, v148, v18, -v3
	v_add_f32_e32 v1, v1, v184
	v_fma_f32 v4, v152, v24, -v4
	v_dual_fmac_f32 v192, v157, v108 :: v_dual_fmac_f32 v203, v179, v130
	s_delay_alu instid0(VALU_DEP_4) | instskip(SKIP_3) | instid1(VALU_DEP_4)
	v_add_f32_e32 v2, v2, v3
	v_dual_mul_f32 v3, v155, v27 :: v_dual_fmac_f32 v196, v165, v116
	v_fmac_f32_e32 v198, v169, v120
	v_fmac_f32_e32 v202, v177, v128
	v_add_f32_e32 v2, v2, v5
	v_add_f32_e32 v1, v1, v185
	v_fma_f32 v3, v154, v26, -v3
	s_delay_alu instid0(VALU_DEP_2) | instskip(SKIP_1) | instid1(VALU_DEP_2)
	v_dual_add_f32 v2, v2, v4 :: v_dual_add_f32 v1, v1, v186
	v_mul_f32_e32 v4, v159, v111
	v_dual_fmac_f32 v189, v151, v20 :: v_dual_add_f32 v2, v2, v3
	v_mul_f32_e32 v3, v161, v113
	s_delay_alu instid0(VALU_DEP_3) | instskip(SKIP_1) | instid1(VALU_DEP_3)
	v_fma_f32 v4, v158, v110, -v4
	v_mul_f32_e32 v5, v157, v109
	v_fma_f32 v3, v160, v112, -v3
	s_delay_alu instid0(VALU_DEP_2) | instskip(NEXT) | instid1(VALU_DEP_1)
	v_fma_f32 v5, v156, v108, -v5
	v_dual_add_f32 v1, v1, v187 :: v_dual_add_f32 v2, v2, v5
	s_delay_alu instid0(VALU_DEP_1) | instskip(NEXT) | instid1(VALU_DEP_2)
	v_dual_mul_f32 v5, v163, v115 :: v_dual_add_f32 v2, v2, v4
	v_add_f32_e32 v1, v1, v188
	v_mul_f32_e32 v4, v165, v117
	s_delay_alu instid0(VALU_DEP_3) | instskip(NEXT) | instid1(VALU_DEP_4)
	v_fma_f32 v5, v162, v114, -v5
	v_dual_add_f32 v2, v2, v3 :: v_dual_fmac_f32 v195, v163, v114
	v_mul_f32_e32 v3, v167, v119
	s_delay_alu instid0(VALU_DEP_4) | instskip(NEXT) | instid1(VALU_DEP_3)
	v_fma_f32 v4, v164, v116, -v4
	v_add_f32_e32 v2, v2, v5
	v_add_f32_e32 v1, v1, v189
	s_delay_alu instid0(VALU_DEP_4) | instskip(NEXT) | instid1(VALU_DEP_3)
	v_fma_f32 v3, v166, v118, -v3
	v_dual_add_f32 v2, v2, v4 :: v_dual_mul_f32 v5, v169, v121
	s_delay_alu instid0(VALU_DEP_3) | instskip(NEXT) | instid1(VALU_DEP_2)
	v_dual_add_f32 v1, v1, v190 :: v_dual_mul_f32 v4, v171, v123
	v_add_f32_e32 v2, v2, v3
	s_delay_alu instid0(VALU_DEP_3) | instskip(NEXT) | instid1(VALU_DEP_3)
	v_fma_f32 v5, v168, v120, -v5
	v_add_f32_e32 v1, v1, v191
	v_mul_f32_e32 v3, v173, v125
	v_fma_f32 v4, v170, v122, -v4
	s_delay_alu instid0(VALU_DEP_4) | instskip(NEXT) | instid1(VALU_DEP_3)
	v_dual_add_f32 v2, v2, v5 :: v_dual_mul_f32 v5, v175, v127
	v_fma_f32 v3, v172, v124, -v3
	s_delay_alu instid0(VALU_DEP_2) | instskip(SKIP_3) | instid1(VALU_DEP_4)
	v_add_f32_e32 v2, v2, v4
	v_add_f32_e32 v1, v1, v192
	v_mul_f32_e32 v4, v177, v129
	v_fma_f32 v5, v174, v126, -v5
	v_dual_add_f32 v2, v2, v3 :: v_dual_fmac_f32 v201, v175, v126
	v_mul_f32_e32 v3, v179, v131
	s_delay_alu instid0(VALU_DEP_4) | instskip(NEXT) | instid1(VALU_DEP_3)
	v_fma_f32 v4, v176, v128, -v4
	v_add_f32_e32 v2, v2, v5
	v_add_f32_e32 v1, v1, v193
	s_delay_alu instid0(VALU_DEP_4) | instskip(NEXT) | instid1(VALU_DEP_2)
	v_fma_f32 v3, v178, v130, -v3
	v_dual_add_f32 v2, v2, v4 :: v_dual_add_f32 v1, v1, v194
	s_delay_alu instid0(VALU_DEP_1) | instskip(NEXT) | instid1(VALU_DEP_2)
	v_add_f32_e32 v2, v2, v3
	v_add_f32_e32 v1, v1, v195
	s_delay_alu instid0(VALU_DEP_1) | instskip(NEXT) | instid1(VALU_DEP_1)
	v_add_f32_e32 v1, v1, v196
	v_add_f32_e32 v1, v1, v197
	s_delay_alu instid0(VALU_DEP_1) | instskip(NEXT) | instid1(VALU_DEP_1)
	;; [unrolled: 3-line block ×4, first 2 shown]
	v_add_f32_e32 v1, v1, v202
	v_add_f32_e32 v3, v1, v203
	s_wait_loadcnt 0x0
	s_delay_alu instid0(VALU_DEP_1)
	v_dual_sub_f32 v1, v180, v2 :: v_dual_sub_f32 v2, v181, v3
	scratch_store_b64 off, v[1:2], off offset:120
	v_cmpx_lt_u32_e32 14, v0
	s_cbranch_execz .LBB39_225
; %bb.224:
	scratch_load_b64 v[1:2], off, off offset:112
	v_mov_b32_e32 v3, 0
	s_delay_alu instid0(VALU_DEP_1)
	v_mov_b32_e32 v4, v3
	scratch_store_b64 off, v[3:4], off offset:112
	s_wait_loadcnt 0x0
	ds_store_b64 v23, v[1:2]
.LBB39_225:
	s_wait_alu 0xfffe
	s_or_b32 exec_lo, exec_lo, s0
	s_wait_storecnt_dscnt 0x0
	s_barrier_signal -1
	s_barrier_wait -1
	global_inv scope:SCOPE_SE
	s_clause 0xd
	scratch_load_b128 v[2:5], off, off offset:120
	scratch_load_b128 v[6:9], off, off offset:136
	;; [unrolled: 1-line block ×12, first 2 shown]
	scratch_load_b64 v[180:181], off, off offset:312
	scratch_load_b64 v[182:183], off, off offset:112
	v_mov_b32_e32 v1, 0
	ds_load_2addr_b64 v[132:135], v1 offset0:55 offset1:56
	ds_load_2addr_b64 v[136:139], v1 offset0:57 offset1:58
	;; [unrolled: 1-line block ×12, first 2 shown]
	ds_load_b64 v[184:185], v1 offset:632
	s_mov_b32 s0, exec_lo
	s_wait_loadcnt_dscnt 0xd0c
	v_mul_f32_e32 v22, v132, v3
	v_dual_mul_f32 v3, v133, v3 :: v_dual_mul_f32 v186, v134, v5
	s_wait_loadcnt_dscnt 0x908
	v_dual_mul_f32 v187, v136, v7 :: v_dual_mul_f32 v194, v150, v21
	v_mul_f32_e32 v5, v135, v5
	s_delay_alu instid0(VALU_DEP_3) | instskip(SKIP_3) | instid1(VALU_DEP_4)
	v_fma_f32 v3, v132, v2, -v3
	v_dual_mul_f32 v188, v138, v9 :: v_dual_mul_f32 v189, v140, v11
	v_fmac_f32_e32 v22, v133, v2
	v_mul_f32_e32 v2, v137, v7
	v_dual_fmac_f32 v186, v135, v4 :: v_dual_add_f32 v3, 0, v3
	s_wait_loadcnt_dscnt 0x100
	v_mul_f32_e32 v209, v184, v181
	v_fma_f32 v4, v134, v4, -v5
	v_dual_add_f32 v5, 0, v22 :: v_dual_fmac_f32 v188, v139, v8
	v_mul_f32_e32 v7, v139, v9
	v_fma_f32 v2, v136, v6, -v2
	s_delay_alu instid0(VALU_DEP_4)
	v_add_f32_e32 v3, v3, v4
	v_fmac_f32_e32 v187, v137, v6
	v_add_f32_e32 v4, v5, v186
	v_mul_f32_e32 v5, v141, v11
	v_fma_f32 v6, v138, v8, -v7
	v_add_f32_e32 v2, v3, v2
	v_dual_mul_f32 v190, v142, v13 :: v_dual_mul_f32 v191, v144, v15
	v_dual_add_f32 v3, v4, v187 :: v_dual_mul_f32 v4, v143, v13
	v_fma_f32 v5, v140, v10, -v5
	s_delay_alu instid0(VALU_DEP_4)
	v_add_f32_e32 v2, v2, v6
	v_fmac_f32_e32 v189, v141, v10
	v_mul_f32_e32 v6, v145, v15
	v_fmac_f32_e32 v190, v143, v12
	v_add_f32_e32 v3, v3, v188
	v_fma_f32 v4, v142, v12, -v4
	v_add_f32_e32 v2, v2, v5
	v_dual_mul_f32 v192, v146, v17 :: v_dual_mul_f32 v193, v148, v19
	s_delay_alu instid0(VALU_DEP_4)
	v_add_f32_e32 v3, v3, v189
	v_mul_f32_e32 v5, v147, v17
	v_fma_f32 v6, v144, v14, -v6
	v_dual_add_f32 v2, v2, v4 :: v_dual_fmac_f32 v191, v145, v14
	v_fmac_f32_e32 v192, v147, v16
	v_mul_f32_e32 v4, v149, v19
	v_fma_f32 v5, v146, v16, -v5
	s_delay_alu instid0(VALU_DEP_4) | instskip(SKIP_3) | instid1(VALU_DEP_3)
	v_add_f32_e32 v2, v2, v6
	v_add_f32_e32 v3, v3, v190
	v_dual_mul_f32 v6, v151, v21 :: v_dual_fmac_f32 v193, v149, v18
	v_fma_f32 v4, v148, v18, -v4
	v_dual_add_f32 v2, v2, v5 :: v_dual_add_f32 v3, v3, v191
	s_delay_alu instid0(VALU_DEP_3) | instskip(SKIP_1) | instid1(VALU_DEP_3)
	v_fma_f32 v6, v150, v20, -v6
	v_dual_mul_f32 v195, v152, v25 :: v_dual_mul_f32 v196, v154, v27
	v_add_f32_e32 v2, v2, v4
	s_delay_alu instid0(VALU_DEP_4) | instskip(SKIP_1) | instid1(VALU_DEP_4)
	v_add_f32_e32 v3, v3, v192
	v_dual_mul_f32 v5, v153, v25 :: v_dual_fmac_f32 v194, v151, v20
	v_dual_mul_f32 v4, v155, v27 :: v_dual_fmac_f32 v195, v153, v24
	s_delay_alu instid0(VALU_DEP_3) | instskip(NEXT) | instid1(VALU_DEP_3)
	v_dual_add_f32 v2, v2, v6 :: v_dual_add_f32 v3, v3, v193
	v_fma_f32 v5, v152, v24, -v5
	v_dual_mul_f32 v197, v156, v109 :: v_dual_mul_f32 v198, v158, v111
	s_delay_alu instid0(VALU_DEP_3) | instskip(NEXT) | instid1(VALU_DEP_2)
	v_dual_mul_f32 v6, v157, v109 :: v_dual_add_f32 v3, v3, v194
	v_dual_fmac_f32 v196, v155, v26 :: v_dual_fmac_f32 v197, v157, v108
	v_fma_f32 v4, v154, v26, -v4
	s_delay_alu instid0(VALU_DEP_3) | instskip(SKIP_3) | instid1(VALU_DEP_4)
	v_dual_add_f32 v2, v2, v5 :: v_dual_add_f32 v3, v3, v195
	v_mul_f32_e32 v5, v159, v111
	v_fma_f32 v6, v156, v108, -v6
	v_dual_mul_f32 v199, v160, v113 :: v_dual_mul_f32 v200, v162, v115
	v_add_f32_e32 v2, v2, v4
	v_dual_add_f32 v3, v3, v196 :: v_dual_mul_f32 v4, v161, v113
	s_delay_alu instid0(VALU_DEP_3) | instskip(SKIP_1) | instid1(VALU_DEP_3)
	v_dual_fmac_f32 v198, v159, v110 :: v_dual_fmac_f32 v199, v161, v112
	v_fma_f32 v5, v158, v110, -v5
	v_dual_add_f32 v2, v2, v6 :: v_dual_add_f32 v3, v3, v197
	v_mul_f32_e32 v6, v163, v115
	v_fma_f32 v4, v160, v112, -v4
	v_dual_mul_f32 v201, v164, v117 :: v_dual_mul_f32 v202, v166, v119
	s_delay_alu instid0(VALU_DEP_4) | instskip(SKIP_1) | instid1(VALU_DEP_3)
	v_dual_add_f32 v2, v2, v5 :: v_dual_add_f32 v3, v3, v198
	v_dual_mul_f32 v5, v165, v117 :: v_dual_fmac_f32 v200, v163, v114
	v_fmac_f32_e32 v201, v165, v116
	v_fma_f32 v6, v162, v114, -v6
	s_delay_alu instid0(VALU_DEP_4) | instskip(SKIP_2) | instid1(VALU_DEP_2)
	v_dual_add_f32 v2, v2, v4 :: v_dual_add_f32 v3, v3, v199
	v_dual_mul_f32 v203, v168, v121 :: v_dual_mul_f32 v204, v170, v123
	v_dual_mul_f32 v205, v172, v125 :: v_dual_mul_f32 v206, v174, v127
	v_dual_mul_f32 v4, v167, v119 :: v_dual_fmac_f32 v203, v169, v120
	v_fma_f32 v5, v164, v116, -v5
	v_dual_add_f32 v2, v2, v6 :: v_dual_add_f32 v3, v3, v200
	v_mul_f32_e32 v6, v169, v121
	v_dual_fmac_f32 v202, v167, v118 :: v_dual_fmac_f32 v205, v173, v124
	v_fma_f32 v4, v166, v118, -v4
	s_delay_alu instid0(VALU_DEP_4) | instskip(SKIP_3) | instid1(VALU_DEP_3)
	v_add_f32_e32 v3, v3, v201
	v_dual_add_f32 v2, v2, v5 :: v_dual_mul_f32 v5, v171, v123
	v_fma_f32 v6, v168, v120, -v6
	v_fmac_f32_e32 v204, v171, v122
	v_dual_add_f32 v3, v3, v202 :: v_dual_add_f32 v2, v2, v4
	v_mul_f32_e32 v4, v173, v125
	v_fma_f32 v5, v170, v122, -v5
	v_dual_mul_f32 v207, v176, v129 :: v_dual_mul_f32 v208, v178, v131
	s_delay_alu instid0(VALU_DEP_4) | instskip(NEXT) | instid1(VALU_DEP_2)
	v_dual_add_f32 v3, v3, v203 :: v_dual_add_f32 v2, v2, v6
	v_dual_mul_f32 v6, v175, v127 :: v_dual_fmac_f32 v207, v177, v128
	v_dual_fmac_f32 v206, v175, v126 :: v_dual_fmac_f32 v209, v185, v180
	s_delay_alu instid0(VALU_DEP_3)
	v_add_f32_e32 v2, v2, v5
	v_mul_f32_e32 v5, v177, v129
	v_add_f32_e32 v3, v3, v204
	v_fma_f32 v6, v174, v126, -v6
	v_fma_f32 v4, v172, v124, -v4
	v_fmac_f32_e32 v208, v179, v130
	v_fma_f32 v5, v176, v128, -v5
	v_add_f32_e32 v3, v3, v205
	s_delay_alu instid0(VALU_DEP_1) | instskip(SKIP_1) | instid1(VALU_DEP_2)
	v_dual_add_f32 v3, v3, v206 :: v_dual_add_f32 v2, v2, v4
	v_mul_f32_e32 v4, v179, v131
	v_dual_add_f32 v3, v3, v207 :: v_dual_add_f32 v2, v2, v6
	v_mul_f32_e32 v6, v185, v181
	s_delay_alu instid0(VALU_DEP_3) | instskip(NEXT) | instid1(VALU_DEP_3)
	v_fma_f32 v4, v178, v130, -v4
	v_add_f32_e32 v3, v3, v208
	s_delay_alu instid0(VALU_DEP_1) | instskip(SKIP_3) | instid1(VALU_DEP_2)
	v_add_f32_e32 v3, v3, v209
	v_add_f32_e32 v2, v2, v5
	v_fma_f32 v5, v184, v180, -v6
	s_wait_loadcnt 0x0
	v_dual_sub_f32 v3, v183, v3 :: v_dual_add_f32 v2, v2, v4
	s_delay_alu instid0(VALU_DEP_1) | instskip(NEXT) | instid1(VALU_DEP_1)
	v_add_f32_e32 v2, v2, v5
	v_sub_f32_e32 v2, v182, v2
	scratch_store_b64 off, v[2:3], off offset:112
	v_cmpx_lt_u32_e32 13, v0
	s_cbranch_execz .LBB39_227
; %bb.226:
	scratch_load_b64 v[3:4], off, off offset:104
	v_mov_b32_e32 v2, v1
	scratch_store_b64 off, v[1:2], off offset:104
	s_wait_loadcnt 0x0
	ds_store_b64 v23, v[3:4]
.LBB39_227:
	s_wait_alu 0xfffe
	s_or_b32 exec_lo, exec_lo, s0
	s_wait_storecnt_dscnt 0x0
	s_barrier_signal -1
	s_barrier_wait -1
	global_inv scope:SCOPE_SE
	s_clause 0xd
	scratch_load_b128 v[2:5], off, off offset:112
	scratch_load_b128 v[6:9], off, off offset:128
	;; [unrolled: 1-line block ×13, first 2 shown]
	scratch_load_b64 v[188:189], off, off offset:104
	ds_load_b128 v[136:139], v1 offset:432
	ds_load_b128 v[140:143], v1 offset:448
	;; [unrolled: 1-line block ×13, first 2 shown]
	s_mov_b32 s0, exec_lo
	s_wait_loadcnt_dscnt 0xd0c
	v_dual_mul_f32 v1, v136, v3 :: v_dual_mul_f32 v22, v138, v5
	s_wait_loadcnt_dscnt 0xc0b
	v_dual_mul_f32 v5, v139, v5 :: v_dual_mul_f32 v190, v140, v7
	v_mul_f32_e32 v191, v142, v9
	s_wait_loadcnt_dscnt 0xb0a
	v_dual_fmac_f32 v1, v137, v2 :: v_dual_mul_f32 v192, v144, v11
	v_mul_f32_e32 v193, v146, v13
	v_dual_mul_f32 v3, v137, v3 :: v_dual_fmac_f32 v22, v139, v4
	s_wait_loadcnt_dscnt 0xa09
	v_dual_mul_f32 v194, v148, v15 :: v_dual_mul_f32 v195, v150, v17
	s_wait_loadcnt_dscnt 0x201
	v_mul_f32_e32 v210, v180, v129
	v_fma_f32 v3, v136, v2, -v3
	s_wait_loadcnt_dscnt 0x100
	v_mul_f32_e32 v213, v186, v135
	v_mul_f32_e32 v2, v141, v7
	v_fma_f32 v4, v138, v4, -v5
	v_dual_mul_f32 v5, v143, v9 :: v_dual_fmac_f32 v192, v145, v10
	v_dual_add_f32 v3, 0, v3 :: v_dual_fmac_f32 v190, v141, v6
	s_delay_alu instid0(VALU_DEP_4) | instskip(NEXT) | instid1(VALU_DEP_3)
	v_fma_f32 v2, v140, v6, -v2
	v_fma_f32 v5, v142, v8, -v5
	s_delay_alu instid0(VALU_DEP_3) | instskip(SKIP_2) | instid1(VALU_DEP_3)
	v_dual_fmac_f32 v194, v149, v14 :: v_dual_add_f32 v3, v3, v4
	v_dual_mul_f32 v196, v152, v19 :: v_dual_mul_f32 v197, v154, v21
	v_dual_mul_f32 v198, v156, v25 :: v_dual_mul_f32 v199, v158, v27
	v_add_f32_e32 v2, v3, v2
	s_delay_alu instid0(VALU_DEP_3) | instskip(SKIP_1) | instid1(VALU_DEP_3)
	v_dual_mul_f32 v3, v147, v13 :: v_dual_fmac_f32 v196, v153, v18
	v_dual_mul_f32 v4, v145, v11 :: v_dual_fmac_f32 v195, v151, v16
	v_add_f32_e32 v2, v2, v5
	v_add_f32_e32 v1, 0, v1
	s_delay_alu instid0(VALU_DEP_4) | instskip(NEXT) | instid1(VALU_DEP_4)
	v_fma_f32 v3, v146, v12, -v3
	v_fma_f32 v4, v144, v10, -v4
	v_dual_mul_f32 v200, v160, v109 :: v_dual_mul_f32 v201, v162, v111
	s_delay_alu instid0(VALU_DEP_4) | instskip(SKIP_1) | instid1(VALU_DEP_4)
	v_dual_add_f32 v1, v1, v22 :: v_dual_mul_f32 v204, v168, v117
	v_mul_f32_e32 v205, v170, v119
	v_add_f32_e32 v2, v2, v4
	s_delay_alu instid0(VALU_DEP_3) | instskip(SKIP_2) | instid1(VALU_DEP_3)
	v_dual_mul_f32 v4, v151, v17 :: v_dual_add_f32 v1, v1, v190
	v_dual_fmac_f32 v191, v143, v8 :: v_dual_mul_f32 v202, v164, v113
	v_mul_f32_e32 v203, v166, v115
	v_fma_f32 v4, v150, v16, -v4
	v_mul_f32_e32 v5, v149, v15
	v_add_f32_e32 v2, v2, v3
	v_add_f32_e32 v1, v1, v191
	v_dual_fmac_f32 v201, v163, v110 :: v_dual_mul_f32 v206, v172, v121
	v_mul_f32_e32 v207, v174, v123
	v_fma_f32 v5, v148, v14, -v5
	v_fmac_f32_e32 v193, v147, v12
	v_dual_fmac_f32 v198, v157, v24 :: v_dual_fmac_f32 v199, v159, v26
	v_fmac_f32_e32 v202, v165, v112
	s_delay_alu instid0(VALU_DEP_4) | instskip(SKIP_2) | instid1(VALU_DEP_3)
	v_add_f32_e32 v2, v2, v5
	v_mul_f32_e32 v5, v155, v21
	v_dual_mul_f32 v208, v176, v125 :: v_dual_mul_f32 v209, v178, v127
	v_dual_fmac_f32 v207, v175, v122 :: v_dual_add_f32 v2, v2, v4
	s_delay_alu instid0(VALU_DEP_3) | instskip(SKIP_4) | instid1(VALU_DEP_4)
	v_fma_f32 v5, v154, v20, -v5
	v_mul_f32_e32 v3, v153, v19
	v_dual_mul_f32 v4, v157, v25 :: v_dual_mul_f32 v211, v182, v131
	v_mul_f32_e32 v212, v184, v133
	v_fmac_f32_e32 v200, v161, v108
	v_fma_f32 v3, v152, v18, -v3
	v_add_f32_e32 v1, v1, v192
	v_fma_f32 v4, v156, v24, -v4
	v_dual_fmac_f32 v205, v171, v118 :: v_dual_fmac_f32 v208, v177, v124
	s_delay_alu instid0(VALU_DEP_4) | instskip(SKIP_3) | instid1(VALU_DEP_4)
	v_add_f32_e32 v2, v2, v3
	v_mul_f32_e32 v3, v159, v27
	v_fmac_f32_e32 v211, v183, v130
	v_dual_fmac_f32 v213, v187, v134 :: v_dual_fmac_f32 v204, v169, v116
	v_add_f32_e32 v2, v2, v5
	v_add_f32_e32 v1, v1, v193
	v_fma_f32 v3, v158, v26, -v3
	v_fmac_f32_e32 v206, v173, v120
	v_fmac_f32_e32 v210, v181, v128
	s_delay_alu instid0(VALU_DEP_4) | instskip(SKIP_3) | instid1(VALU_DEP_4)
	v_dual_add_f32 v2, v2, v4 :: v_dual_add_f32 v1, v1, v194
	v_mul_f32_e32 v4, v163, v111
	v_fmac_f32_e32 v197, v155, v20
	v_fmac_f32_e32 v212, v185, v132
	v_dual_add_f32 v2, v2, v3 :: v_dual_mul_f32 v3, v165, v113
	s_delay_alu instid0(VALU_DEP_4) | instskip(SKIP_1) | instid1(VALU_DEP_3)
	v_fma_f32 v4, v162, v110, -v4
	v_mul_f32_e32 v5, v161, v109
	v_fma_f32 v3, v164, v112, -v3
	s_delay_alu instid0(VALU_DEP_2) | instskip(NEXT) | instid1(VALU_DEP_1)
	v_fma_f32 v5, v160, v108, -v5
	v_dual_add_f32 v1, v1, v195 :: v_dual_add_f32 v2, v2, v5
	s_delay_alu instid0(VALU_DEP_1) | instskip(NEXT) | instid1(VALU_DEP_2)
	v_dual_mul_f32 v5, v167, v115 :: v_dual_add_f32 v2, v2, v4
	v_add_f32_e32 v1, v1, v196
	v_mul_f32_e32 v4, v169, v117
	s_delay_alu instid0(VALU_DEP_3) | instskip(NEXT) | instid1(VALU_DEP_4)
	v_fma_f32 v5, v166, v114, -v5
	v_dual_add_f32 v2, v2, v3 :: v_dual_fmac_f32 v203, v167, v114
	v_mul_f32_e32 v3, v171, v119
	s_delay_alu instid0(VALU_DEP_4) | instskip(NEXT) | instid1(VALU_DEP_3)
	v_fma_f32 v4, v168, v116, -v4
	v_add_f32_e32 v2, v2, v5
	v_add_f32_e32 v1, v1, v197
	s_delay_alu instid0(VALU_DEP_4) | instskip(NEXT) | instid1(VALU_DEP_3)
	v_fma_f32 v3, v170, v118, -v3
	v_dual_add_f32 v2, v2, v4 :: v_dual_mul_f32 v5, v173, v121
	s_delay_alu instid0(VALU_DEP_3) | instskip(NEXT) | instid1(VALU_DEP_2)
	v_dual_add_f32 v1, v1, v198 :: v_dual_mul_f32 v4, v175, v123
	v_add_f32_e32 v2, v2, v3
	s_delay_alu instid0(VALU_DEP_3) | instskip(NEXT) | instid1(VALU_DEP_3)
	v_fma_f32 v5, v172, v120, -v5
	v_add_f32_e32 v1, v1, v199
	v_mul_f32_e32 v3, v177, v125
	v_fma_f32 v4, v174, v122, -v4
	s_delay_alu instid0(VALU_DEP_4) | instskip(NEXT) | instid1(VALU_DEP_3)
	v_dual_add_f32 v2, v2, v5 :: v_dual_mul_f32 v5, v179, v127
	v_fma_f32 v3, v176, v124, -v3
	s_delay_alu instid0(VALU_DEP_2) | instskip(SKIP_3) | instid1(VALU_DEP_4)
	v_add_f32_e32 v2, v2, v4
	v_add_f32_e32 v1, v1, v200
	v_mul_f32_e32 v4, v181, v129
	v_fma_f32 v5, v178, v126, -v5
	v_dual_add_f32 v2, v2, v3 :: v_dual_fmac_f32 v209, v179, v126
	v_mul_f32_e32 v3, v183, v131
	s_delay_alu instid0(VALU_DEP_4) | instskip(NEXT) | instid1(VALU_DEP_3)
	v_fma_f32 v4, v180, v128, -v4
	v_add_f32_e32 v2, v2, v5
	v_add_f32_e32 v1, v1, v201
	s_delay_alu instid0(VALU_DEP_4) | instskip(NEXT) | instid1(VALU_DEP_2)
	v_fma_f32 v3, v182, v130, -v3
	v_dual_add_f32 v2, v2, v4 :: v_dual_add_f32 v1, v1, v202
	v_dual_mul_f32 v4, v187, v135 :: v_dual_mul_f32 v5, v185, v133
	s_delay_alu instid0(VALU_DEP_2) | instskip(NEXT) | instid1(VALU_DEP_2)
	v_add_f32_e32 v2, v2, v3
	v_fma_f32 v3, v186, v134, -v4
	s_delay_alu instid0(VALU_DEP_3) | instskip(NEXT) | instid1(VALU_DEP_1)
	v_fma_f32 v5, v184, v132, -v5
	v_dual_add_f32 v1, v1, v203 :: v_dual_add_f32 v2, v2, v5
	s_delay_alu instid0(VALU_DEP_1) | instskip(NEXT) | instid1(VALU_DEP_1)
	v_dual_add_f32 v1, v1, v204 :: v_dual_add_f32 v2, v2, v3
	v_add_f32_e32 v1, v1, v205
	s_delay_alu instid0(VALU_DEP_1) | instskip(NEXT) | instid1(VALU_DEP_1)
	v_add_f32_e32 v1, v1, v206
	v_add_f32_e32 v1, v1, v207
	s_delay_alu instid0(VALU_DEP_1) | instskip(NEXT) | instid1(VALU_DEP_1)
	v_add_f32_e32 v1, v1, v208
	;; [unrolled: 3-line block ×4, first 2 shown]
	v_add_f32_e32 v3, v1, v213
	s_wait_loadcnt 0x0
	s_delay_alu instid0(VALU_DEP_1)
	v_dual_sub_f32 v1, v188, v2 :: v_dual_sub_f32 v2, v189, v3
	scratch_store_b64 off, v[1:2], off offset:104
	v_cmpx_lt_u32_e32 12, v0
	s_cbranch_execz .LBB39_229
; %bb.228:
	scratch_load_b64 v[1:2], off, off offset:96
	v_mov_b32_e32 v3, 0
	s_delay_alu instid0(VALU_DEP_1)
	v_mov_b32_e32 v4, v3
	scratch_store_b64 off, v[3:4], off offset:96
	s_wait_loadcnt 0x0
	ds_store_b64 v23, v[1:2]
.LBB39_229:
	s_wait_alu 0xfffe
	s_or_b32 exec_lo, exec_lo, s0
	s_wait_storecnt_dscnt 0x0
	s_barrier_signal -1
	s_barrier_wait -1
	global_inv scope:SCOPE_SE
	s_clause 0xe
	scratch_load_b128 v[2:5], off, off offset:104
	scratch_load_b128 v[6:9], off, off offset:120
	;; [unrolled: 1-line block ×13, first 2 shown]
	scratch_load_b64 v[188:189], off, off offset:312
	scratch_load_b64 v[190:191], off, off offset:96
	v_mov_b32_e32 v1, 0
	ds_load_2addr_b64 v[136:139], v1 offset0:53 offset1:54
	ds_load_2addr_b64 v[140:143], v1 offset0:55 offset1:56
	ds_load_2addr_b64 v[144:147], v1 offset0:57 offset1:58
	ds_load_2addr_b64 v[148:151], v1 offset0:59 offset1:60
	ds_load_2addr_b64 v[152:155], v1 offset0:61 offset1:62
	ds_load_2addr_b64 v[156:159], v1 offset0:63 offset1:64
	ds_load_2addr_b64 v[160:163], v1 offset0:65 offset1:66
	ds_load_2addr_b64 v[164:167], v1 offset0:67 offset1:68
	ds_load_2addr_b64 v[168:171], v1 offset0:69 offset1:70
	ds_load_2addr_b64 v[172:175], v1 offset0:71 offset1:72
	ds_load_2addr_b64 v[176:179], v1 offset0:73 offset1:74
	ds_load_2addr_b64 v[180:183], v1 offset0:75 offset1:76
	ds_load_2addr_b64 v[184:187], v1 offset0:77 offset1:78
	ds_load_b64 v[192:193], v1 offset:632
	s_mov_b32 s0, exec_lo
	s_wait_loadcnt_dscnt 0xe0d
	v_mul_f32_e32 v22, v136, v3
	v_dual_mul_f32 v3, v137, v3 :: v_dual_mul_f32 v194, v138, v5
	s_wait_loadcnt_dscnt 0xa09
	v_dual_mul_f32 v195, v140, v7 :: v_dual_mul_f32 v202, v154, v21
	v_mul_f32_e32 v5, v139, v5
	s_delay_alu instid0(VALU_DEP_3) | instskip(SKIP_3) | instid1(VALU_DEP_4)
	v_fma_f32 v3, v136, v2, -v3
	v_dual_mul_f32 v196, v142, v9 :: v_dual_mul_f32 v197, v144, v11
	v_fmac_f32_e32 v22, v137, v2
	v_mul_f32_e32 v2, v141, v7
	v_dual_fmac_f32 v194, v139, v4 :: v_dual_add_f32 v3, 0, v3
	s_wait_loadcnt_dscnt 0x100
	v_mul_f32_e32 v219, v192, v189
	v_fma_f32 v4, v138, v4, -v5
	v_dual_add_f32 v5, 0, v22 :: v_dual_fmac_f32 v196, v143, v8
	v_mul_f32_e32 v7, v143, v9
	v_fma_f32 v2, v140, v6, -v2
	s_delay_alu instid0(VALU_DEP_4)
	v_add_f32_e32 v3, v3, v4
	v_fmac_f32_e32 v195, v141, v6
	v_add_f32_e32 v4, v5, v194
	v_mul_f32_e32 v5, v145, v11
	v_fma_f32 v6, v142, v8, -v7
	v_add_f32_e32 v2, v3, v2
	v_dual_mul_f32 v198, v146, v13 :: v_dual_mul_f32 v199, v148, v15
	v_dual_add_f32 v3, v4, v195 :: v_dual_mul_f32 v4, v147, v13
	v_fma_f32 v5, v144, v10, -v5
	s_delay_alu instid0(VALU_DEP_4)
	v_add_f32_e32 v2, v2, v6
	v_fmac_f32_e32 v197, v145, v10
	v_mul_f32_e32 v6, v149, v15
	v_fmac_f32_e32 v198, v147, v12
	v_add_f32_e32 v3, v3, v196
	v_fma_f32 v4, v146, v12, -v4
	v_add_f32_e32 v2, v2, v5
	v_dual_mul_f32 v200, v150, v17 :: v_dual_mul_f32 v201, v152, v19
	s_delay_alu instid0(VALU_DEP_4)
	v_add_f32_e32 v3, v3, v197
	v_mul_f32_e32 v5, v151, v17
	v_fma_f32 v6, v148, v14, -v6
	v_dual_add_f32 v2, v2, v4 :: v_dual_fmac_f32 v199, v149, v14
	v_fmac_f32_e32 v200, v151, v16
	v_mul_f32_e32 v4, v153, v19
	v_fma_f32 v5, v150, v16, -v5
	s_delay_alu instid0(VALU_DEP_4) | instskip(SKIP_3) | instid1(VALU_DEP_3)
	v_add_f32_e32 v2, v2, v6
	v_add_f32_e32 v3, v3, v198
	v_dual_mul_f32 v6, v155, v21 :: v_dual_fmac_f32 v201, v153, v18
	v_fma_f32 v4, v152, v18, -v4
	v_dual_add_f32 v2, v2, v5 :: v_dual_add_f32 v3, v3, v199
	s_delay_alu instid0(VALU_DEP_3) | instskip(SKIP_1) | instid1(VALU_DEP_3)
	v_fma_f32 v6, v154, v20, -v6
	v_dual_mul_f32 v203, v156, v25 :: v_dual_mul_f32 v204, v158, v27
	v_add_f32_e32 v2, v2, v4
	s_delay_alu instid0(VALU_DEP_4) | instskip(SKIP_1) | instid1(VALU_DEP_4)
	v_add_f32_e32 v3, v3, v200
	v_dual_mul_f32 v5, v157, v25 :: v_dual_fmac_f32 v202, v155, v20
	v_dual_mul_f32 v4, v159, v27 :: v_dual_fmac_f32 v203, v157, v24
	s_delay_alu instid0(VALU_DEP_3) | instskip(NEXT) | instid1(VALU_DEP_3)
	v_dual_add_f32 v2, v2, v6 :: v_dual_add_f32 v3, v3, v201
	v_fma_f32 v5, v156, v24, -v5
	v_dual_mul_f32 v205, v160, v109 :: v_dual_mul_f32 v206, v162, v111
	s_delay_alu instid0(VALU_DEP_3) | instskip(NEXT) | instid1(VALU_DEP_2)
	v_dual_mul_f32 v6, v161, v109 :: v_dual_add_f32 v3, v3, v202
	v_dual_fmac_f32 v204, v159, v26 :: v_dual_fmac_f32 v205, v161, v108
	v_fma_f32 v4, v158, v26, -v4
	s_delay_alu instid0(VALU_DEP_3) | instskip(SKIP_3) | instid1(VALU_DEP_4)
	v_dual_add_f32 v2, v2, v5 :: v_dual_add_f32 v3, v3, v203
	v_mul_f32_e32 v5, v163, v111
	v_fma_f32 v6, v160, v108, -v6
	v_dual_mul_f32 v207, v164, v113 :: v_dual_mul_f32 v208, v166, v115
	v_add_f32_e32 v2, v2, v4
	v_dual_add_f32 v3, v3, v204 :: v_dual_mul_f32 v4, v165, v113
	s_delay_alu instid0(VALU_DEP_3) | instskip(SKIP_1) | instid1(VALU_DEP_3)
	v_dual_fmac_f32 v206, v163, v110 :: v_dual_fmac_f32 v207, v165, v112
	v_fma_f32 v5, v162, v110, -v5
	v_dual_add_f32 v2, v2, v6 :: v_dual_add_f32 v3, v3, v205
	v_mul_f32_e32 v6, v167, v115
	v_fma_f32 v4, v164, v112, -v4
	v_dual_mul_f32 v209, v168, v117 :: v_dual_mul_f32 v210, v170, v119
	s_delay_alu instid0(VALU_DEP_4) | instskip(SKIP_1) | instid1(VALU_DEP_3)
	v_dual_add_f32 v2, v2, v5 :: v_dual_add_f32 v3, v3, v206
	v_dual_mul_f32 v5, v169, v117 :: v_dual_fmac_f32 v208, v167, v114
	v_fmac_f32_e32 v209, v169, v116
	v_fma_f32 v6, v166, v114, -v6
	s_delay_alu instid0(VALU_DEP_4) | instskip(SKIP_2) | instid1(VALU_DEP_2)
	v_dual_add_f32 v2, v2, v4 :: v_dual_add_f32 v3, v3, v207
	v_dual_mul_f32 v211, v172, v121 :: v_dual_mul_f32 v212, v174, v123
	v_dual_mul_f32 v213, v176, v125 :: v_dual_mul_f32 v214, v178, v127
	v_dual_mul_f32 v4, v171, v119 :: v_dual_fmac_f32 v211, v173, v120
	v_fma_f32 v5, v168, v116, -v5
	v_dual_add_f32 v2, v2, v6 :: v_dual_add_f32 v3, v3, v208
	v_mul_f32_e32 v6, v173, v121
	v_dual_fmac_f32 v210, v171, v118 :: v_dual_fmac_f32 v213, v177, v124
	v_fma_f32 v4, v170, v118, -v4
	s_delay_alu instid0(VALU_DEP_4) | instskip(SKIP_3) | instid1(VALU_DEP_3)
	v_add_f32_e32 v3, v3, v209
	v_dual_add_f32 v2, v2, v5 :: v_dual_mul_f32 v5, v175, v123
	v_fma_f32 v6, v172, v120, -v6
	v_dual_mul_f32 v217, v184, v133 :: v_dual_mul_f32 v218, v186, v135
	v_dual_add_f32 v3, v3, v210 :: v_dual_add_f32 v2, v2, v4
	v_mul_f32_e32 v4, v177, v125
	v_fmac_f32_e32 v212, v175, v122
	v_fma_f32 v5, v174, v122, -v5
	s_delay_alu instid0(VALU_DEP_4) | instskip(SKIP_3) | instid1(VALU_DEP_4)
	v_dual_add_f32 v3, v3, v211 :: v_dual_add_f32 v2, v2, v6
	v_dual_mul_f32 v215, v180, v129 :: v_dual_mul_f32 v216, v182, v131
	v_mul_f32_e32 v6, v179, v127
	v_dual_fmac_f32 v214, v179, v126 :: v_dual_fmac_f32 v217, v185, v132
	v_add_f32_e32 v2, v2, v5
	v_mul_f32_e32 v5, v181, v129
	v_add_f32_e32 v3, v3, v212
	v_fma_f32 v4, v176, v124, -v4
	v_fmac_f32_e32 v215, v181, v128
	v_fma_f32 v6, v178, v126, -v6
	v_fma_f32 v5, v180, v128, -v5
	v_add_f32_e32 v3, v3, v213
	v_dual_fmac_f32 v216, v183, v130 :: v_dual_fmac_f32 v219, v193, v188
	v_fmac_f32_e32 v218, v187, v134
	s_delay_alu instid0(VALU_DEP_3) | instskip(SKIP_1) | instid1(VALU_DEP_2)
	v_dual_add_f32 v3, v3, v214 :: v_dual_add_f32 v2, v2, v4
	v_mul_f32_e32 v4, v183, v131
	v_dual_add_f32 v3, v3, v215 :: v_dual_add_f32 v2, v2, v6
	v_mul_f32_e32 v6, v185, v133
	s_delay_alu instid0(VALU_DEP_3) | instskip(NEXT) | instid1(VALU_DEP_3)
	v_fma_f32 v4, v182, v130, -v4
	v_dual_add_f32 v3, v3, v216 :: v_dual_add_f32 v2, v2, v5
	v_mul_f32_e32 v5, v187, v135
	s_delay_alu instid0(VALU_DEP_4) | instskip(NEXT) | instid1(VALU_DEP_3)
	v_fma_f32 v6, v184, v132, -v6
	v_dual_add_f32 v3, v3, v217 :: v_dual_add_f32 v2, v2, v4
	v_mul_f32_e32 v4, v193, v189
	s_delay_alu instid0(VALU_DEP_4) | instskip(NEXT) | instid1(VALU_DEP_3)
	v_fma_f32 v5, v186, v134, -v5
	v_add_f32_e32 v3, v3, v218
	s_delay_alu instid0(VALU_DEP_4) | instskip(NEXT) | instid1(VALU_DEP_4)
	v_add_f32_e32 v2, v2, v6
	v_fma_f32 v4, v192, v188, -v4
	s_delay_alu instid0(VALU_DEP_2) | instskip(SKIP_1) | instid1(VALU_DEP_1)
	v_dual_add_f32 v3, v3, v219 :: v_dual_add_f32 v2, v2, v5
	s_wait_loadcnt 0x0
	v_dual_sub_f32 v3, v191, v3 :: v_dual_add_f32 v2, v2, v4
	s_delay_alu instid0(VALU_DEP_1)
	v_sub_f32_e32 v2, v190, v2
	scratch_store_b64 off, v[2:3], off offset:96
	v_cmpx_lt_u32_e32 11, v0
	s_cbranch_execz .LBB39_231
; %bb.230:
	scratch_load_b64 v[3:4], off, off offset:88
	v_mov_b32_e32 v2, v1
	scratch_store_b64 off, v[1:2], off offset:88
	s_wait_loadcnt 0x0
	ds_store_b64 v23, v[3:4]
.LBB39_231:
	s_wait_alu 0xfffe
	s_or_b32 exec_lo, exec_lo, s0
	s_wait_storecnt_dscnt 0x0
	s_barrier_signal -1
	s_barrier_wait -1
	global_inv scope:SCOPE_SE
	s_clause 0xe
	scratch_load_b128 v[2:5], off, off offset:96
	scratch_load_b128 v[6:9], off, off offset:112
	;; [unrolled: 1-line block ×14, first 2 shown]
	scratch_load_b64 v[196:197], off, off offset:88
	ds_load_b128 v[140:143], v1 offset:416
	ds_load_b128 v[144:147], v1 offset:432
	ds_load_b128 v[148:151], v1 offset:448
	ds_load_b128 v[152:155], v1 offset:464
	ds_load_b128 v[156:159], v1 offset:480
	ds_load_b128 v[160:163], v1 offset:496
	ds_load_b128 v[164:167], v1 offset:512
	ds_load_b128 v[168:171], v1 offset:528
	ds_load_b128 v[172:175], v1 offset:544
	ds_load_b128 v[176:179], v1 offset:560
	ds_load_b128 v[180:183], v1 offset:576
	ds_load_b128 v[184:187], v1 offset:592
	ds_load_b128 v[188:191], v1 offset:608
	ds_load_b128 v[192:195], v1 offset:624
	s_mov_b32 s0, exec_lo
	s_wait_loadcnt_dscnt 0xe0d
	v_dual_mul_f32 v1, v140, v3 :: v_dual_mul_f32 v22, v142, v5
	s_wait_loadcnt_dscnt 0xd0c
	v_dual_mul_f32 v5, v143, v5 :: v_dual_mul_f32 v198, v144, v7
	v_mul_f32_e32 v199, v146, v9
	s_wait_loadcnt_dscnt 0xc0b
	v_dual_fmac_f32 v1, v141, v2 :: v_dual_mul_f32 v200, v148, v11
	v_mul_f32_e32 v201, v150, v13
	v_dual_mul_f32 v3, v141, v3 :: v_dual_fmac_f32 v22, v143, v4
	s_wait_loadcnt_dscnt 0xb0a
	v_dual_mul_f32 v202, v152, v15 :: v_dual_mul_f32 v203, v154, v17
	s_wait_loadcnt_dscnt 0x201
	v_mul_f32_e32 v220, v188, v133
	v_fma_f32 v3, v140, v2, -v3
	s_wait_loadcnt_dscnt 0x100
	v_mul_f32_e32 v223, v194, v139
	v_mul_f32_e32 v2, v145, v7
	v_fma_f32 v4, v142, v4, -v5
	v_dual_mul_f32 v5, v147, v9 :: v_dual_fmac_f32 v200, v149, v10
	v_dual_add_f32 v3, 0, v3 :: v_dual_fmac_f32 v198, v145, v6
	s_delay_alu instid0(VALU_DEP_4) | instskip(NEXT) | instid1(VALU_DEP_3)
	v_fma_f32 v2, v144, v6, -v2
	v_fma_f32 v5, v146, v8, -v5
	s_delay_alu instid0(VALU_DEP_3) | instskip(SKIP_2) | instid1(VALU_DEP_3)
	v_dual_fmac_f32 v202, v153, v14 :: v_dual_add_f32 v3, v3, v4
	v_dual_mul_f32 v204, v156, v19 :: v_dual_mul_f32 v205, v158, v21
	v_dual_mul_f32 v206, v160, v25 :: v_dual_mul_f32 v207, v162, v27
	v_add_f32_e32 v2, v3, v2
	s_delay_alu instid0(VALU_DEP_3) | instskip(SKIP_1) | instid1(VALU_DEP_3)
	v_dual_mul_f32 v3, v151, v13 :: v_dual_fmac_f32 v204, v157, v18
	v_dual_fmac_f32 v203, v155, v16 :: v_dual_mul_f32 v4, v149, v11
	v_add_f32_e32 v2, v2, v5
	v_add_f32_e32 v1, 0, v1
	s_delay_alu instid0(VALU_DEP_4) | instskip(SKIP_2) | instid1(VALU_DEP_4)
	v_fma_f32 v3, v150, v12, -v3
	v_dual_mul_f32 v208, v164, v109 :: v_dual_mul_f32 v209, v166, v111
	v_fma_f32 v4, v148, v10, -v4
	v_dual_add_f32 v1, v1, v22 :: v_dual_mul_f32 v212, v172, v117
	v_dual_mul_f32 v213, v174, v119 :: v_dual_mul_f32 v210, v168, v113
	v_mul_f32_e32 v211, v170, v115
	s_delay_alu instid0(VALU_DEP_3) | instskip(SKIP_2) | instid1(VALU_DEP_3)
	v_dual_add_f32 v2, v2, v4 :: v_dual_add_f32 v1, v1, v198
	v_mul_f32_e32 v4, v155, v17
	v_fmac_f32_e32 v199, v147, v8
	v_dual_fmac_f32 v209, v167, v110 :: v_dual_add_f32 v2, v2, v3
	v_dual_mul_f32 v214, v176, v121 :: v_dual_mul_f32 v215, v178, v123
	s_delay_alu instid0(VALU_DEP_4) | instskip(SKIP_4) | instid1(VALU_DEP_4)
	v_fma_f32 v4, v154, v16, -v4
	v_mul_f32_e32 v5, v153, v15
	v_add_f32_e32 v1, v1, v199
	v_dual_fmac_f32 v207, v163, v26 :: v_dual_fmac_f32 v210, v169, v112
	v_fmac_f32_e32 v206, v161, v24
	v_fma_f32 v5, v152, v14, -v5
	v_dual_fmac_f32 v201, v151, v12 :: v_dual_mul_f32 v218, v184, v129
	v_dual_mul_f32 v219, v186, v131 :: v_dual_mul_f32 v216, v180, v125
	v_mul_f32_e32 v217, v182, v127
	s_delay_alu instid0(VALU_DEP_4) | instskip(SKIP_3) | instid1(VALU_DEP_4)
	v_add_f32_e32 v2, v2, v5
	v_mul_f32_e32 v5, v159, v21
	v_fmac_f32_e32 v215, v179, v122
	v_dual_fmac_f32 v213, v175, v118 :: v_dual_fmac_f32 v216, v181, v124
	v_add_f32_e32 v2, v2, v4
	s_delay_alu instid0(VALU_DEP_4) | instskip(SKIP_4) | instid1(VALU_DEP_4)
	v_fma_f32 v5, v158, v20, -v5
	v_mul_f32_e32 v3, v157, v19
	v_mul_f32_e32 v4, v161, v25
	v_dual_fmac_f32 v208, v165, v108 :: v_dual_mul_f32 v221, v190, v135
	v_mul_f32_e32 v222, v192, v137
	v_fma_f32 v3, v156, v18, -v3
	v_add_f32_e32 v1, v1, v200
	v_fma_f32 v4, v160, v24, -v4
	s_delay_alu instid0(VALU_DEP_4) | instskip(NEXT) | instid1(VALU_DEP_4)
	v_dual_fmac_f32 v219, v187, v130 :: v_dual_fmac_f32 v222, v193, v136
	v_add_f32_e32 v2, v2, v3
	v_mul_f32_e32 v3, v163, v27
	v_fmac_f32_e32 v221, v191, v134
	v_dual_fmac_f32 v223, v195, v138 :: v_dual_fmac_f32 v212, v173, v116
	s_delay_alu instid0(VALU_DEP_4) | instskip(SKIP_4) | instid1(VALU_DEP_4)
	v_add_f32_e32 v2, v2, v5
	v_add_f32_e32 v1, v1, v201
	v_fma_f32 v3, v162, v26, -v3
	v_fmac_f32_e32 v214, v177, v120
	v_fmac_f32_e32 v218, v185, v128
	v_dual_add_f32 v2, v2, v4 :: v_dual_add_f32 v1, v1, v202
	v_mul_f32_e32 v4, v167, v111
	v_fmac_f32_e32 v205, v159, v20
	v_fmac_f32_e32 v220, v189, v132
	s_delay_alu instid0(VALU_DEP_4) | instskip(NEXT) | instid1(VALU_DEP_4)
	v_dual_add_f32 v2, v2, v3 :: v_dual_mul_f32 v3, v169, v113
	v_fma_f32 v4, v166, v110, -v4
	v_mul_f32_e32 v5, v165, v109
	s_delay_alu instid0(VALU_DEP_3) | instskip(NEXT) | instid1(VALU_DEP_2)
	v_fma_f32 v3, v168, v112, -v3
	v_fma_f32 v5, v164, v108, -v5
	s_delay_alu instid0(VALU_DEP_1) | instskip(NEXT) | instid1(VALU_DEP_1)
	v_dual_add_f32 v1, v1, v203 :: v_dual_add_f32 v2, v2, v5
	v_dual_mul_f32 v5, v171, v115 :: v_dual_add_f32 v2, v2, v4
	s_delay_alu instid0(VALU_DEP_2) | instskip(SKIP_1) | instid1(VALU_DEP_3)
	v_add_f32_e32 v1, v1, v204
	v_mul_f32_e32 v4, v173, v117
	v_fma_f32 v5, v170, v114, -v5
	s_delay_alu instid0(VALU_DEP_4) | instskip(SKIP_1) | instid1(VALU_DEP_4)
	v_dual_add_f32 v2, v2, v3 :: v_dual_fmac_f32 v211, v171, v114
	v_mul_f32_e32 v3, v175, v119
	v_fma_f32 v4, v172, v116, -v4
	s_delay_alu instid0(VALU_DEP_3) | instskip(SKIP_1) | instid1(VALU_DEP_4)
	v_add_f32_e32 v2, v2, v5
	v_add_f32_e32 v1, v1, v205
	v_fma_f32 v3, v174, v118, -v3
	s_delay_alu instid0(VALU_DEP_3) | instskip(NEXT) | instid1(VALU_DEP_3)
	v_dual_add_f32 v2, v2, v4 :: v_dual_mul_f32 v5, v177, v121
	v_dual_add_f32 v1, v1, v206 :: v_dual_mul_f32 v4, v179, v123
	s_delay_alu instid0(VALU_DEP_2) | instskip(NEXT) | instid1(VALU_DEP_3)
	v_add_f32_e32 v2, v2, v3
	v_fma_f32 v5, v176, v120, -v5
	s_delay_alu instid0(VALU_DEP_3) | instskip(SKIP_2) | instid1(VALU_DEP_4)
	v_add_f32_e32 v1, v1, v207
	v_mul_f32_e32 v3, v181, v125
	v_fma_f32 v4, v178, v122, -v4
	v_dual_add_f32 v2, v2, v5 :: v_dual_mul_f32 v5, v183, v127
	s_delay_alu instid0(VALU_DEP_3) | instskip(NEXT) | instid1(VALU_DEP_2)
	v_fma_f32 v3, v180, v124, -v3
	v_add_f32_e32 v2, v2, v4
	v_add_f32_e32 v1, v1, v208
	v_mul_f32_e32 v4, v185, v129
	v_fma_f32 v5, v182, v126, -v5
	s_delay_alu instid0(VALU_DEP_4) | instskip(SKIP_1) | instid1(VALU_DEP_4)
	v_dual_add_f32 v2, v2, v3 :: v_dual_fmac_f32 v217, v183, v126
	v_mul_f32_e32 v3, v187, v131
	v_fma_f32 v4, v184, v128, -v4
	s_delay_alu instid0(VALU_DEP_3) | instskip(SKIP_1) | instid1(VALU_DEP_4)
	v_add_f32_e32 v2, v2, v5
	v_add_f32_e32 v1, v1, v209
	v_fma_f32 v3, v186, v130, -v3
	s_delay_alu instid0(VALU_DEP_3) | instskip(NEXT) | instid1(VALU_DEP_3)
	v_dual_add_f32 v2, v2, v4 :: v_dual_mul_f32 v5, v189, v133
	v_dual_add_f32 v1, v1, v210 :: v_dual_mul_f32 v4, v191, v135
	s_delay_alu instid0(VALU_DEP_2) | instskip(NEXT) | instid1(VALU_DEP_3)
	v_add_f32_e32 v2, v2, v3
	v_fma_f32 v5, v188, v132, -v5
	s_delay_alu instid0(VALU_DEP_3) | instskip(SKIP_2) | instid1(VALU_DEP_4)
	v_add_f32_e32 v1, v1, v211
	v_mul_f32_e32 v3, v193, v137
	v_fma_f32 v4, v190, v134, -v4
	v_dual_add_f32 v2, v2, v5 :: v_dual_mul_f32 v5, v195, v139
	s_delay_alu instid0(VALU_DEP_3) | instskip(NEXT) | instid1(VALU_DEP_2)
	v_fma_f32 v3, v192, v136, -v3
	v_add_f32_e32 v2, v2, v4
	v_add_f32_e32 v1, v1, v212
	s_delay_alu instid0(VALU_DEP_4) | instskip(NEXT) | instid1(VALU_DEP_2)
	v_fma_f32 v4, v194, v138, -v5
	v_dual_add_f32 v2, v2, v3 :: v_dual_add_f32 v1, v1, v213
	s_delay_alu instid0(VALU_DEP_1) | instskip(NEXT) | instid1(VALU_DEP_1)
	v_dual_add_f32 v2, v2, v4 :: v_dual_add_f32 v1, v1, v214
	v_add_f32_e32 v1, v1, v215
	s_delay_alu instid0(VALU_DEP_1) | instskip(NEXT) | instid1(VALU_DEP_1)
	v_add_f32_e32 v1, v1, v216
	v_add_f32_e32 v1, v1, v217
	s_delay_alu instid0(VALU_DEP_1) | instskip(NEXT) | instid1(VALU_DEP_1)
	v_add_f32_e32 v1, v1, v218
	;; [unrolled: 3-line block ×4, first 2 shown]
	v_add_f32_e32 v3, v1, v223
	s_wait_loadcnt 0x0
	s_delay_alu instid0(VALU_DEP_1)
	v_dual_sub_f32 v1, v196, v2 :: v_dual_sub_f32 v2, v197, v3
	scratch_store_b64 off, v[1:2], off offset:88
	v_cmpx_lt_u32_e32 10, v0
	s_cbranch_execz .LBB39_233
; %bb.232:
	scratch_load_b64 v[1:2], off, off offset:80
	v_mov_b32_e32 v3, 0
	s_delay_alu instid0(VALU_DEP_1)
	v_mov_b32_e32 v4, v3
	scratch_store_b64 off, v[3:4], off offset:80
	s_wait_loadcnt 0x0
	ds_store_b64 v23, v[1:2]
.LBB39_233:
	s_wait_alu 0xfffe
	s_or_b32 exec_lo, exec_lo, s0
	s_wait_storecnt_dscnt 0x0
	s_barrier_signal -1
	s_barrier_wait -1
	global_inv scope:SCOPE_SE
	s_clause 0xf
	scratch_load_b128 v[2:5], off, off offset:88
	scratch_load_b128 v[6:9], off, off offset:104
	;; [unrolled: 1-line block ×14, first 2 shown]
	scratch_load_b64 v[196:197], off, off offset:312
	scratch_load_b64 v[198:199], off, off offset:80
	v_mov_b32_e32 v1, 0
	ds_load_2addr_b64 v[140:143], v1 offset0:51 offset1:52
	ds_load_2addr_b64 v[144:147], v1 offset0:53 offset1:54
	;; [unrolled: 1-line block ×14, first 2 shown]
	ds_load_b64 v[200:201], v1 offset:632
	s_mov_b32 s0, exec_lo
	s_wait_loadcnt_dscnt 0xf0e
	v_mul_f32_e32 v22, v140, v3
	v_dual_mul_f32 v3, v141, v3 :: v_dual_mul_f32 v202, v142, v5
	s_wait_loadcnt_dscnt 0xb0a
	v_dual_mul_f32 v203, v144, v7 :: v_dual_mul_f32 v210, v158, v21
	v_mul_f32_e32 v5, v143, v5
	s_delay_alu instid0(VALU_DEP_3)
	v_fma_f32 v3, v140, v2, -v3
	v_dual_mul_f32 v204, v146, v9 :: v_dual_mul_f32 v205, v148, v11
	v_fmac_f32_e32 v202, v143, v4
	v_fmac_f32_e32 v22, v141, v2
	v_mul_f32_e32 v2, v145, v7
	v_fma_f32 v4, v142, v4, -v5
	v_add_f32_e32 v3, 0, v3
	s_wait_loadcnt_dscnt 0x100
	v_mul_f32_e32 v229, v200, v197
	v_dual_add_f32 v5, 0, v22 :: v_dual_fmac_f32 v204, v147, v8
	v_mul_f32_e32 v7, v147, v9
	v_fma_f32 v2, v144, v6, -v2
	v_add_f32_e32 v3, v3, v4
	v_fmac_f32_e32 v203, v145, v6
	v_add_f32_e32 v4, v5, v202
	v_mul_f32_e32 v5, v149, v11
	v_fma_f32 v6, v146, v8, -v7
	v_add_f32_e32 v2, v3, v2
	v_dual_mul_f32 v206, v150, v13 :: v_dual_mul_f32 v207, v152, v15
	v_dual_add_f32 v3, v4, v203 :: v_dual_mul_f32 v4, v151, v13
	v_fma_f32 v5, v148, v10, -v5
	s_delay_alu instid0(VALU_DEP_4)
	v_add_f32_e32 v2, v2, v6
	v_fmac_f32_e32 v205, v149, v10
	v_mul_f32_e32 v6, v153, v15
	v_fmac_f32_e32 v206, v151, v12
	v_add_f32_e32 v3, v3, v204
	v_fma_f32 v4, v150, v12, -v4
	v_add_f32_e32 v2, v2, v5
	v_dual_mul_f32 v208, v154, v17 :: v_dual_mul_f32 v209, v156, v19
	s_delay_alu instid0(VALU_DEP_4)
	v_add_f32_e32 v3, v3, v205
	v_mul_f32_e32 v5, v155, v17
	v_fma_f32 v6, v152, v14, -v6
	v_dual_add_f32 v2, v2, v4 :: v_dual_fmac_f32 v207, v153, v14
	v_fmac_f32_e32 v208, v155, v16
	v_mul_f32_e32 v4, v157, v19
	v_fma_f32 v5, v154, v16, -v5
	s_delay_alu instid0(VALU_DEP_4) | instskip(SKIP_3) | instid1(VALU_DEP_3)
	v_add_f32_e32 v2, v2, v6
	v_add_f32_e32 v3, v3, v206
	v_dual_mul_f32 v6, v159, v21 :: v_dual_fmac_f32 v209, v157, v18
	v_fma_f32 v4, v156, v18, -v4
	v_dual_add_f32 v2, v2, v5 :: v_dual_add_f32 v3, v3, v207
	s_delay_alu instid0(VALU_DEP_3) | instskip(SKIP_1) | instid1(VALU_DEP_3)
	v_fma_f32 v6, v158, v20, -v6
	v_dual_mul_f32 v211, v160, v25 :: v_dual_mul_f32 v212, v162, v27
	v_add_f32_e32 v2, v2, v4
	s_delay_alu instid0(VALU_DEP_4) | instskip(SKIP_1) | instid1(VALU_DEP_4)
	v_add_f32_e32 v3, v3, v208
	v_dual_mul_f32 v5, v161, v25 :: v_dual_fmac_f32 v210, v159, v20
	v_dual_mul_f32 v4, v163, v27 :: v_dual_fmac_f32 v211, v161, v24
	s_delay_alu instid0(VALU_DEP_3) | instskip(NEXT) | instid1(VALU_DEP_3)
	v_dual_add_f32 v2, v2, v6 :: v_dual_add_f32 v3, v3, v209
	v_fma_f32 v5, v160, v24, -v5
	v_dual_mul_f32 v213, v164, v109 :: v_dual_mul_f32 v214, v166, v111
	s_delay_alu instid0(VALU_DEP_3) | instskip(NEXT) | instid1(VALU_DEP_2)
	v_dual_mul_f32 v6, v165, v109 :: v_dual_add_f32 v3, v3, v210
	v_dual_fmac_f32 v212, v163, v26 :: v_dual_fmac_f32 v213, v165, v108
	v_fma_f32 v4, v162, v26, -v4
	s_delay_alu instid0(VALU_DEP_3) | instskip(SKIP_3) | instid1(VALU_DEP_4)
	v_dual_add_f32 v2, v2, v5 :: v_dual_add_f32 v3, v3, v211
	v_mul_f32_e32 v5, v167, v111
	v_fma_f32 v6, v164, v108, -v6
	v_dual_mul_f32 v215, v168, v113 :: v_dual_mul_f32 v216, v170, v115
	v_add_f32_e32 v2, v2, v4
	v_dual_add_f32 v3, v3, v212 :: v_dual_mul_f32 v4, v169, v113
	s_delay_alu instid0(VALU_DEP_3) | instskip(SKIP_1) | instid1(VALU_DEP_3)
	v_dual_fmac_f32 v214, v167, v110 :: v_dual_fmac_f32 v215, v169, v112
	v_fma_f32 v5, v166, v110, -v5
	v_dual_add_f32 v2, v2, v6 :: v_dual_add_f32 v3, v3, v213
	v_mul_f32_e32 v6, v171, v115
	v_fma_f32 v4, v168, v112, -v4
	v_dual_mul_f32 v217, v172, v117 :: v_dual_mul_f32 v218, v174, v119
	s_delay_alu instid0(VALU_DEP_4) | instskip(SKIP_1) | instid1(VALU_DEP_3)
	v_dual_add_f32 v2, v2, v5 :: v_dual_add_f32 v3, v3, v214
	v_dual_mul_f32 v5, v173, v117 :: v_dual_fmac_f32 v216, v171, v114
	v_fmac_f32_e32 v217, v173, v116
	v_fma_f32 v6, v170, v114, -v6
	s_delay_alu instid0(VALU_DEP_4) | instskip(SKIP_2) | instid1(VALU_DEP_2)
	v_dual_add_f32 v2, v2, v4 :: v_dual_add_f32 v3, v3, v215
	v_dual_mul_f32 v219, v176, v121 :: v_dual_mul_f32 v220, v178, v123
	v_dual_mul_f32 v221, v180, v125 :: v_dual_mul_f32 v222, v182, v127
	v_dual_mul_f32 v4, v175, v119 :: v_dual_fmac_f32 v219, v177, v120
	v_fma_f32 v5, v172, v116, -v5
	v_dual_add_f32 v2, v2, v6 :: v_dual_add_f32 v3, v3, v216
	v_mul_f32_e32 v6, v177, v121
	v_dual_fmac_f32 v218, v175, v118 :: v_dual_fmac_f32 v221, v181, v124
	v_fma_f32 v4, v174, v118, -v4
	s_delay_alu instid0(VALU_DEP_4) | instskip(SKIP_3) | instid1(VALU_DEP_3)
	v_add_f32_e32 v3, v3, v217
	v_dual_add_f32 v2, v2, v5 :: v_dual_mul_f32 v5, v179, v123
	v_fma_f32 v6, v176, v120, -v6
	v_dual_mul_f32 v225, v188, v133 :: v_dual_mul_f32 v226, v190, v135
	v_dual_add_f32 v3, v3, v218 :: v_dual_add_f32 v2, v2, v4
	v_mul_f32_e32 v4, v181, v125
	v_fmac_f32_e32 v220, v179, v122
	v_fma_f32 v5, v178, v122, -v5
	s_delay_alu instid0(VALU_DEP_4) | instskip(SKIP_3) | instid1(VALU_DEP_4)
	v_dual_add_f32 v3, v3, v219 :: v_dual_add_f32 v2, v2, v6
	v_dual_mul_f32 v223, v184, v129 :: v_dual_mul_f32 v224, v186, v131
	v_mul_f32_e32 v6, v183, v127
	v_dual_fmac_f32 v222, v183, v126 :: v_dual_fmac_f32 v225, v189, v132
	v_add_f32_e32 v2, v2, v5
	v_mul_f32_e32 v5, v185, v129
	v_add_f32_e32 v3, v3, v220
	v_fma_f32 v4, v180, v124, -v4
	v_fmac_f32_e32 v223, v185, v128
	v_fma_f32 v6, v182, v126, -v6
	v_dual_mul_f32 v227, v192, v137 :: v_dual_mul_f32 v228, v194, v139
	v_add_f32_e32 v3, v3, v221
	v_fma_f32 v5, v184, v128, -v5
	s_delay_alu instid0(VALU_DEP_3) | instskip(NEXT) | instid1(VALU_DEP_4)
	v_dual_fmac_f32 v224, v187, v130 :: v_dual_fmac_f32 v227, v193, v136
	v_fmac_f32_e32 v228, v195, v138
	s_delay_alu instid0(VALU_DEP_4) | instskip(SKIP_2) | instid1(VALU_DEP_3)
	v_dual_add_f32 v3, v3, v222 :: v_dual_add_f32 v2, v2, v4
	v_mul_f32_e32 v4, v187, v131
	v_dual_fmac_f32 v226, v191, v134 :: v_dual_fmac_f32 v229, v201, v196
	v_dual_add_f32 v3, v3, v223 :: v_dual_add_f32 v2, v2, v6
	v_mul_f32_e32 v6, v189, v133
	s_delay_alu instid0(VALU_DEP_4) | instskip(NEXT) | instid1(VALU_DEP_3)
	v_fma_f32 v4, v186, v130, -v4
	v_dual_add_f32 v2, v2, v5 :: v_dual_mul_f32 v5, v191, v135
	s_delay_alu instid0(VALU_DEP_3) | instskip(NEXT) | instid1(VALU_DEP_2)
	v_fma_f32 v6, v188, v132, -v6
	v_add_f32_e32 v2, v2, v4
	s_delay_alu instid0(VALU_DEP_3) | instskip(NEXT) | instid1(VALU_DEP_2)
	v_fma_f32 v5, v190, v134, -v5
	v_add_f32_e32 v2, v2, v6
	v_mul_f32_e32 v6, v195, v139
	s_delay_alu instid0(VALU_DEP_2) | instskip(SKIP_2) | instid1(VALU_DEP_4)
	v_add_f32_e32 v2, v2, v5
	v_mul_f32_e32 v5, v201, v197
	v_add_f32_e32 v3, v3, v224
	v_fma_f32 v6, v194, v138, -v6
	s_delay_alu instid0(VALU_DEP_2) | instskip(NEXT) | instid1(VALU_DEP_1)
	v_add_f32_e32 v3, v3, v225
	v_dual_mul_f32 v4, v193, v137 :: v_dual_add_f32 v3, v3, v226
	s_delay_alu instid0(VALU_DEP_1) | instskip(NEXT) | instid1(VALU_DEP_2)
	v_fma_f32 v4, v192, v136, -v4
	v_add_f32_e32 v3, v3, v227
	s_delay_alu instid0(VALU_DEP_1) | instskip(NEXT) | instid1(VALU_DEP_3)
	v_add_f32_e32 v3, v3, v228
	v_add_f32_e32 v2, v2, v4
	v_fma_f32 v4, v200, v196, -v5
	s_delay_alu instid0(VALU_DEP_2) | instskip(SKIP_1) | instid1(VALU_DEP_1)
	v_dual_add_f32 v3, v3, v229 :: v_dual_add_f32 v2, v2, v6
	s_wait_loadcnt 0x0
	v_dual_sub_f32 v3, v199, v3 :: v_dual_add_f32 v2, v2, v4
	s_delay_alu instid0(VALU_DEP_1)
	v_sub_f32_e32 v2, v198, v2
	scratch_store_b64 off, v[2:3], off offset:80
	v_cmpx_lt_u32_e32 9, v0
	s_cbranch_execz .LBB39_235
; %bb.234:
	scratch_load_b64 v[3:4], off, off offset:72
	v_mov_b32_e32 v2, v1
	scratch_store_b64 off, v[1:2], off offset:72
	s_wait_loadcnt 0x0
	ds_store_b64 v23, v[3:4]
.LBB39_235:
	s_wait_alu 0xfffe
	s_or_b32 exec_lo, exec_lo, s0
	s_wait_storecnt_dscnt 0x0
	s_barrier_signal -1
	s_barrier_wait -1
	global_inv scope:SCOPE_SE
	s_clause 0xf
	scratch_load_b128 v[2:5], off, off offset:80
	scratch_load_b128 v[6:9], off, off offset:96
	;; [unrolled: 1-line block ×15, first 2 shown]
	scratch_load_b64 v[204:205], off, off offset:72
	ds_load_b128 v[144:147], v1 offset:400
	ds_load_b128 v[148:151], v1 offset:416
	;; [unrolled: 1-line block ×15, first 2 shown]
	s_mov_b32 s0, exec_lo
	s_wait_loadcnt_dscnt 0xf0e
	v_dual_mul_f32 v1, v144, v3 :: v_dual_mul_f32 v22, v146, v5
	s_wait_loadcnt_dscnt 0xe0d
	v_dual_mul_f32 v5, v147, v5 :: v_dual_mul_f32 v206, v148, v7
	v_mul_f32_e32 v207, v150, v9
	s_wait_loadcnt_dscnt 0xd0c
	v_dual_fmac_f32 v1, v145, v2 :: v_dual_mul_f32 v208, v152, v11
	s_wait_loadcnt_dscnt 0xc0b
	v_dual_mul_f32 v209, v154, v13 :: v_dual_mul_f32 v210, v156, v15
	v_mul_f32_e32 v211, v158, v17
	v_dual_mul_f32 v3, v145, v3 :: v_dual_fmac_f32 v22, v147, v4
	s_wait_loadcnt_dscnt 0xb0a
	v_dual_mul_f32 v212, v160, v19 :: v_dual_mul_f32 v213, v162, v21
	s_wait_loadcnt_dscnt 0x201
	v_mul_f32_e32 v230, v196, v137
	v_fma_f32 v3, v144, v2, -v3
	s_wait_loadcnt_dscnt 0x100
	v_mul_f32_e32 v233, v202, v143
	v_mul_f32_e32 v2, v149, v7
	v_fma_f32 v4, v146, v4, -v5
	v_dual_mul_f32 v5, v151, v9 :: v_dual_fmac_f32 v208, v153, v10
	v_dual_add_f32 v3, 0, v3 :: v_dual_fmac_f32 v206, v149, v6
	s_delay_alu instid0(VALU_DEP_4) | instskip(NEXT) | instid1(VALU_DEP_3)
	v_fma_f32 v2, v148, v6, -v2
	v_fma_f32 v5, v150, v8, -v5
	s_delay_alu instid0(VALU_DEP_3) | instskip(SKIP_2) | instid1(VALU_DEP_3)
	v_dual_fmac_f32 v210, v157, v14 :: v_dual_add_f32 v3, v3, v4
	v_dual_mul_f32 v214, v164, v25 :: v_dual_mul_f32 v215, v166, v27
	v_dual_fmac_f32 v212, v161, v18 :: v_dual_fmac_f32 v211, v159, v16
	v_add_f32_e32 v2, v3, v2
	v_mul_f32_e32 v3, v155, v13
	v_dual_mul_f32 v216, v168, v109 :: v_dual_mul_f32 v217, v170, v111
	v_mul_f32_e32 v4, v153, v11
	s_delay_alu instid0(VALU_DEP_4) | instskip(SKIP_4) | instid1(VALU_DEP_4)
	v_add_f32_e32 v2, v2, v5
	v_add_f32_e32 v1, 0, v1
	v_fma_f32 v3, v154, v12, -v3
	v_dual_mul_f32 v220, v176, v117 :: v_dual_mul_f32 v221, v178, v119
	v_fma_f32 v4, v152, v10, -v4
	v_dual_add_f32 v1, v1, v22 :: v_dual_mul_f32 v218, v172, v113
	v_mul_f32_e32 v219, v174, v115
	s_delay_alu instid0(VALU_DEP_3) | instskip(NEXT) | instid1(VALU_DEP_3)
	v_dual_fmac_f32 v217, v171, v110 :: v_dual_add_f32 v2, v2, v4
	v_dual_add_f32 v1, v1, v206 :: v_dual_mul_f32 v4, v159, v17
	v_dual_fmac_f32 v207, v151, v8 :: v_dual_mul_f32 v222, v180, v121
	v_mul_f32_e32 v223, v182, v123
	s_delay_alu instid0(VALU_DEP_4) | instskip(NEXT) | instid1(VALU_DEP_4)
	v_add_f32_e32 v2, v2, v3
	v_fma_f32 v4, v158, v16, -v4
	v_mul_f32_e32 v5, v157, v15
	v_add_f32_e32 v1, v1, v207
	v_dual_fmac_f32 v215, v167, v26 :: v_dual_fmac_f32 v218, v173, v112
	v_dual_mul_f32 v226, v188, v129 :: v_dual_mul_f32 v227, v190, v131
	s_delay_alu instid0(VALU_DEP_4) | instskip(SKIP_3) | instid1(VALU_DEP_4)
	v_fma_f32 v5, v156, v14, -v5
	v_fmac_f32_e32 v209, v155, v12
	v_fmac_f32_e32 v214, v165, v24
	v_dual_mul_f32 v224, v184, v125 :: v_dual_mul_f32 v225, v186, v127
	v_add_f32_e32 v2, v2, v5
	v_mul_f32_e32 v5, v163, v21
	v_dual_fmac_f32 v223, v183, v122 :: v_dual_mul_f32 v228, v192, v133
	v_mul_f32_e32 v229, v194, v135
	s_delay_alu instid0(VALU_DEP_4) | instskip(NEXT) | instid1(VALU_DEP_4)
	v_add_f32_e32 v2, v2, v4
	v_fma_f32 v5, v162, v20, -v5
	v_mul_f32_e32 v3, v161, v19
	v_mul_f32_e32 v4, v165, v25
	v_dual_fmac_f32 v216, v169, v108 :: v_dual_mul_f32 v231, v198, v139
	v_mul_f32_e32 v232, v200, v141
	s_delay_alu instid0(VALU_DEP_4) | instskip(SKIP_3) | instid1(VALU_DEP_4)
	v_fma_f32 v3, v160, v18, -v3
	v_add_f32_e32 v1, v1, v208
	v_fma_f32 v4, v164, v24, -v4
	v_dual_fmac_f32 v221, v179, v118 :: v_dual_fmac_f32 v224, v185, v124
	v_add_f32_e32 v2, v2, v3
	v_mul_f32_e32 v3, v167, v27
	v_fmac_f32_e32 v229, v195, v134
	v_dual_fmac_f32 v227, v191, v130 :: v_dual_fmac_f32 v230, v197, v136
	s_delay_alu instid0(VALU_DEP_4) | instskip(SKIP_3) | instid1(VALU_DEP_3)
	v_add_f32_e32 v2, v2, v5
	v_add_f32_e32 v1, v1, v209
	v_fma_f32 v3, v166, v26, -v3
	v_dual_fmac_f32 v233, v203, v142 :: v_dual_fmac_f32 v220, v177, v116
	v_dual_add_f32 v2, v2, v4 :: v_dual_add_f32 v1, v1, v210
	v_mul_f32_e32 v4, v171, v111
	v_fmac_f32_e32 v213, v163, v20
	v_fmac_f32_e32 v222, v181, v120
	s_delay_alu instid0(VALU_DEP_4) | instskip(NEXT) | instid1(VALU_DEP_4)
	v_dual_add_f32 v2, v2, v3 :: v_dual_mul_f32 v3, v173, v113
	v_fma_f32 v4, v170, v110, -v4
	v_mul_f32_e32 v5, v169, v109
	v_fmac_f32_e32 v226, v189, v128
	v_fmac_f32_e32 v228, v193, v132
	v_fma_f32 v3, v172, v112, -v3
	v_fmac_f32_e32 v232, v201, v140
	v_fma_f32 v5, v168, v108, -v5
	s_delay_alu instid0(VALU_DEP_1) | instskip(NEXT) | instid1(VALU_DEP_1)
	v_dual_add_f32 v1, v1, v211 :: v_dual_add_f32 v2, v2, v5
	v_dual_mul_f32 v5, v175, v115 :: v_dual_add_f32 v2, v2, v4
	s_delay_alu instid0(VALU_DEP_2) | instskip(SKIP_1) | instid1(VALU_DEP_3)
	v_add_f32_e32 v1, v1, v212
	v_mul_f32_e32 v4, v177, v117
	v_fma_f32 v5, v174, v114, -v5
	s_delay_alu instid0(VALU_DEP_4) | instskip(SKIP_1) | instid1(VALU_DEP_4)
	v_dual_add_f32 v2, v2, v3 :: v_dual_fmac_f32 v219, v175, v114
	v_mul_f32_e32 v3, v179, v119
	v_fma_f32 v4, v176, v116, -v4
	s_delay_alu instid0(VALU_DEP_3) | instskip(SKIP_1) | instid1(VALU_DEP_4)
	v_add_f32_e32 v2, v2, v5
	v_add_f32_e32 v1, v1, v213
	v_fma_f32 v3, v178, v118, -v3
	s_delay_alu instid0(VALU_DEP_3) | instskip(NEXT) | instid1(VALU_DEP_3)
	v_dual_add_f32 v2, v2, v4 :: v_dual_mul_f32 v5, v181, v121
	v_dual_add_f32 v1, v1, v214 :: v_dual_mul_f32 v4, v183, v123
	s_delay_alu instid0(VALU_DEP_2) | instskip(NEXT) | instid1(VALU_DEP_3)
	v_add_f32_e32 v2, v2, v3
	v_fma_f32 v5, v180, v120, -v5
	s_delay_alu instid0(VALU_DEP_3) | instskip(SKIP_2) | instid1(VALU_DEP_4)
	v_add_f32_e32 v1, v1, v215
	v_mul_f32_e32 v3, v185, v125
	v_fma_f32 v4, v182, v122, -v4
	v_dual_add_f32 v2, v2, v5 :: v_dual_mul_f32 v5, v187, v127
	s_delay_alu instid0(VALU_DEP_3) | instskip(NEXT) | instid1(VALU_DEP_2)
	v_fma_f32 v3, v184, v124, -v3
	v_add_f32_e32 v2, v2, v4
	v_add_f32_e32 v1, v1, v216
	v_mul_f32_e32 v4, v189, v129
	v_fma_f32 v5, v186, v126, -v5
	s_delay_alu instid0(VALU_DEP_4) | instskip(SKIP_1) | instid1(VALU_DEP_4)
	v_dual_add_f32 v2, v2, v3 :: v_dual_fmac_f32 v225, v187, v126
	v_mul_f32_e32 v3, v191, v131
	v_fma_f32 v4, v188, v128, -v4
	s_delay_alu instid0(VALU_DEP_3) | instskip(SKIP_1) | instid1(VALU_DEP_4)
	v_add_f32_e32 v2, v2, v5
	v_add_f32_e32 v1, v1, v217
	v_fma_f32 v3, v190, v130, -v3
	s_delay_alu instid0(VALU_DEP_3) | instskip(NEXT) | instid1(VALU_DEP_3)
	v_dual_add_f32 v2, v2, v4 :: v_dual_mul_f32 v5, v193, v133
	v_dual_add_f32 v1, v1, v218 :: v_dual_mul_f32 v4, v195, v135
	s_delay_alu instid0(VALU_DEP_2) | instskip(NEXT) | instid1(VALU_DEP_3)
	v_add_f32_e32 v2, v2, v3
	v_fma_f32 v5, v192, v132, -v5
	s_delay_alu instid0(VALU_DEP_3) | instskip(SKIP_2) | instid1(VALU_DEP_4)
	v_add_f32_e32 v1, v1, v219
	v_mul_f32_e32 v3, v197, v137
	v_fma_f32 v4, v194, v134, -v4
	v_dual_add_f32 v2, v2, v5 :: v_dual_mul_f32 v5, v199, v139
	s_delay_alu instid0(VALU_DEP_3) | instskip(NEXT) | instid1(VALU_DEP_2)
	v_fma_f32 v3, v196, v136, -v3
	v_add_f32_e32 v2, v2, v4
	v_add_f32_e32 v1, v1, v220
	v_mul_f32_e32 v4, v201, v141
	v_fma_f32 v5, v198, v138, -v5
	s_delay_alu instid0(VALU_DEP_4) | instskip(SKIP_1) | instid1(VALU_DEP_4)
	v_dual_add_f32 v2, v2, v3 :: v_dual_fmac_f32 v231, v199, v138
	v_mul_f32_e32 v3, v203, v143
	v_fma_f32 v4, v200, v140, -v4
	s_delay_alu instid0(VALU_DEP_3) | instskip(SKIP_1) | instid1(VALU_DEP_4)
	v_add_f32_e32 v2, v2, v5
	v_add_f32_e32 v1, v1, v221
	v_fma_f32 v3, v202, v142, -v3
	s_delay_alu instid0(VALU_DEP_2) | instskip(NEXT) | instid1(VALU_DEP_1)
	v_dual_add_f32 v2, v2, v4 :: v_dual_add_f32 v1, v1, v222
	v_add_f32_e32 v2, v2, v3
	s_delay_alu instid0(VALU_DEP_2) | instskip(NEXT) | instid1(VALU_DEP_1)
	v_add_f32_e32 v1, v1, v223
	v_add_f32_e32 v1, v1, v224
	s_delay_alu instid0(VALU_DEP_1) | instskip(NEXT) | instid1(VALU_DEP_1)
	v_add_f32_e32 v1, v1, v225
	v_add_f32_e32 v1, v1, v226
	s_delay_alu instid0(VALU_DEP_1) | instskip(NEXT) | instid1(VALU_DEP_1)
	;; [unrolled: 3-line block ×4, first 2 shown]
	v_add_f32_e32 v1, v1, v231
	v_add_f32_e32 v1, v1, v232
	s_delay_alu instid0(VALU_DEP_1) | instskip(SKIP_1) | instid1(VALU_DEP_1)
	v_add_f32_e32 v3, v1, v233
	s_wait_loadcnt 0x0
	v_dual_sub_f32 v1, v204, v2 :: v_dual_sub_f32 v2, v205, v3
	scratch_store_b64 off, v[1:2], off offset:72
	v_cmpx_lt_u32_e32 8, v0
	s_cbranch_execz .LBB39_237
; %bb.236:
	scratch_load_b64 v[1:2], off, off offset:64
	v_mov_b32_e32 v3, 0
	s_delay_alu instid0(VALU_DEP_1)
	v_mov_b32_e32 v4, v3
	scratch_store_b64 off, v[3:4], off offset:64
	s_wait_loadcnt 0x0
	ds_store_b64 v23, v[1:2]
.LBB39_237:
	s_wait_alu 0xfffe
	s_or_b32 exec_lo, exec_lo, s0
	s_wait_storecnt_dscnt 0x0
	s_barrier_signal -1
	s_barrier_wait -1
	global_inv scope:SCOPE_SE
	s_clause 0x10
	scratch_load_b128 v[2:5], off, off offset:72
	scratch_load_b128 v[6:9], off, off offset:88
	;; [unrolled: 1-line block ×15, first 2 shown]
	scratch_load_b64 v[204:205], off, off offset:312
	scratch_load_b64 v[206:207], off, off offset:64
	v_mov_b32_e32 v1, 0
	ds_load_2addr_b64 v[144:147], v1 offset0:49 offset1:50
	ds_load_2addr_b64 v[148:151], v1 offset0:51 offset1:52
	;; [unrolled: 1-line block ×15, first 2 shown]
	ds_load_b64 v[208:209], v1 offset:632
	s_mov_b32 s0, exec_lo
	s_wait_loadcnt_dscnt 0x100f
	v_mul_f32_e32 v22, v144, v3
	v_dual_mul_f32 v3, v145, v3 :: v_dual_mul_f32 v210, v146, v5
	s_wait_loadcnt_dscnt 0xc0b
	v_dual_mul_f32 v211, v148, v7 :: v_dual_mul_f32 v218, v162, v21
	v_mul_f32_e32 v5, v147, v5
	s_delay_alu instid0(VALU_DEP_3) | instskip(SKIP_1) | instid1(VALU_DEP_4)
	v_fma_f32 v3, v144, v2, -v3
	v_dual_mul_f32 v212, v150, v9 :: v_dual_mul_f32 v213, v152, v11
	v_dual_fmac_f32 v210, v147, v4 :: v_dual_fmac_f32 v211, v149, v6
	v_fmac_f32_e32 v22, v145, v2
	v_mul_f32_e32 v2, v149, v7
	v_fma_f32 v4, v146, v4, -v5
	v_add_f32_e32 v3, 0, v3
	s_wait_loadcnt_dscnt 0x100
	v_mul_f32_e32 v239, v208, v205
	v_dual_add_f32 v5, 0, v22 :: v_dual_fmac_f32 v212, v151, v8
	v_mul_f32_e32 v7, v151, v9
	v_fma_f32 v2, v148, v6, -v2
	s_delay_alu instid0(VALU_DEP_3) | instskip(SKIP_1) | instid1(VALU_DEP_4)
	v_dual_add_f32 v3, v3, v4 :: v_dual_add_f32 v4, v5, v210
	v_mul_f32_e32 v5, v153, v11
	v_fma_f32 v6, v150, v8, -v7
	v_dual_mul_f32 v214, v154, v13 :: v_dual_mul_f32 v215, v156, v15
	s_delay_alu instid0(VALU_DEP_4) | instskip(SKIP_2) | instid1(VALU_DEP_4)
	v_dual_add_f32 v2, v3, v2 :: v_dual_add_f32 v3, v4, v211
	v_mul_f32_e32 v4, v155, v13
	v_fma_f32 v5, v152, v10, -v5
	v_fmac_f32_e32 v214, v155, v12
	s_delay_alu instid0(VALU_DEP_4) | instskip(SKIP_3) | instid1(VALU_DEP_4)
	v_add_f32_e32 v2, v2, v6
	v_fmac_f32_e32 v213, v153, v10
	v_dual_add_f32 v3, v3, v212 :: v_dual_mul_f32 v6, v157, v15
	v_fma_f32 v4, v154, v12, -v4
	v_add_f32_e32 v2, v2, v5
	v_dual_mul_f32 v216, v158, v17 :: v_dual_mul_f32 v217, v160, v19
	s_delay_alu instid0(VALU_DEP_4)
	v_add_f32_e32 v3, v3, v213
	v_mul_f32_e32 v5, v159, v17
	v_fma_f32 v6, v156, v14, -v6
	v_dual_add_f32 v2, v2, v4 :: v_dual_fmac_f32 v215, v157, v14
	v_fmac_f32_e32 v216, v159, v16
	v_mul_f32_e32 v4, v161, v19
	v_fma_f32 v5, v158, v16, -v5
	s_delay_alu instid0(VALU_DEP_4) | instskip(SKIP_3) | instid1(VALU_DEP_3)
	v_add_f32_e32 v2, v2, v6
	v_add_f32_e32 v3, v3, v214
	v_dual_mul_f32 v6, v163, v21 :: v_dual_fmac_f32 v217, v161, v18
	v_fma_f32 v4, v160, v18, -v4
	v_dual_add_f32 v2, v2, v5 :: v_dual_add_f32 v3, v3, v215
	s_delay_alu instid0(VALU_DEP_3) | instskip(SKIP_1) | instid1(VALU_DEP_3)
	v_fma_f32 v6, v162, v20, -v6
	v_dual_mul_f32 v219, v164, v25 :: v_dual_mul_f32 v220, v166, v27
	v_add_f32_e32 v2, v2, v4
	s_delay_alu instid0(VALU_DEP_4) | instskip(SKIP_1) | instid1(VALU_DEP_4)
	v_add_f32_e32 v3, v3, v216
	v_dual_mul_f32 v5, v165, v25 :: v_dual_fmac_f32 v218, v163, v20
	v_dual_mul_f32 v4, v167, v27 :: v_dual_fmac_f32 v219, v165, v24
	s_delay_alu instid0(VALU_DEP_3) | instskip(NEXT) | instid1(VALU_DEP_3)
	v_dual_add_f32 v2, v2, v6 :: v_dual_add_f32 v3, v3, v217
	v_fma_f32 v5, v164, v24, -v5
	v_dual_mul_f32 v221, v168, v109 :: v_dual_mul_f32 v222, v170, v111
	s_delay_alu instid0(VALU_DEP_3) | instskip(NEXT) | instid1(VALU_DEP_2)
	v_dual_mul_f32 v6, v169, v109 :: v_dual_add_f32 v3, v3, v218
	v_dual_fmac_f32 v220, v167, v26 :: v_dual_fmac_f32 v221, v169, v108
	v_fma_f32 v4, v166, v26, -v4
	s_delay_alu instid0(VALU_DEP_3) | instskip(SKIP_3) | instid1(VALU_DEP_4)
	v_dual_add_f32 v2, v2, v5 :: v_dual_add_f32 v3, v3, v219
	v_mul_f32_e32 v5, v171, v111
	v_fma_f32 v6, v168, v108, -v6
	v_dual_mul_f32 v223, v172, v113 :: v_dual_mul_f32 v224, v174, v115
	v_add_f32_e32 v2, v2, v4
	v_dual_add_f32 v3, v3, v220 :: v_dual_mul_f32 v4, v173, v113
	s_delay_alu instid0(VALU_DEP_3) | instskip(SKIP_1) | instid1(VALU_DEP_3)
	v_dual_fmac_f32 v222, v171, v110 :: v_dual_fmac_f32 v223, v173, v112
	v_fma_f32 v5, v170, v110, -v5
	v_dual_add_f32 v2, v2, v6 :: v_dual_add_f32 v3, v3, v221
	v_mul_f32_e32 v6, v175, v115
	v_fma_f32 v4, v172, v112, -v4
	v_dual_mul_f32 v225, v176, v117 :: v_dual_mul_f32 v226, v178, v119
	s_delay_alu instid0(VALU_DEP_4) | instskip(SKIP_1) | instid1(VALU_DEP_3)
	v_dual_add_f32 v2, v2, v5 :: v_dual_add_f32 v3, v3, v222
	v_dual_mul_f32 v5, v177, v117 :: v_dual_fmac_f32 v224, v175, v114
	v_fmac_f32_e32 v225, v177, v116
	v_fma_f32 v6, v174, v114, -v6
	s_delay_alu instid0(VALU_DEP_4) | instskip(SKIP_2) | instid1(VALU_DEP_2)
	v_dual_add_f32 v2, v2, v4 :: v_dual_add_f32 v3, v3, v223
	v_dual_mul_f32 v227, v180, v121 :: v_dual_mul_f32 v228, v182, v123
	v_dual_mul_f32 v229, v184, v125 :: v_dual_mul_f32 v230, v186, v127
	v_dual_mul_f32 v4, v179, v119 :: v_dual_fmac_f32 v227, v181, v120
	v_fma_f32 v5, v176, v116, -v5
	v_dual_add_f32 v2, v2, v6 :: v_dual_add_f32 v3, v3, v224
	v_mul_f32_e32 v6, v181, v121
	v_dual_fmac_f32 v226, v179, v118 :: v_dual_fmac_f32 v229, v185, v124
	v_fma_f32 v4, v178, v118, -v4
	s_delay_alu instid0(VALU_DEP_4) | instskip(SKIP_3) | instid1(VALU_DEP_3)
	v_add_f32_e32 v3, v3, v225
	v_dual_add_f32 v2, v2, v5 :: v_dual_mul_f32 v5, v183, v123
	v_fma_f32 v6, v180, v120, -v6
	v_dual_mul_f32 v233, v192, v133 :: v_dual_mul_f32 v234, v194, v135
	v_dual_add_f32 v3, v3, v226 :: v_dual_add_f32 v2, v2, v4
	v_mul_f32_e32 v4, v185, v125
	v_fmac_f32_e32 v228, v183, v122
	v_fma_f32 v5, v182, v122, -v5
	s_delay_alu instid0(VALU_DEP_4) | instskip(SKIP_3) | instid1(VALU_DEP_4)
	v_dual_add_f32 v3, v3, v227 :: v_dual_add_f32 v2, v2, v6
	v_dual_mul_f32 v231, v188, v129 :: v_dual_mul_f32 v232, v190, v131
	v_mul_f32_e32 v6, v187, v127
	v_dual_fmac_f32 v230, v187, v126 :: v_dual_fmac_f32 v233, v193, v132
	v_add_f32_e32 v2, v2, v5
	v_mul_f32_e32 v5, v189, v129
	v_add_f32_e32 v3, v3, v228
	v_fma_f32 v4, v184, v124, -v4
	v_fmac_f32_e32 v231, v189, v128
	v_fma_f32 v6, v186, v126, -v6
	v_dual_mul_f32 v235, v196, v137 :: v_dual_mul_f32 v236, v198, v139
	v_add_f32_e32 v3, v3, v229
	v_fma_f32 v5, v188, v128, -v5
	s_delay_alu instid0(VALU_DEP_3) | instskip(NEXT) | instid1(VALU_DEP_4)
	v_dual_fmac_f32 v232, v191, v130 :: v_dual_fmac_f32 v235, v197, v136
	v_fmac_f32_e32 v236, v199, v138
	s_delay_alu instid0(VALU_DEP_4) | instskip(SKIP_2) | instid1(VALU_DEP_3)
	v_dual_add_f32 v3, v3, v230 :: v_dual_add_f32 v2, v2, v4
	v_dual_mul_f32 v4, v191, v131 :: v_dual_mul_f32 v237, v200, v141
	v_mul_f32_e32 v238, v202, v143
	v_dual_add_f32 v3, v3, v231 :: v_dual_add_f32 v2, v2, v6
	v_mul_f32_e32 v6, v193, v133
	s_delay_alu instid0(VALU_DEP_4) | instskip(SKIP_1) | instid1(VALU_DEP_4)
	v_fma_f32 v4, v190, v130, -v4
	v_dual_fmac_f32 v234, v195, v134 :: v_dual_fmac_f32 v237, v201, v140
	v_dual_add_f32 v2, v2, v5 :: v_dual_mul_f32 v5, v195, v135
	s_delay_alu instid0(VALU_DEP_4) | instskip(SKIP_1) | instid1(VALU_DEP_3)
	v_fma_f32 v6, v192, v132, -v6
	v_dual_fmac_f32 v238, v203, v142 :: v_dual_fmac_f32 v239, v209, v204
	v_add_f32_e32 v2, v2, v4
	s_delay_alu instid0(VALU_DEP_4) | instskip(NEXT) | instid1(VALU_DEP_2)
	v_fma_f32 v5, v194, v134, -v5
	v_add_f32_e32 v2, v2, v6
	v_mul_f32_e32 v6, v199, v139
	s_delay_alu instid0(VALU_DEP_2) | instskip(SKIP_2) | instid1(VALU_DEP_4)
	v_add_f32_e32 v2, v2, v5
	v_mul_f32_e32 v5, v201, v141
	v_add_f32_e32 v3, v3, v232
	v_fma_f32 v6, v198, v138, -v6
	s_delay_alu instid0(VALU_DEP_3) | instskip(NEXT) | instid1(VALU_DEP_3)
	v_fma_f32 v5, v200, v140, -v5
	v_add_f32_e32 v3, v3, v233
	s_delay_alu instid0(VALU_DEP_1) | instskip(NEXT) | instid1(VALU_DEP_1)
	v_dual_mul_f32 v4, v197, v137 :: v_dual_add_f32 v3, v3, v234
	v_fma_f32 v4, v196, v136, -v4
	s_delay_alu instid0(VALU_DEP_2) | instskip(NEXT) | instid1(VALU_DEP_1)
	v_add_f32_e32 v3, v3, v235
	v_add_f32_e32 v3, v3, v236
	s_delay_alu instid0(VALU_DEP_3) | instskip(SKIP_1) | instid1(VALU_DEP_3)
	v_add_f32_e32 v2, v2, v4
	v_mul_f32_e32 v4, v203, v143
	v_add_f32_e32 v3, v3, v237
	s_delay_alu instid0(VALU_DEP_2) | instskip(NEXT) | instid1(VALU_DEP_2)
	v_fma_f32 v4, v202, v142, -v4
	v_add_f32_e32 v3, v3, v238
	s_delay_alu instid0(VALU_DEP_1) | instskip(SKIP_2) | instid1(VALU_DEP_2)
	v_dual_add_f32 v2, v2, v6 :: v_dual_add_f32 v3, v3, v239
	v_mul_f32_e32 v6, v209, v205
	s_wait_loadcnt 0x0
	v_dual_add_f32 v2, v2, v5 :: v_dual_sub_f32 v3, v207, v3
	s_delay_alu instid0(VALU_DEP_2) | instskip(NEXT) | instid1(VALU_DEP_2)
	v_fma_f32 v5, v208, v204, -v6
	v_add_f32_e32 v2, v2, v4
	s_delay_alu instid0(VALU_DEP_1) | instskip(NEXT) | instid1(VALU_DEP_1)
	v_add_f32_e32 v2, v2, v5
	v_sub_f32_e32 v2, v206, v2
	scratch_store_b64 off, v[2:3], off offset:64
	v_cmpx_lt_u32_e32 7, v0
	s_cbranch_execz .LBB39_239
; %bb.238:
	scratch_load_b64 v[3:4], off, off offset:56
	v_mov_b32_e32 v2, v1
	scratch_store_b64 off, v[1:2], off offset:56
	s_wait_loadcnt 0x0
	ds_store_b64 v23, v[3:4]
.LBB39_239:
	s_wait_alu 0xfffe
	s_or_b32 exec_lo, exec_lo, s0
	s_wait_storecnt_dscnt 0x0
	s_barrier_signal -1
	s_barrier_wait -1
	global_inv scope:SCOPE_SE
	s_clause 0x10
	scratch_load_b128 v[2:5], off, off offset:64
	scratch_load_b128 v[6:9], off, off offset:80
	;; [unrolled: 1-line block ×16, first 2 shown]
	scratch_load_b64 v[212:213], off, off offset:56
	ds_load_b128 v[148:151], v1 offset:384
	ds_load_b128 v[152:155], v1 offset:400
	;; [unrolled: 1-line block ×16, first 2 shown]
	s_mov_b32 s0, exec_lo
	s_wait_loadcnt_dscnt 0x100f
	v_dual_mul_f32 v1, v148, v3 :: v_dual_mul_f32 v22, v150, v5
	s_wait_loadcnt_dscnt 0xf0e
	v_dual_mul_f32 v5, v151, v5 :: v_dual_mul_f32 v214, v152, v7
	v_mul_f32_e32 v215, v154, v9
	s_wait_loadcnt_dscnt 0xe0d
	v_dual_fmac_f32 v1, v149, v2 :: v_dual_mul_f32 v216, v156, v11
	s_wait_loadcnt_dscnt 0xd0c
	v_dual_mul_f32 v217, v158, v13 :: v_dual_mul_f32 v218, v160, v15
	v_mul_f32_e32 v219, v162, v17
	v_dual_mul_f32 v3, v149, v3 :: v_dual_fmac_f32 v22, v151, v4
	s_wait_loadcnt_dscnt 0xc0b
	v_dual_mul_f32 v220, v164, v19 :: v_dual_mul_f32 v221, v166, v21
	s_wait_loadcnt_dscnt 0x201
	v_mul_f32_e32 v240, v204, v141
	v_fma_f32 v3, v148, v2, -v3
	s_wait_loadcnt_dscnt 0x100
	v_mul_f32_e32 v243, v210, v147
	v_mul_f32_e32 v2, v153, v7
	v_fma_f32 v4, v150, v4, -v5
	v_dual_mul_f32 v5, v155, v9 :: v_dual_fmac_f32 v216, v157, v10
	v_dual_add_f32 v3, 0, v3 :: v_dual_fmac_f32 v214, v153, v6
	s_delay_alu instid0(VALU_DEP_4) | instskip(NEXT) | instid1(VALU_DEP_3)
	v_fma_f32 v2, v152, v6, -v2
	v_fma_f32 v5, v154, v8, -v5
	s_delay_alu instid0(VALU_DEP_3) | instskip(SKIP_2) | instid1(VALU_DEP_3)
	v_dual_fmac_f32 v218, v161, v14 :: v_dual_add_f32 v3, v3, v4
	v_dual_mul_f32 v222, v168, v25 :: v_dual_mul_f32 v223, v170, v27
	v_dual_fmac_f32 v219, v163, v16 :: v_dual_fmac_f32 v220, v165, v18
	v_add_f32_e32 v2, v3, v2
	v_mul_f32_e32 v3, v159, v13
	v_dual_mul_f32 v224, v172, v109 :: v_dual_mul_f32 v225, v174, v111
	v_mul_f32_e32 v4, v157, v11
	s_delay_alu instid0(VALU_DEP_4) | instskip(SKIP_4) | instid1(VALU_DEP_4)
	v_add_f32_e32 v2, v2, v5
	v_add_f32_e32 v1, 0, v1
	v_fma_f32 v3, v158, v12, -v3
	v_dual_mul_f32 v228, v180, v117 :: v_dual_mul_f32 v229, v182, v119
	v_fma_f32 v4, v156, v10, -v4
	v_dual_add_f32 v1, v1, v22 :: v_dual_mul_f32 v226, v176, v113
	v_mul_f32_e32 v227, v178, v115
	s_delay_alu instid0(VALU_DEP_3) | instskip(NEXT) | instid1(VALU_DEP_3)
	v_dual_fmac_f32 v225, v175, v110 :: v_dual_add_f32 v2, v2, v4
	v_dual_add_f32 v1, v1, v214 :: v_dual_mul_f32 v4, v163, v17
	v_dual_fmac_f32 v215, v155, v8 :: v_dual_mul_f32 v230, v184, v121
	v_mul_f32_e32 v231, v186, v123
	s_delay_alu instid0(VALU_DEP_4) | instskip(NEXT) | instid1(VALU_DEP_4)
	v_add_f32_e32 v2, v2, v3
	v_fma_f32 v4, v162, v16, -v4
	v_mul_f32_e32 v5, v161, v15
	v_add_f32_e32 v1, v1, v215
	v_dual_fmac_f32 v223, v171, v26 :: v_dual_fmac_f32 v226, v177, v112
	v_dual_mul_f32 v234, v192, v129 :: v_dual_mul_f32 v235, v194, v131
	s_delay_alu instid0(VALU_DEP_4) | instskip(SKIP_3) | instid1(VALU_DEP_4)
	v_fma_f32 v5, v160, v14, -v5
	v_fmac_f32_e32 v217, v159, v12
	v_fmac_f32_e32 v222, v169, v24
	v_dual_mul_f32 v232, v188, v125 :: v_dual_mul_f32 v233, v190, v127
	v_add_f32_e32 v2, v2, v5
	v_mul_f32_e32 v5, v167, v21
	v_dual_fmac_f32 v231, v187, v122 :: v_dual_mul_f32 v236, v196, v133
	v_mul_f32_e32 v237, v198, v135
	s_delay_alu instid0(VALU_DEP_4) | instskip(NEXT) | instid1(VALU_DEP_4)
	v_add_f32_e32 v2, v2, v4
	v_fma_f32 v5, v166, v20, -v5
	v_mul_f32_e32 v3, v165, v19
	v_mul_f32_e32 v4, v169, v25
	v_dual_mul_f32 v238, v200, v137 :: v_dual_mul_f32 v239, v202, v139
	v_fmac_f32_e32 v224, v173, v108
	s_delay_alu instid0(VALU_DEP_4) | instskip(SKIP_3) | instid1(VALU_DEP_4)
	v_fma_f32 v3, v164, v18, -v3
	v_add_f32_e32 v1, v1, v216
	v_fma_f32 v4, v168, v24, -v4
	v_dual_fmac_f32 v229, v183, v118 :: v_dual_fmac_f32 v232, v189, v124
	v_add_f32_e32 v2, v2, v3
	v_mul_f32_e32 v3, v171, v27
	v_fmac_f32_e32 v237, v199, v134
	v_dual_mul_f32 v241, v206, v143 :: v_dual_mul_f32 v242, v208, v145
	s_delay_alu instid0(VALU_DEP_4) | instskip(SKIP_3) | instid1(VALU_DEP_3)
	v_add_f32_e32 v2, v2, v5
	v_add_f32_e32 v1, v1, v217
	v_fma_f32 v3, v170, v26, -v3
	v_dual_fmac_f32 v235, v195, v130 :: v_dual_fmac_f32 v238, v201, v136
	v_dual_add_f32 v2, v2, v4 :: v_dual_add_f32 v1, v1, v218
	v_mul_f32_e32 v4, v175, v111
	v_fmac_f32_e32 v221, v167, v20
	s_delay_alu instid0(VALU_DEP_3) | instskip(SKIP_1) | instid1(VALU_DEP_4)
	v_dual_fmac_f32 v241, v207, v142 :: v_dual_add_f32 v2, v2, v3
	v_mul_f32_e32 v3, v177, v113
	v_fma_f32 v4, v174, v110, -v4
	v_mul_f32_e32 v5, v173, v109
	v_dual_fmac_f32 v228, v181, v116 :: v_dual_fmac_f32 v243, v211, v146
	s_delay_alu instid0(VALU_DEP_4) | instskip(SKIP_1) | instid1(VALU_DEP_4)
	v_fma_f32 v3, v176, v112, -v3
	v_fmac_f32_e32 v230, v185, v120
	v_fma_f32 v5, v172, v108, -v5
	v_add_f32_e32 v1, v1, v219
	v_fmac_f32_e32 v234, v193, v128
	v_fmac_f32_e32 v236, v197, v132
	v_fmac_f32_e32 v240, v205, v140
	v_dual_add_f32 v2, v2, v5 :: v_dual_mul_f32 v5, v179, v115
	v_fmac_f32_e32 v242, v209, v144
	s_delay_alu instid0(VALU_DEP_2) | instskip(SKIP_3) | instid1(VALU_DEP_4)
	v_add_f32_e32 v2, v2, v4
	v_add_f32_e32 v1, v1, v220
	v_mul_f32_e32 v4, v181, v117
	v_fma_f32 v5, v178, v114, -v5
	v_dual_add_f32 v2, v2, v3 :: v_dual_fmac_f32 v227, v179, v114
	v_mul_f32_e32 v3, v183, v119
	s_delay_alu instid0(VALU_DEP_4) | instskip(NEXT) | instid1(VALU_DEP_3)
	v_fma_f32 v4, v180, v116, -v4
	v_add_f32_e32 v2, v2, v5
	v_add_f32_e32 v1, v1, v221
	s_delay_alu instid0(VALU_DEP_4) | instskip(NEXT) | instid1(VALU_DEP_3)
	v_fma_f32 v3, v182, v118, -v3
	v_dual_add_f32 v2, v2, v4 :: v_dual_mul_f32 v5, v185, v121
	s_delay_alu instid0(VALU_DEP_3) | instskip(NEXT) | instid1(VALU_DEP_2)
	v_dual_add_f32 v1, v1, v222 :: v_dual_mul_f32 v4, v187, v123
	v_add_f32_e32 v2, v2, v3
	s_delay_alu instid0(VALU_DEP_3) | instskip(NEXT) | instid1(VALU_DEP_3)
	v_fma_f32 v5, v184, v120, -v5
	v_add_f32_e32 v1, v1, v223
	v_mul_f32_e32 v3, v189, v125
	v_fma_f32 v4, v186, v122, -v4
	s_delay_alu instid0(VALU_DEP_4) | instskip(NEXT) | instid1(VALU_DEP_3)
	v_dual_add_f32 v2, v2, v5 :: v_dual_mul_f32 v5, v191, v127
	v_fma_f32 v3, v188, v124, -v3
	s_delay_alu instid0(VALU_DEP_2) | instskip(SKIP_3) | instid1(VALU_DEP_4)
	v_add_f32_e32 v2, v2, v4
	v_add_f32_e32 v1, v1, v224
	v_mul_f32_e32 v4, v193, v129
	v_fma_f32 v5, v190, v126, -v5
	v_dual_add_f32 v2, v2, v3 :: v_dual_fmac_f32 v233, v191, v126
	v_mul_f32_e32 v3, v195, v131
	s_delay_alu instid0(VALU_DEP_4) | instskip(NEXT) | instid1(VALU_DEP_3)
	v_fma_f32 v4, v192, v128, -v4
	v_add_f32_e32 v2, v2, v5
	v_add_f32_e32 v1, v1, v225
	s_delay_alu instid0(VALU_DEP_4) | instskip(NEXT) | instid1(VALU_DEP_3)
	v_fma_f32 v3, v194, v130, -v3
	v_dual_add_f32 v2, v2, v4 :: v_dual_mul_f32 v5, v197, v133
	s_delay_alu instid0(VALU_DEP_3) | instskip(NEXT) | instid1(VALU_DEP_2)
	v_dual_add_f32 v1, v1, v226 :: v_dual_mul_f32 v4, v199, v135
	v_add_f32_e32 v2, v2, v3
	s_delay_alu instid0(VALU_DEP_3) | instskip(NEXT) | instid1(VALU_DEP_3)
	v_fma_f32 v5, v196, v132, -v5
	v_add_f32_e32 v1, v1, v227
	v_mul_f32_e32 v3, v201, v137
	v_fma_f32 v4, v198, v134, -v4
	s_delay_alu instid0(VALU_DEP_4) | instskip(NEXT) | instid1(VALU_DEP_3)
	v_dual_add_f32 v2, v2, v5 :: v_dual_mul_f32 v5, v203, v139
	v_fma_f32 v3, v200, v136, -v3
	s_delay_alu instid0(VALU_DEP_2) | instskip(SKIP_3) | instid1(VALU_DEP_4)
	v_add_f32_e32 v2, v2, v4
	v_add_f32_e32 v1, v1, v228
	v_mul_f32_e32 v4, v205, v141
	v_fma_f32 v5, v202, v138, -v5
	v_dual_add_f32 v2, v2, v3 :: v_dual_fmac_f32 v239, v203, v138
	v_mul_f32_e32 v3, v207, v143
	s_delay_alu instid0(VALU_DEP_4) | instskip(NEXT) | instid1(VALU_DEP_3)
	v_fma_f32 v4, v204, v140, -v4
	v_add_f32_e32 v2, v2, v5
	v_add_f32_e32 v1, v1, v229
	s_delay_alu instid0(VALU_DEP_4) | instskip(NEXT) | instid1(VALU_DEP_2)
	v_fma_f32 v3, v206, v142, -v3
	v_dual_add_f32 v2, v2, v4 :: v_dual_add_f32 v1, v1, v230
	v_dual_mul_f32 v4, v211, v147 :: v_dual_mul_f32 v5, v209, v145
	s_delay_alu instid0(VALU_DEP_2) | instskip(NEXT) | instid1(VALU_DEP_2)
	v_add_f32_e32 v2, v2, v3
	v_fma_f32 v3, v210, v146, -v4
	s_delay_alu instid0(VALU_DEP_3) | instskip(NEXT) | instid1(VALU_DEP_1)
	v_fma_f32 v5, v208, v144, -v5
	v_dual_add_f32 v1, v1, v231 :: v_dual_add_f32 v2, v2, v5
	s_delay_alu instid0(VALU_DEP_1) | instskip(NEXT) | instid1(VALU_DEP_1)
	v_dual_add_f32 v1, v1, v232 :: v_dual_add_f32 v2, v2, v3
	v_add_f32_e32 v1, v1, v233
	s_delay_alu instid0(VALU_DEP_1) | instskip(NEXT) | instid1(VALU_DEP_1)
	v_add_f32_e32 v1, v1, v234
	v_add_f32_e32 v1, v1, v235
	s_delay_alu instid0(VALU_DEP_1) | instskip(NEXT) | instid1(VALU_DEP_1)
	v_add_f32_e32 v1, v1, v236
	;; [unrolled: 3-line block ×5, first 2 shown]
	v_add_f32_e32 v3, v1, v243
	s_wait_loadcnt 0x0
	s_delay_alu instid0(VALU_DEP_1)
	v_dual_sub_f32 v1, v212, v2 :: v_dual_sub_f32 v2, v213, v3
	scratch_store_b64 off, v[1:2], off offset:56
	v_cmpx_lt_u32_e32 6, v0
	s_cbranch_execz .LBB39_241
; %bb.240:
	scratch_load_b64 v[1:2], off, off offset:48
	v_mov_b32_e32 v3, 0
	s_delay_alu instid0(VALU_DEP_1)
	v_mov_b32_e32 v4, v3
	scratch_store_b64 off, v[3:4], off offset:48
	s_wait_loadcnt 0x0
	ds_store_b64 v23, v[1:2]
.LBB39_241:
	s_wait_alu 0xfffe
	s_or_b32 exec_lo, exec_lo, s0
	s_wait_storecnt_dscnt 0x0
	s_barrier_signal -1
	s_barrier_wait -1
	global_inv scope:SCOPE_SE
	s_clause 0x11
	scratch_load_b128 v[2:5], off, off offset:56
	scratch_load_b128 v[6:9], off, off offset:72
	;; [unrolled: 1-line block ×16, first 2 shown]
	scratch_load_b64 v[212:213], off, off offset:312
	scratch_load_b64 v[214:215], off, off offset:48
	v_mov_b32_e32 v1, 0
	ds_load_2addr_b64 v[148:151], v1 offset0:47 offset1:48
	ds_load_2addr_b64 v[152:155], v1 offset0:49 offset1:50
	;; [unrolled: 1-line block ×16, first 2 shown]
	ds_load_b64 v[216:217], v1 offset:632
	s_mov_b32 s0, exec_lo
	s_wait_loadcnt_dscnt 0x1110
	v_mul_f32_e32 v22, v148, v3
	v_dual_mul_f32 v3, v149, v3 :: v_dual_mul_f32 v218, v150, v5
	s_wait_loadcnt_dscnt 0xd0c
	v_dual_mul_f32 v219, v152, v7 :: v_dual_mul_f32 v226, v166, v21
	v_mul_f32_e32 v5, v151, v5
	s_delay_alu instid0(VALU_DEP_3) | instskip(SKIP_1) | instid1(VALU_DEP_4)
	v_fma_f32 v3, v148, v2, -v3
	v_dual_mul_f32 v220, v154, v9 :: v_dual_mul_f32 v221, v156, v11
	v_dual_fmac_f32 v218, v151, v4 :: v_dual_fmac_f32 v219, v153, v6
	s_delay_alu instid0(VALU_DEP_3)
	v_dual_add_f32 v3, 0, v3 :: v_dual_fmac_f32 v22, v149, v2
	v_mul_f32_e32 v2, v153, v7
	v_fma_f32 v4, v150, v4, -v5
	v_dual_mul_f32 v222, v158, v13 :: v_dual_mul_f32 v223, v160, v15
	s_wait_loadcnt_dscnt 0x100
	v_mul_f32_e32 v249, v216, v213
	v_dual_add_f32 v5, 0, v22 :: v_dual_fmac_f32 v220, v155, v8
	v_mul_f32_e32 v7, v155, v9
	v_fma_f32 v2, v152, v6, -v2
	s_delay_alu instid0(VALU_DEP_3) | instskip(SKIP_1) | instid1(VALU_DEP_4)
	v_dual_add_f32 v3, v3, v4 :: v_dual_add_f32 v4, v5, v218
	v_mul_f32_e32 v5, v157, v11
	v_fma_f32 v6, v154, v8, -v7
	v_dual_mul_f32 v224, v162, v17 :: v_dual_mul_f32 v225, v164, v19
	s_delay_alu instid0(VALU_DEP_4) | instskip(SKIP_3) | instid1(VALU_DEP_4)
	v_dual_add_f32 v2, v3, v2 :: v_dual_add_f32 v3, v4, v219
	v_fmac_f32_e32 v222, v159, v12
	v_mul_f32_e32 v4, v159, v13
	v_fma_f32 v5, v156, v10, -v5
	v_add_f32_e32 v2, v2, v6
	v_fmac_f32_e32 v221, v157, v10
	v_dual_add_f32 v3, v3, v220 :: v_dual_mul_f32 v6, v161, v15
	v_fma_f32 v4, v158, v12, -v4
	s_delay_alu instid0(VALU_DEP_4) | instskip(SKIP_1) | instid1(VALU_DEP_4)
	v_add_f32_e32 v2, v2, v5
	v_mul_f32_e32 v5, v163, v17
	v_add_f32_e32 v3, v3, v221
	v_fma_f32 v6, v160, v14, -v6
	v_dual_fmac_f32 v223, v161, v14 :: v_dual_fmac_f32 v224, v163, v16
	v_add_f32_e32 v2, v2, v4
	v_mul_f32_e32 v4, v165, v19
	v_fma_f32 v5, v162, v16, -v5
	v_fmac_f32_e32 v225, v165, v18
	v_dual_mul_f32 v227, v168, v25 :: v_dual_mul_f32 v228, v170, v27
	v_add_f32_e32 v2, v2, v6
	v_add_f32_e32 v3, v3, v222
	v_mul_f32_e32 v6, v167, v21
	v_fma_f32 v4, v164, v18, -v4
	v_fmac_f32_e32 v226, v167, v20
	s_delay_alu instid0(VALU_DEP_4) | instskip(NEXT) | instid1(VALU_DEP_4)
	v_dual_add_f32 v2, v2, v5 :: v_dual_add_f32 v3, v3, v223
	v_fma_f32 v6, v166, v20, -v6
	v_mul_f32_e32 v5, v169, v25
	v_fmac_f32_e32 v227, v169, v24
	s_delay_alu instid0(VALU_DEP_4) | instskip(SKIP_4) | instid1(VALU_DEP_4)
	v_add_f32_e32 v2, v2, v4
	v_add_f32_e32 v3, v3, v224
	v_mul_f32_e32 v4, v171, v27
	v_fma_f32 v5, v168, v24, -v5
	v_dual_mul_f32 v229, v172, v109 :: v_dual_mul_f32 v230, v174, v111
	v_dual_add_f32 v2, v2, v6 :: v_dual_add_f32 v3, v3, v225
	v_mul_f32_e32 v6, v173, v109
	s_delay_alu instid0(VALU_DEP_3) | instskip(SKIP_1) | instid1(VALU_DEP_4)
	v_dual_fmac_f32 v228, v171, v26 :: v_dual_fmac_f32 v229, v173, v108
	v_fma_f32 v4, v170, v26, -v4
	v_dual_add_f32 v3, v3, v226 :: v_dual_add_f32 v2, v2, v5
	s_delay_alu instid0(VALU_DEP_4) | instskip(SKIP_1) | instid1(VALU_DEP_3)
	v_fma_f32 v6, v172, v108, -v6
	v_dual_mul_f32 v231, v176, v113 :: v_dual_mul_f32 v232, v178, v115
	v_add_f32_e32 v3, v3, v227
	s_delay_alu instid0(VALU_DEP_4) | instskip(SKIP_1) | instid1(VALU_DEP_4)
	v_dual_mul_f32 v5, v175, v111 :: v_dual_add_f32 v2, v2, v4
	v_mul_f32_e32 v4, v177, v113
	v_dual_fmac_f32 v230, v175, v110 :: v_dual_fmac_f32 v231, v177, v112
	s_delay_alu instid0(VALU_DEP_4) | instskip(NEXT) | instid1(VALU_DEP_4)
	v_add_f32_e32 v3, v3, v228
	v_fma_f32 v5, v174, v110, -v5
	v_add_f32_e32 v2, v2, v6
	v_mul_f32_e32 v6, v179, v115
	v_fma_f32 v4, v176, v112, -v4
	v_add_f32_e32 v3, v3, v229
	v_dual_mul_f32 v233, v180, v117 :: v_dual_mul_f32 v234, v182, v119
	v_add_f32_e32 v2, v2, v5
	v_mul_f32_e32 v5, v181, v117
	s_delay_alu instid0(VALU_DEP_4) | instskip(NEXT) | instid1(VALU_DEP_4)
	v_add_f32_e32 v3, v3, v230
	v_dual_fmac_f32 v232, v179, v114 :: v_dual_fmac_f32 v233, v181, v116
	v_fma_f32 v6, v178, v114, -v6
	s_delay_alu instid0(VALU_DEP_3) | instskip(SKIP_2) | instid1(VALU_DEP_2)
	v_dual_add_f32 v2, v2, v4 :: v_dual_add_f32 v3, v3, v231
	v_dual_mul_f32 v235, v184, v121 :: v_dual_mul_f32 v236, v186, v123
	v_dual_mul_f32 v237, v188, v125 :: v_dual_mul_f32 v238, v190, v127
	v_dual_mul_f32 v4, v183, v119 :: v_dual_fmac_f32 v235, v185, v120
	v_fma_f32 v5, v180, v116, -v5
	v_dual_add_f32 v2, v2, v6 :: v_dual_add_f32 v3, v3, v232
	v_mul_f32_e32 v6, v185, v121
	v_dual_fmac_f32 v234, v183, v118 :: v_dual_fmac_f32 v237, v189, v124
	v_fma_f32 v4, v182, v118, -v4
	s_delay_alu instid0(VALU_DEP_4) | instskip(SKIP_3) | instid1(VALU_DEP_3)
	v_add_f32_e32 v3, v3, v233
	v_dual_add_f32 v2, v2, v5 :: v_dual_mul_f32 v5, v187, v123
	v_fma_f32 v6, v184, v120, -v6
	v_dual_mul_f32 v241, v196, v133 :: v_dual_mul_f32 v242, v198, v135
	v_dual_add_f32 v3, v3, v234 :: v_dual_add_f32 v2, v2, v4
	v_mul_f32_e32 v4, v189, v125
	v_fmac_f32_e32 v236, v187, v122
	v_fma_f32 v5, v186, v122, -v5
	s_delay_alu instid0(VALU_DEP_4) | instskip(SKIP_3) | instid1(VALU_DEP_4)
	v_dual_add_f32 v3, v3, v235 :: v_dual_add_f32 v2, v2, v6
	v_dual_mul_f32 v239, v192, v129 :: v_dual_mul_f32 v240, v194, v131
	v_mul_f32_e32 v6, v191, v127
	v_dual_fmac_f32 v238, v191, v126 :: v_dual_fmac_f32 v241, v197, v132
	v_add_f32_e32 v2, v2, v5
	v_mul_f32_e32 v5, v193, v129
	v_add_f32_e32 v3, v3, v236
	v_fma_f32 v4, v188, v124, -v4
	v_fmac_f32_e32 v239, v193, v128
	v_fma_f32 v6, v190, v126, -v6
	v_dual_mul_f32 v243, v200, v137 :: v_dual_mul_f32 v244, v202, v139
	v_add_f32_e32 v3, v3, v237
	v_fma_f32 v5, v192, v128, -v5
	s_delay_alu instid0(VALU_DEP_3) | instskip(NEXT) | instid1(VALU_DEP_4)
	v_dual_fmac_f32 v240, v195, v130 :: v_dual_fmac_f32 v243, v201, v136
	v_dual_fmac_f32 v244, v203, v138 :: v_dual_fmac_f32 v249, v217, v212
	s_delay_alu instid0(VALU_DEP_4) | instskip(SKIP_2) | instid1(VALU_DEP_3)
	v_dual_add_f32 v3, v3, v238 :: v_dual_add_f32 v2, v2, v4
	v_dual_mul_f32 v4, v195, v131 :: v_dual_mul_f32 v245, v204, v141
	v_mul_f32_e32 v246, v206, v143
	v_dual_add_f32 v3, v3, v239 :: v_dual_add_f32 v2, v2, v6
	v_mul_f32_e32 v6, v197, v133
	s_delay_alu instid0(VALU_DEP_4) | instskip(SKIP_1) | instid1(VALU_DEP_4)
	v_fma_f32 v4, v194, v130, -v4
	v_dual_fmac_f32 v242, v199, v134 :: v_dual_fmac_f32 v245, v205, v140
	v_dual_add_f32 v2, v2, v5 :: v_dual_mul_f32 v5, v199, v135
	s_delay_alu instid0(VALU_DEP_4) | instskip(SKIP_1) | instid1(VALU_DEP_3)
	v_fma_f32 v6, v196, v132, -v6
	v_dual_mul_f32 v247, v208, v145 :: v_dual_mul_f32 v248, v210, v147
	v_add_f32_e32 v2, v2, v4
	s_delay_alu instid0(VALU_DEP_4) | instskip(NEXT) | instid1(VALU_DEP_3)
	v_fma_f32 v5, v198, v134, -v5
	v_dual_fmac_f32 v246, v207, v142 :: v_dual_fmac_f32 v247, v209, v144
	s_delay_alu instid0(VALU_DEP_4) | instskip(NEXT) | instid1(VALU_DEP_4)
	v_fmac_f32_e32 v248, v211, v146
	v_add_f32_e32 v2, v2, v6
	v_mul_f32_e32 v6, v203, v139
	s_delay_alu instid0(VALU_DEP_2) | instskip(SKIP_2) | instid1(VALU_DEP_4)
	v_add_f32_e32 v2, v2, v5
	v_mul_f32_e32 v5, v205, v141
	v_add_f32_e32 v3, v3, v240
	v_fma_f32 v6, v202, v138, -v6
	s_delay_alu instid0(VALU_DEP_3) | instskip(NEXT) | instid1(VALU_DEP_3)
	v_fma_f32 v5, v204, v140, -v5
	v_add_f32_e32 v3, v3, v241
	s_delay_alu instid0(VALU_DEP_1) | instskip(NEXT) | instid1(VALU_DEP_1)
	v_dual_mul_f32 v4, v201, v137 :: v_dual_add_f32 v3, v3, v242
	v_fma_f32 v4, v200, v136, -v4
	s_delay_alu instid0(VALU_DEP_2) | instskip(NEXT) | instid1(VALU_DEP_1)
	v_add_f32_e32 v3, v3, v243
	v_add_f32_e32 v3, v3, v244
	s_delay_alu instid0(VALU_DEP_3) | instskip(SKIP_1) | instid1(VALU_DEP_2)
	v_add_f32_e32 v2, v2, v4
	v_mul_f32_e32 v4, v207, v143
	v_dual_add_f32 v3, v3, v245 :: v_dual_add_f32 v2, v2, v6
	v_mul_f32_e32 v6, v209, v145
	s_delay_alu instid0(VALU_DEP_3) | instskip(NEXT) | instid1(VALU_DEP_3)
	v_fma_f32 v4, v206, v142, -v4
	v_dual_add_f32 v3, v3, v246 :: v_dual_add_f32 v2, v2, v5
	v_mul_f32_e32 v5, v211, v147
	s_delay_alu instid0(VALU_DEP_4) | instskip(NEXT) | instid1(VALU_DEP_3)
	v_fma_f32 v6, v208, v144, -v6
	v_add_f32_e32 v3, v3, v247
	s_delay_alu instid0(VALU_DEP_3) | instskip(NEXT) | instid1(VALU_DEP_2)
	v_fma_f32 v5, v210, v146, -v5
	v_add_f32_e32 v3, v3, v248
	s_delay_alu instid0(VALU_DEP_1) | instskip(SKIP_2) | instid1(VALU_DEP_2)
	v_dual_add_f32 v2, v2, v4 :: v_dual_add_f32 v3, v3, v249
	v_mul_f32_e32 v4, v217, v213
	s_wait_loadcnt 0x0
	v_dual_add_f32 v2, v2, v6 :: v_dual_sub_f32 v3, v215, v3
	s_delay_alu instid0(VALU_DEP_2) | instskip(NEXT) | instid1(VALU_DEP_2)
	v_fma_f32 v4, v216, v212, -v4
	v_add_f32_e32 v2, v2, v5
	s_delay_alu instid0(VALU_DEP_1) | instskip(NEXT) | instid1(VALU_DEP_1)
	v_add_f32_e32 v2, v2, v4
	v_sub_f32_e32 v2, v214, v2
	scratch_store_b64 off, v[2:3], off offset:48
	v_cmpx_lt_u32_e32 5, v0
	s_cbranch_execz .LBB39_243
; %bb.242:
	scratch_load_b64 v[3:4], off, off offset:40
	v_mov_b32_e32 v2, v1
	scratch_store_b64 off, v[1:2], off offset:40
	s_wait_loadcnt 0x0
	ds_store_b64 v23, v[3:4]
.LBB39_243:
	s_wait_alu 0xfffe
	s_or_b32 exec_lo, exec_lo, s0
	s_wait_storecnt_dscnt 0x0
	s_barrier_signal -1
	s_barrier_wait -1
	global_inv scope:SCOPE_SE
	s_clause 0x11
	scratch_load_b128 v[2:5], off, off offset:48
	scratch_load_b128 v[6:9], off, off offset:64
	scratch_load_b128 v[10:13], off, off offset:80
	scratch_load_b128 v[14:17], off, off offset:96
	scratch_load_b128 v[18:21], off, off offset:112
	scratch_load_b128 v[24:27], off, off offset:128
	scratch_load_b128 v[108:111], off, off offset:144
	scratch_load_b128 v[112:115], off, off offset:160
	scratch_load_b128 v[116:119], off, off offset:176
	scratch_load_b128 v[120:123], off, off offset:192
	scratch_load_b128 v[124:127], off, off offset:208
	scratch_load_b128 v[128:131], off, off offset:224
	scratch_load_b128 v[132:135], off, off offset:240
	scratch_load_b128 v[136:139], off, off offset:256
	scratch_load_b128 v[140:143], off, off offset:272
	scratch_load_b128 v[144:147], off, off offset:288
	scratch_load_b128 v[148:151], off, off offset:304
	scratch_load_b64 v[220:221], off, off offset:40
	ds_load_b128 v[152:155], v1 offset:368
	ds_load_b128 v[156:159], v1 offset:384
	;; [unrolled: 1-line block ×17, first 2 shown]
	s_mov_b32 s0, exec_lo
	s_wait_loadcnt_dscnt 0x1110
	v_dual_mul_f32 v1, v152, v3 :: v_dual_mul_f32 v22, v154, v5
	s_wait_loadcnt_dscnt 0x100f
	v_dual_mul_f32 v5, v155, v5 :: v_dual_mul_f32 v222, v156, v7
	v_mul_f32_e32 v223, v158, v9
	s_wait_loadcnt_dscnt 0xf0e
	v_dual_fmac_f32 v1, v153, v2 :: v_dual_mul_f32 v224, v160, v11
	s_wait_loadcnt_dscnt 0xe0d
	v_dual_mul_f32 v225, v162, v13 :: v_dual_mul_f32 v226, v164, v15
	s_wait_loadcnt_dscnt 0xd0c
	v_dual_mul_f32 v227, v166, v17 :: v_dual_mul_f32 v228, v168, v19
	v_mul_f32_e32 v229, v170, v21
	v_dual_mul_f32 v3, v153, v3 :: v_dual_fmac_f32 v22, v155, v4
	s_wait_loadcnt_dscnt 0xc0b
	v_dual_mul_f32 v230, v172, v25 :: v_dual_mul_f32 v231, v174, v27
	s_wait_loadcnt_dscnt 0x201
	v_mul_f32_e32 v250, v212, v145
	v_fma_f32 v3, v152, v2, -v3
	s_wait_loadcnt_dscnt 0x100
	v_mul_f32_e32 v253, v218, v151
	v_mul_f32_e32 v2, v157, v7
	v_fma_f32 v4, v154, v4, -v5
	v_dual_mul_f32 v5, v159, v9 :: v_dual_fmac_f32 v224, v161, v10
	v_dual_add_f32 v3, 0, v3 :: v_dual_fmac_f32 v222, v157, v6
	s_delay_alu instid0(VALU_DEP_4) | instskip(NEXT) | instid1(VALU_DEP_3)
	v_fma_f32 v2, v156, v6, -v2
	v_fma_f32 v5, v158, v8, -v5
	s_delay_alu instid0(VALU_DEP_3) | instskip(SKIP_2) | instid1(VALU_DEP_3)
	v_dual_fmac_f32 v226, v165, v14 :: v_dual_add_f32 v3, v3, v4
	v_dual_fmac_f32 v227, v167, v16 :: v_dual_mul_f32 v232, v176, v109
	v_dual_mul_f32 v233, v178, v111 :: v_dual_fmac_f32 v228, v169, v18
	v_add_f32_e32 v2, v3, v2
	v_mul_f32_e32 v3, v163, v13
	v_dual_mul_f32 v236, v184, v117 :: v_dual_mul_f32 v237, v186, v119
	v_mul_f32_e32 v4, v161, v11
	s_delay_alu instid0(VALU_DEP_4) | instskip(SKIP_4) | instid1(VALU_DEP_4)
	v_add_f32_e32 v2, v2, v5
	v_add_f32_e32 v1, 0, v1
	v_fma_f32 v3, v162, v12, -v3
	v_dual_mul_f32 v234, v180, v113 :: v_dual_mul_f32 v235, v182, v115
	v_fma_f32 v4, v160, v10, -v4
	v_add_f32_e32 v1, v1, v22
	v_dual_fmac_f32 v233, v179, v110 :: v_dual_mul_f32 v238, v188, v121
	v_mul_f32_e32 v239, v190, v123
	s_delay_alu instid0(VALU_DEP_3) | instskip(SKIP_3) | instid1(VALU_DEP_4)
	v_dual_add_f32 v2, v2, v4 :: v_dual_add_f32 v1, v1, v222
	v_mul_f32_e32 v4, v167, v17
	v_fmac_f32_e32 v223, v159, v8
	v_dual_fmac_f32 v231, v175, v26 :: v_dual_fmac_f32 v234, v181, v112
	v_add_f32_e32 v2, v2, v3
	s_delay_alu instid0(VALU_DEP_4) | instskip(SKIP_4) | instid1(VALU_DEP_4)
	v_fma_f32 v4, v166, v16, -v4
	v_mul_f32_e32 v5, v165, v15
	v_dual_add_f32 v1, v1, v223 :: v_dual_mul_f32 v242, v196, v129
	v_dual_mul_f32 v243, v198, v131 :: v_dual_mul_f32 v240, v192, v125
	v_mul_f32_e32 v241, v194, v127
	v_fma_f32 v5, v164, v14, -v5
	v_fmac_f32_e32 v225, v163, v12
	v_dual_fmac_f32 v230, v173, v24 :: v_dual_fmac_f32 v239, v191, v122
	v_dual_mul_f32 v244, v200, v133 :: v_dual_mul_f32 v245, v202, v135
	s_delay_alu instid0(VALU_DEP_4) | instskip(SKIP_3) | instid1(VALU_DEP_3)
	v_add_f32_e32 v2, v2, v5
	v_mul_f32_e32 v5, v171, v21
	v_dual_mul_f32 v248, v208, v141 :: v_dual_mul_f32 v249, v210, v143
	v_dual_mul_f32 v246, v204, v137 :: v_dual_mul_f32 v247, v206, v139
	v_fma_f32 v5, v170, v20, -v5
	v_dual_mul_f32 v3, v169, v19 :: v_dual_add_f32 v2, v2, v4
	v_mul_f32_e32 v4, v173, v25
	v_dual_fmac_f32 v232, v177, v108 :: v_dual_fmac_f32 v245, v203, v134
	s_delay_alu instid0(VALU_DEP_3) | instskip(SKIP_1) | instid1(VALU_DEP_4)
	v_fma_f32 v3, v168, v18, -v3
	v_add_f32_e32 v1, v1, v224
	v_fma_f32 v4, v172, v24, -v4
	v_dual_fmac_f32 v237, v187, v118 :: v_dual_fmac_f32 v240, v193, v124
	s_delay_alu instid0(VALU_DEP_4) | instskip(SKIP_3) | instid1(VALU_DEP_4)
	v_add_f32_e32 v2, v2, v3
	v_mul_f32_e32 v3, v175, v27
	v_dual_fmac_f32 v243, v199, v130 :: v_dual_fmac_f32 v246, v205, v136
	v_dual_mul_f32 v251, v214, v147 :: v_dual_mul_f32 v252, v216, v149
	v_add_f32_e32 v2, v2, v5
	v_add_f32_e32 v1, v1, v225
	v_fma_f32 v3, v174, v26, -v3
	s_delay_alu instid0(VALU_DEP_4) | instskip(NEXT) | instid1(VALU_DEP_3)
	v_dual_fmac_f32 v249, v211, v142 :: v_dual_fmac_f32 v252, v217, v148
	v_dual_add_f32 v2, v2, v4 :: v_dual_add_f32 v1, v1, v226
	v_mul_f32_e32 v4, v179, v111
	v_fmac_f32_e32 v229, v171, v20
	s_delay_alu instid0(VALU_DEP_3) | instskip(SKIP_1) | instid1(VALU_DEP_4)
	v_dual_fmac_f32 v251, v215, v146 :: v_dual_add_f32 v2, v2, v3
	v_mul_f32_e32 v3, v181, v113
	v_fma_f32 v4, v178, v110, -v4
	v_mul_f32_e32 v5, v177, v109
	v_dual_fmac_f32 v236, v185, v116 :: v_dual_fmac_f32 v253, v219, v150
	s_delay_alu instid0(VALU_DEP_4) | instskip(SKIP_1) | instid1(VALU_DEP_4)
	v_fma_f32 v3, v180, v112, -v3
	v_fmac_f32_e32 v238, v189, v120
	v_fma_f32 v5, v176, v108, -v5
	v_add_f32_e32 v1, v1, v227
	v_fmac_f32_e32 v242, v197, v128
	v_fmac_f32_e32 v244, v201, v132
	;; [unrolled: 1-line block ×3, first 2 shown]
	v_dual_add_f32 v2, v2, v5 :: v_dual_mul_f32 v5, v183, v115
	v_fmac_f32_e32 v250, v213, v144
	s_delay_alu instid0(VALU_DEP_2) | instskip(SKIP_3) | instid1(VALU_DEP_4)
	v_add_f32_e32 v2, v2, v4
	v_add_f32_e32 v1, v1, v228
	v_mul_f32_e32 v4, v185, v117
	v_fma_f32 v5, v182, v114, -v5
	v_dual_add_f32 v2, v2, v3 :: v_dual_fmac_f32 v235, v183, v114
	v_mul_f32_e32 v3, v187, v119
	s_delay_alu instid0(VALU_DEP_4) | instskip(NEXT) | instid1(VALU_DEP_3)
	v_fma_f32 v4, v184, v116, -v4
	v_add_f32_e32 v2, v2, v5
	v_add_f32_e32 v1, v1, v229
	s_delay_alu instid0(VALU_DEP_4) | instskip(NEXT) | instid1(VALU_DEP_3)
	v_fma_f32 v3, v186, v118, -v3
	v_dual_add_f32 v2, v2, v4 :: v_dual_mul_f32 v5, v189, v121
	s_delay_alu instid0(VALU_DEP_3) | instskip(NEXT) | instid1(VALU_DEP_2)
	v_dual_add_f32 v1, v1, v230 :: v_dual_mul_f32 v4, v191, v123
	v_add_f32_e32 v2, v2, v3
	s_delay_alu instid0(VALU_DEP_3) | instskip(NEXT) | instid1(VALU_DEP_3)
	v_fma_f32 v5, v188, v120, -v5
	v_add_f32_e32 v1, v1, v231
	v_mul_f32_e32 v3, v193, v125
	v_fma_f32 v4, v190, v122, -v4
	s_delay_alu instid0(VALU_DEP_4) | instskip(NEXT) | instid1(VALU_DEP_3)
	v_dual_add_f32 v2, v2, v5 :: v_dual_mul_f32 v5, v195, v127
	v_fma_f32 v3, v192, v124, -v3
	s_delay_alu instid0(VALU_DEP_2) | instskip(SKIP_3) | instid1(VALU_DEP_4)
	v_add_f32_e32 v2, v2, v4
	v_add_f32_e32 v1, v1, v232
	v_mul_f32_e32 v4, v197, v129
	v_fma_f32 v5, v194, v126, -v5
	v_dual_add_f32 v2, v2, v3 :: v_dual_fmac_f32 v241, v195, v126
	v_mul_f32_e32 v3, v199, v131
	s_delay_alu instid0(VALU_DEP_4) | instskip(NEXT) | instid1(VALU_DEP_3)
	v_fma_f32 v4, v196, v128, -v4
	v_add_f32_e32 v2, v2, v5
	v_add_f32_e32 v1, v1, v233
	s_delay_alu instid0(VALU_DEP_4) | instskip(NEXT) | instid1(VALU_DEP_3)
	v_fma_f32 v3, v198, v130, -v3
	v_dual_add_f32 v2, v2, v4 :: v_dual_mul_f32 v5, v201, v133
	s_delay_alu instid0(VALU_DEP_3) | instskip(NEXT) | instid1(VALU_DEP_2)
	v_dual_add_f32 v1, v1, v234 :: v_dual_mul_f32 v4, v203, v135
	v_add_f32_e32 v2, v2, v3
	s_delay_alu instid0(VALU_DEP_3) | instskip(NEXT) | instid1(VALU_DEP_3)
	v_fma_f32 v5, v200, v132, -v5
	v_add_f32_e32 v1, v1, v235
	v_mul_f32_e32 v3, v205, v137
	v_fma_f32 v4, v202, v134, -v4
	s_delay_alu instid0(VALU_DEP_4) | instskip(NEXT) | instid1(VALU_DEP_3)
	v_dual_add_f32 v2, v2, v5 :: v_dual_mul_f32 v5, v207, v139
	v_fma_f32 v3, v204, v136, -v3
	s_delay_alu instid0(VALU_DEP_2) | instskip(SKIP_3) | instid1(VALU_DEP_4)
	v_add_f32_e32 v2, v2, v4
	v_add_f32_e32 v1, v1, v236
	v_mul_f32_e32 v4, v209, v141
	v_fma_f32 v5, v206, v138, -v5
	v_dual_add_f32 v2, v2, v3 :: v_dual_fmac_f32 v247, v207, v138
	v_mul_f32_e32 v3, v211, v143
	s_delay_alu instid0(VALU_DEP_4) | instskip(NEXT) | instid1(VALU_DEP_3)
	v_fma_f32 v4, v208, v140, -v4
	v_add_f32_e32 v2, v2, v5
	v_add_f32_e32 v1, v1, v237
	s_delay_alu instid0(VALU_DEP_4) | instskip(NEXT) | instid1(VALU_DEP_3)
	v_fma_f32 v3, v210, v142, -v3
	v_dual_add_f32 v2, v2, v4 :: v_dual_mul_f32 v5, v213, v145
	s_delay_alu instid0(VALU_DEP_3) | instskip(NEXT) | instid1(VALU_DEP_2)
	v_dual_add_f32 v1, v1, v238 :: v_dual_mul_f32 v4, v215, v147
	v_add_f32_e32 v2, v2, v3
	s_delay_alu instid0(VALU_DEP_3) | instskip(NEXT) | instid1(VALU_DEP_3)
	v_fma_f32 v5, v212, v144, -v5
	v_add_f32_e32 v1, v1, v239
	v_mul_f32_e32 v3, v217, v149
	v_fma_f32 v4, v214, v146, -v4
	s_delay_alu instid0(VALU_DEP_4) | instskip(NEXT) | instid1(VALU_DEP_3)
	v_dual_add_f32 v2, v2, v5 :: v_dual_mul_f32 v5, v219, v151
	v_fma_f32 v3, v216, v148, -v3
	s_delay_alu instid0(VALU_DEP_2) | instskip(SKIP_1) | instid1(VALU_DEP_4)
	v_add_f32_e32 v2, v2, v4
	v_add_f32_e32 v1, v1, v240
	v_fma_f32 v4, v218, v150, -v5
	s_delay_alu instid0(VALU_DEP_2) | instskip(NEXT) | instid1(VALU_DEP_1)
	v_dual_add_f32 v2, v2, v3 :: v_dual_add_f32 v1, v1, v241
	v_dual_add_f32 v2, v2, v4 :: v_dual_add_f32 v1, v1, v242
	s_delay_alu instid0(VALU_DEP_1) | instskip(NEXT) | instid1(VALU_DEP_1)
	v_add_f32_e32 v1, v1, v243
	v_add_f32_e32 v1, v1, v244
	s_delay_alu instid0(VALU_DEP_1) | instskip(NEXT) | instid1(VALU_DEP_1)
	v_add_f32_e32 v1, v1, v245
	v_add_f32_e32 v1, v1, v246
	;; [unrolled: 3-line block ×5, first 2 shown]
	s_delay_alu instid0(VALU_DEP_1) | instskip(SKIP_1) | instid1(VALU_DEP_1)
	v_add_f32_e32 v3, v1, v253
	s_wait_loadcnt 0x0
	v_dual_sub_f32 v1, v220, v2 :: v_dual_sub_f32 v2, v221, v3
	scratch_store_b64 off, v[1:2], off offset:40
	v_cmpx_lt_u32_e32 4, v0
	s_cbranch_execz .LBB39_245
; %bb.244:
	scratch_load_b64 v[1:2], off, off offset:32
	v_mov_b32_e32 v3, 0
	s_delay_alu instid0(VALU_DEP_1)
	v_mov_b32_e32 v4, v3
	scratch_store_b64 off, v[3:4], off offset:32
	s_wait_loadcnt 0x0
	ds_store_b64 v23, v[1:2]
.LBB39_245:
	s_wait_alu 0xfffe
	s_or_b32 exec_lo, exec_lo, s0
	s_wait_storecnt_dscnt 0x0
	s_barrier_signal -1
	s_barrier_wait -1
	global_inv scope:SCOPE_SE
	s_clause 0x4
	scratch_load_b128 v[5:8], off, off offset:40
	scratch_load_b128 v[1:4], off, off offset:56
	;; [unrolled: 1-line block ×5, first 2 shown]
	v_mov_b32_e32 v21, 0
	ds_load_2addr_b64 v[24:27], v21 offset0:45 offset1:46
	ds_load_2addr_b64 v[108:111], v21 offset0:47 offset1:48
	;; [unrolled: 1-line block ×3, first 2 shown]
	scratch_load_b64 v[116:117], off, off offset:32
	s_mov_b32 s0, exec_lo
	s_wait_loadcnt_dscnt 0x502
	v_mul_f32_e32 v22, v25, v6
	v_dual_mul_f32 v118, v24, v6 :: v_dual_mul_f32 v119, v26, v8
	v_mul_f32_e32 v6, v27, v8
	s_delay_alu instid0(VALU_DEP_3) | instskip(NEXT) | instid1(VALU_DEP_3)
	v_fma_f32 v22, v24, v5, -v22
	v_dual_fmac_f32 v118, v25, v5 :: v_dual_fmac_f32 v119, v27, v7
	s_wait_loadcnt_dscnt 0x401
	v_mul_f32_e32 v25, v108, v2
	v_fma_f32 v24, v26, v7, -v6
	ds_load_2addr_b64 v[5:8], v21 offset0:51 offset1:52
	s_wait_loadcnt_dscnt 0x301
	v_dual_mul_f32 v26, v110, v4 :: v_dual_mul_f32 v27, v112, v10
	v_dual_mul_f32 v4, v111, v4 :: v_dual_fmac_f32 v25, v109, v1
	v_mul_f32_e32 v10, v113, v10
	s_delay_alu instid0(VALU_DEP_3)
	v_dual_mul_f32 v120, v114, v12 :: v_dual_fmac_f32 v27, v113, v9
	v_mul_f32_e32 v12, v115, v12
	v_mul_f32_e32 v2, v109, v2
	v_fmac_f32_e32 v26, v111, v3
	v_fma_f32 v109, v110, v3, -v4
	v_fma_f32 v110, v112, v9, -v10
	v_fmac_f32_e32 v120, v115, v11
	v_fma_f32 v111, v114, v11, -v12
	ds_load_2addr_b64 v[9:12], v21 offset0:53 offset1:54
	s_wait_loadcnt_dscnt 0x201
	v_mul_f32_e32 v113, v7, v16
	v_fma_f32 v108, v108, v1, -v2
	scratch_load_b128 v[1:4], off, off offset:120
	v_mul_f32_e32 v112, v5, v14
	v_mul_f32_e32 v14, v6, v14
	;; [unrolled: 1-line block ×3, first 2 shown]
	s_delay_alu instid0(VALU_DEP_3) | instskip(NEXT) | instid1(VALU_DEP_3)
	v_dual_fmac_f32 v113, v8, v15 :: v_dual_fmac_f32 v112, v6, v13
	v_fma_f32 v13, v5, v13, -v14
	s_delay_alu instid0(VALU_DEP_3)
	v_fma_f32 v14, v7, v15, -v16
	ds_load_2addr_b64 v[5:8], v21 offset0:55 offset1:56
	s_wait_loadcnt_dscnt 0x201
	v_mul_f32_e32 v15, v9, v18
	v_mul_f32_e32 v16, v10, v18
	;; [unrolled: 1-line block ×3, first 2 shown]
	s_delay_alu instid0(VALU_DEP_3) | instskip(NEXT) | instid1(VALU_DEP_3)
	v_dual_mul_f32 v20, v12, v20 :: v_dual_fmac_f32 v15, v10, v17
	v_fma_f32 v16, v9, v17, -v16
	s_delay_alu instid0(VALU_DEP_3) | instskip(NEXT) | instid1(VALU_DEP_3)
	v_fmac_f32_e32 v18, v12, v19
	v_fma_f32 v17, v11, v19, -v20
	scratch_load_b128 v[9:12], off, off offset:136
	s_wait_loadcnt_dscnt 0x100
	v_mul_f32_e32 v19, v5, v2
	v_mul_f32_e32 v2, v6, v2
	;; [unrolled: 1-line block ×3, first 2 shown]
	s_delay_alu instid0(VALU_DEP_3) | instskip(NEXT) | instid1(VALU_DEP_3)
	v_dual_mul_f32 v4, v8, v4 :: v_dual_fmac_f32 v19, v6, v1
	v_fma_f32 v114, v5, v1, -v2
	s_delay_alu instid0(VALU_DEP_3) | instskip(NEXT) | instid1(VALU_DEP_3)
	v_fmac_f32_e32 v20, v8, v3
	v_fma_f32 v115, v7, v3, -v4
	ds_load_2addr_b64 v[1:4], v21 offset0:57 offset1:58
	ds_load_2addr_b64 v[5:8], v21 offset0:59 offset1:60
	s_wait_loadcnt_dscnt 0x1
	v_mul_f32_e32 v121, v1, v10
	v_mul_f32_e32 v10, v2, v10
	s_delay_alu instid0(VALU_DEP_2) | instskip(NEXT) | instid1(VALU_DEP_2)
	v_dual_mul_f32 v122, v3, v12 :: v_dual_fmac_f32 v121, v2, v9
	v_fma_f32 v123, v1, v9, -v10
	v_mul_f32_e32 v1, v4, v12
	s_delay_alu instid0(VALU_DEP_3) | instskip(NEXT) | instid1(VALU_DEP_2)
	v_fmac_f32_e32 v122, v4, v11
	v_fma_f32 v124, v3, v11, -v1
	s_clause 0x1
	scratch_load_b128 v[1:4], off, off offset:152
	scratch_load_b128 v[9:12], off, off offset:168
	s_wait_loadcnt_dscnt 0x100
	v_mul_f32_e32 v125, v5, v2
	v_dual_mul_f32 v2, v6, v2 :: v_dual_mul_f32 v127, v7, v4
	s_delay_alu instid0(VALU_DEP_2) | instskip(NEXT) | instid1(VALU_DEP_2)
	v_fmac_f32_e32 v125, v6, v1
	v_fma_f32 v126, v5, v1, -v2
	v_mul_f32_e32 v1, v8, v4
	s_delay_alu instid0(VALU_DEP_4) | instskip(NEXT) | instid1(VALU_DEP_2)
	v_fmac_f32_e32 v127, v8, v3
	v_fma_f32 v128, v7, v3, -v1
	ds_load_2addr_b64 v[1:4], v21 offset0:61 offset1:62
	ds_load_2addr_b64 v[5:8], v21 offset0:63 offset1:64
	s_wait_loadcnt_dscnt 0x1
	v_mul_f32_e32 v129, v1, v10
	v_mul_f32_e32 v131, v3, v12
	s_delay_alu instid0(VALU_DEP_2) | instskip(NEXT) | instid1(VALU_DEP_2)
	v_fmac_f32_e32 v129, v2, v9
	v_dual_mul_f32 v2, v2, v10 :: v_dual_fmac_f32 v131, v4, v11
	s_delay_alu instid0(VALU_DEP_1) | instskip(SKIP_1) | instid1(VALU_DEP_1)
	v_fma_f32 v130, v1, v9, -v2
	v_mul_f32_e32 v1, v4, v12
	v_fma_f32 v132, v3, v11, -v1
	s_clause 0x1
	scratch_load_b128 v[1:4], off, off offset:184
	scratch_load_b128 v[9:12], off, off offset:200
	s_wait_loadcnt_dscnt 0x100
	v_mul_f32_e32 v133, v5, v2
	v_dual_mul_f32 v135, v7, v4 :: v_dual_mul_f32 v2, v6, v2
	s_delay_alu instid0(VALU_DEP_2) | instskip(NEXT) | instid1(VALU_DEP_2)
	v_fmac_f32_e32 v133, v6, v1
	v_fmac_f32_e32 v135, v8, v3
	s_delay_alu instid0(VALU_DEP_3) | instskip(SKIP_1) | instid1(VALU_DEP_1)
	v_fma_f32 v134, v5, v1, -v2
	v_mul_f32_e32 v1, v8, v4
	v_fma_f32 v136, v7, v3, -v1
	ds_load_2addr_b64 v[1:4], v21 offset0:65 offset1:66
	ds_load_2addr_b64 v[5:8], v21 offset0:67 offset1:68
	s_wait_loadcnt_dscnt 0x1
	v_mul_f32_e32 v137, v1, v10
	v_mul_f32_e32 v139, v3, v12
	s_delay_alu instid0(VALU_DEP_2) | instskip(NEXT) | instid1(VALU_DEP_2)
	v_fmac_f32_e32 v137, v2, v9
	v_dual_mul_f32 v2, v2, v10 :: v_dual_fmac_f32 v139, v4, v11
	s_delay_alu instid0(VALU_DEP_1) | instskip(SKIP_1) | instid1(VALU_DEP_1)
	v_fma_f32 v138, v1, v9, -v2
	v_mul_f32_e32 v1, v4, v12
	v_fma_f32 v140, v3, v11, -v1
	s_clause 0x1
	scratch_load_b128 v[1:4], off, off offset:216
	scratch_load_b128 v[9:12], off, off offset:232
	s_wait_loadcnt_dscnt 0x100
	v_mul_f32_e32 v141, v5, v2
	v_mul_f32_e32 v2, v6, v2
	s_delay_alu instid0(VALU_DEP_1) | instskip(SKIP_1) | instid1(VALU_DEP_1)
	v_fma_f32 v142, v5, v1, -v2
	v_add_f32_e32 v2, 0, v118
	v_add_f32_e32 v2, v2, v119
	s_delay_alu instid0(VALU_DEP_1) | instskip(NEXT) | instid1(VALU_DEP_1)
	v_add_f32_e32 v2, v2, v25
	v_add_f32_e32 v2, v2, v26
	s_delay_alu instid0(VALU_DEP_1) | instskip(SKIP_1) | instid1(VALU_DEP_2)
	v_add_f32_e32 v2, v2, v27
	v_fmac_f32_e32 v141, v6, v1
	v_add_f32_e32 v2, v2, v120
	s_delay_alu instid0(VALU_DEP_1) | instskip(NEXT) | instid1(VALU_DEP_1)
	v_add_f32_e32 v2, v2, v112
	v_dual_mul_f32 v143, v7, v4 :: v_dual_add_f32 v2, v2, v113
	s_delay_alu instid0(VALU_DEP_1) | instskip(NEXT) | instid1(VALU_DEP_1)
	v_dual_mul_f32 v1, v8, v4 :: v_dual_add_f32 v2, v2, v15
	v_fma_f32 v144, v7, v3, -v1
	v_add_f32_e32 v1, 0, v22
	s_delay_alu instid0(VALU_DEP_3) | instskip(NEXT) | instid1(VALU_DEP_2)
	v_add_f32_e32 v5, v2, v18
	v_add_f32_e32 v1, v1, v24
	s_delay_alu instid0(VALU_DEP_1) | instskip(NEXT) | instid1(VALU_DEP_1)
	v_add_f32_e32 v1, v1, v108
	v_add_f32_e32 v1, v1, v109
	scratch_load_b64 v[108:109], off, off offset:312
	v_add_f32_e32 v1, v1, v110
	s_delay_alu instid0(VALU_DEP_1) | instskip(NEXT) | instid1(VALU_DEP_1)
	v_add_f32_e32 v1, v1, v111
	v_add_f32_e32 v1, v1, v13
	v_add_f32_e32 v13, v5, v19
	s_delay_alu instid0(VALU_DEP_2) | instskip(NEXT) | instid1(VALU_DEP_2)
	v_add_f32_e32 v1, v1, v14
	v_add_f32_e32 v13, v13, v20
	s_delay_alu instid0(VALU_DEP_2) | instskip(NEXT) | instid1(VALU_DEP_2)
	v_add_f32_e32 v1, v1, v16
	v_add_f32_e32 v13, v13, v121
	v_fmac_f32_e32 v143, v8, v3
	s_delay_alu instid0(VALU_DEP_3) | instskip(NEXT) | instid1(VALU_DEP_3)
	v_add_f32_e32 v1, v1, v17
	v_add_f32_e32 v18, v13, v122
	s_delay_alu instid0(VALU_DEP_2)
	v_add_f32_e32 v6, v1, v114
	scratch_load_b128 v[1:4], off, off offset:248
	v_add_f32_e32 v18, v18, v125
	v_add_f32_e32 v14, v6, v115
	ds_load_2addr_b64 v[5:8], v21 offset0:69 offset1:70
	v_add_f32_e32 v18, v18, v127
	v_add_f32_e32 v14, v14, v123
	s_delay_alu instid0(VALU_DEP_2) | instskip(NEXT) | instid1(VALU_DEP_2)
	v_add_f32_e32 v24, v18, v129
	v_add_f32_e32 v17, v14, v124
	ds_load_2addr_b64 v[13:16], v21 offset0:71 offset1:72
	v_add_f32_e32 v24, v24, v131
	s_delay_alu instid0(VALU_DEP_1)
	v_add_f32_e32 v24, v24, v133
	s_wait_loadcnt_dscnt 0x201
	v_mul_f32_e32 v22, v5, v10
	v_mul_f32_e32 v10, v6, v10
	;; [unrolled: 1-line block ×3, first 2 shown]
	v_dual_mul_f32 v12, v8, v12 :: v_dual_add_f32 v17, v17, v126
	s_delay_alu instid0(VALU_DEP_4) | instskip(NEXT) | instid1(VALU_DEP_4)
	v_fmac_f32_e32 v22, v6, v9
	v_fma_f32 v113, v5, v9, -v10
	s_delay_alu instid0(VALU_DEP_4) | instskip(NEXT) | instid1(VALU_DEP_4)
	v_fmac_f32_e32 v112, v8, v11
	v_fma_f32 v114, v7, v11, -v12
	s_clause 0x1
	scratch_load_b128 v[5:8], off, off offset:264
	scratch_load_b128 v[9:12], off, off offset:280
	v_dual_add_f32 v17, v17, v128 :: v_dual_add_f32 v24, v24, v135
	s_wait_loadcnt_dscnt 0x200
	s_delay_alu instid0(VALU_DEP_1) | instskip(NEXT) | instid1(VALU_DEP_1)
	v_dual_add_f32 v17, v17, v130 :: v_dual_mul_f32 v118, v15, v4
	v_add_f32_e32 v25, v17, v132
	scratch_load_b128 v[17:20], off, off offset:296
	v_mul_f32_e32 v115, v13, v2
	v_mul_f32_e32 v2, v14, v2
	v_dual_fmac_f32 v118, v16, v3 :: v_dual_add_f32 v25, v25, v134
	v_mul_f32_e32 v4, v16, v4
	s_delay_alu instid0(VALU_DEP_3) | instskip(SKIP_1) | instid1(VALU_DEP_4)
	v_fma_f32 v119, v13, v1, -v2
	v_add_f32_e32 v13, v24, v137
	v_add_f32_e32 v25, v25, v136
	s_delay_alu instid0(VALU_DEP_4) | instskip(NEXT) | instid1(VALU_DEP_3)
	v_fma_f32 v120, v15, v3, -v4
	v_add_f32_e32 v24, v13, v139
	s_delay_alu instid0(VALU_DEP_1) | instskip(NEXT) | instid1(VALU_DEP_1)
	v_add_f32_e32 v111, v24, v141
	v_add_f32_e32 v122, v111, v143
	s_delay_alu instid0(VALU_DEP_1) | instskip(NEXT) | instid1(VALU_DEP_1)
	v_add_f32_e32 v22, v122, v22
	v_dual_add_f32 v25, v25, v138 :: v_dual_add_f32 v22, v22, v112
	s_delay_alu instid0(VALU_DEP_1)
	v_dual_fmac_f32 v115, v14, v1 :: v_dual_add_f32 v14, v25, v140
	ds_load_2addr_b64 v[1:4], v21 offset0:73 offset1:74
	ds_load_2addr_b64 v[24:27], v21 offset0:77 offset1:78
	v_add_f32_e32 v22, v22, v115
	v_add_f32_e32 v110, v14, v142
	ds_load_2addr_b64 v[13:16], v21 offset0:75 offset1:76
	v_add_f32_e32 v22, v22, v118
	v_add_f32_e32 v121, v110, v144
	ds_load_b64 v[110:111], v21 offset:632
	s_wait_loadcnt_dscnt 0x203
	v_dual_add_f32 v113, v121, v113 :: v_dual_mul_f32 v112, v3, v8
	s_delay_alu instid0(VALU_DEP_1)
	v_add_f32_e32 v113, v113, v114
	v_dual_mul_f32 v121, v1, v6 :: v_dual_mul_f32 v8, v4, v8
	v_mul_f32_e32 v6, v2, v6
	s_wait_loadcnt_dscnt 0x101
	v_dual_mul_f32 v114, v13, v10 :: v_dual_mul_f32 v115, v15, v12
	v_add_f32_e32 v113, v113, v119
	v_dual_fmac_f32 v121, v2, v5 :: v_dual_fmac_f32 v112, v4, v7
	v_fma_f32 v1, v1, v5, -v6
	v_fma_f32 v2, v3, v7, -v8
	s_delay_alu instid0(VALU_DEP_3) | instskip(SKIP_2) | instid1(VALU_DEP_3)
	v_dual_add_f32 v113, v113, v120 :: v_dual_add_f32 v4, v22, v121
	v_dual_mul_f32 v5, v16, v12 :: v_dual_fmac_f32 v114, v14, v9
	v_mul_f32_e32 v3, v14, v10
	v_add_f32_e32 v1, v113, v1
	s_wait_dscnt 0x0
	v_dual_fmac_f32 v115, v16, v11 :: v_dual_mul_f32 v118, v110, v109
	v_fma_f32 v5, v15, v11, -v5
	s_delay_alu instid0(VALU_DEP_3) | instskip(SKIP_1) | instid1(VALU_DEP_4)
	v_dual_add_f32 v1, v1, v2 :: v_dual_add_f32 v2, v4, v112
	v_fma_f32 v3, v13, v9, -v3
	v_fmac_f32_e32 v118, v111, v108
	s_delay_alu instid0(VALU_DEP_2) | instskip(SKIP_1) | instid1(VALU_DEP_1)
	v_dual_add_f32 v2, v2, v114 :: v_dual_add_f32 v1, v1, v3
	s_wait_loadcnt 0x0
	v_dual_add_f32 v2, v2, v115 :: v_dual_mul_f32 v3, v27, v20
	v_mul_f32_e32 v119, v24, v18
	v_mul_f32_e32 v4, v25, v18
	;; [unrolled: 1-line block ×3, first 2 shown]
	s_delay_alu instid0(VALU_DEP_4) | instskip(NEXT) | instid1(VALU_DEP_4)
	v_fma_f32 v3, v26, v19, -v3
	v_fmac_f32_e32 v119, v25, v17
	s_delay_alu instid0(VALU_DEP_4) | instskip(NEXT) | instid1(VALU_DEP_4)
	v_fma_f32 v4, v24, v17, -v4
	v_dual_fmac_f32 v120, v27, v19 :: v_dual_add_f32 v1, v1, v5
	s_delay_alu instid0(VALU_DEP_3) | instskip(NEXT) | instid1(VALU_DEP_1)
	v_dual_add_f32 v2, v2, v119 :: v_dual_mul_f32 v5, v111, v109
	v_add_f32_e32 v2, v2, v120
	s_delay_alu instid0(VALU_DEP_3) | instskip(NEXT) | instid1(VALU_DEP_3)
	v_add_f32_e32 v1, v1, v4
	v_fma_f32 v4, v110, v108, -v5
	s_delay_alu instid0(VALU_DEP_2) | instskip(NEXT) | instid1(VALU_DEP_1)
	v_dual_add_f32 v2, v2, v118 :: v_dual_add_f32 v1, v1, v3
	v_sub_f32_e32 v2, v117, v2
	s_delay_alu instid0(VALU_DEP_2) | instskip(NEXT) | instid1(VALU_DEP_1)
	v_add_f32_e32 v1, v1, v4
	v_sub_f32_e32 v1, v116, v1
	scratch_store_b64 off, v[1:2], off offset:32
	v_cmpx_lt_u32_e32 3, v0
	s_cbranch_execz .LBB39_247
; %bb.246:
	scratch_load_b64 v[1:2], off, off offset:24
	v_mov_b32_e32 v22, v21
	scratch_store_b64 off, v[21:22], off offset:24
	s_wait_loadcnt 0x0
	ds_store_b64 v23, v[1:2]
.LBB39_247:
	s_wait_alu 0xfffe
	s_or_b32 exec_lo, exec_lo, s0
	s_wait_storecnt_dscnt 0x0
	s_barrier_signal -1
	s_barrier_wait -1
	global_inv scope:SCOPE_SE
	s_clause 0x4
	scratch_load_b128 v[5:8], off, off offset:32
	scratch_load_b128 v[1:4], off, off offset:48
	;; [unrolled: 1-line block ×5, first 2 shown]
	ds_load_b128 v[24:27], v21 offset:352
	ds_load_b128 v[108:111], v21 offset:368
	;; [unrolled: 1-line block ×3, first 2 shown]
	scratch_load_b64 v[116:117], off, off offset:24
	s_mov_b32 s0, exec_lo
	s_wait_loadcnt_dscnt 0x502
	v_dual_mul_f32 v22, v25, v6 :: v_dual_mul_f32 v119, v26, v8
	v_mul_f32_e32 v118, v24, v6
	v_mul_f32_e32 v6, v27, v8
	s_wait_loadcnt_dscnt 0x300
	v_mul_f32_e32 v120, v114, v12
	v_fma_f32 v22, v24, v5, -v22
	v_dual_fmac_f32 v119, v27, v7 :: v_dual_fmac_f32 v118, v25, v5
	v_mul_f32_e32 v27, v112, v10
	v_mul_f32_e32 v25, v108, v2
	v_fma_f32 v24, v26, v7, -v6
	ds_load_b128 v[5:8], v21 offset:400
	v_mul_f32_e32 v26, v110, v4
	v_dual_mul_f32 v4, v111, v4 :: v_dual_fmac_f32 v27, v113, v9
	v_mul_f32_e32 v10, v113, v10
	v_mul_f32_e32 v12, v115, v12
	;; [unrolled: 1-line block ×3, first 2 shown]
	v_dual_fmac_f32 v25, v109, v1 :: v_dual_fmac_f32 v26, v111, v3
	v_fma_f32 v109, v110, v3, -v4
	v_fma_f32 v110, v112, v9, -v10
	v_fmac_f32_e32 v120, v115, v11
	v_fma_f32 v111, v114, v11, -v12
	ds_load_b128 v[9:12], v21 offset:416
	s_wait_loadcnt_dscnt 0x201
	v_mul_f32_e32 v113, v7, v16
	v_fma_f32 v108, v108, v1, -v2
	scratch_load_b128 v[1:4], off, off offset:112
	v_mul_f32_e32 v112, v5, v14
	v_mul_f32_e32 v14, v6, v14
	;; [unrolled: 1-line block ×3, first 2 shown]
	s_delay_alu instid0(VALU_DEP_3) | instskip(NEXT) | instid1(VALU_DEP_3)
	v_dual_fmac_f32 v113, v8, v15 :: v_dual_fmac_f32 v112, v6, v13
	v_fma_f32 v13, v5, v13, -v14
	s_delay_alu instid0(VALU_DEP_3)
	v_fma_f32 v14, v7, v15, -v16
	ds_load_b128 v[5:8], v21 offset:432
	s_wait_loadcnt_dscnt 0x201
	v_mul_f32_e32 v15, v9, v18
	v_mul_f32_e32 v16, v10, v18
	;; [unrolled: 1-line block ×3, first 2 shown]
	s_delay_alu instid0(VALU_DEP_3) | instskip(NEXT) | instid1(VALU_DEP_3)
	v_dual_mul_f32 v20, v12, v20 :: v_dual_fmac_f32 v15, v10, v17
	v_fma_f32 v16, v9, v17, -v16
	s_delay_alu instid0(VALU_DEP_3) | instskip(NEXT) | instid1(VALU_DEP_3)
	v_fmac_f32_e32 v18, v12, v19
	v_fma_f32 v17, v11, v19, -v20
	scratch_load_b128 v[9:12], off, off offset:128
	s_wait_loadcnt_dscnt 0x100
	v_mul_f32_e32 v19, v5, v2
	v_mul_f32_e32 v2, v6, v2
	;; [unrolled: 1-line block ×3, first 2 shown]
	s_delay_alu instid0(VALU_DEP_3) | instskip(NEXT) | instid1(VALU_DEP_3)
	v_dual_mul_f32 v4, v8, v4 :: v_dual_fmac_f32 v19, v6, v1
	v_fma_f32 v114, v5, v1, -v2
	s_delay_alu instid0(VALU_DEP_3) | instskip(NEXT) | instid1(VALU_DEP_3)
	v_fmac_f32_e32 v20, v8, v3
	v_fma_f32 v115, v7, v3, -v4
	ds_load_b128 v[1:4], v21 offset:448
	ds_load_b128 v[5:8], v21 offset:464
	s_wait_loadcnt_dscnt 0x1
	v_mul_f32_e32 v121, v1, v10
	v_mul_f32_e32 v10, v2, v10
	s_delay_alu instid0(VALU_DEP_2) | instskip(NEXT) | instid1(VALU_DEP_2)
	v_dual_mul_f32 v122, v3, v12 :: v_dual_fmac_f32 v121, v2, v9
	v_fma_f32 v123, v1, v9, -v10
	v_mul_f32_e32 v1, v4, v12
	s_delay_alu instid0(VALU_DEP_3) | instskip(NEXT) | instid1(VALU_DEP_2)
	v_fmac_f32_e32 v122, v4, v11
	v_fma_f32 v124, v3, v11, -v1
	s_clause 0x1
	scratch_load_b128 v[1:4], off, off offset:144
	scratch_load_b128 v[9:12], off, off offset:160
	s_wait_loadcnt_dscnt 0x100
	v_mul_f32_e32 v125, v5, v2
	v_dual_mul_f32 v2, v6, v2 :: v_dual_mul_f32 v127, v7, v4
	s_delay_alu instid0(VALU_DEP_2) | instskip(NEXT) | instid1(VALU_DEP_2)
	v_fmac_f32_e32 v125, v6, v1
	v_fma_f32 v126, v5, v1, -v2
	v_mul_f32_e32 v1, v8, v4
	s_delay_alu instid0(VALU_DEP_4) | instskip(NEXT) | instid1(VALU_DEP_2)
	v_fmac_f32_e32 v127, v8, v3
	v_fma_f32 v128, v7, v3, -v1
	ds_load_b128 v[1:4], v21 offset:480
	ds_load_b128 v[5:8], v21 offset:496
	s_wait_loadcnt_dscnt 0x1
	v_mul_f32_e32 v129, v1, v10
	v_mul_f32_e32 v131, v3, v12
	s_delay_alu instid0(VALU_DEP_2) | instskip(NEXT) | instid1(VALU_DEP_2)
	v_fmac_f32_e32 v129, v2, v9
	v_dual_mul_f32 v2, v2, v10 :: v_dual_fmac_f32 v131, v4, v11
	s_delay_alu instid0(VALU_DEP_1) | instskip(SKIP_1) | instid1(VALU_DEP_1)
	v_fma_f32 v130, v1, v9, -v2
	v_mul_f32_e32 v1, v4, v12
	v_fma_f32 v132, v3, v11, -v1
	s_clause 0x1
	scratch_load_b128 v[1:4], off, off offset:176
	scratch_load_b128 v[9:12], off, off offset:192
	s_wait_loadcnt_dscnt 0x100
	v_mul_f32_e32 v133, v5, v2
	v_dual_mul_f32 v2, v6, v2 :: v_dual_mul_f32 v135, v7, v4
	s_delay_alu instid0(VALU_DEP_2) | instskip(NEXT) | instid1(VALU_DEP_2)
	v_fmac_f32_e32 v133, v6, v1
	v_fma_f32 v134, v5, v1, -v2
	v_mul_f32_e32 v1, v8, v4
	s_delay_alu instid0(VALU_DEP_4) | instskip(NEXT) | instid1(VALU_DEP_2)
	v_fmac_f32_e32 v135, v8, v3
	v_fma_f32 v136, v7, v3, -v1
	ds_load_b128 v[1:4], v21 offset:512
	ds_load_b128 v[5:8], v21 offset:528
	s_wait_loadcnt_dscnt 0x1
	v_mul_f32_e32 v137, v1, v10
	v_mul_f32_e32 v139, v3, v12
	s_delay_alu instid0(VALU_DEP_2) | instskip(NEXT) | instid1(VALU_DEP_2)
	v_fmac_f32_e32 v137, v2, v9
	v_dual_mul_f32 v2, v2, v10 :: v_dual_fmac_f32 v139, v4, v11
	s_delay_alu instid0(VALU_DEP_1) | instskip(SKIP_1) | instid1(VALU_DEP_1)
	v_fma_f32 v138, v1, v9, -v2
	v_mul_f32_e32 v1, v4, v12
	;; [unrolled: 25-line block ×3, first 2 shown]
	v_fma_f32 v148, v3, v11, -v1
	s_clause 0x1
	scratch_load_b128 v[1:4], off, off offset:240
	scratch_load_b128 v[9:12], off, off offset:256
	s_wait_loadcnt_dscnt 0x100
	v_mul_f32_e32 v149, v5, v2
	v_mul_f32_e32 v2, v6, v2
	s_delay_alu instid0(VALU_DEP_1) | instskip(SKIP_1) | instid1(VALU_DEP_1)
	v_fma_f32 v150, v5, v1, -v2
	v_add_f32_e32 v2, 0, v118
	v_add_f32_e32 v2, v2, v119
	s_delay_alu instid0(VALU_DEP_1) | instskip(NEXT) | instid1(VALU_DEP_1)
	v_add_f32_e32 v2, v2, v25
	v_add_f32_e32 v2, v2, v26
	s_delay_alu instid0(VALU_DEP_1) | instskip(NEXT) | instid1(VALU_DEP_1)
	;; [unrolled: 3-line block ×4, first 2 shown]
	v_dual_add_f32 v2, v2, v15 :: v_dual_mul_f32 v151, v7, v4
	v_add_f32_e32 v2, v2, v18
	s_delay_alu instid0(VALU_DEP_1) | instskip(SKIP_2) | instid1(VALU_DEP_3)
	v_add_f32_e32 v2, v2, v19
	v_fmac_f32_e32 v149, v6, v1
	v_mul_f32_e32 v1, v8, v4
	v_dual_fmac_f32 v151, v8, v3 :: v_dual_add_f32 v2, v2, v20
	s_delay_alu instid0(VALU_DEP_2) | instskip(SKIP_1) | instid1(VALU_DEP_3)
	v_fma_f32 v152, v7, v3, -v1
	v_add_f32_e32 v1, 0, v22
	v_add_f32_e32 v5, v2, v121
	s_delay_alu instid0(VALU_DEP_2) | instskip(NEXT) | instid1(VALU_DEP_2)
	v_add_f32_e32 v1, v1, v24
	v_add_f32_e32 v5, v5, v122
	s_delay_alu instid0(VALU_DEP_2) | instskip(NEXT) | instid1(VALU_DEP_2)
	v_add_f32_e32 v1, v1, v108
	v_add_f32_e32 v5, v5, v125
	s_delay_alu instid0(VALU_DEP_2) | instskip(NEXT) | instid1(VALU_DEP_1)
	v_add_f32_e32 v1, v1, v109
	v_add_f32_e32 v1, v1, v110
	s_delay_alu instid0(VALU_DEP_1) | instskip(NEXT) | instid1(VALU_DEP_1)
	v_add_f32_e32 v1, v1, v111
	v_add_f32_e32 v1, v1, v13
	s_delay_alu instid0(VALU_DEP_1) | instskip(SKIP_1) | instid1(VALU_DEP_1)
	v_add_f32_e32 v1, v1, v14
	v_add_f32_e32 v14, v5, v127
	;; [unrolled: 1-line block ×3, first 2 shown]
	s_delay_alu instid0(VALU_DEP_1) | instskip(NEXT) | instid1(VALU_DEP_1)
	v_dual_add_f32 v14, v14, v131 :: v_dual_add_f32 v1, v1, v16
	v_add_f32_e32 v1, v1, v17
	s_delay_alu instid0(VALU_DEP_2) | instskip(NEXT) | instid1(VALU_DEP_2)
	v_add_f32_e32 v17, v14, v133
	v_add_f32_e32 v1, v1, v114
	s_delay_alu instid0(VALU_DEP_2) | instskip(NEXT) | instid1(VALU_DEP_2)
	v_add_f32_e32 v17, v17, v135
	;; [unrolled: 3-line block ×4, first 2 shown]
	v_add_f32_e32 v6, v1, v124
	ds_load_b128 v[1:4], v21 offset:576
	v_dual_add_f32 v25, v17, v141 :: v_dual_add_f32 v6, v6, v126
	s_delay_alu instid0(VALU_DEP_1)
	v_dual_add_f32 v112, v25, v143 :: v_dual_add_f32 v13, v6, v128
	ds_load_b128 v[5:8], v21 offset:592
	s_wait_loadcnt_dscnt 0x1
	v_mul_f32_e32 v22, v1, v10
	v_mul_f32_e32 v108, v3, v12
	;; [unrolled: 1-line block ×4, first 2 shown]
	s_delay_alu instid0(VALU_DEP_4) | instskip(NEXT) | instid1(VALU_DEP_4)
	v_fmac_f32_e32 v22, v2, v9
	v_fmac_f32_e32 v108, v4, v11
	s_delay_alu instid0(VALU_DEP_4) | instskip(NEXT) | instid1(VALU_DEP_4)
	v_fma_f32 v109, v1, v9, -v10
	v_fma_f32 v110, v3, v11, -v12
	s_clause 0x1
	scratch_load_b128 v[1:4], off, off offset:272
	scratch_load_b128 v[9:12], off, off offset:288
	v_add_f32_e32 v13, v13, v130
	s_delay_alu instid0(VALU_DEP_1) | instskip(NEXT) | instid1(VALU_DEP_1)
	v_add_f32_e32 v13, v13, v132
	v_add_f32_e32 v13, v13, v134
	s_delay_alu instid0(VALU_DEP_1) | instskip(SKIP_2) | instid1(VALU_DEP_1)
	v_add_f32_e32 v18, v13, v136
	scratch_load_b128 v[13:16], off, off offset:304
	v_add_f32_e32 v18, v18, v138
	v_add_f32_e32 v18, v18, v140
	s_delay_alu instid0(VALU_DEP_1)
	v_add_f32_e32 v24, v18, v142
	ds_load_b128 v[17:20], v21 offset:608
	v_add_f32_e32 v111, v24, v144
	ds_load_b128 v[24:27], v21 offset:624
	s_wait_loadcnt_dscnt 0x101
	v_dual_mul_f32 v113, v7, v4 :: v_dual_mul_f32 v114, v17, v10
	v_add_f32_e32 v21, v111, v146
	v_dual_add_f32 v111, v112, v145 :: v_dual_mul_f32 v112, v5, v2
	v_mul_f32_e32 v2, v6, v2
	v_mul_f32_e32 v4, v8, v4
	s_delay_alu instid0(VALU_DEP_4) | instskip(NEXT) | instid1(VALU_DEP_4)
	v_add_f32_e32 v21, v21, v148
	v_dual_fmac_f32 v113, v8, v3 :: v_dual_fmac_f32 v112, v6, v1
	s_delay_alu instid0(VALU_DEP_4) | instskip(SKIP_1) | instid1(VALU_DEP_4)
	v_fma_f32 v2, v5, v1, -v2
	v_mul_f32_e32 v6, v18, v10
	v_add_f32_e32 v21, v21, v150
	v_fma_f32 v3, v7, v3, -v4
	v_mul_f32_e32 v115, v19, v12
	v_mul_f32_e32 v4, v20, v12
	s_delay_alu instid0(VALU_DEP_4)
	v_dual_fmac_f32 v114, v18, v9 :: v_dual_add_f32 v21, v21, v152
	s_wait_loadcnt_dscnt 0x0
	v_dual_mul_f32 v118, v24, v14 :: v_dual_add_f32 v111, v111, v147
	v_fmac_f32_e32 v115, v20, v11
	v_fma_f32 v4, v19, v11, -v4
	v_add_f32_e32 v21, v21, v109
	s_delay_alu instid0(VALU_DEP_4) | instskip(SKIP_2) | instid1(VALU_DEP_4)
	v_fmac_f32_e32 v118, v25, v13
	v_add_f32_e32 v111, v111, v149
	v_mul_f32_e32 v109, v26, v16
	v_add_f32_e32 v1, v21, v110
	s_delay_alu instid0(VALU_DEP_3) | instskip(NEXT) | instid1(VALU_DEP_3)
	v_add_f32_e32 v111, v111, v151
	v_fmac_f32_e32 v109, v27, v15
	s_delay_alu instid0(VALU_DEP_3) | instskip(NEXT) | instid1(VALU_DEP_1)
	v_add_f32_e32 v1, v1, v2
	v_dual_add_f32 v22, v111, v22 :: v_dual_add_f32 v1, v1, v3
	v_mul_f32_e32 v3, v25, v14
	s_delay_alu instid0(VALU_DEP_2) | instskip(NEXT) | instid1(VALU_DEP_2)
	v_add_f32_e32 v5, v22, v108
	v_fma_f32 v3, v24, v13, -v3
	s_delay_alu instid0(VALU_DEP_2) | instskip(SKIP_1) | instid1(VALU_DEP_2)
	v_add_f32_e32 v2, v5, v112
	v_fma_f32 v5, v17, v9, -v6
	v_add_f32_e32 v2, v2, v113
	s_delay_alu instid0(VALU_DEP_2) | instskip(NEXT) | instid1(VALU_DEP_2)
	v_add_f32_e32 v1, v1, v5
	v_dual_mul_f32 v5, v27, v16 :: v_dual_add_f32 v2, v2, v114
	s_delay_alu instid0(VALU_DEP_2) | instskip(NEXT) | instid1(VALU_DEP_2)
	v_add_f32_e32 v1, v1, v4
	v_fma_f32 v4, v26, v15, -v5
	s_delay_alu instid0(VALU_DEP_3) | instskip(NEXT) | instid1(VALU_DEP_1)
	v_add_f32_e32 v2, v2, v115
	v_dual_add_f32 v1, v1, v3 :: v_dual_add_f32 v2, v2, v118
	s_delay_alu instid0(VALU_DEP_1) | instskip(NEXT) | instid1(VALU_DEP_1)
	v_dual_add_f32 v1, v1, v4 :: v_dual_add_f32 v2, v2, v109
	v_dual_sub_f32 v1, v116, v1 :: v_dual_sub_f32 v2, v117, v2
	scratch_store_b64 off, v[1:2], off offset:24
	v_cmpx_lt_u32_e32 2, v0
	s_cbranch_execz .LBB39_249
; %bb.248:
	scratch_load_b64 v[1:2], off, off offset:16
	v_mov_b32_e32 v3, 0
	s_delay_alu instid0(VALU_DEP_1)
	v_mov_b32_e32 v4, v3
	scratch_store_b64 off, v[3:4], off offset:16
	s_wait_loadcnt 0x0
	ds_store_b64 v23, v[1:2]
.LBB39_249:
	s_wait_alu 0xfffe
	s_or_b32 exec_lo, exec_lo, s0
	s_wait_storecnt_dscnt 0x0
	s_barrier_signal -1
	s_barrier_wait -1
	global_inv scope:SCOPE_SE
	s_clause 0x4
	scratch_load_b128 v[5:8], off, off offset:24
	scratch_load_b128 v[1:4], off, off offset:40
	;; [unrolled: 1-line block ×5, first 2 shown]
	v_mov_b32_e32 v21, 0
	ds_load_2addr_b64 v[24:27], v21 offset0:43 offset1:44
	ds_load_2addr_b64 v[108:111], v21 offset0:45 offset1:46
	;; [unrolled: 1-line block ×3, first 2 shown]
	scratch_load_b64 v[116:117], off, off offset:16
	s_mov_b32 s0, exec_lo
	s_wait_loadcnt_dscnt 0x502
	v_mul_f32_e32 v22, v25, v6
	v_dual_mul_f32 v118, v24, v6 :: v_dual_mul_f32 v119, v26, v8
	v_mul_f32_e32 v6, v27, v8
	s_delay_alu instid0(VALU_DEP_3) | instskip(NEXT) | instid1(VALU_DEP_3)
	v_fma_f32 v22, v24, v5, -v22
	v_dual_fmac_f32 v118, v25, v5 :: v_dual_fmac_f32 v119, v27, v7
	s_wait_loadcnt_dscnt 0x401
	v_mul_f32_e32 v25, v108, v2
	v_fma_f32 v24, v26, v7, -v6
	ds_load_2addr_b64 v[5:8], v21 offset0:49 offset1:50
	s_wait_loadcnt_dscnt 0x301
	v_dual_mul_f32 v26, v110, v4 :: v_dual_mul_f32 v27, v112, v10
	v_dual_mul_f32 v4, v111, v4 :: v_dual_fmac_f32 v25, v109, v1
	v_mul_f32_e32 v10, v113, v10
	s_delay_alu instid0(VALU_DEP_3)
	v_dual_mul_f32 v120, v114, v12 :: v_dual_fmac_f32 v27, v113, v9
	v_mul_f32_e32 v12, v115, v12
	v_mul_f32_e32 v2, v109, v2
	v_fmac_f32_e32 v26, v111, v3
	v_fma_f32 v109, v110, v3, -v4
	v_fma_f32 v110, v112, v9, -v10
	v_fmac_f32_e32 v120, v115, v11
	v_fma_f32 v111, v114, v11, -v12
	ds_load_2addr_b64 v[9:12], v21 offset0:51 offset1:52
	s_wait_loadcnt_dscnt 0x201
	v_mul_f32_e32 v113, v7, v16
	v_fma_f32 v108, v108, v1, -v2
	scratch_load_b128 v[1:4], off, off offset:104
	v_mul_f32_e32 v112, v5, v14
	v_mul_f32_e32 v14, v6, v14
	;; [unrolled: 1-line block ×3, first 2 shown]
	s_delay_alu instid0(VALU_DEP_3) | instskip(NEXT) | instid1(VALU_DEP_3)
	v_dual_fmac_f32 v113, v8, v15 :: v_dual_fmac_f32 v112, v6, v13
	v_fma_f32 v13, v5, v13, -v14
	s_delay_alu instid0(VALU_DEP_3)
	v_fma_f32 v14, v7, v15, -v16
	ds_load_2addr_b64 v[5:8], v21 offset0:53 offset1:54
	s_wait_loadcnt_dscnt 0x201
	v_mul_f32_e32 v15, v9, v18
	v_mul_f32_e32 v16, v10, v18
	;; [unrolled: 1-line block ×3, first 2 shown]
	s_delay_alu instid0(VALU_DEP_3) | instskip(NEXT) | instid1(VALU_DEP_3)
	v_dual_mul_f32 v20, v12, v20 :: v_dual_fmac_f32 v15, v10, v17
	v_fma_f32 v16, v9, v17, -v16
	s_delay_alu instid0(VALU_DEP_3) | instskip(NEXT) | instid1(VALU_DEP_3)
	v_fmac_f32_e32 v18, v12, v19
	v_fma_f32 v17, v11, v19, -v20
	scratch_load_b128 v[9:12], off, off offset:120
	s_wait_loadcnt_dscnt 0x100
	v_mul_f32_e32 v19, v5, v2
	v_mul_f32_e32 v2, v6, v2
	;; [unrolled: 1-line block ×3, first 2 shown]
	s_delay_alu instid0(VALU_DEP_3) | instskip(NEXT) | instid1(VALU_DEP_3)
	v_dual_mul_f32 v4, v8, v4 :: v_dual_fmac_f32 v19, v6, v1
	v_fma_f32 v114, v5, v1, -v2
	s_delay_alu instid0(VALU_DEP_3) | instskip(NEXT) | instid1(VALU_DEP_3)
	v_fmac_f32_e32 v20, v8, v3
	v_fma_f32 v115, v7, v3, -v4
	ds_load_2addr_b64 v[1:4], v21 offset0:55 offset1:56
	ds_load_2addr_b64 v[5:8], v21 offset0:57 offset1:58
	s_wait_loadcnt_dscnt 0x1
	v_mul_f32_e32 v121, v1, v10
	v_mul_f32_e32 v10, v2, v10
	s_delay_alu instid0(VALU_DEP_2) | instskip(NEXT) | instid1(VALU_DEP_2)
	v_dual_mul_f32 v122, v3, v12 :: v_dual_fmac_f32 v121, v2, v9
	v_fma_f32 v123, v1, v9, -v10
	v_mul_f32_e32 v1, v4, v12
	s_delay_alu instid0(VALU_DEP_3) | instskip(NEXT) | instid1(VALU_DEP_2)
	v_fmac_f32_e32 v122, v4, v11
	v_fma_f32 v124, v3, v11, -v1
	s_clause 0x1
	scratch_load_b128 v[1:4], off, off offset:136
	scratch_load_b128 v[9:12], off, off offset:152
	s_wait_loadcnt_dscnt 0x100
	v_mul_f32_e32 v125, v5, v2
	v_dual_mul_f32 v2, v6, v2 :: v_dual_mul_f32 v127, v7, v4
	s_delay_alu instid0(VALU_DEP_2) | instskip(NEXT) | instid1(VALU_DEP_2)
	v_fmac_f32_e32 v125, v6, v1
	v_fma_f32 v126, v5, v1, -v2
	v_mul_f32_e32 v1, v8, v4
	s_delay_alu instid0(VALU_DEP_4) | instskip(NEXT) | instid1(VALU_DEP_2)
	v_fmac_f32_e32 v127, v8, v3
	v_fma_f32 v128, v7, v3, -v1
	ds_load_2addr_b64 v[1:4], v21 offset0:59 offset1:60
	ds_load_2addr_b64 v[5:8], v21 offset0:61 offset1:62
	s_wait_loadcnt_dscnt 0x1
	v_mul_f32_e32 v129, v1, v10
	v_mul_f32_e32 v131, v3, v12
	s_delay_alu instid0(VALU_DEP_2) | instskip(NEXT) | instid1(VALU_DEP_2)
	v_fmac_f32_e32 v129, v2, v9
	v_dual_mul_f32 v2, v2, v10 :: v_dual_fmac_f32 v131, v4, v11
	s_delay_alu instid0(VALU_DEP_1) | instskip(SKIP_1) | instid1(VALU_DEP_1)
	v_fma_f32 v130, v1, v9, -v2
	v_mul_f32_e32 v1, v4, v12
	v_fma_f32 v132, v3, v11, -v1
	s_clause 0x1
	scratch_load_b128 v[1:4], off, off offset:168
	scratch_load_b128 v[9:12], off, off offset:184
	s_wait_loadcnt_dscnt 0x100
	v_mul_f32_e32 v133, v5, v2
	v_dual_mul_f32 v135, v7, v4 :: v_dual_mul_f32 v2, v6, v2
	s_delay_alu instid0(VALU_DEP_2) | instskip(NEXT) | instid1(VALU_DEP_2)
	v_fmac_f32_e32 v133, v6, v1
	v_fmac_f32_e32 v135, v8, v3
	s_delay_alu instid0(VALU_DEP_3) | instskip(SKIP_1) | instid1(VALU_DEP_1)
	v_fma_f32 v134, v5, v1, -v2
	v_mul_f32_e32 v1, v8, v4
	v_fma_f32 v136, v7, v3, -v1
	ds_load_2addr_b64 v[1:4], v21 offset0:63 offset1:64
	ds_load_2addr_b64 v[5:8], v21 offset0:65 offset1:66
	s_wait_loadcnt_dscnt 0x1
	v_mul_f32_e32 v137, v1, v10
	v_mul_f32_e32 v139, v3, v12
	s_delay_alu instid0(VALU_DEP_2) | instskip(NEXT) | instid1(VALU_DEP_2)
	v_fmac_f32_e32 v137, v2, v9
	v_dual_mul_f32 v2, v2, v10 :: v_dual_fmac_f32 v139, v4, v11
	s_delay_alu instid0(VALU_DEP_1) | instskip(SKIP_1) | instid1(VALU_DEP_1)
	v_fma_f32 v138, v1, v9, -v2
	v_mul_f32_e32 v1, v4, v12
	v_fma_f32 v140, v3, v11, -v1
	s_clause 0x1
	scratch_load_b128 v[1:4], off, off offset:200
	scratch_load_b128 v[9:12], off, off offset:216
	s_wait_loadcnt_dscnt 0x100
	v_mul_f32_e32 v141, v5, v2
	v_dual_mul_f32 v2, v6, v2 :: v_dual_mul_f32 v143, v7, v4
	s_delay_alu instid0(VALU_DEP_2) | instskip(NEXT) | instid1(VALU_DEP_2)
	v_fmac_f32_e32 v141, v6, v1
	v_fma_f32 v142, v5, v1, -v2
	v_mul_f32_e32 v1, v8, v4
	s_delay_alu instid0(VALU_DEP_4) | instskip(NEXT) | instid1(VALU_DEP_2)
	v_fmac_f32_e32 v143, v8, v3
	v_fma_f32 v144, v7, v3, -v1
	ds_load_2addr_b64 v[1:4], v21 offset0:67 offset1:68
	ds_load_2addr_b64 v[5:8], v21 offset0:69 offset1:70
	s_wait_loadcnt_dscnt 0x1
	v_mul_f32_e32 v145, v1, v10
	v_mul_f32_e32 v147, v3, v12
	s_delay_alu instid0(VALU_DEP_2) | instskip(NEXT) | instid1(VALU_DEP_2)
	v_fmac_f32_e32 v145, v2, v9
	v_dual_mul_f32 v2, v2, v10 :: v_dual_fmac_f32 v147, v4, v11
	s_delay_alu instid0(VALU_DEP_1) | instskip(SKIP_1) | instid1(VALU_DEP_1)
	v_fma_f32 v146, v1, v9, -v2
	v_mul_f32_e32 v1, v4, v12
	v_fma_f32 v148, v3, v11, -v1
	s_clause 0x1
	scratch_load_b128 v[1:4], off, off offset:232
	scratch_load_b128 v[9:12], off, off offset:248
	s_wait_loadcnt_dscnt 0x100
	v_mul_f32_e32 v149, v5, v2
	v_mul_f32_e32 v2, v6, v2
	s_delay_alu instid0(VALU_DEP_1) | instskip(SKIP_1) | instid1(VALU_DEP_1)
	v_fma_f32 v150, v5, v1, -v2
	v_add_f32_e32 v2, 0, v118
	v_add_f32_e32 v2, v2, v119
	s_delay_alu instid0(VALU_DEP_1) | instskip(NEXT) | instid1(VALU_DEP_1)
	v_add_f32_e32 v2, v2, v25
	v_add_f32_e32 v2, v2, v26
	s_delay_alu instid0(VALU_DEP_1) | instskip(NEXT) | instid1(VALU_DEP_1)
	;; [unrolled: 3-line block ×4, first 2 shown]
	v_add_f32_e32 v2, v2, v15
	v_add_f32_e32 v2, v2, v18
	s_delay_alu instid0(VALU_DEP_1) | instskip(SKIP_2) | instid1(VALU_DEP_3)
	v_add_f32_e32 v2, v2, v19
	v_fmac_f32_e32 v149, v6, v1
	v_mul_f32_e32 v1, v8, v4
	v_add_f32_e32 v2, v2, v20
	s_delay_alu instid0(VALU_DEP_2) | instskip(SKIP_1) | instid1(VALU_DEP_1)
	v_fma_f32 v152, v7, v3, -v1
	v_add_f32_e32 v1, 0, v22
	v_add_f32_e32 v1, v1, v24
	s_delay_alu instid0(VALU_DEP_1) | instskip(NEXT) | instid1(VALU_DEP_1)
	v_add_f32_e32 v1, v1, v108
	v_add_f32_e32 v1, v1, v109
	scratch_load_b64 v[108:109], off, off offset:312
	v_add_f32_e32 v1, v1, v110
	s_delay_alu instid0(VALU_DEP_1) | instskip(NEXT) | instid1(VALU_DEP_1)
	v_add_f32_e32 v1, v1, v111
	v_add_f32_e32 v1, v1, v13
	s_delay_alu instid0(VALU_DEP_1) | instskip(NEXT) | instid1(VALU_DEP_1)
	v_add_f32_e32 v1, v1, v14
	;; [unrolled: 3-line block ×5, first 2 shown]
	v_dual_mul_f32 v151, v7, v4 :: v_dual_add_f32 v6, v6, v126
	s_delay_alu instid0(VALU_DEP_1) | instskip(NEXT) | instid1(VALU_DEP_2)
	v_fmac_f32_e32 v151, v8, v3
	v_add_f32_e32 v13, v6, v128
	s_delay_alu instid0(VALU_DEP_1) | instskip(NEXT) | instid1(VALU_DEP_1)
	v_add_f32_e32 v13, v13, v130
	v_add_f32_e32 v13, v13, v132
	s_delay_alu instid0(VALU_DEP_1) | instskip(SKIP_4) | instid1(VALU_DEP_1)
	v_add_f32_e32 v13, v13, v134
	v_add_f32_e32 v5, v2, v121
	ds_load_2addr_b64 v[1:4], v21 offset0:71 offset1:72
	v_add_f32_e32 v18, v13, v136
	v_add_f32_e32 v5, v5, v122
	v_dual_add_f32 v18, v18, v138 :: v_dual_add_f32 v5, v5, v125
	s_delay_alu instid0(VALU_DEP_1) | instskip(NEXT) | instid1(VALU_DEP_2)
	v_add_f32_e32 v18, v18, v140
	v_add_f32_e32 v14, v5, v127
	ds_load_2addr_b64 v[5:8], v21 offset0:73 offset1:74
	v_add_f32_e32 v18, v18, v142
	v_add_f32_e32 v14, v14, v129
	s_wait_loadcnt_dscnt 0x101
	v_mul_f32_e32 v22, v1, v10
	v_mul_f32_e32 v10, v2, v10
	;; [unrolled: 1-line block ×4, first 2 shown]
	v_add_f32_e32 v14, v14, v131
	v_fmac_f32_e32 v22, v2, v9
	v_fma_f32 v113, v1, v9, -v10
	v_fmac_f32_e32 v112, v4, v11
	v_fma_f32 v114, v3, v11, -v12
	s_clause 0x1
	scratch_load_b128 v[1:4], off, off offset:264
	scratch_load_b128 v[9:12], off, off offset:280
	v_add_f32_e32 v17, v14, v133
	scratch_load_b128 v[13:16], off, off offset:296
	v_dual_add_f32 v18, v18, v144 :: v_dual_add_f32 v17, v17, v135
	s_delay_alu instid0(VALU_DEP_1) | instskip(NEXT) | instid1(VALU_DEP_1)
	v_dual_add_f32 v110, v18, v146 :: v_dual_add_f32 v17, v17, v137
	v_add_f32_e32 v115, v110, v148
	s_wait_loadcnt_dscnt 0x200
	s_delay_alu instid0(VALU_DEP_2) | instskip(NEXT) | instid1(VALU_DEP_1)
	v_dual_add_f32 v17, v17, v139 :: v_dual_mul_f32 v120, v7, v4
	v_dual_add_f32 v17, v17, v141 :: v_dual_mul_f32 v4, v8, v4
	s_delay_alu instid0(VALU_DEP_2) | instskip(NEXT) | instid1(VALU_DEP_2)
	v_dual_fmac_f32 v120, v8, v3 :: v_dual_mul_f32 v119, v5, v2
	v_add_f32_e32 v24, v17, v143
	ds_load_2addr_b64 v[17:20], v21 offset0:75 offset1:76
	v_mul_f32_e32 v2, v6, v2
	v_fmac_f32_e32 v119, v6, v1
	v_add_f32_e32 v115, v115, v150
	s_delay_alu instid0(VALU_DEP_3) | instskip(SKIP_1) | instid1(VALU_DEP_3)
	v_fma_f32 v2, v5, v1, -v2
	v_fma_f32 v1, v7, v3, -v4
	v_add_f32_e32 v115, v115, v152
	s_delay_alu instid0(VALU_DEP_1) | instskip(NEXT) | instid1(VALU_DEP_1)
	v_add_f32_e32 v113, v115, v113
	v_add_f32_e32 v113, v113, v114
	;; [unrolled: 1-line block ×3, first 2 shown]
	ds_load_2addr_b64 v[24:27], v21 offset0:77 offset1:78
	s_wait_loadcnt_dscnt 0x101
	v_mul_f32_e32 v3, v18, v10
	v_add_f32_e32 v2, v113, v2
	v_add_f32_e32 v118, v111, v147
	ds_load_b64 v[110:111], v21 offset:632
	v_fma_f32 v3, v17, v9, -v3
	v_add_f32_e32 v1, v2, v1
	v_add_f32_e32 v118, v118, v149
	s_delay_alu instid0(VALU_DEP_1) | instskip(NEXT) | instid1(VALU_DEP_1)
	v_add_f32_e32 v118, v118, v151
	v_add_f32_e32 v22, v118, v22
	s_wait_loadcnt_dscnt 0x1
	v_dual_mul_f32 v114, v26, v16 :: v_dual_mul_f32 v115, v17, v10
	v_mul_f32_e32 v118, v19, v12
	s_delay_alu instid0(VALU_DEP_3) | instskip(NEXT) | instid1(VALU_DEP_3)
	v_add_f32_e32 v22, v22, v112
	v_dual_fmac_f32 v114, v27, v15 :: v_dual_fmac_f32 v115, v18, v9
	s_wait_dscnt 0x0
	v_dual_mul_f32 v112, v110, v109 :: v_dual_mul_f32 v121, v24, v14
	s_delay_alu instid0(VALU_DEP_3) | instskip(SKIP_1) | instid1(VALU_DEP_3)
	v_add_f32_e32 v4, v22, v119
	v_fmac_f32_e32 v118, v20, v11
	v_dual_fmac_f32 v112, v111, v108 :: v_dual_fmac_f32 v121, v25, v13
	s_delay_alu instid0(VALU_DEP_3) | instskip(SKIP_1) | instid1(VALU_DEP_2)
	v_add_f32_e32 v2, v4, v120
	v_mul_f32_e32 v4, v25, v14
	v_dual_add_f32 v2, v2, v115 :: v_dual_mul_f32 v5, v20, v12
	s_delay_alu instid0(VALU_DEP_2) | instskip(NEXT) | instid1(VALU_DEP_2)
	v_fma_f32 v4, v24, v13, -v4
	v_add_f32_e32 v2, v2, v118
	s_delay_alu instid0(VALU_DEP_3) | instskip(NEXT) | instid1(VALU_DEP_2)
	v_fma_f32 v5, v19, v11, -v5
	v_dual_add_f32 v2, v2, v121 :: v_dual_add_f32 v1, v1, v3
	s_delay_alu instid0(VALU_DEP_1) | instskip(NEXT) | instid1(VALU_DEP_2)
	v_dual_mul_f32 v3, v27, v16 :: v_dual_add_f32 v2, v2, v114
	v_add_f32_e32 v1, v1, v5
	v_mul_f32_e32 v5, v111, v109
	s_delay_alu instid0(VALU_DEP_3) | instskip(NEXT) | instid1(VALU_DEP_4)
	v_fma_f32 v3, v26, v15, -v3
	v_add_f32_e32 v2, v2, v112
	s_delay_alu instid0(VALU_DEP_4) | instskip(NEXT) | instid1(VALU_DEP_4)
	v_add_f32_e32 v1, v1, v4
	v_fma_f32 v4, v110, v108, -v5
	s_delay_alu instid0(VALU_DEP_3) | instskip(NEXT) | instid1(VALU_DEP_3)
	v_sub_f32_e32 v2, v117, v2
	v_add_f32_e32 v1, v1, v3
	s_delay_alu instid0(VALU_DEP_1) | instskip(NEXT) | instid1(VALU_DEP_1)
	v_add_f32_e32 v1, v1, v4
	v_sub_f32_e32 v1, v116, v1
	scratch_store_b64 off, v[1:2], off offset:16
	v_cmpx_lt_u32_e32 1, v0
	s_cbranch_execz .LBB39_251
; %bb.250:
	scratch_load_b64 v[1:2], off, off offset:8
	v_mov_b32_e32 v22, v21
	scratch_store_b64 off, v[21:22], off offset:8
	s_wait_loadcnt 0x0
	ds_store_b64 v23, v[1:2]
.LBB39_251:
	s_wait_alu 0xfffe
	s_or_b32 exec_lo, exec_lo, s0
	s_wait_storecnt_dscnt 0x0
	s_barrier_signal -1
	s_barrier_wait -1
	global_inv scope:SCOPE_SE
	s_clause 0x4
	scratch_load_b128 v[5:8], off, off offset:16
	scratch_load_b128 v[1:4], off, off offset:32
	;; [unrolled: 1-line block ×5, first 2 shown]
	ds_load_b128 v[24:27], v21 offset:336
	ds_load_b128 v[108:111], v21 offset:352
	;; [unrolled: 1-line block ×3, first 2 shown]
	scratch_load_b64 v[116:117], off, off offset:8
	s_mov_b32 s0, exec_lo
	s_wait_loadcnt_dscnt 0x502
	v_dual_mul_f32 v22, v25, v6 :: v_dual_mul_f32 v119, v26, v8
	v_mul_f32_e32 v118, v24, v6
	v_mul_f32_e32 v6, v27, v8
	s_wait_loadcnt_dscnt 0x300
	v_mul_f32_e32 v120, v114, v12
	v_fma_f32 v22, v24, v5, -v22
	v_dual_fmac_f32 v119, v27, v7 :: v_dual_fmac_f32 v118, v25, v5
	v_mul_f32_e32 v27, v112, v10
	v_mul_f32_e32 v25, v108, v2
	v_fma_f32 v24, v26, v7, -v6
	ds_load_b128 v[5:8], v21 offset:384
	v_mul_f32_e32 v26, v110, v4
	v_dual_mul_f32 v4, v111, v4 :: v_dual_fmac_f32 v27, v113, v9
	v_mul_f32_e32 v10, v113, v10
	v_mul_f32_e32 v12, v115, v12
	v_mul_f32_e32 v2, v109, v2
	v_dual_fmac_f32 v25, v109, v1 :: v_dual_fmac_f32 v26, v111, v3
	v_fma_f32 v109, v110, v3, -v4
	v_fma_f32 v110, v112, v9, -v10
	v_fmac_f32_e32 v120, v115, v11
	v_fma_f32 v111, v114, v11, -v12
	ds_load_b128 v[9:12], v21 offset:400
	s_wait_loadcnt_dscnt 0x201
	v_mul_f32_e32 v113, v7, v16
	v_fma_f32 v108, v108, v1, -v2
	scratch_load_b128 v[1:4], off, off offset:96
	v_mul_f32_e32 v112, v5, v14
	v_mul_f32_e32 v14, v6, v14
	;; [unrolled: 1-line block ×3, first 2 shown]
	s_delay_alu instid0(VALU_DEP_3) | instskip(NEXT) | instid1(VALU_DEP_3)
	v_dual_fmac_f32 v113, v8, v15 :: v_dual_fmac_f32 v112, v6, v13
	v_fma_f32 v13, v5, v13, -v14
	s_delay_alu instid0(VALU_DEP_3)
	v_fma_f32 v14, v7, v15, -v16
	ds_load_b128 v[5:8], v21 offset:416
	s_wait_loadcnt_dscnt 0x201
	v_mul_f32_e32 v15, v9, v18
	v_mul_f32_e32 v16, v10, v18
	;; [unrolled: 1-line block ×3, first 2 shown]
	s_delay_alu instid0(VALU_DEP_3) | instskip(NEXT) | instid1(VALU_DEP_3)
	v_dual_mul_f32 v20, v12, v20 :: v_dual_fmac_f32 v15, v10, v17
	v_fma_f32 v16, v9, v17, -v16
	s_delay_alu instid0(VALU_DEP_3) | instskip(NEXT) | instid1(VALU_DEP_3)
	v_fmac_f32_e32 v18, v12, v19
	v_fma_f32 v17, v11, v19, -v20
	scratch_load_b128 v[9:12], off, off offset:112
	s_wait_loadcnt_dscnt 0x100
	v_mul_f32_e32 v19, v5, v2
	v_mul_f32_e32 v2, v6, v2
	;; [unrolled: 1-line block ×3, first 2 shown]
	s_delay_alu instid0(VALU_DEP_3) | instskip(NEXT) | instid1(VALU_DEP_3)
	v_dual_mul_f32 v4, v8, v4 :: v_dual_fmac_f32 v19, v6, v1
	v_fma_f32 v114, v5, v1, -v2
	s_delay_alu instid0(VALU_DEP_3) | instskip(NEXT) | instid1(VALU_DEP_3)
	v_fmac_f32_e32 v20, v8, v3
	v_fma_f32 v115, v7, v3, -v4
	ds_load_b128 v[1:4], v21 offset:432
	ds_load_b128 v[5:8], v21 offset:448
	s_wait_loadcnt_dscnt 0x1
	v_mul_f32_e32 v121, v1, v10
	v_mul_f32_e32 v10, v2, v10
	s_delay_alu instid0(VALU_DEP_2) | instskip(NEXT) | instid1(VALU_DEP_2)
	v_dual_mul_f32 v122, v3, v12 :: v_dual_fmac_f32 v121, v2, v9
	v_fma_f32 v123, v1, v9, -v10
	v_mul_f32_e32 v1, v4, v12
	s_delay_alu instid0(VALU_DEP_3) | instskip(NEXT) | instid1(VALU_DEP_2)
	v_fmac_f32_e32 v122, v4, v11
	v_fma_f32 v124, v3, v11, -v1
	s_clause 0x1
	scratch_load_b128 v[1:4], off, off offset:128
	scratch_load_b128 v[9:12], off, off offset:144
	s_wait_loadcnt_dscnt 0x100
	v_mul_f32_e32 v125, v5, v2
	v_dual_mul_f32 v2, v6, v2 :: v_dual_mul_f32 v127, v7, v4
	s_delay_alu instid0(VALU_DEP_2) | instskip(NEXT) | instid1(VALU_DEP_2)
	v_fmac_f32_e32 v125, v6, v1
	v_fma_f32 v126, v5, v1, -v2
	v_mul_f32_e32 v1, v8, v4
	s_delay_alu instid0(VALU_DEP_4) | instskip(NEXT) | instid1(VALU_DEP_2)
	v_fmac_f32_e32 v127, v8, v3
	v_fma_f32 v128, v7, v3, -v1
	ds_load_b128 v[1:4], v21 offset:464
	ds_load_b128 v[5:8], v21 offset:480
	s_wait_loadcnt_dscnt 0x1
	v_mul_f32_e32 v129, v1, v10
	v_mul_f32_e32 v131, v3, v12
	s_delay_alu instid0(VALU_DEP_2) | instskip(NEXT) | instid1(VALU_DEP_2)
	v_fmac_f32_e32 v129, v2, v9
	v_dual_mul_f32 v2, v2, v10 :: v_dual_fmac_f32 v131, v4, v11
	s_delay_alu instid0(VALU_DEP_1) | instskip(SKIP_1) | instid1(VALU_DEP_1)
	v_fma_f32 v130, v1, v9, -v2
	v_mul_f32_e32 v1, v4, v12
	v_fma_f32 v132, v3, v11, -v1
	s_clause 0x1
	scratch_load_b128 v[1:4], off, off offset:160
	scratch_load_b128 v[9:12], off, off offset:176
	s_wait_loadcnt_dscnt 0x100
	v_mul_f32_e32 v133, v5, v2
	v_dual_mul_f32 v2, v6, v2 :: v_dual_mul_f32 v135, v7, v4
	s_delay_alu instid0(VALU_DEP_2) | instskip(NEXT) | instid1(VALU_DEP_2)
	v_fmac_f32_e32 v133, v6, v1
	v_fma_f32 v134, v5, v1, -v2
	v_mul_f32_e32 v1, v8, v4
	s_delay_alu instid0(VALU_DEP_4) | instskip(NEXT) | instid1(VALU_DEP_2)
	v_fmac_f32_e32 v135, v8, v3
	v_fma_f32 v136, v7, v3, -v1
	ds_load_b128 v[1:4], v21 offset:496
	ds_load_b128 v[5:8], v21 offset:512
	s_wait_loadcnt_dscnt 0x1
	v_mul_f32_e32 v137, v1, v10
	v_mul_f32_e32 v139, v3, v12
	s_delay_alu instid0(VALU_DEP_2) | instskip(NEXT) | instid1(VALU_DEP_2)
	v_fmac_f32_e32 v137, v2, v9
	v_dual_mul_f32 v2, v2, v10 :: v_dual_fmac_f32 v139, v4, v11
	s_delay_alu instid0(VALU_DEP_1) | instskip(SKIP_1) | instid1(VALU_DEP_1)
	v_fma_f32 v138, v1, v9, -v2
	v_mul_f32_e32 v1, v4, v12
	;; [unrolled: 25-line block ×3, first 2 shown]
	v_fma_f32 v148, v3, v11, -v1
	s_clause 0x1
	scratch_load_b128 v[1:4], off, off offset:224
	scratch_load_b128 v[9:12], off, off offset:240
	s_wait_loadcnt_dscnt 0x100
	v_mul_f32_e32 v149, v5, v2
	v_mul_f32_e32 v2, v6, v2
	s_delay_alu instid0(VALU_DEP_1) | instskip(SKIP_1) | instid1(VALU_DEP_1)
	v_fma_f32 v150, v5, v1, -v2
	v_add_f32_e32 v2, 0, v118
	v_add_f32_e32 v2, v2, v119
	s_delay_alu instid0(VALU_DEP_1) | instskip(NEXT) | instid1(VALU_DEP_1)
	v_add_f32_e32 v2, v2, v25
	v_add_f32_e32 v2, v2, v26
	s_delay_alu instid0(VALU_DEP_1) | instskip(NEXT) | instid1(VALU_DEP_1)
	;; [unrolled: 3-line block ×4, first 2 shown]
	v_dual_add_f32 v2, v2, v15 :: v_dual_mul_f32 v151, v7, v4
	v_add_f32_e32 v2, v2, v18
	s_delay_alu instid0(VALU_DEP_1) | instskip(SKIP_1) | instid1(VALU_DEP_2)
	v_add_f32_e32 v2, v2, v19
	v_fmac_f32_e32 v149, v6, v1
	v_dual_fmac_f32 v151, v8, v3 :: v_dual_add_f32 v2, v2, v20
	s_delay_alu instid0(VALU_DEP_1) | instskip(NEXT) | instid1(VALU_DEP_1)
	v_dual_mul_f32 v1, v8, v4 :: v_dual_add_f32 v2, v2, v121
	v_fma_f32 v152, v7, v3, -v1
	v_add_f32_e32 v1, 0, v22
	s_delay_alu instid0(VALU_DEP_3) | instskip(NEXT) | instid1(VALU_DEP_2)
	v_add_f32_e32 v5, v2, v122
	v_add_f32_e32 v1, v1, v24
	s_delay_alu instid0(VALU_DEP_1) | instskip(NEXT) | instid1(VALU_DEP_1)
	v_add_f32_e32 v1, v1, v108
	v_add_f32_e32 v1, v1, v109
	s_delay_alu instid0(VALU_DEP_1) | instskip(NEXT) | instid1(VALU_DEP_1)
	v_add_f32_e32 v1, v1, v110
	v_add_f32_e32 v1, v1, v111
	s_delay_alu instid0(VALU_DEP_1) | instskip(SKIP_1) | instid1(VALU_DEP_2)
	v_add_f32_e32 v1, v1, v13
	v_add_f32_e32 v13, v5, v125
	v_add_f32_e32 v1, v1, v14
	s_delay_alu instid0(VALU_DEP_2) | instskip(NEXT) | instid1(VALU_DEP_1)
	v_add_f32_e32 v13, v13, v127
	v_add_f32_e32 v13, v13, v129
	s_delay_alu instid0(VALU_DEP_1) | instskip(NEXT) | instid1(VALU_DEP_1)
	v_add_f32_e32 v18, v13, v131
	v_dual_add_f32 v18, v18, v133 :: v_dual_add_f32 v1, v1, v16
	s_delay_alu instid0(VALU_DEP_1) | instskip(NEXT) | instid1(VALU_DEP_1)
	v_add_f32_e32 v18, v18, v135
	v_add_f32_e32 v24, v18, v137
	s_delay_alu instid0(VALU_DEP_1) | instskip(NEXT) | instid1(VALU_DEP_1)
	v_dual_add_f32 v1, v1, v17 :: v_dual_add_f32 v24, v24, v139
	v_add_f32_e32 v1, v1, v114
	s_delay_alu instid0(VALU_DEP_1) | instskip(NEXT) | instid1(VALU_DEP_1)
	v_add_f32_e32 v1, v1, v115
	v_add_f32_e32 v1, v1, v123
	s_delay_alu instid0(VALU_DEP_1) | instskip(NEXT) | instid1(VALU_DEP_1)
	v_add_f32_e32 v1, v1, v124
	v_add_f32_e32 v6, v1, v126
	ds_load_b128 v[1:4], v21 offset:560
	v_add_f32_e32 v24, v24, v141
	v_add_f32_e32 v14, v6, v128
	scratch_load_b128 v[5:8], off, off offset:256
	v_add_f32_e32 v14, v14, v130
	s_delay_alu instid0(VALU_DEP_1)
	v_add_f32_e32 v17, v14, v132
	ds_load_b128 v[13:16], v21 offset:576
	s_wait_loadcnt_dscnt 0x101
	v_mul_f32_e32 v22, v1, v10
	v_mul_f32_e32 v10, v2, v10
	v_mul_f32_e32 v108, v3, v12
	v_mul_f32_e32 v12, v4, v12
	s_delay_alu instid0(VALU_DEP_4) | instskip(NEXT) | instid1(VALU_DEP_4)
	v_fmac_f32_e32 v22, v2, v9
	v_fma_f32 v109, v1, v9, -v10
	s_delay_alu instid0(VALU_DEP_4) | instskip(NEXT) | instid1(VALU_DEP_4)
	v_fmac_f32_e32 v108, v4, v11
	v_fma_f32 v110, v3, v11, -v12
	s_clause 0x1
	scratch_load_b128 v[1:4], off, off offset:272
	scratch_load_b128 v[9:12], off, off offset:288
	s_wait_loadcnt_dscnt 0x200
	v_mul_f32_e32 v111, v13, v6
	v_mul_f32_e32 v6, v14, v6
	;; [unrolled: 1-line block ×3, first 2 shown]
	s_delay_alu instid0(VALU_DEP_3) | instskip(NEXT) | instid1(VALU_DEP_3)
	v_dual_mul_f32 v8, v16, v8 :: v_dual_fmac_f32 v111, v14, v5
	v_fma_f32 v113, v13, v5, -v6
	s_delay_alu instid0(VALU_DEP_3) | instskip(NEXT) | instid1(VALU_DEP_3)
	v_fmac_f32_e32 v112, v16, v7
	v_fma_f32 v114, v15, v7, -v8
	ds_load_b128 v[5:8], v21 offset:592
	v_add_f32_e32 v17, v17, v134
	v_add_f32_e32 v13, v24, v143
	s_delay_alu instid0(VALU_DEP_2) | instskip(NEXT) | instid1(VALU_DEP_1)
	v_add_f32_e32 v17, v17, v136
	v_add_f32_e32 v17, v17, v138
	s_delay_alu instid0(VALU_DEP_1) | instskip(SKIP_2) | instid1(VALU_DEP_1)
	v_add_f32_e32 v25, v17, v140
	scratch_load_b128 v[17:20], off, off offset:304
	v_add_f32_e32 v25, v25, v142
	v_add_f32_e32 v25, v25, v144
	s_delay_alu instid0(VALU_DEP_1)
	v_add_f32_e32 v24, v25, v146
	v_add_f32_e32 v25, v13, v145
	ds_load_b128 v[13:16], v21 offset:608
	v_dual_add_f32 v115, v24, v148 :: v_dual_add_f32 v118, v25, v147
	ds_load_b128 v[24:27], v21 offset:624
	v_add_f32_e32 v21, v115, v150
	s_delay_alu instid0(VALU_DEP_1) | instskip(SKIP_2) | instid1(VALU_DEP_1)
	v_add_f32_e32 v21, v21, v152
	s_wait_loadcnt_dscnt 0x101
	v_mul_f32_e32 v119, v15, v12
	v_fmac_f32_e32 v119, v16, v11
	s_delay_alu instid0(VALU_DEP_3) | instskip(NEXT) | instid1(VALU_DEP_1)
	v_add_f32_e32 v21, v21, v109
	v_add_f32_e32 v21, v21, v110
	s_wait_loadcnt_dscnt 0x0
	s_delay_alu instid0(VALU_DEP_1) | instskip(SKIP_2) | instid1(VALU_DEP_3)
	v_dual_add_f32 v21, v21, v113 :: v_dual_mul_f32 v110, v26, v20
	v_dual_add_f32 v115, v118, v149 :: v_dual_mul_f32 v118, v5, v2
	v_mul_f32_e32 v2, v6, v2
	v_fmac_f32_e32 v110, v27, v19
	s_delay_alu instid0(VALU_DEP_3)
	v_add_f32_e32 v115, v115, v151
	v_mul_f32_e32 v109, v7, v4
	v_mul_f32_e32 v4, v8, v4
	v_fma_f32 v2, v5, v1, -v2
	v_fmac_f32_e32 v118, v6, v1
	v_add_f32_e32 v22, v115, v22
	v_add_f32_e32 v1, v21, v114
	v_dual_mul_f32 v6, v14, v10 :: v_dual_fmac_f32 v109, v8, v3
	v_fma_f32 v3, v7, v3, -v4
	s_delay_alu instid0(VALU_DEP_4) | instskip(SKIP_2) | instid1(VALU_DEP_3)
	v_add_f32_e32 v22, v22, v108
	v_mul_f32_e32 v108, v24, v18
	v_dual_add_f32 v1, v1, v2 :: v_dual_mul_f32 v4, v16, v12
	v_add_f32_e32 v22, v22, v111
	s_delay_alu instid0(VALU_DEP_3) | instskip(SKIP_1) | instid1(VALU_DEP_4)
	v_fmac_f32_e32 v108, v25, v17
	v_mul_f32_e32 v115, v13, v10
	v_add_f32_e32 v1, v1, v3
	v_mul_f32_e32 v3, v25, v18
	v_add_f32_e32 v5, v22, v112
	v_fma_f32 v4, v15, v11, -v4
	v_fmac_f32_e32 v115, v14, v9
	s_delay_alu instid0(VALU_DEP_4) | instskip(NEXT) | instid1(VALU_DEP_4)
	v_fma_f32 v3, v24, v17, -v3
	v_add_f32_e32 v2, v5, v118
	v_fma_f32 v5, v13, v9, -v6
	s_delay_alu instid0(VALU_DEP_2) | instskip(NEXT) | instid1(VALU_DEP_2)
	v_add_f32_e32 v2, v2, v109
	v_add_f32_e32 v1, v1, v5
	s_delay_alu instid0(VALU_DEP_2) | instskip(NEXT) | instid1(VALU_DEP_2)
	v_dual_mul_f32 v5, v27, v20 :: v_dual_add_f32 v2, v2, v115
	v_add_f32_e32 v1, v1, v4
	s_delay_alu instid0(VALU_DEP_2) | instskip(NEXT) | instid1(VALU_DEP_3)
	v_fma_f32 v4, v26, v19, -v5
	v_add_f32_e32 v2, v2, v119
	s_delay_alu instid0(VALU_DEP_1) | instskip(NEXT) | instid1(VALU_DEP_1)
	v_dual_add_f32 v1, v1, v3 :: v_dual_add_f32 v2, v2, v108
	v_dual_add_f32 v1, v1, v4 :: v_dual_add_f32 v2, v2, v110
	s_delay_alu instid0(VALU_DEP_1)
	v_dual_sub_f32 v1, v116, v1 :: v_dual_sub_f32 v2, v117, v2
	scratch_store_b64 off, v[1:2], off offset:8
	v_cmpx_ne_u32_e32 0, v0
	s_cbranch_execz .LBB39_253
; %bb.252:
	scratch_load_b64 v[0:1], off, off
	v_mov_b32_e32 v2, 0
	s_delay_alu instid0(VALU_DEP_1)
	v_mov_b32_e32 v3, v2
	scratch_store_b64 off, v[2:3], off
	s_wait_loadcnt 0x0
	ds_store_b64 v23, v[0:1]
.LBB39_253:
	s_wait_alu 0xfffe
	s_or_b32 exec_lo, exec_lo, s0
	s_wait_storecnt_dscnt 0x0
	s_barrier_signal -1
	s_barrier_wait -1
	global_inv scope:SCOPE_SE
	s_clause 0x6
	scratch_load_b128 v[0:3], off, off offset:8
	scratch_load_b128 v[4:7], off, off offset:24
	;; [unrolled: 1-line block ×7, first 2 shown]
	v_mov_b32_e32 v108, 0
	scratch_load_b64 v[117:118], off, off
	s_and_b32 vcc_lo, exec_lo, s18
	ds_load_2addr_b64 v[109:112], v108 offset0:41 offset1:42
	ds_load_2addr_b64 v[113:116], v108 offset0:43 offset1:44
	s_wait_loadcnt_dscnt 0x701
	v_mul_f32_e32 v119, v110, v1
	v_dual_mul_f32 v120, v109, v1 :: v_dual_mul_f32 v121, v111, v3
	v_mul_f32_e32 v1, v112, v3
	s_delay_alu instid0(VALU_DEP_3) | instskip(NEXT) | instid1(VALU_DEP_3)
	v_fma_f32 v109, v109, v0, -v119
	v_dual_fmac_f32 v120, v110, v0 :: v_dual_fmac_f32 v121, v112, v2
	s_wait_loadcnt_dscnt 0x600
	v_mul_f32_e32 v112, v115, v7
	v_fma_f32 v110, v111, v2, -v1
	ds_load_2addr_b64 v[0:3], v108 offset0:45 offset1:46
	v_mul_f32_e32 v111, v113, v5
	v_mul_f32_e32 v5, v114, v5
	;; [unrolled: 1-line block ×3, first 2 shown]
	s_delay_alu instid0(VALU_DEP_3) | instskip(NEXT) | instid1(VALU_DEP_3)
	v_dual_fmac_f32 v112, v116, v6 :: v_dual_fmac_f32 v111, v114, v4
	v_fma_f32 v113, v113, v4, -v5
	s_delay_alu instid0(VALU_DEP_3)
	v_fma_f32 v114, v115, v6, -v7
	ds_load_2addr_b64 v[4:7], v108 offset0:47 offset1:48
	s_wait_loadcnt_dscnt 0x501
	v_dual_mul_f32 v115, v0, v9 :: v_dual_mul_f32 v116, v2, v11
	v_mul_f32_e32 v9, v1, v9
	v_mul_f32_e32 v11, v3, v11
	s_delay_alu instid0(VALU_DEP_3) | instskip(NEXT) | instid1(VALU_DEP_3)
	v_dual_fmac_f32 v115, v1, v8 :: v_dual_fmac_f32 v116, v3, v10
	v_fma_f32 v119, v0, v8, -v9
	s_delay_alu instid0(VALU_DEP_3)
	v_fma_f32 v122, v2, v10, -v11
	ds_load_2addr_b64 v[0:3], v108 offset0:49 offset1:50
	s_wait_loadcnt_dscnt 0x401
	v_mul_f32_e32 v123, v4, v13
	v_dual_mul_f32 v8, v5, v13 :: v_dual_mul_f32 v13, v6, v15
	v_mul_f32_e32 v9, v7, v15
	s_delay_alu instid0(VALU_DEP_3) | instskip(NEXT) | instid1(VALU_DEP_3)
	v_fmac_f32_e32 v123, v5, v12
	v_fma_f32 v12, v4, v12, -v8
	s_delay_alu instid0(VALU_DEP_4) | instskip(NEXT) | instid1(VALU_DEP_4)
	v_fmac_f32_e32 v13, v7, v14
	v_fma_f32 v14, v6, v14, -v9
	ds_load_2addr_b64 v[4:7], v108 offset0:51 offset1:52
	s_wait_loadcnt_dscnt 0x301
	v_mul_f32_e32 v15, v0, v17
	v_dual_mul_f32 v8, v1, v17 :: v_dual_mul_f32 v17, v2, v19
	v_mul_f32_e32 v9, v3, v19
	s_delay_alu instid0(VALU_DEP_3) | instskip(NEXT) | instid1(VALU_DEP_3)
	v_fmac_f32_e32 v15, v1, v16
	v_fma_f32 v16, v0, v16, -v8
	s_delay_alu instid0(VALU_DEP_4) | instskip(NEXT) | instid1(VALU_DEP_4)
	v_fmac_f32_e32 v17, v3, v18
	;; [unrolled: 11-line block ×4, first 2 shown]
	v_fma_f32 v26, v2, v26, -v9
	s_clause 0x1
	scratch_load_b128 v[0:3], off, off offset:120
	scratch_load_b128 v[8:11], off, off offset:136
	s_wait_loadcnt_dscnt 0x100
	v_mul_f32_e32 v27, v4, v1
	v_mul_f32_e32 v125, v6, v3
	s_delay_alu instid0(VALU_DEP_2) | instskip(SKIP_1) | instid1(VALU_DEP_3)
	v_fmac_f32_e32 v27, v5, v0
	v_mul_f32_e32 v1, v5, v1
	v_fmac_f32_e32 v125, v7, v2
	s_delay_alu instid0(VALU_DEP_2) | instskip(SKIP_1) | instid1(VALU_DEP_1)
	v_fma_f32 v124, v4, v0, -v1
	v_mul_f32_e32 v0, v7, v3
	v_fma_f32 v126, v6, v2, -v0
	ds_load_2addr_b64 v[0:3], v108 offset0:57 offset1:58
	ds_load_2addr_b64 v[4:7], v108 offset0:59 offset1:60
	s_wait_loadcnt_dscnt 0x1
	v_mul_f32_e32 v127, v0, v9
	v_mul_f32_e32 v129, v2, v11
	s_delay_alu instid0(VALU_DEP_2) | instskip(SKIP_1) | instid1(VALU_DEP_3)
	v_fmac_f32_e32 v127, v1, v8
	v_mul_f32_e32 v1, v1, v9
	v_fmac_f32_e32 v129, v3, v10
	s_delay_alu instid0(VALU_DEP_2) | instskip(SKIP_1) | instid1(VALU_DEP_1)
	v_fma_f32 v128, v0, v8, -v1
	v_mul_f32_e32 v0, v3, v11
	v_fma_f32 v130, v2, v10, -v0
	s_clause 0x1
	scratch_load_b128 v[0:3], off, off offset:152
	scratch_load_b128 v[8:11], off, off offset:168
	s_wait_loadcnt_dscnt 0x100
	v_mul_f32_e32 v131, v4, v1
	v_mul_f32_e32 v1, v5, v1
	;; [unrolled: 1-line block ×3, first 2 shown]
	s_delay_alu instid0(VALU_DEP_3) | instskip(NEXT) | instid1(VALU_DEP_3)
	v_fmac_f32_e32 v131, v5, v0
	v_fma_f32 v132, v4, v0, -v1
	v_mul_f32_e32 v0, v7, v3
	s_delay_alu instid0(VALU_DEP_4) | instskip(NEXT) | instid1(VALU_DEP_2)
	v_fmac_f32_e32 v133, v7, v2
	v_fma_f32 v134, v6, v2, -v0
	ds_load_2addr_b64 v[0:3], v108 offset0:61 offset1:62
	ds_load_2addr_b64 v[4:7], v108 offset0:63 offset1:64
	s_wait_loadcnt_dscnt 0x1
	v_mul_f32_e32 v135, v0, v9
	v_mul_f32_e32 v137, v2, v11
	s_delay_alu instid0(VALU_DEP_2) | instskip(SKIP_1) | instid1(VALU_DEP_3)
	v_fmac_f32_e32 v135, v1, v8
	v_mul_f32_e32 v1, v1, v9
	v_fmac_f32_e32 v137, v3, v10
	s_delay_alu instid0(VALU_DEP_2) | instskip(SKIP_1) | instid1(VALU_DEP_1)
	v_fma_f32 v136, v0, v8, -v1
	v_mul_f32_e32 v0, v3, v11
	v_fma_f32 v138, v2, v10, -v0
	s_clause 0x1
	scratch_load_b128 v[0:3], off, off offset:184
	scratch_load_b128 v[8:11], off, off offset:200
	s_wait_loadcnt_dscnt 0x100
	v_mul_f32_e32 v139, v4, v1
	v_mul_f32_e32 v1, v5, v1
	;; [unrolled: 1-line block ×3, first 2 shown]
	s_delay_alu instid0(VALU_DEP_3) | instskip(NEXT) | instid1(VALU_DEP_3)
	v_fmac_f32_e32 v139, v5, v0
	v_fma_f32 v140, v4, v0, -v1
	v_mul_f32_e32 v0, v7, v3
	s_delay_alu instid0(VALU_DEP_4) | instskip(NEXT) | instid1(VALU_DEP_2)
	v_fmac_f32_e32 v141, v7, v2
	v_fma_f32 v142, v6, v2, -v0
	ds_load_2addr_b64 v[0:3], v108 offset0:65 offset1:66
	ds_load_2addr_b64 v[4:7], v108 offset0:67 offset1:68
	s_wait_loadcnt_dscnt 0x1
	v_mul_f32_e32 v143, v0, v9
	v_mul_f32_e32 v145, v2, v11
	s_delay_alu instid0(VALU_DEP_2) | instskip(SKIP_1) | instid1(VALU_DEP_3)
	v_fmac_f32_e32 v143, v1, v8
	v_mul_f32_e32 v1, v1, v9
	v_fmac_f32_e32 v145, v3, v10
	s_delay_alu instid0(VALU_DEP_2) | instskip(SKIP_1) | instid1(VALU_DEP_1)
	v_fma_f32 v144, v0, v8, -v1
	v_mul_f32_e32 v0, v3, v11
	v_fma_f32 v146, v2, v10, -v0
	s_clause 0x1
	scratch_load_b128 v[0:3], off, off offset:216
	scratch_load_b128 v[8:11], off, off offset:232
	s_wait_loadcnt_dscnt 0x100
	v_mul_f32_e32 v147, v4, v1
	v_mul_f32_e32 v1, v5, v1
	;; [unrolled: 1-line block ×3, first 2 shown]
	s_delay_alu instid0(VALU_DEP_3) | instskip(NEXT) | instid1(VALU_DEP_3)
	v_fmac_f32_e32 v147, v5, v0
	v_fma_f32 v148, v4, v0, -v1
	v_dual_mul_f32 v0, v7, v3 :: v_dual_add_f32 v1, 0, v120
	s_delay_alu instid0(VALU_DEP_4) | instskip(NEXT) | instid1(VALU_DEP_2)
	v_fmac_f32_e32 v149, v7, v2
	v_fma_f32 v150, v6, v2, -v0
	v_add_f32_e32 v0, 0, v109
	s_delay_alu instid0(VALU_DEP_1) | instskip(NEXT) | instid1(VALU_DEP_1)
	v_dual_add_f32 v1, v1, v121 :: v_dual_add_f32 v0, v0, v110
	v_dual_add_f32 v1, v1, v111 :: v_dual_add_f32 v0, v0, v113
	s_delay_alu instid0(VALU_DEP_1) | instskip(NEXT) | instid1(VALU_DEP_1)
	v_dual_add_f32 v1, v1, v112 :: v_dual_add_f32 v0, v0, v114
	v_add_f32_e32 v1, v1, v115
	s_delay_alu instid0(VALU_DEP_1) | instskip(NEXT) | instid1(VALU_DEP_1)
	v_dual_add_f32 v0, v0, v119 :: v_dual_add_f32 v1, v1, v116
	v_dual_add_f32 v0, v0, v122 :: v_dual_add_f32 v1, v1, v123
	s_delay_alu instid0(VALU_DEP_1) | instskip(NEXT) | instid1(VALU_DEP_1)
	v_dual_add_f32 v0, v0, v12 :: v_dual_add_f32 v1, v1, v13
	v_dual_add_f32 v0, v0, v14 :: v_dual_add_f32 v1, v1, v15
	;; [unrolled: 3-line block ×3, first 2 shown]
	s_delay_alu instid0(VALU_DEP_1) | instskip(NEXT) | instid1(VALU_DEP_1)
	v_dual_add_f32 v0, v0, v20 :: v_dual_add_f32 v1, v1, v21
	v_add_f32_e32 v0, v0, v22
	s_delay_alu instid0(VALU_DEP_2) | instskip(NEXT) | instid1(VALU_DEP_2)
	v_add_f32_e32 v4, v1, v23
	v_add_f32_e32 v0, v0, v24
	s_delay_alu instid0(VALU_DEP_2)
	v_add_f32_e32 v12, v4, v25
	scratch_load_b64 v[24:25], off, off offset:312
	v_add_f32_e32 v5, v0, v26
	scratch_load_b128 v[0:3], off, off offset:248
	v_dual_add_f32 v12, v12, v27 :: v_dual_add_f32 v13, v5, v124
	ds_load_2addr_b64 v[4:7], v108 offset0:69 offset1:70
	v_dual_add_f32 v12, v12, v125 :: v_dual_add_f32 v13, v13, v126
	s_delay_alu instid0(VALU_DEP_1) | instskip(SKIP_2) | instid1(VALU_DEP_1)
	v_dual_add_f32 v17, v12, v127 :: v_dual_add_f32 v16, v13, v128
	ds_load_2addr_b64 v[12:15], v108 offset0:71 offset1:72
	v_dual_add_f32 v17, v17, v129 :: v_dual_add_f32 v16, v16, v130
	v_dual_add_f32 v17, v17, v131 :: v_dual_add_f32 v16, v16, v132
	s_wait_loadcnt_dscnt 0x201
	v_mul_f32_e32 v109, v4, v9
	v_dual_mul_f32 v9, v5, v9 :: v_dual_mul_f32 v110, v6, v11
	s_delay_alu instid0(VALU_DEP_3) | instskip(NEXT) | instid1(VALU_DEP_3)
	v_dual_mul_f32 v11, v7, v11 :: v_dual_add_f32 v16, v16, v134
	v_fmac_f32_e32 v109, v5, v8
	s_delay_alu instid0(VALU_DEP_3) | instskip(NEXT) | instid1(VALU_DEP_4)
	v_fma_f32 v111, v4, v8, -v9
	v_fmac_f32_e32 v110, v7, v10
	s_delay_alu instid0(VALU_DEP_4)
	v_fma_f32 v112, v6, v10, -v11
	s_clause 0x1
	scratch_load_b128 v[4:7], off, off offset:264
	scratch_load_b128 v[8:11], off, off offset:280
	v_dual_add_f32 v20, v17, v133 :: v_dual_add_f32 v21, v16, v136
	scratch_load_b128 v[16:19], off, off offset:296
	v_dual_add_f32 v20, v20, v135 :: v_dual_add_f32 v21, v21, v138
	s_delay_alu instid0(VALU_DEP_1) | instskip(NEXT) | instid1(VALU_DEP_1)
	v_dual_add_f32 v20, v20, v137 :: v_dual_add_f32 v21, v21, v140
	v_dual_add_f32 v20, v20, v139 :: v_dual_add_f32 v21, v21, v142
	s_wait_loadcnt_dscnt 0x300
	v_mul_f32_e32 v113, v12, v1
	v_dual_mul_f32 v1, v13, v1 :: v_dual_mul_f32 v114, v14, v3
	v_mul_f32_e32 v3, v15, v3
	s_delay_alu instid0(VALU_DEP_3) | instskip(NEXT) | instid1(VALU_DEP_3)
	v_fmac_f32_e32 v113, v13, v0
	v_fma_f32 v115, v12, v0, -v1
	v_dual_add_f32 v12, v20, v141 :: v_dual_add_f32 v13, v21, v144
	v_fmac_f32_e32 v114, v15, v2
	v_fma_f32 v116, v14, v2, -v3
	ds_load_2addr_b64 v[0:3], v108 offset0:73 offset1:74
	v_add_f32_e32 v20, v12, v143
	v_add_f32_e32 v26, v13, v146
	ds_load_2addr_b64 v[12:15], v108 offset0:75 offset1:76
	v_add_f32_e32 v27, v20, v145
	v_add_f32_e32 v119, v26, v148
	;; [unrolled: 3-line block ×3, first 2 shown]
	ds_load_b64 v[26:27], v108 offset:632
	v_dual_add_f32 v120, v120, v149 :: v_dual_add_f32 v111, v119, v111
	s_delay_alu instid0(VALU_DEP_1) | instskip(NEXT) | instid1(VALU_DEP_2)
	v_add_f32_e32 v109, v120, v109
	v_add_f32_e32 v111, v111, v112
	s_wait_loadcnt_dscnt 0x203
	v_mul_f32_e32 v121, v0, v5
	v_mul_f32_e32 v5, v1, v5
	;; [unrolled: 1-line block ×3, first 2 shown]
	v_add_f32_e32 v109, v109, v110
	v_add_f32_e32 v111, v111, v115
	v_mul_f32_e32 v7, v3, v7
	v_fmac_f32_e32 v121, v1, v4
	v_fma_f32 v0, v0, v4, -v5
	v_add_f32_e32 v109, v109, v113
	s_wait_loadcnt_dscnt 0x102
	v_dual_add_f32 v1, v111, v116 :: v_dual_mul_f32 v112, v12, v9
	v_mul_f32_e32 v5, v13, v9
	v_fmac_f32_e32 v119, v3, v6
	v_add_f32_e32 v4, v109, v114
	v_fma_f32 v2, v2, v6, -v7
	v_add_f32_e32 v0, v1, v0
	v_mul_f32_e32 v110, v14, v11
	v_mul_f32_e32 v3, v15, v11
	v_dual_add_f32 v1, v4, v121 :: v_dual_fmac_f32 v112, v13, v8
	v_fma_f32 v4, v12, v8, -v5
	v_add_f32_e32 v0, v0, v2
	s_wait_loadcnt_dscnt 0x1
	s_delay_alu instid0(VALU_DEP_3)
	v_dual_mul_f32 v120, v20, v17 :: v_dual_add_f32 v1, v1, v119
	v_mul_f32_e32 v2, v21, v17
	v_fmac_f32_e32 v110, v15, v10
	v_fma_f32 v3, v14, v10, -v3
	v_add_f32_e32 v0, v0, v4
	v_add_f32_e32 v1, v1, v112
	v_mul_f32_e32 v115, v22, v19
	v_mul_f32_e32 v4, v23, v19
	v_fmac_f32_e32 v120, v21, v16
	v_fma_f32 v2, v20, v16, -v2
	v_dual_add_f32 v0, v0, v3 :: v_dual_add_f32 v1, v1, v110
	s_wait_dscnt 0x0
	v_mul_f32_e32 v113, v26, v25
	v_mul_f32_e32 v3, v27, v25
	v_fmac_f32_e32 v115, v23, v18
	v_fma_f32 v4, v22, v18, -v4
	v_dual_add_f32 v0, v0, v2 :: v_dual_add_f32 v1, v1, v120
	v_fmac_f32_e32 v113, v27, v24
	v_fma_f32 v2, v26, v24, -v3
	s_delay_alu instid0(VALU_DEP_3) | instskip(NEXT) | instid1(VALU_DEP_1)
	v_dual_add_f32 v0, v0, v4 :: v_dual_add_f32 v1, v1, v115
	v_dual_add_f32 v0, v0, v2 :: v_dual_add_f32 v1, v1, v113
	s_delay_alu instid0(VALU_DEP_1)
	v_dual_sub_f32 v0, v117, v0 :: v_dual_sub_f32 v1, v118, v1
	scratch_store_b64 off, v[0:1], off
	s_wait_alu 0xfffe
	s_cbranch_vccz .LBB39_332
; %bb.254:
	global_load_b32 v0, v108, s[2:3] offset:152
	s_wait_loadcnt 0x0
	v_cmp_ne_u32_e32 vcc_lo, 39, v0
	s_cbranch_vccz .LBB39_256
; %bb.255:
	v_lshlrev_b32_e32 v0, 3, v0
	s_delay_alu instid0(VALU_DEP_1)
	v_mov_b32_e32 v4, v0
	scratch_load_b64 v[0:1], v4, off offset:-8
	scratch_load_b64 v[2:3], off, off offset:304
	s_wait_loadcnt 0x1
	scratch_store_b64 off, v[0:1], off offset:304
	s_wait_loadcnt 0x0
	scratch_store_b64 v4, v[2:3], off offset:-8
.LBB39_256:
	v_mov_b32_e32 v0, 0
	global_load_b32 v1, v0, s[2:3] offset:148
	s_wait_loadcnt 0x0
	v_cmp_eq_u32_e32 vcc_lo, 38, v1
	s_cbranch_vccnz .LBB39_258
; %bb.257:
	v_lshlrev_b32_e32 v1, 3, v1
	s_delay_alu instid0(VALU_DEP_1)
	v_mov_b32_e32 v5, v1
	scratch_load_b64 v[1:2], v5, off offset:-8
	scratch_load_b64 v[3:4], off, off offset:296
	s_wait_loadcnt 0x1
	scratch_store_b64 off, v[1:2], off offset:296
	s_wait_loadcnt 0x0
	scratch_store_b64 v5, v[3:4], off offset:-8
.LBB39_258:
	global_load_b32 v0, v0, s[2:3] offset:144
	s_wait_loadcnt 0x0
	v_cmp_eq_u32_e32 vcc_lo, 37, v0
	s_cbranch_vccnz .LBB39_260
; %bb.259:
	v_lshlrev_b32_e32 v0, 3, v0
	s_delay_alu instid0(VALU_DEP_1)
	v_mov_b32_e32 v4, v0
	scratch_load_b64 v[0:1], v4, off offset:-8
	scratch_load_b64 v[2:3], off, off offset:288
	s_wait_loadcnt 0x1
	scratch_store_b64 off, v[0:1], off offset:288
	s_wait_loadcnt 0x0
	scratch_store_b64 v4, v[2:3], off offset:-8
.LBB39_260:
	v_mov_b32_e32 v0, 0
	global_load_b32 v1, v0, s[2:3] offset:140
	s_wait_loadcnt 0x0
	v_cmp_eq_u32_e32 vcc_lo, 36, v1
	s_cbranch_vccnz .LBB39_262
; %bb.261:
	v_lshlrev_b32_e32 v1, 3, v1
	s_delay_alu instid0(VALU_DEP_1)
	v_mov_b32_e32 v5, v1
	scratch_load_b64 v[1:2], v5, off offset:-8
	scratch_load_b64 v[3:4], off, off offset:280
	s_wait_loadcnt 0x1
	scratch_store_b64 off, v[1:2], off offset:280
	s_wait_loadcnt 0x0
	scratch_store_b64 v5, v[3:4], off offset:-8
.LBB39_262:
	global_load_b32 v0, v0, s[2:3] offset:136
	s_wait_loadcnt 0x0
	v_cmp_eq_u32_e32 vcc_lo, 35, v0
	s_cbranch_vccnz .LBB39_264
; %bb.263:
	v_lshlrev_b32_e32 v0, 3, v0
	s_delay_alu instid0(VALU_DEP_1)
	v_mov_b32_e32 v4, v0
	scratch_load_b64 v[0:1], v4, off offset:-8
	scratch_load_b64 v[2:3], off, off offset:272
	s_wait_loadcnt 0x1
	scratch_store_b64 off, v[0:1], off offset:272
	s_wait_loadcnt 0x0
	scratch_store_b64 v4, v[2:3], off offset:-8
.LBB39_264:
	v_mov_b32_e32 v0, 0
	global_load_b32 v1, v0, s[2:3] offset:132
	s_wait_loadcnt 0x0
	v_cmp_eq_u32_e32 vcc_lo, 34, v1
	s_cbranch_vccnz .LBB39_266
; %bb.265:
	v_lshlrev_b32_e32 v1, 3, v1
	s_delay_alu instid0(VALU_DEP_1)
	v_mov_b32_e32 v5, v1
	scratch_load_b64 v[1:2], v5, off offset:-8
	scratch_load_b64 v[3:4], off, off offset:264
	s_wait_loadcnt 0x1
	scratch_store_b64 off, v[1:2], off offset:264
	s_wait_loadcnt 0x0
	scratch_store_b64 v5, v[3:4], off offset:-8
.LBB39_266:
	global_load_b32 v0, v0, s[2:3] offset:128
	s_wait_loadcnt 0x0
	v_cmp_eq_u32_e32 vcc_lo, 33, v0
	s_cbranch_vccnz .LBB39_268
; %bb.267:
	v_lshlrev_b32_e32 v0, 3, v0
	s_delay_alu instid0(VALU_DEP_1)
	v_mov_b32_e32 v4, v0
	scratch_load_b64 v[0:1], v4, off offset:-8
	scratch_load_b64 v[2:3], off, off offset:256
	s_wait_loadcnt 0x1
	scratch_store_b64 off, v[0:1], off offset:256
	s_wait_loadcnt 0x0
	scratch_store_b64 v4, v[2:3], off offset:-8
.LBB39_268:
	v_mov_b32_e32 v0, 0
	global_load_b32 v1, v0, s[2:3] offset:124
	s_wait_loadcnt 0x0
	v_cmp_eq_u32_e32 vcc_lo, 32, v1
	s_cbranch_vccnz .LBB39_270
; %bb.269:
	v_lshlrev_b32_e32 v1, 3, v1
	s_delay_alu instid0(VALU_DEP_1)
	v_mov_b32_e32 v5, v1
	scratch_load_b64 v[1:2], v5, off offset:-8
	scratch_load_b64 v[3:4], off, off offset:248
	s_wait_loadcnt 0x1
	scratch_store_b64 off, v[1:2], off offset:248
	s_wait_loadcnt 0x0
	scratch_store_b64 v5, v[3:4], off offset:-8
.LBB39_270:
	global_load_b32 v0, v0, s[2:3] offset:120
	s_wait_loadcnt 0x0
	v_cmp_eq_u32_e32 vcc_lo, 31, v0
	s_cbranch_vccnz .LBB39_272
; %bb.271:
	v_lshlrev_b32_e32 v0, 3, v0
	s_delay_alu instid0(VALU_DEP_1)
	v_mov_b32_e32 v4, v0
	scratch_load_b64 v[0:1], v4, off offset:-8
	scratch_load_b64 v[2:3], off, off offset:240
	s_wait_loadcnt 0x1
	scratch_store_b64 off, v[0:1], off offset:240
	s_wait_loadcnt 0x0
	scratch_store_b64 v4, v[2:3], off offset:-8
.LBB39_272:
	v_mov_b32_e32 v0, 0
	global_load_b32 v1, v0, s[2:3] offset:116
	s_wait_loadcnt 0x0
	v_cmp_eq_u32_e32 vcc_lo, 30, v1
	s_cbranch_vccnz .LBB39_274
; %bb.273:
	v_lshlrev_b32_e32 v1, 3, v1
	s_delay_alu instid0(VALU_DEP_1)
	v_mov_b32_e32 v5, v1
	scratch_load_b64 v[1:2], v5, off offset:-8
	scratch_load_b64 v[3:4], off, off offset:232
	s_wait_loadcnt 0x1
	scratch_store_b64 off, v[1:2], off offset:232
	s_wait_loadcnt 0x0
	scratch_store_b64 v5, v[3:4], off offset:-8
.LBB39_274:
	global_load_b32 v0, v0, s[2:3] offset:112
	s_wait_loadcnt 0x0
	v_cmp_eq_u32_e32 vcc_lo, 29, v0
	s_cbranch_vccnz .LBB39_276
; %bb.275:
	v_lshlrev_b32_e32 v0, 3, v0
	s_delay_alu instid0(VALU_DEP_1)
	v_mov_b32_e32 v4, v0
	scratch_load_b64 v[0:1], v4, off offset:-8
	scratch_load_b64 v[2:3], off, off offset:224
	s_wait_loadcnt 0x1
	scratch_store_b64 off, v[0:1], off offset:224
	s_wait_loadcnt 0x0
	scratch_store_b64 v4, v[2:3], off offset:-8
.LBB39_276:
	v_mov_b32_e32 v0, 0
	global_load_b32 v1, v0, s[2:3] offset:108
	s_wait_loadcnt 0x0
	v_cmp_eq_u32_e32 vcc_lo, 28, v1
	s_cbranch_vccnz .LBB39_278
; %bb.277:
	v_lshlrev_b32_e32 v1, 3, v1
	s_delay_alu instid0(VALU_DEP_1)
	v_mov_b32_e32 v5, v1
	scratch_load_b64 v[1:2], v5, off offset:-8
	scratch_load_b64 v[3:4], off, off offset:216
	s_wait_loadcnt 0x1
	scratch_store_b64 off, v[1:2], off offset:216
	s_wait_loadcnt 0x0
	scratch_store_b64 v5, v[3:4], off offset:-8
.LBB39_278:
	global_load_b32 v0, v0, s[2:3] offset:104
	s_wait_loadcnt 0x0
	v_cmp_eq_u32_e32 vcc_lo, 27, v0
	s_cbranch_vccnz .LBB39_280
; %bb.279:
	v_lshlrev_b32_e32 v0, 3, v0
	s_delay_alu instid0(VALU_DEP_1)
	v_mov_b32_e32 v4, v0
	scratch_load_b64 v[0:1], v4, off offset:-8
	scratch_load_b64 v[2:3], off, off offset:208
	s_wait_loadcnt 0x1
	scratch_store_b64 off, v[0:1], off offset:208
	s_wait_loadcnt 0x0
	scratch_store_b64 v4, v[2:3], off offset:-8
.LBB39_280:
	v_mov_b32_e32 v0, 0
	global_load_b32 v1, v0, s[2:3] offset:100
	s_wait_loadcnt 0x0
	v_cmp_eq_u32_e32 vcc_lo, 26, v1
	s_cbranch_vccnz .LBB39_282
; %bb.281:
	v_lshlrev_b32_e32 v1, 3, v1
	s_delay_alu instid0(VALU_DEP_1)
	v_mov_b32_e32 v5, v1
	scratch_load_b64 v[1:2], v5, off offset:-8
	scratch_load_b64 v[3:4], off, off offset:200
	s_wait_loadcnt 0x1
	scratch_store_b64 off, v[1:2], off offset:200
	s_wait_loadcnt 0x0
	scratch_store_b64 v5, v[3:4], off offset:-8
.LBB39_282:
	global_load_b32 v0, v0, s[2:3] offset:96
	s_wait_loadcnt 0x0
	v_cmp_eq_u32_e32 vcc_lo, 25, v0
	s_cbranch_vccnz .LBB39_284
; %bb.283:
	v_lshlrev_b32_e32 v0, 3, v0
	s_delay_alu instid0(VALU_DEP_1)
	v_mov_b32_e32 v4, v0
	scratch_load_b64 v[0:1], v4, off offset:-8
	scratch_load_b64 v[2:3], off, off offset:192
	s_wait_loadcnt 0x1
	scratch_store_b64 off, v[0:1], off offset:192
	s_wait_loadcnt 0x0
	scratch_store_b64 v4, v[2:3], off offset:-8
.LBB39_284:
	v_mov_b32_e32 v0, 0
	global_load_b32 v1, v0, s[2:3] offset:92
	s_wait_loadcnt 0x0
	v_cmp_eq_u32_e32 vcc_lo, 24, v1
	s_cbranch_vccnz .LBB39_286
; %bb.285:
	v_lshlrev_b32_e32 v1, 3, v1
	s_delay_alu instid0(VALU_DEP_1)
	v_mov_b32_e32 v5, v1
	scratch_load_b64 v[1:2], v5, off offset:-8
	scratch_load_b64 v[3:4], off, off offset:184
	s_wait_loadcnt 0x1
	scratch_store_b64 off, v[1:2], off offset:184
	s_wait_loadcnt 0x0
	scratch_store_b64 v5, v[3:4], off offset:-8
.LBB39_286:
	global_load_b32 v0, v0, s[2:3] offset:88
	s_wait_loadcnt 0x0
	v_cmp_eq_u32_e32 vcc_lo, 23, v0
	s_cbranch_vccnz .LBB39_288
; %bb.287:
	v_lshlrev_b32_e32 v0, 3, v0
	s_delay_alu instid0(VALU_DEP_1)
	v_mov_b32_e32 v4, v0
	scratch_load_b64 v[0:1], v4, off offset:-8
	scratch_load_b64 v[2:3], off, off offset:176
	s_wait_loadcnt 0x1
	scratch_store_b64 off, v[0:1], off offset:176
	s_wait_loadcnt 0x0
	scratch_store_b64 v4, v[2:3], off offset:-8
.LBB39_288:
	v_mov_b32_e32 v0, 0
	global_load_b32 v1, v0, s[2:3] offset:84
	s_wait_loadcnt 0x0
	v_cmp_eq_u32_e32 vcc_lo, 22, v1
	s_cbranch_vccnz .LBB39_290
; %bb.289:
	v_lshlrev_b32_e32 v1, 3, v1
	s_delay_alu instid0(VALU_DEP_1)
	v_mov_b32_e32 v5, v1
	scratch_load_b64 v[1:2], v5, off offset:-8
	scratch_load_b64 v[3:4], off, off offset:168
	s_wait_loadcnt 0x1
	scratch_store_b64 off, v[1:2], off offset:168
	s_wait_loadcnt 0x0
	scratch_store_b64 v5, v[3:4], off offset:-8
.LBB39_290:
	global_load_b32 v0, v0, s[2:3] offset:80
	s_wait_loadcnt 0x0
	v_cmp_eq_u32_e32 vcc_lo, 21, v0
	s_cbranch_vccnz .LBB39_292
; %bb.291:
	v_lshlrev_b32_e32 v0, 3, v0
	s_delay_alu instid0(VALU_DEP_1)
	v_mov_b32_e32 v4, v0
	scratch_load_b64 v[0:1], v4, off offset:-8
	scratch_load_b64 v[2:3], off, off offset:160
	s_wait_loadcnt 0x1
	scratch_store_b64 off, v[0:1], off offset:160
	s_wait_loadcnt 0x0
	scratch_store_b64 v4, v[2:3], off offset:-8
.LBB39_292:
	v_mov_b32_e32 v0, 0
	global_load_b32 v1, v0, s[2:3] offset:76
	s_wait_loadcnt 0x0
	v_cmp_eq_u32_e32 vcc_lo, 20, v1
	s_cbranch_vccnz .LBB39_294
; %bb.293:
	v_lshlrev_b32_e32 v1, 3, v1
	s_delay_alu instid0(VALU_DEP_1)
	v_mov_b32_e32 v5, v1
	scratch_load_b64 v[1:2], v5, off offset:-8
	scratch_load_b64 v[3:4], off, off offset:152
	s_wait_loadcnt 0x1
	scratch_store_b64 off, v[1:2], off offset:152
	s_wait_loadcnt 0x0
	scratch_store_b64 v5, v[3:4], off offset:-8
.LBB39_294:
	global_load_b32 v0, v0, s[2:3] offset:72
	s_wait_loadcnt 0x0
	v_cmp_eq_u32_e32 vcc_lo, 19, v0
	s_cbranch_vccnz .LBB39_296
; %bb.295:
	v_lshlrev_b32_e32 v0, 3, v0
	s_delay_alu instid0(VALU_DEP_1)
	v_mov_b32_e32 v4, v0
	scratch_load_b64 v[0:1], v4, off offset:-8
	scratch_load_b64 v[2:3], off, off offset:144
	s_wait_loadcnt 0x1
	scratch_store_b64 off, v[0:1], off offset:144
	s_wait_loadcnt 0x0
	scratch_store_b64 v4, v[2:3], off offset:-8
.LBB39_296:
	v_mov_b32_e32 v0, 0
	global_load_b32 v1, v0, s[2:3] offset:68
	s_wait_loadcnt 0x0
	v_cmp_eq_u32_e32 vcc_lo, 18, v1
	s_cbranch_vccnz .LBB39_298
; %bb.297:
	v_lshlrev_b32_e32 v1, 3, v1
	s_delay_alu instid0(VALU_DEP_1)
	v_mov_b32_e32 v5, v1
	scratch_load_b64 v[1:2], v5, off offset:-8
	scratch_load_b64 v[3:4], off, off offset:136
	s_wait_loadcnt 0x1
	scratch_store_b64 off, v[1:2], off offset:136
	s_wait_loadcnt 0x0
	scratch_store_b64 v5, v[3:4], off offset:-8
.LBB39_298:
	global_load_b32 v0, v0, s[2:3] offset:64
	s_wait_loadcnt 0x0
	v_cmp_eq_u32_e32 vcc_lo, 17, v0
	s_cbranch_vccnz .LBB39_300
; %bb.299:
	v_lshlrev_b32_e32 v0, 3, v0
	s_delay_alu instid0(VALU_DEP_1)
	v_mov_b32_e32 v4, v0
	scratch_load_b64 v[0:1], v4, off offset:-8
	scratch_load_b64 v[2:3], off, off offset:128
	s_wait_loadcnt 0x1
	scratch_store_b64 off, v[0:1], off offset:128
	s_wait_loadcnt 0x0
	scratch_store_b64 v4, v[2:3], off offset:-8
.LBB39_300:
	v_mov_b32_e32 v0, 0
	global_load_b32 v1, v0, s[2:3] offset:60
	s_wait_loadcnt 0x0
	v_cmp_eq_u32_e32 vcc_lo, 16, v1
	s_cbranch_vccnz .LBB39_302
; %bb.301:
	v_lshlrev_b32_e32 v1, 3, v1
	s_delay_alu instid0(VALU_DEP_1)
	v_mov_b32_e32 v5, v1
	scratch_load_b64 v[1:2], v5, off offset:-8
	scratch_load_b64 v[3:4], off, off offset:120
	s_wait_loadcnt 0x1
	scratch_store_b64 off, v[1:2], off offset:120
	s_wait_loadcnt 0x0
	scratch_store_b64 v5, v[3:4], off offset:-8
.LBB39_302:
	global_load_b32 v0, v0, s[2:3] offset:56
	s_wait_loadcnt 0x0
	v_cmp_eq_u32_e32 vcc_lo, 15, v0
	s_cbranch_vccnz .LBB39_304
; %bb.303:
	v_lshlrev_b32_e32 v0, 3, v0
	s_delay_alu instid0(VALU_DEP_1)
	v_mov_b32_e32 v4, v0
	scratch_load_b64 v[0:1], v4, off offset:-8
	scratch_load_b64 v[2:3], off, off offset:112
	s_wait_loadcnt 0x1
	scratch_store_b64 off, v[0:1], off offset:112
	s_wait_loadcnt 0x0
	scratch_store_b64 v4, v[2:3], off offset:-8
.LBB39_304:
	v_mov_b32_e32 v0, 0
	global_load_b32 v1, v0, s[2:3] offset:52
	s_wait_loadcnt 0x0
	v_cmp_eq_u32_e32 vcc_lo, 14, v1
	s_cbranch_vccnz .LBB39_306
; %bb.305:
	v_lshlrev_b32_e32 v1, 3, v1
	s_delay_alu instid0(VALU_DEP_1)
	v_mov_b32_e32 v5, v1
	scratch_load_b64 v[1:2], v5, off offset:-8
	scratch_load_b64 v[3:4], off, off offset:104
	s_wait_loadcnt 0x1
	scratch_store_b64 off, v[1:2], off offset:104
	s_wait_loadcnt 0x0
	scratch_store_b64 v5, v[3:4], off offset:-8
.LBB39_306:
	global_load_b32 v0, v0, s[2:3] offset:48
	s_wait_loadcnt 0x0
	v_cmp_eq_u32_e32 vcc_lo, 13, v0
	s_cbranch_vccnz .LBB39_308
; %bb.307:
	v_lshlrev_b32_e32 v0, 3, v0
	s_delay_alu instid0(VALU_DEP_1)
	v_mov_b32_e32 v4, v0
	scratch_load_b64 v[0:1], v4, off offset:-8
	scratch_load_b64 v[2:3], off, off offset:96
	s_wait_loadcnt 0x1
	scratch_store_b64 off, v[0:1], off offset:96
	s_wait_loadcnt 0x0
	scratch_store_b64 v4, v[2:3], off offset:-8
.LBB39_308:
	v_mov_b32_e32 v0, 0
	global_load_b32 v1, v0, s[2:3] offset:44
	s_wait_loadcnt 0x0
	v_cmp_eq_u32_e32 vcc_lo, 12, v1
	s_cbranch_vccnz .LBB39_310
; %bb.309:
	v_lshlrev_b32_e32 v1, 3, v1
	s_delay_alu instid0(VALU_DEP_1)
	v_mov_b32_e32 v5, v1
	scratch_load_b64 v[1:2], v5, off offset:-8
	scratch_load_b64 v[3:4], off, off offset:88
	s_wait_loadcnt 0x1
	scratch_store_b64 off, v[1:2], off offset:88
	s_wait_loadcnt 0x0
	scratch_store_b64 v5, v[3:4], off offset:-8
.LBB39_310:
	global_load_b32 v0, v0, s[2:3] offset:40
	s_wait_loadcnt 0x0
	v_cmp_eq_u32_e32 vcc_lo, 11, v0
	s_cbranch_vccnz .LBB39_312
; %bb.311:
	v_lshlrev_b32_e32 v0, 3, v0
	s_delay_alu instid0(VALU_DEP_1)
	v_mov_b32_e32 v4, v0
	scratch_load_b64 v[0:1], v4, off offset:-8
	scratch_load_b64 v[2:3], off, off offset:80
	s_wait_loadcnt 0x1
	scratch_store_b64 off, v[0:1], off offset:80
	s_wait_loadcnt 0x0
	scratch_store_b64 v4, v[2:3], off offset:-8
.LBB39_312:
	v_mov_b32_e32 v0, 0
	global_load_b32 v1, v0, s[2:3] offset:36
	s_wait_loadcnt 0x0
	v_cmp_eq_u32_e32 vcc_lo, 10, v1
	s_cbranch_vccnz .LBB39_314
; %bb.313:
	v_lshlrev_b32_e32 v1, 3, v1
	s_delay_alu instid0(VALU_DEP_1)
	v_mov_b32_e32 v5, v1
	scratch_load_b64 v[1:2], v5, off offset:-8
	scratch_load_b64 v[3:4], off, off offset:72
	s_wait_loadcnt 0x1
	scratch_store_b64 off, v[1:2], off offset:72
	s_wait_loadcnt 0x0
	scratch_store_b64 v5, v[3:4], off offset:-8
.LBB39_314:
	global_load_b32 v0, v0, s[2:3] offset:32
	s_wait_loadcnt 0x0
	v_cmp_eq_u32_e32 vcc_lo, 9, v0
	s_cbranch_vccnz .LBB39_316
; %bb.315:
	v_lshlrev_b32_e32 v0, 3, v0
	s_delay_alu instid0(VALU_DEP_1)
	v_mov_b32_e32 v4, v0
	scratch_load_b64 v[0:1], v4, off offset:-8
	scratch_load_b64 v[2:3], off, off offset:64
	s_wait_loadcnt 0x1
	scratch_store_b64 off, v[0:1], off offset:64
	s_wait_loadcnt 0x0
	scratch_store_b64 v4, v[2:3], off offset:-8
.LBB39_316:
	v_mov_b32_e32 v0, 0
	global_load_b32 v1, v0, s[2:3] offset:28
	s_wait_loadcnt 0x0
	v_cmp_eq_u32_e32 vcc_lo, 8, v1
	s_cbranch_vccnz .LBB39_318
; %bb.317:
	v_lshlrev_b32_e32 v1, 3, v1
	s_delay_alu instid0(VALU_DEP_1)
	v_mov_b32_e32 v5, v1
	scratch_load_b64 v[1:2], v5, off offset:-8
	scratch_load_b64 v[3:4], off, off offset:56
	s_wait_loadcnt 0x1
	scratch_store_b64 off, v[1:2], off offset:56
	s_wait_loadcnt 0x0
	scratch_store_b64 v5, v[3:4], off offset:-8
.LBB39_318:
	global_load_b32 v0, v0, s[2:3] offset:24
	s_wait_loadcnt 0x0
	v_cmp_eq_u32_e32 vcc_lo, 7, v0
	s_cbranch_vccnz .LBB39_320
; %bb.319:
	v_lshlrev_b32_e32 v0, 3, v0
	s_delay_alu instid0(VALU_DEP_1)
	v_mov_b32_e32 v4, v0
	scratch_load_b64 v[0:1], v4, off offset:-8
	scratch_load_b64 v[2:3], off, off offset:48
	s_wait_loadcnt 0x1
	scratch_store_b64 off, v[0:1], off offset:48
	s_wait_loadcnt 0x0
	scratch_store_b64 v4, v[2:3], off offset:-8
.LBB39_320:
	v_mov_b32_e32 v0, 0
	global_load_b32 v1, v0, s[2:3] offset:20
	s_wait_loadcnt 0x0
	v_cmp_eq_u32_e32 vcc_lo, 6, v1
	s_cbranch_vccnz .LBB39_322
; %bb.321:
	v_lshlrev_b32_e32 v1, 3, v1
	s_delay_alu instid0(VALU_DEP_1)
	v_mov_b32_e32 v5, v1
	scratch_load_b64 v[1:2], v5, off offset:-8
	scratch_load_b64 v[3:4], off, off offset:40
	s_wait_loadcnt 0x1
	scratch_store_b64 off, v[1:2], off offset:40
	s_wait_loadcnt 0x0
	scratch_store_b64 v5, v[3:4], off offset:-8
.LBB39_322:
	global_load_b32 v0, v0, s[2:3] offset:16
	s_wait_loadcnt 0x0
	v_cmp_eq_u32_e32 vcc_lo, 5, v0
	s_cbranch_vccnz .LBB39_324
; %bb.323:
	v_lshlrev_b32_e32 v0, 3, v0
	s_delay_alu instid0(VALU_DEP_1)
	v_mov_b32_e32 v4, v0
	scratch_load_b64 v[0:1], v4, off offset:-8
	scratch_load_b64 v[2:3], off, off offset:32
	s_wait_loadcnt 0x1
	scratch_store_b64 off, v[0:1], off offset:32
	s_wait_loadcnt 0x0
	scratch_store_b64 v4, v[2:3], off offset:-8
.LBB39_324:
	v_mov_b32_e32 v0, 0
	global_load_b32 v1, v0, s[2:3] offset:12
	s_wait_loadcnt 0x0
	v_cmp_eq_u32_e32 vcc_lo, 4, v1
	s_cbranch_vccnz .LBB39_326
; %bb.325:
	v_lshlrev_b32_e32 v1, 3, v1
	s_delay_alu instid0(VALU_DEP_1)
	v_mov_b32_e32 v5, v1
	scratch_load_b64 v[1:2], v5, off offset:-8
	scratch_load_b64 v[3:4], off, off offset:24
	s_wait_loadcnt 0x1
	scratch_store_b64 off, v[1:2], off offset:24
	s_wait_loadcnt 0x0
	scratch_store_b64 v5, v[3:4], off offset:-8
.LBB39_326:
	global_load_b32 v0, v0, s[2:3] offset:8
	s_wait_loadcnt 0x0
	v_cmp_eq_u32_e32 vcc_lo, 3, v0
	s_cbranch_vccnz .LBB39_328
; %bb.327:
	v_lshlrev_b32_e32 v0, 3, v0
	s_delay_alu instid0(VALU_DEP_1)
	v_mov_b32_e32 v4, v0
	scratch_load_b64 v[0:1], v4, off offset:-8
	scratch_load_b64 v[2:3], off, off offset:16
	s_wait_loadcnt 0x1
	scratch_store_b64 off, v[0:1], off offset:16
	s_wait_loadcnt 0x0
	scratch_store_b64 v4, v[2:3], off offset:-8
.LBB39_328:
	v_mov_b32_e32 v0, 0
	global_load_b32 v1, v0, s[2:3] offset:4
	s_wait_loadcnt 0x0
	v_cmp_eq_u32_e32 vcc_lo, 2, v1
	s_cbranch_vccnz .LBB39_330
; %bb.329:
	v_lshlrev_b32_e32 v1, 3, v1
	s_delay_alu instid0(VALU_DEP_1)
	v_mov_b32_e32 v5, v1
	scratch_load_b64 v[1:2], v5, off offset:-8
	scratch_load_b64 v[3:4], off, off offset:8
	s_wait_loadcnt 0x1
	scratch_store_b64 off, v[1:2], off offset:8
	s_wait_loadcnt 0x0
	scratch_store_b64 v5, v[3:4], off offset:-8
.LBB39_330:
	global_load_b32 v0, v0, s[2:3]
	s_wait_loadcnt 0x0
	v_cmp_eq_u32_e32 vcc_lo, 1, v0
	s_cbranch_vccnz .LBB39_332
; %bb.331:
	v_lshlrev_b32_e32 v0, 3, v0
	s_delay_alu instid0(VALU_DEP_1)
	v_mov_b32_e32 v4, v0
	scratch_load_b64 v[0:1], v4, off offset:-8
	scratch_load_b64 v[2:3], off, off
	s_wait_loadcnt 0x1
	scratch_store_b64 off, v[0:1], off
	s_wait_loadcnt 0x0
	scratch_store_b64 v4, v[2:3], off offset:-8
.LBB39_332:
	s_clause 0x13
	scratch_load_b128 v[0:3], off, off
	scratch_load_b128 v[4:7], off, off offset:16
	scratch_load_b128 v[8:11], off, off offset:32
	;; [unrolled: 1-line block ×19, first 2 shown]
	s_wait_loadcnt 0x13
	s_clause 0x1
	global_store_b64 v[28:29], v[0:1], off
	global_store_b64 v[30:31], v[2:3], off
	s_wait_loadcnt 0x12
	s_clause 0x1
	global_store_b64 v[32:33], v[4:5], off
	global_store_b64 v[34:35], v[6:7], off
	;; [unrolled: 4-line block ×20, first 2 shown]
	s_nop 0
	s_sendmsg sendmsg(MSG_DEALLOC_VGPRS)
	s_endpgm
	.section	.rodata,"a",@progbits
	.p2align	6, 0x0
	.amdhsa_kernel _ZN9rocsolver6v33100L18getri_kernel_smallILi40E19rocblas_complex_numIfEPS3_EEvT1_iilPiilS6_bb
		.amdhsa_group_segment_fixed_size 644
		.amdhsa_private_segment_fixed_size 336
		.amdhsa_kernarg_size 60
		.amdhsa_user_sgpr_count 2
		.amdhsa_user_sgpr_dispatch_ptr 0
		.amdhsa_user_sgpr_queue_ptr 0
		.amdhsa_user_sgpr_kernarg_segment_ptr 1
		.amdhsa_user_sgpr_dispatch_id 0
		.amdhsa_user_sgpr_private_segment_size 0
		.amdhsa_wavefront_size32 1
		.amdhsa_uses_dynamic_stack 0
		.amdhsa_enable_private_segment 1
		.amdhsa_system_sgpr_workgroup_id_x 1
		.amdhsa_system_sgpr_workgroup_id_y 0
		.amdhsa_system_sgpr_workgroup_id_z 0
		.amdhsa_system_sgpr_workgroup_info 0
		.amdhsa_system_vgpr_workitem_id 0
		.amdhsa_next_free_vgpr 254
		.amdhsa_next_free_sgpr 19
		.amdhsa_reserve_vcc 1
		.amdhsa_float_round_mode_32 0
		.amdhsa_float_round_mode_16_64 0
		.amdhsa_float_denorm_mode_32 3
		.amdhsa_float_denorm_mode_16_64 3
		.amdhsa_fp16_overflow 0
		.amdhsa_workgroup_processor_mode 1
		.amdhsa_memory_ordered 1
		.amdhsa_forward_progress 1
		.amdhsa_inst_pref_size 255
		.amdhsa_round_robin_scheduling 0
		.amdhsa_exception_fp_ieee_invalid_op 0
		.amdhsa_exception_fp_denorm_src 0
		.amdhsa_exception_fp_ieee_div_zero 0
		.amdhsa_exception_fp_ieee_overflow 0
		.amdhsa_exception_fp_ieee_underflow 0
		.amdhsa_exception_fp_ieee_inexact 0
		.amdhsa_exception_int_div_zero 0
	.end_amdhsa_kernel
	.section	.text._ZN9rocsolver6v33100L18getri_kernel_smallILi40E19rocblas_complex_numIfEPS3_EEvT1_iilPiilS6_bb,"axG",@progbits,_ZN9rocsolver6v33100L18getri_kernel_smallILi40E19rocblas_complex_numIfEPS3_EEvT1_iilPiilS6_bb,comdat
.Lfunc_end39:
	.size	_ZN9rocsolver6v33100L18getri_kernel_smallILi40E19rocblas_complex_numIfEPS3_EEvT1_iilPiilS6_bb, .Lfunc_end39-_ZN9rocsolver6v33100L18getri_kernel_smallILi40E19rocblas_complex_numIfEPS3_EEvT1_iilPiilS6_bb
                                        ; -- End function
	.set _ZN9rocsolver6v33100L18getri_kernel_smallILi40E19rocblas_complex_numIfEPS3_EEvT1_iilPiilS6_bb.num_vgpr, 254
	.set _ZN9rocsolver6v33100L18getri_kernel_smallILi40E19rocblas_complex_numIfEPS3_EEvT1_iilPiilS6_bb.num_agpr, 0
	.set _ZN9rocsolver6v33100L18getri_kernel_smallILi40E19rocblas_complex_numIfEPS3_EEvT1_iilPiilS6_bb.numbered_sgpr, 19
	.set _ZN9rocsolver6v33100L18getri_kernel_smallILi40E19rocblas_complex_numIfEPS3_EEvT1_iilPiilS6_bb.num_named_barrier, 0
	.set _ZN9rocsolver6v33100L18getri_kernel_smallILi40E19rocblas_complex_numIfEPS3_EEvT1_iilPiilS6_bb.private_seg_size, 336
	.set _ZN9rocsolver6v33100L18getri_kernel_smallILi40E19rocblas_complex_numIfEPS3_EEvT1_iilPiilS6_bb.uses_vcc, 1
	.set _ZN9rocsolver6v33100L18getri_kernel_smallILi40E19rocblas_complex_numIfEPS3_EEvT1_iilPiilS6_bb.uses_flat_scratch, 1
	.set _ZN9rocsolver6v33100L18getri_kernel_smallILi40E19rocblas_complex_numIfEPS3_EEvT1_iilPiilS6_bb.has_dyn_sized_stack, 0
	.set _ZN9rocsolver6v33100L18getri_kernel_smallILi40E19rocblas_complex_numIfEPS3_EEvT1_iilPiilS6_bb.has_recursion, 0
	.set _ZN9rocsolver6v33100L18getri_kernel_smallILi40E19rocblas_complex_numIfEPS3_EEvT1_iilPiilS6_bb.has_indirect_call, 0
	.section	.AMDGPU.csdata,"",@progbits
; Kernel info:
; codeLenInByte = 57860
; TotalNumSgprs: 21
; NumVgprs: 254
; ScratchSize: 336
; MemoryBound: 0
; FloatMode: 240
; IeeeMode: 1
; LDSByteSize: 644 bytes/workgroup (compile time only)
; SGPRBlocks: 0
; VGPRBlocks: 31
; NumSGPRsForWavesPerEU: 21
; NumVGPRsForWavesPerEU: 254
; Occupancy: 5
; WaveLimiterHint : 1
; COMPUTE_PGM_RSRC2:SCRATCH_EN: 1
; COMPUTE_PGM_RSRC2:USER_SGPR: 2
; COMPUTE_PGM_RSRC2:TRAP_HANDLER: 0
; COMPUTE_PGM_RSRC2:TGID_X_EN: 1
; COMPUTE_PGM_RSRC2:TGID_Y_EN: 0
; COMPUTE_PGM_RSRC2:TGID_Z_EN: 0
; COMPUTE_PGM_RSRC2:TIDIG_COMP_CNT: 0
	.section	.text._ZN9rocsolver6v33100L18getri_kernel_smallILi41E19rocblas_complex_numIfEPS3_EEvT1_iilPiilS6_bb,"axG",@progbits,_ZN9rocsolver6v33100L18getri_kernel_smallILi41E19rocblas_complex_numIfEPS3_EEvT1_iilPiilS6_bb,comdat
	.globl	_ZN9rocsolver6v33100L18getri_kernel_smallILi41E19rocblas_complex_numIfEPS3_EEvT1_iilPiilS6_bb ; -- Begin function _ZN9rocsolver6v33100L18getri_kernel_smallILi41E19rocblas_complex_numIfEPS3_EEvT1_iilPiilS6_bb
	.p2align	8
	.type	_ZN9rocsolver6v33100L18getri_kernel_smallILi41E19rocblas_complex_numIfEPS3_EEvT1_iilPiilS6_bb,@function
_ZN9rocsolver6v33100L18getri_kernel_smallILi41E19rocblas_complex_numIfEPS3_EEvT1_iilPiilS6_bb: ; @_ZN9rocsolver6v33100L18getri_kernel_smallILi41E19rocblas_complex_numIfEPS3_EEvT1_iilPiilS6_bb
; %bb.0:
	s_mov_b32 s2, exec_lo
	v_cmpx_gt_u32_e32 41, v0
	s_cbranch_execz .LBB40_178
; %bb.1:
	s_clause 0x2
	s_load_b32 s2, s[0:1], 0x38
	s_load_b128 s[12:15], s[0:1], 0x10
	s_load_b128 s[4:7], s[0:1], 0x28
	s_mov_b32 s16, ttmp9
	s_wait_kmcnt 0x0
	s_bitcmp1_b32 s2, 8
	s_cselect_b32 s18, -1, 0
	s_bfe_u32 s2, s2, 0x10008
	s_ashr_i32 s17, ttmp9, 31
	s_cmp_eq_u32 s2, 0
                                        ; implicit-def: $sgpr2_sgpr3
	s_cbranch_scc1 .LBB40_3
; %bb.2:
	s_load_b32 s2, s[0:1], 0x20
	s_mul_u64 s[4:5], s[4:5], s[16:17]
	s_delay_alu instid0(SALU_CYCLE_1) | instskip(NEXT) | instid1(SALU_CYCLE_1)
	s_lshl_b64 s[4:5], s[4:5], 2
	s_add_nc_u64 s[4:5], s[14:15], s[4:5]
	s_wait_kmcnt 0x0
	s_ashr_i32 s3, s2, 31
	s_delay_alu instid0(SALU_CYCLE_1) | instskip(NEXT) | instid1(SALU_CYCLE_1)
	s_lshl_b64 s[2:3], s[2:3], 2
	s_add_nc_u64 s[2:3], s[4:5], s[2:3]
.LBB40_3:
	s_clause 0x1
	s_load_b128 s[8:11], s[0:1], 0x0
	s_load_b32 s4, s[0:1], 0x38
	s_mul_u64 s[0:1], s[12:13], s[16:17]
	v_lshlrev_b32_e32 v13, 3, v0
	s_lshl_b64 s[0:1], s[0:1], 3
	s_wait_kmcnt 0x0
	v_add3_u32 v3, s11, s11, v0
	s_ashr_i32 s13, s10, 31
	s_mov_b32 s12, s10
	s_add_nc_u64 s[0:1], s[8:9], s[0:1]
	s_lshl_b64 s[12:13], s[12:13], 3
	v_add_nc_u32_e32 v5, s11, v3
	v_ashrrev_i32_e32 v4, 31, v3
	s_add_nc_u64 s[0:1], s[0:1], s[12:13]
	s_ashr_i32 s9, s11, 31
	v_add_co_u32 v24, s5, s0, v13
	v_add_nc_u32_e32 v7, s11, v5
	s_mov_b32 s8, s11
	v_lshlrev_b64_e32 v[3:4], 3, v[3:4]
	v_add_co_ci_u32_e64 v25, null, s1, 0, s5
	s_delay_alu instid0(VALU_DEP_3) | instskip(SKIP_3) | instid1(VALU_DEP_1)
	v_add_nc_u32_e32 v9, s11, v7
	s_lshl_b64 s[8:9], s[8:9], 3
	v_ashrrev_i32_e32 v6, 31, v5
	v_add_co_u32 v26, vcc_lo, v24, s8
	v_add_co_ci_u32_e64 v27, null, s9, v25, vcc_lo
	v_add_co_u32 v28, vcc_lo, s0, v3
	v_add_nc_u32_e32 v3, s11, v9
	v_lshlrev_b64_e32 v[5:6], 3, v[5:6]
	v_ashrrev_i32_e32 v8, 31, v7
	v_ashrrev_i32_e32 v10, 31, v9
	s_wait_alu 0xfffd
	v_add_co_ci_u32_e64 v29, null, s1, v4, vcc_lo
	v_add_nc_u32_e32 v11, s11, v3
	v_ashrrev_i32_e32 v4, 31, v3
	v_lshlrev_b64_e32 v[7:8], 3, v[7:8]
	v_add_co_u32 v30, vcc_lo, s0, v5
	s_wait_alu 0xfffd
	v_add_co_ci_u32_e64 v31, null, s1, v6, vcc_lo
	v_lshlrev_b64_e32 v[5:6], 3, v[9:10]
	v_add_nc_u32_e32 v16, s11, v11
	v_lshlrev_b64_e32 v[14:15], 3, v[3:4]
	v_ashrrev_i32_e32 v12, 31, v11
	v_add_co_u32 v32, vcc_lo, s0, v7
	s_delay_alu instid0(VALU_DEP_4)
	v_ashrrev_i32_e32 v17, 31, v16
	v_add_nc_u32_e32 v18, s11, v16
	s_wait_alu 0xfffd
	v_add_co_ci_u32_e64 v33, null, s1, v8, vcc_lo
	v_add_co_u32 v34, vcc_lo, s0, v5
	v_lshlrev_b64_e32 v[11:12], 3, v[11:12]
	s_wait_alu 0xfffd
	v_add_co_ci_u32_e64 v35, null, s1, v6, vcc_lo
	v_add_co_u32 v36, vcc_lo, s0, v14
	s_wait_alu 0xfffd
	v_add_co_ci_u32_e64 v37, null, s1, v15, vcc_lo
	v_lshlrev_b64_e32 v[14:15], 3, v[16:17]
	v_ashrrev_i32_e32 v19, 31, v18
	v_add_nc_u32_e32 v16, s11, v18
	v_add_co_u32 v38, vcc_lo, s0, v11
	s_wait_alu 0xfffd
	v_add_co_ci_u32_e64 v39, null, s1, v12, vcc_lo
	v_lshlrev_b64_e32 v[11:12], 3, v[18:19]
	v_ashrrev_i32_e32 v17, 31, v16
	v_add_nc_u32_e32 v18, s11, v16
	;; [unrolled: 6-line block ×24, first 2 shown]
	v_add_co_u32 v84, vcc_lo, s0, v14
	s_wait_alu 0xfffd
	v_add_co_ci_u32_e64 v85, null, s1, v15, vcc_lo
	v_lshlrev_b64_e32 v[14:15], 3, v[16:17]
	v_add_nc_u32_e32 v16, s11, v18
	v_ashrrev_i32_e32 v19, 31, v18
	v_add_co_u32 v86, vcc_lo, s0, v11
	s_wait_alu 0xfffd
	v_add_co_ci_u32_e64 v87, null, s1, v12, vcc_lo
	v_add_nc_u32_e32 v22, s11, v16
	v_lshlrev_b64_e32 v[11:12], 3, v[18:19]
	v_add_co_u32 v88, vcc_lo, s0, v14
	s_wait_alu 0xfffd
	v_add_co_ci_u32_e64 v89, null, s1, v15, vcc_lo
	v_ashrrev_i32_e32 v23, 31, v22
	s_delay_alu instid0(VALU_DEP_4) | instskip(SKIP_2) | instid1(VALU_DEP_3)
	v_add_co_u32 v90, vcc_lo, s0, v11
	s_wait_alu 0xfffd
	v_add_co_ci_u32_e64 v91, null, s1, v12, vcc_lo
	v_lshlrev_b64_e32 v[11:12], 3, v[22:23]
	v_add_nc_u32_e32 v22, s11, v22
	v_ashrrev_i32_e32 v17, 31, v16
	s_clause 0x4
	global_load_b64 v[1:2], v13, s[0:1]
	global_load_b64 v[3:4], v[26:27], off
	global_load_b64 v[5:6], v[28:29], off
	;; [unrolled: 1-line block ×4, first 2 shown]
	s_bitcmp0_b32 s4, 0
	v_ashrrev_i32_e32 v23, 31, v22
	v_lshlrev_b64_e32 v[14:15], 3, v[16:17]
	s_delay_alu instid0(VALU_DEP_2) | instskip(SKIP_1) | instid1(VALU_DEP_3)
	v_lshlrev_b64_e32 v[96:97], 3, v[22:23]
	v_add_nc_u32_e32 v22, s11, v22
	v_add_co_u32 v92, vcc_lo, s0, v14
	s_wait_alu 0xfffd
	s_delay_alu instid0(VALU_DEP_4) | instskip(NEXT) | instid1(VALU_DEP_3)
	v_add_co_ci_u32_e64 v93, null, s1, v15, vcc_lo
	v_add_nc_u32_e32 v98, s11, v22
	v_ashrrev_i32_e32 v23, 31, v22
	v_add_co_u32 v94, vcc_lo, s0, v11
	s_wait_alu 0xfffd
	v_add_co_ci_u32_e64 v95, null, s1, v12, vcc_lo
	v_add_nc_u32_e32 v100, s11, v98
	v_lshlrev_b64_e32 v[22:23], 3, v[22:23]
	v_ashrrev_i32_e32 v99, 31, v98
	v_add_co_u32 v96, vcc_lo, s0, v96
	s_delay_alu instid0(VALU_DEP_4)
	v_add_nc_u32_e32 v104, s11, v100
	v_ashrrev_i32_e32 v101, 31, v100
	s_wait_alu 0xfffd
	v_add_co_ci_u32_e64 v97, null, s1, v97, vcc_lo
	v_lshlrev_b64_e32 v[102:103], 3, v[98:99]
	v_ashrrev_i32_e32 v105, 31, v104
	v_add_co_u32 v98, vcc_lo, s0, v22
	s_wait_alu 0xfffd
	v_add_co_ci_u32_e64 v99, null, s1, v23, vcc_lo
	v_lshlrev_b64_e32 v[22:23], 3, v[100:101]
	v_lshlrev_b64_e32 v[104:105], 3, v[104:105]
	v_add_co_u32 v100, vcc_lo, s0, v102
	s_wait_alu 0xfffd
	v_add_co_ci_u32_e64 v101, null, s1, v103, vcc_lo
	s_delay_alu instid0(VALU_DEP_4)
	v_add_co_u32 v102, vcc_lo, s0, v22
	s_wait_alu 0xfffd
	v_add_co_ci_u32_e64 v103, null, s1, v23, vcc_lo
	v_add_co_u32 v104, vcc_lo, s0, v104
	s_wait_alu 0xfffd
	v_add_co_ci_u32_e64 v105, null, s1, v105, vcc_lo
	s_clause 0x1f
	global_load_b64 v[11:12], v[34:35], off
	global_load_b64 v[14:15], v[36:37], off
	;; [unrolled: 1-line block ×32, first 2 shown]
	s_clause 0x3
	global_load_b64 v[160:161], v[98:99], off
	global_load_b64 v[162:163], v[100:101], off
	;; [unrolled: 1-line block ×4, first 2 shown]
	s_mov_b32 s1, -1
	s_wait_loadcnt 0x27
	scratch_store_b128 off, v[1:4], off
	s_wait_loadcnt 0x25
	scratch_store_b128 off, v[5:8], off offset:16
	s_wait_loadcnt 0x23
	scratch_store_b128 off, v[9:12], off offset:32
	;; [unrolled: 2-line block ×19, first 2 shown]
	s_wait_loadcnt 0x0
	scratch_store_b64 off, v[22:23], off offset:320
	s_cbranch_scc1 .LBB40_176
; %bb.4:
	v_cmp_eq_u32_e64 s0, 0, v0
	s_and_saveexec_b32 s1, s0
; %bb.5:
	v_mov_b32_e32 v1, 0
	ds_store_b32 v1, v1 offset:328
; %bb.6:
	s_wait_alu 0xfffe
	s_or_b32 exec_lo, exec_lo, s1
	s_wait_storecnt_dscnt 0x0
	s_barrier_signal -1
	s_barrier_wait -1
	global_inv scope:SCOPE_SE
	scratch_load_b64 v[1:2], v13, off
	s_wait_loadcnt 0x0
	v_cmp_eq_f32_e32 vcc_lo, 0, v1
	v_cmp_eq_f32_e64 s1, 0, v2
	s_and_b32 s1, vcc_lo, s1
	s_wait_alu 0xfffe
	s_and_saveexec_b32 s4, s1
	s_cbranch_execz .LBB40_10
; %bb.7:
	v_mov_b32_e32 v1, 0
	s_mov_b32 s5, 0
	ds_load_b32 v2, v1 offset:328
	s_wait_dscnt 0x0
	v_readfirstlane_b32 s1, v2
	v_add_nc_u32_e32 v2, 1, v0
	s_cmp_eq_u32 s1, 0
	s_delay_alu instid0(VALU_DEP_1)
	v_cmp_gt_i32_e32 vcc_lo, s1, v2
	s_cselect_b32 s8, -1, 0
	s_wait_alu 0xfffe
	s_or_b32 s8, s8, vcc_lo
	s_wait_alu 0xfffe
	s_and_b32 exec_lo, exec_lo, s8
	s_cbranch_execz .LBB40_10
; %bb.8:
	v_mov_b32_e32 v3, s1
.LBB40_9:                               ; =>This Inner Loop Header: Depth=1
	ds_cmpstore_rtn_b32 v3, v1, v2, v3 offset:328
	s_wait_dscnt 0x0
	v_cmp_ne_u32_e32 vcc_lo, 0, v3
	v_cmp_le_i32_e64 s1, v3, v2
	s_and_b32 s1, vcc_lo, s1
	s_wait_alu 0xfffe
	s_and_b32 s1, exec_lo, s1
	s_wait_alu 0xfffe
	s_or_b32 s5, s1, s5
	s_wait_alu 0xfffe
	s_and_not1_b32 exec_lo, exec_lo, s5
	s_cbranch_execnz .LBB40_9
.LBB40_10:
	s_wait_alu 0xfffe
	s_or_b32 exec_lo, exec_lo, s4
	v_mov_b32_e32 v1, 0
	s_barrier_signal -1
	s_barrier_wait -1
	global_inv scope:SCOPE_SE
	ds_load_b32 v2, v1 offset:328
	s_and_saveexec_b32 s1, s0
	s_cbranch_execz .LBB40_12
; %bb.11:
	s_lshl_b64 s[4:5], s[16:17], 2
	s_wait_alu 0xfffe
	s_add_nc_u64 s[4:5], s[6:7], s[4:5]
	s_wait_dscnt 0x0
	global_store_b32 v1, v2, s[4:5]
.LBB40_12:
	s_wait_alu 0xfffe
	s_or_b32 exec_lo, exec_lo, s1
	s_wait_dscnt 0x0
	v_cmp_ne_u32_e32 vcc_lo, 0, v2
	s_mov_b32 s1, 0
	s_cbranch_vccnz .LBB40_176
; %bb.13:
	v_mov_b32_e32 v7, v13
                                        ; implicit-def: $vgpr3
                                        ; implicit-def: $vgpr5
	scratch_load_b64 v[1:2], v7, off
	s_wait_loadcnt 0x0
	v_cmp_ngt_f32_e64 s1, |v1|, |v2|
	s_wait_alu 0xfffe
	s_and_saveexec_b32 s4, s1
	s_wait_alu 0xfffe
	s_xor_b32 s1, exec_lo, s4
	s_cbranch_execz .LBB40_15
; %bb.14:
	v_div_scale_f32 v3, null, v2, v2, v1
	v_div_scale_f32 v6, vcc_lo, v1, v2, v1
	s_delay_alu instid0(VALU_DEP_2) | instskip(NEXT) | instid1(TRANS32_DEP_1)
	v_rcp_f32_e32 v4, v3
	v_fma_f32 v5, -v3, v4, 1.0
	s_delay_alu instid0(VALU_DEP_1) | instskip(NEXT) | instid1(VALU_DEP_1)
	v_fmac_f32_e32 v4, v5, v4
	v_mul_f32_e32 v5, v6, v4
	s_delay_alu instid0(VALU_DEP_1) | instskip(NEXT) | instid1(VALU_DEP_1)
	v_fma_f32 v8, -v3, v5, v6
	v_fmac_f32_e32 v5, v8, v4
	s_delay_alu instid0(VALU_DEP_1) | instskip(SKIP_1) | instid1(VALU_DEP_1)
	v_fma_f32 v3, -v3, v5, v6
	s_wait_alu 0xfffd
	v_div_fmas_f32 v3, v3, v4, v5
	s_delay_alu instid0(VALU_DEP_1) | instskip(NEXT) | instid1(VALU_DEP_1)
	v_div_fixup_f32 v3, v3, v2, v1
	v_fmac_f32_e32 v2, v1, v3
	s_delay_alu instid0(VALU_DEP_1) | instskip(NEXT) | instid1(VALU_DEP_1)
	v_div_scale_f32 v1, null, v2, v2, 1.0
	v_rcp_f32_e32 v4, v1
	s_delay_alu instid0(TRANS32_DEP_1) | instskip(NEXT) | instid1(VALU_DEP_1)
	v_fma_f32 v5, -v1, v4, 1.0
	v_fmac_f32_e32 v4, v5, v4
	v_div_scale_f32 v5, vcc_lo, 1.0, v2, 1.0
	s_delay_alu instid0(VALU_DEP_1) | instskip(NEXT) | instid1(VALU_DEP_1)
	v_mul_f32_e32 v6, v5, v4
	v_fma_f32 v8, -v1, v6, v5
	s_delay_alu instid0(VALU_DEP_1) | instskip(NEXT) | instid1(VALU_DEP_1)
	v_fmac_f32_e32 v6, v8, v4
	v_fma_f32 v1, -v1, v6, v5
	s_wait_alu 0xfffd
	s_delay_alu instid0(VALU_DEP_1) | instskip(NEXT) | instid1(VALU_DEP_1)
	v_div_fmas_f32 v1, v1, v4, v6
	v_div_fixup_f32 v1, v1, v2, 1.0
	s_delay_alu instid0(VALU_DEP_1) | instskip(SKIP_1) | instid1(VALU_DEP_2)
	v_mul_f32_e32 v3, v3, v1
	v_xor_b32_e32 v4, 0x80000000, v1
                                        ; implicit-def: $vgpr1_vgpr2
	v_xor_b32_e32 v5, 0x80000000, v3
.LBB40_15:
	s_wait_alu 0xfffe
	s_and_not1_saveexec_b32 s1, s1
	s_cbranch_execz .LBB40_17
; %bb.16:
	v_div_scale_f32 v3, null, v1, v1, v2
	v_div_scale_f32 v6, vcc_lo, v2, v1, v2
	s_delay_alu instid0(VALU_DEP_2) | instskip(NEXT) | instid1(TRANS32_DEP_1)
	v_rcp_f32_e32 v4, v3
	v_fma_f32 v5, -v3, v4, 1.0
	s_delay_alu instid0(VALU_DEP_1) | instskip(NEXT) | instid1(VALU_DEP_1)
	v_fmac_f32_e32 v4, v5, v4
	v_mul_f32_e32 v5, v6, v4
	s_delay_alu instid0(VALU_DEP_1) | instskip(NEXT) | instid1(VALU_DEP_1)
	v_fma_f32 v8, -v3, v5, v6
	v_fmac_f32_e32 v5, v8, v4
	s_delay_alu instid0(VALU_DEP_1) | instskip(SKIP_1) | instid1(VALU_DEP_1)
	v_fma_f32 v3, -v3, v5, v6
	s_wait_alu 0xfffd
	v_div_fmas_f32 v3, v3, v4, v5
	s_delay_alu instid0(VALU_DEP_1) | instskip(NEXT) | instid1(VALU_DEP_1)
	v_div_fixup_f32 v4, v3, v1, v2
	v_fmac_f32_e32 v1, v2, v4
	s_delay_alu instid0(VALU_DEP_1) | instskip(SKIP_1) | instid1(VALU_DEP_2)
	v_div_scale_f32 v2, null, v1, v1, 1.0
	v_div_scale_f32 v6, vcc_lo, 1.0, v1, 1.0
	v_rcp_f32_e32 v3, v2
	s_delay_alu instid0(TRANS32_DEP_1) | instskip(NEXT) | instid1(VALU_DEP_1)
	v_fma_f32 v5, -v2, v3, 1.0
	v_fmac_f32_e32 v3, v5, v3
	s_delay_alu instid0(VALU_DEP_1) | instskip(NEXT) | instid1(VALU_DEP_1)
	v_mul_f32_e32 v5, v6, v3
	v_fma_f32 v8, -v2, v5, v6
	s_delay_alu instid0(VALU_DEP_1) | instskip(NEXT) | instid1(VALU_DEP_1)
	v_fmac_f32_e32 v5, v8, v3
	v_fma_f32 v2, -v2, v5, v6
	s_wait_alu 0xfffd
	s_delay_alu instid0(VALU_DEP_1) | instskip(NEXT) | instid1(VALU_DEP_1)
	v_div_fmas_f32 v2, v2, v3, v5
	v_div_fixup_f32 v3, v2, v1, 1.0
	s_delay_alu instid0(VALU_DEP_1)
	v_xor_b32_e32 v5, 0x80000000, v3
	v_mul_f32_e64 v4, v4, -v3
.LBB40_17:
	s_wait_alu 0xfffe
	s_or_b32 exec_lo, exec_lo, s1
	scratch_store_b64 v7, v[3:4], off
	scratch_load_b64 v[2:3], off, off offset:8
	v_xor_b32_e32 v6, 0x80000000, v4
	v_add_nc_u32_e32 v1, 0x150, v13
	s_wait_loadcnt 0x0
	ds_store_2addr_b64 v13, v[5:6], v[2:3] offset1:42
	s_wait_storecnt_dscnt 0x0
	s_barrier_signal -1
	s_barrier_wait -1
	global_inv scope:SCOPE_SE
	s_and_saveexec_b32 s1, s0
	s_cbranch_execz .LBB40_19
; %bb.18:
	scratch_load_b64 v[2:3], v7, off
	ds_load_b64 v[4:5], v1
	v_mov_b32_e32 v6, 0
	ds_load_b64 v[8:9], v6 offset:8
	s_wait_loadcnt_dscnt 0x1
	v_mul_f32_e32 v6, v4, v3
	v_mul_f32_e32 v3, v5, v3
	s_delay_alu instid0(VALU_DEP_2) | instskip(NEXT) | instid1(VALU_DEP_2)
	v_fmac_f32_e32 v6, v5, v2
	v_fma_f32 v2, v4, v2, -v3
	s_delay_alu instid0(VALU_DEP_2) | instskip(SKIP_1) | instid1(VALU_DEP_1)
	v_add_f32_e32 v4, 0, v6
	s_wait_dscnt 0x0
	v_dual_add_f32 v2, 0, v2 :: v_dual_mul_f32 v5, v4, v9
	s_delay_alu instid0(VALU_DEP_1) | instskip(NEXT) | instid1(VALU_DEP_1)
	v_mul_f32_e32 v3, v2, v9
	v_fmac_f32_e32 v3, v4, v8
	s_delay_alu instid0(VALU_DEP_3)
	v_fma_f32 v2, v2, v8, -v5
	scratch_store_b64 off, v[2:3], off offset:8
.LBB40_19:
	s_wait_alu 0xfffe
	s_or_b32 exec_lo, exec_lo, s1
	s_wait_loadcnt 0x0
	s_wait_storecnt 0x0
	s_barrier_signal -1
	s_barrier_wait -1
	global_inv scope:SCOPE_SE
	scratch_load_b64 v[2:3], off, off offset:16
	s_mov_b32 s1, exec_lo
	s_wait_loadcnt 0x0
	ds_store_b64 v1, v[2:3]
	s_wait_dscnt 0x0
	s_barrier_signal -1
	s_barrier_wait -1
	global_inv scope:SCOPE_SE
	v_cmpx_gt_u32_e32 2, v0
	s_cbranch_execz .LBB40_23
; %bb.20:
	scratch_load_b64 v[2:3], v7, off
	ds_load_b64 v[4:5], v1
	s_wait_loadcnt_dscnt 0x0
	v_mul_f32_e32 v6, v5, v3
	v_mul_f32_e32 v8, v4, v3
	s_delay_alu instid0(VALU_DEP_2) | instskip(NEXT) | instid1(VALU_DEP_1)
	v_fma_f32 v3, v4, v2, -v6
	v_dual_fmac_f32 v8, v5, v2 :: v_dual_add_f32 v3, 0, v3
	s_delay_alu instid0(VALU_DEP_1)
	v_add_f32_e32 v2, 0, v8
	s_and_saveexec_b32 s4, s0
	s_cbranch_execz .LBB40_22
; %bb.21:
	scratch_load_b64 v[4:5], off, off offset:8
	v_mov_b32_e32 v6, 0
	ds_load_b64 v[8:9], v6 offset:344
	s_wait_loadcnt_dscnt 0x0
	v_mul_f32_e32 v6, v8, v5
	v_mul_f32_e32 v5, v9, v5
	s_delay_alu instid0(VALU_DEP_2) | instskip(NEXT) | instid1(VALU_DEP_2)
	v_fmac_f32_e32 v6, v9, v4
	v_fma_f32 v4, v8, v4, -v5
	s_delay_alu instid0(VALU_DEP_1)
	v_dual_add_f32 v2, v2, v6 :: v_dual_add_f32 v3, v3, v4
.LBB40_22:
	s_wait_alu 0xfffe
	s_or_b32 exec_lo, exec_lo, s4
	v_mov_b32_e32 v4, 0
	ds_load_b64 v[4:5], v4 offset:16
	s_wait_dscnt 0x0
	v_mul_f32_e32 v8, v2, v5
	v_mul_f32_e32 v6, v3, v5
	s_delay_alu instid0(VALU_DEP_2) | instskip(NEXT) | instid1(VALU_DEP_2)
	v_fma_f32 v5, v3, v4, -v8
	v_fmac_f32_e32 v6, v2, v4
	scratch_store_b64 off, v[5:6], off offset:16
.LBB40_23:
	s_wait_alu 0xfffe
	s_or_b32 exec_lo, exec_lo, s1
	s_wait_loadcnt 0x0
	s_wait_storecnt 0x0
	s_barrier_signal -1
	s_barrier_wait -1
	global_inv scope:SCOPE_SE
	scratch_load_b64 v[3:4], off, off offset:24
	v_add_nc_u32_e32 v2, -1, v0
	s_mov_b32 s0, exec_lo
	s_wait_loadcnt 0x0
	ds_store_b64 v1, v[3:4]
	s_wait_dscnt 0x0
	s_barrier_signal -1
	s_barrier_wait -1
	global_inv scope:SCOPE_SE
	v_cmpx_gt_u32_e32 3, v0
	s_cbranch_execz .LBB40_27
; %bb.24:
	v_dual_mov_b32 v3, 0 :: v_dual_add_nc_u32 v4, -1, v0
	v_dual_mov_b32 v6, v13 :: v_dual_add_nc_u32 v5, 0x150, v13
	v_mov_b32_e32 v8, 0
	s_mov_b32 s1, 0
.LBB40_25:                              ; =>This Inner Loop Header: Depth=1
	scratch_load_b64 v[9:10], v6, off
	ds_load_b64 v[11:12], v5
	v_add_nc_u32_e32 v6, 8, v6
	s_wait_loadcnt_dscnt 0x0
	v_dual_mul_f32 v14, v12, v10 :: v_dual_add_nc_u32 v5, 8, v5
	v_mul_f32_e32 v10, v11, v10
	s_delay_alu instid0(VALU_DEP_2) | instskip(NEXT) | instid1(VALU_DEP_2)
	v_fma_f32 v11, v11, v9, -v14
	v_fmac_f32_e32 v10, v12, v9
	v_add_nc_u32_e32 v4, 1, v4
	s_delay_alu instid0(VALU_DEP_2) | instskip(NEXT) | instid1(VALU_DEP_2)
	v_dual_add_f32 v8, v8, v11 :: v_dual_add_f32 v3, v3, v10
	v_cmp_lt_u32_e32 vcc_lo, 1, v4
	s_wait_alu 0xfffe
	s_or_b32 s1, vcc_lo, s1
	s_wait_alu 0xfffe
	s_and_not1_b32 exec_lo, exec_lo, s1
	s_cbranch_execnz .LBB40_25
; %bb.26:
	s_or_b32 exec_lo, exec_lo, s1
	v_mov_b32_e32 v4, 0
	ds_load_b64 v[4:5], v4 offset:24
	s_wait_dscnt 0x0
	v_mul_f32_e32 v9, v3, v5
	v_mul_f32_e32 v6, v8, v5
	s_delay_alu instid0(VALU_DEP_2) | instskip(NEXT) | instid1(VALU_DEP_2)
	v_fma_f32 v5, v8, v4, -v9
	v_fmac_f32_e32 v6, v3, v4
	scratch_store_b64 off, v[5:6], off offset:24
.LBB40_27:
	s_wait_alu 0xfffe
	s_or_b32 exec_lo, exec_lo, s0
	s_wait_loadcnt 0x0
	s_wait_storecnt 0x0
	s_barrier_signal -1
	s_barrier_wait -1
	global_inv scope:SCOPE_SE
	scratch_load_b64 v[3:4], off, off offset:32
	s_mov_b32 s0, exec_lo
	s_wait_loadcnt 0x0
	ds_store_b64 v1, v[3:4]
	s_wait_dscnt 0x0
	s_barrier_signal -1
	s_barrier_wait -1
	global_inv scope:SCOPE_SE
	v_cmpx_gt_u32_e32 4, v0
	s_cbranch_execz .LBB40_31
; %bb.28:
	v_dual_mov_b32 v3, 0 :: v_dual_add_nc_u32 v4, -1, v0
	v_dual_mov_b32 v6, v13 :: v_dual_add_nc_u32 v5, 0x150, v13
	v_mov_b32_e32 v8, 0
	s_mov_b32 s1, 0
.LBB40_29:                              ; =>This Inner Loop Header: Depth=1
	scratch_load_b64 v[9:10], v6, off
	ds_load_b64 v[11:12], v5
	v_add_nc_u32_e32 v6, 8, v6
	s_wait_loadcnt_dscnt 0x0
	v_dual_mul_f32 v14, v12, v10 :: v_dual_add_nc_u32 v5, 8, v5
	v_mul_f32_e32 v10, v11, v10
	s_delay_alu instid0(VALU_DEP_2) | instskip(NEXT) | instid1(VALU_DEP_2)
	v_fma_f32 v11, v11, v9, -v14
	v_fmac_f32_e32 v10, v12, v9
	v_add_nc_u32_e32 v4, 1, v4
	s_delay_alu instid0(VALU_DEP_2) | instskip(NEXT) | instid1(VALU_DEP_2)
	v_dual_add_f32 v8, v8, v11 :: v_dual_add_f32 v3, v3, v10
	v_cmp_lt_u32_e32 vcc_lo, 2, v4
	s_wait_alu 0xfffe
	s_or_b32 s1, vcc_lo, s1
	s_wait_alu 0xfffe
	s_and_not1_b32 exec_lo, exec_lo, s1
	s_cbranch_execnz .LBB40_29
; %bb.30:
	s_or_b32 exec_lo, exec_lo, s1
	v_mov_b32_e32 v4, 0
	ds_load_b64 v[4:5], v4 offset:32
	s_wait_dscnt 0x0
	v_mul_f32_e32 v9, v3, v5
	v_mul_f32_e32 v6, v8, v5
	s_delay_alu instid0(VALU_DEP_2) | instskip(NEXT) | instid1(VALU_DEP_2)
	v_fma_f32 v5, v8, v4, -v9
	v_fmac_f32_e32 v6, v3, v4
	scratch_store_b64 off, v[5:6], off offset:32
.LBB40_31:
	s_wait_alu 0xfffe
	s_or_b32 exec_lo, exec_lo, s0
	s_wait_loadcnt 0x0
	s_wait_storecnt 0x0
	s_barrier_signal -1
	s_barrier_wait -1
	global_inv scope:SCOPE_SE
	scratch_load_b64 v[3:4], off, off offset:40
	;; [unrolled: 53-line block ×19, first 2 shown]
	s_mov_b32 s0, exec_lo
	s_wait_loadcnt 0x0
	ds_store_b64 v1, v[3:4]
	s_wait_dscnt 0x0
	s_barrier_signal -1
	s_barrier_wait -1
	global_inv scope:SCOPE_SE
	v_cmpx_gt_u32_e32 22, v0
	s_cbranch_execz .LBB40_103
; %bb.100:
	v_dual_mov_b32 v3, 0 :: v_dual_add_nc_u32 v4, -1, v0
	v_dual_mov_b32 v6, v13 :: v_dual_add_nc_u32 v5, 0x150, v13
	v_mov_b32_e32 v8, 0
	s_mov_b32 s1, 0
.LBB40_101:                             ; =>This Inner Loop Header: Depth=1
	scratch_load_b64 v[9:10], v6, off
	ds_load_b64 v[11:12], v5
	v_add_nc_u32_e32 v6, 8, v6
	s_wait_loadcnt_dscnt 0x0
	v_dual_mul_f32 v14, v12, v10 :: v_dual_add_nc_u32 v5, 8, v5
	v_mul_f32_e32 v10, v11, v10
	s_delay_alu instid0(VALU_DEP_2) | instskip(NEXT) | instid1(VALU_DEP_2)
	v_fma_f32 v11, v11, v9, -v14
	v_fmac_f32_e32 v10, v12, v9
	v_add_nc_u32_e32 v4, 1, v4
	s_delay_alu instid0(VALU_DEP_2) | instskip(NEXT) | instid1(VALU_DEP_2)
	v_dual_add_f32 v8, v8, v11 :: v_dual_add_f32 v3, v3, v10
	v_cmp_lt_u32_e32 vcc_lo, 20, v4
	s_wait_alu 0xfffe
	s_or_b32 s1, vcc_lo, s1
	s_wait_alu 0xfffe
	s_and_not1_b32 exec_lo, exec_lo, s1
	s_cbranch_execnz .LBB40_101
; %bb.102:
	s_or_b32 exec_lo, exec_lo, s1
	v_mov_b32_e32 v4, 0
	ds_load_b64 v[4:5], v4 offset:176
	s_wait_dscnt 0x0
	v_mul_f32_e32 v9, v3, v5
	v_mul_f32_e32 v6, v8, v5
	s_delay_alu instid0(VALU_DEP_2) | instskip(NEXT) | instid1(VALU_DEP_2)
	v_fma_f32 v5, v8, v4, -v9
	v_fmac_f32_e32 v6, v3, v4
	scratch_store_b64 off, v[5:6], off offset:176
.LBB40_103:
	s_wait_alu 0xfffe
	s_or_b32 exec_lo, exec_lo, s0
	s_wait_loadcnt 0x0
	s_wait_storecnt 0x0
	s_barrier_signal -1
	s_barrier_wait -1
	global_inv scope:SCOPE_SE
	scratch_load_b64 v[3:4], off, off offset:184
	s_mov_b32 s0, exec_lo
	s_wait_loadcnt 0x0
	ds_store_b64 v1, v[3:4]
	s_wait_dscnt 0x0
	s_barrier_signal -1
	s_barrier_wait -1
	global_inv scope:SCOPE_SE
	v_cmpx_gt_u32_e32 23, v0
	s_cbranch_execz .LBB40_107
; %bb.104:
	v_dual_mov_b32 v3, 0 :: v_dual_add_nc_u32 v4, -1, v0
	v_dual_mov_b32 v6, v13 :: v_dual_add_nc_u32 v5, 0x150, v13
	v_mov_b32_e32 v8, 0
	s_mov_b32 s1, 0
.LBB40_105:                             ; =>This Inner Loop Header: Depth=1
	scratch_load_b64 v[9:10], v6, off
	ds_load_b64 v[11:12], v5
	v_add_nc_u32_e32 v6, 8, v6
	s_wait_loadcnt_dscnt 0x0
	v_dual_mul_f32 v14, v12, v10 :: v_dual_add_nc_u32 v5, 8, v5
	v_mul_f32_e32 v10, v11, v10
	s_delay_alu instid0(VALU_DEP_2) | instskip(NEXT) | instid1(VALU_DEP_2)
	v_fma_f32 v11, v11, v9, -v14
	v_fmac_f32_e32 v10, v12, v9
	v_add_nc_u32_e32 v4, 1, v4
	s_delay_alu instid0(VALU_DEP_2) | instskip(NEXT) | instid1(VALU_DEP_2)
	v_dual_add_f32 v8, v8, v11 :: v_dual_add_f32 v3, v3, v10
	v_cmp_lt_u32_e32 vcc_lo, 21, v4
	s_wait_alu 0xfffe
	s_or_b32 s1, vcc_lo, s1
	s_wait_alu 0xfffe
	s_and_not1_b32 exec_lo, exec_lo, s1
	s_cbranch_execnz .LBB40_105
; %bb.106:
	s_or_b32 exec_lo, exec_lo, s1
	v_mov_b32_e32 v4, 0
	ds_load_b64 v[4:5], v4 offset:184
	s_wait_dscnt 0x0
	v_mul_f32_e32 v9, v3, v5
	v_mul_f32_e32 v6, v8, v5
	s_delay_alu instid0(VALU_DEP_2) | instskip(NEXT) | instid1(VALU_DEP_2)
	v_fma_f32 v5, v8, v4, -v9
	v_fmac_f32_e32 v6, v3, v4
	scratch_store_b64 off, v[5:6], off offset:184
.LBB40_107:
	s_wait_alu 0xfffe
	s_or_b32 exec_lo, exec_lo, s0
	s_wait_loadcnt 0x0
	s_wait_storecnt 0x0
	s_barrier_signal -1
	s_barrier_wait -1
	global_inv scope:SCOPE_SE
	scratch_load_b64 v[3:4], off, off offset:192
	;; [unrolled: 53-line block ×17, first 2 shown]
	s_mov_b32 s0, exec_lo
	s_wait_loadcnt 0x0
	ds_store_b64 v1, v[3:4]
	s_wait_dscnt 0x0
	s_barrier_signal -1
	s_barrier_wait -1
	global_inv scope:SCOPE_SE
	v_cmpx_gt_u32_e32 39, v0
	s_cbranch_execz .LBB40_171
; %bb.168:
	v_dual_mov_b32 v3, 0 :: v_dual_add_nc_u32 v4, -1, v0
	v_dual_mov_b32 v6, v13 :: v_dual_add_nc_u32 v5, 0x150, v13
	v_mov_b32_e32 v8, 0
	s_mov_b32 s1, 0
.LBB40_169:                             ; =>This Inner Loop Header: Depth=1
	scratch_load_b64 v[9:10], v6, off
	ds_load_b64 v[11:12], v5
	v_add_nc_u32_e32 v6, 8, v6
	v_add_nc_u32_e32 v4, 1, v4
	;; [unrolled: 1-line block ×3, first 2 shown]
	s_delay_alu instid0(VALU_DEP_2)
	v_cmp_lt_u32_e32 vcc_lo, 37, v4
	s_wait_alu 0xfffe
	s_or_b32 s1, vcc_lo, s1
	s_wait_loadcnt_dscnt 0x0
	v_mul_f32_e32 v13, v12, v10
	v_mul_f32_e32 v10, v11, v10
	s_delay_alu instid0(VALU_DEP_2) | instskip(NEXT) | instid1(VALU_DEP_2)
	v_fma_f32 v11, v11, v9, -v13
	v_fmac_f32_e32 v10, v12, v9
	s_delay_alu instid0(VALU_DEP_1)
	v_dual_add_f32 v8, v8, v11 :: v_dual_add_f32 v3, v3, v10
	s_wait_alu 0xfffe
	s_and_not1_b32 exec_lo, exec_lo, s1
	s_cbranch_execnz .LBB40_169
; %bb.170:
	s_or_b32 exec_lo, exec_lo, s1
	v_mov_b32_e32 v4, 0
	ds_load_b64 v[4:5], v4 offset:312
	s_wait_dscnt 0x0
	v_mul_f32_e32 v9, v3, v5
	v_mul_f32_e32 v6, v8, v5
	s_delay_alu instid0(VALU_DEP_2) | instskip(NEXT) | instid1(VALU_DEP_2)
	v_fma_f32 v5, v8, v4, -v9
	v_fmac_f32_e32 v6, v3, v4
	scratch_store_b64 off, v[5:6], off offset:312
.LBB40_171:
	s_wait_alu 0xfffe
	s_or_b32 exec_lo, exec_lo, s0
	s_wait_loadcnt 0x0
	s_wait_storecnt 0x0
	s_barrier_signal -1
	s_barrier_wait -1
	global_inv scope:SCOPE_SE
	scratch_load_b64 v[3:4], off, off offset:320
	s_mov_b32 s0, exec_lo
	s_wait_loadcnt 0x0
	ds_store_b64 v1, v[3:4]
	s_wait_dscnt 0x0
	s_barrier_signal -1
	s_barrier_wait -1
	global_inv scope:SCOPE_SE
	v_cmpx_ne_u32_e32 40, v0
	s_cbranch_execz .LBB40_175
; %bb.172:
	v_dual_mov_b32 v3, 0 :: v_dual_mov_b32 v4, 0
	s_mov_b32 s1, 0
.LBB40_173:                             ; =>This Inner Loop Header: Depth=1
	scratch_load_b64 v[5:6], v7, off
	ds_load_b64 v[8:9], v1
	v_add_nc_u32_e32 v2, 1, v2
	v_add_nc_u32_e32 v1, 8, v1
	;; [unrolled: 1-line block ×3, first 2 shown]
	s_delay_alu instid0(VALU_DEP_3)
	v_cmp_lt_u32_e32 vcc_lo, 38, v2
	s_wait_alu 0xfffe
	s_or_b32 s1, vcc_lo, s1
	s_wait_loadcnt_dscnt 0x0
	v_mul_f32_e32 v10, v9, v6
	v_mul_f32_e32 v6, v8, v6
	s_delay_alu instid0(VALU_DEP_2) | instskip(NEXT) | instid1(VALU_DEP_2)
	v_fma_f32 v8, v8, v5, -v10
	v_fmac_f32_e32 v6, v9, v5
	s_delay_alu instid0(VALU_DEP_1)
	v_dual_add_f32 v4, v4, v8 :: v_dual_add_f32 v3, v3, v6
	s_wait_alu 0xfffe
	s_and_not1_b32 exec_lo, exec_lo, s1
	s_cbranch_execnz .LBB40_173
; %bb.174:
	s_or_b32 exec_lo, exec_lo, s1
	v_mov_b32_e32 v1, 0
	ds_load_b64 v[1:2], v1 offset:320
	s_wait_dscnt 0x0
	v_mul_f32_e32 v6, v3, v2
	v_mul_f32_e32 v5, v4, v2
	s_delay_alu instid0(VALU_DEP_2) | instskip(NEXT) | instid1(VALU_DEP_2)
	v_fma_f32 v4, v4, v1, -v6
	v_fmac_f32_e32 v5, v3, v1
	scratch_store_b64 off, v[4:5], off offset:320
.LBB40_175:
	s_wait_alu 0xfffe
	s_or_b32 exec_lo, exec_lo, s0
	s_mov_b32 s1, -1
	s_wait_loadcnt 0x0
	s_wait_storecnt 0x0
	s_barrier_signal -1
	s_barrier_wait -1
	global_inv scope:SCOPE_SE
.LBB40_176:
	s_wait_alu 0xfffe
	s_and_b32 vcc_lo, exec_lo, s1
	s_wait_alu 0xfffe
	s_cbranch_vccz .LBB40_178
; %bb.177:
	v_mov_b32_e32 v1, 0
	s_lshl_b64 s[0:1], s[16:17], 2
	s_wait_alu 0xfffe
	s_add_nc_u64 s[0:1], s[6:7], s[0:1]
	global_load_b32 v1, v1, s[0:1]
	s_wait_loadcnt 0x0
	v_cmp_ne_u32_e32 vcc_lo, 0, v1
	s_cbranch_vccz .LBB40_179
.LBB40_178:
	s_nop 0
	s_sendmsg sendmsg(MSG_DEALLOC_VGPRS)
	s_endpgm
.LBB40_179:
	v_lshl_add_u32 v23, v0, 3, 0x150
	s_mov_b32 s0, exec_lo
	v_cmpx_eq_u32_e32 40, v0
	s_cbranch_execz .LBB40_181
; %bb.180:
	scratch_load_b64 v[1:2], off, off offset:312
	v_mov_b32_e32 v3, 0
	s_delay_alu instid0(VALU_DEP_1)
	v_mov_b32_e32 v4, v3
	scratch_store_b64 off, v[3:4], off offset:312
	s_wait_loadcnt 0x0
	ds_store_b64 v23, v[1:2]
.LBB40_181:
	s_wait_alu 0xfffe
	s_or_b32 exec_lo, exec_lo, s0
	s_wait_storecnt_dscnt 0x0
	s_barrier_signal -1
	s_barrier_wait -1
	global_inv scope:SCOPE_SE
	s_clause 0x1
	scratch_load_b64 v[2:3], off, off offset:320
	scratch_load_b64 v[4:5], off, off offset:312
	v_mov_b32_e32 v1, 0
	s_mov_b32 s0, exec_lo
	ds_load_b64 v[6:7], v1 offset:656
	s_wait_loadcnt_dscnt 0x100
	v_mul_f32_e32 v8, v7, v3
	v_mul_f32_e32 v3, v6, v3
	s_delay_alu instid0(VALU_DEP_2) | instskip(NEXT) | instid1(VALU_DEP_2)
	v_fma_f32 v6, v6, v2, -v8
	v_fmac_f32_e32 v3, v7, v2
	s_delay_alu instid0(VALU_DEP_1) | instskip(SKIP_1) | instid1(VALU_DEP_1)
	v_dual_add_f32 v2, 0, v6 :: v_dual_add_f32 v3, 0, v3
	s_wait_loadcnt 0x0
	v_dual_sub_f32 v2, v4, v2 :: v_dual_sub_f32 v3, v5, v3
	scratch_store_b64 off, v[2:3], off offset:312
	v_cmpx_lt_u32_e32 38, v0
	s_cbranch_execz .LBB40_183
; %bb.182:
	scratch_load_b64 v[3:4], off, off offset:304
	v_mov_b32_e32 v2, v1
	scratch_store_b64 off, v[1:2], off offset:304
	s_wait_loadcnt 0x0
	ds_store_b64 v23, v[3:4]
.LBB40_183:
	s_wait_alu 0xfffe
	s_or_b32 exec_lo, exec_lo, s0
	s_wait_storecnt_dscnt 0x0
	s_barrier_signal -1
	s_barrier_wait -1
	global_inv scope:SCOPE_SE
	s_clause 0x1
	scratch_load_b128 v[2:5], off, off offset:312
	scratch_load_b64 v[10:11], off, off offset:304
	ds_load_2addr_b64 v[6:9], v1 offset0:81 offset1:82
	s_mov_b32 s0, exec_lo
	s_wait_loadcnt_dscnt 0x100
	v_dual_mul_f32 v1, v7, v3 :: v_dual_mul_f32 v12, v8, v5
	v_mul_f32_e32 v3, v6, v3
	s_delay_alu instid0(VALU_DEP_2) | instskip(NEXT) | instid1(VALU_DEP_2)
	v_fma_f32 v1, v6, v2, -v1
	v_dual_fmac_f32 v12, v9, v4 :: v_dual_fmac_f32 v3, v7, v2
	s_delay_alu instid0(VALU_DEP_2) | instskip(NEXT) | instid1(VALU_DEP_2)
	v_add_f32_e32 v1, 0, v1
	v_add_f32_e32 v3, 0, v3
	v_mul_f32_e32 v5, v9, v5
	s_delay_alu instid0(VALU_DEP_1) | instskip(NEXT) | instid1(VALU_DEP_1)
	v_fma_f32 v2, v8, v4, -v5
	v_dual_add_f32 v1, v1, v2 :: v_dual_add_f32 v2, v3, v12
	s_wait_loadcnt 0x0
	s_delay_alu instid0(VALU_DEP_1)
	v_dual_sub_f32 v1, v10, v1 :: v_dual_sub_f32 v2, v11, v2
	scratch_store_b64 off, v[1:2], off offset:304
	v_cmpx_lt_u32_e32 37, v0
	s_cbranch_execz .LBB40_185
; %bb.184:
	scratch_load_b64 v[1:2], off, off offset:296
	v_mov_b32_e32 v3, 0
	s_delay_alu instid0(VALU_DEP_1)
	v_mov_b32_e32 v4, v3
	scratch_store_b64 off, v[3:4], off offset:296
	s_wait_loadcnt 0x0
	ds_store_b64 v23, v[1:2]
.LBB40_185:
	s_wait_alu 0xfffe
	s_or_b32 exec_lo, exec_lo, s0
	s_wait_storecnt_dscnt 0x0
	s_barrier_signal -1
	s_barrier_wait -1
	global_inv scope:SCOPE_SE
	s_clause 0x2
	scratch_load_b128 v[2:5], off, off offset:304
	scratch_load_b64 v[10:11], off, off offset:320
	scratch_load_b64 v[12:13], off, off offset:296
	v_mov_b32_e32 v1, 0
	ds_load_b128 v[6:9], v1 offset:640
	ds_load_b64 v[14:15], v1 offset:656
	s_mov_b32 s0, exec_lo
	s_wait_loadcnt_dscnt 0x201
	v_dual_mul_f32 v16, v7, v3 :: v_dual_mul_f32 v17, v8, v5
	s_wait_loadcnt_dscnt 0x100
	v_mul_f32_e32 v18, v14, v11
	v_mul_f32_e32 v3, v6, v3
	;; [unrolled: 1-line block ×3, first 2 shown]
	v_fma_f32 v6, v6, v2, -v16
	s_delay_alu instid0(VALU_DEP_4) | instskip(NEXT) | instid1(VALU_DEP_4)
	v_fmac_f32_e32 v18, v15, v10
	v_fmac_f32_e32 v3, v7, v2
	v_mul_f32_e32 v2, v15, v11
	s_delay_alu instid0(VALU_DEP_1) | instskip(SKIP_3) | instid1(VALU_DEP_1)
	v_fma_f32 v2, v14, v10, -v2
	v_fmac_f32_e32 v17, v9, v4
	v_fma_f32 v4, v8, v4, -v5
	v_add_f32_e32 v5, 0, v6
	v_add_f32_e32 v4, v5, v4
	s_delay_alu instid0(VALU_DEP_1) | instskip(SKIP_1) | instid1(VALU_DEP_1)
	v_dual_add_f32 v2, v4, v2 :: v_dual_add_f32 v3, 0, v3
	s_wait_loadcnt 0x0
	v_dual_sub_f32 v2, v12, v2 :: v_dual_add_f32 v3, v3, v17
	s_delay_alu instid0(VALU_DEP_1) | instskip(NEXT) | instid1(VALU_DEP_1)
	v_add_f32_e32 v3, v3, v18
	v_sub_f32_e32 v3, v13, v3
	scratch_store_b64 off, v[2:3], off offset:296
	v_cmpx_lt_u32_e32 36, v0
	s_cbranch_execz .LBB40_187
; %bb.186:
	scratch_load_b64 v[3:4], off, off offset:288
	v_mov_b32_e32 v2, v1
	scratch_store_b64 off, v[1:2], off offset:288
	s_wait_loadcnt 0x0
	ds_store_b64 v23, v[3:4]
.LBB40_187:
	s_wait_alu 0xfffe
	s_or_b32 exec_lo, exec_lo, s0
	s_wait_storecnt_dscnt 0x0
	s_barrier_signal -1
	s_barrier_wait -1
	global_inv scope:SCOPE_SE
	s_clause 0x2
	scratch_load_b128 v[2:5], off, off offset:296
	scratch_load_b128 v[6:9], off, off offset:312
	scratch_load_b64 v[18:19], off, off offset:288
	ds_load_2addr_b64 v[10:13], v1 offset0:79 offset1:80
	ds_load_2addr_b64 v[14:17], v1 offset0:81 offset1:82
	s_mov_b32 s0, exec_lo
	s_wait_loadcnt_dscnt 0x201
	v_dual_mul_f32 v1, v10, v3 :: v_dual_mul_f32 v20, v12, v5
	s_wait_loadcnt_dscnt 0x100
	v_dual_mul_f32 v3, v11, v3 :: v_dual_mul_f32 v22, v16, v9
	v_mul_f32_e32 v5, v13, v5
	s_delay_alu instid0(VALU_DEP_3) | instskip(NEXT) | instid1(VALU_DEP_3)
	v_dual_mul_f32 v21, v14, v7 :: v_dual_fmac_f32 v20, v13, v4
	v_fma_f32 v3, v10, v2, -v3
	s_delay_alu instid0(VALU_DEP_4) | instskip(SKIP_2) | instid1(VALU_DEP_4)
	v_dual_fmac_f32 v1, v11, v2 :: v_dual_fmac_f32 v22, v17, v8
	v_mul_f32_e32 v2, v15, v7
	v_fma_f32 v4, v12, v4, -v5
	v_add_f32_e32 v3, 0, v3
	v_fmac_f32_e32 v21, v15, v6
	s_delay_alu instid0(VALU_DEP_4) | instskip(NEXT) | instid1(VALU_DEP_3)
	v_fma_f32 v2, v14, v6, -v2
	v_add_f32_e32 v3, v3, v4
	s_delay_alu instid0(VALU_DEP_1) | instskip(NEXT) | instid1(VALU_DEP_1)
	v_dual_add_f32 v1, 0, v1 :: v_dual_add_f32 v2, v3, v2
	v_add_f32_e32 v1, v1, v20
	s_delay_alu instid0(VALU_DEP_1) | instskip(NEXT) | instid1(VALU_DEP_1)
	v_add_f32_e32 v1, v1, v21
	v_add_f32_e32 v3, v1, v22
	v_mul_f32_e32 v5, v17, v9
	s_delay_alu instid0(VALU_DEP_1) | instskip(NEXT) | instid1(VALU_DEP_1)
	v_fma_f32 v4, v16, v8, -v5
	v_add_f32_e32 v2, v2, v4
	s_wait_loadcnt 0x0
	s_delay_alu instid0(VALU_DEP_1)
	v_dual_sub_f32 v1, v18, v2 :: v_dual_sub_f32 v2, v19, v3
	scratch_store_b64 off, v[1:2], off offset:288
	v_cmpx_lt_u32_e32 35, v0
	s_cbranch_execz .LBB40_189
; %bb.188:
	scratch_load_b64 v[1:2], off, off offset:280
	v_mov_b32_e32 v3, 0
	s_delay_alu instid0(VALU_DEP_1)
	v_mov_b32_e32 v4, v3
	scratch_store_b64 off, v[3:4], off offset:280
	s_wait_loadcnt 0x0
	ds_store_b64 v23, v[1:2]
.LBB40_189:
	s_wait_alu 0xfffe
	s_or_b32 exec_lo, exec_lo, s0
	s_wait_storecnt_dscnt 0x0
	s_barrier_signal -1
	s_barrier_wait -1
	global_inv scope:SCOPE_SE
	s_clause 0x3
	scratch_load_b128 v[2:5], off, off offset:288
	scratch_load_b128 v[6:9], off, off offset:304
	scratch_load_b64 v[18:19], off, off offset:320
	scratch_load_b64 v[20:21], off, off offset:280
	v_mov_b32_e32 v1, 0
	ds_load_b128 v[10:13], v1 offset:624
	ds_load_b128 v[14:17], v1 offset:640
	ds_load_b64 v[106:107], v1 offset:656
	s_mov_b32 s0, exec_lo
	s_wait_loadcnt_dscnt 0x302
	v_mul_f32_e32 v22, v10, v3
	v_dual_mul_f32 v108, v12, v5 :: v_dual_mul_f32 v3, v11, v3
	v_mul_f32_e32 v5, v13, v5
	s_wait_loadcnt_dscnt 0x100
	s_delay_alu instid0(VALU_DEP_3)
	v_dual_mul_f32 v111, v106, v19 :: v_dual_fmac_f32 v22, v11, v2
	v_dual_mul_f32 v109, v14, v7 :: v_dual_mul_f32 v110, v16, v9
	v_fma_f32 v3, v10, v2, -v3
	v_mul_f32_e32 v2, v15, v7
	v_fmac_f32_e32 v108, v13, v4
	v_fma_f32 v4, v12, v4, -v5
	v_dual_add_f32 v5, 0, v22 :: v_dual_fmac_f32 v110, v17, v8
	v_add_f32_e32 v3, 0, v3
	v_fma_f32 v2, v14, v6, -v2
	v_fmac_f32_e32 v109, v15, v6
	v_fmac_f32_e32 v111, v107, v18
	s_delay_alu instid0(VALU_DEP_4) | instskip(SKIP_2) | instid1(VALU_DEP_3)
	v_add_f32_e32 v3, v3, v4
	v_mul_f32_e32 v7, v17, v9
	v_add_f32_e32 v4, v5, v108
	v_add_f32_e32 v2, v3, v2
	s_delay_alu instid0(VALU_DEP_3) | instskip(NEXT) | instid1(VALU_DEP_1)
	v_fma_f32 v6, v16, v8, -v7
	v_dual_add_f32 v3, v4, v109 :: v_dual_add_f32 v2, v2, v6
	v_mul_f32_e32 v5, v107, v19
	s_delay_alu instid0(VALU_DEP_2) | instskip(NEXT) | instid1(VALU_DEP_2)
	v_add_f32_e32 v3, v3, v110
	v_fma_f32 v4, v106, v18, -v5
	s_delay_alu instid0(VALU_DEP_1) | instskip(SKIP_1) | instid1(VALU_DEP_1)
	v_dual_add_f32 v2, v2, v4 :: v_dual_add_f32 v3, v3, v111
	s_wait_loadcnt 0x0
	v_dual_sub_f32 v2, v20, v2 :: v_dual_sub_f32 v3, v21, v3
	scratch_store_b64 off, v[2:3], off offset:280
	v_cmpx_lt_u32_e32 34, v0
	s_cbranch_execz .LBB40_191
; %bb.190:
	scratch_load_b64 v[3:4], off, off offset:272
	v_mov_b32_e32 v2, v1
	scratch_store_b64 off, v[1:2], off offset:272
	s_wait_loadcnt 0x0
	ds_store_b64 v23, v[3:4]
.LBB40_191:
	s_wait_alu 0xfffe
	s_or_b32 exec_lo, exec_lo, s0
	s_wait_storecnt_dscnt 0x0
	s_barrier_signal -1
	s_barrier_wait -1
	global_inv scope:SCOPE_SE
	s_clause 0x3
	scratch_load_b128 v[2:5], off, off offset:280
	scratch_load_b128 v[6:9], off, off offset:296
	;; [unrolled: 1-line block ×3, first 2 shown]
	scratch_load_b64 v[110:111], off, off offset:272
	ds_load_2addr_b64 v[14:17], v1 offset0:77 offset1:78
	ds_load_2addr_b64 v[18:21], v1 offset0:79 offset1:80
	;; [unrolled: 1-line block ×3, first 2 shown]
	s_mov_b32 s0, exec_lo
	s_wait_loadcnt_dscnt 0x302
	v_dual_mul_f32 v1, v14, v3 :: v_dual_mul_f32 v22, v16, v5
	v_mul_f32_e32 v3, v15, v3
	s_wait_loadcnt_dscnt 0x201
	v_dual_mul_f32 v5, v17, v5 :: v_dual_mul_f32 v112, v18, v7
	s_delay_alu instid0(VALU_DEP_3) | instskip(NEXT) | instid1(VALU_DEP_3)
	v_dual_mul_f32 v113, v20, v9 :: v_dual_fmac_f32 v22, v17, v4
	v_fma_f32 v3, v14, v2, -v3
	v_fmac_f32_e32 v1, v15, v2
	v_mul_f32_e32 v2, v19, v7
	v_fma_f32 v4, v16, v4, -v5
	s_delay_alu instid0(VALU_DEP_4)
	v_dual_fmac_f32 v112, v19, v6 :: v_dual_add_f32 v3, 0, v3
	s_wait_loadcnt_dscnt 0x100
	v_dual_mul_f32 v114, v106, v11 :: v_dual_mul_f32 v115, v108, v13
	v_fma_f32 v2, v18, v6, -v2
	v_fmac_f32_e32 v113, v21, v8
	v_add_f32_e32 v3, v3, v4
	s_delay_alu instid0(VALU_DEP_4) | instskip(SKIP_1) | instid1(VALU_DEP_3)
	v_dual_mul_f32 v5, v21, v9 :: v_dual_fmac_f32 v114, v107, v10
	v_dual_fmac_f32 v115, v109, v12 :: v_dual_mul_f32 v4, v107, v11
	v_add_f32_e32 v2, v3, v2
	s_delay_alu instid0(VALU_DEP_3) | instskip(SKIP_1) | instid1(VALU_DEP_4)
	v_fma_f32 v5, v20, v8, -v5
	v_mul_f32_e32 v3, v109, v13
	v_fma_f32 v4, v106, v10, -v4
	s_delay_alu instid0(VALU_DEP_3) | instskip(SKIP_1) | instid1(VALU_DEP_4)
	v_add_f32_e32 v2, v2, v5
	v_add_f32_e32 v1, 0, v1
	v_fma_f32 v3, v108, v12, -v3
	s_delay_alu instid0(VALU_DEP_2) | instskip(NEXT) | instid1(VALU_DEP_1)
	v_dual_add_f32 v2, v2, v4 :: v_dual_add_f32 v1, v1, v22
	v_dual_add_f32 v2, v2, v3 :: v_dual_add_f32 v1, v1, v112
	s_delay_alu instid0(VALU_DEP_1) | instskip(NEXT) | instid1(VALU_DEP_1)
	v_add_f32_e32 v1, v1, v113
	v_add_f32_e32 v1, v1, v114
	s_delay_alu instid0(VALU_DEP_1) | instskip(SKIP_1) | instid1(VALU_DEP_1)
	v_add_f32_e32 v3, v1, v115
	s_wait_loadcnt 0x0
	v_dual_sub_f32 v1, v110, v2 :: v_dual_sub_f32 v2, v111, v3
	scratch_store_b64 off, v[1:2], off offset:272
	v_cmpx_lt_u32_e32 33, v0
	s_cbranch_execz .LBB40_193
; %bb.192:
	scratch_load_b64 v[1:2], off, off offset:264
	v_mov_b32_e32 v3, 0
	s_delay_alu instid0(VALU_DEP_1)
	v_mov_b32_e32 v4, v3
	scratch_store_b64 off, v[3:4], off offset:264
	s_wait_loadcnt 0x0
	ds_store_b64 v23, v[1:2]
.LBB40_193:
	s_wait_alu 0xfffe
	s_or_b32 exec_lo, exec_lo, s0
	s_wait_storecnt_dscnt 0x0
	s_barrier_signal -1
	s_barrier_wait -1
	global_inv scope:SCOPE_SE
	s_clause 0x4
	scratch_load_b128 v[2:5], off, off offset:272
	scratch_load_b128 v[6:9], off, off offset:288
	;; [unrolled: 1-line block ×3, first 2 shown]
	scratch_load_b64 v[110:111], off, off offset:320
	scratch_load_b64 v[112:113], off, off offset:264
	v_mov_b32_e32 v1, 0
	ds_load_b128 v[14:17], v1 offset:608
	ds_load_b128 v[18:21], v1 offset:624
	;; [unrolled: 1-line block ×3, first 2 shown]
	ds_load_b64 v[114:115], v1 offset:656
	s_mov_b32 s0, exec_lo
	s_wait_loadcnt_dscnt 0x403
	v_mul_f32_e32 v22, v14, v3
	s_wait_loadcnt_dscnt 0x302
	v_dual_mul_f32 v118, v20, v9 :: v_dual_mul_f32 v3, v15, v3
	v_dual_mul_f32 v116, v16, v5 :: v_dual_mul_f32 v117, v18, v7
	v_mul_f32_e32 v5, v17, v5
	s_wait_loadcnt_dscnt 0x100
	v_dual_mul_f32 v121, v114, v111 :: v_dual_fmac_f32 v22, v15, v2
	v_fma_f32 v3, v14, v2, -v3
	v_mul_f32_e32 v2, v19, v7
	v_fmac_f32_e32 v116, v17, v4
	v_fma_f32 v4, v16, v4, -v5
	v_dual_add_f32 v5, 0, v22 :: v_dual_fmac_f32 v118, v21, v8
	v_add_f32_e32 v3, 0, v3
	v_fma_f32 v2, v18, v6, -v2
	v_fmac_f32_e32 v117, v19, v6
	v_dual_mul_f32 v119, v106, v11 :: v_dual_mul_f32 v120, v108, v13
	s_delay_alu instid0(VALU_DEP_4) | instskip(SKIP_1) | instid1(VALU_DEP_3)
	v_add_f32_e32 v3, v3, v4
	v_mul_f32_e32 v7, v21, v9
	v_dual_add_f32 v4, v5, v116 :: v_dual_fmac_f32 v119, v107, v10
	s_delay_alu instid0(VALU_DEP_4) | instskip(NEXT) | instid1(VALU_DEP_4)
	v_fmac_f32_e32 v120, v109, v12
	v_add_f32_e32 v2, v3, v2
	s_delay_alu instid0(VALU_DEP_4) | instskip(SKIP_3) | instid1(VALU_DEP_4)
	v_fma_f32 v6, v20, v8, -v7
	v_mul_f32_e32 v5, v107, v11
	v_add_f32_e32 v3, v4, v117
	v_mul_f32_e32 v4, v109, v13
	v_add_f32_e32 v2, v2, v6
	s_delay_alu instid0(VALU_DEP_4) | instskip(SKIP_3) | instid1(VALU_DEP_4)
	v_fma_f32 v5, v106, v10, -v5
	v_mul_f32_e32 v6, v115, v111
	v_add_f32_e32 v3, v3, v118
	v_fma_f32 v4, v108, v12, -v4
	v_add_f32_e32 v2, v2, v5
	s_delay_alu instid0(VALU_DEP_4) | instskip(NEXT) | instid1(VALU_DEP_2)
	v_fma_f32 v5, v114, v110, -v6
	v_dual_add_f32 v3, v3, v119 :: v_dual_add_f32 v2, v2, v4
	s_delay_alu instid0(VALU_DEP_1) | instskip(SKIP_1) | instid1(VALU_DEP_1)
	v_dual_fmac_f32 v121, v115, v110 :: v_dual_add_f32 v2, v2, v5
	s_wait_loadcnt 0x0
	v_dual_add_f32 v3, v3, v120 :: v_dual_sub_f32 v2, v112, v2
	s_delay_alu instid0(VALU_DEP_1) | instskip(NEXT) | instid1(VALU_DEP_1)
	v_add_f32_e32 v3, v3, v121
	v_sub_f32_e32 v3, v113, v3
	scratch_store_b64 off, v[2:3], off offset:264
	v_cmpx_lt_u32_e32 32, v0
	s_cbranch_execz .LBB40_195
; %bb.194:
	scratch_load_b64 v[3:4], off, off offset:256
	v_mov_b32_e32 v2, v1
	scratch_store_b64 off, v[1:2], off offset:256
	s_wait_loadcnt 0x0
	ds_store_b64 v23, v[3:4]
.LBB40_195:
	s_wait_alu 0xfffe
	s_or_b32 exec_lo, exec_lo, s0
	s_wait_storecnt_dscnt 0x0
	s_barrier_signal -1
	s_barrier_wait -1
	global_inv scope:SCOPE_SE
	s_clause 0x4
	scratch_load_b128 v[2:5], off, off offset:264
	scratch_load_b128 v[6:9], off, off offset:280
	;; [unrolled: 1-line block ×4, first 2 shown]
	scratch_load_b64 v[118:119], off, off offset:256
	ds_load_2addr_b64 v[18:21], v1 offset0:75 offset1:76
	ds_load_2addr_b64 v[106:109], v1 offset0:77 offset1:78
	;; [unrolled: 1-line block ×4, first 2 shown]
	s_mov_b32 s0, exec_lo
	s_wait_loadcnt_dscnt 0x403
	v_dual_mul_f32 v1, v18, v3 :: v_dual_mul_f32 v22, v20, v5
	v_mul_f32_e32 v3, v19, v3
	s_wait_loadcnt_dscnt 0x302
	v_dual_mul_f32 v5, v21, v5 :: v_dual_mul_f32 v120, v106, v7
	s_delay_alu instid0(VALU_DEP_3) | instskip(NEXT) | instid1(VALU_DEP_3)
	v_dual_mul_f32 v121, v108, v9 :: v_dual_fmac_f32 v22, v21, v4
	v_fma_f32 v3, v18, v2, -v3
	v_fmac_f32_e32 v1, v19, v2
	v_mul_f32_e32 v2, v107, v7
	v_fma_f32 v4, v20, v4, -v5
	s_delay_alu instid0(VALU_DEP_4)
	v_dual_fmac_f32 v120, v107, v6 :: v_dual_add_f32 v3, 0, v3
	s_wait_loadcnt_dscnt 0x201
	v_dual_mul_f32 v122, v110, v11 :: v_dual_mul_f32 v123, v112, v13
	v_fma_f32 v2, v106, v6, -v2
	s_wait_loadcnt_dscnt 0x100
	v_dual_mul_f32 v124, v114, v15 :: v_dual_mul_f32 v125, v116, v17
	v_add_f32_e32 v3, v3, v4
	v_mul_f32_e32 v5, v109, v9
	v_dual_fmac_f32 v121, v109, v8 :: v_dual_fmac_f32 v122, v111, v10
	v_mul_f32_e32 v4, v111, v11
	s_delay_alu instid0(VALU_DEP_4) | instskip(NEXT) | instid1(VALU_DEP_4)
	v_add_f32_e32 v2, v3, v2
	v_fma_f32 v5, v108, v8, -v5
	v_mul_f32_e32 v3, v113, v13
	v_fmac_f32_e32 v125, v117, v16
	v_fma_f32 v4, v110, v10, -v4
	v_fmac_f32_e32 v124, v115, v14
	v_add_f32_e32 v2, v2, v5
	v_add_f32_e32 v1, 0, v1
	v_mul_f32_e32 v5, v115, v15
	v_fma_f32 v3, v112, v12, -v3
	s_delay_alu instid0(VALU_DEP_3) | instskip(SKIP_1) | instid1(VALU_DEP_4)
	v_dual_add_f32 v2, v2, v4 :: v_dual_add_f32 v1, v1, v22
	v_mul_f32_e32 v4, v117, v17
	v_fma_f32 v5, v114, v14, -v5
	s_delay_alu instid0(VALU_DEP_3) | instskip(SKIP_1) | instid1(VALU_DEP_4)
	v_dual_add_f32 v2, v2, v3 :: v_dual_add_f32 v1, v1, v120
	v_fmac_f32_e32 v123, v113, v12
	v_fma_f32 v3, v116, v16, -v4
	s_delay_alu instid0(VALU_DEP_3) | instskip(NEXT) | instid1(VALU_DEP_1)
	v_add_f32_e32 v2, v2, v5
	v_dual_add_f32 v1, v1, v121 :: v_dual_add_f32 v2, v2, v3
	s_delay_alu instid0(VALU_DEP_1) | instskip(NEXT) | instid1(VALU_DEP_1)
	v_add_f32_e32 v1, v1, v122
	v_add_f32_e32 v1, v1, v123
	s_delay_alu instid0(VALU_DEP_1) | instskip(NEXT) | instid1(VALU_DEP_1)
	v_add_f32_e32 v1, v1, v124
	v_add_f32_e32 v3, v1, v125
	s_wait_loadcnt 0x0
	s_delay_alu instid0(VALU_DEP_1)
	v_dual_sub_f32 v1, v118, v2 :: v_dual_sub_f32 v2, v119, v3
	scratch_store_b64 off, v[1:2], off offset:256
	v_cmpx_lt_u32_e32 31, v0
	s_cbranch_execz .LBB40_197
; %bb.196:
	scratch_load_b64 v[1:2], off, off offset:248
	v_mov_b32_e32 v3, 0
	s_delay_alu instid0(VALU_DEP_1)
	v_mov_b32_e32 v4, v3
	scratch_store_b64 off, v[3:4], off offset:248
	s_wait_loadcnt 0x0
	ds_store_b64 v23, v[1:2]
.LBB40_197:
	s_wait_alu 0xfffe
	s_or_b32 exec_lo, exec_lo, s0
	s_wait_storecnt_dscnt 0x0
	s_barrier_signal -1
	s_barrier_wait -1
	global_inv scope:SCOPE_SE
	s_clause 0x5
	scratch_load_b128 v[2:5], off, off offset:256
	scratch_load_b128 v[6:9], off, off offset:272
	;; [unrolled: 1-line block ×4, first 2 shown]
	scratch_load_b64 v[118:119], off, off offset:320
	scratch_load_b64 v[120:121], off, off offset:248
	v_mov_b32_e32 v1, 0
	ds_load_b128 v[18:21], v1 offset:592
	ds_load_b128 v[106:109], v1 offset:608
	;; [unrolled: 1-line block ×4, first 2 shown]
	ds_load_b64 v[122:123], v1 offset:656
	s_mov_b32 s0, exec_lo
	s_wait_loadcnt_dscnt 0x504
	v_mul_f32_e32 v22, v18, v3
	s_wait_loadcnt_dscnt 0x302
	v_dual_mul_f32 v3, v19, v3 :: v_dual_mul_f32 v128, v112, v13
	v_dual_mul_f32 v124, v20, v5 :: v_dual_mul_f32 v125, v106, v7
	v_mul_f32_e32 v5, v21, v5
	s_delay_alu instid0(VALU_DEP_3) | instskip(SKIP_3) | instid1(VALU_DEP_3)
	v_fma_f32 v3, v18, v2, -v3
	s_wait_loadcnt_dscnt 0x100
	v_dual_mul_f32 v131, v122, v119 :: v_dual_fmac_f32 v22, v19, v2
	v_mul_f32_e32 v2, v107, v7
	v_dual_fmac_f32 v124, v21, v4 :: v_dual_add_f32 v3, 0, v3
	v_fma_f32 v4, v20, v4, -v5
	v_dual_mul_f32 v126, v108, v9 :: v_dual_mul_f32 v127, v110, v11
	v_add_f32_e32 v5, 0, v22
	v_fma_f32 v2, v106, v6, -v2
	s_delay_alu instid0(VALU_DEP_4) | instskip(SKIP_3) | instid1(VALU_DEP_4)
	v_add_f32_e32 v3, v3, v4
	v_mul_f32_e32 v7, v109, v9
	v_dual_fmac_f32 v126, v109, v8 :: v_dual_fmac_f32 v125, v107, v6
	v_add_f32_e32 v4, v5, v124
	v_add_f32_e32 v2, v3, v2
	s_delay_alu instid0(VALU_DEP_4)
	v_fma_f32 v6, v108, v8, -v7
	v_mul_f32_e32 v5, v111, v11
	v_dual_fmac_f32 v127, v111, v10 :: v_dual_fmac_f32 v128, v113, v12
	v_add_f32_e32 v3, v4, v125
	v_mul_f32_e32 v4, v113, v13
	v_add_f32_e32 v2, v2, v6
	v_fma_f32 v5, v110, v10, -v5
	v_mul_f32_e32 v6, v115, v15
	v_add_f32_e32 v3, v3, v126
	v_fma_f32 v4, v112, v12, -v4
	v_dual_mul_f32 v129, v114, v15 :: v_dual_mul_f32 v130, v116, v17
	s_delay_alu instid0(VALU_DEP_3) | instskip(SKIP_2) | instid1(VALU_DEP_4)
	v_dual_add_f32 v2, v2, v5 :: v_dual_add_f32 v3, v3, v127
	v_mul_f32_e32 v5, v117, v17
	v_fma_f32 v6, v114, v14, -v6
	v_dual_fmac_f32 v129, v115, v14 :: v_dual_fmac_f32 v130, v117, v16
	s_delay_alu instid0(VALU_DEP_4) | instskip(SKIP_3) | instid1(VALU_DEP_4)
	v_add_f32_e32 v2, v2, v4
	v_add_f32_e32 v3, v3, v128
	v_mul_f32_e32 v4, v123, v119
	v_fma_f32 v5, v116, v16, -v5
	v_add_f32_e32 v2, v2, v6
	v_fmac_f32_e32 v131, v123, v118
	s_delay_alu instid0(VALU_DEP_4) | instskip(NEXT) | instid1(VALU_DEP_3)
	v_fma_f32 v4, v122, v118, -v4
	v_add_f32_e32 v2, v2, v5
	s_delay_alu instid0(VALU_DEP_1) | instskip(NEXT) | instid1(VALU_DEP_1)
	v_dual_add_f32 v3, v3, v129 :: v_dual_add_f32 v2, v2, v4
	v_add_f32_e32 v3, v3, v130
	s_wait_loadcnt 0x0
	s_delay_alu instid0(VALU_DEP_1) | instskip(NEXT) | instid1(VALU_DEP_1)
	v_dual_sub_f32 v2, v120, v2 :: v_dual_add_f32 v3, v3, v131
	v_sub_f32_e32 v3, v121, v3
	scratch_store_b64 off, v[2:3], off offset:248
	v_cmpx_lt_u32_e32 30, v0
	s_cbranch_execz .LBB40_199
; %bb.198:
	scratch_load_b64 v[3:4], off, off offset:240
	v_mov_b32_e32 v2, v1
	scratch_store_b64 off, v[1:2], off offset:240
	s_wait_loadcnt 0x0
	ds_store_b64 v23, v[3:4]
.LBB40_199:
	s_wait_alu 0xfffe
	s_or_b32 exec_lo, exec_lo, s0
	s_wait_storecnt_dscnt 0x0
	s_barrier_signal -1
	s_barrier_wait -1
	global_inv scope:SCOPE_SE
	s_clause 0x5
	scratch_load_b128 v[2:5], off, off offset:248
	scratch_load_b128 v[6:9], off, off offset:264
	;; [unrolled: 1-line block ×5, first 2 shown]
	scratch_load_b64 v[126:127], off, off offset:240
	ds_load_2addr_b64 v[106:109], v1 offset0:73 offset1:74
	ds_load_2addr_b64 v[110:113], v1 offset0:75 offset1:76
	;; [unrolled: 1-line block ×5, first 2 shown]
	s_mov_b32 s0, exec_lo
	s_wait_loadcnt_dscnt 0x504
	v_dual_mul_f32 v1, v106, v3 :: v_dual_mul_f32 v22, v108, v5
	v_mul_f32_e32 v3, v107, v3
	s_wait_loadcnt_dscnt 0x403
	v_dual_mul_f32 v5, v109, v5 :: v_dual_mul_f32 v128, v110, v7
	s_delay_alu instid0(VALU_DEP_3) | instskip(NEXT) | instid1(VALU_DEP_3)
	v_dual_mul_f32 v129, v112, v9 :: v_dual_fmac_f32 v22, v109, v4
	v_fma_f32 v3, v106, v2, -v3
	v_fmac_f32_e32 v1, v107, v2
	v_mul_f32_e32 v2, v111, v7
	v_fma_f32 v4, v108, v4, -v5
	s_delay_alu instid0(VALU_DEP_4)
	v_dual_fmac_f32 v128, v111, v6 :: v_dual_add_f32 v3, 0, v3
	s_wait_loadcnt_dscnt 0x100
	v_dual_mul_f32 v134, v122, v19 :: v_dual_mul_f32 v135, v124, v21
	v_fma_f32 v2, v110, v6, -v2
	v_dual_mul_f32 v130, v114, v11 :: v_dual_mul_f32 v131, v116, v13
	v_add_f32_e32 v3, v3, v4
	v_dual_mul_f32 v5, v113, v9 :: v_dual_mul_f32 v132, v118, v15
	v_dual_mul_f32 v133, v120, v17 :: v_dual_mul_f32 v4, v115, v11
	s_delay_alu instid0(VALU_DEP_3) | instskip(NEXT) | instid1(VALU_DEP_3)
	v_add_f32_e32 v2, v3, v2
	v_fma_f32 v5, v112, v8, -v5
	v_dual_mul_f32 v3, v117, v13 :: v_dual_fmac_f32 v134, v123, v18
	s_delay_alu instid0(VALU_DEP_4) | instskip(SKIP_1) | instid1(VALU_DEP_4)
	v_fma_f32 v4, v114, v10, -v4
	v_dual_fmac_f32 v129, v113, v8 :: v_dual_fmac_f32 v130, v115, v10
	v_add_f32_e32 v2, v2, v5
	v_add_f32_e32 v1, 0, v1
	v_fma_f32 v3, v116, v12, -v3
	v_dual_fmac_f32 v132, v119, v14 :: v_dual_fmac_f32 v133, v121, v16
	s_delay_alu instid0(VALU_DEP_3) | instskip(SKIP_1) | instid1(VALU_DEP_2)
	v_dual_add_f32 v2, v2, v4 :: v_dual_add_f32 v1, v1, v22
	v_mul_f32_e32 v4, v121, v17
	v_dual_fmac_f32 v135, v125, v20 :: v_dual_add_f32 v2, v2, v3
	s_delay_alu instid0(VALU_DEP_3) | instskip(NEXT) | instid1(VALU_DEP_3)
	v_add_f32_e32 v1, v1, v128
	v_fma_f32 v4, v120, v16, -v4
	v_mul_f32_e32 v5, v119, v15
	v_mul_f32_e32 v3, v123, v19
	s_delay_alu instid0(VALU_DEP_4) | instskip(NEXT) | instid1(VALU_DEP_3)
	v_add_f32_e32 v1, v1, v129
	v_fma_f32 v5, v118, v14, -v5
	v_fmac_f32_e32 v131, v117, v12
	s_delay_alu instid0(VALU_DEP_4) | instskip(NEXT) | instid1(VALU_DEP_3)
	v_fma_f32 v3, v122, v18, -v3
	v_add_f32_e32 v2, v2, v5
	s_delay_alu instid0(VALU_DEP_1) | instskip(SKIP_1) | instid1(VALU_DEP_2)
	v_dual_mul_f32 v5, v125, v21 :: v_dual_add_f32 v2, v2, v4
	v_add_f32_e32 v1, v1, v130
	v_fma_f32 v4, v124, v20, -v5
	s_delay_alu instid0(VALU_DEP_3) | instskip(NEXT) | instid1(VALU_DEP_1)
	v_add_f32_e32 v2, v2, v3
	v_dual_add_f32 v1, v1, v131 :: v_dual_add_f32 v2, v2, v4
	s_delay_alu instid0(VALU_DEP_1) | instskip(NEXT) | instid1(VALU_DEP_1)
	v_add_f32_e32 v1, v1, v132
	v_add_f32_e32 v1, v1, v133
	s_delay_alu instid0(VALU_DEP_1) | instskip(NEXT) | instid1(VALU_DEP_1)
	v_add_f32_e32 v1, v1, v134
	v_add_f32_e32 v3, v1, v135
	s_wait_loadcnt 0x0
	s_delay_alu instid0(VALU_DEP_1)
	v_dual_sub_f32 v1, v126, v2 :: v_dual_sub_f32 v2, v127, v3
	scratch_store_b64 off, v[1:2], off offset:240
	v_cmpx_lt_u32_e32 29, v0
	s_cbranch_execz .LBB40_201
; %bb.200:
	scratch_load_b64 v[1:2], off, off offset:232
	v_mov_b32_e32 v3, 0
	s_delay_alu instid0(VALU_DEP_1)
	v_mov_b32_e32 v4, v3
	scratch_store_b64 off, v[3:4], off offset:232
	s_wait_loadcnt 0x0
	ds_store_b64 v23, v[1:2]
.LBB40_201:
	s_wait_alu 0xfffe
	s_or_b32 exec_lo, exec_lo, s0
	s_wait_storecnt_dscnt 0x0
	s_barrier_signal -1
	s_barrier_wait -1
	global_inv scope:SCOPE_SE
	s_clause 0x6
	scratch_load_b128 v[2:5], off, off offset:240
	scratch_load_b128 v[6:9], off, off offset:256
	;; [unrolled: 1-line block ×5, first 2 shown]
	scratch_load_b64 v[126:127], off, off offset:320
	scratch_load_b64 v[128:129], off, off offset:232
	v_mov_b32_e32 v1, 0
	ds_load_b128 v[106:109], v1 offset:576
	ds_load_b128 v[110:113], v1 offset:592
	ds_load_b128 v[114:117], v1 offset:608
	ds_load_b128 v[118:121], v1 offset:624
	ds_load_b128 v[122:125], v1 offset:640
	ds_load_b64 v[130:131], v1 offset:656
	s_mov_b32 s0, exec_lo
	s_wait_loadcnt_dscnt 0x605
	v_mul_f32_e32 v22, v106, v3
	v_dual_mul_f32 v3, v107, v3 :: v_dual_mul_f32 v132, v108, v5
	s_wait_loadcnt_dscnt 0x302
	v_dual_mul_f32 v133, v110, v7 :: v_dual_mul_f32 v138, v120, v17
	v_mul_f32_e32 v5, v109, v5
	s_delay_alu instid0(VALU_DEP_3) | instskip(SKIP_3) | instid1(VALU_DEP_3)
	v_fma_f32 v3, v106, v2, -v3
	s_wait_loadcnt_dscnt 0x100
	v_dual_mul_f32 v141, v130, v127 :: v_dual_fmac_f32 v22, v107, v2
	v_mul_f32_e32 v2, v111, v7
	v_dual_fmac_f32 v132, v109, v4 :: v_dual_add_f32 v3, 0, v3
	v_fma_f32 v4, v108, v4, -v5
	v_dual_mul_f32 v134, v112, v9 :: v_dual_mul_f32 v135, v114, v11
	v_add_f32_e32 v5, 0, v22
	v_fma_f32 v2, v110, v6, -v2
	s_delay_alu instid0(VALU_DEP_4) | instskip(SKIP_3) | instid1(VALU_DEP_4)
	v_add_f32_e32 v3, v3, v4
	v_mul_f32_e32 v7, v113, v9
	v_dual_fmac_f32 v134, v113, v8 :: v_dual_fmac_f32 v133, v111, v6
	v_add_f32_e32 v4, v5, v132
	v_add_f32_e32 v2, v3, v2
	s_delay_alu instid0(VALU_DEP_4)
	v_fma_f32 v6, v112, v8, -v7
	v_dual_mul_f32 v5, v115, v11 :: v_dual_mul_f32 v136, v116, v13
	v_mul_f32_e32 v137, v118, v15
	v_add_f32_e32 v3, v4, v133
	v_mul_f32_e32 v4, v117, v13
	v_add_f32_e32 v2, v2, v6
	v_fma_f32 v5, v114, v10, -v5
	v_dual_fmac_f32 v135, v115, v10 :: v_dual_fmac_f32 v136, v117, v12
	v_mul_f32_e32 v6, v119, v15
	s_delay_alu instid0(VALU_DEP_3) | instskip(SKIP_2) | instid1(VALU_DEP_4)
	v_dual_add_f32 v3, v3, v134 :: v_dual_add_f32 v2, v2, v5
	v_fma_f32 v4, v116, v12, -v4
	v_mul_f32_e32 v5, v121, v17
	v_fma_f32 v6, v118, v14, -v6
	s_delay_alu instid0(VALU_DEP_4) | instskip(SKIP_3) | instid1(VALU_DEP_4)
	v_add_f32_e32 v3, v3, v135
	v_dual_mul_f32 v139, v122, v19 :: v_dual_mul_f32 v140, v124, v21
	v_dual_add_f32 v2, v2, v4 :: v_dual_fmac_f32 v137, v119, v14
	v_fmac_f32_e32 v138, v121, v16
	v_add_f32_e32 v3, v3, v136
	v_mul_f32_e32 v4, v123, v19
	v_fma_f32 v5, v120, v16, -v5
	v_add_f32_e32 v2, v2, v6
	v_dual_mul_f32 v6, v125, v21 :: v_dual_fmac_f32 v139, v123, v18
	v_dual_add_f32 v3, v3, v137 :: v_dual_fmac_f32 v140, v125, v20
	v_fma_f32 v4, v122, v18, -v4
	s_delay_alu instid0(VALU_DEP_4) | instskip(NEXT) | instid1(VALU_DEP_4)
	v_add_f32_e32 v2, v2, v5
	v_fma_f32 v6, v124, v20, -v6
	s_delay_alu instid0(VALU_DEP_4) | instskip(NEXT) | instid1(VALU_DEP_3)
	v_add_f32_e32 v3, v3, v138
	v_dual_mul_f32 v5, v131, v127 :: v_dual_add_f32 v2, v2, v4
	s_delay_alu instid0(VALU_DEP_2) | instskip(NEXT) | instid1(VALU_DEP_2)
	v_add_f32_e32 v3, v3, v139
	v_fma_f32 v4, v130, v126, -v5
	s_delay_alu instid0(VALU_DEP_3) | instskip(NEXT) | instid1(VALU_DEP_1)
	v_add_f32_e32 v2, v2, v6
	v_dual_fmac_f32 v141, v131, v126 :: v_dual_add_f32 v2, v2, v4
	s_wait_loadcnt 0x0
	s_delay_alu instid0(VALU_DEP_1) | instskip(NEXT) | instid1(VALU_DEP_1)
	v_dual_add_f32 v3, v3, v140 :: v_dual_sub_f32 v2, v128, v2
	v_add_f32_e32 v3, v3, v141
	s_delay_alu instid0(VALU_DEP_1)
	v_sub_f32_e32 v3, v129, v3
	scratch_store_b64 off, v[2:3], off offset:232
	v_cmpx_lt_u32_e32 28, v0
	s_cbranch_execz .LBB40_203
; %bb.202:
	scratch_load_b64 v[3:4], off, off offset:224
	v_mov_b32_e32 v2, v1
	scratch_store_b64 off, v[1:2], off offset:224
	s_wait_loadcnt 0x0
	ds_store_b64 v23, v[3:4]
.LBB40_203:
	s_wait_alu 0xfffe
	s_or_b32 exec_lo, exec_lo, s0
	s_wait_storecnt_dscnt 0x0
	s_barrier_signal -1
	s_barrier_wait -1
	global_inv scope:SCOPE_SE
	s_clause 0x6
	scratch_load_b128 v[2:5], off, off offset:232
	scratch_load_b128 v[6:9], off, off offset:248
	;; [unrolled: 1-line block ×6, first 2 shown]
	scratch_load_b64 v[134:135], off, off offset:224
	ds_load_2addr_b64 v[110:113], v1 offset0:71 offset1:72
	ds_load_2addr_b64 v[114:117], v1 offset0:73 offset1:74
	;; [unrolled: 1-line block ×6, first 2 shown]
	s_mov_b32 s0, exec_lo
	s_wait_loadcnt_dscnt 0x605
	v_dual_mul_f32 v1, v110, v3 :: v_dual_mul_f32 v22, v112, v5
	v_mul_f32_e32 v3, v111, v3
	s_wait_loadcnt_dscnt 0x504
	v_dual_mul_f32 v5, v113, v5 :: v_dual_mul_f32 v136, v114, v7
	s_delay_alu instid0(VALU_DEP_3) | instskip(NEXT) | instid1(VALU_DEP_3)
	v_dual_mul_f32 v137, v116, v9 :: v_dual_fmac_f32 v22, v113, v4
	v_fma_f32 v3, v110, v2, -v3
	v_fmac_f32_e32 v1, v111, v2
	v_mul_f32_e32 v2, v115, v7
	v_fma_f32 v4, v112, v4, -v5
	s_delay_alu instid0(VALU_DEP_4)
	v_dual_fmac_f32 v136, v115, v6 :: v_dual_add_f32 v3, 0, v3
	s_wait_loadcnt_dscnt 0x201
	v_dual_mul_f32 v142, v126, v19 :: v_dual_mul_f32 v143, v128, v21
	v_fma_f32 v2, v114, v6, -v2
	v_dual_mul_f32 v138, v118, v11 :: v_dual_mul_f32 v139, v120, v13
	v_add_f32_e32 v3, v3, v4
	v_dual_mul_f32 v5, v117, v9 :: v_dual_mul_f32 v140, v122, v15
	v_dual_mul_f32 v141, v124, v17 :: v_dual_mul_f32 v4, v119, v11
	s_delay_alu instid0(VALU_DEP_3) | instskip(NEXT) | instid1(VALU_DEP_3)
	v_add_f32_e32 v2, v3, v2
	v_fma_f32 v5, v116, v8, -v5
	v_dual_mul_f32 v3, v121, v13 :: v_dual_fmac_f32 v142, v127, v18
	s_delay_alu instid0(VALU_DEP_4) | instskip(SKIP_1) | instid1(VALU_DEP_4)
	v_fma_f32 v4, v118, v10, -v4
	v_dual_fmac_f32 v137, v117, v8 :: v_dual_fmac_f32 v138, v119, v10
	v_add_f32_e32 v2, v2, v5
	v_add_f32_e32 v1, 0, v1
	v_fma_f32 v3, v120, v12, -v3
	v_fmac_f32_e32 v140, v123, v14
	s_wait_loadcnt_dscnt 0x100
	v_dual_mul_f32 v144, v130, v107 :: v_dual_mul_f32 v145, v132, v109
	v_dual_add_f32 v1, v1, v22 :: v_dual_add_f32 v2, v2, v4
	v_mul_f32_e32 v4, v125, v17
	v_fmac_f32_e32 v143, v129, v20
	s_delay_alu instid0(VALU_DEP_4) | instskip(NEXT) | instid1(VALU_DEP_4)
	v_fmac_f32_e32 v145, v133, v108
	v_dual_add_f32 v1, v1, v136 :: v_dual_add_f32 v2, v2, v3
	s_delay_alu instid0(VALU_DEP_4) | instskip(SKIP_1) | instid1(VALU_DEP_3)
	v_fma_f32 v4, v124, v16, -v4
	v_mul_f32_e32 v5, v123, v15
	v_dual_fmac_f32 v144, v131, v106 :: v_dual_add_f32 v1, v1, v137
	s_delay_alu instid0(VALU_DEP_2) | instskip(SKIP_1) | instid1(VALU_DEP_2)
	v_fma_f32 v5, v122, v14, -v5
	v_fmac_f32_e32 v139, v121, v12
	v_dual_add_f32 v1, v1, v138 :: v_dual_add_f32 v2, v2, v5
	s_delay_alu instid0(VALU_DEP_1) | instskip(SKIP_1) | instid1(VALU_DEP_3)
	v_add_f32_e32 v2, v2, v4
	v_mul_f32_e32 v4, v131, v107
	v_add_f32_e32 v1, v1, v139
	s_delay_alu instid0(VALU_DEP_2) | instskip(SKIP_1) | instid1(VALU_DEP_1)
	v_fma_f32 v4, v130, v106, -v4
	v_mul_f32_e32 v5, v129, v21
	v_fma_f32 v5, v128, v20, -v5
	v_mul_f32_e32 v3, v127, v19
	s_delay_alu instid0(VALU_DEP_1) | instskip(NEXT) | instid1(VALU_DEP_1)
	v_fma_f32 v3, v126, v18, -v3
	v_dual_fmac_f32 v141, v125, v16 :: v_dual_add_f32 v2, v2, v3
	v_mul_f32_e32 v3, v133, v109
	s_delay_alu instid0(VALU_DEP_2) | instskip(NEXT) | instid1(VALU_DEP_2)
	v_add_f32_e32 v2, v2, v5
	v_fma_f32 v3, v132, v108, -v3
	s_delay_alu instid0(VALU_DEP_2) | instskip(NEXT) | instid1(VALU_DEP_1)
	v_add_f32_e32 v2, v2, v4
	v_dual_add_f32 v1, v1, v140 :: v_dual_add_f32 v2, v2, v3
	s_delay_alu instid0(VALU_DEP_1) | instskip(NEXT) | instid1(VALU_DEP_1)
	v_add_f32_e32 v1, v1, v141
	v_add_f32_e32 v1, v1, v142
	s_delay_alu instid0(VALU_DEP_1) | instskip(NEXT) | instid1(VALU_DEP_1)
	v_add_f32_e32 v1, v1, v143
	v_add_f32_e32 v1, v1, v144
	s_delay_alu instid0(VALU_DEP_1) | instskip(SKIP_1) | instid1(VALU_DEP_1)
	v_add_f32_e32 v3, v1, v145
	s_wait_loadcnt 0x0
	v_dual_sub_f32 v1, v134, v2 :: v_dual_sub_f32 v2, v135, v3
	scratch_store_b64 off, v[1:2], off offset:224
	v_cmpx_lt_u32_e32 27, v0
	s_cbranch_execz .LBB40_205
; %bb.204:
	scratch_load_b64 v[1:2], off, off offset:216
	v_mov_b32_e32 v3, 0
	s_delay_alu instid0(VALU_DEP_1)
	v_mov_b32_e32 v4, v3
	scratch_store_b64 off, v[3:4], off offset:216
	s_wait_loadcnt 0x0
	ds_store_b64 v23, v[1:2]
.LBB40_205:
	s_wait_alu 0xfffe
	s_or_b32 exec_lo, exec_lo, s0
	s_wait_storecnt_dscnt 0x0
	s_barrier_signal -1
	s_barrier_wait -1
	global_inv scope:SCOPE_SE
	s_clause 0x7
	scratch_load_b128 v[2:5], off, off offset:224
	scratch_load_b128 v[6:9], off, off offset:240
	;; [unrolled: 1-line block ×6, first 2 shown]
	scratch_load_b64 v[134:135], off, off offset:320
	scratch_load_b64 v[136:137], off, off offset:216
	v_mov_b32_e32 v1, 0
	ds_load_b128 v[110:113], v1 offset:560
	ds_load_b128 v[114:117], v1 offset:576
	;; [unrolled: 1-line block ×6, first 2 shown]
	ds_load_b64 v[138:139], v1 offset:656
	s_mov_b32 s0, exec_lo
	s_wait_loadcnt_dscnt 0x706
	v_mul_f32_e32 v22, v110, v3
	v_dual_mul_f32 v3, v111, v3 :: v_dual_mul_f32 v140, v112, v5
	s_wait_loadcnt_dscnt 0x302
	v_dual_mul_f32 v141, v114, v7 :: v_dual_mul_f32 v148, v128, v21
	v_mul_f32_e32 v5, v113, v5
	s_wait_loadcnt_dscnt 0x100
	v_dual_mul_f32 v151, v138, v135 :: v_dual_fmac_f32 v22, v111, v2
	v_fma_f32 v3, v110, v2, -v3
	v_dual_mul_f32 v142, v116, v9 :: v_dual_mul_f32 v143, v118, v11
	v_mul_f32_e32 v2, v115, v7
	s_delay_alu instid0(VALU_DEP_3) | instskip(SKIP_1) | instid1(VALU_DEP_4)
	v_dual_fmac_f32 v140, v113, v4 :: v_dual_add_f32 v3, 0, v3
	v_fma_f32 v4, v112, v4, -v5
	v_dual_add_f32 v5, 0, v22 :: v_dual_fmac_f32 v142, v117, v8
	v_fmac_f32_e32 v141, v115, v6
	v_fma_f32 v2, v114, v6, -v2
	s_delay_alu instid0(VALU_DEP_4) | instskip(SKIP_3) | instid1(VALU_DEP_4)
	v_add_f32_e32 v3, v3, v4
	v_mul_f32_e32 v7, v117, v9
	v_add_f32_e32 v4, v5, v140
	v_dual_mul_f32 v144, v120, v13 :: v_dual_mul_f32 v145, v122, v15
	v_add_f32_e32 v2, v3, v2
	s_delay_alu instid0(VALU_DEP_4)
	v_fma_f32 v6, v116, v8, -v7
	v_mul_f32_e32 v5, v119, v11
	v_add_f32_e32 v3, v4, v141
	v_dual_mul_f32 v4, v121, v13 :: v_dual_fmac_f32 v143, v119, v10
	v_fmac_f32_e32 v144, v121, v12
	v_add_f32_e32 v2, v2, v6
	v_fma_f32 v5, v118, v10, -v5
	v_mul_f32_e32 v6, v123, v15
	v_add_f32_e32 v3, v3, v142
	v_fma_f32 v4, v120, v12, -v4
	v_dual_mul_f32 v146, v124, v17 :: v_dual_mul_f32 v147, v126, v19
	s_delay_alu instid0(VALU_DEP_3) | instskip(SKIP_1) | instid1(VALU_DEP_3)
	v_dual_add_f32 v2, v2, v5 :: v_dual_add_f32 v3, v3, v143
	v_mul_f32_e32 v5, v125, v17
	v_dual_fmac_f32 v145, v123, v14 :: v_dual_fmac_f32 v146, v125, v16
	v_fma_f32 v6, v122, v14, -v6
	s_delay_alu instid0(VALU_DEP_4) | instskip(SKIP_4) | instid1(VALU_DEP_4)
	v_add_f32_e32 v2, v2, v4
	v_add_f32_e32 v3, v3, v144
	v_mul_f32_e32 v4, v127, v19
	v_fma_f32 v5, v124, v16, -v5
	v_fmac_f32_e32 v147, v127, v18
	v_dual_add_f32 v2, v2, v6 :: v_dual_add_f32 v3, v3, v145
	v_fmac_f32_e32 v148, v129, v20
	v_mul_f32_e32 v6, v129, v21
	v_fma_f32 v4, v126, v18, -v4
	s_delay_alu instid0(VALU_DEP_4) | instskip(SKIP_1) | instid1(VALU_DEP_2)
	v_dual_add_f32 v2, v2, v5 :: v_dual_add_f32 v3, v3, v146
	v_dual_mul_f32 v149, v130, v107 :: v_dual_mul_f32 v150, v132, v109
	v_dual_mul_f32 v5, v131, v107 :: v_dual_add_f32 v2, v2, v4
	v_fma_f32 v6, v128, v20, -v6
	s_delay_alu instid0(VALU_DEP_4) | instskip(NEXT) | instid1(VALU_DEP_4)
	v_dual_add_f32 v3, v3, v147 :: v_dual_mul_f32 v4, v133, v109
	v_dual_fmac_f32 v149, v131, v106 :: v_dual_fmac_f32 v150, v133, v108
	s_delay_alu instid0(VALU_DEP_4) | instskip(NEXT) | instid1(VALU_DEP_3)
	v_fma_f32 v5, v130, v106, -v5
	v_dual_add_f32 v2, v2, v6 :: v_dual_add_f32 v3, v3, v148
	v_mul_f32_e32 v6, v139, v135
	v_fma_f32 v4, v132, v108, -v4
	s_delay_alu instid0(VALU_DEP_3) | instskip(NEXT) | instid1(VALU_DEP_4)
	v_dual_fmac_f32 v151, v139, v134 :: v_dual_add_f32 v2, v2, v5
	v_add_f32_e32 v3, v3, v149
	s_delay_alu instid0(VALU_DEP_4) | instskip(NEXT) | instid1(VALU_DEP_2)
	v_fma_f32 v5, v138, v134, -v6
	v_dual_add_f32 v2, v2, v4 :: v_dual_add_f32 v3, v3, v150
	s_delay_alu instid0(VALU_DEP_1) | instskip(SKIP_1) | instid1(VALU_DEP_1)
	v_dual_add_f32 v2, v2, v5 :: v_dual_add_f32 v3, v3, v151
	s_wait_loadcnt 0x0
	v_dual_sub_f32 v2, v136, v2 :: v_dual_sub_f32 v3, v137, v3
	scratch_store_b64 off, v[2:3], off offset:216
	v_cmpx_lt_u32_e32 26, v0
	s_cbranch_execz .LBB40_207
; %bb.206:
	scratch_load_b64 v[3:4], off, off offset:208
	v_mov_b32_e32 v2, v1
	scratch_store_b64 off, v[1:2], off offset:208
	s_wait_loadcnt 0x0
	ds_store_b64 v23, v[3:4]
.LBB40_207:
	s_wait_alu 0xfffe
	s_or_b32 exec_lo, exec_lo, s0
	s_wait_storecnt_dscnt 0x0
	s_barrier_signal -1
	s_barrier_wait -1
	global_inv scope:SCOPE_SE
	s_clause 0x7
	scratch_load_b128 v[2:5], off, off offset:216
	scratch_load_b128 v[6:9], off, off offset:232
	;; [unrolled: 1-line block ×7, first 2 shown]
	scratch_load_b64 v[142:143], off, off offset:208
	ds_load_2addr_b64 v[114:117], v1 offset0:69 offset1:70
	ds_load_2addr_b64 v[118:121], v1 offset0:71 offset1:72
	;; [unrolled: 1-line block ×7, first 2 shown]
	s_mov_b32 s0, exec_lo
	s_wait_loadcnt_dscnt 0x706
	v_dual_mul_f32 v1, v114, v3 :: v_dual_mul_f32 v22, v116, v5
	v_mul_f32_e32 v3, v115, v3
	s_wait_loadcnt_dscnt 0x605
	v_dual_mul_f32 v5, v117, v5 :: v_dual_mul_f32 v144, v118, v7
	s_delay_alu instid0(VALU_DEP_3) | instskip(NEXT) | instid1(VALU_DEP_3)
	v_dual_mul_f32 v145, v120, v9 :: v_dual_fmac_f32 v22, v117, v4
	v_fma_f32 v3, v114, v2, -v3
	v_fmac_f32_e32 v1, v115, v2
	v_mul_f32_e32 v2, v119, v7
	v_fma_f32 v4, v116, v4, -v5
	s_delay_alu instid0(VALU_DEP_4)
	v_dual_fmac_f32 v144, v119, v6 :: v_dual_add_f32 v3, 0, v3
	s_wait_loadcnt_dscnt 0x302
	v_dual_mul_f32 v150, v130, v19 :: v_dual_mul_f32 v151, v132, v21
	v_fma_f32 v2, v118, v6, -v2
	v_dual_mul_f32 v146, v122, v11 :: v_dual_mul_f32 v147, v124, v13
	v_add_f32_e32 v3, v3, v4
	v_dual_mul_f32 v5, v121, v9 :: v_dual_mul_f32 v148, v126, v15
	v_dual_mul_f32 v149, v128, v17 :: v_dual_mul_f32 v4, v123, v11
	s_delay_alu instid0(VALU_DEP_3) | instskip(NEXT) | instid1(VALU_DEP_3)
	v_add_f32_e32 v2, v3, v2
	v_fma_f32 v5, v120, v8, -v5
	v_dual_mul_f32 v3, v125, v13 :: v_dual_fmac_f32 v150, v131, v18
	s_delay_alu instid0(VALU_DEP_4) | instskip(SKIP_1) | instid1(VALU_DEP_4)
	v_fma_f32 v4, v122, v10, -v4
	v_dual_fmac_f32 v145, v121, v8 :: v_dual_fmac_f32 v146, v123, v10
	v_add_f32_e32 v2, v2, v5
	v_add_f32_e32 v1, 0, v1
	v_fma_f32 v3, v124, v12, -v3
	v_fmac_f32_e32 v148, v127, v14
	s_wait_loadcnt_dscnt 0x201
	v_dual_mul_f32 v152, v134, v107 :: v_dual_mul_f32 v153, v136, v109
	v_dual_add_f32 v1, v1, v22 :: v_dual_add_f32 v2, v2, v4
	v_mul_f32_e32 v4, v129, v17
	s_wait_loadcnt_dscnt 0x100
	v_dual_mul_f32 v154, v138, v111 :: v_dual_mul_f32 v155, v140, v113
	s_delay_alu instid0(VALU_DEP_3) | instskip(NEXT) | instid1(VALU_DEP_3)
	v_dual_add_f32 v1, v1, v144 :: v_dual_add_f32 v2, v2, v3
	v_fma_f32 v4, v128, v16, -v4
	v_mul_f32_e32 v5, v127, v15
	v_fmac_f32_e32 v153, v137, v108
	s_delay_alu instid0(VALU_DEP_4) | instskip(SKIP_1) | instid1(VALU_DEP_4)
	v_add_f32_e32 v1, v1, v145
	v_dual_fmac_f32 v155, v141, v112 :: v_dual_fmac_f32 v152, v135, v106
	v_fma_f32 v5, v126, v14, -v5
	v_fmac_f32_e32 v147, v125, v12
	s_delay_alu instid0(VALU_DEP_4) | instskip(SKIP_1) | instid1(VALU_DEP_4)
	v_add_f32_e32 v1, v1, v146
	v_fmac_f32_e32 v154, v139, v110
	v_add_f32_e32 v2, v2, v5
	s_delay_alu instid0(VALU_DEP_1) | instskip(SKIP_2) | instid1(VALU_DEP_2)
	v_add_f32_e32 v2, v2, v4
	v_mul_f32_e32 v4, v135, v107
	v_add_f32_e32 v1, v1, v147
	v_fma_f32 v4, v134, v106, -v4
	v_mul_f32_e32 v5, v133, v21
	s_delay_alu instid0(VALU_DEP_3) | instskip(NEXT) | instid1(VALU_DEP_2)
	v_add_f32_e32 v1, v1, v148
	v_fma_f32 v5, v132, v20, -v5
	v_mul_f32_e32 v3, v131, v19
	s_delay_alu instid0(VALU_DEP_1) | instskip(NEXT) | instid1(VALU_DEP_1)
	v_fma_f32 v3, v130, v18, -v3
	v_dual_fmac_f32 v149, v129, v16 :: v_dual_add_f32 v2, v2, v3
	v_mul_f32_e32 v3, v137, v109
	s_delay_alu instid0(VALU_DEP_2) | instskip(NEXT) | instid1(VALU_DEP_2)
	v_dual_add_f32 v2, v2, v5 :: v_dual_mul_f32 v5, v139, v111
	v_fma_f32 v3, v136, v108, -v3
	s_delay_alu instid0(VALU_DEP_2) | instskip(SKIP_1) | instid1(VALU_DEP_4)
	v_dual_add_f32 v2, v2, v4 :: v_dual_add_f32 v1, v1, v149
	v_mul_f32_e32 v4, v141, v113
	v_fma_f32 v5, v138, v110, -v5
	s_delay_alu instid0(VALU_DEP_3) | instskip(NEXT) | instid1(VALU_DEP_3)
	v_dual_add_f32 v2, v2, v3 :: v_dual_fmac_f32 v151, v133, v20
	v_fma_f32 v3, v140, v112, -v4
	s_delay_alu instid0(VALU_DEP_2) | instskip(NEXT) | instid1(VALU_DEP_1)
	v_dual_add_f32 v2, v2, v5 :: v_dual_add_f32 v1, v1, v150
	v_add_f32_e32 v2, v2, v3
	s_delay_alu instid0(VALU_DEP_2) | instskip(NEXT) | instid1(VALU_DEP_1)
	v_add_f32_e32 v1, v1, v151
	v_add_f32_e32 v1, v1, v152
	s_delay_alu instid0(VALU_DEP_1) | instskip(NEXT) | instid1(VALU_DEP_1)
	v_add_f32_e32 v1, v1, v153
	v_add_f32_e32 v1, v1, v154
	s_delay_alu instid0(VALU_DEP_1) | instskip(SKIP_1) | instid1(VALU_DEP_1)
	v_add_f32_e32 v3, v1, v155
	s_wait_loadcnt 0x0
	v_dual_sub_f32 v1, v142, v2 :: v_dual_sub_f32 v2, v143, v3
	scratch_store_b64 off, v[1:2], off offset:208
	v_cmpx_lt_u32_e32 25, v0
	s_cbranch_execz .LBB40_209
; %bb.208:
	scratch_load_b64 v[1:2], off, off offset:200
	v_mov_b32_e32 v3, 0
	s_delay_alu instid0(VALU_DEP_1)
	v_mov_b32_e32 v4, v3
	scratch_store_b64 off, v[3:4], off offset:200
	s_wait_loadcnt 0x0
	ds_store_b64 v23, v[1:2]
.LBB40_209:
	s_wait_alu 0xfffe
	s_or_b32 exec_lo, exec_lo, s0
	s_wait_storecnt_dscnt 0x0
	s_barrier_signal -1
	s_barrier_wait -1
	global_inv scope:SCOPE_SE
	s_clause 0x8
	scratch_load_b128 v[2:5], off, off offset:208
	scratch_load_b128 v[6:9], off, off offset:224
	;; [unrolled: 1-line block ×7, first 2 shown]
	scratch_load_b64 v[142:143], off, off offset:320
	scratch_load_b64 v[144:145], off, off offset:200
	v_mov_b32_e32 v1, 0
	ds_load_b128 v[114:117], v1 offset:544
	ds_load_b128 v[118:121], v1 offset:560
	;; [unrolled: 1-line block ×7, first 2 shown]
	ds_load_b64 v[146:147], v1 offset:656
	s_mov_b32 s0, exec_lo
	s_wait_loadcnt_dscnt 0x807
	v_mul_f32_e32 v22, v114, v3
	v_dual_mul_f32 v3, v115, v3 :: v_dual_mul_f32 v148, v116, v5
	s_wait_loadcnt_dscnt 0x706
	v_mul_f32_e32 v149, v118, v7
	v_mul_f32_e32 v5, v117, v5
	s_wait_loadcnt_dscnt 0x302
	v_mul_f32_e32 v158, v136, v109
	v_fma_f32 v3, v114, v2, -v3
	s_wait_loadcnt_dscnt 0x100
	v_dual_mul_f32 v161, v146, v143 :: v_dual_fmac_f32 v22, v115, v2
	v_mul_f32_e32 v2, v119, v7
	s_delay_alu instid0(VALU_DEP_3) | instskip(SKIP_4) | instid1(VALU_DEP_4)
	v_dual_fmac_f32 v148, v117, v4 :: v_dual_add_f32 v3, 0, v3
	v_fma_f32 v4, v116, v4, -v5
	v_dual_mul_f32 v150, v120, v9 :: v_dual_mul_f32 v151, v122, v11
	v_add_f32_e32 v5, 0, v22
	v_fma_f32 v2, v118, v6, -v2
	v_add_f32_e32 v3, v3, v4
	v_mul_f32_e32 v7, v121, v9
	v_dual_fmac_f32 v150, v121, v8 :: v_dual_fmac_f32 v149, v119, v6
	v_add_f32_e32 v4, v5, v148
	s_delay_alu instid0(VALU_DEP_4) | instskip(NEXT) | instid1(VALU_DEP_4)
	v_add_f32_e32 v2, v3, v2
	v_fma_f32 v6, v120, v8, -v7
	v_dual_mul_f32 v5, v123, v11 :: v_dual_mul_f32 v152, v124, v13
	v_mul_f32_e32 v153, v126, v15
	v_add_f32_e32 v3, v4, v149
	v_mul_f32_e32 v4, v125, v13
	v_add_f32_e32 v2, v2, v6
	v_fma_f32 v5, v122, v10, -v5
	v_dual_fmac_f32 v151, v123, v10 :: v_dual_fmac_f32 v152, v125, v12
	v_mul_f32_e32 v6, v127, v15
	s_delay_alu instid0(VALU_DEP_3) | instskip(SKIP_2) | instid1(VALU_DEP_4)
	v_dual_add_f32 v3, v3, v150 :: v_dual_add_f32 v2, v2, v5
	v_fma_f32 v4, v124, v12, -v4
	v_mul_f32_e32 v5, v129, v17
	v_fma_f32 v6, v126, v14, -v6
	s_delay_alu instid0(VALU_DEP_4) | instskip(SKIP_3) | instid1(VALU_DEP_4)
	v_dual_add_f32 v3, v3, v151 :: v_dual_mul_f32 v154, v128, v17
	v_mul_f32_e32 v155, v130, v19
	v_add_f32_e32 v2, v2, v4
	v_dual_mul_f32 v156, v132, v21 :: v_dual_mul_f32 v157, v134, v107
	v_dual_fmac_f32 v153, v127, v14 :: v_dual_fmac_f32 v154, v129, v16
	s_delay_alu instid0(VALU_DEP_3) | instskip(SKIP_3) | instid1(VALU_DEP_4)
	v_dual_add_f32 v3, v3, v152 :: v_dual_add_f32 v2, v2, v6
	v_mul_f32_e32 v4, v131, v19
	v_fma_f32 v5, v128, v16, -v5
	v_dual_mul_f32 v6, v133, v21 :: v_dual_fmac_f32 v155, v131, v18
	v_dual_add_f32 v3, v3, v153 :: v_dual_fmac_f32 v156, v133, v20
	s_delay_alu instid0(VALU_DEP_4) | instskip(NEXT) | instid1(VALU_DEP_4)
	v_fma_f32 v4, v130, v18, -v4
	v_add_f32_e32 v2, v2, v5
	s_delay_alu instid0(VALU_DEP_4) | instskip(NEXT) | instid1(VALU_DEP_4)
	v_fma_f32 v6, v132, v20, -v6
	v_add_f32_e32 v3, v3, v154
	v_mul_f32_e32 v5, v135, v107
	v_dual_mul_f32 v159, v138, v111 :: v_dual_mul_f32 v160, v140, v113
	s_delay_alu instid0(VALU_DEP_3) | instskip(SKIP_1) | instid1(VALU_DEP_4)
	v_dual_add_f32 v2, v2, v4 :: v_dual_add_f32 v3, v3, v155
	v_mul_f32_e32 v4, v137, v109
	v_fma_f32 v5, v134, v106, -v5
	v_dual_fmac_f32 v157, v135, v106 :: v_dual_fmac_f32 v158, v137, v108
	s_delay_alu instid0(VALU_DEP_4) | instskip(SKIP_2) | instid1(VALU_DEP_3)
	v_dual_add_f32 v2, v2, v6 :: v_dual_add_f32 v3, v3, v156
	v_mul_f32_e32 v6, v139, v111
	v_fma_f32 v4, v136, v108, -v4
	v_dual_fmac_f32 v159, v139, v110 :: v_dual_add_f32 v2, v2, v5
	s_delay_alu instid0(VALU_DEP_4) | instskip(SKIP_3) | instid1(VALU_DEP_4)
	v_add_f32_e32 v3, v3, v157
	v_mul_f32_e32 v5, v141, v113
	v_fma_f32 v6, v138, v110, -v6
	v_fmac_f32_e32 v160, v141, v112
	v_dual_add_f32 v2, v2, v4 :: v_dual_add_f32 v3, v3, v158
	v_mul_f32_e32 v4, v147, v143
	v_fma_f32 v5, v140, v112, -v5
	s_delay_alu instid0(VALU_DEP_3) | instskip(SKIP_1) | instid1(VALU_DEP_4)
	v_dual_add_f32 v2, v2, v6 :: v_dual_add_f32 v3, v3, v159
	v_fmac_f32_e32 v161, v147, v142
	v_fma_f32 v4, v146, v142, -v4
	s_delay_alu instid0(VALU_DEP_3) | instskip(NEXT) | instid1(VALU_DEP_1)
	v_add_f32_e32 v2, v2, v5
	v_add_f32_e32 v2, v2, v4
	s_wait_loadcnt 0x0
	s_delay_alu instid0(VALU_DEP_1) | instskip(NEXT) | instid1(VALU_DEP_1)
	v_dual_add_f32 v3, v3, v160 :: v_dual_sub_f32 v2, v144, v2
	v_add_f32_e32 v3, v3, v161
	s_delay_alu instid0(VALU_DEP_1)
	v_sub_f32_e32 v3, v145, v3
	scratch_store_b64 off, v[2:3], off offset:200
	v_cmpx_lt_u32_e32 24, v0
	s_cbranch_execz .LBB40_211
; %bb.210:
	scratch_load_b64 v[3:4], off, off offset:192
	v_mov_b32_e32 v2, v1
	scratch_store_b64 off, v[1:2], off offset:192
	s_wait_loadcnt 0x0
	ds_store_b64 v23, v[3:4]
.LBB40_211:
	s_wait_alu 0xfffe
	s_or_b32 exec_lo, exec_lo, s0
	s_wait_storecnt_dscnt 0x0
	s_barrier_signal -1
	s_barrier_wait -1
	global_inv scope:SCOPE_SE
	s_clause 0x8
	scratch_load_b128 v[2:5], off, off offset:200
	scratch_load_b128 v[6:9], off, off offset:216
	;; [unrolled: 1-line block ×8, first 2 shown]
	scratch_load_b64 v[150:151], off, off offset:192
	ds_load_2addr_b64 v[118:121], v1 offset0:67 offset1:68
	ds_load_2addr_b64 v[122:125], v1 offset0:69 offset1:70
	;; [unrolled: 1-line block ×8, first 2 shown]
	s_mov_b32 s0, exec_lo
	s_wait_loadcnt_dscnt 0x807
	v_dual_mul_f32 v1, v118, v3 :: v_dual_mul_f32 v22, v120, v5
	v_mul_f32_e32 v3, v119, v3
	s_wait_loadcnt_dscnt 0x706
	v_dual_mul_f32 v5, v121, v5 :: v_dual_mul_f32 v152, v122, v7
	s_delay_alu instid0(VALU_DEP_3) | instskip(NEXT) | instid1(VALU_DEP_3)
	v_dual_mul_f32 v153, v124, v9 :: v_dual_fmac_f32 v22, v121, v4
	v_fma_f32 v3, v118, v2, -v3
	v_fmac_f32_e32 v1, v119, v2
	v_mul_f32_e32 v2, v123, v7
	v_fma_f32 v4, v120, v4, -v5
	s_delay_alu instid0(VALU_DEP_4)
	v_dual_fmac_f32 v152, v123, v6 :: v_dual_add_f32 v3, 0, v3
	s_wait_loadcnt_dscnt 0x403
	v_dual_mul_f32 v158, v134, v19 :: v_dual_mul_f32 v159, v136, v21
	v_fma_f32 v2, v122, v6, -v2
	v_dual_mul_f32 v154, v126, v11 :: v_dual_mul_f32 v155, v128, v13
	v_add_f32_e32 v3, v3, v4
	v_dual_mul_f32 v5, v125, v9 :: v_dual_mul_f32 v156, v130, v15
	v_dual_mul_f32 v157, v132, v17 :: v_dual_mul_f32 v4, v127, v11
	s_delay_alu instid0(VALU_DEP_3) | instskip(NEXT) | instid1(VALU_DEP_3)
	v_add_f32_e32 v2, v3, v2
	v_fma_f32 v5, v124, v8, -v5
	v_dual_mul_f32 v3, v129, v13 :: v_dual_fmac_f32 v158, v135, v18
	s_delay_alu instid0(VALU_DEP_4) | instskip(SKIP_1) | instid1(VALU_DEP_4)
	v_fma_f32 v4, v126, v10, -v4
	v_dual_fmac_f32 v153, v125, v8 :: v_dual_fmac_f32 v154, v127, v10
	v_add_f32_e32 v2, v2, v5
	v_add_f32_e32 v1, 0, v1
	v_fma_f32 v3, v128, v12, -v3
	v_fmac_f32_e32 v156, v131, v14
	s_wait_loadcnt_dscnt 0x302
	v_dual_mul_f32 v160, v138, v107 :: v_dual_mul_f32 v161, v140, v109
	v_dual_add_f32 v1, v1, v22 :: v_dual_add_f32 v2, v2, v4
	v_mul_f32_e32 v4, v133, v17
	s_wait_loadcnt_dscnt 0x100
	v_dual_mul_f32 v164, v146, v115 :: v_dual_mul_f32 v165, v148, v117
	s_delay_alu instid0(VALU_DEP_3) | instskip(NEXT) | instid1(VALU_DEP_3)
	v_dual_add_f32 v1, v1, v152 :: v_dual_add_f32 v2, v2, v3
	v_fma_f32 v4, v132, v16, -v4
	v_mul_f32_e32 v5, v131, v15
	v_dual_mul_f32 v162, v142, v111 :: v_dual_mul_f32 v163, v144, v113
	s_delay_alu instid0(VALU_DEP_4) | instskip(SKIP_1) | instid1(VALU_DEP_4)
	v_add_f32_e32 v1, v1, v153
	v_fmac_f32_e32 v165, v149, v116
	v_fma_f32 v5, v130, v14, -v5
	v_dual_fmac_f32 v155, v129, v12 :: v_dual_fmac_f32 v160, v139, v106
	s_delay_alu instid0(VALU_DEP_4) | instskip(NEXT) | instid1(VALU_DEP_3)
	v_add_f32_e32 v1, v1, v154
	v_dual_fmac_f32 v163, v145, v112 :: v_dual_add_f32 v2, v2, v5
	v_fmac_f32_e32 v162, v143, v110
	v_fmac_f32_e32 v164, v147, v114
	s_delay_alu instid0(VALU_DEP_3) | instskip(SKIP_2) | instid1(VALU_DEP_2)
	v_add_f32_e32 v2, v2, v4
	v_mul_f32_e32 v4, v139, v107
	v_add_f32_e32 v1, v1, v155
	v_fma_f32 v4, v138, v106, -v4
	v_mul_f32_e32 v5, v137, v21
	s_delay_alu instid0(VALU_DEP_3) | instskip(NEXT) | instid1(VALU_DEP_2)
	v_add_f32_e32 v1, v1, v156
	v_fma_f32 v5, v136, v20, -v5
	v_mul_f32_e32 v3, v135, v19
	s_delay_alu instid0(VALU_DEP_1) | instskip(NEXT) | instid1(VALU_DEP_1)
	v_fma_f32 v3, v134, v18, -v3
	v_dual_fmac_f32 v157, v133, v16 :: v_dual_add_f32 v2, v2, v3
	v_mul_f32_e32 v3, v141, v109
	s_delay_alu instid0(VALU_DEP_2) | instskip(NEXT) | instid1(VALU_DEP_2)
	v_dual_add_f32 v2, v2, v5 :: v_dual_mul_f32 v5, v143, v111
	v_fma_f32 v3, v140, v108, -v3
	s_delay_alu instid0(VALU_DEP_2) | instskip(SKIP_1) | instid1(VALU_DEP_4)
	v_dual_add_f32 v2, v2, v4 :: v_dual_add_f32 v1, v1, v157
	v_mul_f32_e32 v4, v145, v113
	v_fma_f32 v5, v142, v110, -v5
	s_delay_alu instid0(VALU_DEP_3) | instskip(SKIP_1) | instid1(VALU_DEP_4)
	v_dual_add_f32 v2, v2, v3 :: v_dual_fmac_f32 v159, v137, v20
	v_mul_f32_e32 v3, v147, v115
	v_fma_f32 v4, v144, v112, -v4
	s_delay_alu instid0(VALU_DEP_3) | instskip(SKIP_1) | instid1(VALU_DEP_4)
	v_dual_add_f32 v2, v2, v5 :: v_dual_add_f32 v1, v1, v158
	v_mul_f32_e32 v5, v149, v117
	v_fma_f32 v3, v146, v114, -v3
	s_delay_alu instid0(VALU_DEP_3) | instskip(SKIP_1) | instid1(VALU_DEP_4)
	v_add_f32_e32 v2, v2, v4
	v_fmac_f32_e32 v161, v141, v108
	v_fma_f32 v4, v148, v116, -v5
	s_delay_alu instid0(VALU_DEP_3) | instskip(NEXT) | instid1(VALU_DEP_1)
	v_add_f32_e32 v2, v2, v3
	v_dual_add_f32 v1, v1, v159 :: v_dual_add_f32 v2, v2, v4
	s_delay_alu instid0(VALU_DEP_1) | instskip(NEXT) | instid1(VALU_DEP_1)
	v_add_f32_e32 v1, v1, v160
	v_add_f32_e32 v1, v1, v161
	s_delay_alu instid0(VALU_DEP_1) | instskip(NEXT) | instid1(VALU_DEP_1)
	v_add_f32_e32 v1, v1, v162
	v_add_f32_e32 v1, v1, v163
	;; [unrolled: 3-line block ×3, first 2 shown]
	s_wait_loadcnt 0x0
	s_delay_alu instid0(VALU_DEP_1)
	v_dual_sub_f32 v1, v150, v2 :: v_dual_sub_f32 v2, v151, v3
	scratch_store_b64 off, v[1:2], off offset:192
	v_cmpx_lt_u32_e32 23, v0
	s_cbranch_execz .LBB40_213
; %bb.212:
	scratch_load_b64 v[1:2], off, off offset:184
	v_mov_b32_e32 v3, 0
	s_delay_alu instid0(VALU_DEP_1)
	v_mov_b32_e32 v4, v3
	scratch_store_b64 off, v[3:4], off offset:184
	s_wait_loadcnt 0x0
	ds_store_b64 v23, v[1:2]
.LBB40_213:
	s_wait_alu 0xfffe
	s_or_b32 exec_lo, exec_lo, s0
	s_wait_storecnt_dscnt 0x0
	s_barrier_signal -1
	s_barrier_wait -1
	global_inv scope:SCOPE_SE
	s_clause 0x9
	scratch_load_b128 v[2:5], off, off offset:192
	scratch_load_b128 v[6:9], off, off offset:208
	;; [unrolled: 1-line block ×8, first 2 shown]
	scratch_load_b64 v[150:151], off, off offset:320
	scratch_load_b64 v[152:153], off, off offset:184
	v_mov_b32_e32 v1, 0
	ds_load_b128 v[118:121], v1 offset:528
	ds_load_b128 v[122:125], v1 offset:544
	;; [unrolled: 1-line block ×8, first 2 shown]
	ds_load_b64 v[154:155], v1 offset:656
	s_mov_b32 s0, exec_lo
	s_wait_loadcnt_dscnt 0x908
	v_mul_f32_e32 v22, v118, v3
	s_wait_loadcnt_dscnt 0x807
	v_dual_mul_f32 v156, v120, v5 :: v_dual_mul_f32 v157, v122, v7
	v_mul_f32_e32 v3, v119, v3
	s_delay_alu instid0(VALU_DEP_3)
	v_dual_mul_f32 v5, v121, v5 :: v_dual_fmac_f32 v22, v119, v2
	s_wait_loadcnt_dscnt 0x302
	v_mul_f32_e32 v168, v144, v113
	v_dual_mul_f32 v158, v124, v9 :: v_dual_mul_f32 v159, v126, v11
	s_wait_loadcnt_dscnt 0x100
	v_mul_f32_e32 v171, v154, v151
	v_fma_f32 v3, v118, v2, -v3
	v_mul_f32_e32 v2, v123, v7
	v_fmac_f32_e32 v156, v121, v4
	v_fma_f32 v4, v120, v4, -v5
	v_dual_add_f32 v5, 0, v22 :: v_dual_fmac_f32 v158, v125, v8
	v_add_f32_e32 v3, 0, v3
	v_fmac_f32_e32 v157, v123, v6
	v_fma_f32 v2, v122, v6, -v2
	v_dual_mul_f32 v160, v128, v13 :: v_dual_mul_f32 v161, v130, v15
	s_delay_alu instid0(VALU_DEP_4) | instskip(SKIP_2) | instid1(VALU_DEP_4)
	v_add_f32_e32 v3, v3, v4
	v_mul_f32_e32 v7, v125, v9
	v_dual_add_f32 v4, v5, v156 :: v_dual_fmac_f32 v159, v127, v10
	v_fmac_f32_e32 v160, v129, v12
	s_delay_alu instid0(VALU_DEP_4) | instskip(NEXT) | instid1(VALU_DEP_4)
	v_add_f32_e32 v2, v3, v2
	v_fma_f32 v6, v124, v8, -v7
	v_mul_f32_e32 v5, v127, v11
	v_add_f32_e32 v3, v4, v157
	v_mul_f32_e32 v4, v129, v13
	v_dual_mul_f32 v162, v132, v17 :: v_dual_mul_f32 v163, v134, v19
	v_add_f32_e32 v2, v2, v6
	v_fma_f32 v5, v126, v10, -v5
	v_mul_f32_e32 v6, v131, v15
	v_add_f32_e32 v3, v3, v158
	v_fma_f32 v4, v128, v12, -v4
	v_dual_fmac_f32 v161, v131, v14 :: v_dual_fmac_f32 v162, v133, v16
	s_delay_alu instid0(VALU_DEP_3) | instskip(SKIP_3) | instid1(VALU_DEP_4)
	v_dual_add_f32 v2, v2, v5 :: v_dual_add_f32 v3, v3, v159
	v_mul_f32_e32 v5, v133, v17
	v_fma_f32 v6, v130, v14, -v6
	v_dual_mul_f32 v164, v136, v21 :: v_dual_mul_f32 v165, v138, v107
	v_add_f32_e32 v2, v2, v4
	v_add_f32_e32 v3, v3, v160
	v_mul_f32_e32 v4, v135, v19
	v_fma_f32 v5, v132, v16, -v5
	v_fmac_f32_e32 v163, v135, v18
	s_delay_alu instid0(VALU_DEP_4) | instskip(SKIP_3) | instid1(VALU_DEP_4)
	v_dual_add_f32 v2, v2, v6 :: v_dual_add_f32 v3, v3, v161
	v_fmac_f32_e32 v164, v137, v20
	v_mul_f32_e32 v6, v137, v21
	v_fma_f32 v4, v134, v18, -v4
	v_dual_add_f32 v2, v2, v5 :: v_dual_add_f32 v3, v3, v162
	v_mul_f32_e32 v5, v139, v107
	s_delay_alu instid0(VALU_DEP_4) | instskip(SKIP_1) | instid1(VALU_DEP_4)
	v_fma_f32 v6, v136, v20, -v6
	v_dual_mul_f32 v166, v140, v109 :: v_dual_mul_f32 v167, v142, v111
	v_dual_add_f32 v2, v2, v4 :: v_dual_add_f32 v3, v3, v163
	v_dual_mul_f32 v4, v141, v109 :: v_dual_fmac_f32 v165, v139, v106
	s_delay_alu instid0(VALU_DEP_3) | instskip(SKIP_1) | instid1(VALU_DEP_4)
	v_fmac_f32_e32 v166, v141, v108
	v_fma_f32 v5, v138, v106, -v5
	v_dual_add_f32 v2, v2, v6 :: v_dual_add_f32 v3, v3, v164
	v_mul_f32_e32 v6, v143, v111
	v_fma_f32 v4, v140, v108, -v4
	s_delay_alu instid0(VALU_DEP_3) | instskip(NEXT) | instid1(VALU_DEP_4)
	v_dual_fmac_f32 v167, v143, v110 :: v_dual_add_f32 v2, v2, v5
	v_add_f32_e32 v3, v3, v165
	v_mul_f32_e32 v5, v145, v113
	v_fma_f32 v6, v142, v110, -v6
	v_dual_mul_f32 v169, v146, v115 :: v_dual_mul_f32 v170, v148, v117
	s_delay_alu instid0(VALU_DEP_4) | instskip(SKIP_3) | instid1(VALU_DEP_4)
	v_dual_add_f32 v2, v2, v4 :: v_dual_add_f32 v3, v3, v166
	v_fmac_f32_e32 v168, v145, v112
	v_mul_f32_e32 v4, v147, v115
	v_fma_f32 v5, v144, v112, -v5
	v_dual_add_f32 v2, v2, v6 :: v_dual_add_f32 v3, v3, v167
	v_dual_mul_f32 v6, v149, v117 :: v_dual_fmac_f32 v169, v147, v114
	s_delay_alu instid0(VALU_DEP_4) | instskip(NEXT) | instid1(VALU_DEP_3)
	v_fma_f32 v4, v146, v114, -v4
	v_dual_add_f32 v2, v2, v5 :: v_dual_add_f32 v3, v3, v168
	v_dual_mul_f32 v5, v155, v151 :: v_dual_fmac_f32 v170, v149, v116
	s_delay_alu instid0(VALU_DEP_4) | instskip(NEXT) | instid1(VALU_DEP_3)
	v_fma_f32 v6, v148, v116, -v6
	v_dual_add_f32 v2, v2, v4 :: v_dual_add_f32 v3, v3, v169
	s_delay_alu instid0(VALU_DEP_3) | instskip(NEXT) | instid1(VALU_DEP_2)
	v_fma_f32 v4, v154, v150, -v5
	v_add_f32_e32 v3, v3, v170
	s_delay_alu instid0(VALU_DEP_3) | instskip(NEXT) | instid1(VALU_DEP_1)
	v_add_f32_e32 v2, v2, v6
	v_dual_fmac_f32 v171, v155, v150 :: v_dual_add_f32 v2, v2, v4
	s_wait_loadcnt 0x0
	s_delay_alu instid0(VALU_DEP_1) | instskip(NEXT) | instid1(VALU_DEP_1)
	v_dual_add_f32 v3, v3, v171 :: v_dual_sub_f32 v2, v152, v2
	v_sub_f32_e32 v3, v153, v3
	scratch_store_b64 off, v[2:3], off offset:184
	v_cmpx_lt_u32_e32 22, v0
	s_cbranch_execz .LBB40_215
; %bb.214:
	scratch_load_b64 v[3:4], off, off offset:176
	v_mov_b32_e32 v2, v1
	scratch_store_b64 off, v[1:2], off offset:176
	s_wait_loadcnt 0x0
	ds_store_b64 v23, v[3:4]
.LBB40_215:
	s_wait_alu 0xfffe
	s_or_b32 exec_lo, exec_lo, s0
	s_wait_storecnt_dscnt 0x0
	s_barrier_signal -1
	s_barrier_wait -1
	global_inv scope:SCOPE_SE
	s_clause 0x9
	scratch_load_b128 v[2:5], off, off offset:184
	scratch_load_b128 v[6:9], off, off offset:200
	;; [unrolled: 1-line block ×9, first 2 shown]
	scratch_load_b64 v[158:159], off, off offset:176
	ds_load_2addr_b64 v[122:125], v1 offset0:65 offset1:66
	ds_load_2addr_b64 v[126:129], v1 offset0:67 offset1:68
	;; [unrolled: 1-line block ×9, first 2 shown]
	s_mov_b32 s0, exec_lo
	s_wait_loadcnt_dscnt 0x908
	v_dual_mul_f32 v1, v122, v3 :: v_dual_mul_f32 v22, v124, v5
	v_mul_f32_e32 v3, v123, v3
	s_wait_loadcnt_dscnt 0x807
	v_dual_mul_f32 v5, v125, v5 :: v_dual_mul_f32 v160, v126, v7
	s_delay_alu instid0(VALU_DEP_3) | instskip(NEXT) | instid1(VALU_DEP_3)
	v_dual_mul_f32 v161, v128, v9 :: v_dual_fmac_f32 v22, v125, v4
	v_fma_f32 v3, v122, v2, -v3
	v_fmac_f32_e32 v1, v123, v2
	v_mul_f32_e32 v2, v127, v7
	v_fma_f32 v4, v124, v4, -v5
	s_delay_alu instid0(VALU_DEP_4)
	v_dual_fmac_f32 v160, v127, v6 :: v_dual_add_f32 v3, 0, v3
	s_wait_loadcnt_dscnt 0x504
	v_dual_mul_f32 v166, v138, v19 :: v_dual_mul_f32 v167, v140, v21
	v_fma_f32 v2, v126, v6, -v2
	v_dual_mul_f32 v162, v130, v11 :: v_dual_mul_f32 v163, v132, v13
	v_add_f32_e32 v3, v3, v4
	v_dual_mul_f32 v5, v129, v9 :: v_dual_mul_f32 v164, v134, v15
	v_dual_mul_f32 v165, v136, v17 :: v_dual_mul_f32 v4, v131, v11
	s_delay_alu instid0(VALU_DEP_3) | instskip(NEXT) | instid1(VALU_DEP_3)
	v_add_f32_e32 v2, v3, v2
	v_fma_f32 v5, v128, v8, -v5
	v_dual_mul_f32 v3, v133, v13 :: v_dual_fmac_f32 v166, v139, v18
	s_delay_alu instid0(VALU_DEP_4) | instskip(SKIP_1) | instid1(VALU_DEP_4)
	v_fma_f32 v4, v130, v10, -v4
	v_dual_fmac_f32 v161, v129, v8 :: v_dual_fmac_f32 v162, v131, v10
	v_add_f32_e32 v2, v2, v5
	v_add_f32_e32 v1, 0, v1
	v_fma_f32 v3, v132, v12, -v3
	v_fmac_f32_e32 v164, v135, v14
	s_wait_loadcnt_dscnt 0x403
	v_dual_mul_f32 v168, v142, v107 :: v_dual_mul_f32 v169, v144, v109
	v_dual_add_f32 v1, v1, v22 :: v_dual_add_f32 v2, v2, v4
	v_mul_f32_e32 v4, v137, v17
	s_wait_loadcnt_dscnt 0x201
	v_dual_mul_f32 v172, v150, v115 :: v_dual_mul_f32 v173, v152, v117
	s_delay_alu instid0(VALU_DEP_3) | instskip(NEXT) | instid1(VALU_DEP_3)
	v_dual_add_f32 v1, v1, v160 :: v_dual_add_f32 v2, v2, v3
	v_fma_f32 v4, v136, v16, -v4
	v_mul_f32_e32 v5, v135, v15
	v_dual_mul_f32 v170, v146, v111 :: v_dual_mul_f32 v171, v148, v113
	s_wait_loadcnt_dscnt 0x100
	v_dual_add_f32 v1, v1, v161 :: v_dual_mul_f32 v174, v154, v119
	v_mul_f32_e32 v175, v156, v121
	v_fma_f32 v5, v134, v14, -v5
	v_fmac_f32_e32 v163, v133, v12
	s_delay_alu instid0(VALU_DEP_4) | instskip(SKIP_1) | instid1(VALU_DEP_4)
	v_add_f32_e32 v1, v1, v162
	v_dual_fmac_f32 v168, v143, v106 :: v_dual_fmac_f32 v169, v145, v108
	v_add_f32_e32 v2, v2, v5
	v_dual_fmac_f32 v170, v147, v110 :: v_dual_fmac_f32 v173, v153, v116
	v_dual_fmac_f32 v175, v157, v120 :: v_dual_fmac_f32 v172, v151, v114
	s_delay_alu instid0(VALU_DEP_3) | instskip(SKIP_2) | instid1(VALU_DEP_2)
	v_add_f32_e32 v2, v2, v4
	v_mul_f32_e32 v4, v143, v107
	v_dual_add_f32 v1, v1, v163 :: v_dual_fmac_f32 v174, v155, v118
	v_fma_f32 v4, v142, v106, -v4
	v_mul_f32_e32 v5, v141, v21
	s_delay_alu instid0(VALU_DEP_3) | instskip(NEXT) | instid1(VALU_DEP_2)
	v_add_f32_e32 v1, v1, v164
	v_fma_f32 v5, v140, v20, -v5
	v_mul_f32_e32 v3, v139, v19
	s_delay_alu instid0(VALU_DEP_1) | instskip(NEXT) | instid1(VALU_DEP_1)
	v_fma_f32 v3, v138, v18, -v3
	v_dual_fmac_f32 v165, v137, v16 :: v_dual_add_f32 v2, v2, v3
	v_mul_f32_e32 v3, v145, v109
	s_delay_alu instid0(VALU_DEP_2) | instskip(NEXT) | instid1(VALU_DEP_2)
	v_dual_add_f32 v2, v2, v5 :: v_dual_mul_f32 v5, v147, v111
	v_fma_f32 v3, v144, v108, -v3
	s_delay_alu instid0(VALU_DEP_2) | instskip(SKIP_1) | instid1(VALU_DEP_4)
	v_dual_add_f32 v2, v2, v4 :: v_dual_add_f32 v1, v1, v165
	v_mul_f32_e32 v4, v149, v113
	v_fma_f32 v5, v146, v110, -v5
	s_delay_alu instid0(VALU_DEP_3) | instskip(NEXT) | instid1(VALU_DEP_3)
	v_dual_add_f32 v2, v2, v3 :: v_dual_fmac_f32 v167, v141, v20
	v_fma_f32 v4, v148, v112, -v4
	s_delay_alu instid0(VALU_DEP_2) | instskip(SKIP_1) | instid1(VALU_DEP_2)
	v_add_f32_e32 v2, v2, v5
	v_mul_f32_e32 v5, v153, v117
	v_dual_add_f32 v1, v1, v166 :: v_dual_add_f32 v2, v2, v4
	s_delay_alu instid0(VALU_DEP_2) | instskip(SKIP_1) | instid1(VALU_DEP_3)
	v_fma_f32 v5, v152, v116, -v5
	v_mul_f32_e32 v3, v151, v115
	v_add_f32_e32 v1, v1, v167
	v_mul_f32_e32 v4, v155, v119
	s_delay_alu instid0(VALU_DEP_3) | instskip(NEXT) | instid1(VALU_DEP_3)
	v_fma_f32 v3, v150, v114, -v3
	v_add_f32_e32 v1, v1, v168
	s_delay_alu instid0(VALU_DEP_3) | instskip(NEXT) | instid1(VALU_DEP_3)
	v_fma_f32 v4, v154, v118, -v4
	v_dual_add_f32 v2, v2, v3 :: v_dual_mul_f32 v3, v157, v121
	s_delay_alu instid0(VALU_DEP_1) | instskip(NEXT) | instid1(VALU_DEP_4)
	v_add_f32_e32 v2, v2, v5
	v_add_f32_e32 v1, v1, v169
	s_delay_alu instid0(VALU_DEP_3) | instskip(NEXT) | instid1(VALU_DEP_3)
	v_fma_f32 v3, v156, v120, -v3
	v_add_f32_e32 v2, v2, v4
	v_fmac_f32_e32 v171, v149, v112
	s_delay_alu instid0(VALU_DEP_2) | instskip(NEXT) | instid1(VALU_DEP_1)
	v_dual_add_f32 v1, v1, v170 :: v_dual_add_f32 v2, v2, v3
	v_add_f32_e32 v1, v1, v171
	s_delay_alu instid0(VALU_DEP_1) | instskip(NEXT) | instid1(VALU_DEP_1)
	v_add_f32_e32 v1, v1, v172
	v_add_f32_e32 v1, v1, v173
	s_delay_alu instid0(VALU_DEP_1) | instskip(NEXT) | instid1(VALU_DEP_1)
	v_add_f32_e32 v1, v1, v174
	v_add_f32_e32 v3, v1, v175
	s_wait_loadcnt 0x0
	s_delay_alu instid0(VALU_DEP_1)
	v_dual_sub_f32 v1, v158, v2 :: v_dual_sub_f32 v2, v159, v3
	scratch_store_b64 off, v[1:2], off offset:176
	v_cmpx_lt_u32_e32 21, v0
	s_cbranch_execz .LBB40_217
; %bb.216:
	scratch_load_b64 v[1:2], off, off offset:168
	v_mov_b32_e32 v3, 0
	s_delay_alu instid0(VALU_DEP_1)
	v_mov_b32_e32 v4, v3
	scratch_store_b64 off, v[3:4], off offset:168
	s_wait_loadcnt 0x0
	ds_store_b64 v23, v[1:2]
.LBB40_217:
	s_wait_alu 0xfffe
	s_or_b32 exec_lo, exec_lo, s0
	s_wait_storecnt_dscnt 0x0
	s_barrier_signal -1
	s_barrier_wait -1
	global_inv scope:SCOPE_SE
	s_clause 0xa
	scratch_load_b128 v[2:5], off, off offset:176
	scratch_load_b128 v[6:9], off, off offset:192
	;; [unrolled: 1-line block ×9, first 2 shown]
	scratch_load_b64 v[158:159], off, off offset:320
	scratch_load_b64 v[160:161], off, off offset:168
	v_mov_b32_e32 v1, 0
	ds_load_b128 v[122:125], v1 offset:512
	ds_load_b128 v[126:129], v1 offset:528
	;; [unrolled: 1-line block ×9, first 2 shown]
	ds_load_b64 v[162:163], v1 offset:656
	s_mov_b32 s0, exec_lo
	s_wait_loadcnt_dscnt 0xa09
	v_mul_f32_e32 v22, v122, v3
	s_wait_loadcnt_dscnt 0x908
	v_dual_mul_f32 v164, v124, v5 :: v_dual_mul_f32 v165, v126, v7
	v_mul_f32_e32 v3, v123, v3
	s_delay_alu instid0(VALU_DEP_3)
	v_dual_mul_f32 v5, v125, v5 :: v_dual_fmac_f32 v22, v123, v2
	s_wait_loadcnt_dscnt 0x807
	v_dual_mul_f32 v166, v128, v9 :: v_dual_mul_f32 v167, v130, v11
	s_wait_loadcnt_dscnt 0x100
	v_dual_mul_f32 v178, v152, v117 :: v_dual_mul_f32 v181, v162, v159
	v_fma_f32 v3, v122, v2, -v3
	v_mul_f32_e32 v2, v127, v7
	v_fmac_f32_e32 v164, v125, v4
	v_fma_f32 v4, v124, v4, -v5
	v_dual_add_f32 v5, 0, v22 :: v_dual_fmac_f32 v166, v129, v8
	v_add_f32_e32 v3, 0, v3
	v_fmac_f32_e32 v165, v127, v6
	v_fma_f32 v2, v126, v6, -v2
	v_dual_mul_f32 v168, v132, v13 :: v_dual_mul_f32 v169, v134, v15
	s_delay_alu instid0(VALU_DEP_4) | instskip(SKIP_2) | instid1(VALU_DEP_4)
	v_add_f32_e32 v3, v3, v4
	v_mul_f32_e32 v7, v129, v9
	v_dual_add_f32 v4, v5, v164 :: v_dual_fmac_f32 v167, v131, v10
	v_fmac_f32_e32 v168, v133, v12
	s_delay_alu instid0(VALU_DEP_4) | instskip(NEXT) | instid1(VALU_DEP_4)
	v_add_f32_e32 v2, v3, v2
	v_fma_f32 v6, v128, v8, -v7
	v_mul_f32_e32 v5, v131, v11
	v_add_f32_e32 v3, v4, v165
	v_mul_f32_e32 v4, v133, v13
	v_dual_mul_f32 v170, v136, v17 :: v_dual_mul_f32 v171, v138, v19
	v_add_f32_e32 v2, v2, v6
	v_fma_f32 v5, v130, v10, -v5
	v_mul_f32_e32 v6, v135, v15
	v_add_f32_e32 v3, v3, v166
	v_fma_f32 v4, v132, v12, -v4
	v_dual_fmac_f32 v169, v135, v14 :: v_dual_fmac_f32 v170, v137, v16
	s_delay_alu instid0(VALU_DEP_3) | instskip(SKIP_3) | instid1(VALU_DEP_4)
	v_dual_add_f32 v2, v2, v5 :: v_dual_add_f32 v3, v3, v167
	v_mul_f32_e32 v5, v137, v17
	v_fma_f32 v6, v134, v14, -v6
	v_dual_mul_f32 v172, v140, v21 :: v_dual_mul_f32 v173, v142, v107
	v_add_f32_e32 v2, v2, v4
	v_add_f32_e32 v3, v3, v168
	v_mul_f32_e32 v4, v139, v19
	v_fma_f32 v5, v136, v16, -v5
	v_fmac_f32_e32 v171, v139, v18
	s_delay_alu instid0(VALU_DEP_4) | instskip(SKIP_3) | instid1(VALU_DEP_4)
	v_dual_add_f32 v2, v2, v6 :: v_dual_add_f32 v3, v3, v169
	v_fmac_f32_e32 v172, v141, v20
	v_mul_f32_e32 v6, v141, v21
	v_fma_f32 v4, v138, v18, -v4
	v_dual_add_f32 v2, v2, v5 :: v_dual_add_f32 v3, v3, v170
	v_mul_f32_e32 v5, v143, v107
	s_delay_alu instid0(VALU_DEP_4) | instskip(SKIP_1) | instid1(VALU_DEP_4)
	v_fma_f32 v6, v140, v20, -v6
	v_dual_mul_f32 v174, v144, v109 :: v_dual_mul_f32 v175, v146, v111
	v_dual_add_f32 v2, v2, v4 :: v_dual_add_f32 v3, v3, v171
	v_dual_mul_f32 v4, v145, v109 :: v_dual_fmac_f32 v173, v143, v106
	s_delay_alu instid0(VALU_DEP_3) | instskip(SKIP_1) | instid1(VALU_DEP_4)
	v_fmac_f32_e32 v174, v145, v108
	v_fma_f32 v5, v142, v106, -v5
	v_dual_add_f32 v2, v2, v6 :: v_dual_add_f32 v3, v3, v172
	v_mul_f32_e32 v6, v147, v111
	v_fma_f32 v4, v144, v108, -v4
	s_delay_alu instid0(VALU_DEP_3) | instskip(NEXT) | instid1(VALU_DEP_4)
	v_dual_fmac_f32 v175, v147, v110 :: v_dual_add_f32 v2, v2, v5
	v_add_f32_e32 v3, v3, v173
	v_dual_mul_f32 v176, v148, v113 :: v_dual_mul_f32 v177, v150, v115
	v_mul_f32_e32 v5, v149, v113
	v_fma_f32 v6, v146, v110, -v6
	s_delay_alu instid0(VALU_DEP_4) | instskip(NEXT) | instid1(VALU_DEP_4)
	v_dual_add_f32 v2, v2, v4 :: v_dual_add_f32 v3, v3, v174
	v_fmac_f32_e32 v176, v149, v112
	v_mul_f32_e32 v4, v151, v115
	v_fma_f32 v5, v148, v112, -v5
	s_delay_alu instid0(VALU_DEP_4) | instskip(SKIP_1) | instid1(VALU_DEP_4)
	v_dual_add_f32 v2, v2, v6 :: v_dual_add_f32 v3, v3, v175
	v_dual_mul_f32 v6, v153, v117 :: v_dual_fmac_f32 v177, v151, v114
	v_fma_f32 v4, v150, v114, -v4
	s_delay_alu instid0(VALU_DEP_3) | instskip(SKIP_3) | instid1(VALU_DEP_4)
	v_dual_add_f32 v2, v2, v5 :: v_dual_add_f32 v3, v3, v176
	v_dual_mul_f32 v179, v154, v119 :: v_dual_mul_f32 v180, v156, v121
	v_dual_mul_f32 v5, v155, v119 :: v_dual_fmac_f32 v178, v153, v116
	v_fma_f32 v6, v152, v116, -v6
	v_dual_add_f32 v2, v2, v4 :: v_dual_add_f32 v3, v3, v177
	s_delay_alu instid0(VALU_DEP_4) | instskip(NEXT) | instid1(VALU_DEP_4)
	v_dual_mul_f32 v4, v157, v121 :: v_dual_fmac_f32 v179, v155, v118
	v_fma_f32 v5, v154, v118, -v5
	s_delay_alu instid0(VALU_DEP_3) | instskip(NEXT) | instid1(VALU_DEP_4)
	v_dual_fmac_f32 v180, v157, v120 :: v_dual_add_f32 v3, v3, v178
	v_add_f32_e32 v2, v2, v6
	v_mul_f32_e32 v6, v163, v159
	v_fma_f32 v4, v156, v120, -v4
	v_fmac_f32_e32 v181, v163, v158
	s_delay_alu instid0(VALU_DEP_4) | instskip(NEXT) | instid1(VALU_DEP_4)
	v_dual_add_f32 v3, v3, v179 :: v_dual_add_f32 v2, v2, v5
	v_fma_f32 v5, v162, v158, -v6
	s_delay_alu instid0(VALU_DEP_2) | instskip(NEXT) | instid1(VALU_DEP_1)
	v_add_f32_e32 v3, v3, v180
	v_dual_add_f32 v2, v2, v4 :: v_dual_add_f32 v3, v3, v181
	s_wait_loadcnt 0x0
	s_delay_alu instid0(VALU_DEP_1) | instskip(NEXT) | instid1(VALU_DEP_1)
	v_dual_add_f32 v2, v2, v5 :: v_dual_sub_f32 v3, v161, v3
	v_sub_f32_e32 v2, v160, v2
	scratch_store_b64 off, v[2:3], off offset:168
	v_cmpx_lt_u32_e32 20, v0
	s_cbranch_execz .LBB40_219
; %bb.218:
	scratch_load_b64 v[3:4], off, off offset:160
	v_mov_b32_e32 v2, v1
	scratch_store_b64 off, v[1:2], off offset:160
	s_wait_loadcnt 0x0
	ds_store_b64 v23, v[3:4]
.LBB40_219:
	s_wait_alu 0xfffe
	s_or_b32 exec_lo, exec_lo, s0
	s_wait_storecnt_dscnt 0x0
	s_barrier_signal -1
	s_barrier_wait -1
	global_inv scope:SCOPE_SE
	s_clause 0xa
	scratch_load_b128 v[2:5], off, off offset:168
	scratch_load_b128 v[6:9], off, off offset:184
	;; [unrolled: 1-line block ×10, first 2 shown]
	scratch_load_b64 v[166:167], off, off offset:160
	ds_load_2addr_b64 v[126:129], v1 offset0:63 offset1:64
	ds_load_2addr_b64 v[130:133], v1 offset0:65 offset1:66
	;; [unrolled: 1-line block ×10, first 2 shown]
	s_mov_b32 s0, exec_lo
	s_wait_loadcnt_dscnt 0xa09
	v_dual_mul_f32 v1, v126, v3 :: v_dual_mul_f32 v22, v128, v5
	v_mul_f32_e32 v3, v127, v3
	s_wait_loadcnt_dscnt 0x908
	v_dual_mul_f32 v5, v129, v5 :: v_dual_mul_f32 v168, v130, v7
	s_delay_alu instid0(VALU_DEP_3) | instskip(NEXT) | instid1(VALU_DEP_3)
	v_dual_mul_f32 v169, v132, v9 :: v_dual_fmac_f32 v22, v129, v4
	v_fma_f32 v3, v126, v2, -v3
	v_fmac_f32_e32 v1, v127, v2
	v_mul_f32_e32 v2, v131, v7
	v_fma_f32 v4, v128, v4, -v5
	s_delay_alu instid0(VALU_DEP_4)
	v_dual_fmac_f32 v168, v131, v6 :: v_dual_add_f32 v3, 0, v3
	s_wait_loadcnt_dscnt 0x605
	v_dual_mul_f32 v174, v142, v19 :: v_dual_mul_f32 v175, v144, v21
	v_fma_f32 v2, v130, v6, -v2
	v_dual_mul_f32 v170, v134, v11 :: v_dual_mul_f32 v171, v136, v13
	v_add_f32_e32 v3, v3, v4
	v_dual_mul_f32 v5, v133, v9 :: v_dual_mul_f32 v172, v138, v15
	v_dual_mul_f32 v173, v140, v17 :: v_dual_mul_f32 v4, v135, v11
	s_delay_alu instid0(VALU_DEP_3) | instskip(NEXT) | instid1(VALU_DEP_3)
	v_add_f32_e32 v2, v3, v2
	v_fma_f32 v5, v132, v8, -v5
	v_dual_mul_f32 v3, v137, v13 :: v_dual_fmac_f32 v174, v143, v18
	s_delay_alu instid0(VALU_DEP_4) | instskip(SKIP_1) | instid1(VALU_DEP_4)
	v_fma_f32 v4, v134, v10, -v4
	v_dual_fmac_f32 v169, v133, v8 :: v_dual_fmac_f32 v170, v135, v10
	v_add_f32_e32 v2, v2, v5
	v_add_f32_e32 v1, 0, v1
	v_fma_f32 v3, v136, v12, -v3
	v_fmac_f32_e32 v172, v139, v14
	s_wait_loadcnt_dscnt 0x504
	v_dual_mul_f32 v176, v146, v107 :: v_dual_mul_f32 v177, v148, v109
	v_dual_add_f32 v1, v1, v22 :: v_dual_add_f32 v2, v2, v4
	v_mul_f32_e32 v4, v141, v17
	s_wait_loadcnt_dscnt 0x302
	v_dual_mul_f32 v180, v154, v115 :: v_dual_mul_f32 v181, v156, v117
	s_delay_alu instid0(VALU_DEP_3) | instskip(NEXT) | instid1(VALU_DEP_3)
	v_dual_add_f32 v1, v1, v168 :: v_dual_add_f32 v2, v2, v3
	v_fma_f32 v4, v140, v16, -v4
	v_mul_f32_e32 v5, v139, v15
	v_dual_mul_f32 v178, v150, v111 :: v_dual_mul_f32 v179, v152, v113
	s_wait_loadcnt_dscnt 0x201
	v_dual_add_f32 v1, v1, v169 :: v_dual_mul_f32 v182, v158, v119
	v_mul_f32_e32 v183, v160, v121
	v_fma_f32 v5, v138, v14, -v5
	v_fmac_f32_e32 v171, v137, v12
	s_delay_alu instid0(VALU_DEP_4) | instskip(SKIP_1) | instid1(VALU_DEP_4)
	v_add_f32_e32 v1, v1, v170
	v_dual_fmac_f32 v176, v147, v106 :: v_dual_fmac_f32 v177, v149, v108
	v_add_f32_e32 v2, v2, v5
	v_fmac_f32_e32 v178, v151, v110
	s_wait_loadcnt_dscnt 0x100
	v_dual_mul_f32 v184, v162, v123 :: v_dual_mul_f32 v185, v164, v125
	v_fmac_f32_e32 v179, v153, v112
	v_add_f32_e32 v2, v2, v4
	v_mul_f32_e32 v4, v147, v107
	s_delay_alu instid0(VALU_DEP_4) | instskip(SKIP_2) | instid1(VALU_DEP_4)
	v_dual_add_f32 v1, v1, v171 :: v_dual_fmac_f32 v184, v163, v122
	v_fmac_f32_e32 v181, v157, v116
	v_fmac_f32_e32 v183, v161, v120
	v_fma_f32 v4, v146, v106, -v4
	v_mul_f32_e32 v5, v145, v21
	v_add_f32_e32 v1, v1, v172
	v_dual_fmac_f32 v185, v165, v124 :: v_dual_fmac_f32 v180, v155, v114
	v_fmac_f32_e32 v182, v159, v118
	s_delay_alu instid0(VALU_DEP_4) | instskip(SKIP_1) | instid1(VALU_DEP_1)
	v_fma_f32 v5, v144, v20, -v5
	v_mul_f32_e32 v3, v143, v19
	v_fma_f32 v3, v142, v18, -v3
	s_delay_alu instid0(VALU_DEP_1) | instskip(SKIP_1) | instid1(VALU_DEP_2)
	v_dual_fmac_f32 v173, v141, v16 :: v_dual_add_f32 v2, v2, v3
	v_mul_f32_e32 v3, v149, v109
	v_dual_add_f32 v2, v2, v5 :: v_dual_mul_f32 v5, v151, v111
	s_delay_alu instid0(VALU_DEP_2) | instskip(NEXT) | instid1(VALU_DEP_2)
	v_fma_f32 v3, v148, v108, -v3
	v_dual_add_f32 v2, v2, v4 :: v_dual_add_f32 v1, v1, v173
	v_mul_f32_e32 v4, v153, v113
	s_delay_alu instid0(VALU_DEP_4) | instskip(NEXT) | instid1(VALU_DEP_3)
	v_fma_f32 v5, v150, v110, -v5
	v_dual_add_f32 v2, v2, v3 :: v_dual_fmac_f32 v175, v145, v20
	s_delay_alu instid0(VALU_DEP_3) | instskip(NEXT) | instid1(VALU_DEP_2)
	v_fma_f32 v4, v152, v112, -v4
	v_add_f32_e32 v2, v2, v5
	v_mul_f32_e32 v5, v157, v117
	s_delay_alu instid0(VALU_DEP_2) | instskip(NEXT) | instid1(VALU_DEP_2)
	v_dual_add_f32 v1, v1, v174 :: v_dual_add_f32 v2, v2, v4
	v_fma_f32 v5, v156, v116, -v5
	v_mul_f32_e32 v3, v155, v115
	s_delay_alu instid0(VALU_DEP_3) | instskip(SKIP_1) | instid1(VALU_DEP_3)
	v_add_f32_e32 v1, v1, v175
	v_mul_f32_e32 v4, v159, v119
	v_fma_f32 v3, v154, v114, -v3
	s_delay_alu instid0(VALU_DEP_3) | instskip(NEXT) | instid1(VALU_DEP_3)
	v_add_f32_e32 v1, v1, v176
	v_fma_f32 v4, v158, v118, -v4
	s_delay_alu instid0(VALU_DEP_3) | instskip(NEXT) | instid1(VALU_DEP_1)
	v_dual_add_f32 v2, v2, v3 :: v_dual_mul_f32 v3, v161, v121
	v_add_f32_e32 v2, v2, v5
	s_delay_alu instid0(VALU_DEP_4) | instskip(SKIP_1) | instid1(VALU_DEP_4)
	v_add_f32_e32 v1, v1, v177
	v_mul_f32_e32 v5, v163, v123
	v_fma_f32 v3, v160, v120, -v3
	s_delay_alu instid0(VALU_DEP_3) | instskip(SKIP_1) | instid1(VALU_DEP_4)
	v_dual_add_f32 v2, v2, v4 :: v_dual_add_f32 v1, v1, v178
	v_mul_f32_e32 v4, v165, v125
	v_fma_f32 v5, v162, v122, -v5
	s_delay_alu instid0(VALU_DEP_3) | instskip(NEXT) | instid1(VALU_DEP_4)
	v_add_f32_e32 v2, v2, v3
	v_add_f32_e32 v1, v1, v179
	s_delay_alu instid0(VALU_DEP_4) | instskip(NEXT) | instid1(VALU_DEP_2)
	v_fma_f32 v3, v164, v124, -v4
	v_dual_add_f32 v2, v2, v5 :: v_dual_add_f32 v1, v1, v180
	s_delay_alu instid0(VALU_DEP_1) | instskip(NEXT) | instid1(VALU_DEP_1)
	v_dual_add_f32 v2, v2, v3 :: v_dual_add_f32 v1, v1, v181
	v_add_f32_e32 v1, v1, v182
	s_delay_alu instid0(VALU_DEP_1) | instskip(NEXT) | instid1(VALU_DEP_1)
	v_add_f32_e32 v1, v1, v183
	v_add_f32_e32 v1, v1, v184
	s_delay_alu instid0(VALU_DEP_1) | instskip(SKIP_1) | instid1(VALU_DEP_1)
	v_add_f32_e32 v3, v1, v185
	s_wait_loadcnt 0x0
	v_dual_sub_f32 v1, v166, v2 :: v_dual_sub_f32 v2, v167, v3
	scratch_store_b64 off, v[1:2], off offset:160
	v_cmpx_lt_u32_e32 19, v0
	s_cbranch_execz .LBB40_221
; %bb.220:
	scratch_load_b64 v[1:2], off, off offset:152
	v_mov_b32_e32 v3, 0
	s_delay_alu instid0(VALU_DEP_1)
	v_mov_b32_e32 v4, v3
	scratch_store_b64 off, v[3:4], off offset:152
	s_wait_loadcnt 0x0
	ds_store_b64 v23, v[1:2]
.LBB40_221:
	s_wait_alu 0xfffe
	s_or_b32 exec_lo, exec_lo, s0
	s_wait_storecnt_dscnt 0x0
	s_barrier_signal -1
	s_barrier_wait -1
	global_inv scope:SCOPE_SE
	s_clause 0xb
	scratch_load_b128 v[2:5], off, off offset:160
	scratch_load_b128 v[6:9], off, off offset:176
	;; [unrolled: 1-line block ×10, first 2 shown]
	scratch_load_b64 v[166:167], off, off offset:320
	scratch_load_b64 v[168:169], off, off offset:152
	v_mov_b32_e32 v1, 0
	ds_load_b128 v[126:129], v1 offset:496
	ds_load_b128 v[130:133], v1 offset:512
	;; [unrolled: 1-line block ×10, first 2 shown]
	ds_load_b64 v[170:171], v1 offset:656
	s_mov_b32 s0, exec_lo
	s_wait_loadcnt_dscnt 0xb0a
	v_mul_f32_e32 v22, v126, v3
	s_wait_loadcnt_dscnt 0xa09
	v_dual_mul_f32 v172, v128, v5 :: v_dual_mul_f32 v173, v130, v7
	v_mul_f32_e32 v5, v129, v5
	v_dual_mul_f32 v3, v127, v3 :: v_dual_mul_f32 v174, v132, v9
	s_wait_loadcnt_dscnt 0x908
	v_dual_mul_f32 v175, v134, v11 :: v_dual_fmac_f32 v22, v127, v2
	s_wait_loadcnt_dscnt 0x302
	v_mul_f32_e32 v188, v160, v121
	v_fma_f32 v3, v126, v2, -v3
	s_wait_loadcnt_dscnt 0x100
	v_mul_f32_e32 v191, v170, v167
	v_mul_f32_e32 v2, v131, v7
	v_fmac_f32_e32 v172, v129, v4
	v_fma_f32 v4, v128, v4, -v5
	v_add_f32_e32 v3, 0, v3
	v_dual_add_f32 v5, 0, v22 :: v_dual_fmac_f32 v174, v133, v8
	v_fmac_f32_e32 v173, v131, v6
	v_fma_f32 v2, v130, v6, -v2
	s_delay_alu instid0(VALU_DEP_4) | instskip(SKIP_3) | instid1(VALU_DEP_4)
	v_add_f32_e32 v3, v3, v4
	v_mul_f32_e32 v7, v133, v9
	v_add_f32_e32 v4, v5, v172
	v_dual_mul_f32 v176, v136, v13 :: v_dual_mul_f32 v177, v138, v15
	v_add_f32_e32 v2, v3, v2
	s_delay_alu instid0(VALU_DEP_4)
	v_fma_f32 v6, v132, v8, -v7
	v_mul_f32_e32 v5, v135, v11
	v_add_f32_e32 v3, v4, v173
	v_dual_mul_f32 v4, v137, v13 :: v_dual_fmac_f32 v175, v135, v10
	v_fmac_f32_e32 v176, v137, v12
	v_add_f32_e32 v2, v2, v6
	v_fma_f32 v5, v134, v10, -v5
	v_mul_f32_e32 v6, v139, v15
	v_add_f32_e32 v3, v3, v174
	v_fma_f32 v4, v136, v12, -v4
	v_dual_mul_f32 v178, v140, v17 :: v_dual_mul_f32 v179, v142, v19
	s_delay_alu instid0(VALU_DEP_3) | instskip(SKIP_1) | instid1(VALU_DEP_3)
	v_dual_add_f32 v2, v2, v5 :: v_dual_add_f32 v3, v3, v175
	v_mul_f32_e32 v5, v141, v17
	v_dual_fmac_f32 v177, v139, v14 :: v_dual_fmac_f32 v178, v141, v16
	v_fma_f32 v6, v138, v14, -v6
	s_delay_alu instid0(VALU_DEP_4) | instskip(SKIP_4) | instid1(VALU_DEP_4)
	v_add_f32_e32 v2, v2, v4
	v_dual_add_f32 v3, v3, v176 :: v_dual_mul_f32 v180, v144, v21
	v_mul_f32_e32 v181, v146, v107
	v_mul_f32_e32 v4, v143, v19
	v_fma_f32 v5, v140, v16, -v5
	v_dual_add_f32 v2, v2, v6 :: v_dual_add_f32 v3, v3, v177
	v_fmac_f32_e32 v180, v145, v20
	v_dual_mul_f32 v6, v145, v21 :: v_dual_fmac_f32 v179, v143, v18
	v_fma_f32 v4, v142, v18, -v4
	s_delay_alu instid0(VALU_DEP_4) | instskip(SKIP_1) | instid1(VALU_DEP_4)
	v_dual_add_f32 v2, v2, v5 :: v_dual_add_f32 v3, v3, v178
	v_mul_f32_e32 v5, v147, v107
	v_fma_f32 v6, v144, v20, -v6
	v_dual_mul_f32 v182, v148, v109 :: v_dual_mul_f32 v183, v150, v111
	s_delay_alu instid0(VALU_DEP_4) | instskip(SKIP_1) | instid1(VALU_DEP_3)
	v_dual_add_f32 v2, v2, v4 :: v_dual_add_f32 v3, v3, v179
	v_dual_mul_f32 v4, v149, v109 :: v_dual_fmac_f32 v181, v147, v106
	v_fmac_f32_e32 v182, v149, v108
	v_fma_f32 v5, v146, v106, -v5
	s_delay_alu instid0(VALU_DEP_4) | instskip(SKIP_2) | instid1(VALU_DEP_3)
	v_dual_add_f32 v2, v2, v6 :: v_dual_add_f32 v3, v3, v180
	v_mul_f32_e32 v6, v151, v111
	v_fma_f32 v4, v148, v108, -v4
	v_dual_fmac_f32 v183, v151, v110 :: v_dual_add_f32 v2, v2, v5
	s_delay_alu instid0(VALU_DEP_4) | instskip(SKIP_3) | instid1(VALU_DEP_4)
	v_add_f32_e32 v3, v3, v181
	v_dual_mul_f32 v184, v152, v113 :: v_dual_mul_f32 v185, v154, v115
	v_mul_f32_e32 v5, v153, v113
	v_fma_f32 v6, v150, v110, -v6
	v_dual_add_f32 v2, v2, v4 :: v_dual_add_f32 v3, v3, v182
	s_delay_alu instid0(VALU_DEP_4) | instskip(SKIP_2) | instid1(VALU_DEP_4)
	v_fmac_f32_e32 v184, v153, v112
	v_mul_f32_e32 v4, v155, v115
	v_fma_f32 v5, v152, v112, -v5
	v_dual_add_f32 v2, v2, v6 :: v_dual_add_f32 v3, v3, v183
	v_dual_mul_f32 v186, v156, v117 :: v_dual_mul_f32 v187, v158, v119
	v_dual_mul_f32 v6, v157, v117 :: v_dual_fmac_f32 v185, v155, v114
	v_fma_f32 v4, v154, v114, -v4
	s_delay_alu instid0(VALU_DEP_4) | instskip(NEXT) | instid1(VALU_DEP_4)
	v_dual_add_f32 v2, v2, v5 :: v_dual_add_f32 v3, v3, v184
	v_dual_mul_f32 v5, v159, v119 :: v_dual_fmac_f32 v186, v157, v116
	s_delay_alu instid0(VALU_DEP_4) | instskip(NEXT) | instid1(VALU_DEP_3)
	v_fma_f32 v6, v156, v116, -v6
	v_dual_add_f32 v2, v2, v4 :: v_dual_add_f32 v3, v3, v185
	v_dual_mul_f32 v4, v161, v121 :: v_dual_fmac_f32 v187, v159, v118
	s_delay_alu instid0(VALU_DEP_4) | instskip(NEXT) | instid1(VALU_DEP_3)
	v_fma_f32 v5, v158, v118, -v5
	v_dual_fmac_f32 v188, v161, v120 :: v_dual_add_f32 v3, v3, v186
	s_delay_alu instid0(VALU_DEP_4) | instskip(SKIP_3) | instid1(VALU_DEP_4)
	v_add_f32_e32 v2, v2, v6
	v_dual_mul_f32 v189, v162, v123 :: v_dual_mul_f32 v190, v164, v125
	v_mul_f32_e32 v6, v163, v123
	v_fma_f32 v4, v160, v120, -v4
	v_dual_add_f32 v3, v3, v187 :: v_dual_add_f32 v2, v2, v5
	s_delay_alu instid0(VALU_DEP_4) | instskip(SKIP_2) | instid1(VALU_DEP_4)
	v_fmac_f32_e32 v189, v163, v122
	v_mul_f32_e32 v5, v165, v125
	v_fma_f32 v6, v162, v122, -v6
	v_add_f32_e32 v3, v3, v188
	v_add_f32_e32 v2, v2, v4
	v_mul_f32_e32 v4, v171, v167
	v_dual_fmac_f32 v190, v165, v124 :: v_dual_fmac_f32 v191, v171, v166
	v_fma_f32 v5, v164, v124, -v5
	s_delay_alu instid0(VALU_DEP_4) | instskip(NEXT) | instid1(VALU_DEP_4)
	v_dual_add_f32 v3, v3, v189 :: v_dual_add_f32 v2, v2, v6
	v_fma_f32 v4, v170, v166, -v4
	s_delay_alu instid0(VALU_DEP_2) | instskip(NEXT) | instid1(VALU_DEP_1)
	v_dual_add_f32 v3, v3, v190 :: v_dual_add_f32 v2, v2, v5
	v_dual_add_f32 v3, v3, v191 :: v_dual_add_f32 v2, v2, v4
	s_wait_loadcnt 0x0
	s_delay_alu instid0(VALU_DEP_1)
	v_dual_sub_f32 v3, v169, v3 :: v_dual_sub_f32 v2, v168, v2
	scratch_store_b64 off, v[2:3], off offset:152
	v_cmpx_lt_u32_e32 18, v0
	s_cbranch_execz .LBB40_223
; %bb.222:
	scratch_load_b64 v[3:4], off, off offset:144
	v_mov_b32_e32 v2, v1
	scratch_store_b64 off, v[1:2], off offset:144
	s_wait_loadcnt 0x0
	ds_store_b64 v23, v[3:4]
.LBB40_223:
	s_wait_alu 0xfffe
	s_or_b32 exec_lo, exec_lo, s0
	s_wait_storecnt_dscnt 0x0
	s_barrier_signal -1
	s_barrier_wait -1
	global_inv scope:SCOPE_SE
	s_clause 0xb
	scratch_load_b128 v[2:5], off, off offset:152
	scratch_load_b128 v[6:9], off, off offset:168
	;; [unrolled: 1-line block ×11, first 2 shown]
	scratch_load_b64 v[174:175], off, off offset:144
	ds_load_2addr_b64 v[130:133], v1 offset0:61 offset1:62
	ds_load_2addr_b64 v[134:137], v1 offset0:63 offset1:64
	;; [unrolled: 1-line block ×11, first 2 shown]
	s_mov_b32 s0, exec_lo
	s_wait_loadcnt_dscnt 0xb0a
	v_dual_mul_f32 v1, v130, v3 :: v_dual_mul_f32 v22, v132, v5
	v_mul_f32_e32 v3, v131, v3
	s_wait_loadcnt_dscnt 0xa09
	v_dual_mul_f32 v5, v133, v5 :: v_dual_mul_f32 v176, v134, v7
	s_delay_alu instid0(VALU_DEP_3) | instskip(NEXT) | instid1(VALU_DEP_3)
	v_dual_mul_f32 v177, v136, v9 :: v_dual_fmac_f32 v22, v133, v4
	v_fma_f32 v3, v130, v2, -v3
	v_fmac_f32_e32 v1, v131, v2
	v_mul_f32_e32 v2, v135, v7
	v_fma_f32 v4, v132, v4, -v5
	s_delay_alu instid0(VALU_DEP_4)
	v_dual_fmac_f32 v176, v135, v6 :: v_dual_add_f32 v3, 0, v3
	s_wait_loadcnt_dscnt 0x706
	v_dual_mul_f32 v182, v146, v19 :: v_dual_mul_f32 v183, v148, v21
	v_fma_f32 v2, v134, v6, -v2
	v_dual_mul_f32 v178, v138, v11 :: v_dual_mul_f32 v179, v140, v13
	v_add_f32_e32 v3, v3, v4
	v_dual_mul_f32 v5, v137, v9 :: v_dual_mul_f32 v180, v142, v15
	v_dual_mul_f32 v181, v144, v17 :: v_dual_mul_f32 v4, v139, v11
	s_delay_alu instid0(VALU_DEP_3) | instskip(NEXT) | instid1(VALU_DEP_3)
	v_add_f32_e32 v2, v3, v2
	v_fma_f32 v5, v136, v8, -v5
	v_dual_mul_f32 v3, v141, v13 :: v_dual_fmac_f32 v182, v147, v18
	s_delay_alu instid0(VALU_DEP_4) | instskip(SKIP_1) | instid1(VALU_DEP_4)
	v_fma_f32 v4, v138, v10, -v4
	v_dual_fmac_f32 v177, v137, v8 :: v_dual_fmac_f32 v178, v139, v10
	v_add_f32_e32 v2, v2, v5
	v_add_f32_e32 v1, 0, v1
	v_fma_f32 v3, v140, v12, -v3
	v_fmac_f32_e32 v180, v143, v14
	s_wait_loadcnt_dscnt 0x605
	v_dual_mul_f32 v184, v150, v107 :: v_dual_mul_f32 v185, v152, v109
	v_dual_add_f32 v1, v1, v22 :: v_dual_add_f32 v2, v2, v4
	v_mul_f32_e32 v4, v145, v17
	s_wait_loadcnt_dscnt 0x403
	v_dual_mul_f32 v188, v158, v115 :: v_dual_mul_f32 v189, v160, v117
	s_delay_alu instid0(VALU_DEP_3) | instskip(NEXT) | instid1(VALU_DEP_3)
	v_dual_add_f32 v1, v1, v176 :: v_dual_add_f32 v2, v2, v3
	v_fma_f32 v4, v144, v16, -v4
	v_mul_f32_e32 v5, v143, v15
	v_dual_mul_f32 v186, v154, v111 :: v_dual_mul_f32 v187, v156, v113
	s_wait_loadcnt_dscnt 0x100
	v_dual_add_f32 v1, v1, v177 :: v_dual_mul_f32 v194, v170, v127
	v_mul_f32_e32 v195, v172, v129
	v_fma_f32 v5, v142, v14, -v5
	v_fmac_f32_e32 v179, v141, v12
	s_delay_alu instid0(VALU_DEP_4)
	v_add_f32_e32 v1, v1, v178
	v_fmac_f32_e32 v184, v151, v106
	v_dual_mul_f32 v190, v162, v119 :: v_dual_mul_f32 v191, v164, v121
	v_add_f32_e32 v2, v2, v5
	v_dual_fmac_f32 v186, v155, v110 :: v_dual_fmac_f32 v185, v153, v108
	v_dual_mul_f32 v192, v166, v123 :: v_dual_mul_f32 v193, v168, v125
	s_delay_alu instid0(VALU_DEP_3) | instskip(SKIP_2) | instid1(VALU_DEP_4)
	v_add_f32_e32 v2, v2, v4
	v_mul_f32_e32 v4, v151, v107
	v_add_f32_e32 v1, v1, v179
	v_dual_fmac_f32 v187, v157, v112 :: v_dual_fmac_f32 v192, v167, v122
	v_fmac_f32_e32 v191, v165, v120
	s_delay_alu instid0(VALU_DEP_4) | instskip(SKIP_4) | instid1(VALU_DEP_4)
	v_fma_f32 v4, v150, v106, -v4
	v_mul_f32_e32 v5, v149, v21
	v_add_f32_e32 v1, v1, v180
	v_dual_fmac_f32 v193, v169, v124 :: v_dual_fmac_f32 v188, v159, v114
	v_fmac_f32_e32 v195, v173, v128
	v_fma_f32 v5, v148, v20, -v5
	v_mul_f32_e32 v3, v147, v19
	v_fmac_f32_e32 v194, v171, v126
	v_fmac_f32_e32 v190, v163, v118
	s_delay_alu instid0(VALU_DEP_3) | instskip(NEXT) | instid1(VALU_DEP_1)
	v_fma_f32 v3, v146, v18, -v3
	v_dual_fmac_f32 v181, v145, v16 :: v_dual_add_f32 v2, v2, v3
	v_mul_f32_e32 v3, v153, v109
	s_delay_alu instid0(VALU_DEP_2) | instskip(NEXT) | instid1(VALU_DEP_2)
	v_dual_add_f32 v2, v2, v5 :: v_dual_mul_f32 v5, v155, v111
	v_fma_f32 v3, v152, v108, -v3
	s_delay_alu instid0(VALU_DEP_2) | instskip(SKIP_1) | instid1(VALU_DEP_4)
	v_dual_add_f32 v2, v2, v4 :: v_dual_add_f32 v1, v1, v181
	v_mul_f32_e32 v4, v157, v113
	v_fma_f32 v5, v154, v110, -v5
	s_delay_alu instid0(VALU_DEP_3) | instskip(NEXT) | instid1(VALU_DEP_3)
	v_dual_add_f32 v2, v2, v3 :: v_dual_fmac_f32 v183, v149, v20
	v_fma_f32 v4, v156, v112, -v4
	s_delay_alu instid0(VALU_DEP_2) | instskip(SKIP_1) | instid1(VALU_DEP_2)
	v_add_f32_e32 v2, v2, v5
	v_mul_f32_e32 v5, v161, v117
	v_dual_add_f32 v1, v1, v182 :: v_dual_add_f32 v2, v2, v4
	s_delay_alu instid0(VALU_DEP_2) | instskip(SKIP_1) | instid1(VALU_DEP_3)
	v_fma_f32 v5, v160, v116, -v5
	v_mul_f32_e32 v3, v159, v115
	v_add_f32_e32 v1, v1, v183
	v_mul_f32_e32 v4, v163, v119
	s_delay_alu instid0(VALU_DEP_3) | instskip(NEXT) | instid1(VALU_DEP_3)
	v_fma_f32 v3, v158, v114, -v3
	v_add_f32_e32 v1, v1, v184
	s_delay_alu instid0(VALU_DEP_3) | instskip(NEXT) | instid1(VALU_DEP_3)
	v_fma_f32 v4, v162, v118, -v4
	v_add_f32_e32 v2, v2, v3
	s_delay_alu instid0(VALU_DEP_1) | instskip(NEXT) | instid1(VALU_DEP_4)
	v_add_f32_e32 v2, v2, v5
	v_add_f32_e32 v1, v1, v185
	s_delay_alu instid0(VALU_DEP_2) | instskip(SKIP_1) | instid1(VALU_DEP_2)
	v_dual_mul_f32 v5, v167, v123 :: v_dual_add_f32 v2, v2, v4
	v_mul_f32_e32 v4, v169, v125
	v_fma_f32 v5, v166, v122, -v5
	s_delay_alu instid0(VALU_DEP_2) | instskip(SKIP_1) | instid1(VALU_DEP_1)
	v_fma_f32 v4, v168, v124, -v4
	v_mul_f32_e32 v3, v165, v121
	v_fma_f32 v3, v164, v120, -v3
	s_delay_alu instid0(VALU_DEP_1) | instskip(NEXT) | instid1(VALU_DEP_1)
	v_dual_add_f32 v1, v1, v186 :: v_dual_add_f32 v2, v2, v3
	v_add_f32_e32 v1, v1, v187
	s_delay_alu instid0(VALU_DEP_2) | instskip(NEXT) | instid1(VALU_DEP_2)
	v_dual_mul_f32 v3, v171, v127 :: v_dual_add_f32 v2, v2, v5
	v_add_f32_e32 v1, v1, v188
	v_mul_f32_e32 v5, v173, v129
	s_delay_alu instid0(VALU_DEP_3) | instskip(NEXT) | instid1(VALU_DEP_4)
	v_fma_f32 v3, v170, v126, -v3
	v_add_f32_e32 v2, v2, v4
	v_fmac_f32_e32 v189, v161, v116
	s_delay_alu instid0(VALU_DEP_4) | instskip(NEXT) | instid1(VALU_DEP_2)
	v_fma_f32 v4, v172, v128, -v5
	v_dual_add_f32 v2, v2, v3 :: v_dual_add_f32 v1, v1, v189
	s_delay_alu instid0(VALU_DEP_1) | instskip(NEXT) | instid1(VALU_DEP_1)
	v_dual_add_f32 v2, v2, v4 :: v_dual_add_f32 v1, v1, v190
	v_add_f32_e32 v1, v1, v191
	s_delay_alu instid0(VALU_DEP_1) | instskip(NEXT) | instid1(VALU_DEP_1)
	v_add_f32_e32 v1, v1, v192
	v_add_f32_e32 v1, v1, v193
	s_delay_alu instid0(VALU_DEP_1) | instskip(NEXT) | instid1(VALU_DEP_1)
	v_add_f32_e32 v1, v1, v194
	v_add_f32_e32 v3, v1, v195
	s_wait_loadcnt 0x0
	s_delay_alu instid0(VALU_DEP_1)
	v_dual_sub_f32 v1, v174, v2 :: v_dual_sub_f32 v2, v175, v3
	scratch_store_b64 off, v[1:2], off offset:144
	v_cmpx_lt_u32_e32 17, v0
	s_cbranch_execz .LBB40_225
; %bb.224:
	scratch_load_b64 v[1:2], off, off offset:136
	v_mov_b32_e32 v3, 0
	s_delay_alu instid0(VALU_DEP_1)
	v_mov_b32_e32 v4, v3
	scratch_store_b64 off, v[3:4], off offset:136
	s_wait_loadcnt 0x0
	ds_store_b64 v23, v[1:2]
.LBB40_225:
	s_wait_alu 0xfffe
	s_or_b32 exec_lo, exec_lo, s0
	s_wait_storecnt_dscnt 0x0
	s_barrier_signal -1
	s_barrier_wait -1
	global_inv scope:SCOPE_SE
	s_clause 0xc
	scratch_load_b128 v[2:5], off, off offset:144
	scratch_load_b128 v[6:9], off, off offset:160
	;; [unrolled: 1-line block ×11, first 2 shown]
	scratch_load_b64 v[174:175], off, off offset:320
	scratch_load_b64 v[176:177], off, off offset:136
	v_mov_b32_e32 v1, 0
	ds_load_b128 v[130:133], v1 offset:480
	ds_load_b128 v[134:137], v1 offset:496
	;; [unrolled: 1-line block ×11, first 2 shown]
	ds_load_b64 v[178:179], v1 offset:656
	s_mov_b32 s0, exec_lo
	s_wait_loadcnt_dscnt 0xc0b
	v_mul_f32_e32 v22, v130, v3
	s_wait_loadcnt_dscnt 0xb0a
	v_dual_mul_f32 v180, v132, v5 :: v_dual_mul_f32 v181, v134, v7
	v_mul_f32_e32 v5, v133, v5
	s_wait_loadcnt_dscnt 0xa09
	v_dual_mul_f32 v182, v136, v9 :: v_dual_mul_f32 v183, v138, v11
	v_mul_f32_e32 v3, v131, v3
	v_fmac_f32_e32 v22, v131, v2
	s_wait_loadcnt_dscnt 0x908
	v_dual_mul_f32 v184, v140, v13 :: v_dual_mul_f32 v185, v142, v15
	s_wait_loadcnt_dscnt 0x100
	v_dual_mul_f32 v198, v168, v125 :: v_dual_mul_f32 v201, v178, v175
	v_fma_f32 v3, v130, v2, -v3
	v_mul_f32_e32 v2, v135, v7
	v_fmac_f32_e32 v180, v133, v4
	v_fma_f32 v4, v132, v4, -v5
	v_dual_add_f32 v5, 0, v22 :: v_dual_fmac_f32 v182, v137, v8
	v_add_f32_e32 v3, 0, v3
	v_fmac_f32_e32 v181, v135, v6
	v_fma_f32 v2, v134, v6, -v2
	v_dual_fmac_f32 v183, v139, v10 :: v_dual_fmac_f32 v184, v141, v12
	s_delay_alu instid0(VALU_DEP_4) | instskip(SKIP_3) | instid1(VALU_DEP_4)
	v_add_f32_e32 v3, v3, v4
	v_mul_f32_e32 v7, v137, v9
	v_add_f32_e32 v4, v5, v180
	v_dual_mul_f32 v186, v144, v17 :: v_dual_mul_f32 v187, v146, v19
	v_add_f32_e32 v2, v3, v2
	s_delay_alu instid0(VALU_DEP_4)
	v_fma_f32 v6, v136, v8, -v7
	v_mul_f32_e32 v5, v139, v11
	v_add_f32_e32 v3, v4, v181
	v_dual_mul_f32 v4, v141, v13 :: v_dual_fmac_f32 v185, v143, v14
	v_fmac_f32_e32 v186, v145, v16
	v_add_f32_e32 v2, v2, v6
	v_fma_f32 v5, v138, v10, -v5
	v_mul_f32_e32 v6, v143, v15
	v_add_f32_e32 v3, v3, v182
	v_fma_f32 v4, v140, v12, -v4
	v_dual_mul_f32 v188, v148, v21 :: v_dual_mul_f32 v189, v150, v107
	s_delay_alu instid0(VALU_DEP_3) | instskip(SKIP_2) | instid1(VALU_DEP_3)
	v_dual_add_f32 v2, v2, v5 :: v_dual_add_f32 v3, v3, v183
	v_mul_f32_e32 v5, v145, v17
	v_fma_f32 v6, v142, v14, -v6
	v_dual_fmac_f32 v187, v147, v18 :: v_dual_add_f32 v2, v2, v4
	s_delay_alu instid0(VALU_DEP_4) | instskip(SKIP_3) | instid1(VALU_DEP_4)
	v_add_f32_e32 v3, v3, v184
	v_mul_f32_e32 v4, v147, v19
	v_fma_f32 v5, v144, v16, -v5
	v_fmac_f32_e32 v188, v149, v20
	v_dual_add_f32 v2, v2, v6 :: v_dual_add_f32 v3, v3, v185
	v_mul_f32_e32 v6, v149, v21
	v_fma_f32 v4, v146, v18, -v4
	v_dual_mul_f32 v190, v152, v109 :: v_dual_mul_f32 v191, v154, v111
	s_delay_alu instid0(VALU_DEP_4) | instskip(SKIP_2) | instid1(VALU_DEP_4)
	v_dual_add_f32 v2, v2, v5 :: v_dual_add_f32 v3, v3, v186
	v_mul_f32_e32 v5, v151, v107
	v_fma_f32 v6, v148, v20, -v6
	v_dual_fmac_f32 v189, v151, v106 :: v_dual_fmac_f32 v190, v153, v108
	s_delay_alu instid0(VALU_DEP_4) | instskip(SKIP_3) | instid1(VALU_DEP_4)
	v_dual_add_f32 v2, v2, v4 :: v_dual_add_f32 v3, v3, v187
	v_mul_f32_e32 v4, v153, v109
	v_fma_f32 v5, v150, v106, -v5
	v_fmac_f32_e32 v191, v155, v110
	v_dual_add_f32 v2, v2, v6 :: v_dual_add_f32 v3, v3, v188
	v_mul_f32_e32 v6, v155, v111
	v_fma_f32 v4, v152, v108, -v4
	v_dual_mul_f32 v192, v156, v113 :: v_dual_mul_f32 v193, v158, v115
	s_delay_alu instid0(VALU_DEP_4) | instskip(SKIP_4) | instid1(VALU_DEP_4)
	v_add_f32_e32 v2, v2, v5
	v_add_f32_e32 v3, v3, v189
	v_mul_f32_e32 v5, v157, v113
	v_fma_f32 v6, v154, v110, -v6
	v_fmac_f32_e32 v192, v157, v112
	v_dual_add_f32 v2, v2, v4 :: v_dual_add_f32 v3, v3, v190
	v_mul_f32_e32 v4, v159, v115
	v_fma_f32 v5, v156, v112, -v5
	v_dual_mul_f32 v194, v160, v117 :: v_dual_mul_f32 v195, v162, v119
	s_delay_alu instid0(VALU_DEP_4) | instskip(SKIP_2) | instid1(VALU_DEP_3)
	v_dual_add_f32 v2, v2, v6 :: v_dual_add_f32 v3, v3, v191
	v_dual_mul_f32 v6, v161, v117 :: v_dual_fmac_f32 v193, v159, v114
	v_fma_f32 v4, v158, v114, -v4
	v_dual_add_f32 v2, v2, v5 :: v_dual_add_f32 v3, v3, v192
	v_dual_mul_f32 v196, v164, v121 :: v_dual_mul_f32 v197, v166, v123
	v_dual_mul_f32 v5, v163, v119 :: v_dual_fmac_f32 v194, v161, v116
	v_fma_f32 v6, v160, v116, -v6
	s_delay_alu instid0(VALU_DEP_4) | instskip(SKIP_1) | instid1(VALU_DEP_4)
	v_dual_add_f32 v2, v2, v4 :: v_dual_add_f32 v3, v3, v193
	v_dual_mul_f32 v4, v165, v121 :: v_dual_fmac_f32 v195, v163, v118
	v_fma_f32 v5, v162, v118, -v5
	s_delay_alu instid0(VALU_DEP_3) | instskip(NEXT) | instid1(VALU_DEP_4)
	v_dual_fmac_f32 v196, v165, v120 :: v_dual_add_f32 v3, v3, v194
	v_add_f32_e32 v2, v2, v6
	v_mul_f32_e32 v6, v167, v123
	v_fma_f32 v4, v164, v120, -v4
	v_fmac_f32_e32 v197, v167, v122
	s_delay_alu instid0(VALU_DEP_4) | instskip(SKIP_3) | instid1(VALU_DEP_4)
	v_dual_add_f32 v3, v3, v195 :: v_dual_add_f32 v2, v2, v5
	v_mul_f32_e32 v5, v169, v125
	v_fma_f32 v6, v166, v122, -v6
	v_dual_mul_f32 v199, v170, v127 :: v_dual_mul_f32 v200, v172, v129
	v_add_f32_e32 v3, v3, v196
	v_add_f32_e32 v2, v2, v4
	v_mul_f32_e32 v4, v171, v127
	s_delay_alu instid0(VALU_DEP_4) | instskip(SKIP_1) | instid1(VALU_DEP_4)
	v_dual_fmac_f32 v198, v169, v124 :: v_dual_fmac_f32 v199, v171, v126
	v_fma_f32 v5, v168, v124, -v5
	v_dual_add_f32 v3, v3, v197 :: v_dual_add_f32 v2, v2, v6
	v_mul_f32_e32 v6, v173, v129
	v_fma_f32 v4, v170, v126, -v4
	v_fmac_f32_e32 v201, v179, v174
	s_delay_alu instid0(VALU_DEP_4) | instskip(SKIP_2) | instid1(VALU_DEP_3)
	v_dual_add_f32 v3, v3, v198 :: v_dual_add_f32 v2, v2, v5
	v_dual_mul_f32 v5, v179, v175 :: v_dual_fmac_f32 v200, v173, v128
	v_fma_f32 v6, v172, v128, -v6
	v_dual_add_f32 v3, v3, v199 :: v_dual_add_f32 v2, v2, v4
	s_delay_alu instid0(VALU_DEP_3) | instskip(NEXT) | instid1(VALU_DEP_2)
	v_fma_f32 v4, v178, v174, -v5
	v_dual_add_f32 v3, v3, v200 :: v_dual_add_f32 v2, v2, v6
	s_delay_alu instid0(VALU_DEP_1) | instskip(SKIP_1) | instid1(VALU_DEP_1)
	v_dual_add_f32 v3, v3, v201 :: v_dual_add_f32 v2, v2, v4
	s_wait_loadcnt 0x0
	v_dual_sub_f32 v3, v177, v3 :: v_dual_sub_f32 v2, v176, v2
	scratch_store_b64 off, v[2:3], off offset:136
	v_cmpx_lt_u32_e32 16, v0
	s_cbranch_execz .LBB40_227
; %bb.226:
	scratch_load_b64 v[3:4], off, off offset:128
	v_mov_b32_e32 v2, v1
	scratch_store_b64 off, v[1:2], off offset:128
	s_wait_loadcnt 0x0
	ds_store_b64 v23, v[3:4]
.LBB40_227:
	s_wait_alu 0xfffe
	s_or_b32 exec_lo, exec_lo, s0
	s_wait_storecnt_dscnt 0x0
	s_barrier_signal -1
	s_barrier_wait -1
	global_inv scope:SCOPE_SE
	s_clause 0xc
	scratch_load_b128 v[2:5], off, off offset:136
	scratch_load_b128 v[6:9], off, off offset:152
	;; [unrolled: 1-line block ×12, first 2 shown]
	scratch_load_b64 v[182:183], off, off offset:128
	ds_load_2addr_b64 v[134:137], v1 offset0:59 offset1:60
	ds_load_2addr_b64 v[138:141], v1 offset0:61 offset1:62
	;; [unrolled: 1-line block ×12, first 2 shown]
	s_mov_b32 s0, exec_lo
	s_wait_loadcnt_dscnt 0xc0b
	v_dual_mul_f32 v1, v134, v3 :: v_dual_mul_f32 v22, v136, v5
	v_mul_f32_e32 v3, v135, v3
	s_wait_loadcnt_dscnt 0xb0a
	v_dual_mul_f32 v5, v137, v5 :: v_dual_mul_f32 v184, v138, v7
	s_delay_alu instid0(VALU_DEP_3) | instskip(NEXT) | instid1(VALU_DEP_3)
	v_dual_mul_f32 v185, v140, v9 :: v_dual_fmac_f32 v22, v137, v4
	v_fma_f32 v3, v134, v2, -v3
	v_fmac_f32_e32 v1, v135, v2
	v_mul_f32_e32 v2, v139, v7
	v_fma_f32 v4, v136, v4, -v5
	s_delay_alu instid0(VALU_DEP_4)
	v_dual_fmac_f32 v184, v139, v6 :: v_dual_add_f32 v3, 0, v3
	s_wait_loadcnt_dscnt 0x807
	v_dual_mul_f32 v190, v150, v19 :: v_dual_mul_f32 v191, v152, v21
	v_fma_f32 v2, v138, v6, -v2
	v_dual_mul_f32 v186, v142, v11 :: v_dual_mul_f32 v187, v144, v13
	v_add_f32_e32 v3, v3, v4
	v_dual_mul_f32 v5, v141, v9 :: v_dual_mul_f32 v188, v146, v15
	v_dual_mul_f32 v189, v148, v17 :: v_dual_mul_f32 v4, v143, v11
	s_delay_alu instid0(VALU_DEP_3) | instskip(NEXT) | instid1(VALU_DEP_3)
	v_add_f32_e32 v2, v3, v2
	v_fma_f32 v5, v140, v8, -v5
	v_dual_mul_f32 v3, v145, v13 :: v_dual_fmac_f32 v190, v151, v18
	s_delay_alu instid0(VALU_DEP_4) | instskip(SKIP_1) | instid1(VALU_DEP_4)
	v_fma_f32 v4, v142, v10, -v4
	v_dual_fmac_f32 v185, v141, v8 :: v_dual_fmac_f32 v186, v143, v10
	v_add_f32_e32 v2, v2, v5
	v_add_f32_e32 v1, 0, v1
	v_fma_f32 v3, v144, v12, -v3
	v_fmac_f32_e32 v188, v147, v14
	s_wait_loadcnt_dscnt 0x706
	v_dual_mul_f32 v192, v154, v107 :: v_dual_mul_f32 v193, v156, v109
	v_dual_add_f32 v1, v1, v22 :: v_dual_add_f32 v2, v2, v4
	v_mul_f32_e32 v4, v149, v17
	s_wait_loadcnt_dscnt 0x504
	v_dual_mul_f32 v196, v162, v115 :: v_dual_mul_f32 v197, v164, v117
	s_delay_alu instid0(VALU_DEP_3) | instskip(NEXT) | instid1(VALU_DEP_3)
	v_dual_add_f32 v1, v1, v184 :: v_dual_add_f32 v2, v2, v3
	v_fma_f32 v4, v148, v16, -v4
	v_mul_f32_e32 v5, v147, v15
	v_dual_mul_f32 v194, v158, v111 :: v_dual_mul_f32 v195, v160, v113
	s_wait_loadcnt_dscnt 0x201
	v_dual_add_f32 v1, v1, v185 :: v_dual_mul_f32 v202, v174, v127
	v_mul_f32_e32 v203, v176, v129
	v_fma_f32 v5, v146, v14, -v5
	v_fmac_f32_e32 v187, v145, v12
	s_delay_alu instid0(VALU_DEP_4)
	v_add_f32_e32 v1, v1, v186
	v_fmac_f32_e32 v192, v155, v106
	v_dual_mul_f32 v198, v166, v119 :: v_dual_mul_f32 v199, v168, v121
	v_add_f32_e32 v2, v2, v5
	v_dual_fmac_f32 v194, v159, v110 :: v_dual_fmac_f32 v193, v157, v108
	v_dual_mul_f32 v200, v170, v123 :: v_dual_mul_f32 v201, v172, v125
	s_delay_alu instid0(VALU_DEP_3) | instskip(SKIP_2) | instid1(VALU_DEP_4)
	v_add_f32_e32 v2, v2, v4
	v_mul_f32_e32 v4, v155, v107
	v_add_f32_e32 v1, v1, v187
	v_dual_fmac_f32 v195, v161, v112 :: v_dual_fmac_f32 v200, v171, v122
	v_fmac_f32_e32 v197, v165, v116
	s_delay_alu instid0(VALU_DEP_4) | instskip(SKIP_4) | instid1(VALU_DEP_3)
	v_fma_f32 v4, v154, v106, -v4
	v_mul_f32_e32 v5, v153, v21
	s_wait_loadcnt_dscnt 0x100
	v_dual_add_f32 v1, v1, v188 :: v_dual_mul_f32 v204, v178, v131
	v_dual_mul_f32 v205, v180, v133 :: v_dual_fmac_f32 v196, v163, v114
	v_fma_f32 v5, v152, v20, -v5
	v_mul_f32_e32 v3, v151, v19
	v_fmac_f32_e32 v203, v177, v128
	s_delay_alu instid0(VALU_DEP_4) | instskip(SKIP_1) | instid1(VALU_DEP_4)
	v_dual_fmac_f32 v205, v181, v132 :: v_dual_fmac_f32 v202, v175, v126
	v_fmac_f32_e32 v198, v167, v118
	v_fma_f32 v3, v150, v18, -v3
	v_dual_fmac_f32 v189, v149, v16 :: v_dual_fmac_f32 v204, v179, v130
	s_delay_alu instid0(VALU_DEP_2) | instskip(NEXT) | instid1(VALU_DEP_1)
	v_dual_add_f32 v2, v2, v3 :: v_dual_mul_f32 v3, v157, v109
	v_dual_add_f32 v2, v2, v5 :: v_dual_mul_f32 v5, v159, v111
	s_delay_alu instid0(VALU_DEP_2) | instskip(NEXT) | instid1(VALU_DEP_2)
	v_fma_f32 v3, v156, v108, -v3
	v_dual_add_f32 v2, v2, v4 :: v_dual_add_f32 v1, v1, v189
	v_mul_f32_e32 v4, v161, v113
	s_delay_alu instid0(VALU_DEP_4) | instskip(NEXT) | instid1(VALU_DEP_3)
	v_fma_f32 v5, v158, v110, -v5
	v_dual_add_f32 v2, v2, v3 :: v_dual_fmac_f32 v191, v153, v20
	s_delay_alu instid0(VALU_DEP_3) | instskip(NEXT) | instid1(VALU_DEP_2)
	v_fma_f32 v4, v160, v112, -v4
	v_add_f32_e32 v2, v2, v5
	v_mul_f32_e32 v5, v165, v117
	s_delay_alu instid0(VALU_DEP_2) | instskip(NEXT) | instid1(VALU_DEP_2)
	v_dual_add_f32 v1, v1, v190 :: v_dual_add_f32 v2, v2, v4
	v_fma_f32 v5, v164, v116, -v5
	v_mul_f32_e32 v3, v163, v115
	s_delay_alu instid0(VALU_DEP_3) | instskip(SKIP_1) | instid1(VALU_DEP_3)
	v_add_f32_e32 v1, v1, v191
	v_mul_f32_e32 v4, v167, v119
	v_fma_f32 v3, v162, v114, -v3
	s_delay_alu instid0(VALU_DEP_3) | instskip(NEXT) | instid1(VALU_DEP_3)
	v_add_f32_e32 v1, v1, v192
	v_fma_f32 v4, v166, v118, -v4
	s_delay_alu instid0(VALU_DEP_3) | instskip(NEXT) | instid1(VALU_DEP_1)
	v_add_f32_e32 v2, v2, v3
	v_add_f32_e32 v2, v2, v5
	s_delay_alu instid0(VALU_DEP_4) | instskip(NEXT) | instid1(VALU_DEP_2)
	v_add_f32_e32 v1, v1, v193
	v_dual_mul_f32 v5, v171, v123 :: v_dual_add_f32 v2, v2, v4
	v_mul_f32_e32 v4, v173, v125
	s_delay_alu instid0(VALU_DEP_2) | instskip(NEXT) | instid1(VALU_DEP_2)
	v_fma_f32 v5, v170, v122, -v5
	v_fma_f32 v4, v172, v124, -v4
	v_mul_f32_e32 v3, v169, v121
	s_delay_alu instid0(VALU_DEP_1) | instskip(NEXT) | instid1(VALU_DEP_1)
	v_fma_f32 v3, v168, v120, -v3
	v_dual_add_f32 v1, v1, v194 :: v_dual_add_f32 v2, v2, v3
	s_delay_alu instid0(VALU_DEP_1) | instskip(NEXT) | instid1(VALU_DEP_2)
	v_add_f32_e32 v1, v1, v195
	v_dual_mul_f32 v3, v175, v127 :: v_dual_add_f32 v2, v2, v5
	v_mul_f32_e32 v5, v177, v129
	s_delay_alu instid0(VALU_DEP_2) | instskip(NEXT) | instid1(VALU_DEP_3)
	v_fma_f32 v3, v174, v126, -v3
	v_add_f32_e32 v2, v2, v4
	v_dual_add_f32 v1, v1, v196 :: v_dual_mul_f32 v4, v179, v131
	s_delay_alu instid0(VALU_DEP_4) | instskip(NEXT) | instid1(VALU_DEP_2)
	v_fma_f32 v5, v176, v128, -v5
	v_dual_add_f32 v2, v2, v3 :: v_dual_add_f32 v1, v1, v197
	v_fmac_f32_e32 v199, v169, v120
	s_delay_alu instid0(VALU_DEP_4) | instskip(SKIP_1) | instid1(VALU_DEP_4)
	v_fma_f32 v4, v178, v130, -v4
	v_mul_f32_e32 v3, v181, v133
	v_dual_add_f32 v2, v2, v5 :: v_dual_add_f32 v1, v1, v198
	s_delay_alu instid0(VALU_DEP_2) | instskip(NEXT) | instid1(VALU_DEP_2)
	v_fma_f32 v3, v180, v132, -v3
	v_dual_add_f32 v2, v2, v4 :: v_dual_add_f32 v1, v1, v199
	s_delay_alu instid0(VALU_DEP_1) | instskip(NEXT) | instid1(VALU_DEP_2)
	v_dual_fmac_f32 v201, v173, v124 :: v_dual_add_f32 v2, v2, v3
	v_add_f32_e32 v1, v1, v200
	s_delay_alu instid0(VALU_DEP_1) | instskip(NEXT) | instid1(VALU_DEP_1)
	v_add_f32_e32 v1, v1, v201
	v_add_f32_e32 v1, v1, v202
	s_delay_alu instid0(VALU_DEP_1) | instskip(NEXT) | instid1(VALU_DEP_1)
	v_add_f32_e32 v1, v1, v203
	v_add_f32_e32 v1, v1, v204
	s_delay_alu instid0(VALU_DEP_1) | instskip(SKIP_1) | instid1(VALU_DEP_1)
	v_add_f32_e32 v3, v1, v205
	s_wait_loadcnt 0x0
	v_dual_sub_f32 v1, v182, v2 :: v_dual_sub_f32 v2, v183, v3
	scratch_store_b64 off, v[1:2], off offset:128
	v_cmpx_lt_u32_e32 15, v0
	s_cbranch_execz .LBB40_229
; %bb.228:
	scratch_load_b64 v[1:2], off, off offset:120
	v_mov_b32_e32 v3, 0
	s_delay_alu instid0(VALU_DEP_1)
	v_mov_b32_e32 v4, v3
	scratch_store_b64 off, v[3:4], off offset:120
	s_wait_loadcnt 0x0
	ds_store_b64 v23, v[1:2]
.LBB40_229:
	s_wait_alu 0xfffe
	s_or_b32 exec_lo, exec_lo, s0
	s_wait_storecnt_dscnt 0x0
	s_barrier_signal -1
	s_barrier_wait -1
	global_inv scope:SCOPE_SE
	s_clause 0xd
	scratch_load_b128 v[2:5], off, off offset:128
	scratch_load_b128 v[6:9], off, off offset:144
	scratch_load_b128 v[10:13], off, off offset:160
	scratch_load_b128 v[14:17], off, off offset:176
	scratch_load_b128 v[18:21], off, off offset:192
	scratch_load_b128 v[106:109], off, off offset:208
	scratch_load_b128 v[110:113], off, off offset:224
	scratch_load_b128 v[114:117], off, off offset:240
	scratch_load_b128 v[118:121], off, off offset:256
	scratch_load_b128 v[122:125], off, off offset:272
	scratch_load_b128 v[126:129], off, off offset:288
	scratch_load_b128 v[130:133], off, off offset:304
	scratch_load_b64 v[182:183], off, off offset:320
	scratch_load_b64 v[184:185], off, off offset:120
	v_mov_b32_e32 v1, 0
	ds_load_b128 v[134:137], v1 offset:464
	ds_load_b128 v[138:141], v1 offset:480
	ds_load_b128 v[142:145], v1 offset:496
	ds_load_b128 v[146:149], v1 offset:512
	ds_load_b128 v[150:153], v1 offset:528
	ds_load_b128 v[154:157], v1 offset:544
	ds_load_b128 v[158:161], v1 offset:560
	ds_load_b128 v[162:165], v1 offset:576
	ds_load_b128 v[166:169], v1 offset:592
	ds_load_b128 v[170:173], v1 offset:608
	ds_load_b128 v[174:177], v1 offset:624
	ds_load_b128 v[178:181], v1 offset:640
	ds_load_b64 v[186:187], v1 offset:656
	s_mov_b32 s0, exec_lo
	s_wait_loadcnt_dscnt 0xd0c
	v_mul_f32_e32 v22, v134, v3
	s_wait_loadcnt_dscnt 0xc0b
	v_dual_mul_f32 v188, v136, v5 :: v_dual_mul_f32 v189, v138, v7
	v_mul_f32_e32 v5, v137, v5
	s_wait_loadcnt_dscnt 0xb0a
	v_dual_mul_f32 v190, v140, v9 :: v_dual_mul_f32 v191, v142, v11
	v_dual_mul_f32 v3, v135, v3 :: v_dual_mul_f32 v192, v144, v13
	s_wait_loadcnt_dscnt 0xa09
	v_dual_mul_f32 v193, v146, v15 :: v_dual_fmac_f32 v22, v135, v2
	s_wait_loadcnt_dscnt 0x302
	v_mul_f32_e32 v208, v176, v129
	v_fma_f32 v3, v134, v2, -v3
	s_wait_loadcnt_dscnt 0x100
	v_mul_f32_e32 v211, v186, v183
	v_mul_f32_e32 v2, v139, v7
	v_fmac_f32_e32 v188, v137, v4
	v_fma_f32 v4, v136, v4, -v5
	v_add_f32_e32 v3, 0, v3
	v_dual_add_f32 v5, 0, v22 :: v_dual_fmac_f32 v190, v141, v8
	v_fmac_f32_e32 v189, v139, v6
	v_fma_f32 v2, v138, v6, -v2
	s_delay_alu instid0(VALU_DEP_4) | instskip(SKIP_3) | instid1(VALU_DEP_4)
	v_add_f32_e32 v3, v3, v4
	v_mul_f32_e32 v7, v141, v9
	v_dual_add_f32 v4, v5, v188 :: v_dual_fmac_f32 v191, v143, v10
	v_fmac_f32_e32 v192, v145, v12
	v_add_f32_e32 v2, v3, v2
	s_delay_alu instid0(VALU_DEP_4)
	v_fma_f32 v6, v140, v8, -v7
	v_mul_f32_e32 v5, v143, v11
	v_add_f32_e32 v3, v4, v189
	v_mul_f32_e32 v4, v145, v13
	v_dual_mul_f32 v194, v148, v17 :: v_dual_mul_f32 v195, v150, v19
	v_add_f32_e32 v2, v2, v6
	v_fma_f32 v5, v142, v10, -v5
	v_mul_f32_e32 v6, v147, v15
	v_add_f32_e32 v3, v3, v190
	v_fma_f32 v4, v144, v12, -v4
	v_dual_fmac_f32 v193, v147, v14 :: v_dual_fmac_f32 v194, v149, v16
	s_delay_alu instid0(VALU_DEP_3) | instskip(SKIP_3) | instid1(VALU_DEP_4)
	v_dual_add_f32 v2, v2, v5 :: v_dual_add_f32 v3, v3, v191
	v_mul_f32_e32 v5, v149, v17
	v_fma_f32 v6, v146, v14, -v6
	v_dual_mul_f32 v196, v152, v21 :: v_dual_mul_f32 v197, v154, v107
	v_add_f32_e32 v2, v2, v4
	v_add_f32_e32 v3, v3, v192
	v_mul_f32_e32 v4, v151, v19
	v_fma_f32 v5, v148, v16, -v5
	v_fmac_f32_e32 v195, v151, v18
	s_delay_alu instid0(VALU_DEP_4) | instskip(SKIP_3) | instid1(VALU_DEP_4)
	v_dual_add_f32 v2, v2, v6 :: v_dual_add_f32 v3, v3, v193
	v_fmac_f32_e32 v196, v153, v20
	v_mul_f32_e32 v6, v153, v21
	v_fma_f32 v4, v150, v18, -v4
	v_dual_add_f32 v2, v2, v5 :: v_dual_add_f32 v3, v3, v194
	v_mul_f32_e32 v5, v155, v107
	s_delay_alu instid0(VALU_DEP_4) | instskip(SKIP_1) | instid1(VALU_DEP_4)
	v_fma_f32 v6, v152, v20, -v6
	v_dual_mul_f32 v198, v156, v109 :: v_dual_mul_f32 v199, v158, v111
	v_dual_add_f32 v2, v2, v4 :: v_dual_add_f32 v3, v3, v195
	v_dual_mul_f32 v4, v157, v109 :: v_dual_fmac_f32 v197, v155, v106
	s_delay_alu instid0(VALU_DEP_3) | instskip(SKIP_1) | instid1(VALU_DEP_4)
	v_fmac_f32_e32 v198, v157, v108
	v_fma_f32 v5, v154, v106, -v5
	v_dual_add_f32 v2, v2, v6 :: v_dual_add_f32 v3, v3, v196
	v_mul_f32_e32 v6, v159, v111
	v_fma_f32 v4, v156, v108, -v4
	s_delay_alu instid0(VALU_DEP_3) | instskip(NEXT) | instid1(VALU_DEP_4)
	v_dual_fmac_f32 v199, v159, v110 :: v_dual_add_f32 v2, v2, v5
	v_add_f32_e32 v3, v3, v197
	v_dual_mul_f32 v200, v160, v113 :: v_dual_mul_f32 v201, v162, v115
	v_mul_f32_e32 v5, v161, v113
	v_fma_f32 v6, v158, v110, -v6
	s_delay_alu instid0(VALU_DEP_4) | instskip(NEXT) | instid1(VALU_DEP_4)
	v_dual_add_f32 v2, v2, v4 :: v_dual_add_f32 v3, v3, v198
	v_fmac_f32_e32 v200, v161, v112
	v_mul_f32_e32 v4, v163, v115
	v_fma_f32 v5, v160, v112, -v5
	s_delay_alu instid0(VALU_DEP_4) | instskip(SKIP_3) | instid1(VALU_DEP_4)
	v_dual_add_f32 v2, v2, v6 :: v_dual_add_f32 v3, v3, v199
	v_dual_mul_f32 v202, v164, v117 :: v_dual_mul_f32 v203, v166, v119
	v_dual_mul_f32 v6, v165, v117 :: v_dual_fmac_f32 v201, v163, v114
	v_fma_f32 v4, v162, v114, -v4
	v_dual_add_f32 v2, v2, v5 :: v_dual_add_f32 v3, v3, v200
	v_dual_mul_f32 v204, v168, v121 :: v_dual_mul_f32 v205, v170, v123
	v_dual_mul_f32 v5, v167, v119 :: v_dual_fmac_f32 v202, v165, v116
	v_fma_f32 v6, v164, v116, -v6
	s_delay_alu instid0(VALU_DEP_4) | instskip(SKIP_1) | instid1(VALU_DEP_4)
	v_dual_add_f32 v2, v2, v4 :: v_dual_add_f32 v3, v3, v201
	v_dual_mul_f32 v4, v169, v121 :: v_dual_fmac_f32 v203, v167, v118
	v_fma_f32 v5, v166, v118, -v5
	s_delay_alu instid0(VALU_DEP_3) | instskip(NEXT) | instid1(VALU_DEP_4)
	v_dual_fmac_f32 v204, v169, v120 :: v_dual_add_f32 v3, v3, v202
	v_add_f32_e32 v2, v2, v6
	v_mul_f32_e32 v6, v171, v123
	v_fma_f32 v4, v168, v120, -v4
	v_dual_mul_f32 v206, v172, v125 :: v_dual_mul_f32 v207, v174, v127
	s_delay_alu instid0(VALU_DEP_4) | instskip(SKIP_3) | instid1(VALU_DEP_4)
	v_dual_add_f32 v3, v3, v203 :: v_dual_add_f32 v2, v2, v5
	v_fmac_f32_e32 v205, v171, v122
	v_mul_f32_e32 v5, v173, v125
	v_fma_f32 v6, v170, v122, -v6
	v_add_f32_e32 v3, v3, v204
	v_add_f32_e32 v2, v2, v4
	v_mul_f32_e32 v4, v175, v127
	v_dual_fmac_f32 v206, v173, v124 :: v_dual_fmac_f32 v207, v175, v126
	v_fma_f32 v5, v172, v124, -v5
	s_delay_alu instid0(VALU_DEP_4) | instskip(SKIP_3) | instid1(VALU_DEP_4)
	v_dual_add_f32 v3, v3, v205 :: v_dual_add_f32 v2, v2, v6
	v_mul_f32_e32 v6, v177, v129
	v_fma_f32 v4, v174, v126, -v4
	v_dual_mul_f32 v209, v178, v131 :: v_dual_mul_f32 v210, v180, v133
	v_dual_add_f32 v2, v2, v5 :: v_dual_mul_f32 v5, v179, v131
	v_dual_add_f32 v3, v3, v206 :: v_dual_fmac_f32 v208, v177, v128
	v_fma_f32 v6, v176, v128, -v6
	s_delay_alu instid0(VALU_DEP_3) | instskip(NEXT) | instid1(VALU_DEP_3)
	v_dual_add_f32 v2, v2, v4 :: v_dual_fmac_f32 v209, v179, v130
	v_dual_add_f32 v3, v3, v207 :: v_dual_mul_f32 v4, v181, v133
	v_fma_f32 v5, v178, v130, -v5
	v_dual_fmac_f32 v210, v181, v132 :: v_dual_fmac_f32 v211, v187, v182
	s_delay_alu instid0(VALU_DEP_3) | instskip(SKIP_2) | instid1(VALU_DEP_3)
	v_dual_add_f32 v3, v3, v208 :: v_dual_add_f32 v2, v2, v6
	v_mul_f32_e32 v6, v187, v183
	v_fma_f32 v4, v180, v132, -v4
	v_add_f32_e32 v3, v3, v209
	s_delay_alu instid0(VALU_DEP_4) | instskip(NEXT) | instid1(VALU_DEP_4)
	v_add_f32_e32 v2, v2, v5
	v_fma_f32 v5, v186, v182, -v6
	s_delay_alu instid0(VALU_DEP_2) | instskip(NEXT) | instid1(VALU_DEP_1)
	v_dual_add_f32 v3, v3, v210 :: v_dual_add_f32 v2, v2, v4
	v_dual_add_f32 v3, v3, v211 :: v_dual_add_f32 v2, v2, v5
	s_wait_loadcnt 0x0
	s_delay_alu instid0(VALU_DEP_1)
	v_dual_sub_f32 v3, v185, v3 :: v_dual_sub_f32 v2, v184, v2
	scratch_store_b64 off, v[2:3], off offset:120
	v_cmpx_lt_u32_e32 14, v0
	s_cbranch_execz .LBB40_231
; %bb.230:
	scratch_load_b64 v[3:4], off, off offset:112
	v_mov_b32_e32 v2, v1
	scratch_store_b64 off, v[1:2], off offset:112
	s_wait_loadcnt 0x0
	ds_store_b64 v23, v[3:4]
.LBB40_231:
	s_wait_alu 0xfffe
	s_or_b32 exec_lo, exec_lo, s0
	s_wait_storecnt_dscnt 0x0
	s_barrier_signal -1
	s_barrier_wait -1
	global_inv scope:SCOPE_SE
	s_clause 0xd
	scratch_load_b128 v[2:5], off, off offset:120
	scratch_load_b128 v[6:9], off, off offset:136
	;; [unrolled: 1-line block ×13, first 2 shown]
	scratch_load_b64 v[190:191], off, off offset:112
	ds_load_2addr_b64 v[138:141], v1 offset0:57 offset1:58
	ds_load_2addr_b64 v[142:145], v1 offset0:59 offset1:60
	;; [unrolled: 1-line block ×13, first 2 shown]
	s_mov_b32 s0, exec_lo
	s_wait_loadcnt_dscnt 0xd0c
	v_dual_mul_f32 v1, v138, v3 :: v_dual_mul_f32 v22, v140, v5
	v_mul_f32_e32 v3, v139, v3
	s_wait_loadcnt_dscnt 0xc0b
	v_dual_mul_f32 v5, v141, v5 :: v_dual_mul_f32 v192, v142, v7
	s_delay_alu instid0(VALU_DEP_3) | instskip(NEXT) | instid1(VALU_DEP_3)
	v_dual_mul_f32 v193, v144, v9 :: v_dual_fmac_f32 v22, v141, v4
	v_fma_f32 v3, v138, v2, -v3
	v_fmac_f32_e32 v1, v139, v2
	v_mul_f32_e32 v2, v143, v7
	v_fma_f32 v4, v140, v4, -v5
	s_delay_alu instid0(VALU_DEP_4)
	v_dual_fmac_f32 v192, v143, v6 :: v_dual_add_f32 v3, 0, v3
	s_wait_loadcnt_dscnt 0x908
	v_dual_mul_f32 v198, v154, v19 :: v_dual_mul_f32 v199, v156, v21
	v_fma_f32 v2, v142, v6, -v2
	v_dual_mul_f32 v194, v146, v11 :: v_dual_mul_f32 v195, v148, v13
	v_add_f32_e32 v3, v3, v4
	v_dual_mul_f32 v5, v145, v9 :: v_dual_mul_f32 v196, v150, v15
	v_dual_mul_f32 v197, v152, v17 :: v_dual_mul_f32 v4, v147, v11
	s_delay_alu instid0(VALU_DEP_3) | instskip(NEXT) | instid1(VALU_DEP_3)
	v_add_f32_e32 v2, v3, v2
	v_fma_f32 v5, v144, v8, -v5
	v_dual_mul_f32 v3, v149, v13 :: v_dual_fmac_f32 v198, v155, v18
	s_delay_alu instid0(VALU_DEP_4) | instskip(SKIP_1) | instid1(VALU_DEP_4)
	v_fma_f32 v4, v146, v10, -v4
	v_dual_fmac_f32 v193, v145, v8 :: v_dual_fmac_f32 v194, v147, v10
	v_add_f32_e32 v2, v2, v5
	v_add_f32_e32 v1, 0, v1
	v_fma_f32 v3, v148, v12, -v3
	v_fmac_f32_e32 v196, v151, v14
	s_wait_loadcnt_dscnt 0x807
	v_dual_mul_f32 v200, v158, v107 :: v_dual_mul_f32 v201, v160, v109
	v_dual_add_f32 v1, v1, v22 :: v_dual_add_f32 v2, v2, v4
	v_mul_f32_e32 v4, v153, v17
	s_wait_loadcnt_dscnt 0x605
	v_dual_mul_f32 v204, v166, v115 :: v_dual_mul_f32 v205, v168, v117
	s_delay_alu instid0(VALU_DEP_3) | instskip(NEXT) | instid1(VALU_DEP_3)
	v_dual_add_f32 v1, v1, v192 :: v_dual_add_f32 v2, v2, v3
	v_fma_f32 v4, v152, v16, -v4
	v_mul_f32_e32 v5, v151, v15
	v_dual_mul_f32 v202, v162, v111 :: v_dual_mul_f32 v203, v164, v113
	s_wait_loadcnt_dscnt 0x302
	v_dual_add_f32 v1, v1, v193 :: v_dual_mul_f32 v210, v178, v127
	v_mul_f32_e32 v211, v180, v129
	v_fma_f32 v5, v150, v14, -v5
	v_fmac_f32_e32 v195, v149, v12
	s_delay_alu instid0(VALU_DEP_4)
	v_add_f32_e32 v1, v1, v194
	v_fmac_f32_e32 v200, v159, v106
	v_dual_mul_f32 v206, v170, v119 :: v_dual_mul_f32 v207, v172, v121
	v_add_f32_e32 v2, v2, v5
	v_dual_fmac_f32 v202, v163, v110 :: v_dual_fmac_f32 v201, v161, v108
	v_dual_mul_f32 v208, v174, v123 :: v_dual_mul_f32 v209, v176, v125
	s_delay_alu instid0(VALU_DEP_3) | instskip(SKIP_2) | instid1(VALU_DEP_4)
	v_add_f32_e32 v2, v2, v4
	v_mul_f32_e32 v4, v159, v107
	v_add_f32_e32 v1, v1, v195
	v_dual_fmac_f32 v203, v165, v112 :: v_dual_fmac_f32 v208, v175, v122
	v_fmac_f32_e32 v205, v169, v116
	s_delay_alu instid0(VALU_DEP_4) | instskip(SKIP_4) | instid1(VALU_DEP_3)
	v_fma_f32 v4, v158, v106, -v4
	v_mul_f32_e32 v5, v157, v21
	s_wait_loadcnt_dscnt 0x201
	v_dual_add_f32 v1, v1, v196 :: v_dual_mul_f32 v212, v182, v131
	v_dual_mul_f32 v213, v184, v133 :: v_dual_fmac_f32 v204, v167, v114
	v_fma_f32 v5, v156, v20, -v5
	v_mul_f32_e32 v3, v155, v19
	s_wait_loadcnt_dscnt 0x100
	v_dual_mul_f32 v214, v186, v135 :: v_dual_mul_f32 v215, v188, v137
	v_fmac_f32_e32 v211, v181, v128
	v_fmac_f32_e32 v213, v185, v132
	v_fma_f32 v3, v154, v18, -v3
	v_fmac_f32_e32 v197, v153, v16
	v_dual_fmac_f32 v215, v189, v136 :: v_dual_fmac_f32 v210, v179, v126
	v_fmac_f32_e32 v206, v171, v118
	s_delay_alu instid0(VALU_DEP_4) | instskip(SKIP_2) | instid1(VALU_DEP_3)
	v_dual_add_f32 v2, v2, v3 :: v_dual_mul_f32 v3, v161, v109
	v_fmac_f32_e32 v212, v183, v130
	v_fmac_f32_e32 v214, v187, v134
	v_dual_add_f32 v2, v2, v5 :: v_dual_mul_f32 v5, v163, v111
	s_delay_alu instid0(VALU_DEP_4) | instskip(NEXT) | instid1(VALU_DEP_2)
	v_fma_f32 v3, v160, v108, -v3
	v_dual_add_f32 v2, v2, v4 :: v_dual_add_f32 v1, v1, v197
	v_mul_f32_e32 v4, v165, v113
	s_delay_alu instid0(VALU_DEP_4) | instskip(NEXT) | instid1(VALU_DEP_3)
	v_fma_f32 v5, v162, v110, -v5
	v_dual_add_f32 v2, v2, v3 :: v_dual_fmac_f32 v199, v157, v20
	s_delay_alu instid0(VALU_DEP_3) | instskip(NEXT) | instid1(VALU_DEP_2)
	v_fma_f32 v4, v164, v112, -v4
	v_add_f32_e32 v2, v2, v5
	v_mul_f32_e32 v5, v169, v117
	s_delay_alu instid0(VALU_DEP_2) | instskip(NEXT) | instid1(VALU_DEP_2)
	v_dual_add_f32 v1, v1, v198 :: v_dual_add_f32 v2, v2, v4
	v_fma_f32 v5, v168, v116, -v5
	v_mul_f32_e32 v3, v167, v115
	s_delay_alu instid0(VALU_DEP_3) | instskip(SKIP_1) | instid1(VALU_DEP_3)
	v_add_f32_e32 v1, v1, v199
	v_mul_f32_e32 v4, v171, v119
	v_fma_f32 v3, v166, v114, -v3
	s_delay_alu instid0(VALU_DEP_3) | instskip(NEXT) | instid1(VALU_DEP_3)
	v_add_f32_e32 v1, v1, v200
	v_fma_f32 v4, v170, v118, -v4
	s_delay_alu instid0(VALU_DEP_3) | instskip(NEXT) | instid1(VALU_DEP_1)
	v_add_f32_e32 v2, v2, v3
	v_add_f32_e32 v2, v2, v5
	s_delay_alu instid0(VALU_DEP_4) | instskip(NEXT) | instid1(VALU_DEP_2)
	v_add_f32_e32 v1, v1, v201
	v_dual_mul_f32 v5, v175, v123 :: v_dual_add_f32 v2, v2, v4
	v_mul_f32_e32 v4, v177, v125
	s_delay_alu instid0(VALU_DEP_2) | instskip(NEXT) | instid1(VALU_DEP_2)
	v_fma_f32 v5, v174, v122, -v5
	v_fma_f32 v4, v176, v124, -v4
	v_mul_f32_e32 v3, v173, v121
	s_delay_alu instid0(VALU_DEP_1) | instskip(NEXT) | instid1(VALU_DEP_1)
	v_fma_f32 v3, v172, v120, -v3
	v_dual_add_f32 v1, v1, v202 :: v_dual_add_f32 v2, v2, v3
	s_delay_alu instid0(VALU_DEP_1) | instskip(NEXT) | instid1(VALU_DEP_2)
	v_add_f32_e32 v1, v1, v203
	v_dual_mul_f32 v3, v179, v127 :: v_dual_add_f32 v2, v2, v5
	v_mul_f32_e32 v5, v181, v129
	s_delay_alu instid0(VALU_DEP_2) | instskip(NEXT) | instid1(VALU_DEP_3)
	v_fma_f32 v3, v178, v126, -v3
	v_add_f32_e32 v2, v2, v4
	v_dual_add_f32 v1, v1, v204 :: v_dual_mul_f32 v4, v183, v131
	s_delay_alu instid0(VALU_DEP_4) | instskip(NEXT) | instid1(VALU_DEP_2)
	v_fma_f32 v5, v180, v128, -v5
	v_dual_add_f32 v2, v2, v3 :: v_dual_add_f32 v1, v1, v205
	v_fmac_f32_e32 v207, v173, v120
	v_mul_f32_e32 v3, v185, v133
	v_fma_f32 v4, v182, v130, -v4
	s_delay_alu instid0(VALU_DEP_4) | instskip(SKIP_1) | instid1(VALU_DEP_4)
	v_dual_add_f32 v2, v2, v5 :: v_dual_add_f32 v1, v1, v206
	v_mul_f32_e32 v5, v187, v135
	v_fma_f32 v3, v184, v132, -v3
	s_delay_alu instid0(VALU_DEP_3) | instskip(SKIP_1) | instid1(VALU_DEP_4)
	v_dual_add_f32 v2, v2, v4 :: v_dual_add_f32 v1, v1, v207
	v_fmac_f32_e32 v209, v177, v124
	v_fma_f32 v5, v186, v134, -v5
	v_mul_f32_e32 v4, v189, v137
	s_delay_alu instid0(VALU_DEP_4) | instskip(NEXT) | instid1(VALU_DEP_2)
	v_dual_add_f32 v2, v2, v3 :: v_dual_add_f32 v1, v1, v208
	v_fma_f32 v3, v188, v136, -v4
	s_delay_alu instid0(VALU_DEP_2) | instskip(NEXT) | instid1(VALU_DEP_1)
	v_add_f32_e32 v2, v2, v5
	v_dual_add_f32 v1, v1, v209 :: v_dual_add_f32 v2, v2, v3
	s_delay_alu instid0(VALU_DEP_1) | instskip(NEXT) | instid1(VALU_DEP_1)
	v_add_f32_e32 v1, v1, v210
	v_add_f32_e32 v1, v1, v211
	s_delay_alu instid0(VALU_DEP_1) | instskip(NEXT) | instid1(VALU_DEP_1)
	v_add_f32_e32 v1, v1, v212
	v_add_f32_e32 v1, v1, v213
	;; [unrolled: 3-line block ×3, first 2 shown]
	s_wait_loadcnt 0x0
	s_delay_alu instid0(VALU_DEP_1)
	v_dual_sub_f32 v1, v190, v2 :: v_dual_sub_f32 v2, v191, v3
	scratch_store_b64 off, v[1:2], off offset:112
	v_cmpx_lt_u32_e32 13, v0
	s_cbranch_execz .LBB40_233
; %bb.232:
	scratch_load_b64 v[1:2], off, off offset:104
	v_mov_b32_e32 v3, 0
	s_delay_alu instid0(VALU_DEP_1)
	v_mov_b32_e32 v4, v3
	scratch_store_b64 off, v[3:4], off offset:104
	s_wait_loadcnt 0x0
	ds_store_b64 v23, v[1:2]
.LBB40_233:
	s_wait_alu 0xfffe
	s_or_b32 exec_lo, exec_lo, s0
	s_wait_storecnt_dscnt 0x0
	s_barrier_signal -1
	s_barrier_wait -1
	global_inv scope:SCOPE_SE
	s_clause 0xe
	scratch_load_b128 v[2:5], off, off offset:112
	scratch_load_b128 v[6:9], off, off offset:128
	;; [unrolled: 1-line block ×13, first 2 shown]
	scratch_load_b64 v[190:191], off, off offset:320
	scratch_load_b64 v[192:193], off, off offset:104
	v_mov_b32_e32 v1, 0
	ds_load_b128 v[138:141], v1 offset:448
	ds_load_b128 v[142:145], v1 offset:464
	;; [unrolled: 1-line block ×13, first 2 shown]
	ds_load_b64 v[194:195], v1 offset:656
	s_mov_b32 s0, exec_lo
	s_wait_loadcnt_dscnt 0xe0d
	v_mul_f32_e32 v22, v138, v3
	s_wait_loadcnt_dscnt 0xd0c
	v_dual_mul_f32 v196, v140, v5 :: v_dual_mul_f32 v197, v142, v7
	v_mul_f32_e32 v5, v141, v5
	s_wait_loadcnt_dscnt 0xc0b
	v_dual_mul_f32 v198, v144, v9 :: v_dual_mul_f32 v199, v146, v11
	s_wait_loadcnt_dscnt 0xb0a
	v_dual_mul_f32 v200, v148, v13 :: v_dual_mul_f32 v201, v150, v15
	v_mul_f32_e32 v3, v139, v3
	v_fmac_f32_e32 v22, v139, v2
	s_delay_alu instid0(VALU_DEP_3)
	v_dual_fmac_f32 v199, v147, v10 :: v_dual_fmac_f32 v200, v149, v12
	s_wait_loadcnt_dscnt 0x100
	v_dual_mul_f32 v218, v184, v133 :: v_dual_mul_f32 v221, v194, v191
	v_fma_f32 v3, v138, v2, -v3
	v_mul_f32_e32 v2, v143, v7
	v_fmac_f32_e32 v196, v141, v4
	v_fma_f32 v4, v140, v4, -v5
	v_dual_add_f32 v5, 0, v22 :: v_dual_fmac_f32 v198, v145, v8
	v_add_f32_e32 v3, 0, v3
	v_fmac_f32_e32 v197, v143, v6
	v_fma_f32 v2, v142, v6, -v2
	v_dual_mul_f32 v202, v152, v17 :: v_dual_mul_f32 v203, v154, v19
	s_delay_alu instid0(VALU_DEP_4) | instskip(SKIP_2) | instid1(VALU_DEP_4)
	v_add_f32_e32 v3, v3, v4
	v_mul_f32_e32 v7, v145, v9
	v_dual_add_f32 v4, v5, v196 :: v_dual_fmac_f32 v201, v151, v14
	v_fmac_f32_e32 v202, v153, v16
	s_delay_alu instid0(VALU_DEP_4) | instskip(NEXT) | instid1(VALU_DEP_4)
	v_add_f32_e32 v2, v3, v2
	v_fma_f32 v6, v144, v8, -v7
	v_mul_f32_e32 v5, v147, v11
	v_add_f32_e32 v3, v4, v197
	v_mul_f32_e32 v4, v149, v13
	v_dual_mul_f32 v204, v156, v21 :: v_dual_mul_f32 v205, v158, v107
	v_add_f32_e32 v2, v2, v6
	v_fma_f32 v5, v146, v10, -v5
	v_mul_f32_e32 v6, v151, v15
	v_add_f32_e32 v3, v3, v198
	v_fma_f32 v4, v148, v12, -v4
	v_dual_mul_f32 v206, v160, v109 :: v_dual_mul_f32 v207, v162, v111
	s_delay_alu instid0(VALU_DEP_3) | instskip(SKIP_2) | instid1(VALU_DEP_3)
	v_dual_add_f32 v2, v2, v5 :: v_dual_add_f32 v3, v3, v199
	v_mul_f32_e32 v5, v153, v17
	v_fma_f32 v6, v150, v14, -v6
	v_dual_fmac_f32 v203, v155, v18 :: v_dual_add_f32 v2, v2, v4
	s_delay_alu instid0(VALU_DEP_4) | instskip(SKIP_3) | instid1(VALU_DEP_4)
	v_add_f32_e32 v3, v3, v200
	v_mul_f32_e32 v4, v155, v19
	v_fma_f32 v5, v152, v16, -v5
	v_fmac_f32_e32 v204, v157, v20
	v_dual_add_f32 v2, v2, v6 :: v_dual_add_f32 v3, v3, v201
	v_mul_f32_e32 v6, v157, v21
	v_fma_f32 v4, v154, v18, -v4
	v_dual_fmac_f32 v205, v159, v106 :: v_dual_fmac_f32 v206, v161, v108
	s_delay_alu instid0(VALU_DEP_4) | instskip(SKIP_3) | instid1(VALU_DEP_4)
	v_dual_add_f32 v2, v2, v5 :: v_dual_add_f32 v3, v3, v202
	v_mul_f32_e32 v5, v159, v107
	v_fma_f32 v6, v156, v20, -v6
	v_dual_mul_f32 v208, v164, v113 :: v_dual_mul_f32 v209, v166, v115
	v_dual_add_f32 v2, v2, v4 :: v_dual_add_f32 v3, v3, v203
	v_mul_f32_e32 v4, v161, v109
	v_fma_f32 v5, v158, v106, -v5
	v_fmac_f32_e32 v207, v163, v110
	s_delay_alu instid0(VALU_DEP_4) | instskip(SKIP_3) | instid1(VALU_DEP_4)
	v_dual_add_f32 v2, v2, v6 :: v_dual_add_f32 v3, v3, v204
	v_mul_f32_e32 v6, v163, v111
	v_fma_f32 v4, v160, v108, -v4
	v_fmac_f32_e32 v208, v165, v112
	v_add_f32_e32 v2, v2, v5
	v_add_f32_e32 v3, v3, v205
	v_mul_f32_e32 v5, v165, v113
	v_fma_f32 v6, v162, v110, -v6
	v_dual_mul_f32 v210, v168, v117 :: v_dual_mul_f32 v211, v170, v119
	s_delay_alu instid0(VALU_DEP_4) | instskip(SKIP_3) | instid1(VALU_DEP_4)
	v_dual_add_f32 v2, v2, v4 :: v_dual_add_f32 v3, v3, v206
	v_mul_f32_e32 v4, v167, v115
	v_fma_f32 v5, v164, v112, -v5
	v_fmac_f32_e32 v209, v167, v114
	v_dual_add_f32 v2, v2, v6 :: v_dual_add_f32 v3, v3, v207
	v_mul_f32_e32 v6, v169, v117
	v_fma_f32 v4, v166, v114, -v4
	v_fmac_f32_e32 v210, v169, v116
	s_delay_alu instid0(VALU_DEP_4) | instskip(SKIP_2) | instid1(VALU_DEP_3)
	v_dual_add_f32 v2, v2, v5 :: v_dual_add_f32 v3, v3, v208
	v_dual_mul_f32 v5, v171, v119 :: v_dual_mul_f32 v212, v172, v121
	v_mul_f32_e32 v213, v174, v123
	v_dual_add_f32 v2, v2, v4 :: v_dual_add_f32 v3, v3, v209
	v_fma_f32 v6, v168, v116, -v6
	v_dual_mul_f32 v4, v173, v121 :: v_dual_fmac_f32 v211, v171, v118
	v_fma_f32 v5, v170, v118, -v5
	s_delay_alu instid0(VALU_DEP_4) | instskip(NEXT) | instid1(VALU_DEP_4)
	v_dual_add_f32 v3, v3, v210 :: v_dual_fmac_f32 v212, v173, v120
	v_add_f32_e32 v2, v2, v6
	v_mul_f32_e32 v6, v175, v123
	v_dual_mul_f32 v214, v176, v125 :: v_dual_mul_f32 v215, v178, v127
	s_delay_alu instid0(VALU_DEP_4) | instskip(SKIP_3) | instid1(VALU_DEP_4)
	v_add_f32_e32 v3, v3, v211
	v_fma_f32 v4, v172, v120, -v4
	v_dual_add_f32 v2, v2, v5 :: v_dual_fmac_f32 v213, v175, v122
	v_fma_f32 v6, v174, v122, -v6
	v_add_f32_e32 v3, v3, v212
	s_delay_alu instid0(VALU_DEP_3) | instskip(SKIP_1) | instid1(VALU_DEP_3)
	v_dual_mul_f32 v5, v177, v125 :: v_dual_add_f32 v2, v2, v4
	v_dual_fmac_f32 v214, v177, v124 :: v_dual_fmac_f32 v215, v179, v126
	v_add_f32_e32 v3, v3, v213
	v_dual_mul_f32 v216, v180, v129 :: v_dual_mul_f32 v217, v182, v131
	v_mul_f32_e32 v4, v179, v127
	v_fma_f32 v5, v176, v124, -v5
	v_add_f32_e32 v2, v2, v6
	v_dual_mul_f32 v6, v181, v129 :: v_dual_add_f32 v3, v3, v214
	s_delay_alu instid0(VALU_DEP_4) | instskip(SKIP_1) | instid1(VALU_DEP_4)
	v_fma_f32 v4, v178, v126, -v4
	v_fmac_f32_e32 v216, v181, v128
	v_dual_add_f32 v2, v2, v5 :: v_dual_mul_f32 v5, v183, v131
	s_delay_alu instid0(VALU_DEP_4) | instskip(SKIP_1) | instid1(VALU_DEP_3)
	v_add_f32_e32 v3, v3, v215
	v_fma_f32 v6, v180, v128, -v6
	v_dual_fmac_f32 v217, v183, v130 :: v_dual_add_f32 v2, v2, v4
	s_delay_alu instid0(VALU_DEP_3) | instskip(SKIP_2) | instid1(VALU_DEP_3)
	v_dual_mul_f32 v4, v185, v133 :: v_dual_add_f32 v3, v3, v216
	v_dual_mul_f32 v219, v186, v135 :: v_dual_mul_f32 v220, v188, v137
	v_fma_f32 v5, v182, v130, -v5
	v_dual_add_f32 v2, v2, v6 :: v_dual_add_f32 v3, v3, v217
	s_delay_alu instid0(VALU_DEP_3) | instskip(SKIP_2) | instid1(VALU_DEP_3)
	v_dual_fmac_f32 v218, v185, v132 :: v_dual_fmac_f32 v219, v187, v134
	v_mul_f32_e32 v6, v187, v135
	v_fma_f32 v4, v184, v132, -v4
	v_dual_add_f32 v2, v2, v5 :: v_dual_add_f32 v3, v3, v218
	v_mul_f32_e32 v5, v189, v137
	s_delay_alu instid0(VALU_DEP_4) | instskip(SKIP_1) | instid1(VALU_DEP_4)
	v_fma_f32 v6, v186, v134, -v6
	v_dual_fmac_f32 v220, v189, v136 :: v_dual_fmac_f32 v221, v195, v190
	v_dual_add_f32 v2, v2, v4 :: v_dual_add_f32 v3, v3, v219
	v_mul_f32_e32 v4, v195, v191
	v_fma_f32 v5, v188, v136, -v5
	s_delay_alu instid0(VALU_DEP_3) | instskip(NEXT) | instid1(VALU_DEP_3)
	v_dual_add_f32 v2, v2, v6 :: v_dual_add_f32 v3, v3, v220
	v_fma_f32 v4, v194, v190, -v4
	s_delay_alu instid0(VALU_DEP_2) | instskip(SKIP_1) | instid1(VALU_DEP_1)
	v_add_f32_e32 v3, v3, v221
	s_wait_loadcnt 0x0
	v_dual_add_f32 v2, v2, v5 :: v_dual_sub_f32 v3, v193, v3
	s_delay_alu instid0(VALU_DEP_1) | instskip(NEXT) | instid1(VALU_DEP_1)
	v_add_f32_e32 v2, v2, v4
	v_sub_f32_e32 v2, v192, v2
	scratch_store_b64 off, v[2:3], off offset:104
	v_cmpx_lt_u32_e32 12, v0
	s_cbranch_execz .LBB40_235
; %bb.234:
	scratch_load_b64 v[3:4], off, off offset:96
	v_mov_b32_e32 v2, v1
	scratch_store_b64 off, v[1:2], off offset:96
	s_wait_loadcnt 0x0
	ds_store_b64 v23, v[3:4]
.LBB40_235:
	s_wait_alu 0xfffe
	s_or_b32 exec_lo, exec_lo, s0
	s_wait_storecnt_dscnt 0x0
	s_barrier_signal -1
	s_barrier_wait -1
	global_inv scope:SCOPE_SE
	s_clause 0xe
	scratch_load_b128 v[2:5], off, off offset:104
	scratch_load_b128 v[6:9], off, off offset:120
	;; [unrolled: 1-line block ×14, first 2 shown]
	scratch_load_b64 v[198:199], off, off offset:96
	ds_load_2addr_b64 v[142:145], v1 offset0:55 offset1:56
	ds_load_2addr_b64 v[146:149], v1 offset0:57 offset1:58
	;; [unrolled: 1-line block ×14, first 2 shown]
	s_mov_b32 s0, exec_lo
	s_wait_loadcnt_dscnt 0xe0d
	v_dual_mul_f32 v1, v142, v3 :: v_dual_mul_f32 v22, v144, v5
	v_mul_f32_e32 v3, v143, v3
	s_wait_loadcnt_dscnt 0xd0c
	v_dual_mul_f32 v5, v145, v5 :: v_dual_mul_f32 v200, v146, v7
	s_delay_alu instid0(VALU_DEP_3) | instskip(NEXT) | instid1(VALU_DEP_3)
	v_dual_mul_f32 v201, v148, v9 :: v_dual_fmac_f32 v22, v145, v4
	v_fma_f32 v3, v142, v2, -v3
	v_fmac_f32_e32 v1, v143, v2
	v_mul_f32_e32 v2, v147, v7
	v_fma_f32 v4, v144, v4, -v5
	s_delay_alu instid0(VALU_DEP_4)
	v_dual_fmac_f32 v200, v147, v6 :: v_dual_add_f32 v3, 0, v3
	s_wait_loadcnt_dscnt 0xa09
	v_dual_mul_f32 v206, v158, v19 :: v_dual_mul_f32 v207, v160, v21
	v_fma_f32 v2, v146, v6, -v2
	v_dual_mul_f32 v202, v150, v11 :: v_dual_mul_f32 v203, v152, v13
	v_add_f32_e32 v3, v3, v4
	v_dual_mul_f32 v5, v149, v9 :: v_dual_mul_f32 v204, v154, v15
	v_dual_mul_f32 v205, v156, v17 :: v_dual_mul_f32 v4, v151, v11
	s_delay_alu instid0(VALU_DEP_3) | instskip(NEXT) | instid1(VALU_DEP_3)
	v_add_f32_e32 v2, v3, v2
	v_fma_f32 v5, v148, v8, -v5
	v_dual_mul_f32 v3, v153, v13 :: v_dual_fmac_f32 v206, v159, v18
	s_delay_alu instid0(VALU_DEP_4) | instskip(SKIP_1) | instid1(VALU_DEP_4)
	v_fma_f32 v4, v150, v10, -v4
	v_dual_fmac_f32 v201, v149, v8 :: v_dual_fmac_f32 v202, v151, v10
	v_add_f32_e32 v2, v2, v5
	v_add_f32_e32 v1, 0, v1
	v_fma_f32 v3, v152, v12, -v3
	v_fmac_f32_e32 v204, v155, v14
	s_wait_loadcnt_dscnt 0x908
	v_dual_mul_f32 v208, v162, v107 :: v_dual_mul_f32 v209, v164, v109
	v_dual_add_f32 v1, v1, v22 :: v_dual_add_f32 v2, v2, v4
	v_mul_f32_e32 v4, v157, v17
	s_wait_loadcnt_dscnt 0x706
	v_dual_mul_f32 v212, v170, v115 :: v_dual_mul_f32 v213, v172, v117
	s_delay_alu instid0(VALU_DEP_3) | instskip(NEXT) | instid1(VALU_DEP_3)
	v_dual_add_f32 v1, v1, v200 :: v_dual_add_f32 v2, v2, v3
	v_fma_f32 v4, v156, v16, -v4
	v_mul_f32_e32 v5, v155, v15
	v_dual_mul_f32 v210, v166, v111 :: v_dual_mul_f32 v211, v168, v113
	s_wait_loadcnt_dscnt 0x403
	v_dual_add_f32 v1, v1, v201 :: v_dual_mul_f32 v218, v182, v127
	v_mul_f32_e32 v219, v184, v129
	v_fma_f32 v5, v154, v14, -v5
	v_fmac_f32_e32 v203, v153, v12
	s_delay_alu instid0(VALU_DEP_4)
	v_add_f32_e32 v1, v1, v202
	v_fmac_f32_e32 v208, v163, v106
	v_dual_mul_f32 v214, v174, v119 :: v_dual_mul_f32 v215, v176, v121
	v_add_f32_e32 v2, v2, v5
	v_dual_fmac_f32 v210, v167, v110 :: v_dual_fmac_f32 v209, v165, v108
	v_dual_mul_f32 v216, v178, v123 :: v_dual_mul_f32 v217, v180, v125
	s_delay_alu instid0(VALU_DEP_3) | instskip(SKIP_2) | instid1(VALU_DEP_4)
	v_add_f32_e32 v2, v2, v4
	v_mul_f32_e32 v4, v163, v107
	v_add_f32_e32 v1, v1, v203
	v_dual_fmac_f32 v211, v169, v112 :: v_dual_fmac_f32 v216, v179, v122
	s_wait_loadcnt_dscnt 0x100
	v_dual_mul_f32 v224, v194, v139 :: v_dual_mul_f32 v225, v196, v141
	v_fma_f32 v4, v162, v106, -v4
	v_mul_f32_e32 v5, v161, v21
	v_dual_add_f32 v1, v1, v204 :: v_dual_fmac_f32 v212, v171, v114
	v_dual_fmac_f32 v213, v173, v116 :: v_dual_mul_f32 v220, v186, v131
	v_mul_f32_e32 v221, v188, v133
	s_delay_alu instid0(VALU_DEP_4) | instskip(SKIP_2) | instid1(VALU_DEP_4)
	v_fma_f32 v5, v160, v20, -v5
	v_mul_f32_e32 v3, v159, v19
	v_dual_mul_f32 v222, v190, v135 :: v_dual_mul_f32 v223, v192, v137
	v_fmac_f32_e32 v221, v189, v132
	v_fmac_f32_e32 v225, v197, v140
	s_delay_alu instid0(VALU_DEP_4) | instskip(SKIP_3) | instid1(VALU_DEP_4)
	v_fma_f32 v3, v158, v18, -v3
	v_fmac_f32_e32 v205, v157, v16
	v_dual_fmac_f32 v223, v193, v136 :: v_dual_fmac_f32 v218, v183, v126
	v_fmac_f32_e32 v214, v175, v118
	v_dual_add_f32 v2, v2, v3 :: v_dual_mul_f32 v3, v165, v109
	v_fmac_f32_e32 v224, v195, v138
	v_fmac_f32_e32 v220, v187, v130
	;; [unrolled: 1-line block ×3, first 2 shown]
	s_delay_alu instid0(VALU_DEP_4) | instskip(SKIP_1) | instid1(VALU_DEP_2)
	v_dual_add_f32 v2, v2, v5 :: v_dual_mul_f32 v5, v167, v111
	v_fma_f32 v3, v164, v108, -v3
	v_dual_add_f32 v2, v2, v4 :: v_dual_add_f32 v1, v1, v205
	v_mul_f32_e32 v4, v169, v113
	s_delay_alu instid0(VALU_DEP_4) | instskip(NEXT) | instid1(VALU_DEP_3)
	v_fma_f32 v5, v166, v110, -v5
	v_dual_add_f32 v2, v2, v3 :: v_dual_fmac_f32 v207, v161, v20
	s_delay_alu instid0(VALU_DEP_3) | instskip(NEXT) | instid1(VALU_DEP_2)
	v_fma_f32 v4, v168, v112, -v4
	v_add_f32_e32 v2, v2, v5
	v_mul_f32_e32 v5, v173, v117
	s_delay_alu instid0(VALU_DEP_2) | instskip(NEXT) | instid1(VALU_DEP_2)
	v_dual_add_f32 v1, v1, v206 :: v_dual_add_f32 v2, v2, v4
	v_fma_f32 v5, v172, v116, -v5
	v_mul_f32_e32 v3, v171, v115
	s_delay_alu instid0(VALU_DEP_3) | instskip(SKIP_1) | instid1(VALU_DEP_3)
	v_add_f32_e32 v1, v1, v207
	v_mul_f32_e32 v4, v175, v119
	v_fma_f32 v3, v170, v114, -v3
	s_delay_alu instid0(VALU_DEP_3) | instskip(NEXT) | instid1(VALU_DEP_3)
	v_add_f32_e32 v1, v1, v208
	v_fma_f32 v4, v174, v118, -v4
	s_delay_alu instid0(VALU_DEP_3) | instskip(NEXT) | instid1(VALU_DEP_1)
	v_add_f32_e32 v2, v2, v3
	v_add_f32_e32 v2, v2, v5
	s_delay_alu instid0(VALU_DEP_4) | instskip(NEXT) | instid1(VALU_DEP_2)
	v_add_f32_e32 v1, v1, v209
	v_dual_mul_f32 v5, v179, v123 :: v_dual_add_f32 v2, v2, v4
	v_mul_f32_e32 v4, v181, v125
	s_delay_alu instid0(VALU_DEP_2) | instskip(NEXT) | instid1(VALU_DEP_2)
	v_fma_f32 v5, v178, v122, -v5
	v_fma_f32 v4, v180, v124, -v4
	v_mul_f32_e32 v3, v177, v121
	s_delay_alu instid0(VALU_DEP_1) | instskip(NEXT) | instid1(VALU_DEP_1)
	v_fma_f32 v3, v176, v120, -v3
	v_dual_add_f32 v1, v1, v210 :: v_dual_add_f32 v2, v2, v3
	s_delay_alu instid0(VALU_DEP_1) | instskip(NEXT) | instid1(VALU_DEP_2)
	v_add_f32_e32 v1, v1, v211
	v_dual_mul_f32 v3, v183, v127 :: v_dual_add_f32 v2, v2, v5
	v_mul_f32_e32 v5, v185, v129
	s_delay_alu instid0(VALU_DEP_2) | instskip(NEXT) | instid1(VALU_DEP_3)
	v_fma_f32 v3, v182, v126, -v3
	v_add_f32_e32 v2, v2, v4
	v_dual_add_f32 v1, v1, v212 :: v_dual_mul_f32 v4, v187, v131
	s_delay_alu instid0(VALU_DEP_4) | instskip(NEXT) | instid1(VALU_DEP_2)
	v_fma_f32 v5, v184, v128, -v5
	v_dual_add_f32 v2, v2, v3 :: v_dual_add_f32 v1, v1, v213
	v_fmac_f32_e32 v215, v177, v120
	v_mul_f32_e32 v3, v189, v133
	v_fma_f32 v4, v186, v130, -v4
	s_delay_alu instid0(VALU_DEP_4) | instskip(SKIP_1) | instid1(VALU_DEP_4)
	v_dual_add_f32 v2, v2, v5 :: v_dual_add_f32 v1, v1, v214
	v_mul_f32_e32 v5, v191, v135
	v_fma_f32 v3, v188, v132, -v3
	s_delay_alu instid0(VALU_DEP_3) | instskip(SKIP_3) | instid1(VALU_DEP_4)
	v_dual_add_f32 v2, v2, v4 :: v_dual_add_f32 v1, v1, v215
	v_fmac_f32_e32 v217, v181, v124
	v_mul_f32_e32 v4, v193, v137
	v_fma_f32 v5, v190, v134, -v5
	v_dual_add_f32 v2, v2, v3 :: v_dual_add_f32 v1, v1, v216
	v_mul_f32_e32 v3, v195, v139
	s_delay_alu instid0(VALU_DEP_4) | instskip(NEXT) | instid1(VALU_DEP_3)
	v_fma_f32 v4, v192, v136, -v4
	v_add_f32_e32 v2, v2, v5
	s_delay_alu instid0(VALU_DEP_4) | instskip(SKIP_2) | instid1(VALU_DEP_4)
	v_add_f32_e32 v1, v1, v217
	v_mul_f32_e32 v5, v197, v141
	v_fma_f32 v3, v194, v138, -v3
	v_add_f32_e32 v2, v2, v4
	v_fmac_f32_e32 v219, v185, v128
	s_delay_alu instid0(VALU_DEP_4) | instskip(NEXT) | instid1(VALU_DEP_3)
	v_fma_f32 v4, v196, v140, -v5
	v_dual_add_f32 v2, v2, v3 :: v_dual_add_f32 v1, v1, v218
	s_delay_alu instid0(VALU_DEP_1) | instskip(NEXT) | instid1(VALU_DEP_1)
	v_dual_add_f32 v2, v2, v4 :: v_dual_add_f32 v1, v1, v219
	v_add_f32_e32 v1, v1, v220
	s_delay_alu instid0(VALU_DEP_1) | instskip(NEXT) | instid1(VALU_DEP_1)
	v_add_f32_e32 v1, v1, v221
	v_add_f32_e32 v1, v1, v222
	s_delay_alu instid0(VALU_DEP_1) | instskip(NEXT) | instid1(VALU_DEP_1)
	v_add_f32_e32 v1, v1, v223
	v_add_f32_e32 v1, v1, v224
	s_delay_alu instid0(VALU_DEP_1) | instskip(SKIP_1) | instid1(VALU_DEP_1)
	v_add_f32_e32 v3, v1, v225
	s_wait_loadcnt 0x0
	v_dual_sub_f32 v1, v198, v2 :: v_dual_sub_f32 v2, v199, v3
	scratch_store_b64 off, v[1:2], off offset:96
	v_cmpx_lt_u32_e32 11, v0
	s_cbranch_execz .LBB40_237
; %bb.236:
	scratch_load_b64 v[1:2], off, off offset:88
	v_mov_b32_e32 v3, 0
	s_delay_alu instid0(VALU_DEP_1)
	v_mov_b32_e32 v4, v3
	scratch_store_b64 off, v[3:4], off offset:88
	s_wait_loadcnt 0x0
	ds_store_b64 v23, v[1:2]
.LBB40_237:
	s_wait_alu 0xfffe
	s_or_b32 exec_lo, exec_lo, s0
	s_wait_storecnt_dscnt 0x0
	s_barrier_signal -1
	s_barrier_wait -1
	global_inv scope:SCOPE_SE
	s_clause 0xf
	scratch_load_b128 v[2:5], off, off offset:96
	scratch_load_b128 v[6:9], off, off offset:112
	;; [unrolled: 1-line block ×14, first 2 shown]
	scratch_load_b64 v[198:199], off, off offset:320
	scratch_load_b64 v[200:201], off, off offset:88
	v_mov_b32_e32 v1, 0
	ds_load_b128 v[142:145], v1 offset:432
	ds_load_b128 v[146:149], v1 offset:448
	;; [unrolled: 1-line block ×14, first 2 shown]
	ds_load_b64 v[202:203], v1 offset:656
	s_mov_b32 s0, exec_lo
	s_wait_loadcnt_dscnt 0xf0e
	v_mul_f32_e32 v22, v142, v3
	s_wait_loadcnt_dscnt 0xe0d
	v_dual_mul_f32 v204, v144, v5 :: v_dual_mul_f32 v205, v146, v7
	v_mul_f32_e32 v5, v145, v5
	s_wait_loadcnt_dscnt 0xd0c
	v_dual_mul_f32 v206, v148, v9 :: v_dual_mul_f32 v207, v150, v11
	s_wait_loadcnt_dscnt 0xc0b
	v_dual_mul_f32 v208, v152, v13 :: v_dual_mul_f32 v209, v154, v15
	v_dual_mul_f32 v3, v143, v3 :: v_dual_mul_f32 v210, v156, v17
	s_wait_loadcnt_dscnt 0xb0a
	v_dual_mul_f32 v211, v158, v19 :: v_dual_fmac_f32 v22, v143, v2
	s_wait_loadcnt_dscnt 0x302
	v_mul_f32_e32 v228, v192, v137
	v_fma_f32 v3, v142, v2, -v3
	s_wait_loadcnt_dscnt 0x100
	v_mul_f32_e32 v231, v202, v199
	v_mul_f32_e32 v2, v147, v7
	v_fmac_f32_e32 v204, v145, v4
	v_fma_f32 v4, v144, v4, -v5
	v_add_f32_e32 v3, 0, v3
	v_dual_add_f32 v5, 0, v22 :: v_dual_fmac_f32 v206, v149, v8
	v_fmac_f32_e32 v205, v147, v6
	v_fma_f32 v2, v146, v6, -v2
	s_delay_alu instid0(VALU_DEP_4) | instskip(SKIP_3) | instid1(VALU_DEP_4)
	v_add_f32_e32 v3, v3, v4
	v_mul_f32_e32 v7, v149, v9
	v_dual_add_f32 v4, v5, v204 :: v_dual_fmac_f32 v207, v151, v10
	v_fmac_f32_e32 v208, v153, v12
	v_add_f32_e32 v2, v3, v2
	s_delay_alu instid0(VALU_DEP_4)
	v_fma_f32 v6, v148, v8, -v7
	v_mul_f32_e32 v5, v151, v11
	v_add_f32_e32 v3, v4, v205
	v_dual_mul_f32 v4, v153, v13 :: v_dual_fmac_f32 v209, v155, v14
	v_fmac_f32_e32 v210, v157, v16
	v_add_f32_e32 v2, v2, v6
	v_fma_f32 v5, v150, v10, -v5
	v_mul_f32_e32 v6, v155, v15
	v_add_f32_e32 v3, v3, v206
	v_fma_f32 v4, v152, v12, -v4
	v_dual_mul_f32 v212, v160, v21 :: v_dual_mul_f32 v213, v162, v107
	s_delay_alu instid0(VALU_DEP_3) | instskip(SKIP_3) | instid1(VALU_DEP_4)
	v_dual_add_f32 v2, v2, v5 :: v_dual_add_f32 v3, v3, v207
	v_mul_f32_e32 v5, v157, v17
	v_fma_f32 v6, v154, v14, -v6
	v_dual_mul_f32 v214, v164, v109 :: v_dual_mul_f32 v215, v166, v111
	v_add_f32_e32 v2, v2, v4
	v_add_f32_e32 v3, v3, v208
	v_mul_f32_e32 v4, v159, v19
	v_fma_f32 v5, v156, v16, -v5
	v_fmac_f32_e32 v211, v159, v18
	s_delay_alu instid0(VALU_DEP_4) | instskip(SKIP_3) | instid1(VALU_DEP_4)
	v_dual_add_f32 v2, v2, v6 :: v_dual_add_f32 v3, v3, v209
	v_fmac_f32_e32 v212, v161, v20
	v_mul_f32_e32 v6, v161, v21
	v_fma_f32 v4, v158, v18, -v4
	v_dual_add_f32 v2, v2, v5 :: v_dual_add_f32 v3, v3, v210
	v_mul_f32_e32 v5, v163, v107
	s_delay_alu instid0(VALU_DEP_4) | instskip(SKIP_1) | instid1(VALU_DEP_4)
	v_fma_f32 v6, v160, v20, -v6
	v_dual_fmac_f32 v213, v163, v106 :: v_dual_fmac_f32 v214, v165, v108
	v_dual_add_f32 v2, v2, v4 :: v_dual_add_f32 v3, v3, v211
	v_mul_f32_e32 v4, v165, v109
	v_fma_f32 v5, v162, v106, -v5
	v_fmac_f32_e32 v215, v167, v110
	s_delay_alu instid0(VALU_DEP_4) | instskip(SKIP_3) | instid1(VALU_DEP_4)
	v_dual_add_f32 v2, v2, v6 :: v_dual_add_f32 v3, v3, v212
	v_mul_f32_e32 v6, v167, v111
	v_fma_f32 v4, v164, v108, -v4
	v_dual_mul_f32 v216, v168, v113 :: v_dual_mul_f32 v217, v170, v115
	v_add_f32_e32 v2, v2, v5
	v_add_f32_e32 v3, v3, v213
	v_mul_f32_e32 v5, v169, v113
	v_fma_f32 v6, v166, v110, -v6
	v_fmac_f32_e32 v216, v169, v112
	s_delay_alu instid0(VALU_DEP_4) | instskip(SKIP_3) | instid1(VALU_DEP_4)
	v_dual_add_f32 v2, v2, v4 :: v_dual_add_f32 v3, v3, v214
	v_mul_f32_e32 v4, v171, v115
	v_fma_f32 v5, v168, v112, -v5
	v_dual_mul_f32 v218, v172, v117 :: v_dual_mul_f32 v219, v174, v119
	v_dual_add_f32 v2, v2, v6 :: v_dual_add_f32 v3, v3, v215
	v_dual_mul_f32 v6, v173, v117 :: v_dual_fmac_f32 v217, v171, v114
	v_fma_f32 v4, v170, v114, -v4
	s_delay_alu instid0(VALU_DEP_3) | instskip(SKIP_3) | instid1(VALU_DEP_4)
	v_dual_add_f32 v2, v2, v5 :: v_dual_add_f32 v3, v3, v216
	v_dual_mul_f32 v220, v176, v121 :: v_dual_mul_f32 v221, v178, v123
	v_dual_mul_f32 v5, v175, v119 :: v_dual_fmac_f32 v218, v173, v116
	v_fma_f32 v6, v172, v116, -v6
	v_dual_add_f32 v2, v2, v4 :: v_dual_add_f32 v3, v3, v217
	v_dual_mul_f32 v4, v177, v121 :: v_dual_fmac_f32 v219, v175, v118
	s_delay_alu instid0(VALU_DEP_4) | instskip(NEXT) | instid1(VALU_DEP_3)
	v_fma_f32 v5, v174, v118, -v5
	v_dual_fmac_f32 v220, v177, v120 :: v_dual_add_f32 v3, v3, v218
	s_delay_alu instid0(VALU_DEP_4) | instskip(SKIP_3) | instid1(VALU_DEP_4)
	v_add_f32_e32 v2, v2, v6
	v_mul_f32_e32 v6, v179, v123
	v_fma_f32 v4, v176, v120, -v4
	v_dual_mul_f32 v222, v180, v125 :: v_dual_mul_f32 v223, v182, v127
	v_dual_add_f32 v3, v3, v219 :: v_dual_add_f32 v2, v2, v5
	v_fmac_f32_e32 v221, v179, v122
	v_mul_f32_e32 v5, v181, v125
	v_fma_f32 v6, v178, v122, -v6
	s_delay_alu instid0(VALU_DEP_4) | instskip(SKIP_4) | instid1(VALU_DEP_4)
	v_add_f32_e32 v3, v3, v220
	v_add_f32_e32 v2, v2, v4
	v_mul_f32_e32 v4, v183, v127
	v_dual_fmac_f32 v222, v181, v124 :: v_dual_fmac_f32 v223, v183, v126
	v_fma_f32 v5, v180, v124, -v5
	v_dual_add_f32 v3, v3, v221 :: v_dual_add_f32 v2, v2, v6
	v_dual_mul_f32 v224, v184, v129 :: v_dual_mul_f32 v225, v186, v131
	s_delay_alu instid0(VALU_DEP_2) | instskip(SKIP_1) | instid1(VALU_DEP_4)
	v_dual_mul_f32 v6, v185, v129 :: v_dual_add_f32 v3, v3, v222
	v_fma_f32 v4, v182, v126, -v4
	v_dual_add_f32 v2, v2, v5 :: v_dual_mul_f32 v5, v187, v131
	s_delay_alu instid0(VALU_DEP_3) | instskip(NEXT) | instid1(VALU_DEP_4)
	v_dual_fmac_f32 v224, v185, v128 :: v_dual_add_f32 v3, v3, v223
	v_fma_f32 v6, v184, v128, -v6
	s_delay_alu instid0(VALU_DEP_3) | instskip(SKIP_1) | instid1(VALU_DEP_4)
	v_dual_add_f32 v2, v2, v4 :: v_dual_fmac_f32 v225, v187, v130
	v_dual_mul_f32 v226, v188, v133 :: v_dual_mul_f32 v227, v190, v135
	v_dual_mul_f32 v4, v189, v133 :: v_dual_add_f32 v3, v3, v224
	v_fma_f32 v5, v186, v130, -v5
	s_delay_alu instid0(VALU_DEP_4)
	v_add_f32_e32 v2, v2, v6
	v_mul_f32_e32 v6, v191, v135
	v_dual_fmac_f32 v226, v189, v132 :: v_dual_fmac_f32 v227, v191, v134
	v_fma_f32 v4, v188, v132, -v4
	v_add_f32_e32 v3, v3, v225
	v_add_f32_e32 v2, v2, v5
	v_dual_mul_f32 v229, v194, v139 :: v_dual_mul_f32 v230, v196, v141
	v_mul_f32_e32 v5, v193, v137
	v_fma_f32 v6, v190, v134, -v6
	s_delay_alu instid0(VALU_DEP_4) | instskip(SKIP_3) | instid1(VALU_DEP_4)
	v_dual_add_f32 v3, v3, v226 :: v_dual_add_f32 v2, v2, v4
	v_mul_f32_e32 v4, v195, v139
	v_dual_fmac_f32 v228, v193, v136 :: v_dual_fmac_f32 v229, v195, v138
	v_fma_f32 v5, v192, v136, -v5
	v_dual_add_f32 v3, v3, v227 :: v_dual_add_f32 v2, v2, v6
	v_mul_f32_e32 v6, v197, v141
	v_fma_f32 v4, v194, v138, -v4
	v_fmac_f32_e32 v231, v203, v198
	s_delay_alu instid0(VALU_DEP_4) | instskip(SKIP_2) | instid1(VALU_DEP_3)
	v_dual_add_f32 v3, v3, v228 :: v_dual_add_f32 v2, v2, v5
	v_dual_mul_f32 v5, v203, v199 :: v_dual_fmac_f32 v230, v197, v140
	v_fma_f32 v6, v196, v140, -v6
	v_dual_add_f32 v3, v3, v229 :: v_dual_add_f32 v2, v2, v4
	s_delay_alu instid0(VALU_DEP_3) | instskip(NEXT) | instid1(VALU_DEP_2)
	v_fma_f32 v4, v202, v198, -v5
	v_add_f32_e32 v3, v3, v230
	s_delay_alu instid0(VALU_DEP_1) | instskip(SKIP_1) | instid1(VALU_DEP_1)
	v_dual_add_f32 v2, v2, v6 :: v_dual_add_f32 v3, v3, v231
	s_wait_loadcnt 0x0
	v_dual_add_f32 v2, v2, v4 :: v_dual_sub_f32 v3, v201, v3
	s_delay_alu instid0(VALU_DEP_1)
	v_sub_f32_e32 v2, v200, v2
	scratch_store_b64 off, v[2:3], off offset:88
	v_cmpx_lt_u32_e32 10, v0
	s_cbranch_execz .LBB40_239
; %bb.238:
	scratch_load_b64 v[3:4], off, off offset:80
	v_mov_b32_e32 v2, v1
	scratch_store_b64 off, v[1:2], off offset:80
	s_wait_loadcnt 0x0
	ds_store_b64 v23, v[3:4]
.LBB40_239:
	s_wait_alu 0xfffe
	s_or_b32 exec_lo, exec_lo, s0
	s_wait_storecnt_dscnt 0x0
	s_barrier_signal -1
	s_barrier_wait -1
	global_inv scope:SCOPE_SE
	s_clause 0xf
	scratch_load_b128 v[2:5], off, off offset:88
	scratch_load_b128 v[6:9], off, off offset:104
	;; [unrolled: 1-line block ×15, first 2 shown]
	scratch_load_b64 v[206:207], off, off offset:80
	ds_load_2addr_b64 v[146:149], v1 offset0:53 offset1:54
	ds_load_2addr_b64 v[150:153], v1 offset0:55 offset1:56
	;; [unrolled: 1-line block ×15, first 2 shown]
	s_mov_b32 s0, exec_lo
	s_wait_loadcnt_dscnt 0xf0e
	v_dual_mul_f32 v1, v146, v3 :: v_dual_mul_f32 v22, v148, v5
	v_mul_f32_e32 v3, v147, v3
	s_wait_loadcnt_dscnt 0xe0d
	v_dual_mul_f32 v5, v149, v5 :: v_dual_mul_f32 v208, v150, v7
	s_delay_alu instid0(VALU_DEP_3) | instskip(NEXT) | instid1(VALU_DEP_3)
	v_dual_mul_f32 v209, v152, v9 :: v_dual_fmac_f32 v22, v149, v4
	v_fma_f32 v3, v146, v2, -v3
	v_fmac_f32_e32 v1, v147, v2
	v_mul_f32_e32 v2, v151, v7
	v_fma_f32 v4, v148, v4, -v5
	s_delay_alu instid0(VALU_DEP_4)
	v_dual_fmac_f32 v208, v151, v6 :: v_dual_add_f32 v3, 0, v3
	s_wait_loadcnt_dscnt 0xb0a
	v_dual_mul_f32 v214, v162, v19 :: v_dual_mul_f32 v215, v164, v21
	v_fma_f32 v2, v150, v6, -v2
	v_dual_mul_f32 v210, v154, v11 :: v_dual_mul_f32 v211, v156, v13
	v_add_f32_e32 v3, v3, v4
	v_dual_mul_f32 v5, v153, v9 :: v_dual_mul_f32 v212, v158, v15
	v_dual_mul_f32 v213, v160, v17 :: v_dual_mul_f32 v4, v155, v11
	s_delay_alu instid0(VALU_DEP_3) | instskip(NEXT) | instid1(VALU_DEP_3)
	v_add_f32_e32 v2, v3, v2
	v_fma_f32 v5, v152, v8, -v5
	v_dual_mul_f32 v3, v157, v13 :: v_dual_fmac_f32 v214, v163, v18
	s_delay_alu instid0(VALU_DEP_4) | instskip(SKIP_1) | instid1(VALU_DEP_4)
	v_fma_f32 v4, v154, v10, -v4
	v_dual_fmac_f32 v209, v153, v8 :: v_dual_fmac_f32 v210, v155, v10
	v_add_f32_e32 v2, v2, v5
	v_add_f32_e32 v1, 0, v1
	v_fma_f32 v3, v156, v12, -v3
	v_fmac_f32_e32 v212, v159, v14
	s_wait_loadcnt_dscnt 0xa09
	v_dual_mul_f32 v216, v166, v107 :: v_dual_mul_f32 v217, v168, v109
	v_dual_add_f32 v1, v1, v22 :: v_dual_add_f32 v2, v2, v4
	v_mul_f32_e32 v4, v161, v17
	s_wait_loadcnt_dscnt 0x807
	v_dual_mul_f32 v220, v174, v115 :: v_dual_mul_f32 v221, v176, v117
	s_delay_alu instid0(VALU_DEP_3) | instskip(NEXT) | instid1(VALU_DEP_3)
	v_dual_add_f32 v1, v1, v208 :: v_dual_add_f32 v2, v2, v3
	v_fma_f32 v4, v160, v16, -v4
	v_mul_f32_e32 v5, v159, v15
	v_dual_mul_f32 v218, v170, v111 :: v_dual_mul_f32 v219, v172, v113
	s_wait_loadcnt_dscnt 0x504
	v_dual_add_f32 v1, v1, v209 :: v_dual_mul_f32 v226, v186, v127
	v_mul_f32_e32 v227, v188, v129
	v_fma_f32 v5, v158, v14, -v5
	v_fmac_f32_e32 v211, v157, v12
	s_delay_alu instid0(VALU_DEP_4)
	v_add_f32_e32 v1, v1, v210
	v_fmac_f32_e32 v216, v167, v106
	v_dual_mul_f32 v222, v178, v119 :: v_dual_mul_f32 v223, v180, v121
	v_add_f32_e32 v2, v2, v5
	v_dual_fmac_f32 v218, v171, v110 :: v_dual_fmac_f32 v217, v169, v108
	v_dual_mul_f32 v224, v182, v123 :: v_dual_mul_f32 v225, v184, v125
	s_delay_alu instid0(VALU_DEP_3) | instskip(SKIP_2) | instid1(VALU_DEP_4)
	v_add_f32_e32 v2, v2, v4
	v_mul_f32_e32 v4, v167, v107
	v_add_f32_e32 v1, v1, v211
	v_dual_fmac_f32 v219, v173, v112 :: v_dual_fmac_f32 v224, v183, v122
	s_wait_loadcnt_dscnt 0x201
	v_dual_mul_f32 v232, v198, v139 :: v_dual_mul_f32 v233, v200, v141
	v_fma_f32 v4, v166, v106, -v4
	v_mul_f32_e32 v5, v165, v21
	v_dual_add_f32 v1, v1, v212 :: v_dual_fmac_f32 v220, v175, v114
	v_dual_fmac_f32 v221, v177, v116 :: v_dual_mul_f32 v228, v190, v131
	v_mul_f32_e32 v229, v192, v133
	s_delay_alu instid0(VALU_DEP_4) | instskip(SKIP_4) | instid1(VALU_DEP_3)
	v_fma_f32 v5, v164, v20, -v5
	v_mul_f32_e32 v3, v163, v19
	s_wait_loadcnt_dscnt 0x100
	v_dual_mul_f32 v234, v202, v143 :: v_dual_mul_f32 v235, v204, v145
	v_dual_mul_f32 v230, v194, v135 :: v_dual_mul_f32 v231, v196, v137
	v_fma_f32 v3, v162, v18, -v3
	v_fmac_f32_e32 v213, v161, v16
	v_fmac_f32_e32 v227, v189, v128
	;; [unrolled: 1-line block ×3, first 2 shown]
	s_delay_alu instid0(VALU_DEP_4) | instskip(SKIP_3) | instid1(VALU_DEP_4)
	v_dual_fmac_f32 v231, v197, v136 :: v_dual_add_f32 v2, v2, v3
	v_mul_f32_e32 v3, v169, v109
	v_dual_fmac_f32 v235, v205, v144 :: v_dual_fmac_f32 v226, v187, v126
	v_fmac_f32_e32 v222, v179, v118
	v_dual_add_f32 v2, v2, v5 :: v_dual_mul_f32 v5, v171, v111
	s_delay_alu instid0(VALU_DEP_4) | instskip(SKIP_2) | instid1(VALU_DEP_4)
	v_fma_f32 v3, v168, v108, -v3
	v_fmac_f32_e32 v232, v199, v138
	v_fmac_f32_e32 v228, v191, v130
	v_dual_add_f32 v2, v2, v4 :: v_dual_add_f32 v1, v1, v213
	v_mul_f32_e32 v4, v173, v113
	v_fma_f32 v5, v170, v110, -v5
	v_fmac_f32_e32 v234, v203, v142
	s_delay_alu instid0(VALU_DEP_4) | instskip(NEXT) | instid1(VALU_DEP_4)
	v_dual_add_f32 v2, v2, v3 :: v_dual_fmac_f32 v215, v165, v20
	v_fma_f32 v4, v172, v112, -v4
	v_fmac_f32_e32 v230, v195, v134
	s_delay_alu instid0(VALU_DEP_3) | instskip(SKIP_1) | instid1(VALU_DEP_2)
	v_add_f32_e32 v2, v2, v5
	v_mul_f32_e32 v5, v177, v117
	v_dual_add_f32 v1, v1, v214 :: v_dual_add_f32 v2, v2, v4
	s_delay_alu instid0(VALU_DEP_2) | instskip(SKIP_1) | instid1(VALU_DEP_3)
	v_fma_f32 v5, v176, v116, -v5
	v_mul_f32_e32 v3, v175, v115
	v_add_f32_e32 v1, v1, v215
	v_mul_f32_e32 v4, v179, v119
	s_delay_alu instid0(VALU_DEP_3) | instskip(NEXT) | instid1(VALU_DEP_3)
	v_fma_f32 v3, v174, v114, -v3
	v_add_f32_e32 v1, v1, v216
	s_delay_alu instid0(VALU_DEP_3) | instskip(NEXT) | instid1(VALU_DEP_3)
	v_fma_f32 v4, v178, v118, -v4
	v_add_f32_e32 v2, v2, v3
	s_delay_alu instid0(VALU_DEP_1) | instskip(NEXT) | instid1(VALU_DEP_4)
	v_add_f32_e32 v2, v2, v5
	v_add_f32_e32 v1, v1, v217
	s_delay_alu instid0(VALU_DEP_2) | instskip(SKIP_1) | instid1(VALU_DEP_2)
	v_dual_mul_f32 v5, v183, v123 :: v_dual_add_f32 v2, v2, v4
	v_mul_f32_e32 v4, v185, v125
	v_fma_f32 v5, v182, v122, -v5
	s_delay_alu instid0(VALU_DEP_2) | instskip(SKIP_1) | instid1(VALU_DEP_1)
	v_fma_f32 v4, v184, v124, -v4
	v_mul_f32_e32 v3, v181, v121
	v_fma_f32 v3, v180, v120, -v3
	s_delay_alu instid0(VALU_DEP_1) | instskip(NEXT) | instid1(VALU_DEP_1)
	v_dual_add_f32 v1, v1, v218 :: v_dual_add_f32 v2, v2, v3
	v_add_f32_e32 v1, v1, v219
	s_delay_alu instid0(VALU_DEP_2) | instskip(SKIP_1) | instid1(VALU_DEP_2)
	v_dual_mul_f32 v3, v187, v127 :: v_dual_add_f32 v2, v2, v5
	v_mul_f32_e32 v5, v189, v129
	v_fma_f32 v3, v186, v126, -v3
	s_delay_alu instid0(VALU_DEP_3) | instskip(SKIP_1) | instid1(VALU_DEP_4)
	v_add_f32_e32 v2, v2, v4
	v_dual_add_f32 v1, v1, v220 :: v_dual_mul_f32 v4, v191, v131
	v_fma_f32 v5, v188, v128, -v5
	s_delay_alu instid0(VALU_DEP_2) | instskip(SKIP_3) | instid1(VALU_DEP_4)
	v_dual_add_f32 v2, v2, v3 :: v_dual_add_f32 v1, v1, v221
	v_fmac_f32_e32 v223, v181, v120
	v_mul_f32_e32 v3, v193, v133
	v_fma_f32 v4, v190, v130, -v4
	v_dual_add_f32 v2, v2, v5 :: v_dual_add_f32 v1, v1, v222
	v_mul_f32_e32 v5, v195, v135
	s_delay_alu instid0(VALU_DEP_4) | instskip(NEXT) | instid1(VALU_DEP_3)
	v_fma_f32 v3, v192, v132, -v3
	v_dual_add_f32 v2, v2, v4 :: v_dual_add_f32 v1, v1, v223
	v_fmac_f32_e32 v225, v185, v124
	v_mul_f32_e32 v4, v197, v137
	v_fma_f32 v5, v194, v134, -v5
	s_delay_alu instid0(VALU_DEP_4) | instskip(SKIP_1) | instid1(VALU_DEP_4)
	v_dual_add_f32 v2, v2, v3 :: v_dual_add_f32 v1, v1, v224
	v_mul_f32_e32 v3, v199, v139
	v_fma_f32 v4, v196, v136, -v4
	s_delay_alu instid0(VALU_DEP_3) | instskip(NEXT) | instid1(VALU_DEP_4)
	v_add_f32_e32 v2, v2, v5
	v_add_f32_e32 v1, v1, v225
	v_mul_f32_e32 v5, v201, v141
	v_fma_f32 v3, v198, v138, -v3
	s_delay_alu instid0(VALU_DEP_3) | instskip(SKIP_1) | instid1(VALU_DEP_4)
	v_dual_add_f32 v2, v2, v4 :: v_dual_add_f32 v1, v1, v226
	v_mul_f32_e32 v4, v203, v143
	v_fma_f32 v5, v200, v140, -v5
	s_delay_alu instid0(VALU_DEP_3) | instskip(NEXT) | instid1(VALU_DEP_4)
	v_add_f32_e32 v2, v2, v3
	v_add_f32_e32 v1, v1, v227
	v_mul_f32_e32 v3, v205, v145
	v_fma_f32 v4, v202, v142, -v4
	s_delay_alu instid0(VALU_DEP_3) | instskip(NEXT) | instid1(VALU_DEP_3)
	v_dual_add_f32 v2, v2, v5 :: v_dual_add_f32 v1, v1, v228
	v_fma_f32 v3, v204, v144, -v3
	s_delay_alu instid0(VALU_DEP_2) | instskip(NEXT) | instid1(VALU_DEP_1)
	v_add_f32_e32 v2, v2, v4
	v_dual_fmac_f32 v229, v193, v132 :: v_dual_add_f32 v2, v2, v3
	s_delay_alu instid0(VALU_DEP_1) | instskip(NEXT) | instid1(VALU_DEP_1)
	v_add_f32_e32 v1, v1, v229
	v_add_f32_e32 v1, v1, v230
	s_delay_alu instid0(VALU_DEP_1) | instskip(NEXT) | instid1(VALU_DEP_1)
	v_add_f32_e32 v1, v1, v231
	v_add_f32_e32 v1, v1, v232
	;; [unrolled: 3-line block ×3, first 2 shown]
	s_delay_alu instid0(VALU_DEP_1) | instskip(SKIP_1) | instid1(VALU_DEP_1)
	v_add_f32_e32 v3, v1, v235
	s_wait_loadcnt 0x0
	v_dual_sub_f32 v1, v206, v2 :: v_dual_sub_f32 v2, v207, v3
	scratch_store_b64 off, v[1:2], off offset:80
	v_cmpx_lt_u32_e32 9, v0
	s_cbranch_execz .LBB40_241
; %bb.240:
	scratch_load_b64 v[1:2], off, off offset:72
	v_mov_b32_e32 v3, 0
	s_delay_alu instid0(VALU_DEP_1)
	v_mov_b32_e32 v4, v3
	scratch_store_b64 off, v[3:4], off offset:72
	s_wait_loadcnt 0x0
	ds_store_b64 v23, v[1:2]
.LBB40_241:
	s_wait_alu 0xfffe
	s_or_b32 exec_lo, exec_lo, s0
	s_wait_storecnt_dscnt 0x0
	s_barrier_signal -1
	s_barrier_wait -1
	global_inv scope:SCOPE_SE
	s_clause 0x10
	scratch_load_b128 v[2:5], off, off offset:80
	scratch_load_b128 v[6:9], off, off offset:96
	;; [unrolled: 1-line block ×15, first 2 shown]
	scratch_load_b64 v[206:207], off, off offset:320
	scratch_load_b64 v[208:209], off, off offset:72
	v_mov_b32_e32 v1, 0
	ds_load_b128 v[146:149], v1 offset:416
	ds_load_b128 v[150:153], v1 offset:432
	;; [unrolled: 1-line block ×15, first 2 shown]
	ds_load_b64 v[210:211], v1 offset:656
	s_mov_b32 s0, exec_lo
	s_wait_loadcnt_dscnt 0x100f
	v_mul_f32_e32 v22, v146, v3
	s_wait_loadcnt_dscnt 0xf0e
	v_dual_mul_f32 v212, v148, v5 :: v_dual_mul_f32 v213, v150, v7
	v_mul_f32_e32 v5, v149, v5
	s_wait_loadcnt_dscnt 0xe0d
	v_dual_mul_f32 v214, v152, v9 :: v_dual_mul_f32 v215, v154, v11
	s_wait_loadcnt_dscnt 0xd0c
	v_dual_mul_f32 v216, v156, v13 :: v_dual_mul_f32 v217, v158, v15
	;; [unrolled: 2-line block ×3, first 2 shown]
	v_mul_f32_e32 v3, v147, v3
	v_fmac_f32_e32 v22, v147, v2
	v_dual_fmac_f32 v215, v155, v10 :: v_dual_fmac_f32 v216, v157, v12
	s_wait_loadcnt_dscnt 0x100
	v_dual_mul_f32 v238, v200, v141 :: v_dual_mul_f32 v241, v210, v207
	v_fma_f32 v3, v146, v2, -v3
	v_mul_f32_e32 v2, v151, v7
	v_fmac_f32_e32 v212, v149, v4
	v_fma_f32 v4, v148, v4, -v5
	v_dual_add_f32 v5, 0, v22 :: v_dual_fmac_f32 v214, v153, v8
	v_add_f32_e32 v3, 0, v3
	v_fmac_f32_e32 v213, v151, v6
	v_fma_f32 v2, v150, v6, -v2
	v_dual_fmac_f32 v217, v159, v14 :: v_dual_fmac_f32 v218, v161, v16
	s_delay_alu instid0(VALU_DEP_4) | instskip(SKIP_3) | instid1(VALU_DEP_4)
	v_add_f32_e32 v3, v3, v4
	v_mul_f32_e32 v7, v153, v9
	v_add_f32_e32 v4, v5, v212
	v_dual_mul_f32 v220, v164, v21 :: v_dual_mul_f32 v221, v166, v107
	v_add_f32_e32 v2, v3, v2
	s_delay_alu instid0(VALU_DEP_4)
	v_fma_f32 v6, v152, v8, -v7
	v_mul_f32_e32 v5, v155, v11
	v_add_f32_e32 v3, v4, v213
	v_mul_f32_e32 v4, v157, v13
	v_dual_mul_f32 v222, v168, v109 :: v_dual_mul_f32 v223, v170, v111
	v_add_f32_e32 v2, v2, v6
	v_fma_f32 v5, v154, v10, -v5
	v_mul_f32_e32 v6, v159, v15
	v_add_f32_e32 v3, v3, v214
	v_fma_f32 v4, v156, v12, -v4
	v_dual_fmac_f32 v221, v167, v106 :: v_dual_fmac_f32 v222, v169, v108
	s_delay_alu instid0(VALU_DEP_3) | instskip(SKIP_2) | instid1(VALU_DEP_3)
	v_dual_add_f32 v2, v2, v5 :: v_dual_add_f32 v3, v3, v215
	v_mul_f32_e32 v5, v161, v17
	v_fma_f32 v6, v158, v14, -v6
	v_dual_fmac_f32 v219, v163, v18 :: v_dual_add_f32 v2, v2, v4
	s_delay_alu instid0(VALU_DEP_4) | instskip(SKIP_3) | instid1(VALU_DEP_4)
	v_add_f32_e32 v3, v3, v216
	v_mul_f32_e32 v4, v163, v19
	v_fma_f32 v5, v160, v16, -v5
	v_fmac_f32_e32 v220, v165, v20
	v_dual_add_f32 v2, v2, v6 :: v_dual_add_f32 v3, v3, v217
	v_mul_f32_e32 v6, v165, v21
	v_fma_f32 v4, v162, v18, -v4
	v_dual_mul_f32 v224, v172, v113 :: v_dual_mul_f32 v225, v174, v115
	s_delay_alu instid0(VALU_DEP_4) | instskip(SKIP_3) | instid1(VALU_DEP_4)
	v_dual_add_f32 v2, v2, v5 :: v_dual_add_f32 v3, v3, v218
	v_mul_f32_e32 v5, v167, v107
	v_fma_f32 v6, v164, v20, -v6
	v_dual_mul_f32 v226, v176, v117 :: v_dual_mul_f32 v227, v178, v119
	v_dual_add_f32 v2, v2, v4 :: v_dual_add_f32 v3, v3, v219
	v_mul_f32_e32 v4, v169, v109
	v_fma_f32 v5, v166, v106, -v5
	v_fmac_f32_e32 v223, v171, v110
	s_delay_alu instid0(VALU_DEP_4) | instskip(SKIP_3) | instid1(VALU_DEP_4)
	v_dual_add_f32 v2, v2, v6 :: v_dual_add_f32 v3, v3, v220
	v_mul_f32_e32 v6, v171, v111
	v_fma_f32 v4, v168, v108, -v4
	v_fmac_f32_e32 v224, v173, v112
	v_add_f32_e32 v2, v2, v5
	v_add_f32_e32 v3, v3, v221
	v_mul_f32_e32 v5, v173, v113
	v_fma_f32 v6, v170, v110, -v6
	s_delay_alu instid0(VALU_DEP_4) | instskip(NEXT) | instid1(VALU_DEP_4)
	v_dual_fmac_f32 v225, v175, v114 :: v_dual_add_f32 v2, v2, v4
	v_add_f32_e32 v3, v3, v222
	v_mul_f32_e32 v4, v175, v115
	v_fma_f32 v5, v172, v112, -v5
	v_fmac_f32_e32 v226, v177, v116
	s_delay_alu instid0(VALU_DEP_4) | instskip(SKIP_3) | instid1(VALU_DEP_4)
	v_dual_add_f32 v2, v2, v6 :: v_dual_add_f32 v3, v3, v223
	v_mul_f32_e32 v6, v177, v117
	v_fma_f32 v4, v174, v114, -v4
	v_dual_mul_f32 v228, v180, v121 :: v_dual_mul_f32 v229, v182, v123
	v_dual_add_f32 v2, v2, v5 :: v_dual_add_f32 v3, v3, v224
	v_mul_f32_e32 v5, v179, v119
	v_fma_f32 v6, v176, v116, -v6
	s_delay_alu instid0(VALU_DEP_3) | instskip(NEXT) | instid1(VALU_DEP_4)
	v_dual_fmac_f32 v227, v179, v118 :: v_dual_add_f32 v2, v2, v4
	v_add_f32_e32 v3, v3, v225
	v_mul_f32_e32 v4, v181, v121
	v_fma_f32 v5, v178, v118, -v5
	v_fmac_f32_e32 v228, v181, v120
	v_dual_mul_f32 v230, v184, v125 :: v_dual_mul_f32 v231, v186, v127
	v_add_f32_e32 v3, v3, v226
	v_add_f32_e32 v2, v2, v6
	v_mul_f32_e32 v6, v183, v123
	v_fma_f32 v4, v180, v120, -v4
	v_fmac_f32_e32 v229, v183, v122
	s_delay_alu instid0(VALU_DEP_4) | instskip(NEXT) | instid1(VALU_DEP_4)
	v_dual_add_f32 v3, v3, v227 :: v_dual_add_f32 v2, v2, v5
	v_fma_f32 v6, v182, v122, -v6
	v_mul_f32_e32 v5, v185, v125
	v_dual_fmac_f32 v230, v185, v124 :: v_dual_fmac_f32 v231, v187, v126
	s_delay_alu instid0(VALU_DEP_4) | instskip(SKIP_3) | instid1(VALU_DEP_4)
	v_add_f32_e32 v3, v3, v228
	v_add_f32_e32 v2, v2, v4
	v_dual_mul_f32 v232, v188, v129 :: v_dual_mul_f32 v233, v190, v131
	v_mul_f32_e32 v4, v187, v127
	v_add_f32_e32 v3, v3, v229
	v_fma_f32 v5, v184, v124, -v5
	v_add_f32_e32 v2, v2, v6
	v_mul_f32_e32 v6, v189, v129
	v_fma_f32 v4, v186, v126, -v4
	v_dual_add_f32 v3, v3, v230 :: v_dual_fmac_f32 v232, v189, v128
	s_delay_alu instid0(VALU_DEP_4) | instskip(SKIP_1) | instid1(VALU_DEP_3)
	v_dual_add_f32 v2, v2, v5 :: v_dual_mul_f32 v5, v191, v131
	v_dual_mul_f32 v234, v192, v133 :: v_dual_mul_f32 v235, v194, v135
	v_add_f32_e32 v3, v3, v231
	v_fma_f32 v6, v188, v128, -v6
	s_delay_alu instid0(VALU_DEP_4) | instskip(NEXT) | instid1(VALU_DEP_3)
	v_dual_add_f32 v2, v2, v4 :: v_dual_fmac_f32 v233, v191, v130
	v_dual_mul_f32 v4, v193, v133 :: v_dual_add_f32 v3, v3, v232
	v_fma_f32 v5, v190, v130, -v5
	s_delay_alu instid0(VALU_DEP_3) | instskip(SKIP_1) | instid1(VALU_DEP_4)
	v_add_f32_e32 v2, v2, v6
	v_dual_fmac_f32 v234, v193, v132 :: v_dual_fmac_f32 v235, v195, v134
	v_add_f32_e32 v3, v3, v233
	v_dual_mul_f32 v236, v196, v137 :: v_dual_mul_f32 v237, v198, v139
	v_mul_f32_e32 v6, v195, v135
	v_fma_f32 v4, v192, v132, -v4
	s_delay_alu instid0(VALU_DEP_4) | instskip(SKIP_1) | instid1(VALU_DEP_4)
	v_dual_add_f32 v2, v2, v5 :: v_dual_add_f32 v3, v3, v234
	v_mul_f32_e32 v5, v197, v137
	v_fma_f32 v6, v194, v134, -v6
	v_dual_fmac_f32 v236, v197, v136 :: v_dual_fmac_f32 v237, v199, v138
	s_delay_alu instid0(VALU_DEP_4) | instskip(SKIP_3) | instid1(VALU_DEP_4)
	v_dual_add_f32 v2, v2, v4 :: v_dual_add_f32 v3, v3, v235
	v_mul_f32_e32 v4, v199, v139
	v_fma_f32 v5, v196, v136, -v5
	v_dual_mul_f32 v239, v202, v143 :: v_dual_mul_f32 v240, v204, v145
	v_dual_add_f32 v2, v2, v6 :: v_dual_add_f32 v3, v3, v236
	s_delay_alu instid0(VALU_DEP_4) | instskip(SKIP_2) | instid1(VALU_DEP_4)
	v_fma_f32 v4, v198, v138, -v4
	v_fmac_f32_e32 v238, v201, v140
	v_mul_f32_e32 v6, v201, v141
	v_dual_add_f32 v2, v2, v5 :: v_dual_fmac_f32 v239, v203, v142
	v_add_f32_e32 v3, v3, v237
	v_mul_f32_e32 v5, v203, v143
	s_delay_alu instid0(VALU_DEP_4) | instskip(NEXT) | instid1(VALU_DEP_4)
	v_fma_f32 v6, v200, v140, -v6
	v_add_f32_e32 v2, v2, v4
	v_dual_fmac_f32 v240, v205, v144 :: v_dual_fmac_f32 v241, v211, v206
	v_dual_add_f32 v3, v3, v238 :: v_dual_mul_f32 v4, v205, v145
	v_fma_f32 v5, v202, v142, -v5
	s_delay_alu instid0(VALU_DEP_2) | instskip(SKIP_1) | instid1(VALU_DEP_4)
	v_dual_add_f32 v3, v3, v239 :: v_dual_add_f32 v2, v2, v6
	v_mul_f32_e32 v6, v211, v207
	v_fma_f32 v4, v204, v144, -v4
	s_delay_alu instid0(VALU_DEP_3) | instskip(NEXT) | instid1(VALU_DEP_1)
	v_add_f32_e32 v3, v3, v240
	v_add_f32_e32 v3, v3, v241
	;; [unrolled: 1-line block ×3, first 2 shown]
	v_fma_f32 v5, v210, v206, -v6
	s_wait_loadcnt 0x0
	s_delay_alu instid0(VALU_DEP_2) | instskip(NEXT) | instid1(VALU_DEP_1)
	v_dual_sub_f32 v3, v209, v3 :: v_dual_add_f32 v2, v2, v4
	v_add_f32_e32 v2, v2, v5
	s_delay_alu instid0(VALU_DEP_1)
	v_sub_f32_e32 v2, v208, v2
	scratch_store_b64 off, v[2:3], off offset:72
	v_cmpx_lt_u32_e32 8, v0
	s_cbranch_execz .LBB40_243
; %bb.242:
	scratch_load_b64 v[3:4], off, off offset:64
	v_mov_b32_e32 v2, v1
	scratch_store_b64 off, v[1:2], off offset:64
	s_wait_loadcnt 0x0
	ds_store_b64 v23, v[3:4]
.LBB40_243:
	s_wait_alu 0xfffe
	s_or_b32 exec_lo, exec_lo, s0
	s_wait_storecnt_dscnt 0x0
	s_barrier_signal -1
	s_barrier_wait -1
	global_inv scope:SCOPE_SE
	s_clause 0x10
	scratch_load_b128 v[2:5], off, off offset:72
	scratch_load_b128 v[6:9], off, off offset:88
	;; [unrolled: 1-line block ×16, first 2 shown]
	scratch_load_b64 v[214:215], off, off offset:64
	ds_load_2addr_b64 v[150:153], v1 offset0:51 offset1:52
	ds_load_2addr_b64 v[154:157], v1 offset0:53 offset1:54
	ds_load_2addr_b64 v[158:161], v1 offset0:55 offset1:56
	ds_load_2addr_b64 v[162:165], v1 offset0:57 offset1:58
	ds_load_2addr_b64 v[166:169], v1 offset0:59 offset1:60
	ds_load_2addr_b64 v[170:173], v1 offset0:61 offset1:62
	ds_load_2addr_b64 v[174:177], v1 offset0:63 offset1:64
	ds_load_2addr_b64 v[178:181], v1 offset0:65 offset1:66
	ds_load_2addr_b64 v[182:185], v1 offset0:67 offset1:68
	ds_load_2addr_b64 v[186:189], v1 offset0:69 offset1:70
	ds_load_2addr_b64 v[190:193], v1 offset0:71 offset1:72
	ds_load_2addr_b64 v[194:197], v1 offset0:73 offset1:74
	ds_load_2addr_b64 v[198:201], v1 offset0:75 offset1:76
	ds_load_2addr_b64 v[202:205], v1 offset0:77 offset1:78
	ds_load_2addr_b64 v[206:209], v1 offset0:79 offset1:80
	ds_load_2addr_b64 v[210:213], v1 offset0:81 offset1:82
	s_mov_b32 s0, exec_lo
	s_wait_loadcnt_dscnt 0x100f
	v_dual_mul_f32 v1, v150, v3 :: v_dual_mul_f32 v22, v152, v5
	v_mul_f32_e32 v3, v151, v3
	s_wait_loadcnt_dscnt 0xf0e
	v_dual_mul_f32 v5, v153, v5 :: v_dual_mul_f32 v216, v154, v7
	s_delay_alu instid0(VALU_DEP_3) | instskip(NEXT) | instid1(VALU_DEP_3)
	v_dual_mul_f32 v217, v156, v9 :: v_dual_fmac_f32 v22, v153, v4
	v_fma_f32 v3, v150, v2, -v3
	v_fmac_f32_e32 v1, v151, v2
	v_mul_f32_e32 v2, v155, v7
	v_fma_f32 v4, v152, v4, -v5
	s_delay_alu instid0(VALU_DEP_4)
	v_dual_fmac_f32 v216, v155, v6 :: v_dual_add_f32 v3, 0, v3
	s_wait_loadcnt_dscnt 0xc0b
	v_dual_mul_f32 v222, v166, v19 :: v_dual_mul_f32 v223, v168, v21
	v_fma_f32 v2, v154, v6, -v2
	v_dual_mul_f32 v218, v158, v11 :: v_dual_mul_f32 v219, v160, v13
	v_add_f32_e32 v3, v3, v4
	v_dual_mul_f32 v5, v157, v9 :: v_dual_mul_f32 v220, v162, v15
	v_dual_mul_f32 v221, v164, v17 :: v_dual_mul_f32 v4, v159, v11
	s_delay_alu instid0(VALU_DEP_3) | instskip(NEXT) | instid1(VALU_DEP_3)
	v_add_f32_e32 v2, v3, v2
	v_fma_f32 v5, v156, v8, -v5
	v_dual_mul_f32 v3, v161, v13 :: v_dual_fmac_f32 v222, v167, v18
	s_delay_alu instid0(VALU_DEP_4) | instskip(SKIP_1) | instid1(VALU_DEP_4)
	v_fma_f32 v4, v158, v10, -v4
	v_dual_fmac_f32 v217, v157, v8 :: v_dual_fmac_f32 v218, v159, v10
	v_add_f32_e32 v2, v2, v5
	v_add_f32_e32 v1, 0, v1
	v_fma_f32 v3, v160, v12, -v3
	v_fmac_f32_e32 v220, v163, v14
	s_wait_loadcnt_dscnt 0xb0a
	v_dual_mul_f32 v224, v170, v107 :: v_dual_mul_f32 v225, v172, v109
	v_dual_add_f32 v1, v1, v22 :: v_dual_add_f32 v2, v2, v4
	v_mul_f32_e32 v4, v165, v17
	s_wait_loadcnt_dscnt 0x908
	v_dual_mul_f32 v228, v178, v115 :: v_dual_mul_f32 v229, v180, v117
	s_delay_alu instid0(VALU_DEP_3) | instskip(NEXT) | instid1(VALU_DEP_3)
	v_dual_add_f32 v1, v1, v216 :: v_dual_add_f32 v2, v2, v3
	v_fma_f32 v4, v164, v16, -v4
	v_mul_f32_e32 v5, v163, v15
	v_dual_mul_f32 v226, v174, v111 :: v_dual_mul_f32 v227, v176, v113
	s_wait_loadcnt_dscnt 0x605
	v_dual_add_f32 v1, v1, v217 :: v_dual_mul_f32 v234, v190, v127
	v_mul_f32_e32 v235, v192, v129
	v_fma_f32 v5, v162, v14, -v5
	v_fmac_f32_e32 v219, v161, v12
	s_delay_alu instid0(VALU_DEP_4)
	v_add_f32_e32 v1, v1, v218
	v_fmac_f32_e32 v224, v171, v106
	v_dual_mul_f32 v230, v182, v119 :: v_dual_mul_f32 v231, v184, v121
	v_add_f32_e32 v2, v2, v5
	v_dual_fmac_f32 v226, v175, v110 :: v_dual_fmac_f32 v225, v173, v108
	v_dual_mul_f32 v232, v186, v123 :: v_dual_mul_f32 v233, v188, v125
	s_delay_alu instid0(VALU_DEP_3) | instskip(SKIP_2) | instid1(VALU_DEP_4)
	v_add_f32_e32 v2, v2, v4
	v_mul_f32_e32 v4, v171, v107
	v_add_f32_e32 v1, v1, v219
	v_dual_fmac_f32 v227, v177, v112 :: v_dual_fmac_f32 v232, v187, v122
	s_wait_loadcnt_dscnt 0x302
	v_dual_mul_f32 v240, v202, v139 :: v_dual_mul_f32 v241, v204, v141
	v_fma_f32 v4, v170, v106, -v4
	v_mul_f32_e32 v5, v169, v21
	v_dual_add_f32 v1, v1, v220 :: v_dual_fmac_f32 v228, v179, v114
	v_dual_fmac_f32 v229, v181, v116 :: v_dual_mul_f32 v236, v194, v131
	v_mul_f32_e32 v237, v196, v133
	s_delay_alu instid0(VALU_DEP_4) | instskip(SKIP_4) | instid1(VALU_DEP_3)
	v_fma_f32 v5, v168, v20, -v5
	v_mul_f32_e32 v3, v167, v19
	s_wait_loadcnt_dscnt 0x201
	v_dual_mul_f32 v242, v206, v143 :: v_dual_mul_f32 v243, v208, v145
	v_dual_mul_f32 v238, v198, v135 :: v_dual_mul_f32 v239, v200, v137
	v_fma_f32 v3, v166, v18, -v3
	v_fmac_f32_e32 v221, v165, v16
	s_wait_loadcnt_dscnt 0x100
	v_dual_fmac_f32 v235, v193, v128 :: v_dual_mul_f32 v244, v210, v147
	s_delay_alu instid0(VALU_DEP_3) | instskip(SKIP_1) | instid1(VALU_DEP_3)
	v_dual_mul_f32 v245, v212, v149 :: v_dual_add_f32 v2, v2, v3
	v_mul_f32_e32 v3, v173, v109
	v_dual_fmac_f32 v237, v197, v132 :: v_dual_fmac_f32 v244, v211, v146
	s_delay_alu instid0(VALU_DEP_3) | instskip(SKIP_1) | instid1(VALU_DEP_4)
	v_dual_fmac_f32 v241, v205, v140 :: v_dual_add_f32 v2, v2, v5
	v_mul_f32_e32 v5, v175, v111
	v_fma_f32 v3, v172, v108, -v3
	v_dual_fmac_f32 v234, v191, v126 :: v_dual_fmac_f32 v243, v209, v144
	s_delay_alu instid0(VALU_DEP_4) | instskip(SKIP_3) | instid1(VALU_DEP_4)
	v_dual_add_f32 v2, v2, v4 :: v_dual_add_f32 v1, v1, v221
	v_mul_f32_e32 v4, v177, v113
	v_fma_f32 v5, v174, v110, -v5
	v_fmac_f32_e32 v230, v183, v118
	v_dual_add_f32 v2, v2, v3 :: v_dual_fmac_f32 v223, v169, v20
	s_delay_alu instid0(VALU_DEP_4) | instskip(SKIP_1) | instid1(VALU_DEP_3)
	v_fma_f32 v4, v176, v112, -v4
	v_dual_fmac_f32 v245, v213, v148 :: v_dual_fmac_f32 v240, v203, v138
	v_add_f32_e32 v2, v2, v5
	v_mul_f32_e32 v5, v181, v117
	v_add_f32_e32 v1, v1, v222
	v_fmac_f32_e32 v236, v195, v130
	v_fmac_f32_e32 v242, v207, v142
	v_add_f32_e32 v2, v2, v4
	v_fma_f32 v5, v180, v116, -v5
	v_mul_f32_e32 v3, v179, v115
	v_add_f32_e32 v1, v1, v223
	v_mul_f32_e32 v4, v183, v119
	v_fmac_f32_e32 v238, v199, v134
	s_delay_alu instid0(VALU_DEP_4) | instskip(NEXT) | instid1(VALU_DEP_4)
	v_fma_f32 v3, v178, v114, -v3
	v_add_f32_e32 v1, v1, v224
	s_delay_alu instid0(VALU_DEP_4) | instskip(NEXT) | instid1(VALU_DEP_3)
	v_fma_f32 v4, v182, v118, -v4
	v_add_f32_e32 v2, v2, v3
	s_delay_alu instid0(VALU_DEP_1) | instskip(NEXT) | instid1(VALU_DEP_4)
	v_add_f32_e32 v2, v2, v5
	v_add_f32_e32 v1, v1, v225
	s_delay_alu instid0(VALU_DEP_2) | instskip(SKIP_1) | instid1(VALU_DEP_2)
	v_dual_mul_f32 v5, v187, v123 :: v_dual_add_f32 v2, v2, v4
	v_mul_f32_e32 v4, v189, v125
	v_fma_f32 v5, v186, v122, -v5
	s_delay_alu instid0(VALU_DEP_2) | instskip(SKIP_1) | instid1(VALU_DEP_1)
	v_fma_f32 v4, v188, v124, -v4
	v_mul_f32_e32 v3, v185, v121
	v_fma_f32 v3, v184, v120, -v3
	s_delay_alu instid0(VALU_DEP_1) | instskip(NEXT) | instid1(VALU_DEP_1)
	v_dual_add_f32 v1, v1, v226 :: v_dual_add_f32 v2, v2, v3
	v_add_f32_e32 v1, v1, v227
	s_delay_alu instid0(VALU_DEP_2) | instskip(SKIP_1) | instid1(VALU_DEP_2)
	v_dual_mul_f32 v3, v191, v127 :: v_dual_add_f32 v2, v2, v5
	v_mul_f32_e32 v5, v193, v129
	v_fma_f32 v3, v190, v126, -v3
	s_delay_alu instid0(VALU_DEP_3) | instskip(SKIP_1) | instid1(VALU_DEP_4)
	v_add_f32_e32 v2, v2, v4
	v_dual_add_f32 v1, v1, v228 :: v_dual_mul_f32 v4, v195, v131
	v_fma_f32 v5, v192, v128, -v5
	s_delay_alu instid0(VALU_DEP_2) | instskip(SKIP_3) | instid1(VALU_DEP_4)
	v_dual_add_f32 v2, v2, v3 :: v_dual_add_f32 v1, v1, v229
	v_fmac_f32_e32 v231, v185, v120
	v_mul_f32_e32 v3, v197, v133
	v_fma_f32 v4, v194, v130, -v4
	v_dual_add_f32 v2, v2, v5 :: v_dual_add_f32 v1, v1, v230
	v_mul_f32_e32 v5, v199, v135
	s_delay_alu instid0(VALU_DEP_4) | instskip(NEXT) | instid1(VALU_DEP_3)
	v_fma_f32 v3, v196, v132, -v3
	v_dual_add_f32 v2, v2, v4 :: v_dual_add_f32 v1, v1, v231
	v_fmac_f32_e32 v233, v189, v124
	v_mul_f32_e32 v4, v201, v137
	v_fma_f32 v5, v198, v134, -v5
	s_delay_alu instid0(VALU_DEP_4) | instskip(SKIP_1) | instid1(VALU_DEP_4)
	v_dual_add_f32 v2, v2, v3 :: v_dual_add_f32 v1, v1, v232
	v_mul_f32_e32 v3, v203, v139
	v_fma_f32 v4, v200, v136, -v4
	s_delay_alu instid0(VALU_DEP_3) | instskip(NEXT) | instid1(VALU_DEP_4)
	v_add_f32_e32 v2, v2, v5
	v_add_f32_e32 v1, v1, v233
	v_mul_f32_e32 v5, v205, v141
	v_fma_f32 v3, v202, v138, -v3
	s_delay_alu instid0(VALU_DEP_3) | instskip(SKIP_1) | instid1(VALU_DEP_4)
	v_dual_add_f32 v2, v2, v4 :: v_dual_add_f32 v1, v1, v234
	v_mul_f32_e32 v4, v207, v143
	v_fma_f32 v5, v204, v140, -v5
	s_delay_alu instid0(VALU_DEP_3) | instskip(NEXT) | instid1(VALU_DEP_4)
	v_add_f32_e32 v2, v2, v3
	v_add_f32_e32 v1, v1, v235
	v_mul_f32_e32 v3, v209, v145
	v_fma_f32 v4, v206, v142, -v4
	s_delay_alu instid0(VALU_DEP_4) | instskip(NEXT) | instid1(VALU_DEP_3)
	v_dual_add_f32 v2, v2, v5 :: v_dual_mul_f32 v5, v211, v147
	v_fma_f32 v3, v208, v144, -v3
	s_delay_alu instid0(VALU_DEP_2) | instskip(SKIP_3) | instid1(VALU_DEP_4)
	v_add_f32_e32 v2, v2, v4
	v_add_f32_e32 v1, v1, v236
	v_mul_f32_e32 v4, v213, v149
	v_fma_f32 v5, v210, v146, -v5
	v_dual_add_f32 v2, v2, v3 :: v_dual_fmac_f32 v239, v201, v136
	s_delay_alu instid0(VALU_DEP_3) | instskip(NEXT) | instid1(VALU_DEP_2)
	v_fma_f32 v3, v212, v148, -v4
	v_add_f32_e32 v2, v2, v5
	s_delay_alu instid0(VALU_DEP_1) | instskip(NEXT) | instid1(VALU_DEP_1)
	v_dual_add_f32 v1, v1, v237 :: v_dual_add_f32 v2, v2, v3
	v_add_f32_e32 v1, v1, v238
	s_delay_alu instid0(VALU_DEP_1) | instskip(NEXT) | instid1(VALU_DEP_1)
	v_add_f32_e32 v1, v1, v239
	v_add_f32_e32 v1, v1, v240
	s_delay_alu instid0(VALU_DEP_1) | instskip(NEXT) | instid1(VALU_DEP_1)
	v_add_f32_e32 v1, v1, v241
	;; [unrolled: 3-line block ×3, first 2 shown]
	v_add_f32_e32 v1, v1, v244
	s_delay_alu instid0(VALU_DEP_1) | instskip(SKIP_1) | instid1(VALU_DEP_1)
	v_add_f32_e32 v3, v1, v245
	s_wait_loadcnt 0x0
	v_dual_sub_f32 v1, v214, v2 :: v_dual_sub_f32 v2, v215, v3
	scratch_store_b64 off, v[1:2], off offset:64
	v_cmpx_lt_u32_e32 7, v0
	s_cbranch_execz .LBB40_245
; %bb.244:
	scratch_load_b64 v[1:2], off, off offset:56
	v_mov_b32_e32 v3, 0
	s_delay_alu instid0(VALU_DEP_1)
	v_mov_b32_e32 v4, v3
	scratch_store_b64 off, v[3:4], off offset:56
	s_wait_loadcnt 0x0
	ds_store_b64 v23, v[1:2]
.LBB40_245:
	s_wait_alu 0xfffe
	s_or_b32 exec_lo, exec_lo, s0
	s_wait_storecnt_dscnt 0x0
	s_barrier_signal -1
	s_barrier_wait -1
	global_inv scope:SCOPE_SE
	s_clause 0x11
	scratch_load_b128 v[1:4], off, off offset:64
	scratch_load_b128 v[5:8], off, off offset:80
	;; [unrolled: 1-line block ×16, first 2 shown]
	scratch_load_b64 v[214:215], off, off offset:320
	scratch_load_b64 v[216:217], off, off offset:56
	v_mov_b32_e32 v21, 0
	ds_load_b128 v[150:153], v21 offset:400
	ds_load_b128 v[154:157], v21 offset:416
	;; [unrolled: 1-line block ×16, first 2 shown]
	ds_load_b64 v[218:219], v21 offset:656
	s_mov_b32 s0, exec_lo
	s_wait_loadcnt_dscnt 0x1110
	v_mul_f32_e32 v22, v150, v2
	v_mul_f32_e32 v2, v151, v2
	s_wait_loadcnt_dscnt 0x100f
	v_dual_mul_f32 v220, v152, v4 :: v_dual_mul_f32 v221, v154, v6
	v_mul_f32_e32 v4, v153, v4
	s_wait_loadcnt_dscnt 0xf0e
	v_dual_mul_f32 v222, v156, v8 :: v_dual_mul_f32 v223, v158, v10
	s_delay_alu instid0(VALU_DEP_3)
	v_fmac_f32_e32 v220, v153, v3
	v_fmac_f32_e32 v22, v151, v1
	;; [unrolled: 1-line block ×3, first 2 shown]
	v_fma_f32 v3, v152, v3, -v4
	v_dual_fmac_f32 v223, v159, v9 :: v_dual_mul_f32 v224, v160, v12
	s_wait_loadcnt_dscnt 0xe0d
	v_mul_f32_e32 v225, v162, v14
	v_add_f32_e32 v4, 0, v22
	s_wait_loadcnt_dscnt 0x100
	v_dual_mul_f32 v250, v212, v149 :: v_dual_mul_f32 v251, v218, v215
	v_fma_f32 v2, v150, v1, -v2
	v_dual_mul_f32 v1, v155, v6 :: v_dual_mul_f32 v6, v157, v8
	v_dual_fmac_f32 v222, v157, v7 :: v_dual_fmac_f32 v225, v163, v13
	s_delay_alu instid0(VALU_DEP_3) | instskip(NEXT) | instid1(VALU_DEP_3)
	v_add_f32_e32 v2, 0, v2
	v_fma_f32 v1, v154, v5, -v1
	s_delay_alu instid0(VALU_DEP_4) | instskip(SKIP_1) | instid1(VALU_DEP_4)
	v_fma_f32 v5, v156, v7, -v6
	v_dual_mul_f32 v226, v164, v16 :: v_dual_mul_f32 v227, v166, v18
	v_add_f32_e32 v2, v2, v3
	v_dual_mul_f32 v228, v168, v20 :: v_dual_mul_f32 v229, v170, v107
	v_fmac_f32_e32 v224, v161, v11
	s_delay_alu instid0(VALU_DEP_3) | instskip(SKIP_1) | instid1(VALU_DEP_4)
	v_dual_fmac_f32 v226, v165, v15 :: v_dual_add_f32 v1, v2, v1
	v_add_f32_e32 v3, v4, v220
	v_dual_fmac_f32 v229, v171, v106 :: v_dual_mul_f32 v230, v172, v109
	v_mul_f32_e32 v231, v174, v111
	s_delay_alu instid0(VALU_DEP_4) | instskip(NEXT) | instid1(VALU_DEP_4)
	v_add_f32_e32 v1, v1, v5
	v_dual_add_f32 v2, v3, v221 :: v_dual_mul_f32 v3, v161, v12
	v_dual_mul_f32 v5, v163, v14 :: v_dual_fmac_f32 v228, v169, v19
	s_delay_alu instid0(VALU_DEP_4) | instskip(SKIP_1) | instid1(VALU_DEP_4)
	v_dual_fmac_f32 v231, v175, v110 :: v_dual_mul_f32 v232, v176, v113
	v_mul_f32_e32 v233, v178, v115
	v_fma_f32 v3, v160, v11, -v3
	v_mul_f32_e32 v4, v159, v10
	v_fma_f32 v5, v162, v13, -v5
	v_dual_fmac_f32 v227, v167, v17 :: v_dual_fmac_f32 v230, v173, v108
	v_dual_mul_f32 v234, v180, v117 :: v_dual_mul_f32 v235, v182, v119
	s_delay_alu instid0(VALU_DEP_4) | instskip(SKIP_2) | instid1(VALU_DEP_4)
	v_fma_f32 v4, v158, v9, -v4
	v_fmac_f32_e32 v232, v177, v112
	v_dual_mul_f32 v236, v184, v121 :: v_dual_mul_f32 v237, v186, v123
	v_fmac_f32_e32 v235, v183, v118
	s_delay_alu instid0(VALU_DEP_4) | instskip(SKIP_3) | instid1(VALU_DEP_4)
	v_add_f32_e32 v1, v1, v4
	v_mul_f32_e32 v4, v165, v16
	v_fmac_f32_e32 v234, v181, v116
	v_dual_fmac_f32 v236, v185, v120 :: v_dual_fmac_f32 v237, v187, v122
	v_dual_add_f32 v1, v1, v3 :: v_dual_add_f32 v2, v2, v222
	v_mul_f32_e32 v3, v167, v18
	v_fma_f32 v4, v164, v15, -v4
	v_dual_mul_f32 v238, v188, v125 :: v_dual_mul_f32 v239, v190, v127
	s_delay_alu instid0(VALU_DEP_4) | instskip(SKIP_2) | instid1(VALU_DEP_4)
	v_dual_add_f32 v1, v1, v5 :: v_dual_add_f32 v2, v2, v223
	v_mul_f32_e32 v5, v169, v20
	v_fma_f32 v3, v166, v17, -v3
	v_dual_fmac_f32 v238, v189, v124 :: v_dual_fmac_f32 v239, v191, v126
	s_delay_alu instid0(VALU_DEP_4) | instskip(SKIP_4) | instid1(VALU_DEP_4)
	v_add_f32_e32 v1, v1, v4
	v_add_f32_e32 v2, v2, v224
	v_fma_f32 v5, v168, v19, -v5
	v_mul_f32_e32 v4, v171, v107
	v_fmac_f32_e32 v233, v179, v114
	v_dual_add_f32 v1, v1, v3 :: v_dual_add_f32 v2, v2, v225
	v_mul_f32_e32 v3, v173, v109
	s_delay_alu instid0(VALU_DEP_4) | instskip(SKIP_1) | instid1(VALU_DEP_4)
	v_fma_f32 v4, v170, v106, -v4
	v_dual_mul_f32 v240, v192, v129 :: v_dual_mul_f32 v241, v194, v131
	v_add_f32_e32 v1, v1, v5
	v_dual_mul_f32 v5, v175, v111 :: v_dual_add_f32 v2, v2, v226
	v_fma_f32 v3, v172, v108, -v3
	s_delay_alu instid0(VALU_DEP_4) | instskip(NEXT) | instid1(VALU_DEP_3)
	v_dual_fmac_f32 v240, v193, v128 :: v_dual_fmac_f32 v241, v195, v130
	v_dual_add_f32 v1, v1, v4 :: v_dual_add_f32 v2, v2, v227
	v_mul_f32_e32 v4, v177, v113
	v_fma_f32 v5, v174, v110, -v5
	v_dual_mul_f32 v242, v196, v133 :: v_dual_mul_f32 v243, v198, v135
	s_delay_alu instid0(VALU_DEP_4) | instskip(SKIP_2) | instid1(VALU_DEP_4)
	v_dual_add_f32 v2, v2, v228 :: v_dual_add_f32 v1, v1, v3
	v_mul_f32_e32 v3, v179, v115
	v_fma_f32 v4, v176, v112, -v4
	v_dual_fmac_f32 v242, v197, v132 :: v_dual_fmac_f32 v243, v199, v134
	s_delay_alu instid0(VALU_DEP_4) | instskip(SKIP_4) | instid1(VALU_DEP_4)
	v_add_f32_e32 v2, v2, v229
	v_add_f32_e32 v1, v1, v5
	v_mul_f32_e32 v5, v181, v117
	v_fma_f32 v3, v178, v114, -v3
	v_dual_mul_f32 v244, v200, v137 :: v_dual_mul_f32 v245, v202, v139
	v_dual_add_f32 v2, v2, v230 :: v_dual_add_f32 v1, v1, v4
	v_mul_f32_e32 v4, v183, v119
	v_fma_f32 v5, v180, v116, -v5
	v_dual_mul_f32 v246, v204, v141 :: v_dual_mul_f32 v247, v206, v143
	s_delay_alu instid0(VALU_DEP_4) | instskip(SKIP_2) | instid1(VALU_DEP_4)
	v_add_f32_e32 v2, v2, v231
	v_add_f32_e32 v1, v1, v3
	v_fma_f32 v4, v182, v118, -v4
	v_dual_fmac_f32 v245, v203, v138 :: v_dual_fmac_f32 v246, v205, v140
	s_delay_alu instid0(VALU_DEP_3) | instskip(SKIP_2) | instid1(VALU_DEP_3)
	v_dual_add_f32 v2, v2, v232 :: v_dual_add_f32 v1, v1, v5
	v_dual_mul_f32 v5, v187, v123 :: v_dual_mul_f32 v248, v208, v145
	v_mul_f32_e32 v249, v210, v147
	v_dual_add_f32 v2, v2, v233 :: v_dual_add_f32 v1, v1, v4
	v_mul_f32_e32 v3, v185, v121
	v_mul_f32_e32 v4, v189, v125
	v_fma_f32 v5, v186, v122, -v5
	s_delay_alu instid0(VALU_DEP_4) | instskip(SKIP_3) | instid1(VALU_DEP_4)
	v_add_f32_e32 v2, v2, v234
	v_dual_fmac_f32 v247, v207, v142 :: v_dual_fmac_f32 v248, v209, v144
	v_fma_f32 v3, v184, v120, -v3
	v_dual_fmac_f32 v249, v211, v146 :: v_dual_fmac_f32 v250, v213, v148
	v_dual_add_f32 v2, v2, v235 :: v_dual_fmac_f32 v251, v219, v214
	s_delay_alu instid0(VALU_DEP_3) | instskip(SKIP_2) | instid1(VALU_DEP_4)
	v_add_f32_e32 v1, v1, v3
	v_mul_f32_e32 v3, v191, v127
	v_fma_f32 v4, v188, v124, -v4
	v_add_f32_e32 v2, v2, v236
	v_fmac_f32_e32 v244, v201, v136
	s_delay_alu instid0(VALU_DEP_4) | instskip(NEXT) | instid1(VALU_DEP_3)
	v_fma_f32 v3, v190, v126, -v3
	v_add_f32_e32 v2, v2, v237
	v_add_f32_e32 v1, v1, v5
	s_delay_alu instid0(VALU_DEP_2) | instskip(NEXT) | instid1(VALU_DEP_2)
	v_dual_mul_f32 v5, v193, v129 :: v_dual_add_f32 v2, v2, v238
	v_dual_add_f32 v1, v1, v4 :: v_dual_mul_f32 v4, v195, v131
	s_delay_alu instid0(VALU_DEP_2) | instskip(NEXT) | instid1(VALU_DEP_3)
	v_fma_f32 v5, v192, v128, -v5
	v_add_f32_e32 v2, v2, v239
	s_delay_alu instid0(VALU_DEP_3) | instskip(SKIP_2) | instid1(VALU_DEP_4)
	v_add_f32_e32 v1, v1, v3
	v_mul_f32_e32 v3, v197, v133
	v_fma_f32 v4, v194, v130, -v4
	v_add_f32_e32 v2, v2, v240
	s_delay_alu instid0(VALU_DEP_3) | instskip(NEXT) | instid1(VALU_DEP_2)
	v_fma_f32 v3, v196, v132, -v3
	v_add_f32_e32 v2, v2, v241
	v_add_f32_e32 v1, v1, v5
	s_delay_alu instid0(VALU_DEP_2) | instskip(NEXT) | instid1(VALU_DEP_2)
	v_dual_mul_f32 v5, v199, v135 :: v_dual_add_f32 v2, v2, v242
	v_add_f32_e32 v1, v1, v4
	v_mul_f32_e32 v4, v201, v137
	s_delay_alu instid0(VALU_DEP_3) | instskip(NEXT) | instid1(VALU_DEP_4)
	v_fma_f32 v5, v198, v134, -v5
	v_add_f32_e32 v2, v2, v243
	s_delay_alu instid0(VALU_DEP_4) | instskip(SKIP_2) | instid1(VALU_DEP_3)
	v_add_f32_e32 v1, v1, v3
	v_mul_f32_e32 v3, v203, v139
	v_fma_f32 v4, v200, v136, -v4
	v_dual_add_f32 v2, v2, v244 :: v_dual_add_f32 v1, v1, v5
	s_delay_alu instid0(VALU_DEP_3) | instskip(SKIP_1) | instid1(VALU_DEP_3)
	v_fma_f32 v3, v202, v138, -v3
	v_mul_f32_e32 v5, v205, v141
	v_dual_add_f32 v2, v2, v245 :: v_dual_add_f32 v1, v1, v4
	v_mul_f32_e32 v4, v207, v143
	s_delay_alu instid0(VALU_DEP_3) | instskip(NEXT) | instid1(VALU_DEP_3)
	v_fma_f32 v5, v204, v140, -v5
	v_dual_add_f32 v2, v2, v246 :: v_dual_add_f32 v1, v1, v3
	v_mul_f32_e32 v3, v209, v145
	s_delay_alu instid0(VALU_DEP_4) | instskip(NEXT) | instid1(VALU_DEP_3)
	v_fma_f32 v4, v206, v142, -v4
	v_dual_add_f32 v2, v2, v247 :: v_dual_add_f32 v1, v1, v5
	v_mul_f32_e32 v5, v211, v147
	s_delay_alu instid0(VALU_DEP_4) | instskip(NEXT) | instid1(VALU_DEP_3)
	v_fma_f32 v3, v208, v144, -v3
	v_add_f32_e32 v2, v2, v248
	s_delay_alu instid0(VALU_DEP_4) | instskip(SKIP_2) | instid1(VALU_DEP_3)
	v_add_f32_e32 v1, v1, v4
	v_mul_f32_e32 v4, v213, v149
	v_fma_f32 v5, v210, v146, -v5
	v_dual_add_f32 v2, v2, v249 :: v_dual_add_f32 v1, v1, v3
	s_delay_alu instid0(VALU_DEP_3) | instskip(NEXT) | instid1(VALU_DEP_2)
	v_fma_f32 v4, v212, v148, -v4
	v_dual_add_f32 v2, v2, v250 :: v_dual_add_f32 v1, v1, v5
	s_delay_alu instid0(VALU_DEP_1) | instskip(SKIP_1) | instid1(VALU_DEP_3)
	v_add_f32_e32 v2, v2, v251
	v_mul_f32_e32 v3, v219, v215
	v_add_f32_e32 v1, v1, v4
	s_wait_loadcnt 0x0
	s_delay_alu instid0(VALU_DEP_3) | instskip(NEXT) | instid1(VALU_DEP_3)
	v_sub_f32_e32 v2, v217, v2
	v_fma_f32 v3, v218, v214, -v3
	s_delay_alu instid0(VALU_DEP_1) | instskip(NEXT) | instid1(VALU_DEP_1)
	v_add_f32_e32 v1, v1, v3
	v_sub_f32_e32 v1, v216, v1
	scratch_store_b64 off, v[1:2], off offset:56
	v_cmpx_lt_u32_e32 6, v0
	s_cbranch_execz .LBB40_247
; %bb.246:
	scratch_load_b64 v[1:2], off, off offset:48
	v_mov_b32_e32 v22, v21
	scratch_store_b64 off, v[21:22], off offset:48
	s_wait_loadcnt 0x0
	ds_store_b64 v23, v[1:2]
.LBB40_247:
	s_wait_alu 0xfffe
	s_or_b32 exec_lo, exec_lo, s0
	s_wait_storecnt_dscnt 0x0
	s_barrier_signal -1
	s_barrier_wait -1
	global_inv scope:SCOPE_SE
	s_clause 0x4
	scratch_load_b128 v[5:8], off, off offset:56
	scratch_load_b128 v[1:4], off, off offset:72
	scratch_load_b128 v[9:12], off, off offset:88
	scratch_load_b128 v[13:16], off, off offset:104
	scratch_load_b128 v[17:20], off, off offset:120
	ds_load_2addr_b64 v[106:109], v21 offset0:49 offset1:50
	ds_load_2addr_b64 v[110:113], v21 offset0:51 offset1:52
	;; [unrolled: 1-line block ×3, first 2 shown]
	scratch_load_b64 v[118:119], off, off offset:48
	s_mov_b32 s0, exec_lo
	s_wait_loadcnt_dscnt 0x502
	v_dual_mul_f32 v22, v107, v6 :: v_dual_mul_f32 v121, v108, v8
	v_mul_f32_e32 v120, v106, v6
	v_mul_f32_e32 v6, v109, v8
	s_wait_loadcnt_dscnt 0x300
	v_mul_f32_e32 v122, v116, v12
	v_fma_f32 v22, v106, v5, -v22
	v_dual_fmac_f32 v121, v109, v7 :: v_dual_fmac_f32 v120, v107, v5
	v_mul_f32_e32 v109, v114, v10
	v_mul_f32_e32 v107, v110, v2
	v_fma_f32 v106, v108, v7, -v6
	ds_load_2addr_b64 v[5:8], v21 offset0:55 offset1:56
	v_mul_f32_e32 v108, v112, v4
	v_dual_mul_f32 v4, v113, v4 :: v_dual_fmac_f32 v109, v115, v9
	v_mul_f32_e32 v10, v115, v10
	v_mul_f32_e32 v12, v117, v12
	v_mul_f32_e32 v2, v111, v2
	v_dual_fmac_f32 v107, v111, v1 :: v_dual_fmac_f32 v108, v113, v3
	v_fma_f32 v111, v112, v3, -v4
	v_fma_f32 v112, v114, v9, -v10
	v_fmac_f32_e32 v122, v117, v11
	v_fma_f32 v113, v116, v11, -v12
	ds_load_2addr_b64 v[9:12], v21 offset0:57 offset1:58
	s_wait_loadcnt_dscnt 0x201
	v_dual_mul_f32 v115, v7, v16 :: v_dual_mul_f32 v114, v5, v14
	s_delay_alu instid0(VALU_DEP_1)
	v_dual_mul_f32 v14, v6, v14 :: v_dual_fmac_f32 v115, v8, v15
	v_fma_f32 v110, v110, v1, -v2
	scratch_load_b128 v[1:4], off, off offset:136
	v_mul_f32_e32 v16, v8, v16
	v_fmac_f32_e32 v114, v6, v13
	v_fma_f32 v13, v5, v13, -v14
	s_delay_alu instid0(VALU_DEP_3)
	v_fma_f32 v14, v7, v15, -v16
	s_wait_loadcnt_dscnt 0x200
	v_mul_f32_e32 v15, v9, v18
	v_mul_f32_e32 v16, v10, v18
	;; [unrolled: 1-line block ×4, first 2 shown]
	ds_load_2addr_b64 v[5:8], v21 offset0:59 offset1:60
	v_fmac_f32_e32 v15, v10, v17
	v_fma_f32 v16, v9, v17, -v16
	v_fmac_f32_e32 v18, v12, v19
	v_fma_f32 v17, v11, v19, -v20
	scratch_load_b128 v[9:12], off, off offset:152
	s_wait_loadcnt_dscnt 0x100
	v_mul_f32_e32 v19, v5, v2
	v_mul_f32_e32 v2, v6, v2
	;; [unrolled: 1-line block ×3, first 2 shown]
	s_delay_alu instid0(VALU_DEP_3) | instskip(NEXT) | instid1(VALU_DEP_3)
	v_dual_mul_f32 v4, v8, v4 :: v_dual_fmac_f32 v19, v6, v1
	v_fma_f32 v116, v5, v1, -v2
	s_delay_alu instid0(VALU_DEP_3) | instskip(NEXT) | instid1(VALU_DEP_3)
	v_fmac_f32_e32 v20, v8, v3
	v_fma_f32 v117, v7, v3, -v4
	ds_load_2addr_b64 v[1:4], v21 offset0:61 offset1:62
	ds_load_2addr_b64 v[5:8], v21 offset0:63 offset1:64
	s_wait_loadcnt_dscnt 0x1
	v_mul_f32_e32 v123, v1, v10
	v_mul_f32_e32 v10, v2, v10
	s_delay_alu instid0(VALU_DEP_2) | instskip(NEXT) | instid1(VALU_DEP_2)
	v_dual_mul_f32 v124, v3, v12 :: v_dual_fmac_f32 v123, v2, v9
	v_fma_f32 v125, v1, v9, -v10
	v_mul_f32_e32 v1, v4, v12
	s_delay_alu instid0(VALU_DEP_3) | instskip(NEXT) | instid1(VALU_DEP_2)
	v_fmac_f32_e32 v124, v4, v11
	v_fma_f32 v126, v3, v11, -v1
	s_clause 0x1
	scratch_load_b128 v[1:4], off, off offset:168
	scratch_load_b128 v[9:12], off, off offset:184
	s_wait_loadcnt_dscnt 0x100
	v_mul_f32_e32 v127, v5, v2
	v_dual_mul_f32 v2, v6, v2 :: v_dual_mul_f32 v129, v7, v4
	s_delay_alu instid0(VALU_DEP_2) | instskip(NEXT) | instid1(VALU_DEP_2)
	v_fmac_f32_e32 v127, v6, v1
	v_fma_f32 v128, v5, v1, -v2
	v_mul_f32_e32 v1, v8, v4
	s_delay_alu instid0(VALU_DEP_4) | instskip(NEXT) | instid1(VALU_DEP_2)
	v_fmac_f32_e32 v129, v8, v3
	v_fma_f32 v130, v7, v3, -v1
	ds_load_2addr_b64 v[1:4], v21 offset0:65 offset1:66
	ds_load_2addr_b64 v[5:8], v21 offset0:67 offset1:68
	s_wait_loadcnt_dscnt 0x1
	v_mul_f32_e32 v131, v1, v10
	v_mul_f32_e32 v133, v3, v12
	s_delay_alu instid0(VALU_DEP_2) | instskip(NEXT) | instid1(VALU_DEP_2)
	v_fmac_f32_e32 v131, v2, v9
	v_dual_mul_f32 v2, v2, v10 :: v_dual_fmac_f32 v133, v4, v11
	s_delay_alu instid0(VALU_DEP_1) | instskip(SKIP_1) | instid1(VALU_DEP_1)
	v_fma_f32 v132, v1, v9, -v2
	v_mul_f32_e32 v1, v4, v12
	v_fma_f32 v134, v3, v11, -v1
	s_clause 0x1
	scratch_load_b128 v[1:4], off, off offset:200
	scratch_load_b128 v[9:12], off, off offset:216
	s_wait_loadcnt_dscnt 0x100
	v_mul_f32_e32 v135, v5, v2
	v_dual_mul_f32 v2, v6, v2 :: v_dual_mul_f32 v137, v7, v4
	s_delay_alu instid0(VALU_DEP_2) | instskip(NEXT) | instid1(VALU_DEP_2)
	v_fmac_f32_e32 v135, v6, v1
	v_fma_f32 v136, v5, v1, -v2
	v_mul_f32_e32 v1, v8, v4
	s_delay_alu instid0(VALU_DEP_4) | instskip(NEXT) | instid1(VALU_DEP_2)
	v_fmac_f32_e32 v137, v8, v3
	v_fma_f32 v138, v7, v3, -v1
	ds_load_2addr_b64 v[1:4], v21 offset0:69 offset1:70
	ds_load_2addr_b64 v[5:8], v21 offset0:71 offset1:72
	s_wait_loadcnt_dscnt 0x1
	v_mul_f32_e32 v139, v1, v10
	v_mul_f32_e32 v141, v3, v12
	s_delay_alu instid0(VALU_DEP_2) | instskip(NEXT) | instid1(VALU_DEP_2)
	v_fmac_f32_e32 v139, v2, v9
	v_dual_mul_f32 v2, v2, v10 :: v_dual_fmac_f32 v141, v4, v11
	s_delay_alu instid0(VALU_DEP_1) | instskip(SKIP_1) | instid1(VALU_DEP_1)
	v_fma_f32 v140, v1, v9, -v2
	v_mul_f32_e32 v1, v4, v12
	v_fma_f32 v142, v3, v11, -v1
	s_clause 0x1
	scratch_load_b128 v[1:4], off, off offset:232
	scratch_load_b128 v[9:12], off, off offset:248
	s_wait_loadcnt_dscnt 0x100
	v_mul_f32_e32 v143, v5, v2
	v_mul_f32_e32 v2, v6, v2
	s_delay_alu instid0(VALU_DEP_1) | instskip(SKIP_1) | instid1(VALU_DEP_1)
	v_fma_f32 v144, v5, v1, -v2
	v_add_f32_e32 v2, 0, v120
	v_add_f32_e32 v2, v2, v121
	s_delay_alu instid0(VALU_DEP_1) | instskip(SKIP_1) | instid1(VALU_DEP_2)
	v_add_f32_e32 v2, v2, v107
	v_fmac_f32_e32 v143, v6, v1
	v_add_f32_e32 v2, v2, v108
	s_delay_alu instid0(VALU_DEP_1) | instskip(NEXT) | instid1(VALU_DEP_1)
	v_dual_mul_f32 v145, v7, v4 :: v_dual_add_f32 v2, v2, v109
	v_dual_fmac_f32 v145, v8, v3 :: v_dual_add_f32 v2, v2, v122
	s_delay_alu instid0(VALU_DEP_1) | instskip(NEXT) | instid1(VALU_DEP_1)
	v_dual_mul_f32 v1, v8, v4 :: v_dual_add_f32 v2, v2, v114
	v_fma_f32 v146, v7, v3, -v1
	s_delay_alu instid0(VALU_DEP_2) | instskip(NEXT) | instid1(VALU_DEP_1)
	v_dual_add_f32 v1, 0, v22 :: v_dual_add_f32 v2, v2, v115
	v_dual_add_f32 v1, v1, v106 :: v_dual_add_f32 v2, v2, v15
	s_delay_alu instid0(VALU_DEP_1) | instskip(NEXT) | instid1(VALU_DEP_2)
	v_add_f32_e32 v1, v1, v110
	v_add_f32_e32 v5, v2, v18
	s_delay_alu instid0(VALU_DEP_2) | instskip(NEXT) | instid1(VALU_DEP_1)
	v_add_f32_e32 v1, v1, v111
	v_add_f32_e32 v1, v1, v112
	s_delay_alu instid0(VALU_DEP_1) | instskip(NEXT) | instid1(VALU_DEP_1)
	v_add_f32_e32 v1, v1, v113
	v_add_f32_e32 v1, v1, v13
	;; [unrolled: 1-line block ×3, first 2 shown]
	s_delay_alu instid0(VALU_DEP_1) | instskip(NEXT) | instid1(VALU_DEP_1)
	v_add_f32_e32 v13, v13, v20
	v_add_f32_e32 v13, v13, v123
	s_delay_alu instid0(VALU_DEP_1) | instskip(NEXT) | instid1(VALU_DEP_1)
	v_add_f32_e32 v18, v13, v124
	v_dual_add_f32 v18, v18, v127 :: v_dual_add_f32 v1, v1, v14
	s_delay_alu instid0(VALU_DEP_1) | instskip(NEXT) | instid1(VALU_DEP_1)
	v_dual_add_f32 v18, v18, v129 :: v_dual_add_f32 v1, v1, v16
	v_dual_add_f32 v106, v18, v131 :: v_dual_add_f32 v1, v1, v17
	s_delay_alu instid0(VALU_DEP_1) | instskip(NEXT) | instid1(VALU_DEP_2)
	v_add_f32_e32 v106, v106, v133
	v_add_f32_e32 v6, v1, v116
	ds_load_2addr_b64 v[1:4], v21 offset0:73 offset1:74
	v_add_f32_e32 v106, v106, v135
	v_add_f32_e32 v14, v6, v117
	scratch_load_b128 v[5:8], off, off offset:264
	v_add_f32_e32 v14, v14, v125
	s_delay_alu instid0(VALU_DEP_1)
	v_add_f32_e32 v17, v14, v126
	ds_load_2addr_b64 v[13:16], v21 offset0:75 offset1:76
	s_wait_loadcnt_dscnt 0x101
	v_mul_f32_e32 v22, v1, v10
	v_mul_f32_e32 v10, v2, v10
	;; [unrolled: 1-line block ×4, first 2 shown]
	s_delay_alu instid0(VALU_DEP_4) | instskip(NEXT) | instid1(VALU_DEP_4)
	v_fmac_f32_e32 v22, v2, v9
	v_fma_f32 v111, v1, v9, -v10
	s_delay_alu instid0(VALU_DEP_4) | instskip(NEXT) | instid1(VALU_DEP_4)
	v_fmac_f32_e32 v110, v4, v11
	v_fma_f32 v112, v3, v11, -v12
	s_clause 0x1
	scratch_load_b128 v[1:4], off, off offset:280
	scratch_load_b128 v[9:12], off, off offset:296
	s_wait_loadcnt_dscnt 0x200
	v_mul_f32_e32 v114, v15, v8
	v_add_f32_e32 v17, v17, v128
	v_mul_f32_e32 v113, v13, v6
	v_mul_f32_e32 v6, v14, v6
	;; [unrolled: 1-line block ×3, first 2 shown]
	s_delay_alu instid0(VALU_DEP_4) | instskip(NEXT) | instid1(VALU_DEP_3)
	v_dual_fmac_f32 v114, v16, v7 :: v_dual_add_f32 v17, v17, v130
	v_fma_f32 v115, v13, v5, -v6
	v_add_f32_e32 v13, v106, v137
	s_delay_alu instid0(VALU_DEP_4) | instskip(NEXT) | instid1(VALU_DEP_4)
	v_fma_f32 v116, v15, v7, -v8
	v_add_f32_e32 v17, v17, v132
	s_delay_alu instid0(VALU_DEP_1) | instskip(SKIP_2) | instid1(VALU_DEP_1)
	v_add_f32_e32 v107, v17, v134
	scratch_load_b128 v[17:20], off, off offset:312
	v_add_f32_e32 v107, v107, v136
	v_add_f32_e32 v107, v107, v138
	s_delay_alu instid0(VALU_DEP_1)
	v_dual_add_f32 v106, v107, v140 :: v_dual_fmac_f32 v113, v14, v5
	ds_load_2addr_b64 v[5:8], v21 offset0:77 offset1:78
	v_add_f32_e32 v107, v13, v139
	ds_load_2addr_b64 v[13:16], v21 offset0:79 offset1:80
	v_dual_add_f32 v117, v106, v142 :: v_dual_add_f32 v120, v107, v141
	ds_load_2addr_b64 v[106:109], v21 offset0:81 offset1:82
	v_add_f32_e32 v21, v117, v144
	s_wait_loadcnt_dscnt 0x202
	v_dual_add_f32 v117, v120, v143 :: v_dual_mul_f32 v120, v5, v2
	s_delay_alu instid0(VALU_DEP_1) | instskip(NEXT) | instid1(VALU_DEP_2)
	v_dual_mul_f32 v2, v6, v2 :: v_dual_add_f32 v117, v117, v145
	v_fmac_f32_e32 v120, v6, v1
	s_wait_loadcnt_dscnt 0x101
	v_mul_f32_e32 v6, v14, v10
	s_delay_alu instid0(VALU_DEP_3) | instskip(SKIP_2) | instid1(VALU_DEP_3)
	v_add_f32_e32 v22, v117, v22
	v_mul_f32_e32 v117, v13, v10
	v_fma_f32 v2, v5, v1, -v2
	v_add_f32_e32 v22, v22, v110
	s_delay_alu instid0(VALU_DEP_1) | instskip(SKIP_2) | instid1(VALU_DEP_1)
	v_add_f32_e32 v22, v22, v113
	s_wait_loadcnt_dscnt 0x0
	v_mul_f32_e32 v110, v106, v18
	v_dual_add_f32 v21, v21, v146 :: v_dual_fmac_f32 v110, v107, v17
	s_delay_alu instid0(VALU_DEP_1) | instskip(SKIP_2) | instid1(VALU_DEP_2)
	v_add_f32_e32 v21, v21, v111
	v_mul_f32_e32 v111, v7, v4
	v_mul_f32_e32 v4, v8, v4
	v_fmac_f32_e32 v111, v8, v3
	s_delay_alu instid0(VALU_DEP_2) | instskip(SKIP_3) | instid1(VALU_DEP_3)
	v_fma_f32 v3, v7, v3, -v4
	v_dual_mul_f32 v4, v16, v12 :: v_dual_fmac_f32 v117, v14, v9
	v_add_f32_e32 v21, v21, v112
	v_dual_mul_f32 v112, v108, v20 :: v_dual_add_f32 v5, v22, v114
	v_fma_f32 v4, v15, v11, -v4
	s_delay_alu instid0(VALU_DEP_3) | instskip(NEXT) | instid1(VALU_DEP_3)
	v_add_f32_e32 v21, v21, v115
	v_fmac_f32_e32 v112, v109, v19
	s_delay_alu instid0(VALU_DEP_2) | instskip(NEXT) | instid1(VALU_DEP_1)
	v_add_f32_e32 v1, v21, v116
	v_add_f32_e32 v1, v1, v2
	;; [unrolled: 1-line block ×3, first 2 shown]
	v_mul_f32_e32 v121, v15, v12
	v_fma_f32 v5, v13, v9, -v6
	s_delay_alu instid0(VALU_DEP_3) | instskip(NEXT) | instid1(VALU_DEP_1)
	v_add_f32_e32 v2, v2, v111
	v_dual_fmac_f32 v121, v16, v11 :: v_dual_add_f32 v2, v2, v117
	s_delay_alu instid0(VALU_DEP_1) | instskip(NEXT) | instid1(VALU_DEP_1)
	v_add_f32_e32 v2, v2, v121
	v_add_f32_e32 v2, v2, v110
	s_delay_alu instid0(VALU_DEP_1) | instskip(SKIP_1) | instid1(VALU_DEP_2)
	v_dual_add_f32 v2, v2, v112 :: v_dual_add_f32 v1, v1, v3
	v_mul_f32_e32 v3, v107, v18
	v_dual_sub_f32 v2, v119, v2 :: v_dual_add_f32 v1, v1, v5
	v_mul_f32_e32 v5, v109, v20
	s_delay_alu instid0(VALU_DEP_3) | instskip(NEXT) | instid1(VALU_DEP_3)
	v_fma_f32 v3, v106, v17, -v3
	v_add_f32_e32 v1, v1, v4
	s_delay_alu instid0(VALU_DEP_3) | instskip(NEXT) | instid1(VALU_DEP_2)
	v_fma_f32 v4, v108, v19, -v5
	v_add_f32_e32 v1, v1, v3
	s_delay_alu instid0(VALU_DEP_1) | instskip(NEXT) | instid1(VALU_DEP_1)
	v_add_f32_e32 v1, v1, v4
	v_sub_f32_e32 v1, v118, v1
	scratch_store_b64 off, v[1:2], off offset:48
	v_cmpx_lt_u32_e32 5, v0
	s_cbranch_execz .LBB40_249
; %bb.248:
	scratch_load_b64 v[1:2], off, off offset:40
	v_mov_b32_e32 v3, 0
	s_delay_alu instid0(VALU_DEP_1)
	v_mov_b32_e32 v4, v3
	scratch_store_b64 off, v[3:4], off offset:40
	s_wait_loadcnt 0x0
	ds_store_b64 v23, v[1:2]
.LBB40_249:
	s_wait_alu 0xfffe
	s_or_b32 exec_lo, exec_lo, s0
	s_wait_storecnt_dscnt 0x0
	s_barrier_signal -1
	s_barrier_wait -1
	global_inv scope:SCOPE_SE
	s_clause 0x4
	scratch_load_b128 v[5:8], off, off offset:48
	scratch_load_b128 v[1:4], off, off offset:64
	;; [unrolled: 1-line block ×5, first 2 shown]
	v_mov_b32_e32 v21, 0
	ds_load_b128 v[106:109], v21 offset:384
	ds_load_b128 v[110:113], v21 offset:400
	;; [unrolled: 1-line block ×3, first 2 shown]
	scratch_load_b64 v[118:119], off, off offset:40
	s_mov_b32 s0, exec_lo
	s_wait_loadcnt_dscnt 0x502
	v_mul_f32_e32 v22, v107, v6
	v_dual_mul_f32 v120, v106, v6 :: v_dual_mul_f32 v121, v108, v8
	v_mul_f32_e32 v6, v109, v8
	s_delay_alu instid0(VALU_DEP_3) | instskip(NEXT) | instid1(VALU_DEP_3)
	v_fma_f32 v22, v106, v5, -v22
	v_dual_fmac_f32 v120, v107, v5 :: v_dual_fmac_f32 v121, v109, v7
	s_wait_loadcnt_dscnt 0x401
	v_mul_f32_e32 v107, v110, v2
	v_fma_f32 v106, v108, v7, -v6
	ds_load_b128 v[5:8], v21 offset:432
	s_wait_loadcnt_dscnt 0x301
	v_dual_mul_f32 v108, v112, v4 :: v_dual_mul_f32 v109, v114, v10
	v_dual_mul_f32 v4, v113, v4 :: v_dual_fmac_f32 v107, v111, v1
	v_mul_f32_e32 v10, v115, v10
	s_delay_alu instid0(VALU_DEP_3)
	v_dual_mul_f32 v122, v116, v12 :: v_dual_fmac_f32 v109, v115, v9
	v_mul_f32_e32 v12, v117, v12
	v_mul_f32_e32 v2, v111, v2
	v_fmac_f32_e32 v108, v113, v3
	v_fma_f32 v111, v112, v3, -v4
	v_fma_f32 v112, v114, v9, -v10
	v_fmac_f32_e32 v122, v117, v11
	v_fma_f32 v113, v116, v11, -v12
	ds_load_b128 v[9:12], v21 offset:448
	s_wait_loadcnt_dscnt 0x201
	v_dual_mul_f32 v115, v7, v16 :: v_dual_mul_f32 v114, v5, v14
	v_mul_f32_e32 v14, v6, v14
	v_mul_f32_e32 v16, v8, v16
	s_delay_alu instid0(VALU_DEP_3)
	v_fmac_f32_e32 v115, v8, v15
	v_fma_f32 v110, v110, v1, -v2
	scratch_load_b128 v[1:4], off, off offset:128
	v_fmac_f32_e32 v114, v6, v13
	v_fma_f32 v13, v5, v13, -v14
	v_fma_f32 v14, v7, v15, -v16
	ds_load_b128 v[5:8], v21 offset:464
	s_wait_loadcnt_dscnt 0x201
	v_mul_f32_e32 v15, v9, v18
	v_mul_f32_e32 v16, v10, v18
	;; [unrolled: 1-line block ×3, first 2 shown]
	s_delay_alu instid0(VALU_DEP_3) | instskip(NEXT) | instid1(VALU_DEP_3)
	v_dual_mul_f32 v20, v12, v20 :: v_dual_fmac_f32 v15, v10, v17
	v_fma_f32 v16, v9, v17, -v16
	s_delay_alu instid0(VALU_DEP_3) | instskip(NEXT) | instid1(VALU_DEP_3)
	v_fmac_f32_e32 v18, v12, v19
	v_fma_f32 v17, v11, v19, -v20
	scratch_load_b128 v[9:12], off, off offset:144
	s_wait_loadcnt_dscnt 0x100
	v_mul_f32_e32 v19, v5, v2
	v_mul_f32_e32 v2, v6, v2
	;; [unrolled: 1-line block ×3, first 2 shown]
	s_delay_alu instid0(VALU_DEP_3) | instskip(NEXT) | instid1(VALU_DEP_3)
	v_dual_mul_f32 v4, v8, v4 :: v_dual_fmac_f32 v19, v6, v1
	v_fma_f32 v116, v5, v1, -v2
	s_delay_alu instid0(VALU_DEP_3) | instskip(NEXT) | instid1(VALU_DEP_3)
	v_fmac_f32_e32 v20, v8, v3
	v_fma_f32 v117, v7, v3, -v4
	ds_load_b128 v[1:4], v21 offset:480
	ds_load_b128 v[5:8], v21 offset:496
	s_wait_loadcnt_dscnt 0x1
	v_mul_f32_e32 v123, v1, v10
	v_mul_f32_e32 v10, v2, v10
	s_delay_alu instid0(VALU_DEP_2) | instskip(NEXT) | instid1(VALU_DEP_2)
	v_dual_mul_f32 v124, v3, v12 :: v_dual_fmac_f32 v123, v2, v9
	v_fma_f32 v125, v1, v9, -v10
	v_mul_f32_e32 v1, v4, v12
	s_delay_alu instid0(VALU_DEP_3) | instskip(NEXT) | instid1(VALU_DEP_2)
	v_fmac_f32_e32 v124, v4, v11
	v_fma_f32 v126, v3, v11, -v1
	s_clause 0x1
	scratch_load_b128 v[1:4], off, off offset:160
	scratch_load_b128 v[9:12], off, off offset:176
	s_wait_loadcnt_dscnt 0x100
	v_mul_f32_e32 v127, v5, v2
	v_dual_mul_f32 v2, v6, v2 :: v_dual_mul_f32 v129, v7, v4
	s_delay_alu instid0(VALU_DEP_2) | instskip(NEXT) | instid1(VALU_DEP_2)
	v_fmac_f32_e32 v127, v6, v1
	v_fma_f32 v128, v5, v1, -v2
	v_mul_f32_e32 v1, v8, v4
	s_delay_alu instid0(VALU_DEP_4) | instskip(NEXT) | instid1(VALU_DEP_2)
	v_fmac_f32_e32 v129, v8, v3
	v_fma_f32 v130, v7, v3, -v1
	ds_load_b128 v[1:4], v21 offset:512
	ds_load_b128 v[5:8], v21 offset:528
	s_wait_loadcnt_dscnt 0x1
	v_mul_f32_e32 v131, v1, v10
	v_mul_f32_e32 v133, v3, v12
	s_delay_alu instid0(VALU_DEP_2) | instskip(NEXT) | instid1(VALU_DEP_2)
	v_fmac_f32_e32 v131, v2, v9
	v_dual_mul_f32 v2, v2, v10 :: v_dual_fmac_f32 v133, v4, v11
	s_delay_alu instid0(VALU_DEP_1) | instskip(SKIP_1) | instid1(VALU_DEP_1)
	v_fma_f32 v132, v1, v9, -v2
	v_mul_f32_e32 v1, v4, v12
	v_fma_f32 v134, v3, v11, -v1
	s_clause 0x1
	scratch_load_b128 v[1:4], off, off offset:192
	scratch_load_b128 v[9:12], off, off offset:208
	s_wait_loadcnt_dscnt 0x100
	v_mul_f32_e32 v135, v5, v2
	v_dual_mul_f32 v137, v7, v4 :: v_dual_mul_f32 v2, v6, v2
	s_delay_alu instid0(VALU_DEP_2) | instskip(NEXT) | instid1(VALU_DEP_2)
	v_fmac_f32_e32 v135, v6, v1
	v_fmac_f32_e32 v137, v8, v3
	s_delay_alu instid0(VALU_DEP_3) | instskip(SKIP_1) | instid1(VALU_DEP_1)
	v_fma_f32 v136, v5, v1, -v2
	v_mul_f32_e32 v1, v8, v4
	v_fma_f32 v138, v7, v3, -v1
	ds_load_b128 v[1:4], v21 offset:544
	ds_load_b128 v[5:8], v21 offset:560
	s_wait_loadcnt_dscnt 0x1
	v_mul_f32_e32 v139, v1, v10
	v_mul_f32_e32 v141, v3, v12
	s_delay_alu instid0(VALU_DEP_2) | instskip(NEXT) | instid1(VALU_DEP_2)
	v_fmac_f32_e32 v139, v2, v9
	v_dual_mul_f32 v2, v2, v10 :: v_dual_fmac_f32 v141, v4, v11
	s_delay_alu instid0(VALU_DEP_1) | instskip(SKIP_1) | instid1(VALU_DEP_1)
	v_fma_f32 v140, v1, v9, -v2
	v_mul_f32_e32 v1, v4, v12
	v_fma_f32 v142, v3, v11, -v1
	s_clause 0x1
	scratch_load_b128 v[1:4], off, off offset:224
	scratch_load_b128 v[9:12], off, off offset:240
	s_wait_loadcnt_dscnt 0x100
	v_mul_f32_e32 v143, v5, v2
	v_mul_f32_e32 v2, v6, v2
	s_delay_alu instid0(VALU_DEP_1) | instskip(SKIP_1) | instid1(VALU_DEP_1)
	v_fma_f32 v144, v5, v1, -v2
	v_add_f32_e32 v2, 0, v120
	v_add_f32_e32 v2, v2, v121
	s_delay_alu instid0(VALU_DEP_1) | instskip(NEXT) | instid1(VALU_DEP_1)
	v_add_f32_e32 v2, v2, v107
	v_add_f32_e32 v2, v2, v108
	v_mul_f32_e32 v145, v7, v4
	v_fmac_f32_e32 v143, v6, v1
	s_delay_alu instid0(VALU_DEP_2) | instskip(NEXT) | instid1(VALU_DEP_1)
	v_dual_add_f32 v2, v2, v109 :: v_dual_fmac_f32 v145, v8, v3
	v_dual_add_f32 v2, v2, v122 :: v_dual_mul_f32 v1, v8, v4
	s_delay_alu instid0(VALU_DEP_1) | instskip(NEXT) | instid1(VALU_DEP_2)
	v_add_f32_e32 v2, v2, v114
	v_fma_f32 v146, v7, v3, -v1
	s_delay_alu instid0(VALU_DEP_2) | instskip(NEXT) | instid1(VALU_DEP_1)
	v_dual_add_f32 v1, 0, v22 :: v_dual_add_f32 v2, v2, v115
	v_dual_add_f32 v1, v1, v106 :: v_dual_add_f32 v2, v2, v15
	s_delay_alu instid0(VALU_DEP_1) | instskip(NEXT) | instid1(VALU_DEP_2)
	v_add_f32_e32 v1, v1, v110
	v_add_f32_e32 v5, v2, v18
	s_delay_alu instid0(VALU_DEP_2) | instskip(SKIP_2) | instid1(VALU_DEP_1)
	v_add_f32_e32 v1, v1, v111
	scratch_load_b64 v[110:111], off, off offset:320
	v_add_f32_e32 v1, v1, v112
	v_add_f32_e32 v1, v1, v113
	s_delay_alu instid0(VALU_DEP_1) | instskip(SKIP_1) | instid1(VALU_DEP_2)
	v_add_f32_e32 v1, v1, v13
	v_add_f32_e32 v13, v5, v19
	;; [unrolled: 1-line block ×3, first 2 shown]
	s_delay_alu instid0(VALU_DEP_2) | instskip(NEXT) | instid1(VALU_DEP_2)
	v_add_f32_e32 v13, v13, v20
	v_add_f32_e32 v1, v1, v16
	s_delay_alu instid0(VALU_DEP_2) | instskip(NEXT) | instid1(VALU_DEP_2)
	v_add_f32_e32 v13, v13, v123
	v_add_f32_e32 v1, v1, v17
	;; [unrolled: 3-line block ×3, first 2 shown]
	scratch_load_b128 v[1:4], off, off offset:256
	v_add_f32_e32 v18, v18, v127
	v_add_f32_e32 v14, v6, v117
	ds_load_b128 v[5:8], v21 offset:576
	v_add_f32_e32 v18, v18, v129
	v_add_f32_e32 v14, v14, v125
	s_delay_alu instid0(VALU_DEP_2) | instskip(NEXT) | instid1(VALU_DEP_2)
	v_add_f32_e32 v106, v18, v131
	v_add_f32_e32 v17, v14, v126
	ds_load_b128 v[13:16], v21 offset:592
	v_add_f32_e32 v106, v106, v133
	s_delay_alu instid0(VALU_DEP_1)
	v_add_f32_e32 v106, v106, v135
	s_wait_loadcnt_dscnt 0x201
	v_mul_f32_e32 v22, v5, v10
	v_mul_f32_e32 v10, v6, v10
	;; [unrolled: 1-line block ×4, first 2 shown]
	v_add_f32_e32 v106, v106, v137
	v_fmac_f32_e32 v22, v6, v9
	v_fma_f32 v115, v5, v9, -v10
	v_fmac_f32_e32 v114, v8, v11
	v_fma_f32 v116, v7, v11, -v12
	s_clause 0x1
	scratch_load_b128 v[5:8], off, off offset:272
	scratch_load_b128 v[9:12], off, off offset:288
	s_wait_loadcnt_dscnt 0x200
	v_mul_f32_e32 v120, v15, v4
	v_mul_f32_e32 v4, v16, v4
	v_add_f32_e32 v17, v17, v128
	v_mul_f32_e32 v117, v13, v2
	v_mul_f32_e32 v2, v14, v2
	v_fmac_f32_e32 v120, v16, v3
	v_fma_f32 v122, v15, v3, -v4
	v_add_f32_e32 v17, v17, v130
	s_delay_alu instid0(VALU_DEP_4) | instskip(SKIP_1) | instid1(VALU_DEP_3)
	v_fma_f32 v121, v13, v1, -v2
	v_add_f32_e32 v13, v106, v139
	v_add_f32_e32 v17, v17, v132
	s_delay_alu instid0(VALU_DEP_2) | instskip(NEXT) | instid1(VALU_DEP_2)
	v_add_f32_e32 v106, v13, v141
	v_add_f32_e32 v107, v17, v134
	scratch_load_b128 v[17:20], off, off offset:304
	v_add_f32_e32 v113, v106, v143
	s_delay_alu instid0(VALU_DEP_1) | instskip(NEXT) | instid1(VALU_DEP_1)
	v_dual_add_f32 v107, v107, v136 :: v_dual_add_f32 v124, v113, v145
	v_add_f32_e32 v107, v107, v138
	s_delay_alu instid0(VALU_DEP_1)
	v_dual_add_f32 v22, v124, v22 :: v_dual_add_f32 v107, v107, v140
	v_fmac_f32_e32 v117, v14, v1
	ds_load_b128 v[1:4], v21 offset:608
	v_add_f32_e32 v22, v22, v114
	v_add_f32_e32 v14, v107, v142
	ds_load_b128 v[106:109], v21 offset:640
	v_add_f32_e32 v22, v22, v117
	v_add_f32_e32 v112, v14, v144
	ds_load_b128 v[13:16], v21 offset:624
	v_dual_add_f32 v22, v22, v120 :: v_dual_add_f32 v123, v112, v146
	ds_load_b64 v[112:113], v21 offset:656
	v_add_f32_e32 v115, v123, v115
	s_wait_loadcnt_dscnt 0x203
	v_mul_f32_e32 v123, v1, v6
	v_mul_f32_e32 v6, v2, v6
	;; [unrolled: 1-line block ×3, first 2 shown]
	v_add_f32_e32 v115, v115, v116
	s_delay_alu instid0(VALU_DEP_4) | instskip(NEXT) | instid1(VALU_DEP_4)
	v_dual_mul_f32 v8, v4, v8 :: v_dual_fmac_f32 v123, v2, v5
	v_fma_f32 v1, v1, v5, -v6
	s_delay_alu instid0(VALU_DEP_4)
	v_fmac_f32_e32 v114, v4, v7
	s_wait_loadcnt_dscnt 0x101
	v_dual_mul_f32 v116, v13, v10 :: v_dual_add_f32 v115, v115, v121
	v_fma_f32 v2, v3, v7, -v8
	v_dual_add_f32 v4, v22, v123 :: v_dual_mul_f32 v117, v15, v12
	s_wait_dscnt 0x0
	s_delay_alu instid0(VALU_DEP_3) | instskip(SKIP_1) | instid1(VALU_DEP_2)
	v_dual_mul_f32 v120, v112, v111 :: v_dual_add_f32 v115, v115, v122
	v_dual_mul_f32 v5, v16, v12 :: v_dual_fmac_f32 v116, v14, v9
	v_dual_fmac_f32 v117, v16, v11 :: v_dual_fmac_f32 v120, v113, v110
	s_delay_alu instid0(VALU_DEP_3) | instskip(NEXT) | instid1(VALU_DEP_3)
	v_add_f32_e32 v1, v115, v1
	v_fma_f32 v5, v15, v11, -v5
	s_delay_alu instid0(VALU_DEP_2) | instskip(SKIP_3) | instid1(VALU_DEP_2)
	v_add_f32_e32 v1, v1, v2
	s_wait_loadcnt 0x0
	v_dual_mul_f32 v121, v106, v18 :: v_dual_mul_f32 v122, v108, v20
	v_mul_f32_e32 v3, v14, v10
	v_dual_fmac_f32 v121, v107, v17 :: v_dual_fmac_f32 v122, v109, v19
	s_delay_alu instid0(VALU_DEP_2) | instskip(SKIP_2) | instid1(VALU_DEP_2)
	v_fma_f32 v3, v13, v9, -v3
	v_add_f32_e32 v2, v4, v114
	v_mul_f32_e32 v4, v107, v18
	v_dual_add_f32 v2, v2, v116 :: v_dual_add_f32 v1, v1, v3
	v_mul_f32_e32 v3, v109, v20
	s_delay_alu instid0(VALU_DEP_3) | instskip(NEXT) | instid1(VALU_DEP_3)
	v_fma_f32 v4, v106, v17, -v4
	v_add_f32_e32 v2, v2, v117
	s_delay_alu instid0(VALU_DEP_3) | instskip(NEXT) | instid1(VALU_DEP_2)
	v_fma_f32 v3, v108, v19, -v3
	v_add_f32_e32 v2, v2, v121
	s_delay_alu instid0(VALU_DEP_1) | instskip(NEXT) | instid1(VALU_DEP_1)
	v_dual_add_f32 v1, v1, v5 :: v_dual_add_f32 v2, v2, v122
	v_dual_mul_f32 v5, v113, v111 :: v_dual_add_f32 v2, v2, v120
	s_delay_alu instid0(VALU_DEP_2) | instskip(NEXT) | instid1(VALU_DEP_2)
	v_add_f32_e32 v1, v1, v4
	v_fma_f32 v4, v112, v110, -v5
	s_delay_alu instid0(VALU_DEP_2) | instskip(NEXT) | instid1(VALU_DEP_1)
	v_dual_sub_f32 v2, v119, v2 :: v_dual_add_f32 v1, v1, v3
	v_add_f32_e32 v1, v1, v4
	s_delay_alu instid0(VALU_DEP_1)
	v_sub_f32_e32 v1, v118, v1
	scratch_store_b64 off, v[1:2], off offset:40
	v_cmpx_lt_u32_e32 4, v0
	s_cbranch_execz .LBB40_251
; %bb.250:
	scratch_load_b64 v[1:2], off, off offset:32
	v_mov_b32_e32 v22, v21
	scratch_store_b64 off, v[21:22], off offset:32
	s_wait_loadcnt 0x0
	ds_store_b64 v23, v[1:2]
.LBB40_251:
	s_wait_alu 0xfffe
	s_or_b32 exec_lo, exec_lo, s0
	s_wait_storecnt_dscnt 0x0
	s_barrier_signal -1
	s_barrier_wait -1
	global_inv scope:SCOPE_SE
	s_clause 0x4
	scratch_load_b128 v[5:8], off, off offset:40
	scratch_load_b128 v[1:4], off, off offset:56
	;; [unrolled: 1-line block ×5, first 2 shown]
	ds_load_2addr_b64 v[106:109], v21 offset0:47 offset1:48
	ds_load_2addr_b64 v[110:113], v21 offset0:49 offset1:50
	;; [unrolled: 1-line block ×3, first 2 shown]
	scratch_load_b64 v[118:119], off, off offset:32
	s_mov_b32 s0, exec_lo
	s_wait_loadcnt_dscnt 0x502
	v_dual_mul_f32 v22, v107, v6 :: v_dual_mul_f32 v121, v108, v8
	v_mul_f32_e32 v120, v106, v6
	v_mul_f32_e32 v6, v109, v8
	s_wait_loadcnt_dscnt 0x300
	v_mul_f32_e32 v122, v116, v12
	v_fma_f32 v22, v106, v5, -v22
	v_dual_fmac_f32 v121, v109, v7 :: v_dual_fmac_f32 v120, v107, v5
	v_mul_f32_e32 v109, v114, v10
	v_mul_f32_e32 v107, v110, v2
	v_fma_f32 v106, v108, v7, -v6
	ds_load_2addr_b64 v[5:8], v21 offset0:53 offset1:54
	v_mul_f32_e32 v108, v112, v4
	v_dual_mul_f32 v4, v113, v4 :: v_dual_fmac_f32 v109, v115, v9
	v_mul_f32_e32 v10, v115, v10
	v_mul_f32_e32 v12, v117, v12
	;; [unrolled: 1-line block ×3, first 2 shown]
	v_dual_fmac_f32 v107, v111, v1 :: v_dual_fmac_f32 v108, v113, v3
	v_fma_f32 v111, v112, v3, -v4
	v_fma_f32 v112, v114, v9, -v10
	v_fmac_f32_e32 v122, v117, v11
	v_fma_f32 v113, v116, v11, -v12
	ds_load_2addr_b64 v[9:12], v21 offset0:55 offset1:56
	s_wait_loadcnt_dscnt 0x201
	v_dual_mul_f32 v115, v7, v16 :: v_dual_mul_f32 v114, v5, v14
	s_delay_alu instid0(VALU_DEP_1)
	v_dual_mul_f32 v14, v6, v14 :: v_dual_fmac_f32 v115, v8, v15
	v_fma_f32 v110, v110, v1, -v2
	scratch_load_b128 v[1:4], off, off offset:120
	v_mul_f32_e32 v16, v8, v16
	v_fmac_f32_e32 v114, v6, v13
	v_fma_f32 v13, v5, v13, -v14
	s_delay_alu instid0(VALU_DEP_3)
	v_fma_f32 v14, v7, v15, -v16
	s_wait_loadcnt_dscnt 0x200
	v_mul_f32_e32 v15, v9, v18
	v_mul_f32_e32 v16, v10, v18
	;; [unrolled: 1-line block ×4, first 2 shown]
	ds_load_2addr_b64 v[5:8], v21 offset0:57 offset1:58
	v_fmac_f32_e32 v15, v10, v17
	v_fma_f32 v16, v9, v17, -v16
	v_fmac_f32_e32 v18, v12, v19
	v_fma_f32 v17, v11, v19, -v20
	scratch_load_b128 v[9:12], off, off offset:136
	s_wait_loadcnt_dscnt 0x100
	v_mul_f32_e32 v19, v5, v2
	v_mul_f32_e32 v2, v6, v2
	;; [unrolled: 1-line block ×3, first 2 shown]
	s_delay_alu instid0(VALU_DEP_3) | instskip(NEXT) | instid1(VALU_DEP_3)
	v_dual_mul_f32 v4, v8, v4 :: v_dual_fmac_f32 v19, v6, v1
	v_fma_f32 v116, v5, v1, -v2
	s_delay_alu instid0(VALU_DEP_3) | instskip(NEXT) | instid1(VALU_DEP_3)
	v_fmac_f32_e32 v20, v8, v3
	v_fma_f32 v117, v7, v3, -v4
	ds_load_2addr_b64 v[1:4], v21 offset0:59 offset1:60
	ds_load_2addr_b64 v[5:8], v21 offset0:61 offset1:62
	s_wait_loadcnt_dscnt 0x1
	v_mul_f32_e32 v123, v1, v10
	v_mul_f32_e32 v10, v2, v10
	s_delay_alu instid0(VALU_DEP_2) | instskip(NEXT) | instid1(VALU_DEP_2)
	v_dual_mul_f32 v124, v3, v12 :: v_dual_fmac_f32 v123, v2, v9
	v_fma_f32 v125, v1, v9, -v10
	v_mul_f32_e32 v1, v4, v12
	s_delay_alu instid0(VALU_DEP_3) | instskip(NEXT) | instid1(VALU_DEP_2)
	v_fmac_f32_e32 v124, v4, v11
	v_fma_f32 v126, v3, v11, -v1
	s_clause 0x1
	scratch_load_b128 v[1:4], off, off offset:152
	scratch_load_b128 v[9:12], off, off offset:168
	s_wait_loadcnt_dscnt 0x100
	v_mul_f32_e32 v127, v5, v2
	v_dual_mul_f32 v2, v6, v2 :: v_dual_mul_f32 v129, v7, v4
	s_delay_alu instid0(VALU_DEP_2) | instskip(NEXT) | instid1(VALU_DEP_2)
	v_fmac_f32_e32 v127, v6, v1
	v_fma_f32 v128, v5, v1, -v2
	v_mul_f32_e32 v1, v8, v4
	s_delay_alu instid0(VALU_DEP_4) | instskip(NEXT) | instid1(VALU_DEP_2)
	v_fmac_f32_e32 v129, v8, v3
	v_fma_f32 v130, v7, v3, -v1
	ds_load_2addr_b64 v[1:4], v21 offset0:63 offset1:64
	ds_load_2addr_b64 v[5:8], v21 offset0:65 offset1:66
	s_wait_loadcnt_dscnt 0x1
	v_mul_f32_e32 v131, v1, v10
	v_mul_f32_e32 v133, v3, v12
	s_delay_alu instid0(VALU_DEP_2) | instskip(NEXT) | instid1(VALU_DEP_2)
	v_fmac_f32_e32 v131, v2, v9
	v_dual_mul_f32 v2, v2, v10 :: v_dual_fmac_f32 v133, v4, v11
	s_delay_alu instid0(VALU_DEP_1) | instskip(SKIP_1) | instid1(VALU_DEP_1)
	v_fma_f32 v132, v1, v9, -v2
	v_mul_f32_e32 v1, v4, v12
	v_fma_f32 v134, v3, v11, -v1
	s_clause 0x1
	scratch_load_b128 v[1:4], off, off offset:184
	scratch_load_b128 v[9:12], off, off offset:200
	s_wait_loadcnt_dscnt 0x100
	v_mul_f32_e32 v135, v5, v2
	v_dual_mul_f32 v2, v6, v2 :: v_dual_mul_f32 v137, v7, v4
	s_delay_alu instid0(VALU_DEP_2) | instskip(NEXT) | instid1(VALU_DEP_2)
	v_fmac_f32_e32 v135, v6, v1
	v_fma_f32 v136, v5, v1, -v2
	v_mul_f32_e32 v1, v8, v4
	s_delay_alu instid0(VALU_DEP_4) | instskip(NEXT) | instid1(VALU_DEP_2)
	v_fmac_f32_e32 v137, v8, v3
	v_fma_f32 v138, v7, v3, -v1
	ds_load_2addr_b64 v[1:4], v21 offset0:67 offset1:68
	ds_load_2addr_b64 v[5:8], v21 offset0:69 offset1:70
	s_wait_loadcnt_dscnt 0x1
	v_mul_f32_e32 v139, v1, v10
	v_mul_f32_e32 v141, v3, v12
	s_delay_alu instid0(VALU_DEP_2) | instskip(NEXT) | instid1(VALU_DEP_2)
	v_fmac_f32_e32 v139, v2, v9
	v_dual_mul_f32 v2, v2, v10 :: v_dual_fmac_f32 v141, v4, v11
	s_delay_alu instid0(VALU_DEP_1) | instskip(SKIP_1) | instid1(VALU_DEP_1)
	v_fma_f32 v140, v1, v9, -v2
	v_mul_f32_e32 v1, v4, v12
	;; [unrolled: 25-line block ×3, first 2 shown]
	v_fma_f32 v150, v3, v11, -v1
	s_clause 0x1
	scratch_load_b128 v[1:4], off, off offset:248
	scratch_load_b128 v[9:12], off, off offset:264
	s_wait_loadcnt_dscnt 0x100
	v_mul_f32_e32 v151, v5, v2
	v_mul_f32_e32 v2, v6, v2
	s_delay_alu instid0(VALU_DEP_1) | instskip(SKIP_1) | instid1(VALU_DEP_1)
	v_fma_f32 v152, v5, v1, -v2
	v_add_f32_e32 v2, 0, v120
	v_add_f32_e32 v2, v2, v121
	s_delay_alu instid0(VALU_DEP_1) | instskip(NEXT) | instid1(VALU_DEP_1)
	v_add_f32_e32 v2, v2, v107
	v_add_f32_e32 v2, v2, v108
	s_delay_alu instid0(VALU_DEP_1) | instskip(NEXT) | instid1(VALU_DEP_1)
	;; [unrolled: 3-line block ×3, first 2 shown]
	v_add_f32_e32 v2, v2, v114
	v_add_f32_e32 v2, v2, v115
	s_delay_alu instid0(VALU_DEP_1) | instskip(SKIP_1) | instid1(VALU_DEP_2)
	v_add_f32_e32 v2, v2, v15
	v_fmac_f32_e32 v151, v6, v1
	v_dual_mul_f32 v153, v7, v4 :: v_dual_add_f32 v2, v2, v18
	s_delay_alu instid0(VALU_DEP_1) | instskip(NEXT) | instid1(VALU_DEP_1)
	v_dual_mul_f32 v1, v8, v4 :: v_dual_add_f32 v2, v2, v19
	v_fma_f32 v154, v7, v3, -v1
	v_add_f32_e32 v1, 0, v22
	s_delay_alu instid0(VALU_DEP_3) | instskip(NEXT) | instid1(VALU_DEP_2)
	v_dual_fmac_f32 v153, v8, v3 :: v_dual_add_f32 v2, v2, v20
	v_add_f32_e32 v1, v1, v106
	s_delay_alu instid0(VALU_DEP_2) | instskip(NEXT) | instid1(VALU_DEP_2)
	v_add_f32_e32 v5, v2, v123
	v_add_f32_e32 v1, v1, v110
	s_delay_alu instid0(VALU_DEP_2) | instskip(NEXT) | instid1(VALU_DEP_2)
	v_add_f32_e32 v5, v5, v124
	;; [unrolled: 3-line block ×3, first 2 shown]
	v_add_f32_e32 v1, v1, v112
	s_delay_alu instid0(VALU_DEP_1) | instskip(NEXT) | instid1(VALU_DEP_1)
	v_add_f32_e32 v1, v1, v113
	v_add_f32_e32 v1, v1, v13
	s_delay_alu instid0(VALU_DEP_1) | instskip(SKIP_1) | instid1(VALU_DEP_1)
	v_add_f32_e32 v1, v1, v14
	v_add_f32_e32 v14, v5, v129
	;; [unrolled: 1-line block ×3, first 2 shown]
	s_delay_alu instid0(VALU_DEP_1) | instskip(NEXT) | instid1(VALU_DEP_1)
	v_dual_add_f32 v14, v14, v133 :: v_dual_add_f32 v1, v1, v16
	v_add_f32_e32 v1, v1, v17
	s_delay_alu instid0(VALU_DEP_1) | instskip(NEXT) | instid1(VALU_DEP_1)
	v_add_f32_e32 v1, v1, v116
	v_add_f32_e32 v1, v1, v117
	s_delay_alu instid0(VALU_DEP_1) | instskip(NEXT) | instid1(VALU_DEP_1)
	v_add_f32_e32 v1, v1, v125
	v_add_f32_e32 v6, v1, v126
	ds_load_2addr_b64 v[1:4], v21 offset0:75 offset1:76
	v_add_f32_e32 v6, v6, v128
	s_delay_alu instid0(VALU_DEP_1)
	v_add_f32_e32 v13, v6, v130
	ds_load_2addr_b64 v[5:8], v21 offset0:77 offset1:78
	s_wait_loadcnt_dscnt 0x1
	v_mul_f32_e32 v22, v1, v10
	v_mul_f32_e32 v110, v3, v12
	;; [unrolled: 1-line block ×4, first 2 shown]
	s_delay_alu instid0(VALU_DEP_4) | instskip(NEXT) | instid1(VALU_DEP_4)
	v_fmac_f32_e32 v22, v2, v9
	v_fmac_f32_e32 v110, v4, v11
	s_delay_alu instid0(VALU_DEP_4) | instskip(NEXT) | instid1(VALU_DEP_4)
	v_fma_f32 v111, v1, v9, -v10
	v_fma_f32 v112, v3, v11, -v12
	s_clause 0x1
	scratch_load_b128 v[1:4], off, off offset:280
	scratch_load_b128 v[9:12], off, off offset:296
	v_add_f32_e32 v13, v13, v132
	v_add_f32_e32 v17, v14, v135
	s_delay_alu instid0(VALU_DEP_1) | instskip(SKIP_3) | instid1(VALU_DEP_2)
	v_add_f32_e32 v17, v17, v137
	s_wait_loadcnt_dscnt 0x100
	v_mul_f32_e32 v115, v7, v4
	v_mul_f32_e32 v4, v8, v4
	v_fmac_f32_e32 v115, v8, v3
	v_add_f32_e32 v13, v13, v134
	s_delay_alu instid0(VALU_DEP_3) | instskip(NEXT) | instid1(VALU_DEP_2)
	v_fma_f32 v3, v7, v3, -v4
	v_add_f32_e32 v13, v13, v136
	s_delay_alu instid0(VALU_DEP_1) | instskip(SKIP_2) | instid1(VALU_DEP_1)
	v_add_f32_e32 v18, v13, v138
	scratch_load_b128 v[13:16], off, off offset:312
	v_dual_add_f32 v17, v17, v139 :: v_dual_add_f32 v18, v18, v140
	v_dual_add_f32 v17, v17, v141 :: v_dual_add_f32 v18, v18, v142
	s_delay_alu instid0(VALU_DEP_1)
	v_dual_add_f32 v107, v17, v143 :: v_dual_add_f32 v106, v18, v144
	ds_load_2addr_b64 v[17:20], v21 offset0:79 offset1:80
	v_dual_add_f32 v114, v107, v145 :: v_dual_add_f32 v113, v106, v146
	ds_load_2addr_b64 v[106:109], v21 offset0:81 offset1:82
	v_add_f32_e32 v21, v113, v148
	v_dual_add_f32 v113, v114, v147 :: v_dual_mul_f32 v114, v5, v2
	v_mul_f32_e32 v2, v6, v2
	s_delay_alu instid0(VALU_DEP_2) | instskip(NEXT) | instid1(VALU_DEP_2)
	v_dual_add_f32 v21, v21, v150 :: v_dual_fmac_f32 v114, v6, v1
	v_fma_f32 v2, v5, v1, -v2
	s_delay_alu instid0(VALU_DEP_2) | instskip(SKIP_3) | instid1(VALU_DEP_3)
	v_add_f32_e32 v21, v21, v152
	s_wait_loadcnt_dscnt 0x101
	v_mul_f32_e32 v116, v17, v10
	v_dual_add_f32 v113, v113, v149 :: v_dual_mul_f32 v6, v18, v10
	v_dual_mul_f32 v4, v20, v12 :: v_dual_add_f32 v21, v21, v154
	s_delay_alu instid0(VALU_DEP_2) | instskip(NEXT) | instid1(VALU_DEP_2)
	v_dual_fmac_f32 v116, v18, v9 :: v_dual_add_f32 v113, v113, v151
	v_fma_f32 v4, v19, v11, -v4
	s_delay_alu instid0(VALU_DEP_3) | instskip(NEXT) | instid1(VALU_DEP_3)
	v_add_f32_e32 v21, v21, v111
	v_add_f32_e32 v113, v113, v153
	s_delay_alu instid0(VALU_DEP_2) | instskip(NEXT) | instid1(VALU_DEP_2)
	v_add_f32_e32 v1, v21, v112
	v_add_f32_e32 v22, v113, v22
	s_delay_alu instid0(VALU_DEP_2) | instskip(NEXT) | instid1(VALU_DEP_2)
	v_add_f32_e32 v1, v1, v2
	v_add_f32_e32 v5, v22, v110
	v_mul_f32_e32 v117, v19, v12
	s_delay_alu instid0(VALU_DEP_3) | instskip(NEXT) | instid1(VALU_DEP_3)
	v_add_f32_e32 v1, v1, v3
	v_add_f32_e32 v2, v5, v114
	v_fma_f32 v5, v17, v9, -v6
	s_delay_alu instid0(VALU_DEP_4) | instskip(NEXT) | instid1(VALU_DEP_2)
	v_fmac_f32_e32 v117, v20, v11
	v_dual_add_f32 v2, v2, v115 :: v_dual_add_f32 v1, v1, v5
	s_delay_alu instid0(VALU_DEP_1) | instskip(NEXT) | instid1(VALU_DEP_1)
	v_add_f32_e32 v2, v2, v116
	v_dual_add_f32 v1, v1, v4 :: v_dual_add_f32 v2, v2, v117
	s_wait_loadcnt_dscnt 0x0
	v_mul_f32_e32 v120, v106, v14
	v_mul_f32_e32 v3, v107, v14
	;; [unrolled: 1-line block ×3, first 2 shown]
	s_delay_alu instid0(VALU_DEP_3) | instskip(NEXT) | instid1(VALU_DEP_3)
	v_dual_mul_f32 v5, v109, v16 :: v_dual_fmac_f32 v120, v107, v13
	v_fma_f32 v3, v106, v13, -v3
	s_delay_alu instid0(VALU_DEP_3) | instskip(NEXT) | instid1(VALU_DEP_3)
	v_fmac_f32_e32 v111, v109, v15
	v_fma_f32 v4, v108, v15, -v5
	s_delay_alu instid0(VALU_DEP_3) | instskip(NEXT) | instid1(VALU_DEP_1)
	v_dual_add_f32 v2, v2, v120 :: v_dual_add_f32 v1, v1, v3
	v_dual_add_f32 v2, v2, v111 :: v_dual_add_f32 v1, v1, v4
	s_delay_alu instid0(VALU_DEP_1)
	v_dual_sub_f32 v2, v119, v2 :: v_dual_sub_f32 v1, v118, v1
	scratch_store_b64 off, v[1:2], off offset:32
	v_cmpx_lt_u32_e32 3, v0
	s_cbranch_execz .LBB40_253
; %bb.252:
	scratch_load_b64 v[1:2], off, off offset:24
	v_mov_b32_e32 v3, 0
	s_delay_alu instid0(VALU_DEP_1)
	v_mov_b32_e32 v4, v3
	scratch_store_b64 off, v[3:4], off offset:24
	s_wait_loadcnt 0x0
	ds_store_b64 v23, v[1:2]
.LBB40_253:
	s_wait_alu 0xfffe
	s_or_b32 exec_lo, exec_lo, s0
	s_wait_storecnt_dscnt 0x0
	s_barrier_signal -1
	s_barrier_wait -1
	global_inv scope:SCOPE_SE
	s_clause 0x4
	scratch_load_b128 v[5:8], off, off offset:32
	scratch_load_b128 v[1:4], off, off offset:48
	;; [unrolled: 1-line block ×5, first 2 shown]
	v_mov_b32_e32 v21, 0
	ds_load_b128 v[106:109], v21 offset:368
	ds_load_b128 v[110:113], v21 offset:384
	;; [unrolled: 1-line block ×3, first 2 shown]
	scratch_load_b64 v[118:119], off, off offset:24
	s_mov_b32 s0, exec_lo
	s_wait_loadcnt_dscnt 0x502
	v_mul_f32_e32 v22, v107, v6
	v_dual_mul_f32 v120, v106, v6 :: v_dual_mul_f32 v121, v108, v8
	v_mul_f32_e32 v6, v109, v8
	s_delay_alu instid0(VALU_DEP_3) | instskip(NEXT) | instid1(VALU_DEP_3)
	v_fma_f32 v22, v106, v5, -v22
	v_dual_fmac_f32 v120, v107, v5 :: v_dual_fmac_f32 v121, v109, v7
	s_wait_loadcnt_dscnt 0x401
	v_mul_f32_e32 v107, v110, v2
	v_fma_f32 v106, v108, v7, -v6
	ds_load_b128 v[5:8], v21 offset:416
	s_wait_loadcnt_dscnt 0x301
	v_dual_mul_f32 v108, v112, v4 :: v_dual_mul_f32 v109, v114, v10
	v_dual_mul_f32 v4, v113, v4 :: v_dual_fmac_f32 v107, v111, v1
	v_mul_f32_e32 v10, v115, v10
	s_delay_alu instid0(VALU_DEP_3)
	v_dual_mul_f32 v122, v116, v12 :: v_dual_fmac_f32 v109, v115, v9
	v_mul_f32_e32 v12, v117, v12
	v_mul_f32_e32 v2, v111, v2
	v_fmac_f32_e32 v108, v113, v3
	v_fma_f32 v111, v112, v3, -v4
	v_fma_f32 v112, v114, v9, -v10
	v_fmac_f32_e32 v122, v117, v11
	v_fma_f32 v113, v116, v11, -v12
	ds_load_b128 v[9:12], v21 offset:432
	s_wait_loadcnt_dscnt 0x201
	v_dual_mul_f32 v115, v7, v16 :: v_dual_mul_f32 v114, v5, v14
	v_mul_f32_e32 v14, v6, v14
	v_mul_f32_e32 v16, v8, v16
	s_delay_alu instid0(VALU_DEP_3)
	v_fmac_f32_e32 v115, v8, v15
	v_fma_f32 v110, v110, v1, -v2
	scratch_load_b128 v[1:4], off, off offset:112
	v_fmac_f32_e32 v114, v6, v13
	v_fma_f32 v13, v5, v13, -v14
	v_fma_f32 v14, v7, v15, -v16
	ds_load_b128 v[5:8], v21 offset:448
	s_wait_loadcnt_dscnt 0x201
	v_mul_f32_e32 v15, v9, v18
	v_mul_f32_e32 v16, v10, v18
	;; [unrolled: 1-line block ×3, first 2 shown]
	s_delay_alu instid0(VALU_DEP_3) | instskip(NEXT) | instid1(VALU_DEP_3)
	v_dual_mul_f32 v20, v12, v20 :: v_dual_fmac_f32 v15, v10, v17
	v_fma_f32 v16, v9, v17, -v16
	s_delay_alu instid0(VALU_DEP_3) | instskip(NEXT) | instid1(VALU_DEP_3)
	v_fmac_f32_e32 v18, v12, v19
	v_fma_f32 v17, v11, v19, -v20
	scratch_load_b128 v[9:12], off, off offset:128
	s_wait_loadcnt_dscnt 0x100
	v_mul_f32_e32 v19, v5, v2
	v_mul_f32_e32 v2, v6, v2
	v_mul_f32_e32 v20, v7, v4
	s_delay_alu instid0(VALU_DEP_3) | instskip(NEXT) | instid1(VALU_DEP_3)
	v_dual_mul_f32 v4, v8, v4 :: v_dual_fmac_f32 v19, v6, v1
	v_fma_f32 v116, v5, v1, -v2
	s_delay_alu instid0(VALU_DEP_3) | instskip(NEXT) | instid1(VALU_DEP_3)
	v_fmac_f32_e32 v20, v8, v3
	v_fma_f32 v117, v7, v3, -v4
	ds_load_b128 v[1:4], v21 offset:464
	ds_load_b128 v[5:8], v21 offset:480
	s_wait_loadcnt_dscnt 0x1
	v_mul_f32_e32 v123, v1, v10
	v_mul_f32_e32 v10, v2, v10
	s_delay_alu instid0(VALU_DEP_2) | instskip(NEXT) | instid1(VALU_DEP_2)
	v_dual_mul_f32 v124, v3, v12 :: v_dual_fmac_f32 v123, v2, v9
	v_fma_f32 v125, v1, v9, -v10
	v_mul_f32_e32 v1, v4, v12
	s_delay_alu instid0(VALU_DEP_3) | instskip(NEXT) | instid1(VALU_DEP_2)
	v_fmac_f32_e32 v124, v4, v11
	v_fma_f32 v126, v3, v11, -v1
	s_clause 0x1
	scratch_load_b128 v[1:4], off, off offset:144
	scratch_load_b128 v[9:12], off, off offset:160
	s_wait_loadcnt_dscnt 0x100
	v_mul_f32_e32 v127, v5, v2
	v_dual_mul_f32 v2, v6, v2 :: v_dual_mul_f32 v129, v7, v4
	s_delay_alu instid0(VALU_DEP_2) | instskip(NEXT) | instid1(VALU_DEP_2)
	v_fmac_f32_e32 v127, v6, v1
	v_fma_f32 v128, v5, v1, -v2
	v_mul_f32_e32 v1, v8, v4
	s_delay_alu instid0(VALU_DEP_4) | instskip(NEXT) | instid1(VALU_DEP_2)
	v_fmac_f32_e32 v129, v8, v3
	v_fma_f32 v130, v7, v3, -v1
	ds_load_b128 v[1:4], v21 offset:496
	ds_load_b128 v[5:8], v21 offset:512
	s_wait_loadcnt_dscnt 0x1
	v_mul_f32_e32 v131, v1, v10
	v_mul_f32_e32 v133, v3, v12
	s_delay_alu instid0(VALU_DEP_2) | instskip(NEXT) | instid1(VALU_DEP_2)
	v_fmac_f32_e32 v131, v2, v9
	v_dual_mul_f32 v2, v2, v10 :: v_dual_fmac_f32 v133, v4, v11
	s_delay_alu instid0(VALU_DEP_1) | instskip(SKIP_1) | instid1(VALU_DEP_1)
	v_fma_f32 v132, v1, v9, -v2
	v_mul_f32_e32 v1, v4, v12
	v_fma_f32 v134, v3, v11, -v1
	s_clause 0x1
	scratch_load_b128 v[1:4], off, off offset:176
	scratch_load_b128 v[9:12], off, off offset:192
	s_wait_loadcnt_dscnt 0x100
	v_mul_f32_e32 v135, v5, v2
	v_dual_mul_f32 v137, v7, v4 :: v_dual_mul_f32 v2, v6, v2
	s_delay_alu instid0(VALU_DEP_2) | instskip(NEXT) | instid1(VALU_DEP_2)
	v_fmac_f32_e32 v135, v6, v1
	v_fmac_f32_e32 v137, v8, v3
	s_delay_alu instid0(VALU_DEP_3) | instskip(SKIP_1) | instid1(VALU_DEP_1)
	v_fma_f32 v136, v5, v1, -v2
	v_mul_f32_e32 v1, v8, v4
	v_fma_f32 v138, v7, v3, -v1
	ds_load_b128 v[1:4], v21 offset:528
	ds_load_b128 v[5:8], v21 offset:544
	s_wait_loadcnt_dscnt 0x1
	v_mul_f32_e32 v139, v1, v10
	v_mul_f32_e32 v141, v3, v12
	s_delay_alu instid0(VALU_DEP_2) | instskip(NEXT) | instid1(VALU_DEP_2)
	v_fmac_f32_e32 v139, v2, v9
	v_dual_mul_f32 v2, v2, v10 :: v_dual_fmac_f32 v141, v4, v11
	s_delay_alu instid0(VALU_DEP_1) | instskip(SKIP_1) | instid1(VALU_DEP_1)
	v_fma_f32 v140, v1, v9, -v2
	v_mul_f32_e32 v1, v4, v12
	v_fma_f32 v142, v3, v11, -v1
	s_clause 0x1
	scratch_load_b128 v[1:4], off, off offset:208
	scratch_load_b128 v[9:12], off, off offset:224
	s_wait_loadcnt_dscnt 0x100
	v_mul_f32_e32 v143, v5, v2
	v_dual_mul_f32 v2, v6, v2 :: v_dual_mul_f32 v145, v7, v4
	s_delay_alu instid0(VALU_DEP_2) | instskip(NEXT) | instid1(VALU_DEP_2)
	v_fmac_f32_e32 v143, v6, v1
	v_fma_f32 v144, v5, v1, -v2
	v_mul_f32_e32 v1, v8, v4
	s_delay_alu instid0(VALU_DEP_4) | instskip(NEXT) | instid1(VALU_DEP_2)
	v_fmac_f32_e32 v145, v8, v3
	v_fma_f32 v146, v7, v3, -v1
	ds_load_b128 v[1:4], v21 offset:560
	ds_load_b128 v[5:8], v21 offset:576
	s_wait_loadcnt_dscnt 0x1
	v_mul_f32_e32 v147, v1, v10
	v_mul_f32_e32 v149, v3, v12
	s_delay_alu instid0(VALU_DEP_2) | instskip(NEXT) | instid1(VALU_DEP_2)
	v_fmac_f32_e32 v147, v2, v9
	v_dual_mul_f32 v2, v2, v10 :: v_dual_fmac_f32 v149, v4, v11
	s_delay_alu instid0(VALU_DEP_1) | instskip(SKIP_1) | instid1(VALU_DEP_1)
	v_fma_f32 v148, v1, v9, -v2
	v_mul_f32_e32 v1, v4, v12
	v_fma_f32 v150, v3, v11, -v1
	s_clause 0x1
	scratch_load_b128 v[1:4], off, off offset:240
	scratch_load_b128 v[9:12], off, off offset:256
	s_wait_loadcnt_dscnt 0x100
	v_mul_f32_e32 v151, v5, v2
	v_mul_f32_e32 v2, v6, v2
	s_delay_alu instid0(VALU_DEP_1) | instskip(SKIP_1) | instid1(VALU_DEP_1)
	v_fma_f32 v152, v5, v1, -v2
	v_add_f32_e32 v2, 0, v120
	v_add_f32_e32 v2, v2, v121
	s_delay_alu instid0(VALU_DEP_1) | instskip(NEXT) | instid1(VALU_DEP_1)
	v_add_f32_e32 v2, v2, v107
	v_add_f32_e32 v2, v2, v108
	s_delay_alu instid0(VALU_DEP_1) | instskip(NEXT) | instid1(VALU_DEP_1)
	;; [unrolled: 3-line block ×4, first 2 shown]
	v_dual_add_f32 v2, v2, v15 :: v_dual_mul_f32 v153, v7, v4
	v_add_f32_e32 v2, v2, v18
	s_delay_alu instid0(VALU_DEP_1) | instskip(NEXT) | instid1(VALU_DEP_3)
	v_add_f32_e32 v2, v2, v19
	v_fmac_f32_e32 v153, v8, v3
	v_fmac_f32_e32 v151, v6, v1
	s_delay_alu instid0(VALU_DEP_3) | instskip(NEXT) | instid1(VALU_DEP_1)
	v_add_f32_e32 v2, v2, v20
	v_add_f32_e32 v5, v2, v123
	s_delay_alu instid0(VALU_DEP_1) | instskip(NEXT) | instid1(VALU_DEP_1)
	v_add_f32_e32 v5, v5, v124
	v_add_f32_e32 v5, v5, v127
	v_mul_f32_e32 v1, v8, v4
	s_delay_alu instid0(VALU_DEP_1) | instskip(SKIP_1) | instid1(VALU_DEP_1)
	v_fma_f32 v154, v7, v3, -v1
	v_add_f32_e32 v1, 0, v22
	v_add_f32_e32 v1, v1, v106
	s_delay_alu instid0(VALU_DEP_1) | instskip(NEXT) | instid1(VALU_DEP_1)
	v_add_f32_e32 v1, v1, v110
	v_add_f32_e32 v1, v1, v111
	scratch_load_b64 v[110:111], off, off offset:320
	v_add_f32_e32 v1, v1, v112
	s_delay_alu instid0(VALU_DEP_1) | instskip(NEXT) | instid1(VALU_DEP_1)
	v_add_f32_e32 v1, v1, v113
	v_add_f32_e32 v1, v1, v13
	s_delay_alu instid0(VALU_DEP_1) | instskip(SKIP_1) | instid1(VALU_DEP_1)
	v_add_f32_e32 v1, v1, v14
	v_add_f32_e32 v14, v5, v129
	;; [unrolled: 1-line block ×3, first 2 shown]
	s_delay_alu instid0(VALU_DEP_1) | instskip(NEXT) | instid1(VALU_DEP_1)
	v_dual_add_f32 v14, v14, v133 :: v_dual_add_f32 v1, v1, v16
	v_add_f32_e32 v1, v1, v17
	s_delay_alu instid0(VALU_DEP_2) | instskip(NEXT) | instid1(VALU_DEP_2)
	v_add_f32_e32 v17, v14, v135
	v_add_f32_e32 v1, v1, v116
	s_delay_alu instid0(VALU_DEP_1) | instskip(NEXT) | instid1(VALU_DEP_1)
	v_add_f32_e32 v1, v1, v117
	v_add_f32_e32 v1, v1, v125
	s_delay_alu instid0(VALU_DEP_1) | instskip(SKIP_2) | instid1(VALU_DEP_1)
	v_add_f32_e32 v6, v1, v126
	ds_load_b128 v[1:4], v21 offset:592
	v_add_f32_e32 v6, v6, v128
	v_add_f32_e32 v13, v6, v130
	ds_load_b128 v[5:8], v21 offset:608
	s_wait_loadcnt_dscnt 0x101
	v_mul_f32_e32 v22, v1, v10
	v_mul_f32_e32 v10, v2, v10
	;; [unrolled: 1-line block ×4, first 2 shown]
	s_delay_alu instid0(VALU_DEP_4) | instskip(NEXT) | instid1(VALU_DEP_4)
	v_fmac_f32_e32 v22, v2, v9
	v_fma_f32 v115, v1, v9, -v10
	s_delay_alu instid0(VALU_DEP_4) | instskip(NEXT) | instid1(VALU_DEP_4)
	v_fmac_f32_e32 v114, v4, v11
	v_fma_f32 v116, v3, v11, -v12
	s_clause 0x1
	scratch_load_b128 v[1:4], off, off offset:272
	scratch_load_b128 v[9:12], off, off offset:288
	v_add_f32_e32 v17, v17, v137
	s_delay_alu instid0(VALU_DEP_1) | instskip(SKIP_1) | instid1(VALU_DEP_1)
	v_add_f32_e32 v17, v17, v139
	s_wait_loadcnt_dscnt 0x100
	v_dual_add_f32 v17, v17, v141 :: v_dual_mul_f32 v122, v7, v4
	v_mul_f32_e32 v121, v5, v2
	v_mul_f32_e32 v2, v6, v2
	;; [unrolled: 1-line block ×3, first 2 shown]
	s_delay_alu instid0(VALU_DEP_3) | instskip(NEXT) | instid1(VALU_DEP_3)
	v_dual_fmac_f32 v122, v8, v3 :: v_dual_fmac_f32 v121, v6, v1
	v_fma_f32 v2, v5, v1, -v2
	v_add_f32_e32 v17, v17, v143
	s_delay_alu instid0(VALU_DEP_4) | instskip(NEXT) | instid1(VALU_DEP_2)
	v_fma_f32 v1, v7, v3, -v4
	v_add_f32_e32 v106, v17, v145
	s_delay_alu instid0(VALU_DEP_1) | instskip(SKIP_2) | instid1(VALU_DEP_1)
	v_add_f32_e32 v113, v106, v147
	ds_load_b128 v[106:109], v21 offset:640
	v_add_f32_e32 v120, v113, v149
	v_add_f32_e32 v120, v120, v151
	s_delay_alu instid0(VALU_DEP_1) | instskip(NEXT) | instid1(VALU_DEP_1)
	v_dual_add_f32 v120, v120, v153 :: v_dual_add_f32 v13, v13, v132
	v_add_f32_e32 v22, v120, v22
	s_delay_alu instid0(VALU_DEP_2) | instskip(NEXT) | instid1(VALU_DEP_1)
	v_add_f32_e32 v13, v13, v134
	v_dual_add_f32 v22, v22, v114 :: v_dual_add_f32 v13, v13, v136
	s_delay_alu instid0(VALU_DEP_1) | instskip(SKIP_2) | instid1(VALU_DEP_1)
	v_add_f32_e32 v18, v13, v138
	scratch_load_b128 v[13:16], off, off offset:304
	v_add_f32_e32 v18, v18, v140
	v_add_f32_e32 v18, v18, v142
	s_delay_alu instid0(VALU_DEP_1) | instskip(NEXT) | instid1(VALU_DEP_1)
	v_add_f32_e32 v18, v18, v144
	v_add_f32_e32 v18, v18, v146
	s_delay_alu instid0(VALU_DEP_1)
	v_add_f32_e32 v112, v18, v148
	ds_load_b128 v[17:20], v21 offset:624
	v_add_f32_e32 v117, v112, v150
	ds_load_b64 v[112:113], v21 offset:656
	s_wait_loadcnt_dscnt 0x101
	v_dual_mul_f32 v120, v19, v12 :: v_dual_mul_f32 v3, v18, v10
	s_wait_dscnt 0x0
	v_mul_f32_e32 v114, v112, v111
	s_delay_alu instid0(VALU_DEP_2) | instskip(NEXT) | instid1(VALU_DEP_3)
	v_fma_f32 v3, v17, v9, -v3
	v_fmac_f32_e32 v120, v20, v11
	s_delay_alu instid0(VALU_DEP_3) | instskip(SKIP_1) | instid1(VALU_DEP_1)
	v_fmac_f32_e32 v114, v113, v110
	v_dual_add_f32 v4, v22, v121 :: v_dual_add_f32 v117, v117, v152
	v_add_f32_e32 v117, v117, v154
	s_delay_alu instid0(VALU_DEP_1) | instskip(SKIP_1) | instid1(VALU_DEP_2)
	v_add_f32_e32 v115, v117, v115
	v_mul_f32_e32 v117, v17, v10
	v_add_f32_e32 v115, v115, v116
	s_delay_alu instid0(VALU_DEP_1) | instskip(NEXT) | instid1(VALU_DEP_1)
	v_dual_fmac_f32 v117, v18, v9 :: v_dual_add_f32 v2, v115, v2
	v_dual_add_f32 v1, v2, v1 :: v_dual_add_f32 v2, v4, v122
	s_delay_alu instid0(VALU_DEP_1) | instskip(NEXT) | instid1(VALU_DEP_1)
	v_add_f32_e32 v2, v2, v117
	v_add_f32_e32 v2, v2, v120
	s_wait_loadcnt 0x0
	v_dual_mul_f32 v116, v108, v16 :: v_dual_mul_f32 v123, v106, v14
	v_mul_f32_e32 v4, v107, v14
	s_delay_alu instid0(VALU_DEP_2) | instskip(NEXT) | instid1(VALU_DEP_2)
	v_dual_fmac_f32 v116, v109, v15 :: v_dual_fmac_f32 v123, v107, v13
	v_fma_f32 v4, v106, v13, -v4
	s_delay_alu instid0(VALU_DEP_2) | instskip(SKIP_2) | instid1(VALU_DEP_3)
	v_add_f32_e32 v2, v2, v123
	v_add_f32_e32 v1, v1, v3
	v_mul_f32_e32 v3, v109, v16
	v_add_f32_e32 v2, v2, v116
	v_mul_f32_e32 v5, v20, v12
	s_delay_alu instid0(VALU_DEP_3) | instskip(NEXT) | instid1(VALU_DEP_3)
	v_fma_f32 v3, v108, v15, -v3
	v_add_f32_e32 v2, v2, v114
	s_delay_alu instid0(VALU_DEP_3) | instskip(NEXT) | instid1(VALU_DEP_1)
	v_fma_f32 v5, v19, v11, -v5
	v_dual_sub_f32 v2, v119, v2 :: v_dual_add_f32 v1, v1, v5
	v_mul_f32_e32 v5, v113, v111
	s_delay_alu instid0(VALU_DEP_2) | instskip(NEXT) | instid1(VALU_DEP_2)
	v_add_f32_e32 v1, v1, v4
	v_fma_f32 v4, v112, v110, -v5
	s_delay_alu instid0(VALU_DEP_2) | instskip(NEXT) | instid1(VALU_DEP_1)
	v_add_f32_e32 v1, v1, v3
	v_add_f32_e32 v1, v1, v4
	s_delay_alu instid0(VALU_DEP_1)
	v_sub_f32_e32 v1, v118, v1
	scratch_store_b64 off, v[1:2], off offset:24
	v_cmpx_lt_u32_e32 2, v0
	s_cbranch_execz .LBB40_255
; %bb.254:
	scratch_load_b64 v[1:2], off, off offset:16
	v_mov_b32_e32 v22, v21
	scratch_store_b64 off, v[21:22], off offset:16
	s_wait_loadcnt 0x0
	ds_store_b64 v23, v[1:2]
.LBB40_255:
	s_wait_alu 0xfffe
	s_or_b32 exec_lo, exec_lo, s0
	s_wait_storecnt_dscnt 0x0
	s_barrier_signal -1
	s_barrier_wait -1
	global_inv scope:SCOPE_SE
	s_clause 0x4
	scratch_load_b128 v[5:8], off, off offset:24
	scratch_load_b128 v[1:4], off, off offset:40
	;; [unrolled: 1-line block ×5, first 2 shown]
	ds_load_2addr_b64 v[106:109], v21 offset0:45 offset1:46
	ds_load_2addr_b64 v[110:113], v21 offset0:47 offset1:48
	;; [unrolled: 1-line block ×3, first 2 shown]
	scratch_load_b64 v[118:119], off, off offset:16
	s_mov_b32 s0, exec_lo
	s_wait_loadcnt_dscnt 0x502
	v_dual_mul_f32 v22, v107, v6 :: v_dual_mul_f32 v121, v108, v8
	v_mul_f32_e32 v120, v106, v6
	v_mul_f32_e32 v6, v109, v8
	s_wait_loadcnt_dscnt 0x300
	v_mul_f32_e32 v122, v116, v12
	v_fma_f32 v22, v106, v5, -v22
	v_dual_fmac_f32 v121, v109, v7 :: v_dual_fmac_f32 v120, v107, v5
	v_mul_f32_e32 v109, v114, v10
	v_mul_f32_e32 v107, v110, v2
	v_fma_f32 v106, v108, v7, -v6
	ds_load_2addr_b64 v[5:8], v21 offset0:51 offset1:52
	v_mul_f32_e32 v108, v112, v4
	v_dual_mul_f32 v4, v113, v4 :: v_dual_fmac_f32 v109, v115, v9
	v_mul_f32_e32 v10, v115, v10
	v_mul_f32_e32 v12, v117, v12
	;; [unrolled: 1-line block ×3, first 2 shown]
	v_dual_fmac_f32 v107, v111, v1 :: v_dual_fmac_f32 v108, v113, v3
	v_fma_f32 v111, v112, v3, -v4
	v_fma_f32 v112, v114, v9, -v10
	v_fmac_f32_e32 v122, v117, v11
	v_fma_f32 v113, v116, v11, -v12
	ds_load_2addr_b64 v[9:12], v21 offset0:53 offset1:54
	s_wait_loadcnt_dscnt 0x201
	v_dual_mul_f32 v115, v7, v16 :: v_dual_mul_f32 v114, v5, v14
	s_delay_alu instid0(VALU_DEP_1)
	v_dual_mul_f32 v14, v6, v14 :: v_dual_fmac_f32 v115, v8, v15
	v_fma_f32 v110, v110, v1, -v2
	scratch_load_b128 v[1:4], off, off offset:104
	v_mul_f32_e32 v16, v8, v16
	v_fmac_f32_e32 v114, v6, v13
	v_fma_f32 v13, v5, v13, -v14
	s_delay_alu instid0(VALU_DEP_3)
	v_fma_f32 v14, v7, v15, -v16
	s_wait_loadcnt_dscnt 0x200
	v_mul_f32_e32 v15, v9, v18
	v_mul_f32_e32 v16, v10, v18
	;; [unrolled: 1-line block ×4, first 2 shown]
	ds_load_2addr_b64 v[5:8], v21 offset0:55 offset1:56
	v_fmac_f32_e32 v15, v10, v17
	v_fma_f32 v16, v9, v17, -v16
	v_fmac_f32_e32 v18, v12, v19
	v_fma_f32 v17, v11, v19, -v20
	scratch_load_b128 v[9:12], off, off offset:120
	s_wait_loadcnt_dscnt 0x100
	v_mul_f32_e32 v19, v5, v2
	v_mul_f32_e32 v2, v6, v2
	;; [unrolled: 1-line block ×3, first 2 shown]
	s_delay_alu instid0(VALU_DEP_3) | instskip(NEXT) | instid1(VALU_DEP_3)
	v_dual_mul_f32 v4, v8, v4 :: v_dual_fmac_f32 v19, v6, v1
	v_fma_f32 v116, v5, v1, -v2
	s_delay_alu instid0(VALU_DEP_3) | instskip(NEXT) | instid1(VALU_DEP_3)
	v_fmac_f32_e32 v20, v8, v3
	v_fma_f32 v117, v7, v3, -v4
	ds_load_2addr_b64 v[1:4], v21 offset0:57 offset1:58
	ds_load_2addr_b64 v[5:8], v21 offset0:59 offset1:60
	s_wait_loadcnt_dscnt 0x1
	v_mul_f32_e32 v123, v1, v10
	v_mul_f32_e32 v10, v2, v10
	s_delay_alu instid0(VALU_DEP_2) | instskip(NEXT) | instid1(VALU_DEP_2)
	v_dual_mul_f32 v124, v3, v12 :: v_dual_fmac_f32 v123, v2, v9
	v_fma_f32 v125, v1, v9, -v10
	v_mul_f32_e32 v1, v4, v12
	s_delay_alu instid0(VALU_DEP_3) | instskip(NEXT) | instid1(VALU_DEP_2)
	v_fmac_f32_e32 v124, v4, v11
	v_fma_f32 v126, v3, v11, -v1
	s_clause 0x1
	scratch_load_b128 v[1:4], off, off offset:136
	scratch_load_b128 v[9:12], off, off offset:152
	s_wait_loadcnt_dscnt 0x100
	v_mul_f32_e32 v127, v5, v2
	v_dual_mul_f32 v2, v6, v2 :: v_dual_mul_f32 v129, v7, v4
	s_delay_alu instid0(VALU_DEP_2) | instskip(NEXT) | instid1(VALU_DEP_2)
	v_fmac_f32_e32 v127, v6, v1
	v_fma_f32 v128, v5, v1, -v2
	v_mul_f32_e32 v1, v8, v4
	s_delay_alu instid0(VALU_DEP_4) | instskip(NEXT) | instid1(VALU_DEP_2)
	v_fmac_f32_e32 v129, v8, v3
	v_fma_f32 v130, v7, v3, -v1
	ds_load_2addr_b64 v[1:4], v21 offset0:61 offset1:62
	ds_load_2addr_b64 v[5:8], v21 offset0:63 offset1:64
	s_wait_loadcnt_dscnt 0x1
	v_mul_f32_e32 v131, v1, v10
	v_mul_f32_e32 v133, v3, v12
	s_delay_alu instid0(VALU_DEP_2) | instskip(NEXT) | instid1(VALU_DEP_2)
	v_fmac_f32_e32 v131, v2, v9
	v_dual_mul_f32 v2, v2, v10 :: v_dual_fmac_f32 v133, v4, v11
	s_delay_alu instid0(VALU_DEP_1) | instskip(SKIP_1) | instid1(VALU_DEP_1)
	v_fma_f32 v132, v1, v9, -v2
	v_mul_f32_e32 v1, v4, v12
	v_fma_f32 v134, v3, v11, -v1
	s_clause 0x1
	scratch_load_b128 v[1:4], off, off offset:168
	scratch_load_b128 v[9:12], off, off offset:184
	s_wait_loadcnt_dscnt 0x100
	v_mul_f32_e32 v135, v5, v2
	v_dual_mul_f32 v2, v6, v2 :: v_dual_mul_f32 v137, v7, v4
	s_delay_alu instid0(VALU_DEP_2) | instskip(NEXT) | instid1(VALU_DEP_2)
	v_fmac_f32_e32 v135, v6, v1
	v_fma_f32 v136, v5, v1, -v2
	v_mul_f32_e32 v1, v8, v4
	s_delay_alu instid0(VALU_DEP_4) | instskip(NEXT) | instid1(VALU_DEP_2)
	v_fmac_f32_e32 v137, v8, v3
	v_fma_f32 v138, v7, v3, -v1
	ds_load_2addr_b64 v[1:4], v21 offset0:65 offset1:66
	ds_load_2addr_b64 v[5:8], v21 offset0:67 offset1:68
	s_wait_loadcnt_dscnt 0x1
	v_mul_f32_e32 v139, v1, v10
	v_mul_f32_e32 v141, v3, v12
	s_delay_alu instid0(VALU_DEP_2) | instskip(NEXT) | instid1(VALU_DEP_2)
	v_fmac_f32_e32 v139, v2, v9
	v_dual_mul_f32 v2, v2, v10 :: v_dual_fmac_f32 v141, v4, v11
	s_delay_alu instid0(VALU_DEP_1) | instskip(SKIP_1) | instid1(VALU_DEP_1)
	v_fma_f32 v140, v1, v9, -v2
	v_mul_f32_e32 v1, v4, v12
	;; [unrolled: 25-line block ×3, first 2 shown]
	v_fma_f32 v150, v3, v11, -v1
	s_clause 0x1
	scratch_load_b128 v[1:4], off, off offset:232
	scratch_load_b128 v[9:12], off, off offset:248
	s_wait_loadcnt_dscnt 0x100
	v_mul_f32_e32 v151, v5, v2
	v_mul_f32_e32 v2, v6, v2
	s_delay_alu instid0(VALU_DEP_1) | instskip(SKIP_1) | instid1(VALU_DEP_1)
	v_fma_f32 v152, v5, v1, -v2
	v_add_f32_e32 v2, 0, v120
	v_add_f32_e32 v2, v2, v121
	s_delay_alu instid0(VALU_DEP_1) | instskip(NEXT) | instid1(VALU_DEP_1)
	v_add_f32_e32 v2, v2, v107
	v_add_f32_e32 v2, v2, v108
	s_delay_alu instid0(VALU_DEP_1) | instskip(NEXT) | instid1(VALU_DEP_1)
	;; [unrolled: 3-line block ×3, first 2 shown]
	v_add_f32_e32 v2, v2, v114
	v_add_f32_e32 v2, v2, v115
	s_delay_alu instid0(VALU_DEP_1) | instskip(SKIP_1) | instid1(VALU_DEP_2)
	v_dual_add_f32 v2, v2, v15 :: v_dual_mul_f32 v153, v7, v4
	v_fmac_f32_e32 v151, v6, v1
	v_dual_add_f32 v2, v2, v18 :: v_dual_mul_f32 v1, v8, v4
	s_delay_alu instid0(VALU_DEP_1) | instskip(NEXT) | instid1(VALU_DEP_4)
	v_add_f32_e32 v2, v2, v19
	v_fmac_f32_e32 v153, v8, v3
	s_delay_alu instid0(VALU_DEP_3) | instskip(NEXT) | instid1(VALU_DEP_3)
	v_fma_f32 v154, v7, v3, -v1
	v_dual_add_f32 v2, v2, v20 :: v_dual_add_f32 v1, 0, v22
	s_delay_alu instid0(VALU_DEP_1) | instskip(NEXT) | instid1(VALU_DEP_1)
	v_dual_add_f32 v2, v2, v123 :: v_dual_add_f32 v1, v1, v106
	v_add_f32_e32 v5, v2, v124
	s_delay_alu instid0(VALU_DEP_2) | instskip(NEXT) | instid1(VALU_DEP_1)
	v_add_f32_e32 v1, v1, v110
	v_add_f32_e32 v1, v1, v111
	s_delay_alu instid0(VALU_DEP_1) | instskip(NEXT) | instid1(VALU_DEP_1)
	v_add_f32_e32 v1, v1, v112
	v_add_f32_e32 v1, v1, v113
	s_delay_alu instid0(VALU_DEP_1) | instskip(SKIP_1) | instid1(VALU_DEP_2)
	v_add_f32_e32 v1, v1, v13
	v_add_f32_e32 v13, v5, v127
	;; [unrolled: 1-line block ×3, first 2 shown]
	s_delay_alu instid0(VALU_DEP_2) | instskip(NEXT) | instid1(VALU_DEP_1)
	v_add_f32_e32 v13, v13, v129
	v_add_f32_e32 v13, v13, v131
	s_delay_alu instid0(VALU_DEP_1) | instskip(NEXT) | instid1(VALU_DEP_1)
	v_add_f32_e32 v18, v13, v133
	v_dual_add_f32 v18, v18, v135 :: v_dual_add_f32 v1, v1, v16
	s_delay_alu instid0(VALU_DEP_1) | instskip(NEXT) | instid1(VALU_DEP_2)
	v_add_f32_e32 v18, v18, v137
	v_add_f32_e32 v1, v1, v17
	s_delay_alu instid0(VALU_DEP_1) | instskip(NEXT) | instid1(VALU_DEP_1)
	v_add_f32_e32 v1, v1, v116
	v_add_f32_e32 v1, v1, v117
	s_delay_alu instid0(VALU_DEP_1) | instskip(NEXT) | instid1(VALU_DEP_1)
	v_add_f32_e32 v1, v1, v125
	v_add_f32_e32 v1, v1, v126
	s_delay_alu instid0(VALU_DEP_1)
	v_add_f32_e32 v6, v1, v128
	ds_load_2addr_b64 v[1:4], v21 offset0:73 offset1:74
	v_add_f32_e32 v106, v18, v139
	v_add_f32_e32 v14, v6, v130
	scratch_load_b128 v[5:8], off, off offset:264
	v_add_f32_e32 v106, v106, v141
	v_add_f32_e32 v14, v14, v132
	s_delay_alu instid0(VALU_DEP_1)
	v_add_f32_e32 v17, v14, v134
	ds_load_2addr_b64 v[13:16], v21 offset0:75 offset1:76
	s_wait_loadcnt_dscnt 0x101
	v_mul_f32_e32 v22, v1, v10
	v_mul_f32_e32 v10, v2, v10
	;; [unrolled: 1-line block ×4, first 2 shown]
	v_add_f32_e32 v106, v106, v143
	v_fmac_f32_e32 v22, v2, v9
	v_fma_f32 v111, v1, v9, -v10
	v_fmac_f32_e32 v110, v4, v11
	v_fma_f32 v112, v3, v11, -v12
	s_clause 0x1
	scratch_load_b128 v[9:12], off, off offset:296
	scratch_load_b128 v[1:4], off, off offset:280
	v_add_f32_e32 v17, v17, v136
	s_wait_loadcnt_dscnt 0x200
	v_mul_f32_e32 v113, v13, v6
	v_mul_f32_e32 v6, v14, v6
	;; [unrolled: 1-line block ×3, first 2 shown]
	s_delay_alu instid0(VALU_DEP_3) | instskip(SKIP_1) | instid1(VALU_DEP_4)
	v_dual_mul_f32 v8, v16, v8 :: v_dual_fmac_f32 v113, v14, v5
	v_add_f32_e32 v17, v17, v138
	v_fma_f32 v115, v13, v5, -v6
	s_delay_alu instid0(VALU_DEP_4) | instskip(NEXT) | instid1(VALU_DEP_4)
	v_fmac_f32_e32 v114, v16, v7
	v_fma_f32 v116, v15, v7, -v8
	ds_load_2addr_b64 v[5:8], v21 offset0:77 offset1:78
	v_add_f32_e32 v17, v17, v140
	s_delay_alu instid0(VALU_DEP_1) | instskip(SKIP_3) | instid1(VALU_DEP_1)
	v_add_f32_e32 v107, v17, v142
	scratch_load_b128 v[17:20], off, off offset:312
	v_add_f32_e32 v13, v106, v145
	v_add_f32_e32 v107, v107, v144
	v_add_f32_e32 v107, v107, v146
	s_delay_alu instid0(VALU_DEP_1)
	v_dual_add_f32 v106, v107, v148 :: v_dual_add_f32 v107, v13, v147
	ds_load_2addr_b64 v[13:16], v21 offset0:79 offset1:80
	v_dual_add_f32 v117, v106, v150 :: v_dual_add_f32 v120, v107, v149
	ds_load_2addr_b64 v[106:109], v21 offset0:81 offset1:82
	v_add_f32_e32 v21, v117, v152
	s_wait_loadcnt_dscnt 0x201
	v_mul_f32_e32 v121, v15, v12
	s_delay_alu instid0(VALU_DEP_1) | instskip(SKIP_2) | instid1(VALU_DEP_1)
	v_fmac_f32_e32 v121, v16, v11
	s_wait_loadcnt 0x1
	v_dual_add_f32 v117, v120, v151 :: v_dual_mul_f32 v120, v5, v2
	v_dual_mul_f32 v2, v6, v2 :: v_dual_add_f32 v117, v117, v153
	s_delay_alu instid0(VALU_DEP_2) | instskip(SKIP_2) | instid1(VALU_DEP_4)
	v_fmac_f32_e32 v120, v6, v1
	v_mul_f32_e32 v6, v14, v10
	v_add_f32_e32 v21, v21, v154
	v_fma_f32 v2, v5, v1, -v2
	v_add_f32_e32 v22, v117, v22
	v_mul_f32_e32 v117, v13, v10
	s_delay_alu instid0(VALU_DEP_2) | instskip(NEXT) | instid1(VALU_DEP_2)
	v_add_f32_e32 v22, v22, v110
	v_fmac_f32_e32 v117, v14, v9
	s_delay_alu instid0(VALU_DEP_2) | instskip(NEXT) | instid1(VALU_DEP_1)
	v_dual_add_f32 v21, v21, v111 :: v_dual_add_f32 v22, v22, v113
	v_add_f32_e32 v21, v21, v112
	s_delay_alu instid0(VALU_DEP_2) | instskip(NEXT) | instid1(VALU_DEP_2)
	v_add_f32_e32 v5, v22, v114
	v_add_f32_e32 v21, v21, v115
	s_delay_alu instid0(VALU_DEP_1) | instskip(NEXT) | instid1(VALU_DEP_1)
	v_add_f32_e32 v1, v21, v116
	v_add_f32_e32 v1, v1, v2
	s_delay_alu instid0(VALU_DEP_4)
	v_add_f32_e32 v2, v5, v120
	v_fma_f32 v5, v13, v9, -v6
	s_wait_loadcnt_dscnt 0x0
	v_mul_f32_e32 v112, v108, v20
	v_mul_f32_e32 v111, v7, v4
	;; [unrolled: 1-line block ×4, first 2 shown]
	s_delay_alu instid0(VALU_DEP_4) | instskip(NEXT) | instid1(VALU_DEP_4)
	v_fmac_f32_e32 v112, v109, v19
	v_fmac_f32_e32 v111, v8, v3
	s_delay_alu instid0(VALU_DEP_4) | instskip(SKIP_2) | instid1(VALU_DEP_4)
	v_fma_f32 v3, v7, v3, -v4
	v_mul_f32_e32 v4, v16, v12
	v_fmac_f32_e32 v110, v107, v17
	v_add_f32_e32 v2, v2, v111
	s_delay_alu instid0(VALU_DEP_4) | instskip(SKIP_2) | instid1(VALU_DEP_4)
	v_add_f32_e32 v1, v1, v3
	v_mul_f32_e32 v3, v107, v18
	v_fma_f32 v4, v15, v11, -v4
	v_add_f32_e32 v2, v2, v117
	s_delay_alu instid0(VALU_DEP_4) | instskip(SKIP_2) | instid1(VALU_DEP_3)
	v_add_f32_e32 v1, v1, v5
	v_mul_f32_e32 v5, v109, v20
	v_fma_f32 v3, v106, v17, -v3
	v_dual_add_f32 v2, v2, v121 :: v_dual_add_f32 v1, v1, v4
	s_delay_alu instid0(VALU_DEP_3) | instskip(NEXT) | instid1(VALU_DEP_2)
	v_fma_f32 v4, v108, v19, -v5
	v_dual_add_f32 v2, v2, v110 :: v_dual_add_f32 v1, v1, v3
	s_delay_alu instid0(VALU_DEP_1) | instskip(NEXT) | instid1(VALU_DEP_1)
	v_add_f32_e32 v2, v2, v112
	v_dual_add_f32 v1, v1, v4 :: v_dual_sub_f32 v2, v119, v2
	s_delay_alu instid0(VALU_DEP_1)
	v_sub_f32_e32 v1, v118, v1
	scratch_store_b64 off, v[1:2], off offset:16
	v_cmpx_lt_u32_e32 1, v0
	s_cbranch_execz .LBB40_257
; %bb.256:
	scratch_load_b64 v[1:2], off, off offset:8
	v_mov_b32_e32 v3, 0
	s_delay_alu instid0(VALU_DEP_1)
	v_mov_b32_e32 v4, v3
	scratch_store_b64 off, v[3:4], off offset:8
	s_wait_loadcnt 0x0
	ds_store_b64 v23, v[1:2]
.LBB40_257:
	s_wait_alu 0xfffe
	s_or_b32 exec_lo, exec_lo, s0
	s_wait_storecnt_dscnt 0x0
	s_barrier_signal -1
	s_barrier_wait -1
	global_inv scope:SCOPE_SE
	s_clause 0x4
	scratch_load_b128 v[5:8], off, off offset:16
	scratch_load_b128 v[1:4], off, off offset:32
	;; [unrolled: 1-line block ×5, first 2 shown]
	v_mov_b32_e32 v106, 0
	ds_load_b128 v[107:110], v106 offset:352
	ds_load_b128 v[111:114], v106 offset:368
	;; [unrolled: 1-line block ×3, first 2 shown]
	scratch_load_b64 v[21:22], off, off offset:8
	s_mov_b32 s0, exec_lo
	s_wait_loadcnt_dscnt 0x502
	v_mul_f32_e32 v119, v108, v6
	v_dual_mul_f32 v120, v107, v6 :: v_dual_mul_f32 v121, v109, v8
	v_mul_f32_e32 v6, v110, v8
	s_delay_alu instid0(VALU_DEP_3) | instskip(NEXT) | instid1(VALU_DEP_3)
	v_fma_f32 v107, v107, v5, -v119
	v_dual_fmac_f32 v120, v108, v5 :: v_dual_fmac_f32 v121, v110, v7
	s_delay_alu instid0(VALU_DEP_3)
	v_fma_f32 v108, v109, v7, -v6
	ds_load_b128 v[5:8], v106 offset:400
	s_wait_loadcnt_dscnt 0x402
	v_dual_mul_f32 v109, v111, v2 :: v_dual_mul_f32 v110, v113, v4
	s_wait_loadcnt_dscnt 0x301
	v_dual_mul_f32 v119, v115, v10 :: v_dual_mul_f32 v4, v114, v4
	v_mul_f32_e32 v10, v116, v10
	v_mul_f32_e32 v122, v117, v12
	;; [unrolled: 1-line block ×4, first 2 shown]
	v_dual_fmac_f32 v109, v112, v1 :: v_dual_fmac_f32 v110, v114, v3
	v_fma_f32 v112, v113, v3, -v4
	v_fmac_f32_e32 v119, v116, v9
	v_fma_f32 v113, v115, v9, -v10
	v_fmac_f32_e32 v122, v118, v11
	v_fma_f32 v114, v117, v11, -v12
	ds_load_b128 v[9:12], v106 offset:416
	s_wait_loadcnt_dscnt 0x201
	v_mul_f32_e32 v115, v5, v14
	v_mul_f32_e32 v14, v6, v14
	;; [unrolled: 1-line block ×3, first 2 shown]
	s_delay_alu instid0(VALU_DEP_3)
	v_dual_mul_f32 v16, v8, v16 :: v_dual_fmac_f32 v115, v6, v13
	v_fma_f32 v111, v111, v1, -v2
	scratch_load_b128 v[1:4], off, off offset:96
	v_fma_f32 v13, v5, v13, -v14
	v_fmac_f32_e32 v116, v8, v15
	v_fma_f32 v14, v7, v15, -v16
	ds_load_b128 v[5:8], v106 offset:432
	s_wait_loadcnt_dscnt 0x201
	v_mul_f32_e32 v15, v9, v18
	v_mul_f32_e32 v16, v10, v18
	;; [unrolled: 1-line block ×3, first 2 shown]
	s_delay_alu instid0(VALU_DEP_3) | instskip(NEXT) | instid1(VALU_DEP_3)
	v_dual_mul_f32 v20, v12, v20 :: v_dual_fmac_f32 v15, v10, v17
	v_fma_f32 v16, v9, v17, -v16
	s_delay_alu instid0(VALU_DEP_3) | instskip(NEXT) | instid1(VALU_DEP_3)
	v_fmac_f32_e32 v18, v12, v19
	v_fma_f32 v17, v11, v19, -v20
	scratch_load_b128 v[9:12], off, off offset:112
	s_wait_loadcnt_dscnt 0x100
	v_mul_f32_e32 v19, v5, v2
	v_mul_f32_e32 v2, v6, v2
	;; [unrolled: 1-line block ×3, first 2 shown]
	s_delay_alu instid0(VALU_DEP_3) | instskip(NEXT) | instid1(VALU_DEP_3)
	v_dual_mul_f32 v4, v8, v4 :: v_dual_fmac_f32 v19, v6, v1
	v_fma_f32 v117, v5, v1, -v2
	s_delay_alu instid0(VALU_DEP_3) | instskip(NEXT) | instid1(VALU_DEP_3)
	v_fmac_f32_e32 v20, v8, v3
	v_fma_f32 v118, v7, v3, -v4
	ds_load_b128 v[1:4], v106 offset:448
	ds_load_b128 v[5:8], v106 offset:464
	s_wait_loadcnt_dscnt 0x1
	v_mul_f32_e32 v123, v1, v10
	v_mul_f32_e32 v10, v2, v10
	s_delay_alu instid0(VALU_DEP_2) | instskip(NEXT) | instid1(VALU_DEP_2)
	v_dual_mul_f32 v124, v3, v12 :: v_dual_fmac_f32 v123, v2, v9
	v_fma_f32 v125, v1, v9, -v10
	v_mul_f32_e32 v1, v4, v12
	s_delay_alu instid0(VALU_DEP_3) | instskip(NEXT) | instid1(VALU_DEP_2)
	v_fmac_f32_e32 v124, v4, v11
	v_fma_f32 v126, v3, v11, -v1
	s_clause 0x1
	scratch_load_b128 v[1:4], off, off offset:128
	scratch_load_b128 v[9:12], off, off offset:144
	s_wait_loadcnt_dscnt 0x100
	v_mul_f32_e32 v127, v5, v2
	v_dual_mul_f32 v2, v6, v2 :: v_dual_mul_f32 v129, v7, v4
	s_delay_alu instid0(VALU_DEP_2) | instskip(NEXT) | instid1(VALU_DEP_2)
	v_fmac_f32_e32 v127, v6, v1
	v_fma_f32 v128, v5, v1, -v2
	v_mul_f32_e32 v1, v8, v4
	s_delay_alu instid0(VALU_DEP_4) | instskip(NEXT) | instid1(VALU_DEP_2)
	v_fmac_f32_e32 v129, v8, v3
	v_fma_f32 v130, v7, v3, -v1
	ds_load_b128 v[1:4], v106 offset:480
	ds_load_b128 v[5:8], v106 offset:496
	s_wait_loadcnt_dscnt 0x1
	v_mul_f32_e32 v131, v1, v10
	v_mul_f32_e32 v133, v3, v12
	s_delay_alu instid0(VALU_DEP_2) | instskip(NEXT) | instid1(VALU_DEP_2)
	v_fmac_f32_e32 v131, v2, v9
	v_dual_mul_f32 v2, v2, v10 :: v_dual_fmac_f32 v133, v4, v11
	s_delay_alu instid0(VALU_DEP_1) | instskip(SKIP_1) | instid1(VALU_DEP_1)
	v_fma_f32 v132, v1, v9, -v2
	v_mul_f32_e32 v1, v4, v12
	v_fma_f32 v134, v3, v11, -v1
	s_clause 0x1
	scratch_load_b128 v[1:4], off, off offset:160
	scratch_load_b128 v[9:12], off, off offset:176
	s_wait_loadcnt_dscnt 0x100
	v_mul_f32_e32 v135, v5, v2
	v_dual_mul_f32 v137, v7, v4 :: v_dual_mul_f32 v2, v6, v2
	s_delay_alu instid0(VALU_DEP_2) | instskip(NEXT) | instid1(VALU_DEP_2)
	v_fmac_f32_e32 v135, v6, v1
	v_fmac_f32_e32 v137, v8, v3
	s_delay_alu instid0(VALU_DEP_3) | instskip(SKIP_1) | instid1(VALU_DEP_1)
	v_fma_f32 v136, v5, v1, -v2
	v_mul_f32_e32 v1, v8, v4
	v_fma_f32 v138, v7, v3, -v1
	ds_load_b128 v[1:4], v106 offset:512
	ds_load_b128 v[5:8], v106 offset:528
	s_wait_loadcnt_dscnt 0x1
	v_mul_f32_e32 v139, v1, v10
	v_mul_f32_e32 v141, v3, v12
	s_delay_alu instid0(VALU_DEP_2) | instskip(NEXT) | instid1(VALU_DEP_2)
	v_fmac_f32_e32 v139, v2, v9
	v_dual_mul_f32 v2, v2, v10 :: v_dual_fmac_f32 v141, v4, v11
	s_delay_alu instid0(VALU_DEP_1) | instskip(SKIP_1) | instid1(VALU_DEP_1)
	v_fma_f32 v140, v1, v9, -v2
	v_mul_f32_e32 v1, v4, v12
	v_fma_f32 v142, v3, v11, -v1
	s_clause 0x1
	scratch_load_b128 v[1:4], off, off offset:192
	scratch_load_b128 v[9:12], off, off offset:208
	s_wait_loadcnt_dscnt 0x100
	v_mul_f32_e32 v143, v5, v2
	v_dual_mul_f32 v2, v6, v2 :: v_dual_mul_f32 v145, v7, v4
	s_delay_alu instid0(VALU_DEP_2) | instskip(NEXT) | instid1(VALU_DEP_2)
	v_fmac_f32_e32 v143, v6, v1
	v_fma_f32 v144, v5, v1, -v2
	v_mul_f32_e32 v1, v8, v4
	s_delay_alu instid0(VALU_DEP_4) | instskip(NEXT) | instid1(VALU_DEP_2)
	v_fmac_f32_e32 v145, v8, v3
	v_fma_f32 v146, v7, v3, -v1
	ds_load_b128 v[1:4], v106 offset:544
	ds_load_b128 v[5:8], v106 offset:560
	s_wait_loadcnt_dscnt 0x1
	v_mul_f32_e32 v147, v1, v10
	v_mul_f32_e32 v149, v3, v12
	s_delay_alu instid0(VALU_DEP_2) | instskip(NEXT) | instid1(VALU_DEP_2)
	v_fmac_f32_e32 v147, v2, v9
	v_dual_mul_f32 v2, v2, v10 :: v_dual_fmac_f32 v149, v4, v11
	s_delay_alu instid0(VALU_DEP_1) | instskip(SKIP_1) | instid1(VALU_DEP_1)
	v_fma_f32 v148, v1, v9, -v2
	v_mul_f32_e32 v1, v4, v12
	v_fma_f32 v150, v3, v11, -v1
	s_clause 0x1
	scratch_load_b128 v[1:4], off, off offset:224
	scratch_load_b128 v[9:12], off, off offset:240
	s_wait_loadcnt_dscnt 0x100
	v_mul_f32_e32 v151, v5, v2
	v_mul_f32_e32 v2, v6, v2
	s_delay_alu instid0(VALU_DEP_1) | instskip(SKIP_1) | instid1(VALU_DEP_1)
	v_fma_f32 v152, v5, v1, -v2
	v_add_f32_e32 v2, 0, v120
	v_add_f32_e32 v2, v2, v121
	s_delay_alu instid0(VALU_DEP_1) | instskip(NEXT) | instid1(VALU_DEP_1)
	v_add_f32_e32 v2, v2, v109
	v_add_f32_e32 v2, v2, v110
	s_delay_alu instid0(VALU_DEP_1) | instskip(NEXT) | instid1(VALU_DEP_1)
	;; [unrolled: 3-line block ×4, first 2 shown]
	v_dual_add_f32 v2, v2, v15 :: v_dual_mul_f32 v153, v7, v4
	v_add_f32_e32 v2, v2, v18
	s_delay_alu instid0(VALU_DEP_1) | instskip(SKIP_1) | instid1(VALU_DEP_2)
	v_add_f32_e32 v2, v2, v19
	v_fmac_f32_e32 v151, v6, v1
	v_dual_fmac_f32 v153, v8, v3 :: v_dual_add_f32 v2, v2, v20
	s_delay_alu instid0(VALU_DEP_1) | instskip(NEXT) | instid1(VALU_DEP_1)
	v_dual_mul_f32 v1, v8, v4 :: v_dual_add_f32 v2, v2, v123
	v_fma_f32 v154, v7, v3, -v1
	v_add_f32_e32 v1, 0, v107
	s_delay_alu instid0(VALU_DEP_3) | instskip(NEXT) | instid1(VALU_DEP_2)
	v_add_f32_e32 v5, v2, v124
	v_add_f32_e32 v1, v1, v108
	s_delay_alu instid0(VALU_DEP_1) | instskip(NEXT) | instid1(VALU_DEP_1)
	v_add_f32_e32 v1, v1, v111
	v_add_f32_e32 v1, v1, v112
	scratch_load_b64 v[111:112], off, off offset:320
	v_add_f32_e32 v1, v1, v113
	s_delay_alu instid0(VALU_DEP_1) | instskip(NEXT) | instid1(VALU_DEP_1)
	v_add_f32_e32 v1, v1, v114
	v_add_f32_e32 v1, v1, v13
	;; [unrolled: 1-line block ×3, first 2 shown]
	s_delay_alu instid0(VALU_DEP_2) | instskip(NEXT) | instid1(VALU_DEP_2)
	v_add_f32_e32 v1, v1, v14
	v_add_f32_e32 v13, v13, v129
	s_delay_alu instid0(VALU_DEP_2) | instskip(NEXT) | instid1(VALU_DEP_2)
	v_add_f32_e32 v1, v1, v16
	v_add_f32_e32 v13, v13, v131
	s_delay_alu instid0(VALU_DEP_2) | instskip(NEXT) | instid1(VALU_DEP_2)
	v_add_f32_e32 v1, v1, v17
	v_add_f32_e32 v18, v13, v133
	s_delay_alu instid0(VALU_DEP_1) | instskip(NEXT) | instid1(VALU_DEP_1)
	v_dual_add_f32 v1, v1, v117 :: v_dual_add_f32 v18, v18, v135
	v_dual_add_f32 v1, v1, v118 :: v_dual_add_f32 v18, v18, v137
	s_delay_alu instid0(VALU_DEP_1) | instskip(NEXT) | instid1(VALU_DEP_1)
	v_add_f32_e32 v1, v1, v125
	v_add_f32_e32 v1, v1, v126
	s_delay_alu instid0(VALU_DEP_1) | instskip(SKIP_4) | instid1(VALU_DEP_1)
	v_add_f32_e32 v6, v1, v128
	scratch_load_b128 v[1:4], off, off offset:256
	v_add_f32_e32 v14, v6, v130
	ds_load_b128 v[5:8], v106 offset:576
	v_add_f32_e32 v14, v14, v132
	v_add_f32_e32 v17, v14, v134
	ds_load_b128 v[13:16], v106 offset:592
	s_wait_loadcnt_dscnt 0x201
	v_mul_f32_e32 v115, v5, v10
	v_mul_f32_e32 v10, v6, v10
	;; [unrolled: 1-line block ×3, first 2 shown]
	s_delay_alu instid0(VALU_DEP_3) | instskip(NEXT) | instid1(VALU_DEP_3)
	v_dual_mul_f32 v12, v8, v12 :: v_dual_fmac_f32 v115, v6, v9
	v_fma_f32 v117, v5, v9, -v10
	s_delay_alu instid0(VALU_DEP_3) | instskip(NEXT) | instid1(VALU_DEP_3)
	v_fmac_f32_e32 v116, v8, v11
	v_fma_f32 v118, v7, v11, -v12
	scratch_load_b128 v[9:12], off, off offset:288
	v_add_f32_e32 v107, v18, v139
	scratch_load_b128 v[5:8], off, off offset:272
	v_add_f32_e32 v107, v107, v141
	s_delay_alu instid0(VALU_DEP_1) | instskip(NEXT) | instid1(VALU_DEP_1)
	v_add_f32_e32 v107, v107, v143
	v_add_f32_e32 v107, v107, v145
	s_wait_loadcnt_dscnt 0x200
	v_mul_f32_e32 v119, v13, v2
	v_mul_f32_e32 v2, v14, v2
	;; [unrolled: 1-line block ×3, first 2 shown]
	s_delay_alu instid0(VALU_DEP_3) | instskip(NEXT) | instid1(VALU_DEP_3)
	v_dual_mul_f32 v4, v16, v4 :: v_dual_fmac_f32 v119, v14, v1
	v_fma_f32 v121, v13, v1, -v2
	v_add_f32_e32 v13, v107, v147
	s_delay_alu instid0(VALU_DEP_4) | instskip(NEXT) | instid1(VALU_DEP_4)
	v_fmac_f32_e32 v120, v16, v3
	v_fma_f32 v122, v15, v3, -v4
	ds_load_b128 v[1:4], v106 offset:608
	v_add_f32_e32 v17, v17, v136
	v_add_f32_e32 v107, v13, v149
	s_delay_alu instid0(VALU_DEP_1) | instskip(NEXT) | instid1(VALU_DEP_1)
	v_add_f32_e32 v114, v107, v151
	v_add_f32_e32 v124, v114, v153
	s_delay_alu instid0(VALU_DEP_1) | instskip(NEXT) | instid1(VALU_DEP_1)
	;; [unrolled: 3-line block ×3, first 2 shown]
	v_add_f32_e32 v115, v115, v119
	v_add_f32_e32 v115, v115, v120
	;; [unrolled: 1-line block ×3, first 2 shown]
	s_delay_alu instid0(VALU_DEP_1) | instskip(NEXT) | instid1(VALU_DEP_1)
	v_add_f32_e32 v17, v17, v140
	v_add_f32_e32 v108, v17, v142
	scratch_load_b128 v[17:20], off, off offset:304
	v_add_f32_e32 v108, v108, v144
	s_delay_alu instid0(VALU_DEP_1) | instskip(NEXT) | instid1(VALU_DEP_1)
	v_add_f32_e32 v108, v108, v146
	v_add_f32_e32 v108, v108, v148
	s_delay_alu instid0(VALU_DEP_1)
	v_add_f32_e32 v14, v108, v150
	ds_load_b128 v[107:110], v106 offset:640
	v_add_f32_e32 v113, v14, v152
	ds_load_b128 v[13:16], v106 offset:624
	s_wait_loadcnt_dscnt 0x102
	v_mul_f32_e32 v116, v3, v8
	v_dual_mul_f32 v8, v4, v8 :: v_dual_add_f32 v123, v113, v154
	ds_load_b64 v[113:114], v106 offset:656
	s_wait_dscnt 0x1
	v_dual_fmac_f32 v116, v4, v7 :: v_dual_mul_f32 v119, v15, v12
	s_wait_dscnt 0x0
	v_dual_mul_f32 v120, v113, v112 :: v_dual_add_f32 v117, v123, v117
	s_delay_alu instid0(VALU_DEP_2) | instskip(NEXT) | instid1(VALU_DEP_2)
	v_fmac_f32_e32 v119, v16, v11
	v_dual_fmac_f32 v120, v114, v111 :: v_dual_add_f32 v117, v117, v118
	v_mul_f32_e32 v123, v1, v6
	v_mul_f32_e32 v6, v2, v6
	;; [unrolled: 1-line block ×3, first 2 shown]
	s_delay_alu instid0(VALU_DEP_4) | instskip(NEXT) | instid1(VALU_DEP_4)
	v_add_f32_e32 v117, v117, v121
	v_fmac_f32_e32 v123, v2, v5
	s_delay_alu instid0(VALU_DEP_4) | instskip(SKIP_2) | instid1(VALU_DEP_4)
	v_fma_f32 v1, v1, v5, -v6
	v_fma_f32 v2, v3, v7, -v8
	v_mul_f32_e32 v3, v14, v10
	v_dual_add_f32 v117, v117, v122 :: v_dual_add_f32 v4, v115, v123
	v_dual_mul_f32 v5, v16, v12 :: v_dual_fmac_f32 v118, v14, v9
	s_delay_alu instid0(VALU_DEP_3) | instskip(NEXT) | instid1(VALU_DEP_3)
	v_fma_f32 v3, v13, v9, -v3
	v_add_f32_e32 v1, v117, v1
	s_delay_alu instid0(VALU_DEP_3) | instskip(NEXT) | instid1(VALU_DEP_2)
	v_fma_f32 v5, v15, v11, -v5
	v_dual_add_f32 v1, v1, v2 :: v_dual_add_f32 v2, v4, v116
	s_delay_alu instid0(VALU_DEP_1) | instskip(NEXT) | instid1(VALU_DEP_1)
	v_dual_add_f32 v1, v1, v3 :: v_dual_add_f32 v2, v2, v118
	v_dual_add_f32 v1, v1, v5 :: v_dual_add_f32 v2, v2, v119
	v_mul_f32_e32 v5, v114, v112
	s_wait_loadcnt 0x0
	v_mul_f32_e32 v121, v107, v18
	v_mul_f32_e32 v4, v108, v18
	;; [unrolled: 1-line block ×4, first 2 shown]
	s_delay_alu instid0(VALU_DEP_4) | instskip(NEXT) | instid1(VALU_DEP_4)
	v_fmac_f32_e32 v121, v108, v17
	v_fma_f32 v4, v107, v17, -v4
	s_delay_alu instid0(VALU_DEP_4) | instskip(NEXT) | instid1(VALU_DEP_4)
	v_fmac_f32_e32 v122, v110, v19
	v_fma_f32 v3, v109, v19, -v3
	s_delay_alu instid0(VALU_DEP_3) | instskip(SKIP_1) | instid1(VALU_DEP_2)
	v_dual_add_f32 v2, v2, v121 :: v_dual_add_f32 v1, v1, v4
	v_fma_f32 v4, v113, v111, -v5
	v_dual_add_f32 v2, v2, v122 :: v_dual_add_f32 v1, v1, v3
	s_delay_alu instid0(VALU_DEP_1) | instskip(NEXT) | instid1(VALU_DEP_1)
	v_add_f32_e32 v2, v2, v120
	v_dual_add_f32 v1, v1, v4 :: v_dual_sub_f32 v2, v22, v2
	s_delay_alu instid0(VALU_DEP_1)
	v_sub_f32_e32 v1, v21, v1
	scratch_store_b64 off, v[1:2], off offset:8
	v_cmpx_ne_u32_e32 0, v0
	s_cbranch_execz .LBB40_259
; %bb.258:
	scratch_load_b64 v[0:1], off, off
	v_mov_b32_e32 v107, v106
	scratch_store_b64 off, v[106:107], off
	s_wait_loadcnt 0x0
	ds_store_b64 v23, v[0:1]
.LBB40_259:
	s_wait_alu 0xfffe
	s_or_b32 exec_lo, exec_lo, s0
	s_wait_storecnt_dscnt 0x0
	s_barrier_signal -1
	s_barrier_wait -1
	global_inv scope:SCOPE_SE
	s_clause 0x6
	scratch_load_b128 v[0:3], off, off offset:8
	scratch_load_b128 v[4:7], off, off offset:24
	;; [unrolled: 1-line block ×7, first 2 shown]
	ds_load_2addr_b64 v[111:114], v106 offset0:43 offset1:44
	ds_load_2addr_b64 v[115:118], v106 offset0:45 offset1:46
	scratch_load_b64 v[119:120], off, off
	s_and_b32 vcc_lo, exec_lo, s18
	s_wait_loadcnt_dscnt 0x701
	v_mul_f32_e32 v121, v112, v1
	v_dual_mul_f32 v122, v111, v1 :: v_dual_mul_f32 v123, v113, v3
	s_delay_alu instid0(VALU_DEP_1) | instskip(NEXT) | instid1(VALU_DEP_2)
	v_dual_mul_f32 v1, v114, v3 :: v_dual_fmac_f32 v122, v112, v0
	v_fmac_f32_e32 v123, v114, v2
	s_delay_alu instid0(VALU_DEP_2)
	v_fma_f32 v112, v113, v2, -v1
	s_wait_loadcnt_dscnt 0x600
	v_mul_f32_e32 v114, v117, v7
	v_fma_f32 v111, v111, v0, -v121
	ds_load_2addr_b64 v[0:3], v106 offset0:47 offset1:48
	v_mul_f32_e32 v113, v115, v5
	v_mul_f32_e32 v5, v116, v5
	;; [unrolled: 1-line block ×3, first 2 shown]
	s_delay_alu instid0(VALU_DEP_3) | instskip(NEXT) | instid1(VALU_DEP_3)
	v_dual_fmac_f32 v114, v118, v6 :: v_dual_fmac_f32 v113, v116, v4
	v_fma_f32 v115, v115, v4, -v5
	s_delay_alu instid0(VALU_DEP_3)
	v_fma_f32 v116, v117, v6, -v7
	ds_load_2addr_b64 v[4:7], v106 offset0:49 offset1:50
	s_wait_loadcnt_dscnt 0x501
	v_mul_f32_e32 v117, v0, v9
	v_dual_mul_f32 v9, v1, v9 :: v_dual_mul_f32 v118, v2, v11
	v_mul_f32_e32 v11, v3, v11
	s_delay_alu instid0(VALU_DEP_3) | instskip(NEXT) | instid1(VALU_DEP_3)
	v_fmac_f32_e32 v117, v1, v8
	v_fma_f32 v121, v0, v8, -v9
	s_delay_alu instid0(VALU_DEP_4) | instskip(NEXT) | instid1(VALU_DEP_4)
	v_fmac_f32_e32 v118, v3, v10
	v_fma_f32 v124, v2, v10, -v11
	ds_load_2addr_b64 v[0:3], v106 offset0:51 offset1:52
	s_wait_loadcnt_dscnt 0x401
	v_mul_f32_e32 v125, v4, v13
	v_dual_mul_f32 v8, v5, v13 :: v_dual_mul_f32 v13, v6, v15
	v_mul_f32_e32 v9, v7, v15
	s_delay_alu instid0(VALU_DEP_3) | instskip(NEXT) | instid1(VALU_DEP_3)
	v_fmac_f32_e32 v125, v5, v12
	v_fma_f32 v12, v4, v12, -v8
	s_delay_alu instid0(VALU_DEP_4) | instskip(NEXT) | instid1(VALU_DEP_4)
	v_fmac_f32_e32 v13, v7, v14
	;; [unrolled: 11-line block ×4, first 2 shown]
	v_fma_f32 v22, v6, v22, -v9
	ds_load_2addr_b64 v[4:7], v106 offset0:57 offset1:58
	s_wait_loadcnt_dscnt 0x101
	v_mul_f32_e32 v23, v0, v108
	v_mul_f32_e32 v8, v1, v108
	;; [unrolled: 1-line block ×4, first 2 shown]
	s_delay_alu instid0(VALU_DEP_4) | instskip(NEXT) | instid1(VALU_DEP_4)
	v_fmac_f32_e32 v23, v1, v107
	v_fma_f32 v107, v0, v107, -v8
	s_delay_alu instid0(VALU_DEP_4) | instskip(NEXT) | instid1(VALU_DEP_4)
	v_fmac_f32_e32 v108, v3, v109
	v_fma_f32 v109, v2, v109, -v9
	s_clause 0x1
	scratch_load_b128 v[0:3], off, off offset:120
	scratch_load_b128 v[8:11], off, off offset:136
	s_wait_loadcnt_dscnt 0x100
	v_mul_f32_e32 v110, v4, v1
	v_mul_f32_e32 v1, v5, v1
	s_delay_alu instid0(VALU_DEP_2) | instskip(NEXT) | instid1(VALU_DEP_2)
	v_dual_mul_f32 v127, v6, v3 :: v_dual_fmac_f32 v110, v5, v0
	v_fma_f32 v126, v4, v0, -v1
	v_mul_f32_e32 v0, v7, v3
	s_delay_alu instid0(VALU_DEP_3) | instskip(NEXT) | instid1(VALU_DEP_2)
	v_fmac_f32_e32 v127, v7, v2
	v_fma_f32 v128, v6, v2, -v0
	ds_load_2addr_b64 v[0:3], v106 offset0:59 offset1:60
	ds_load_2addr_b64 v[4:7], v106 offset0:61 offset1:62
	s_wait_loadcnt_dscnt 0x1
	v_mul_f32_e32 v129, v0, v9
	v_mul_f32_e32 v131, v2, v11
	s_delay_alu instid0(VALU_DEP_2) | instskip(SKIP_1) | instid1(VALU_DEP_3)
	v_fmac_f32_e32 v129, v1, v8
	v_mul_f32_e32 v1, v1, v9
	v_fmac_f32_e32 v131, v3, v10
	s_delay_alu instid0(VALU_DEP_2) | instskip(SKIP_1) | instid1(VALU_DEP_1)
	v_fma_f32 v130, v0, v8, -v1
	v_mul_f32_e32 v0, v3, v11
	v_fma_f32 v132, v2, v10, -v0
	s_clause 0x1
	scratch_load_b128 v[0:3], off, off offset:152
	scratch_load_b128 v[8:11], off, off offset:168
	s_wait_loadcnt_dscnt 0x100
	v_mul_f32_e32 v133, v4, v1
	v_mul_f32_e32 v1, v5, v1
	;; [unrolled: 1-line block ×3, first 2 shown]
	s_delay_alu instid0(VALU_DEP_3) | instskip(NEXT) | instid1(VALU_DEP_3)
	v_fmac_f32_e32 v133, v5, v0
	v_fma_f32 v134, v4, v0, -v1
	v_mul_f32_e32 v0, v7, v3
	s_delay_alu instid0(VALU_DEP_4) | instskip(NEXT) | instid1(VALU_DEP_2)
	v_fmac_f32_e32 v135, v7, v2
	v_fma_f32 v136, v6, v2, -v0
	ds_load_2addr_b64 v[0:3], v106 offset0:63 offset1:64
	ds_load_2addr_b64 v[4:7], v106 offset0:65 offset1:66
	s_wait_loadcnt_dscnt 0x1
	v_mul_f32_e32 v137, v0, v9
	s_delay_alu instid0(VALU_DEP_1) | instskip(SKIP_2) | instid1(VALU_DEP_2)
	v_fmac_f32_e32 v137, v1, v8
	v_mul_f32_e32 v1, v1, v9
	v_mul_f32_e32 v139, v2, v11
	v_fma_f32 v138, v0, v8, -v1
	v_mul_f32_e32 v0, v3, v11
	s_delay_alu instid0(VALU_DEP_3) | instskip(NEXT) | instid1(VALU_DEP_2)
	v_fmac_f32_e32 v139, v3, v10
	v_fma_f32 v140, v2, v10, -v0
	s_clause 0x1
	scratch_load_b128 v[0:3], off, off offset:184
	scratch_load_b128 v[8:11], off, off offset:200
	s_wait_loadcnt_dscnt 0x100
	v_mul_f32_e32 v141, v4, v1
	v_mul_f32_e32 v1, v5, v1
	;; [unrolled: 1-line block ×3, first 2 shown]
	s_delay_alu instid0(VALU_DEP_3) | instskip(NEXT) | instid1(VALU_DEP_3)
	v_fmac_f32_e32 v141, v5, v0
	v_fma_f32 v142, v4, v0, -v1
	v_mul_f32_e32 v0, v7, v3
	s_delay_alu instid0(VALU_DEP_4) | instskip(NEXT) | instid1(VALU_DEP_2)
	v_fmac_f32_e32 v143, v7, v2
	v_fma_f32 v144, v6, v2, -v0
	ds_load_2addr_b64 v[0:3], v106 offset0:67 offset1:68
	ds_load_2addr_b64 v[4:7], v106 offset0:69 offset1:70
	s_wait_loadcnt_dscnt 0x1
	v_mul_f32_e32 v145, v0, v9
	v_mul_f32_e32 v147, v2, v11
	s_delay_alu instid0(VALU_DEP_2) | instskip(SKIP_1) | instid1(VALU_DEP_3)
	v_fmac_f32_e32 v145, v1, v8
	v_mul_f32_e32 v1, v1, v9
	v_fmac_f32_e32 v147, v3, v10
	s_delay_alu instid0(VALU_DEP_2) | instskip(SKIP_1) | instid1(VALU_DEP_1)
	v_fma_f32 v146, v0, v8, -v1
	v_mul_f32_e32 v0, v3, v11
	v_fma_f32 v148, v2, v10, -v0
	s_clause 0x1
	scratch_load_b128 v[0:3], off, off offset:216
	scratch_load_b128 v[8:11], off, off offset:232
	s_wait_loadcnt_dscnt 0x100
	v_mul_f32_e32 v149, v4, v1
	v_mul_f32_e32 v1, v5, v1
	;; [unrolled: 1-line block ×3, first 2 shown]
	s_delay_alu instid0(VALU_DEP_3) | instskip(NEXT) | instid1(VALU_DEP_3)
	v_fmac_f32_e32 v149, v5, v0
	v_fma_f32 v150, v4, v0, -v1
	v_dual_mul_f32 v0, v7, v3 :: v_dual_add_f32 v1, 0, v122
	s_delay_alu instid0(VALU_DEP_4) | instskip(NEXT) | instid1(VALU_DEP_2)
	v_fmac_f32_e32 v151, v7, v2
	v_fma_f32 v152, v6, v2, -v0
	v_add_f32_e32 v0, 0, v111
	s_delay_alu instid0(VALU_DEP_1) | instskip(NEXT) | instid1(VALU_DEP_1)
	v_dual_add_f32 v1, v1, v123 :: v_dual_add_f32 v0, v0, v112
	v_dual_add_f32 v1, v1, v113 :: v_dual_add_f32 v0, v0, v115
	s_delay_alu instid0(VALU_DEP_1) | instskip(NEXT) | instid1(VALU_DEP_1)
	v_dual_add_f32 v1, v1, v114 :: v_dual_add_f32 v0, v0, v116
	v_add_f32_e32 v1, v1, v117
	s_delay_alu instid0(VALU_DEP_1) | instskip(NEXT) | instid1(VALU_DEP_1)
	v_dual_add_f32 v0, v0, v121 :: v_dual_add_f32 v1, v1, v118
	v_dual_add_f32 v0, v0, v124 :: v_dual_add_f32 v1, v1, v125
	s_delay_alu instid0(VALU_DEP_1) | instskip(NEXT) | instid1(VALU_DEP_1)
	v_dual_add_f32 v0, v0, v12 :: v_dual_add_f32 v1, v1, v13
	v_dual_add_f32 v0, v0, v14 :: v_dual_add_f32 v1, v1, v15
	;; [unrolled: 3-line block ×5, first 2 shown]
	ds_load_2addr_b64 v[0:3], v106 offset0:71 offset1:72
	v_add_f32_e32 v12, v4, v126
	scratch_load_b128 v[4:7], off, off offset:248
	v_dual_add_f32 v13, v13, v127 :: v_dual_add_f32 v12, v12, v128
	s_delay_alu instid0(VALU_DEP_1) | instskip(NEXT) | instid1(VALU_DEP_2)
	v_add_f32_e32 v16, v13, v129
	v_add_f32_e32 v12, v12, v130
	s_delay_alu instid0(VALU_DEP_2) | instskip(NEXT) | instid1(VALU_DEP_2)
	v_add_f32_e32 v16, v16, v131
	v_add_f32_e32 v17, v12, v132
	ds_load_2addr_b64 v[12:15], v106 offset0:73 offset1:74
	s_wait_loadcnt_dscnt 0x101
	v_mul_f32_e32 v115, v0, v9
	v_dual_mul_f32 v9, v1, v9 :: v_dual_mul_f32 v116, v2, v11
	v_mul_f32_e32 v11, v3, v11
	v_add_f32_e32 v17, v17, v134
	s_delay_alu instid0(VALU_DEP_4) | instskip(NEXT) | instid1(VALU_DEP_4)
	v_fmac_f32_e32 v115, v1, v8
	v_fma_f32 v111, v0, v8, -v9
	v_fmac_f32_e32 v116, v3, v10
	v_fma_f32 v117, v2, v10, -v11
	scratch_load_b128 v[0:3], off, off offset:264
	v_dual_add_f32 v16, v16, v133 :: v_dual_add_f32 v17, v17, v136
	scratch_load_b128 v[8:11], off, off offset:280
	v_dual_add_f32 v16, v16, v135 :: v_dual_add_f32 v17, v17, v138
	s_delay_alu instid0(VALU_DEP_1) | instskip(NEXT) | instid1(VALU_DEP_1)
	v_add_f32_e32 v16, v16, v137
	v_dual_add_f32 v20, v17, v140 :: v_dual_add_f32 v21, v16, v139
	scratch_load_b128 v[16:19], off, off offset:296
	v_add_f32_e32 v107, v20, v142
	s_delay_alu instid0(VALU_DEP_1) | instskip(SKIP_1) | instid1(VALU_DEP_1)
	v_add_f32_e32 v107, v107, v144
	s_wait_loadcnt_dscnt 0x300
	v_dual_add_f32 v107, v107, v146 :: v_dual_mul_f32 v118, v12, v5
	v_add_f32_e32 v108, v21, v141
	scratch_load_b128 v[20:23], off, off offset:312
	v_mul_f32_e32 v5, v13, v5
	v_mul_f32_e32 v121, v14, v7
	;; [unrolled: 1-line block ×3, first 2 shown]
	v_add_f32_e32 v108, v108, v143
	v_fmac_f32_e32 v118, v13, v4
	v_fma_f32 v122, v12, v4, -v5
	v_add_f32_e32 v12, v107, v148
	s_delay_alu instid0(VALU_DEP_4)
	v_dual_fmac_f32 v121, v15, v6 :: v_dual_add_f32 v108, v108, v145
	v_fma_f32 v123, v14, v6, -v7
	ds_load_2addr_b64 v[4:7], v106 offset0:75 offset1:76
	v_add_f32_e32 v107, v108, v147
	v_add_f32_e32 v108, v12, v150
	ds_load_2addr_b64 v[12:15], v106 offset0:77 offset1:78
	v_dual_add_f32 v107, v107, v149 :: v_dual_add_f32 v112, v108, v152
	s_delay_alu instid0(VALU_DEP_1)
	v_add_f32_e32 v124, v107, v151
	ds_load_2addr_b64 v[107:110], v106 offset0:79 offset1:80
	v_add_f32_e32 v125, v112, v111
	ds_load_2addr_b64 v[111:114], v106 offset0:81 offset1:82
	v_dual_add_f32 v106, v124, v115 :: v_dual_add_f32 v117, v125, v117
	s_wait_loadcnt_dscnt 0x303
	v_mul_f32_e32 v115, v4, v1
	s_delay_alu instid0(VALU_DEP_2) | instskip(SKIP_2) | instid1(VALU_DEP_3)
	v_dual_mul_f32 v1, v5, v1 :: v_dual_add_f32 v106, v106, v116
	v_mul_f32_e32 v124, v6, v3
	v_dual_add_f32 v116, v117, v122 :: v_dual_mul_f32 v3, v7, v3
	v_dual_fmac_f32 v115, v5, v0 :: v_dual_add_f32 v106, v106, v118
	s_delay_alu instid0(VALU_DEP_4) | instskip(NEXT) | instid1(VALU_DEP_3)
	v_fma_f32 v0, v4, v0, -v1
	v_add_f32_e32 v4, v116, v123
	s_wait_loadcnt_dscnt 0x202
	v_dual_mul_f32 v117, v12, v9 :: v_dual_fmac_f32 v124, v7, v2
	v_add_f32_e32 v5, v106, v121
	v_fma_f32 v1, v6, v2, -v3
	v_dual_mul_f32 v7, v13, v9 :: v_dual_add_f32 v0, v4, v0
	v_mul_f32_e32 v118, v14, v11
	s_delay_alu instid0(VALU_DEP_4)
	v_add_f32_e32 v4, v5, v115
	v_mul_f32_e32 v5, v15, v11
	v_fmac_f32_e32 v117, v13, v8
	v_fma_f32 v7, v12, v8, -v7
	v_add_f32_e32 v0, v0, v1
	s_wait_loadcnt_dscnt 0x101
	v_dual_add_f32 v1, v4, v124 :: v_dual_mul_f32 v2, v107, v17
	v_mul_f32_e32 v4, v108, v17
	v_fmac_f32_e32 v118, v15, v10
	v_fma_f32 v5, v14, v10, -v5
	s_delay_alu instid0(VALU_DEP_4) | instskip(SKIP_3) | instid1(VALU_DEP_4)
	v_dual_add_f32 v0, v0, v7 :: v_dual_add_f32 v1, v1, v117
	v_mul_f32_e32 v3, v109, v19
	v_dual_mul_f32 v7, v110, v19 :: v_dual_fmac_f32 v2, v108, v16
	v_fma_f32 v4, v107, v16, -v4
	v_dual_add_f32 v0, v0, v5 :: v_dual_add_f32 v1, v1, v118
	s_delay_alu instid0(VALU_DEP_4) | instskip(NEXT) | instid1(VALU_DEP_4)
	v_fmac_f32_e32 v3, v110, v18
	v_fma_f32 v7, v109, v18, -v7
	s_delay_alu instid0(VALU_DEP_3) | instskip(NEXT) | instid1(VALU_DEP_1)
	v_dual_add_f32 v0, v0, v4 :: v_dual_add_f32 v1, v1, v2
	v_add_f32_e32 v0, v0, v7
	s_wait_loadcnt_dscnt 0x0
	s_delay_alu instid0(VALU_DEP_2) | instskip(SKIP_3) | instid1(VALU_DEP_4)
	v_dual_add_f32 v1, v1, v3 :: v_dual_mul_f32 v6, v111, v21
	v_mul_f32_e32 v5, v112, v21
	v_mul_f32_e32 v9, v113, v23
	;; [unrolled: 1-line block ×3, first 2 shown]
	v_fmac_f32_e32 v6, v112, v20
	s_delay_alu instid0(VALU_DEP_4) | instskip(NEXT) | instid1(VALU_DEP_4)
	v_fma_f32 v4, v111, v20, -v5
	v_fmac_f32_e32 v9, v114, v22
	s_delay_alu instid0(VALU_DEP_4) | instskip(NEXT) | instid1(VALU_DEP_3)
	v_fma_f32 v2, v113, v22, -v2
	v_dual_add_f32 v1, v1, v6 :: v_dual_add_f32 v0, v0, v4
	s_delay_alu instid0(VALU_DEP_1) | instskip(NEXT) | instid1(VALU_DEP_1)
	v_dual_add_f32 v1, v1, v9 :: v_dual_add_f32 v0, v0, v2
	v_dual_sub_f32 v1, v120, v1 :: v_dual_sub_f32 v0, v119, v0
	scratch_store_b64 off, v[0:1], off
	s_wait_alu 0xfffe
	s_cbranch_vccz .LBB40_340
; %bb.260:
	v_mov_b32_e32 v0, 0
	global_load_b32 v1, v0, s[2:3] offset:156
	s_wait_loadcnt 0x0
	v_cmp_ne_u32_e32 vcc_lo, 40, v1
	s_cbranch_vccz .LBB40_262
; %bb.261:
	v_lshlrev_b32_e32 v1, 3, v1
	s_delay_alu instid0(VALU_DEP_1)
	v_mov_b32_e32 v5, v1
	scratch_load_b64 v[1:2], v5, off offset:-8
	scratch_load_b64 v[3:4], off, off offset:312
	s_wait_loadcnt 0x1
	scratch_store_b64 off, v[1:2], off offset:312
	s_wait_loadcnt 0x0
	scratch_store_b64 v5, v[3:4], off offset:-8
.LBB40_262:
	global_load_b32 v0, v0, s[2:3] offset:152
	s_wait_loadcnt 0x0
	v_cmp_eq_u32_e32 vcc_lo, 39, v0
	s_cbranch_vccnz .LBB40_264
; %bb.263:
	v_lshlrev_b32_e32 v0, 3, v0
	s_delay_alu instid0(VALU_DEP_1)
	v_mov_b32_e32 v4, v0
	scratch_load_b64 v[0:1], v4, off offset:-8
	scratch_load_b64 v[2:3], off, off offset:304
	s_wait_loadcnt 0x1
	scratch_store_b64 off, v[0:1], off offset:304
	s_wait_loadcnt 0x0
	scratch_store_b64 v4, v[2:3], off offset:-8
.LBB40_264:
	v_mov_b32_e32 v0, 0
	global_load_b32 v1, v0, s[2:3] offset:148
	s_wait_loadcnt 0x0
	v_cmp_eq_u32_e32 vcc_lo, 38, v1
	s_cbranch_vccnz .LBB40_266
; %bb.265:
	v_lshlrev_b32_e32 v1, 3, v1
	s_delay_alu instid0(VALU_DEP_1)
	v_mov_b32_e32 v5, v1
	scratch_load_b64 v[1:2], v5, off offset:-8
	scratch_load_b64 v[3:4], off, off offset:296
	s_wait_loadcnt 0x1
	scratch_store_b64 off, v[1:2], off offset:296
	s_wait_loadcnt 0x0
	scratch_store_b64 v5, v[3:4], off offset:-8
.LBB40_266:
	global_load_b32 v0, v0, s[2:3] offset:144
	s_wait_loadcnt 0x0
	v_cmp_eq_u32_e32 vcc_lo, 37, v0
	s_cbranch_vccnz .LBB40_268
; %bb.267:
	v_lshlrev_b32_e32 v0, 3, v0
	s_delay_alu instid0(VALU_DEP_1)
	v_mov_b32_e32 v4, v0
	scratch_load_b64 v[0:1], v4, off offset:-8
	scratch_load_b64 v[2:3], off, off offset:288
	s_wait_loadcnt 0x1
	scratch_store_b64 off, v[0:1], off offset:288
	s_wait_loadcnt 0x0
	scratch_store_b64 v4, v[2:3], off offset:-8
.LBB40_268:
	v_mov_b32_e32 v0, 0
	global_load_b32 v1, v0, s[2:3] offset:140
	s_wait_loadcnt 0x0
	v_cmp_eq_u32_e32 vcc_lo, 36, v1
	s_cbranch_vccnz .LBB40_270
; %bb.269:
	v_lshlrev_b32_e32 v1, 3, v1
	s_delay_alu instid0(VALU_DEP_1)
	v_mov_b32_e32 v5, v1
	scratch_load_b64 v[1:2], v5, off offset:-8
	scratch_load_b64 v[3:4], off, off offset:280
	s_wait_loadcnt 0x1
	scratch_store_b64 off, v[1:2], off offset:280
	s_wait_loadcnt 0x0
	scratch_store_b64 v5, v[3:4], off offset:-8
.LBB40_270:
	;; [unrolled: 31-line block ×19, first 2 shown]
	global_load_b32 v0, v0, s[2:3]
	s_wait_loadcnt 0x0
	v_cmp_eq_u32_e32 vcc_lo, 1, v0
	s_cbranch_vccnz .LBB40_340
; %bb.339:
	v_lshlrev_b32_e32 v0, 3, v0
	s_delay_alu instid0(VALU_DEP_1)
	v_mov_b32_e32 v4, v0
	scratch_load_b64 v[0:1], v4, off offset:-8
	scratch_load_b64 v[2:3], off, off
	s_wait_loadcnt 0x1
	scratch_store_b64 off, v[0:1], off
	s_wait_loadcnt 0x0
	scratch_store_b64 v4, v[2:3], off offset:-8
.LBB40_340:
	s_clause 0x14
	scratch_load_b128 v[0:3], off, off
	scratch_load_b128 v[4:7], off, off offset:16
	scratch_load_b128 v[8:11], off, off offset:32
	;; [unrolled: 1-line block ×19, first 2 shown]
	scratch_load_b64 v[162:163], off, off offset:320
	s_wait_loadcnt 0x14
	s_clause 0x1
	global_store_b64 v[24:25], v[0:1], off
	global_store_b64 v[26:27], v[2:3], off
	s_wait_loadcnt 0x13
	s_clause 0x1
	global_store_b64 v[28:29], v[4:5], off
	global_store_b64 v[30:31], v[6:7], off
	s_wait_loadcnt 0x12
	s_clause 0x1
	global_store_b64 v[32:33], v[8:9], off
	global_store_b64 v[34:35], v[10:11], off
	s_wait_loadcnt 0x11
	s_clause 0x1
	global_store_b64 v[36:37], v[12:13], off
	global_store_b64 v[38:39], v[14:15], off
	s_wait_loadcnt 0x10
	s_clause 0x1
	global_store_b64 v[40:41], v[16:17], off
	global_store_b64 v[42:43], v[18:19], off
	s_wait_loadcnt 0xf
	s_clause 0x1
	global_store_b64 v[44:45], v[20:21], off
	global_store_b64 v[46:47], v[22:23], off
	s_wait_loadcnt 0xe
	s_clause 0x1
	global_store_b64 v[48:49], v[106:107], off
	global_store_b64 v[50:51], v[108:109], off
	s_wait_loadcnt 0xd
	s_clause 0x1
	global_store_b64 v[52:53], v[110:111], off
	global_store_b64 v[54:55], v[112:113], off
	s_wait_loadcnt 0xc
	s_clause 0x1
	global_store_b64 v[56:57], v[114:115], off
	global_store_b64 v[58:59], v[116:117], off
	s_wait_loadcnt 0xb
	s_clause 0x1
	global_store_b64 v[60:61], v[118:119], off
	global_store_b64 v[62:63], v[120:121], off
	s_wait_loadcnt 0xa
	s_clause 0x1
	global_store_b64 v[64:65], v[122:123], off
	global_store_b64 v[66:67], v[124:125], off
	s_wait_loadcnt 0x9
	s_clause 0x1
	global_store_b64 v[68:69], v[126:127], off
	global_store_b64 v[70:71], v[128:129], off
	s_wait_loadcnt 0x8
	s_clause 0x1
	global_store_b64 v[72:73], v[130:131], off
	global_store_b64 v[74:75], v[132:133], off
	s_wait_loadcnt 0x7
	s_clause 0x1
	global_store_b64 v[76:77], v[134:135], off
	global_store_b64 v[78:79], v[136:137], off
	s_wait_loadcnt 0x6
	s_clause 0x1
	global_store_b64 v[80:81], v[138:139], off
	global_store_b64 v[82:83], v[140:141], off
	s_wait_loadcnt 0x5
	s_clause 0x1
	global_store_b64 v[84:85], v[142:143], off
	global_store_b64 v[86:87], v[144:145], off
	s_wait_loadcnt 0x4
	s_clause 0x1
	global_store_b64 v[88:89], v[146:147], off
	global_store_b64 v[90:91], v[148:149], off
	s_wait_loadcnt 0x3
	s_clause 0x1
	global_store_b64 v[92:93], v[150:151], off
	global_store_b64 v[94:95], v[152:153], off
	s_wait_loadcnt 0x2
	s_clause 0x1
	global_store_b64 v[96:97], v[154:155], off
	global_store_b64 v[98:99], v[156:157], off
	s_wait_loadcnt 0x1
	s_clause 0x1
	global_store_b64 v[100:101], v[158:159], off
	global_store_b64 v[102:103], v[160:161], off
	s_wait_loadcnt 0x0
	global_store_b64 v[104:105], v[162:163], off
	s_nop 0
	s_sendmsg sendmsg(MSG_DEALLOC_VGPRS)
	s_endpgm
	.section	.rodata,"a",@progbits
	.p2align	6, 0x0
	.amdhsa_kernel _ZN9rocsolver6v33100L18getri_kernel_smallILi41E19rocblas_complex_numIfEPS3_EEvT1_iilPiilS6_bb
		.amdhsa_group_segment_fixed_size 664
		.amdhsa_private_segment_fixed_size 336
		.amdhsa_kernarg_size 60
		.amdhsa_user_sgpr_count 2
		.amdhsa_user_sgpr_dispatch_ptr 0
		.amdhsa_user_sgpr_queue_ptr 0
		.amdhsa_user_sgpr_kernarg_segment_ptr 1
		.amdhsa_user_sgpr_dispatch_id 0
		.amdhsa_user_sgpr_private_segment_size 0
		.amdhsa_wavefront_size32 1
		.amdhsa_uses_dynamic_stack 0
		.amdhsa_enable_private_segment 1
		.amdhsa_system_sgpr_workgroup_id_x 1
		.amdhsa_system_sgpr_workgroup_id_y 0
		.amdhsa_system_sgpr_workgroup_id_z 0
		.amdhsa_system_sgpr_workgroup_info 0
		.amdhsa_system_vgpr_workitem_id 0
		.amdhsa_next_free_vgpr 252
		.amdhsa_next_free_sgpr 19
		.amdhsa_reserve_vcc 1
		.amdhsa_float_round_mode_32 0
		.amdhsa_float_round_mode_16_64 0
		.amdhsa_float_denorm_mode_32 3
		.amdhsa_float_denorm_mode_16_64 3
		.amdhsa_fp16_overflow 0
		.amdhsa_workgroup_processor_mode 1
		.amdhsa_memory_ordered 1
		.amdhsa_forward_progress 1
		.amdhsa_inst_pref_size 255
		.amdhsa_round_robin_scheduling 0
		.amdhsa_exception_fp_ieee_invalid_op 0
		.amdhsa_exception_fp_denorm_src 0
		.amdhsa_exception_fp_ieee_div_zero 0
		.amdhsa_exception_fp_ieee_overflow 0
		.amdhsa_exception_fp_ieee_underflow 0
		.amdhsa_exception_fp_ieee_inexact 0
		.amdhsa_exception_int_div_zero 0
	.end_amdhsa_kernel
	.section	.text._ZN9rocsolver6v33100L18getri_kernel_smallILi41E19rocblas_complex_numIfEPS3_EEvT1_iilPiilS6_bb,"axG",@progbits,_ZN9rocsolver6v33100L18getri_kernel_smallILi41E19rocblas_complex_numIfEPS3_EEvT1_iilPiilS6_bb,comdat
.Lfunc_end40:
	.size	_ZN9rocsolver6v33100L18getri_kernel_smallILi41E19rocblas_complex_numIfEPS3_EEvT1_iilPiilS6_bb, .Lfunc_end40-_ZN9rocsolver6v33100L18getri_kernel_smallILi41E19rocblas_complex_numIfEPS3_EEvT1_iilPiilS6_bb
                                        ; -- End function
	.set _ZN9rocsolver6v33100L18getri_kernel_smallILi41E19rocblas_complex_numIfEPS3_EEvT1_iilPiilS6_bb.num_vgpr, 252
	.set _ZN9rocsolver6v33100L18getri_kernel_smallILi41E19rocblas_complex_numIfEPS3_EEvT1_iilPiilS6_bb.num_agpr, 0
	.set _ZN9rocsolver6v33100L18getri_kernel_smallILi41E19rocblas_complex_numIfEPS3_EEvT1_iilPiilS6_bb.numbered_sgpr, 19
	.set _ZN9rocsolver6v33100L18getri_kernel_smallILi41E19rocblas_complex_numIfEPS3_EEvT1_iilPiilS6_bb.num_named_barrier, 0
	.set _ZN9rocsolver6v33100L18getri_kernel_smallILi41E19rocblas_complex_numIfEPS3_EEvT1_iilPiilS6_bb.private_seg_size, 336
	.set _ZN9rocsolver6v33100L18getri_kernel_smallILi41E19rocblas_complex_numIfEPS3_EEvT1_iilPiilS6_bb.uses_vcc, 1
	.set _ZN9rocsolver6v33100L18getri_kernel_smallILi41E19rocblas_complex_numIfEPS3_EEvT1_iilPiilS6_bb.uses_flat_scratch, 1
	.set _ZN9rocsolver6v33100L18getri_kernel_smallILi41E19rocblas_complex_numIfEPS3_EEvT1_iilPiilS6_bb.has_dyn_sized_stack, 0
	.set _ZN9rocsolver6v33100L18getri_kernel_smallILi41E19rocblas_complex_numIfEPS3_EEvT1_iilPiilS6_bb.has_recursion, 0
	.set _ZN9rocsolver6v33100L18getri_kernel_smallILi41E19rocblas_complex_numIfEPS3_EEvT1_iilPiilS6_bb.has_indirect_call, 0
	.section	.AMDGPU.csdata,"",@progbits
; Kernel info:
; codeLenInByte = 60472
; TotalNumSgprs: 21
; NumVgprs: 252
; ScratchSize: 336
; MemoryBound: 0
; FloatMode: 240
; IeeeMode: 1
; LDSByteSize: 664 bytes/workgroup (compile time only)
; SGPRBlocks: 0
; VGPRBlocks: 31
; NumSGPRsForWavesPerEU: 21
; NumVGPRsForWavesPerEU: 252
; Occupancy: 5
; WaveLimiterHint : 1
; COMPUTE_PGM_RSRC2:SCRATCH_EN: 1
; COMPUTE_PGM_RSRC2:USER_SGPR: 2
; COMPUTE_PGM_RSRC2:TRAP_HANDLER: 0
; COMPUTE_PGM_RSRC2:TGID_X_EN: 1
; COMPUTE_PGM_RSRC2:TGID_Y_EN: 0
; COMPUTE_PGM_RSRC2:TGID_Z_EN: 0
; COMPUTE_PGM_RSRC2:TIDIG_COMP_CNT: 0
	.section	.text._ZN9rocsolver6v33100L18getri_kernel_smallILi42E19rocblas_complex_numIfEPS3_EEvT1_iilPiilS6_bb,"axG",@progbits,_ZN9rocsolver6v33100L18getri_kernel_smallILi42E19rocblas_complex_numIfEPS3_EEvT1_iilPiilS6_bb,comdat
	.globl	_ZN9rocsolver6v33100L18getri_kernel_smallILi42E19rocblas_complex_numIfEPS3_EEvT1_iilPiilS6_bb ; -- Begin function _ZN9rocsolver6v33100L18getri_kernel_smallILi42E19rocblas_complex_numIfEPS3_EEvT1_iilPiilS6_bb
	.p2align	8
	.type	_ZN9rocsolver6v33100L18getri_kernel_smallILi42E19rocblas_complex_numIfEPS3_EEvT1_iilPiilS6_bb,@function
_ZN9rocsolver6v33100L18getri_kernel_smallILi42E19rocblas_complex_numIfEPS3_EEvT1_iilPiilS6_bb: ; @_ZN9rocsolver6v33100L18getri_kernel_smallILi42E19rocblas_complex_numIfEPS3_EEvT1_iilPiilS6_bb
; %bb.0:
	s_mov_b32 s2, exec_lo
	v_cmpx_gt_u32_e32 42, v0
	s_cbranch_execz .LBB41_182
; %bb.1:
	s_clause 0x2
	s_load_b32 s2, s[0:1], 0x38
	s_load_b128 s[12:15], s[0:1], 0x10
	s_load_b128 s[4:7], s[0:1], 0x28
	s_mov_b32 s16, ttmp9
	s_wait_kmcnt 0x0
	s_bitcmp1_b32 s2, 8
	s_cselect_b32 s18, -1, 0
	s_bfe_u32 s2, s2, 0x10008
	s_ashr_i32 s17, ttmp9, 31
	s_cmp_eq_u32 s2, 0
                                        ; implicit-def: $sgpr2_sgpr3
	s_cbranch_scc1 .LBB41_3
; %bb.2:
	s_load_b32 s2, s[0:1], 0x20
	s_mul_u64 s[4:5], s[4:5], s[16:17]
	s_delay_alu instid0(SALU_CYCLE_1) | instskip(NEXT) | instid1(SALU_CYCLE_1)
	s_lshl_b64 s[4:5], s[4:5], 2
	s_add_nc_u64 s[4:5], s[14:15], s[4:5]
	s_wait_kmcnt 0x0
	s_ashr_i32 s3, s2, 31
	s_delay_alu instid0(SALU_CYCLE_1) | instskip(NEXT) | instid1(SALU_CYCLE_1)
	s_lshl_b64 s[2:3], s[2:3], 2
	s_add_nc_u64 s[2:3], s[4:5], s[2:3]
.LBB41_3:
	s_clause 0x1
	s_load_b128 s[8:11], s[0:1], 0x0
	s_load_b32 s4, s[0:1], 0x38
	s_mul_u64 s[0:1], s[12:13], s[16:17]
	v_lshlrev_b32_e32 v13, 3, v0
	s_lshl_b64 s[0:1], s[0:1], 3
	s_wait_kmcnt 0x0
	v_add3_u32 v3, s11, s11, v0
	s_ashr_i32 s13, s10, 31
	s_mov_b32 s12, s10
	s_add_nc_u64 s[0:1], s[8:9], s[0:1]
	s_lshl_b64 s[12:13], s[12:13], 3
	v_add_nc_u32_e32 v5, s11, v3
	v_ashrrev_i32_e32 v4, 31, v3
	s_add_nc_u64 s[0:1], s[0:1], s[12:13]
	s_ashr_i32 s9, s11, 31
	v_add_co_u32 v28, s5, s0, v13
	v_add_nc_u32_e32 v7, s11, v5
	s_mov_b32 s8, s11
	v_lshlrev_b64_e32 v[3:4], 3, v[3:4]
	v_add_co_ci_u32_e64 v29, null, s1, 0, s5
	s_delay_alu instid0(VALU_DEP_3) | instskip(SKIP_3) | instid1(VALU_DEP_1)
	v_add_nc_u32_e32 v9, s11, v7
	s_lshl_b64 s[8:9], s[8:9], 3
	v_ashrrev_i32_e32 v6, 31, v5
	v_add_co_u32 v30, vcc_lo, v28, s8
	v_add_co_ci_u32_e64 v31, null, s9, v29, vcc_lo
	v_add_co_u32 v32, vcc_lo, s0, v3
	v_add_nc_u32_e32 v3, s11, v9
	v_lshlrev_b64_e32 v[5:6], 3, v[5:6]
	v_ashrrev_i32_e32 v8, 31, v7
	v_ashrrev_i32_e32 v10, 31, v9
	s_wait_alu 0xfffd
	v_add_co_ci_u32_e64 v33, null, s1, v4, vcc_lo
	v_add_nc_u32_e32 v11, s11, v3
	v_ashrrev_i32_e32 v4, 31, v3
	v_lshlrev_b64_e32 v[7:8], 3, v[7:8]
	v_add_co_u32 v34, vcc_lo, s0, v5
	s_wait_alu 0xfffd
	v_add_co_ci_u32_e64 v35, null, s1, v6, vcc_lo
	v_lshlrev_b64_e32 v[5:6], 3, v[9:10]
	v_add_nc_u32_e32 v16, s11, v11
	v_lshlrev_b64_e32 v[14:15], 3, v[3:4]
	v_ashrrev_i32_e32 v12, 31, v11
	v_add_co_u32 v36, vcc_lo, s0, v7
	s_delay_alu instid0(VALU_DEP_4)
	v_ashrrev_i32_e32 v17, 31, v16
	v_add_nc_u32_e32 v18, s11, v16
	s_wait_alu 0xfffd
	v_add_co_ci_u32_e64 v37, null, s1, v8, vcc_lo
	v_add_co_u32 v38, vcc_lo, s0, v5
	v_lshlrev_b64_e32 v[11:12], 3, v[11:12]
	s_wait_alu 0xfffd
	v_add_co_ci_u32_e64 v39, null, s1, v6, vcc_lo
	v_add_co_u32 v40, vcc_lo, s0, v14
	s_wait_alu 0xfffd
	v_add_co_ci_u32_e64 v41, null, s1, v15, vcc_lo
	v_lshlrev_b64_e32 v[14:15], 3, v[16:17]
	v_ashrrev_i32_e32 v19, 31, v18
	v_add_nc_u32_e32 v16, s11, v18
	v_add_co_u32 v42, vcc_lo, s0, v11
	s_wait_alu 0xfffd
	v_add_co_ci_u32_e64 v43, null, s1, v12, vcc_lo
	v_lshlrev_b64_e32 v[11:12], 3, v[18:19]
	v_ashrrev_i32_e32 v17, 31, v16
	v_add_nc_u32_e32 v18, s11, v16
	;; [unrolled: 6-line block ×24, first 2 shown]
	v_add_co_u32 v88, vcc_lo, s0, v14
	s_wait_alu 0xfffd
	v_add_co_ci_u32_e64 v89, null, s1, v15, vcc_lo
	v_lshlrev_b64_e32 v[14:15], 3, v[16:17]
	v_add_nc_u32_e32 v16, s11, v18
	v_ashrrev_i32_e32 v19, 31, v18
	v_add_co_u32 v90, vcc_lo, s0, v11
	s_wait_alu 0xfffd
	v_add_co_ci_u32_e64 v91, null, s1, v12, vcc_lo
	v_add_nc_u32_e32 v26, s11, v16
	v_lshlrev_b64_e32 v[11:12], 3, v[18:19]
	v_add_co_u32 v92, vcc_lo, s0, v14
	s_wait_alu 0xfffd
	v_add_co_ci_u32_e64 v93, null, s1, v15, vcc_lo
	v_ashrrev_i32_e32 v27, 31, v26
	s_delay_alu instid0(VALU_DEP_4) | instskip(SKIP_2) | instid1(VALU_DEP_3)
	v_add_co_u32 v94, vcc_lo, s0, v11
	s_wait_alu 0xfffd
	v_add_co_ci_u32_e64 v95, null, s1, v12, vcc_lo
	v_lshlrev_b64_e32 v[11:12], 3, v[26:27]
	v_add_nc_u32_e32 v26, s11, v26
	v_ashrrev_i32_e32 v17, 31, v16
	s_clause 0x4
	global_load_b64 v[1:2], v13, s[0:1]
	global_load_b64 v[3:4], v[30:31], off
	global_load_b64 v[5:6], v[32:33], off
	;; [unrolled: 1-line block ×4, first 2 shown]
	s_bitcmp0_b32 s4, 0
	v_add_nc_u32_e32 v102, s11, v26
	v_ashrrev_i32_e32 v27, 31, v26
	v_lshlrev_b64_e32 v[14:15], 3, v[16:17]
	s_delay_alu instid0(VALU_DEP_3) | instskip(NEXT) | instid1(VALU_DEP_3)
	v_add_nc_u32_e32 v104, s11, v102
	v_lshlrev_b64_e32 v[26:27], 3, v[26:27]
	v_ashrrev_i32_e32 v103, 31, v102
	s_delay_alu instid0(VALU_DEP_4)
	v_add_co_u32 v96, vcc_lo, s0, v14
	s_wait_alu 0xfffd
	v_add_co_ci_u32_e64 v97, null, s1, v15, vcc_lo
	v_add_co_u32 v98, vcc_lo, s0, v11
	v_add_nc_u32_e32 v106, s11, v104
	s_wait_alu 0xfffd
	v_add_co_ci_u32_e64 v99, null, s1, v12, vcc_lo
	v_add_co_u32 v100, vcc_lo, s0, v26
	s_wait_alu 0xfffd
	v_add_co_ci_u32_e64 v101, null, s1, v27, vcc_lo
	v_lshlrev_b64_e32 v[26:27], 3, v[102:103]
	v_ashrrev_i32_e32 v105, 31, v104
	v_add_nc_u32_e32 v108, s11, v106
	v_ashrrev_i32_e32 v107, 31, v106
	s_clause 0x13
	global_load_b64 v[11:12], v[38:39], off
	global_load_b64 v[14:15], v[40:41], off
	;; [unrolled: 1-line block ×20, first 2 shown]
	v_lshlrev_b64_e32 v[104:105], 3, v[104:105]
	v_add_co_u32 v102, vcc_lo, s0, v26
	v_add_nc_u32_e32 v110, s11, v108
	s_wait_alu 0xfffd
	v_add_co_ci_u32_e64 v103, null, s1, v27, vcc_lo
	v_lshlrev_b64_e32 v[26:27], 3, v[106:107]
	v_ashrrev_i32_e32 v109, 31, v108
	v_ashrrev_i32_e32 v111, 31, v110
	v_add_co_u32 v104, vcc_lo, s0, v104
	s_wait_alu 0xfffd
	v_add_co_ci_u32_e64 v105, null, s1, v105, vcc_lo
	v_lshlrev_b64_e32 v[108:109], 3, v[108:109]
	v_add_co_u32 v106, vcc_lo, s0, v26
	s_wait_alu 0xfffd
	v_add_co_ci_u32_e64 v107, null, s1, v27, vcc_lo
	v_lshlrev_b64_e32 v[26:27], 3, v[110:111]
	s_delay_alu instid0(VALU_DEP_4)
	v_add_co_u32 v108, vcc_lo, s0, v108
	s_wait_alu 0xfffd
	v_add_co_ci_u32_e64 v109, null, s1, v109, vcc_lo
	s_clause 0x3
	global_load_b64 v[138:139], v[78:79], off
	global_load_b64 v[140:141], v[80:81], off
	;; [unrolled: 1-line block ×4, first 2 shown]
	v_add_co_u32 v110, vcc_lo, s0, v26
	s_wait_alu 0xfffd
	v_add_co_ci_u32_e64 v111, null, s1, v27, vcc_lo
	s_clause 0xc
	global_load_b64 v[146:147], v[86:87], off
	global_load_b64 v[148:149], v[88:89], off
	;; [unrolled: 1-line block ×13, first 2 shown]
	s_mov_b32 s1, -1
	s_wait_loadcnt 0x28
	scratch_store_b128 off, v[1:4], off
	s_wait_loadcnt 0x26
	scratch_store_b128 off, v[5:8], off offset:16
	s_wait_loadcnt 0x24
	scratch_store_b128 off, v[9:12], off offset:32
	;; [unrolled: 2-line block ×20, first 2 shown]
	s_cbranch_scc1 .LBB41_180
; %bb.4:
	v_cmp_eq_u32_e64 s0, 0, v0
	s_and_saveexec_b32 s1, s0
; %bb.5:
	v_mov_b32_e32 v1, 0
	ds_store_b32 v1, v1 offset:672
; %bb.6:
	s_wait_alu 0xfffe
	s_or_b32 exec_lo, exec_lo, s1
	s_wait_storecnt_dscnt 0x0
	s_barrier_signal -1
	s_barrier_wait -1
	global_inv scope:SCOPE_SE
	scratch_load_b64 v[1:2], v13, off
	s_wait_loadcnt 0x0
	v_cmp_eq_f32_e32 vcc_lo, 0, v1
	v_cmp_eq_f32_e64 s1, 0, v2
	s_and_b32 s1, vcc_lo, s1
	s_wait_alu 0xfffe
	s_and_saveexec_b32 s4, s1
	s_cbranch_execz .LBB41_10
; %bb.7:
	v_mov_b32_e32 v1, 0
	s_mov_b32 s5, 0
	ds_load_b32 v2, v1 offset:672
	s_wait_dscnt 0x0
	v_readfirstlane_b32 s1, v2
	v_add_nc_u32_e32 v2, 1, v0
	s_cmp_eq_u32 s1, 0
	s_delay_alu instid0(VALU_DEP_1)
	v_cmp_gt_i32_e32 vcc_lo, s1, v2
	s_cselect_b32 s8, -1, 0
	s_wait_alu 0xfffe
	s_or_b32 s8, s8, vcc_lo
	s_wait_alu 0xfffe
	s_and_b32 exec_lo, exec_lo, s8
	s_cbranch_execz .LBB41_10
; %bb.8:
	v_mov_b32_e32 v3, s1
.LBB41_9:                               ; =>This Inner Loop Header: Depth=1
	ds_cmpstore_rtn_b32 v3, v1, v2, v3 offset:672
	s_wait_dscnt 0x0
	v_cmp_ne_u32_e32 vcc_lo, 0, v3
	v_cmp_le_i32_e64 s1, v3, v2
	s_and_b32 s1, vcc_lo, s1
	s_wait_alu 0xfffe
	s_and_b32 s1, exec_lo, s1
	s_wait_alu 0xfffe
	s_or_b32 s5, s1, s5
	s_wait_alu 0xfffe
	s_and_not1_b32 exec_lo, exec_lo, s5
	s_cbranch_execnz .LBB41_9
.LBB41_10:
	s_wait_alu 0xfffe
	s_or_b32 exec_lo, exec_lo, s4
	v_mov_b32_e32 v1, 0
	s_barrier_signal -1
	s_barrier_wait -1
	global_inv scope:SCOPE_SE
	ds_load_b32 v2, v1 offset:672
	s_and_saveexec_b32 s1, s0
	s_cbranch_execz .LBB41_12
; %bb.11:
	s_lshl_b64 s[4:5], s[16:17], 2
	s_wait_alu 0xfffe
	s_add_nc_u64 s[4:5], s[6:7], s[4:5]
	s_wait_dscnt 0x0
	global_store_b32 v1, v2, s[4:5]
.LBB41_12:
	s_wait_alu 0xfffe
	s_or_b32 exec_lo, exec_lo, s1
	s_wait_dscnt 0x0
	v_cmp_ne_u32_e32 vcc_lo, 0, v2
	s_mov_b32 s1, 0
	s_cbranch_vccnz .LBB41_180
; %bb.13:
	v_mov_b32_e32 v7, v13
                                        ; implicit-def: $vgpr3
                                        ; implicit-def: $vgpr5
	scratch_load_b64 v[1:2], v7, off
	s_wait_loadcnt 0x0
	v_cmp_ngt_f32_e64 s1, |v1|, |v2|
	s_wait_alu 0xfffe
	s_and_saveexec_b32 s4, s1
	s_wait_alu 0xfffe
	s_xor_b32 s1, exec_lo, s4
	s_cbranch_execz .LBB41_15
; %bb.14:
	v_div_scale_f32 v3, null, v2, v2, v1
	v_div_scale_f32 v6, vcc_lo, v1, v2, v1
	s_delay_alu instid0(VALU_DEP_2) | instskip(NEXT) | instid1(TRANS32_DEP_1)
	v_rcp_f32_e32 v4, v3
	v_fma_f32 v5, -v3, v4, 1.0
	s_delay_alu instid0(VALU_DEP_1) | instskip(NEXT) | instid1(VALU_DEP_1)
	v_fmac_f32_e32 v4, v5, v4
	v_mul_f32_e32 v5, v6, v4
	s_delay_alu instid0(VALU_DEP_1) | instskip(NEXT) | instid1(VALU_DEP_1)
	v_fma_f32 v8, -v3, v5, v6
	v_fmac_f32_e32 v5, v8, v4
	s_delay_alu instid0(VALU_DEP_1) | instskip(SKIP_1) | instid1(VALU_DEP_1)
	v_fma_f32 v3, -v3, v5, v6
	s_wait_alu 0xfffd
	v_div_fmas_f32 v3, v3, v4, v5
	s_delay_alu instid0(VALU_DEP_1) | instskip(NEXT) | instid1(VALU_DEP_1)
	v_div_fixup_f32 v3, v3, v2, v1
	v_fmac_f32_e32 v2, v1, v3
	s_delay_alu instid0(VALU_DEP_1) | instskip(NEXT) | instid1(VALU_DEP_1)
	v_div_scale_f32 v1, null, v2, v2, 1.0
	v_rcp_f32_e32 v4, v1
	s_delay_alu instid0(TRANS32_DEP_1) | instskip(NEXT) | instid1(VALU_DEP_1)
	v_fma_f32 v5, -v1, v4, 1.0
	v_fmac_f32_e32 v4, v5, v4
	v_div_scale_f32 v5, vcc_lo, 1.0, v2, 1.0
	s_delay_alu instid0(VALU_DEP_1) | instskip(NEXT) | instid1(VALU_DEP_1)
	v_mul_f32_e32 v6, v5, v4
	v_fma_f32 v8, -v1, v6, v5
	s_delay_alu instid0(VALU_DEP_1) | instskip(NEXT) | instid1(VALU_DEP_1)
	v_fmac_f32_e32 v6, v8, v4
	v_fma_f32 v1, -v1, v6, v5
	s_wait_alu 0xfffd
	s_delay_alu instid0(VALU_DEP_1) | instskip(NEXT) | instid1(VALU_DEP_1)
	v_div_fmas_f32 v1, v1, v4, v6
	v_div_fixup_f32 v1, v1, v2, 1.0
	s_delay_alu instid0(VALU_DEP_1) | instskip(SKIP_1) | instid1(VALU_DEP_2)
	v_mul_f32_e32 v3, v3, v1
	v_xor_b32_e32 v4, 0x80000000, v1
                                        ; implicit-def: $vgpr1_vgpr2
	v_xor_b32_e32 v5, 0x80000000, v3
.LBB41_15:
	s_wait_alu 0xfffe
	s_and_not1_saveexec_b32 s1, s1
	s_cbranch_execz .LBB41_17
; %bb.16:
	v_div_scale_f32 v3, null, v1, v1, v2
	v_div_scale_f32 v6, vcc_lo, v2, v1, v2
	s_delay_alu instid0(VALU_DEP_2) | instskip(NEXT) | instid1(TRANS32_DEP_1)
	v_rcp_f32_e32 v4, v3
	v_fma_f32 v5, -v3, v4, 1.0
	s_delay_alu instid0(VALU_DEP_1) | instskip(NEXT) | instid1(VALU_DEP_1)
	v_fmac_f32_e32 v4, v5, v4
	v_mul_f32_e32 v5, v6, v4
	s_delay_alu instid0(VALU_DEP_1) | instskip(NEXT) | instid1(VALU_DEP_1)
	v_fma_f32 v8, -v3, v5, v6
	v_fmac_f32_e32 v5, v8, v4
	s_delay_alu instid0(VALU_DEP_1) | instskip(SKIP_1) | instid1(VALU_DEP_1)
	v_fma_f32 v3, -v3, v5, v6
	s_wait_alu 0xfffd
	v_div_fmas_f32 v3, v3, v4, v5
	s_delay_alu instid0(VALU_DEP_1) | instskip(NEXT) | instid1(VALU_DEP_1)
	v_div_fixup_f32 v4, v3, v1, v2
	v_fmac_f32_e32 v1, v2, v4
	s_delay_alu instid0(VALU_DEP_1) | instskip(SKIP_1) | instid1(VALU_DEP_2)
	v_div_scale_f32 v2, null, v1, v1, 1.0
	v_div_scale_f32 v6, vcc_lo, 1.0, v1, 1.0
	v_rcp_f32_e32 v3, v2
	s_delay_alu instid0(TRANS32_DEP_1) | instskip(NEXT) | instid1(VALU_DEP_1)
	v_fma_f32 v5, -v2, v3, 1.0
	v_fmac_f32_e32 v3, v5, v3
	s_delay_alu instid0(VALU_DEP_1) | instskip(NEXT) | instid1(VALU_DEP_1)
	v_mul_f32_e32 v5, v6, v3
	v_fma_f32 v8, -v2, v5, v6
	s_delay_alu instid0(VALU_DEP_1) | instskip(NEXT) | instid1(VALU_DEP_1)
	v_fmac_f32_e32 v5, v8, v3
	v_fma_f32 v2, -v2, v5, v6
	s_wait_alu 0xfffd
	s_delay_alu instid0(VALU_DEP_1) | instskip(NEXT) | instid1(VALU_DEP_1)
	v_div_fmas_f32 v2, v2, v3, v5
	v_div_fixup_f32 v3, v2, v1, 1.0
	s_delay_alu instid0(VALU_DEP_1)
	v_xor_b32_e32 v5, 0x80000000, v3
	v_mul_f32_e64 v4, v4, -v3
.LBB41_17:
	s_wait_alu 0xfffe
	s_or_b32 exec_lo, exec_lo, s1
	scratch_store_b64 v7, v[3:4], off
	scratch_load_b64 v[2:3], off, off offset:8
	v_xor_b32_e32 v6, 0x80000000, v4
	v_add_nc_u32_e32 v1, 0x150, v13
	s_wait_loadcnt 0x0
	ds_store_2addr_b64 v13, v[5:6], v[2:3] offset1:42
	s_wait_storecnt_dscnt 0x0
	s_barrier_signal -1
	s_barrier_wait -1
	global_inv scope:SCOPE_SE
	s_and_saveexec_b32 s1, s0
	s_cbranch_execz .LBB41_19
; %bb.18:
	scratch_load_b64 v[2:3], v7, off
	ds_load_b64 v[4:5], v1
	v_mov_b32_e32 v6, 0
	ds_load_b64 v[8:9], v6 offset:8
	s_wait_loadcnt_dscnt 0x1
	v_mul_f32_e32 v6, v4, v3
	v_mul_f32_e32 v3, v5, v3
	s_delay_alu instid0(VALU_DEP_2) | instskip(NEXT) | instid1(VALU_DEP_2)
	v_fmac_f32_e32 v6, v5, v2
	v_fma_f32 v2, v4, v2, -v3
	s_delay_alu instid0(VALU_DEP_2) | instskip(SKIP_1) | instid1(VALU_DEP_1)
	v_add_f32_e32 v4, 0, v6
	s_wait_dscnt 0x0
	v_dual_add_f32 v2, 0, v2 :: v_dual_mul_f32 v5, v4, v9
	s_delay_alu instid0(VALU_DEP_1) | instskip(NEXT) | instid1(VALU_DEP_1)
	v_mul_f32_e32 v3, v2, v9
	v_fmac_f32_e32 v3, v4, v8
	s_delay_alu instid0(VALU_DEP_3)
	v_fma_f32 v2, v2, v8, -v5
	scratch_store_b64 off, v[2:3], off offset:8
.LBB41_19:
	s_wait_alu 0xfffe
	s_or_b32 exec_lo, exec_lo, s1
	s_wait_loadcnt 0x0
	s_wait_storecnt 0x0
	s_barrier_signal -1
	s_barrier_wait -1
	global_inv scope:SCOPE_SE
	scratch_load_b64 v[2:3], off, off offset:16
	s_mov_b32 s1, exec_lo
	s_wait_loadcnt 0x0
	ds_store_b64 v1, v[2:3]
	s_wait_dscnt 0x0
	s_barrier_signal -1
	s_barrier_wait -1
	global_inv scope:SCOPE_SE
	v_cmpx_gt_u32_e32 2, v0
	s_cbranch_execz .LBB41_23
; %bb.20:
	scratch_load_b64 v[2:3], v7, off
	ds_load_b64 v[4:5], v1
	s_wait_loadcnt_dscnt 0x0
	v_mul_f32_e32 v6, v5, v3
	v_mul_f32_e32 v8, v4, v3
	s_delay_alu instid0(VALU_DEP_2) | instskip(NEXT) | instid1(VALU_DEP_1)
	v_fma_f32 v3, v4, v2, -v6
	v_dual_fmac_f32 v8, v5, v2 :: v_dual_add_f32 v3, 0, v3
	s_delay_alu instid0(VALU_DEP_1)
	v_add_f32_e32 v2, 0, v8
	s_and_saveexec_b32 s4, s0
	s_cbranch_execz .LBB41_22
; %bb.21:
	scratch_load_b64 v[4:5], off, off offset:8
	v_mov_b32_e32 v6, 0
	ds_load_b64 v[8:9], v6 offset:344
	s_wait_loadcnt_dscnt 0x0
	v_mul_f32_e32 v6, v8, v5
	v_mul_f32_e32 v5, v9, v5
	s_delay_alu instid0(VALU_DEP_2) | instskip(NEXT) | instid1(VALU_DEP_2)
	v_fmac_f32_e32 v6, v9, v4
	v_fma_f32 v4, v8, v4, -v5
	s_delay_alu instid0(VALU_DEP_1)
	v_dual_add_f32 v2, v2, v6 :: v_dual_add_f32 v3, v3, v4
.LBB41_22:
	s_wait_alu 0xfffe
	s_or_b32 exec_lo, exec_lo, s4
	v_mov_b32_e32 v4, 0
	ds_load_b64 v[4:5], v4 offset:16
	s_wait_dscnt 0x0
	v_mul_f32_e32 v8, v2, v5
	v_mul_f32_e32 v6, v3, v5
	s_delay_alu instid0(VALU_DEP_2) | instskip(NEXT) | instid1(VALU_DEP_2)
	v_fma_f32 v5, v3, v4, -v8
	v_fmac_f32_e32 v6, v2, v4
	scratch_store_b64 off, v[5:6], off offset:16
.LBB41_23:
	s_wait_alu 0xfffe
	s_or_b32 exec_lo, exec_lo, s1
	s_wait_loadcnt 0x0
	s_wait_storecnt 0x0
	s_barrier_signal -1
	s_barrier_wait -1
	global_inv scope:SCOPE_SE
	scratch_load_b64 v[3:4], off, off offset:24
	v_add_nc_u32_e32 v2, -1, v0
	s_mov_b32 s0, exec_lo
	s_wait_loadcnt 0x0
	ds_store_b64 v1, v[3:4]
	s_wait_dscnt 0x0
	s_barrier_signal -1
	s_barrier_wait -1
	global_inv scope:SCOPE_SE
	v_cmpx_gt_u32_e32 3, v0
	s_cbranch_execz .LBB41_27
; %bb.24:
	v_dual_mov_b32 v3, 0 :: v_dual_add_nc_u32 v4, -1, v0
	v_dual_mov_b32 v6, v13 :: v_dual_add_nc_u32 v5, 0x150, v13
	v_mov_b32_e32 v8, 0
	s_mov_b32 s1, 0
.LBB41_25:                              ; =>This Inner Loop Header: Depth=1
	scratch_load_b64 v[9:10], v6, off
	ds_load_b64 v[11:12], v5
	v_add_nc_u32_e32 v6, 8, v6
	s_wait_loadcnt_dscnt 0x0
	v_dual_mul_f32 v14, v12, v10 :: v_dual_add_nc_u32 v5, 8, v5
	v_mul_f32_e32 v10, v11, v10
	s_delay_alu instid0(VALU_DEP_2) | instskip(NEXT) | instid1(VALU_DEP_2)
	v_fma_f32 v11, v11, v9, -v14
	v_fmac_f32_e32 v10, v12, v9
	v_add_nc_u32_e32 v4, 1, v4
	s_delay_alu instid0(VALU_DEP_2) | instskip(NEXT) | instid1(VALU_DEP_2)
	v_dual_add_f32 v8, v8, v11 :: v_dual_add_f32 v3, v3, v10
	v_cmp_lt_u32_e32 vcc_lo, 1, v4
	s_wait_alu 0xfffe
	s_or_b32 s1, vcc_lo, s1
	s_wait_alu 0xfffe
	s_and_not1_b32 exec_lo, exec_lo, s1
	s_cbranch_execnz .LBB41_25
; %bb.26:
	s_or_b32 exec_lo, exec_lo, s1
	v_mov_b32_e32 v4, 0
	ds_load_b64 v[4:5], v4 offset:24
	s_wait_dscnt 0x0
	v_mul_f32_e32 v9, v3, v5
	v_mul_f32_e32 v6, v8, v5
	s_delay_alu instid0(VALU_DEP_2) | instskip(NEXT) | instid1(VALU_DEP_2)
	v_fma_f32 v5, v8, v4, -v9
	v_fmac_f32_e32 v6, v3, v4
	scratch_store_b64 off, v[5:6], off offset:24
.LBB41_27:
	s_wait_alu 0xfffe
	s_or_b32 exec_lo, exec_lo, s0
	s_wait_loadcnt 0x0
	s_wait_storecnt 0x0
	s_barrier_signal -1
	s_barrier_wait -1
	global_inv scope:SCOPE_SE
	scratch_load_b64 v[3:4], off, off offset:32
	s_mov_b32 s0, exec_lo
	s_wait_loadcnt 0x0
	ds_store_b64 v1, v[3:4]
	s_wait_dscnt 0x0
	s_barrier_signal -1
	s_barrier_wait -1
	global_inv scope:SCOPE_SE
	v_cmpx_gt_u32_e32 4, v0
	s_cbranch_execz .LBB41_31
; %bb.28:
	v_dual_mov_b32 v3, 0 :: v_dual_add_nc_u32 v4, -1, v0
	v_dual_mov_b32 v6, v13 :: v_dual_add_nc_u32 v5, 0x150, v13
	v_mov_b32_e32 v8, 0
	s_mov_b32 s1, 0
.LBB41_29:                              ; =>This Inner Loop Header: Depth=1
	scratch_load_b64 v[9:10], v6, off
	ds_load_b64 v[11:12], v5
	v_add_nc_u32_e32 v6, 8, v6
	s_wait_loadcnt_dscnt 0x0
	v_dual_mul_f32 v14, v12, v10 :: v_dual_add_nc_u32 v5, 8, v5
	v_mul_f32_e32 v10, v11, v10
	s_delay_alu instid0(VALU_DEP_2) | instskip(NEXT) | instid1(VALU_DEP_2)
	v_fma_f32 v11, v11, v9, -v14
	v_fmac_f32_e32 v10, v12, v9
	v_add_nc_u32_e32 v4, 1, v4
	s_delay_alu instid0(VALU_DEP_2) | instskip(NEXT) | instid1(VALU_DEP_2)
	v_dual_add_f32 v8, v8, v11 :: v_dual_add_f32 v3, v3, v10
	v_cmp_lt_u32_e32 vcc_lo, 2, v4
	s_wait_alu 0xfffe
	s_or_b32 s1, vcc_lo, s1
	s_wait_alu 0xfffe
	s_and_not1_b32 exec_lo, exec_lo, s1
	s_cbranch_execnz .LBB41_29
; %bb.30:
	s_or_b32 exec_lo, exec_lo, s1
	v_mov_b32_e32 v4, 0
	ds_load_b64 v[4:5], v4 offset:32
	s_wait_dscnt 0x0
	v_mul_f32_e32 v9, v3, v5
	v_mul_f32_e32 v6, v8, v5
	s_delay_alu instid0(VALU_DEP_2) | instskip(NEXT) | instid1(VALU_DEP_2)
	v_fma_f32 v5, v8, v4, -v9
	v_fmac_f32_e32 v6, v3, v4
	scratch_store_b64 off, v[5:6], off offset:32
.LBB41_31:
	s_wait_alu 0xfffe
	s_or_b32 exec_lo, exec_lo, s0
	s_wait_loadcnt 0x0
	s_wait_storecnt 0x0
	s_barrier_signal -1
	s_barrier_wait -1
	global_inv scope:SCOPE_SE
	scratch_load_b64 v[3:4], off, off offset:40
	;; [unrolled: 53-line block ×19, first 2 shown]
	s_mov_b32 s0, exec_lo
	s_wait_loadcnt 0x0
	ds_store_b64 v1, v[3:4]
	s_wait_dscnt 0x0
	s_barrier_signal -1
	s_barrier_wait -1
	global_inv scope:SCOPE_SE
	v_cmpx_gt_u32_e32 22, v0
	s_cbranch_execz .LBB41_103
; %bb.100:
	v_dual_mov_b32 v3, 0 :: v_dual_add_nc_u32 v4, -1, v0
	v_dual_mov_b32 v6, v13 :: v_dual_add_nc_u32 v5, 0x150, v13
	v_mov_b32_e32 v8, 0
	s_mov_b32 s1, 0
.LBB41_101:                             ; =>This Inner Loop Header: Depth=1
	scratch_load_b64 v[9:10], v6, off
	ds_load_b64 v[11:12], v5
	v_add_nc_u32_e32 v6, 8, v6
	s_wait_loadcnt_dscnt 0x0
	v_dual_mul_f32 v14, v12, v10 :: v_dual_add_nc_u32 v5, 8, v5
	v_mul_f32_e32 v10, v11, v10
	s_delay_alu instid0(VALU_DEP_2) | instskip(NEXT) | instid1(VALU_DEP_2)
	v_fma_f32 v11, v11, v9, -v14
	v_fmac_f32_e32 v10, v12, v9
	v_add_nc_u32_e32 v4, 1, v4
	s_delay_alu instid0(VALU_DEP_2) | instskip(NEXT) | instid1(VALU_DEP_2)
	v_dual_add_f32 v8, v8, v11 :: v_dual_add_f32 v3, v3, v10
	v_cmp_lt_u32_e32 vcc_lo, 20, v4
	s_wait_alu 0xfffe
	s_or_b32 s1, vcc_lo, s1
	s_wait_alu 0xfffe
	s_and_not1_b32 exec_lo, exec_lo, s1
	s_cbranch_execnz .LBB41_101
; %bb.102:
	s_or_b32 exec_lo, exec_lo, s1
	v_mov_b32_e32 v4, 0
	ds_load_b64 v[4:5], v4 offset:176
	s_wait_dscnt 0x0
	v_mul_f32_e32 v9, v3, v5
	v_mul_f32_e32 v6, v8, v5
	s_delay_alu instid0(VALU_DEP_2) | instskip(NEXT) | instid1(VALU_DEP_2)
	v_fma_f32 v5, v8, v4, -v9
	v_fmac_f32_e32 v6, v3, v4
	scratch_store_b64 off, v[5:6], off offset:176
.LBB41_103:
	s_wait_alu 0xfffe
	s_or_b32 exec_lo, exec_lo, s0
	s_wait_loadcnt 0x0
	s_wait_storecnt 0x0
	s_barrier_signal -1
	s_barrier_wait -1
	global_inv scope:SCOPE_SE
	scratch_load_b64 v[3:4], off, off offset:184
	s_mov_b32 s0, exec_lo
	s_wait_loadcnt 0x0
	ds_store_b64 v1, v[3:4]
	s_wait_dscnt 0x0
	s_barrier_signal -1
	s_barrier_wait -1
	global_inv scope:SCOPE_SE
	v_cmpx_gt_u32_e32 23, v0
	s_cbranch_execz .LBB41_107
; %bb.104:
	v_dual_mov_b32 v3, 0 :: v_dual_add_nc_u32 v4, -1, v0
	v_dual_mov_b32 v6, v13 :: v_dual_add_nc_u32 v5, 0x150, v13
	v_mov_b32_e32 v8, 0
	s_mov_b32 s1, 0
.LBB41_105:                             ; =>This Inner Loop Header: Depth=1
	scratch_load_b64 v[9:10], v6, off
	ds_load_b64 v[11:12], v5
	v_add_nc_u32_e32 v6, 8, v6
	s_wait_loadcnt_dscnt 0x0
	v_dual_mul_f32 v14, v12, v10 :: v_dual_add_nc_u32 v5, 8, v5
	v_mul_f32_e32 v10, v11, v10
	s_delay_alu instid0(VALU_DEP_2) | instskip(NEXT) | instid1(VALU_DEP_2)
	v_fma_f32 v11, v11, v9, -v14
	v_fmac_f32_e32 v10, v12, v9
	v_add_nc_u32_e32 v4, 1, v4
	s_delay_alu instid0(VALU_DEP_2) | instskip(NEXT) | instid1(VALU_DEP_2)
	v_dual_add_f32 v8, v8, v11 :: v_dual_add_f32 v3, v3, v10
	v_cmp_lt_u32_e32 vcc_lo, 21, v4
	s_wait_alu 0xfffe
	s_or_b32 s1, vcc_lo, s1
	s_wait_alu 0xfffe
	s_and_not1_b32 exec_lo, exec_lo, s1
	s_cbranch_execnz .LBB41_105
; %bb.106:
	s_or_b32 exec_lo, exec_lo, s1
	v_mov_b32_e32 v4, 0
	ds_load_b64 v[4:5], v4 offset:184
	s_wait_dscnt 0x0
	v_mul_f32_e32 v9, v3, v5
	v_mul_f32_e32 v6, v8, v5
	s_delay_alu instid0(VALU_DEP_2) | instskip(NEXT) | instid1(VALU_DEP_2)
	v_fma_f32 v5, v8, v4, -v9
	v_fmac_f32_e32 v6, v3, v4
	scratch_store_b64 off, v[5:6], off offset:184
.LBB41_107:
	s_wait_alu 0xfffe
	s_or_b32 exec_lo, exec_lo, s0
	s_wait_loadcnt 0x0
	s_wait_storecnt 0x0
	s_barrier_signal -1
	s_barrier_wait -1
	global_inv scope:SCOPE_SE
	scratch_load_b64 v[3:4], off, off offset:192
	;; [unrolled: 53-line block ×18, first 2 shown]
	s_mov_b32 s0, exec_lo
	s_wait_loadcnt 0x0
	ds_store_b64 v1, v[3:4]
	s_wait_dscnt 0x0
	s_barrier_signal -1
	s_barrier_wait -1
	global_inv scope:SCOPE_SE
	v_cmpx_gt_u32_e32 40, v0
	s_cbranch_execz .LBB41_175
; %bb.172:
	v_dual_mov_b32 v3, 0 :: v_dual_add_nc_u32 v4, -1, v0
	v_dual_mov_b32 v6, v13 :: v_dual_add_nc_u32 v5, 0x150, v13
	v_mov_b32_e32 v8, 0
	s_mov_b32 s1, 0
.LBB41_173:                             ; =>This Inner Loop Header: Depth=1
	scratch_load_b64 v[9:10], v6, off
	ds_load_b64 v[11:12], v5
	v_add_nc_u32_e32 v6, 8, v6
	v_add_nc_u32_e32 v4, 1, v4
	;; [unrolled: 1-line block ×3, first 2 shown]
	s_delay_alu instid0(VALU_DEP_2)
	v_cmp_lt_u32_e32 vcc_lo, 38, v4
	s_wait_alu 0xfffe
	s_or_b32 s1, vcc_lo, s1
	s_wait_loadcnt_dscnt 0x0
	v_mul_f32_e32 v13, v12, v10
	v_mul_f32_e32 v10, v11, v10
	s_delay_alu instid0(VALU_DEP_2) | instskip(NEXT) | instid1(VALU_DEP_2)
	v_fma_f32 v11, v11, v9, -v13
	v_fmac_f32_e32 v10, v12, v9
	s_delay_alu instid0(VALU_DEP_1)
	v_dual_add_f32 v8, v8, v11 :: v_dual_add_f32 v3, v3, v10
	s_wait_alu 0xfffe
	s_and_not1_b32 exec_lo, exec_lo, s1
	s_cbranch_execnz .LBB41_173
; %bb.174:
	s_or_b32 exec_lo, exec_lo, s1
	v_mov_b32_e32 v4, 0
	ds_load_b64 v[4:5], v4 offset:320
	s_wait_dscnt 0x0
	v_mul_f32_e32 v9, v3, v5
	v_mul_f32_e32 v6, v8, v5
	s_delay_alu instid0(VALU_DEP_2) | instskip(NEXT) | instid1(VALU_DEP_2)
	v_fma_f32 v5, v8, v4, -v9
	v_fmac_f32_e32 v6, v3, v4
	scratch_store_b64 off, v[5:6], off offset:320
.LBB41_175:
	s_wait_alu 0xfffe
	s_or_b32 exec_lo, exec_lo, s0
	s_wait_loadcnt 0x0
	s_wait_storecnt 0x0
	s_barrier_signal -1
	s_barrier_wait -1
	global_inv scope:SCOPE_SE
	scratch_load_b64 v[3:4], off, off offset:328
	s_mov_b32 s0, exec_lo
	s_wait_loadcnt 0x0
	ds_store_b64 v1, v[3:4]
	s_wait_dscnt 0x0
	s_barrier_signal -1
	s_barrier_wait -1
	global_inv scope:SCOPE_SE
	v_cmpx_ne_u32_e32 41, v0
	s_cbranch_execz .LBB41_179
; %bb.176:
	v_dual_mov_b32 v3, 0 :: v_dual_mov_b32 v4, 0
	s_mov_b32 s1, 0
.LBB41_177:                             ; =>This Inner Loop Header: Depth=1
	scratch_load_b64 v[5:6], v7, off
	ds_load_b64 v[8:9], v1
	v_add_nc_u32_e32 v2, 1, v2
	v_add_nc_u32_e32 v1, 8, v1
	;; [unrolled: 1-line block ×3, first 2 shown]
	s_delay_alu instid0(VALU_DEP_3)
	v_cmp_lt_u32_e32 vcc_lo, 39, v2
	s_wait_alu 0xfffe
	s_or_b32 s1, vcc_lo, s1
	s_wait_loadcnt_dscnt 0x0
	v_mul_f32_e32 v10, v9, v6
	v_mul_f32_e32 v6, v8, v6
	s_delay_alu instid0(VALU_DEP_2) | instskip(NEXT) | instid1(VALU_DEP_2)
	v_fma_f32 v8, v8, v5, -v10
	v_fmac_f32_e32 v6, v9, v5
	s_delay_alu instid0(VALU_DEP_1)
	v_dual_add_f32 v4, v4, v8 :: v_dual_add_f32 v3, v3, v6
	s_wait_alu 0xfffe
	s_and_not1_b32 exec_lo, exec_lo, s1
	s_cbranch_execnz .LBB41_177
; %bb.178:
	s_or_b32 exec_lo, exec_lo, s1
	v_mov_b32_e32 v1, 0
	ds_load_b64 v[1:2], v1 offset:328
	s_wait_dscnt 0x0
	v_mul_f32_e32 v6, v3, v2
	v_mul_f32_e32 v5, v4, v2
	s_delay_alu instid0(VALU_DEP_2) | instskip(NEXT) | instid1(VALU_DEP_2)
	v_fma_f32 v4, v4, v1, -v6
	v_fmac_f32_e32 v5, v3, v1
	scratch_store_b64 off, v[4:5], off offset:328
.LBB41_179:
	s_wait_alu 0xfffe
	s_or_b32 exec_lo, exec_lo, s0
	s_mov_b32 s1, -1
	s_wait_loadcnt 0x0
	s_wait_storecnt 0x0
	s_barrier_signal -1
	s_barrier_wait -1
	global_inv scope:SCOPE_SE
.LBB41_180:
	s_wait_alu 0xfffe
	s_and_b32 vcc_lo, exec_lo, s1
	s_wait_alu 0xfffe
	s_cbranch_vccz .LBB41_182
; %bb.181:
	v_mov_b32_e32 v1, 0
	s_lshl_b64 s[0:1], s[16:17], 2
	s_wait_alu 0xfffe
	s_add_nc_u64 s[0:1], s[6:7], s[0:1]
	global_load_b32 v1, v1, s[0:1]
	s_wait_loadcnt 0x0
	v_cmp_ne_u32_e32 vcc_lo, 0, v1
	s_cbranch_vccz .LBB41_183
.LBB41_182:
	s_nop 0
	s_sendmsg sendmsg(MSG_DEALLOC_VGPRS)
	s_endpgm
.LBB41_183:
	v_lshl_add_u32 v23, v0, 3, 0x150
	s_mov_b32 s0, exec_lo
	v_cmpx_eq_u32_e32 41, v0
	s_cbranch_execz .LBB41_185
; %bb.184:
	scratch_load_b64 v[1:2], off, off offset:320
	v_mov_b32_e32 v3, 0
	s_delay_alu instid0(VALU_DEP_1)
	v_mov_b32_e32 v4, v3
	scratch_store_b64 off, v[3:4], off offset:320
	s_wait_loadcnt 0x0
	ds_store_b64 v23, v[1:2]
.LBB41_185:
	s_wait_alu 0xfffe
	s_or_b32 exec_lo, exec_lo, s0
	s_wait_storecnt_dscnt 0x0
	s_barrier_signal -1
	s_barrier_wait -1
	global_inv scope:SCOPE_SE
	s_clause 0x1
	scratch_load_b64 v[2:3], off, off offset:328
	scratch_load_b64 v[4:5], off, off offset:320
	v_mov_b32_e32 v1, 0
	s_mov_b32 s0, exec_lo
	ds_load_b64 v[6:7], v1 offset:664
	s_wait_loadcnt_dscnt 0x100
	v_mul_f32_e32 v8, v7, v3
	v_mul_f32_e32 v3, v6, v3
	s_delay_alu instid0(VALU_DEP_2) | instskip(NEXT) | instid1(VALU_DEP_2)
	v_fma_f32 v6, v6, v2, -v8
	v_fmac_f32_e32 v3, v7, v2
	s_delay_alu instid0(VALU_DEP_1) | instskip(SKIP_1) | instid1(VALU_DEP_1)
	v_dual_add_f32 v2, 0, v6 :: v_dual_add_f32 v3, 0, v3
	s_wait_loadcnt 0x0
	v_dual_sub_f32 v2, v4, v2 :: v_dual_sub_f32 v3, v5, v3
	scratch_store_b64 off, v[2:3], off offset:320
	v_cmpx_lt_u32_e32 39, v0
	s_cbranch_execz .LBB41_187
; %bb.186:
	scratch_load_b64 v[3:4], off, off offset:312
	v_mov_b32_e32 v2, v1
	scratch_store_b64 off, v[1:2], off offset:312
	s_wait_loadcnt 0x0
	ds_store_b64 v23, v[3:4]
.LBB41_187:
	s_wait_alu 0xfffe
	s_or_b32 exec_lo, exec_lo, s0
	s_wait_storecnt_dscnt 0x0
	s_barrier_signal -1
	s_barrier_wait -1
	global_inv scope:SCOPE_SE
	s_clause 0x1
	scratch_load_b128 v[2:5], off, off offset:320
	scratch_load_b64 v[10:11], off, off offset:312
	ds_load_b128 v[6:9], v1 offset:656
	s_mov_b32 s0, exec_lo
	s_wait_loadcnt_dscnt 0x100
	v_dual_mul_f32 v1, v7, v3 :: v_dual_mul_f32 v12, v8, v5
	v_mul_f32_e32 v3, v6, v3
	s_delay_alu instid0(VALU_DEP_2) | instskip(NEXT) | instid1(VALU_DEP_2)
	v_fma_f32 v1, v6, v2, -v1
	v_dual_fmac_f32 v12, v9, v4 :: v_dual_fmac_f32 v3, v7, v2
	s_delay_alu instid0(VALU_DEP_2) | instskip(NEXT) | instid1(VALU_DEP_2)
	v_add_f32_e32 v1, 0, v1
	v_add_f32_e32 v3, 0, v3
	v_mul_f32_e32 v5, v9, v5
	s_delay_alu instid0(VALU_DEP_1) | instskip(NEXT) | instid1(VALU_DEP_1)
	v_fma_f32 v2, v8, v4, -v5
	v_dual_add_f32 v1, v1, v2 :: v_dual_add_f32 v2, v3, v12
	s_wait_loadcnt 0x0
	s_delay_alu instid0(VALU_DEP_1)
	v_dual_sub_f32 v1, v10, v1 :: v_dual_sub_f32 v2, v11, v2
	scratch_store_b64 off, v[1:2], off offset:312
	v_cmpx_lt_u32_e32 38, v0
	s_cbranch_execz .LBB41_189
; %bb.188:
	scratch_load_b64 v[1:2], off, off offset:304
	v_mov_b32_e32 v3, 0
	s_delay_alu instid0(VALU_DEP_1)
	v_mov_b32_e32 v4, v3
	scratch_store_b64 off, v[3:4], off offset:304
	s_wait_loadcnt 0x0
	ds_store_b64 v23, v[1:2]
.LBB41_189:
	s_wait_alu 0xfffe
	s_or_b32 exec_lo, exec_lo, s0
	s_wait_storecnt_dscnt 0x0
	s_barrier_signal -1
	s_barrier_wait -1
	global_inv scope:SCOPE_SE
	s_clause 0x2
	scratch_load_b128 v[2:5], off, off offset:312
	scratch_load_b64 v[10:11], off, off offset:328
	scratch_load_b64 v[12:13], off, off offset:304
	v_mov_b32_e32 v1, 0
	ds_load_2addr_b64 v[6:9], v1 offset0:81 offset1:82
	ds_load_b64 v[14:15], v1 offset:664
	s_mov_b32 s0, exec_lo
	s_wait_loadcnt_dscnt 0x201
	v_dual_mul_f32 v16, v7, v3 :: v_dual_mul_f32 v17, v8, v5
	s_wait_loadcnt_dscnt 0x100
	v_mul_f32_e32 v18, v14, v11
	v_mul_f32_e32 v3, v6, v3
	;; [unrolled: 1-line block ×3, first 2 shown]
	v_fma_f32 v6, v6, v2, -v16
	s_delay_alu instid0(VALU_DEP_4) | instskip(NEXT) | instid1(VALU_DEP_4)
	v_fmac_f32_e32 v18, v15, v10
	v_fmac_f32_e32 v3, v7, v2
	v_mul_f32_e32 v2, v15, v11
	s_delay_alu instid0(VALU_DEP_1) | instskip(SKIP_3) | instid1(VALU_DEP_1)
	v_fma_f32 v2, v14, v10, -v2
	v_fmac_f32_e32 v17, v9, v4
	v_fma_f32 v4, v8, v4, -v5
	v_add_f32_e32 v5, 0, v6
	v_add_f32_e32 v4, v5, v4
	s_delay_alu instid0(VALU_DEP_1) | instskip(SKIP_1) | instid1(VALU_DEP_1)
	v_dual_add_f32 v2, v4, v2 :: v_dual_add_f32 v3, 0, v3
	s_wait_loadcnt 0x0
	v_dual_sub_f32 v2, v12, v2 :: v_dual_add_f32 v3, v3, v17
	s_delay_alu instid0(VALU_DEP_1) | instskip(NEXT) | instid1(VALU_DEP_1)
	v_add_f32_e32 v3, v3, v18
	v_sub_f32_e32 v3, v13, v3
	scratch_store_b64 off, v[2:3], off offset:304
	v_cmpx_lt_u32_e32 37, v0
	s_cbranch_execz .LBB41_191
; %bb.190:
	scratch_load_b64 v[3:4], off, off offset:296
	v_mov_b32_e32 v2, v1
	scratch_store_b64 off, v[1:2], off offset:296
	s_wait_loadcnt 0x0
	ds_store_b64 v23, v[3:4]
.LBB41_191:
	s_wait_alu 0xfffe
	s_or_b32 exec_lo, exec_lo, s0
	s_wait_storecnt_dscnt 0x0
	s_barrier_signal -1
	s_barrier_wait -1
	global_inv scope:SCOPE_SE
	s_clause 0x2
	scratch_load_b128 v[2:5], off, off offset:304
	scratch_load_b128 v[6:9], off, off offset:320
	scratch_load_b64 v[18:19], off, off offset:296
	ds_load_b128 v[10:13], v1 offset:640
	ds_load_b128 v[14:17], v1 offset:656
	s_mov_b32 s0, exec_lo
	s_wait_loadcnt_dscnt 0x201
	v_dual_mul_f32 v1, v10, v3 :: v_dual_mul_f32 v20, v12, v5
	s_wait_loadcnt_dscnt 0x100
	v_dual_mul_f32 v3, v11, v3 :: v_dual_mul_f32 v22, v16, v9
	v_mul_f32_e32 v5, v13, v5
	s_delay_alu instid0(VALU_DEP_3) | instskip(NEXT) | instid1(VALU_DEP_3)
	v_dual_mul_f32 v21, v14, v7 :: v_dual_fmac_f32 v20, v13, v4
	v_fma_f32 v3, v10, v2, -v3
	s_delay_alu instid0(VALU_DEP_4) | instskip(SKIP_2) | instid1(VALU_DEP_4)
	v_dual_fmac_f32 v1, v11, v2 :: v_dual_fmac_f32 v22, v17, v8
	v_mul_f32_e32 v2, v15, v7
	v_fma_f32 v4, v12, v4, -v5
	v_add_f32_e32 v3, 0, v3
	v_fmac_f32_e32 v21, v15, v6
	s_delay_alu instid0(VALU_DEP_4) | instskip(NEXT) | instid1(VALU_DEP_3)
	v_fma_f32 v2, v14, v6, -v2
	v_add_f32_e32 v3, v3, v4
	s_delay_alu instid0(VALU_DEP_1) | instskip(NEXT) | instid1(VALU_DEP_1)
	v_dual_add_f32 v1, 0, v1 :: v_dual_add_f32 v2, v3, v2
	v_add_f32_e32 v1, v1, v20
	s_delay_alu instid0(VALU_DEP_1) | instskip(NEXT) | instid1(VALU_DEP_1)
	v_add_f32_e32 v1, v1, v21
	v_add_f32_e32 v3, v1, v22
	v_mul_f32_e32 v5, v17, v9
	s_delay_alu instid0(VALU_DEP_1) | instskip(NEXT) | instid1(VALU_DEP_1)
	v_fma_f32 v4, v16, v8, -v5
	v_add_f32_e32 v2, v2, v4
	s_wait_loadcnt 0x0
	s_delay_alu instid0(VALU_DEP_1)
	v_dual_sub_f32 v1, v18, v2 :: v_dual_sub_f32 v2, v19, v3
	scratch_store_b64 off, v[1:2], off offset:296
	v_cmpx_lt_u32_e32 36, v0
	s_cbranch_execz .LBB41_193
; %bb.192:
	scratch_load_b64 v[1:2], off, off offset:288
	v_mov_b32_e32 v3, 0
	s_delay_alu instid0(VALU_DEP_1)
	v_mov_b32_e32 v4, v3
	scratch_store_b64 off, v[3:4], off offset:288
	s_wait_loadcnt 0x0
	ds_store_b64 v23, v[1:2]
.LBB41_193:
	s_wait_alu 0xfffe
	s_or_b32 exec_lo, exec_lo, s0
	s_wait_storecnt_dscnt 0x0
	s_barrier_signal -1
	s_barrier_wait -1
	global_inv scope:SCOPE_SE
	s_clause 0x3
	scratch_load_b128 v[2:5], off, off offset:296
	scratch_load_b128 v[6:9], off, off offset:312
	scratch_load_b64 v[18:19], off, off offset:328
	scratch_load_b64 v[20:21], off, off offset:288
	v_mov_b32_e32 v1, 0
	ds_load_2addr_b64 v[10:13], v1 offset0:79 offset1:80
	ds_load_2addr_b64 v[14:17], v1 offset0:81 offset1:82
	ds_load_b64 v[24:25], v1 offset:664
	s_mov_b32 s0, exec_lo
	s_wait_loadcnt_dscnt 0x302
	v_mul_f32_e32 v22, v10, v3
	v_dual_mul_f32 v26, v12, v5 :: v_dual_mul_f32 v3, v11, v3
	s_wait_loadcnt_dscnt 0x100
	v_mul_f32_e32 v113, v24, v19
	s_delay_alu instid0(VALU_DEP_3)
	v_dual_mul_f32 v5, v13, v5 :: v_dual_fmac_f32 v22, v11, v2
	v_dual_mul_f32 v27, v14, v7 :: v_dual_mul_f32 v112, v16, v9
	v_fma_f32 v3, v10, v2, -v3
	v_mul_f32_e32 v2, v15, v7
	v_fmac_f32_e32 v26, v13, v4
	v_fma_f32 v4, v12, v4, -v5
	v_dual_add_f32 v5, 0, v22 :: v_dual_fmac_f32 v112, v17, v8
	v_add_f32_e32 v3, 0, v3
	v_fma_f32 v2, v14, v6, -v2
	v_fmac_f32_e32 v27, v15, v6
	v_fmac_f32_e32 v113, v25, v18
	s_delay_alu instid0(VALU_DEP_4) | instskip(NEXT) | instid1(VALU_DEP_1)
	v_dual_add_f32 v3, v3, v4 :: v_dual_add_f32 v4, v5, v26
	v_dual_mul_f32 v7, v17, v9 :: v_dual_add_f32 v2, v3, v2
	s_delay_alu instid0(VALU_DEP_2) | instskip(NEXT) | instid1(VALU_DEP_2)
	v_add_f32_e32 v3, v4, v27
	v_fma_f32 v6, v16, v8, -v7
	s_delay_alu instid0(VALU_DEP_1) | instskip(NEXT) | instid1(VALU_DEP_1)
	v_dual_mul_f32 v5, v25, v19 :: v_dual_add_f32 v2, v2, v6
	v_fma_f32 v4, v24, v18, -v5
	s_delay_alu instid0(VALU_DEP_1) | instskip(SKIP_1) | instid1(VALU_DEP_1)
	v_add_f32_e32 v2, v2, v4
	s_wait_loadcnt 0x0
	v_dual_add_f32 v3, v3, v112 :: v_dual_sub_f32 v2, v20, v2
	s_delay_alu instid0(VALU_DEP_1) | instskip(NEXT) | instid1(VALU_DEP_1)
	v_add_f32_e32 v3, v3, v113
	v_sub_f32_e32 v3, v21, v3
	scratch_store_b64 off, v[2:3], off offset:288
	v_cmpx_lt_u32_e32 35, v0
	s_cbranch_execz .LBB41_195
; %bb.194:
	scratch_load_b64 v[3:4], off, off offset:280
	v_mov_b32_e32 v2, v1
	scratch_store_b64 off, v[1:2], off offset:280
	s_wait_loadcnt 0x0
	ds_store_b64 v23, v[3:4]
.LBB41_195:
	s_wait_alu 0xfffe
	s_or_b32 exec_lo, exec_lo, s0
	s_wait_storecnt_dscnt 0x0
	s_barrier_signal -1
	s_barrier_wait -1
	global_inv scope:SCOPE_SE
	s_clause 0x3
	scratch_load_b128 v[2:5], off, off offset:288
	scratch_load_b128 v[6:9], off, off offset:304
	;; [unrolled: 1-line block ×3, first 2 shown]
	scratch_load_b64 v[112:113], off, off offset:280
	ds_load_b128 v[14:17], v1 offset:624
	ds_load_b128 v[18:21], v1 offset:640
	;; [unrolled: 1-line block ×3, first 2 shown]
	s_mov_b32 s0, exec_lo
	s_wait_loadcnt_dscnt 0x302
	v_dual_mul_f32 v1, v14, v3 :: v_dual_mul_f32 v22, v16, v5
	v_mul_f32_e32 v3, v15, v3
	s_wait_loadcnt_dscnt 0x201
	v_dual_mul_f32 v5, v17, v5 :: v_dual_mul_f32 v114, v18, v7
	s_delay_alu instid0(VALU_DEP_3) | instskip(NEXT) | instid1(VALU_DEP_3)
	v_dual_mul_f32 v115, v20, v9 :: v_dual_fmac_f32 v22, v17, v4
	v_fma_f32 v3, v14, v2, -v3
	v_fmac_f32_e32 v1, v15, v2
	v_mul_f32_e32 v2, v19, v7
	v_fma_f32 v4, v16, v4, -v5
	s_wait_loadcnt_dscnt 0x100
	v_dual_mul_f32 v116, v24, v11 :: v_dual_mul_f32 v117, v26, v13
	v_dual_add_f32 v3, 0, v3 :: v_dual_fmac_f32 v114, v19, v6
	v_fma_f32 v2, v18, v6, -v2
	s_delay_alu instid0(VALU_DEP_3) | instskip(NEXT) | instid1(VALU_DEP_3)
	v_dual_fmac_f32 v116, v25, v10 :: v_dual_fmac_f32 v117, v27, v12
	v_dual_add_f32 v3, v3, v4 :: v_dual_mul_f32 v4, v25, v11
	s_delay_alu instid0(VALU_DEP_1) | instskip(NEXT) | instid1(VALU_DEP_2)
	v_dual_add_f32 v1, 0, v1 :: v_dual_add_f32 v2, v3, v2
	v_fma_f32 v4, v24, v10, -v4
	v_mul_f32_e32 v5, v21, v9
	v_mul_f32_e32 v3, v27, v13
	s_delay_alu instid0(VALU_DEP_2) | instskip(SKIP_1) | instid1(VALU_DEP_3)
	v_fma_f32 v5, v20, v8, -v5
	v_add_f32_e32 v1, v1, v22
	v_fma_f32 v3, v26, v12, -v3
	s_delay_alu instid0(VALU_DEP_2) | instskip(NEXT) | instid1(VALU_DEP_1)
	v_dual_add_f32 v2, v2, v5 :: v_dual_add_f32 v1, v1, v114
	v_add_f32_e32 v2, v2, v4
	s_delay_alu instid0(VALU_DEP_1) | instskip(NEXT) | instid1(VALU_DEP_1)
	v_dual_fmac_f32 v115, v21, v8 :: v_dual_add_f32 v2, v2, v3
	v_add_f32_e32 v1, v1, v115
	s_delay_alu instid0(VALU_DEP_1) | instskip(NEXT) | instid1(VALU_DEP_1)
	v_add_f32_e32 v1, v1, v116
	v_add_f32_e32 v3, v1, v117
	s_wait_loadcnt 0x0
	s_delay_alu instid0(VALU_DEP_1)
	v_dual_sub_f32 v1, v112, v2 :: v_dual_sub_f32 v2, v113, v3
	scratch_store_b64 off, v[1:2], off offset:280
	v_cmpx_lt_u32_e32 34, v0
	s_cbranch_execz .LBB41_197
; %bb.196:
	scratch_load_b64 v[1:2], off, off offset:272
	v_mov_b32_e32 v3, 0
	s_delay_alu instid0(VALU_DEP_1)
	v_mov_b32_e32 v4, v3
	scratch_store_b64 off, v[3:4], off offset:272
	s_wait_loadcnt 0x0
	ds_store_b64 v23, v[1:2]
.LBB41_197:
	s_wait_alu 0xfffe
	s_or_b32 exec_lo, exec_lo, s0
	s_wait_storecnt_dscnt 0x0
	s_barrier_signal -1
	s_barrier_wait -1
	global_inv scope:SCOPE_SE
	s_clause 0x4
	scratch_load_b128 v[2:5], off, off offset:280
	scratch_load_b128 v[6:9], off, off offset:296
	;; [unrolled: 1-line block ×3, first 2 shown]
	scratch_load_b64 v[112:113], off, off offset:328
	scratch_load_b64 v[114:115], off, off offset:272
	v_mov_b32_e32 v1, 0
	ds_load_2addr_b64 v[14:17], v1 offset0:77 offset1:78
	ds_load_2addr_b64 v[18:21], v1 offset0:79 offset1:80
	;; [unrolled: 1-line block ×3, first 2 shown]
	ds_load_b64 v[116:117], v1 offset:664
	s_mov_b32 s0, exec_lo
	s_wait_loadcnt_dscnt 0x403
	v_mul_f32_e32 v22, v14, v3
	s_wait_loadcnt_dscnt 0x302
	v_dual_mul_f32 v120, v20, v9 :: v_dual_mul_f32 v3, v15, v3
	v_dual_mul_f32 v118, v16, v5 :: v_dual_mul_f32 v119, v18, v7
	s_wait_loadcnt_dscnt 0x100
	v_dual_mul_f32 v123, v116, v113 :: v_dual_fmac_f32 v22, v15, v2
	v_mul_f32_e32 v5, v17, v5
	v_fma_f32 v3, v14, v2, -v3
	v_mul_f32_e32 v2, v19, v7
	v_fmac_f32_e32 v118, v17, v4
	v_fmac_f32_e32 v120, v21, v8
	v_fma_f32 v4, v16, v4, -v5
	v_add_f32_e32 v3, 0, v3
	v_add_f32_e32 v5, 0, v22
	v_fma_f32 v2, v18, v6, -v2
	v_fmac_f32_e32 v119, v19, v6
	v_dual_mul_f32 v121, v24, v11 :: v_dual_mul_f32 v122, v26, v13
	s_delay_alu instid0(VALU_DEP_4) | instskip(SKIP_1) | instid1(VALU_DEP_3)
	v_dual_add_f32 v3, v3, v4 :: v_dual_add_f32 v4, v5, v118
	v_mul_f32_e32 v7, v21, v9
	v_dual_mul_f32 v5, v25, v11 :: v_dual_fmac_f32 v122, v27, v12
	s_delay_alu instid0(VALU_DEP_3) | instskip(NEXT) | instid1(VALU_DEP_3)
	v_add_f32_e32 v2, v3, v2
	v_fma_f32 v6, v20, v8, -v7
	s_delay_alu instid0(VALU_DEP_1) | instskip(SKIP_3) | instid1(VALU_DEP_3)
	v_add_f32_e32 v2, v2, v6
	v_dual_mul_f32 v6, v117, v113 :: v_dual_add_f32 v3, v4, v119
	v_mul_f32_e32 v4, v27, v13
	v_fma_f32 v5, v24, v10, -v5
	v_add_f32_e32 v3, v3, v120
	s_delay_alu instid0(VALU_DEP_2) | instskip(NEXT) | instid1(VALU_DEP_4)
	v_dual_fmac_f32 v121, v25, v10 :: v_dual_add_f32 v2, v2, v5
	v_fma_f32 v4, v26, v12, -v4
	v_fma_f32 v5, v116, v112, -v6
	s_delay_alu instid0(VALU_DEP_2) | instskip(SKIP_1) | instid1(VALU_DEP_2)
	v_dual_add_f32 v3, v3, v121 :: v_dual_add_f32 v2, v2, v4
	v_fmac_f32_e32 v123, v117, v112
	v_dual_add_f32 v3, v3, v122 :: v_dual_add_f32 v2, v2, v5
	s_wait_loadcnt 0x0
	s_delay_alu instid0(VALU_DEP_1) | instskip(NEXT) | instid1(VALU_DEP_1)
	v_dual_add_f32 v3, v3, v123 :: v_dual_sub_f32 v2, v114, v2
	v_sub_f32_e32 v3, v115, v3
	scratch_store_b64 off, v[2:3], off offset:272
	v_cmpx_lt_u32_e32 33, v0
	s_cbranch_execz .LBB41_199
; %bb.198:
	scratch_load_b64 v[3:4], off, off offset:264
	v_mov_b32_e32 v2, v1
	scratch_store_b64 off, v[1:2], off offset:264
	s_wait_loadcnt 0x0
	ds_store_b64 v23, v[3:4]
.LBB41_199:
	s_wait_alu 0xfffe
	s_or_b32 exec_lo, exec_lo, s0
	s_wait_storecnt_dscnt 0x0
	s_barrier_signal -1
	s_barrier_wait -1
	global_inv scope:SCOPE_SE
	s_clause 0x4
	scratch_load_b128 v[2:5], off, off offset:272
	scratch_load_b128 v[6:9], off, off offset:288
	;; [unrolled: 1-line block ×4, first 2 shown]
	scratch_load_b64 v[120:121], off, off offset:264
	ds_load_b128 v[18:21], v1 offset:608
	ds_load_b128 v[24:27], v1 offset:624
	;; [unrolled: 1-line block ×4, first 2 shown]
	s_mov_b32 s0, exec_lo
	s_wait_loadcnt_dscnt 0x403
	v_dual_mul_f32 v1, v18, v3 :: v_dual_mul_f32 v22, v20, v5
	v_mul_f32_e32 v3, v19, v3
	s_wait_loadcnt_dscnt 0x302
	v_dual_mul_f32 v122, v24, v7 :: v_dual_mul_f32 v123, v26, v9
	s_delay_alu instid0(VALU_DEP_3) | instskip(NEXT) | instid1(VALU_DEP_3)
	v_dual_fmac_f32 v1, v19, v2 :: v_dual_fmac_f32 v22, v21, v4
	v_fma_f32 v3, v18, v2, -v3
	v_mul_f32_e32 v2, v25, v7
	s_wait_loadcnt_dscnt 0x201
	v_dual_mul_f32 v124, v112, v11 :: v_dual_mul_f32 v125, v114, v13
	s_delay_alu instid0(VALU_DEP_3) | instskip(NEXT) | instid1(VALU_DEP_3)
	v_dual_fmac_f32 v122, v25, v6 :: v_dual_add_f32 v3, 0, v3
	v_fma_f32 v2, v24, v6, -v2
	v_mul_f32_e32 v5, v21, v5
	s_delay_alu instid0(VALU_DEP_4) | instskip(SKIP_2) | instid1(VALU_DEP_3)
	v_dual_fmac_f32 v124, v113, v10 :: v_dual_add_f32 v1, 0, v1
	s_wait_loadcnt_dscnt 0x100
	v_dual_mul_f32 v126, v116, v15 :: v_dual_mul_f32 v127, v118, v17
	v_fma_f32 v4, v20, v4, -v5
	v_mul_f32_e32 v5, v27, v9
	s_delay_alu instid0(VALU_DEP_3) | instskip(NEXT) | instid1(VALU_DEP_4)
	v_dual_fmac_f32 v123, v27, v8 :: v_dual_fmac_f32 v126, v117, v14
	v_fmac_f32_e32 v127, v119, v16
	s_delay_alu instid0(VALU_DEP_3) | instskip(SKIP_1) | instid1(VALU_DEP_1)
	v_fma_f32 v5, v26, v8, -v5
	v_dual_add_f32 v3, v3, v4 :: v_dual_mul_f32 v4, v113, v11
	v_add_f32_e32 v2, v3, v2
	v_mul_f32_e32 v3, v115, v13
	s_delay_alu instid0(VALU_DEP_3) | instskip(NEXT) | instid1(VALU_DEP_3)
	v_fma_f32 v4, v112, v10, -v4
	v_dual_add_f32 v2, v2, v5 :: v_dual_add_f32 v1, v1, v22
	v_mul_f32_e32 v5, v117, v15
	s_delay_alu instid0(VALU_DEP_4) | instskip(NEXT) | instid1(VALU_DEP_3)
	v_fma_f32 v3, v114, v12, -v3
	v_dual_add_f32 v2, v2, v4 :: v_dual_add_f32 v1, v1, v122
	v_mul_f32_e32 v4, v119, v17
	v_fmac_f32_e32 v125, v115, v12
	v_fma_f32 v5, v116, v14, -v5
	s_delay_alu instid0(VALU_DEP_4) | instskip(SKIP_2) | instid1(VALU_DEP_2)
	v_add_f32_e32 v2, v2, v3
	v_add_f32_e32 v1, v1, v123
	v_fma_f32 v3, v118, v16, -v4
	v_dual_add_f32 v2, v2, v5 :: v_dual_add_f32 v1, v1, v124
	s_delay_alu instid0(VALU_DEP_1) | instskip(NEXT) | instid1(VALU_DEP_1)
	v_dual_add_f32 v2, v2, v3 :: v_dual_add_f32 v1, v1, v125
	v_add_f32_e32 v1, v1, v126
	s_delay_alu instid0(VALU_DEP_1) | instskip(SKIP_1) | instid1(VALU_DEP_1)
	v_add_f32_e32 v3, v1, v127
	s_wait_loadcnt 0x0
	v_dual_sub_f32 v1, v120, v2 :: v_dual_sub_f32 v2, v121, v3
	scratch_store_b64 off, v[1:2], off offset:264
	v_cmpx_lt_u32_e32 32, v0
	s_cbranch_execz .LBB41_201
; %bb.200:
	scratch_load_b64 v[1:2], off, off offset:256
	v_mov_b32_e32 v3, 0
	s_delay_alu instid0(VALU_DEP_1)
	v_mov_b32_e32 v4, v3
	scratch_store_b64 off, v[3:4], off offset:256
	s_wait_loadcnt 0x0
	ds_store_b64 v23, v[1:2]
.LBB41_201:
	s_wait_alu 0xfffe
	s_or_b32 exec_lo, exec_lo, s0
	s_wait_storecnt_dscnt 0x0
	s_barrier_signal -1
	s_barrier_wait -1
	global_inv scope:SCOPE_SE
	s_clause 0x5
	scratch_load_b128 v[2:5], off, off offset:264
	scratch_load_b128 v[6:9], off, off offset:280
	;; [unrolled: 1-line block ×4, first 2 shown]
	scratch_load_b64 v[120:121], off, off offset:328
	scratch_load_b64 v[122:123], off, off offset:256
	v_mov_b32_e32 v1, 0
	ds_load_2addr_b64 v[18:21], v1 offset0:75 offset1:76
	ds_load_2addr_b64 v[24:27], v1 offset0:77 offset1:78
	;; [unrolled: 1-line block ×4, first 2 shown]
	ds_load_b64 v[124:125], v1 offset:664
	s_mov_b32 s0, exec_lo
	s_wait_loadcnt_dscnt 0x504
	v_mul_f32_e32 v22, v18, v3
	v_dual_mul_f32 v126, v20, v5 :: v_dual_mul_f32 v3, v19, v3
	s_wait_loadcnt_dscnt 0x403
	v_dual_mul_f32 v127, v24, v7 :: v_dual_mul_f32 v128, v26, v9
	v_mul_f32_e32 v5, v21, v5
	s_wait_loadcnt_dscnt 0x100
	v_dual_mul_f32 v133, v124, v121 :: v_dual_fmac_f32 v22, v19, v2
	v_fma_f32 v3, v18, v2, -v3
	v_mul_f32_e32 v2, v25, v7
	v_fmac_f32_e32 v126, v21, v4
	v_fmac_f32_e32 v128, v27, v8
	v_fma_f32 v4, v20, v4, -v5
	v_add_f32_e32 v3, 0, v3
	v_add_f32_e32 v5, 0, v22
	v_mul_f32_e32 v7, v27, v9
	v_fma_f32 v2, v24, v6, -v2
	v_fmac_f32_e32 v127, v25, v6
	s_delay_alu instid0(VALU_DEP_4) | instskip(SKIP_3) | instid1(VALU_DEP_4)
	v_dual_add_f32 v3, v3, v4 :: v_dual_add_f32 v4, v5, v126
	v_mul_f32_e32 v5, v113, v11
	v_fma_f32 v6, v26, v8, -v7
	v_dual_mul_f32 v129, v112, v11 :: v_dual_mul_f32 v130, v114, v13
	v_dual_add_f32 v2, v3, v2 :: v_dual_add_f32 v3, v4, v127
	v_mul_f32_e32 v4, v115, v13
	v_fma_f32 v5, v112, v10, -v5
	s_delay_alu instid0(VALU_DEP_4) | instskip(NEXT) | instid1(VALU_DEP_4)
	v_fmac_f32_e32 v130, v115, v12
	v_add_f32_e32 v2, v2, v6
	v_fmac_f32_e32 v129, v113, v10
	v_dual_add_f32 v3, v3, v128 :: v_dual_mul_f32 v6, v117, v15
	v_fma_f32 v4, v114, v12, -v4
	s_delay_alu instid0(VALU_DEP_4) | instskip(SKIP_1) | instid1(VALU_DEP_4)
	v_dual_add_f32 v2, v2, v5 :: v_dual_mul_f32 v131, v116, v15
	v_mul_f32_e32 v132, v118, v17
	v_add_f32_e32 v3, v3, v129
	v_fma_f32 v6, v116, v14, -v6
	s_delay_alu instid0(VALU_DEP_4) | instskip(NEXT) | instid1(VALU_DEP_4)
	v_dual_add_f32 v2, v2, v4 :: v_dual_mul_f32 v5, v119, v17
	v_dual_fmac_f32 v131, v117, v14 :: v_dual_fmac_f32 v132, v119, v16
	s_delay_alu instid0(VALU_DEP_4) | instskip(NEXT) | instid1(VALU_DEP_3)
	v_dual_add_f32 v3, v3, v130 :: v_dual_mul_f32 v4, v125, v121
	v_add_f32_e32 v2, v2, v6
	s_delay_alu instid0(VALU_DEP_4) | instskip(NEXT) | instid1(VALU_DEP_3)
	v_fma_f32 v5, v118, v16, -v5
	v_add_f32_e32 v3, v3, v131
	s_delay_alu instid0(VALU_DEP_4) | instskip(NEXT) | instid1(VALU_DEP_2)
	v_fma_f32 v4, v124, v120, -v4
	v_dual_add_f32 v2, v2, v5 :: v_dual_add_f32 v3, v3, v132
	s_delay_alu instid0(VALU_DEP_1) | instskip(SKIP_1) | instid1(VALU_DEP_1)
	v_add_f32_e32 v2, v2, v4
	s_wait_loadcnt 0x0
	v_dual_fmac_f32 v133, v125, v120 :: v_dual_sub_f32 v2, v122, v2
	s_delay_alu instid0(VALU_DEP_1) | instskip(NEXT) | instid1(VALU_DEP_1)
	v_add_f32_e32 v3, v3, v133
	v_sub_f32_e32 v3, v123, v3
	scratch_store_b64 off, v[2:3], off offset:256
	v_cmpx_lt_u32_e32 31, v0
	s_cbranch_execz .LBB41_203
; %bb.202:
	scratch_load_b64 v[3:4], off, off offset:248
	v_mov_b32_e32 v2, v1
	scratch_store_b64 off, v[1:2], off offset:248
	s_wait_loadcnt 0x0
	ds_store_b64 v23, v[3:4]
.LBB41_203:
	s_wait_alu 0xfffe
	s_or_b32 exec_lo, exec_lo, s0
	s_wait_storecnt_dscnt 0x0
	s_barrier_signal -1
	s_barrier_wait -1
	global_inv scope:SCOPE_SE
	s_clause 0x5
	scratch_load_b128 v[2:5], off, off offset:256
	scratch_load_b128 v[6:9], off, off offset:272
	;; [unrolled: 1-line block ×5, first 2 shown]
	scratch_load_b64 v[128:129], off, off offset:248
	ds_load_b128 v[24:27], v1 offset:592
	ds_load_b128 v[112:115], v1 offset:608
	ds_load_b128 v[116:119], v1 offset:624
	ds_load_b128 v[120:123], v1 offset:640
	ds_load_b128 v[124:127], v1 offset:656
	s_mov_b32 s0, exec_lo
	s_wait_loadcnt_dscnt 0x504
	v_dual_mul_f32 v1, v24, v3 :: v_dual_mul_f32 v22, v26, v5
	v_mul_f32_e32 v3, v25, v3
	s_wait_loadcnt_dscnt 0x403
	v_dual_mul_f32 v5, v27, v5 :: v_dual_mul_f32 v130, v112, v7
	s_delay_alu instid0(VALU_DEP_3) | instskip(NEXT) | instid1(VALU_DEP_3)
	v_dual_mul_f32 v131, v114, v9 :: v_dual_fmac_f32 v22, v27, v4
	v_fma_f32 v3, v24, v2, -v3
	v_fmac_f32_e32 v1, v25, v2
	v_mul_f32_e32 v2, v113, v7
	v_fma_f32 v4, v26, v4, -v5
	s_wait_loadcnt_dscnt 0x302
	v_dual_mul_f32 v132, v116, v11 :: v_dual_mul_f32 v133, v118, v13
	v_dual_add_f32 v3, 0, v3 :: v_dual_fmac_f32 v130, v113, v6
	s_wait_loadcnt_dscnt 0x201
	v_dual_mul_f32 v134, v120, v15 :: v_dual_mul_f32 v135, v122, v17
	s_delay_alu instid0(VALU_DEP_3) | instskip(SKIP_1) | instid1(VALU_DEP_3)
	v_dual_mul_f32 v5, v115, v9 :: v_dual_fmac_f32 v132, v117, v10
	v_fma_f32 v2, v112, v6, -v2
	v_dual_add_f32 v3, v3, v4 :: v_dual_fmac_f32 v134, v121, v14
	s_delay_alu instid0(VALU_DEP_3)
	v_fma_f32 v5, v114, v8, -v5
	v_mul_f32_e32 v4, v117, v11
	s_wait_loadcnt_dscnt 0x100
	v_dual_mul_f32 v136, v124, v19 :: v_dual_mul_f32 v137, v126, v21
	v_add_f32_e32 v2, v3, v2
	v_mul_f32_e32 v3, v119, v13
	v_fma_f32 v4, v116, v10, -v4
	s_delay_alu instid0(VALU_DEP_4) | instskip(NEXT) | instid1(VALU_DEP_4)
	v_dual_fmac_f32 v136, v125, v18 :: v_dual_fmac_f32 v135, v123, v16
	v_add_f32_e32 v2, v2, v5
	v_add_f32_e32 v1, 0, v1
	v_fma_f32 v3, v118, v12, -v3
	v_fmac_f32_e32 v137, v127, v20
	s_delay_alu instid0(VALU_DEP_3) | instskip(SKIP_1) | instid1(VALU_DEP_2)
	v_dual_add_f32 v2, v2, v4 :: v_dual_add_f32 v1, v1, v22
	v_mul_f32_e32 v4, v123, v17
	v_dual_fmac_f32 v131, v115, v8 :: v_dual_add_f32 v2, v2, v3
	s_delay_alu instid0(VALU_DEP_3) | instskip(NEXT) | instid1(VALU_DEP_3)
	v_add_f32_e32 v1, v1, v130
	v_fma_f32 v4, v122, v16, -v4
	v_mul_f32_e32 v5, v121, v15
	v_mul_f32_e32 v3, v125, v19
	s_delay_alu instid0(VALU_DEP_4) | instskip(NEXT) | instid1(VALU_DEP_3)
	v_add_f32_e32 v1, v1, v131
	v_fma_f32 v5, v120, v14, -v5
	v_fmac_f32_e32 v133, v119, v12
	s_delay_alu instid0(VALU_DEP_4) | instskip(NEXT) | instid1(VALU_DEP_3)
	v_fma_f32 v3, v124, v18, -v3
	v_add_f32_e32 v2, v2, v5
	s_delay_alu instid0(VALU_DEP_1) | instskip(SKIP_1) | instid1(VALU_DEP_2)
	v_dual_mul_f32 v5, v127, v21 :: v_dual_add_f32 v2, v2, v4
	v_add_f32_e32 v1, v1, v132
	v_fma_f32 v4, v126, v20, -v5
	s_delay_alu instid0(VALU_DEP_2) | instskip(NEXT) | instid1(VALU_DEP_1)
	v_dual_add_f32 v2, v2, v3 :: v_dual_add_f32 v1, v1, v133
	v_dual_add_f32 v2, v2, v4 :: v_dual_add_f32 v1, v1, v134
	s_delay_alu instid0(VALU_DEP_1) | instskip(NEXT) | instid1(VALU_DEP_1)
	v_add_f32_e32 v1, v1, v135
	v_add_f32_e32 v1, v1, v136
	s_delay_alu instid0(VALU_DEP_1) | instskip(SKIP_1) | instid1(VALU_DEP_1)
	v_add_f32_e32 v3, v1, v137
	s_wait_loadcnt 0x0
	v_dual_sub_f32 v1, v128, v2 :: v_dual_sub_f32 v2, v129, v3
	scratch_store_b64 off, v[1:2], off offset:248
	v_cmpx_lt_u32_e32 30, v0
	s_cbranch_execz .LBB41_205
; %bb.204:
	scratch_load_b64 v[1:2], off, off offset:240
	v_mov_b32_e32 v3, 0
	s_delay_alu instid0(VALU_DEP_1)
	v_mov_b32_e32 v4, v3
	scratch_store_b64 off, v[3:4], off offset:240
	s_wait_loadcnt 0x0
	ds_store_b64 v23, v[1:2]
.LBB41_205:
	s_wait_alu 0xfffe
	s_or_b32 exec_lo, exec_lo, s0
	s_wait_storecnt_dscnt 0x0
	s_barrier_signal -1
	s_barrier_wait -1
	global_inv scope:SCOPE_SE
	s_clause 0x6
	scratch_load_b128 v[2:5], off, off offset:248
	scratch_load_b128 v[6:9], off, off offset:264
	;; [unrolled: 1-line block ×5, first 2 shown]
	scratch_load_b64 v[128:129], off, off offset:328
	scratch_load_b64 v[130:131], off, off offset:240
	v_mov_b32_e32 v1, 0
	ds_load_2addr_b64 v[24:27], v1 offset0:73 offset1:74
	ds_load_2addr_b64 v[112:115], v1 offset0:75 offset1:76
	ds_load_2addr_b64 v[116:119], v1 offset0:77 offset1:78
	ds_load_2addr_b64 v[120:123], v1 offset0:79 offset1:80
	ds_load_2addr_b64 v[124:127], v1 offset0:81 offset1:82
	ds_load_b64 v[132:133], v1 offset:664
	s_mov_b32 s0, exec_lo
	s_wait_loadcnt_dscnt 0x605
	v_mul_f32_e32 v22, v24, v3
	v_dual_mul_f32 v3, v25, v3 :: v_dual_mul_f32 v134, v26, v5
	s_wait_loadcnt_dscnt 0x302
	v_dual_mul_f32 v135, v112, v7 :: v_dual_mul_f32 v140, v122, v17
	v_mul_f32_e32 v5, v27, v5
	s_delay_alu instid0(VALU_DEP_3)
	v_fma_f32 v3, v24, v2, -v3
	v_dual_mul_f32 v136, v114, v9 :: v_dual_mul_f32 v137, v116, v11
	s_wait_loadcnt_dscnt 0x100
	v_dual_mul_f32 v143, v132, v129 :: v_dual_fmac_f32 v22, v25, v2
	v_mul_f32_e32 v2, v113, v7
	v_dual_fmac_f32 v134, v27, v4 :: v_dual_add_f32 v3, 0, v3
	v_fma_f32 v4, v26, v4, -v5
	s_delay_alu instid0(VALU_DEP_4) | instskip(SKIP_2) | instid1(VALU_DEP_4)
	v_dual_add_f32 v5, 0, v22 :: v_dual_fmac_f32 v136, v115, v8
	v_mul_f32_e32 v7, v115, v9
	v_fma_f32 v2, v112, v6, -v2
	v_add_f32_e32 v3, v3, v4
	v_fmac_f32_e32 v135, v113, v6
	v_add_f32_e32 v4, v5, v134
	v_mul_f32_e32 v5, v117, v11
	v_fma_f32 v6, v114, v8, -v7
	v_add_f32_e32 v2, v3, v2
	v_dual_mul_f32 v138, v118, v13 :: v_dual_mul_f32 v139, v120, v15
	v_dual_add_f32 v3, v4, v135 :: v_dual_mul_f32 v4, v119, v13
	v_fma_f32 v5, v116, v10, -v5
	s_delay_alu instid0(VALU_DEP_4)
	v_add_f32_e32 v2, v2, v6
	v_fmac_f32_e32 v137, v117, v10
	v_mul_f32_e32 v6, v121, v15
	v_fmac_f32_e32 v138, v119, v12
	v_add_f32_e32 v3, v3, v136
	v_fma_f32 v4, v118, v12, -v4
	v_add_f32_e32 v2, v2, v5
	v_mul_f32_e32 v5, v123, v17
	v_fma_f32 v6, v120, v14, -v6
	v_add_f32_e32 v3, v3, v137
	v_dual_fmac_f32 v139, v121, v14 :: v_dual_fmac_f32 v140, v123, v16
	v_add_f32_e32 v2, v2, v4
	v_mul_f32_e32 v4, v125, v19
	v_fma_f32 v5, v122, v16, -v5
	v_dual_mul_f32 v141, v124, v19 :: v_dual_mul_f32 v142, v126, v21
	s_delay_alu instid0(VALU_DEP_4) | instskip(SKIP_1) | instid1(VALU_DEP_3)
	v_add_f32_e32 v2, v2, v6
	v_add_f32_e32 v3, v3, v138
	v_dual_mul_f32 v6, v127, v21 :: v_dual_fmac_f32 v141, v125, v18
	v_fma_f32 v4, v124, v18, -v4
	s_delay_alu instid0(VALU_DEP_3) | instskip(SKIP_1) | instid1(VALU_DEP_4)
	v_dual_add_f32 v2, v2, v5 :: v_dual_add_f32 v3, v3, v139
	v_dual_mul_f32 v5, v133, v129 :: v_dual_fmac_f32 v142, v127, v20
	v_fma_f32 v6, v126, v20, -v6
	s_delay_alu instid0(VALU_DEP_3) | instskip(NEXT) | instid1(VALU_DEP_4)
	v_add_f32_e32 v2, v2, v4
	v_add_f32_e32 v3, v3, v140
	s_delay_alu instid0(VALU_DEP_4) | instskip(NEXT) | instid1(VALU_DEP_2)
	v_fma_f32 v4, v132, v128, -v5
	v_dual_add_f32 v2, v2, v6 :: v_dual_add_f32 v3, v3, v141
	s_delay_alu instid0(VALU_DEP_1) | instskip(SKIP_1) | instid1(VALU_DEP_1)
	v_dual_add_f32 v2, v2, v4 :: v_dual_add_f32 v3, v3, v142
	s_wait_loadcnt 0x0
	v_dual_fmac_f32 v143, v133, v128 :: v_dual_sub_f32 v2, v130, v2
	s_delay_alu instid0(VALU_DEP_1) | instskip(NEXT) | instid1(VALU_DEP_1)
	v_add_f32_e32 v3, v3, v143
	v_sub_f32_e32 v3, v131, v3
	scratch_store_b64 off, v[2:3], off offset:240
	v_cmpx_lt_u32_e32 29, v0
	s_cbranch_execz .LBB41_207
; %bb.206:
	scratch_load_b64 v[3:4], off, off offset:232
	v_mov_b32_e32 v2, v1
	scratch_store_b64 off, v[1:2], off offset:232
	s_wait_loadcnt 0x0
	ds_store_b64 v23, v[3:4]
.LBB41_207:
	s_wait_alu 0xfffe
	s_or_b32 exec_lo, exec_lo, s0
	s_wait_storecnt_dscnt 0x0
	s_barrier_signal -1
	s_barrier_wait -1
	global_inv scope:SCOPE_SE
	s_clause 0x6
	scratch_load_b128 v[2:5], off, off offset:240
	scratch_load_b128 v[6:9], off, off offset:256
	;; [unrolled: 1-line block ×6, first 2 shown]
	scratch_load_b64 v[136:137], off, off offset:232
	ds_load_b128 v[112:115], v1 offset:576
	ds_load_b128 v[116:119], v1 offset:592
	;; [unrolled: 1-line block ×6, first 2 shown]
	s_mov_b32 s0, exec_lo
	s_wait_loadcnt_dscnt 0x605
	v_dual_mul_f32 v1, v112, v3 :: v_dual_mul_f32 v22, v114, v5
	v_mul_f32_e32 v3, v113, v3
	s_wait_loadcnt_dscnt 0x504
	v_dual_mul_f32 v5, v115, v5 :: v_dual_mul_f32 v138, v116, v7
	v_mul_f32_e32 v139, v118, v9
	s_wait_loadcnt_dscnt 0x100
	v_mul_f32_e32 v146, v132, v25
	v_fma_f32 v3, v112, v2, -v3
	v_dual_mul_f32 v147, v134, v27 :: v_dual_fmac_f32 v22, v115, v4
	v_fmac_f32_e32 v1, v113, v2
	v_mul_f32_e32 v2, v117, v7
	v_fma_f32 v4, v114, v4, -v5
	v_dual_add_f32 v3, 0, v3 :: v_dual_fmac_f32 v138, v117, v6
	v_dual_mul_f32 v140, v120, v11 :: v_dual_mul_f32 v141, v122, v13
	v_dual_mul_f32 v142, v124, v15 :: v_dual_mul_f32 v143, v126, v17
	s_delay_alu instid0(VALU_DEP_2) | instskip(SKIP_1) | instid1(VALU_DEP_3)
	v_dual_mul_f32 v5, v119, v9 :: v_dual_fmac_f32 v140, v121, v10
	v_fma_f32 v2, v116, v6, -v2
	v_dual_add_f32 v3, v3, v4 :: v_dual_fmac_f32 v142, v125, v14
	s_delay_alu instid0(VALU_DEP_3) | instskip(SKIP_2) | instid1(VALU_DEP_4)
	v_fma_f32 v5, v118, v8, -v5
	v_mul_f32_e32 v4, v121, v11
	v_dual_mul_f32 v144, v128, v19 :: v_dual_mul_f32 v145, v130, v21
	v_add_f32_e32 v2, v3, v2
	v_mul_f32_e32 v3, v123, v13
	s_delay_alu instid0(VALU_DEP_4) | instskip(NEXT) | instid1(VALU_DEP_4)
	v_fma_f32 v4, v120, v10, -v4
	v_dual_fmac_f32 v144, v129, v18 :: v_dual_fmac_f32 v143, v127, v16
	s_delay_alu instid0(VALU_DEP_4) | instskip(SKIP_3) | instid1(VALU_DEP_4)
	v_add_f32_e32 v2, v2, v5
	v_add_f32_e32 v1, 0, v1
	v_fma_f32 v3, v122, v12, -v3
	v_fmac_f32_e32 v145, v131, v20
	v_dual_fmac_f32 v147, v135, v26 :: v_dual_add_f32 v2, v2, v4
	s_delay_alu instid0(VALU_DEP_4) | instskip(SKIP_2) | instid1(VALU_DEP_3)
	v_dual_add_f32 v1, v1, v22 :: v_dual_mul_f32 v4, v127, v17
	v_fmac_f32_e32 v139, v119, v8
	v_fmac_f32_e32 v146, v133, v24
	v_dual_add_f32 v2, v2, v3 :: v_dual_add_f32 v1, v1, v138
	s_delay_alu instid0(VALU_DEP_4) | instskip(SKIP_1) | instid1(VALU_DEP_3)
	v_fma_f32 v4, v126, v16, -v4
	v_mul_f32_e32 v5, v125, v15
	v_add_f32_e32 v1, v1, v139
	s_delay_alu instid0(VALU_DEP_2) | instskip(NEXT) | instid1(VALU_DEP_1)
	v_fma_f32 v5, v124, v14, -v5
	v_dual_fmac_f32 v141, v123, v12 :: v_dual_add_f32 v2, v2, v5
	s_delay_alu instid0(VALU_DEP_1) | instskip(NEXT) | instid1(VALU_DEP_1)
	v_dual_mul_f32 v5, v131, v21 :: v_dual_add_f32 v2, v2, v4
	v_fma_f32 v5, v130, v20, -v5
	v_mul_f32_e32 v3, v129, v19
	v_mul_f32_e32 v4, v133, v25
	s_delay_alu instid0(VALU_DEP_2) | instskip(SKIP_1) | instid1(VALU_DEP_3)
	v_fma_f32 v3, v128, v18, -v3
	v_add_f32_e32 v1, v1, v140
	v_fma_f32 v4, v132, v24, -v4
	s_delay_alu instid0(VALU_DEP_3) | instskip(NEXT) | instid1(VALU_DEP_1)
	v_add_f32_e32 v2, v2, v3
	v_dual_mul_f32 v3, v135, v27 :: v_dual_add_f32 v2, v2, v5
	s_delay_alu instid0(VALU_DEP_4) | instskip(NEXT) | instid1(VALU_DEP_2)
	v_add_f32_e32 v1, v1, v141
	v_fma_f32 v3, v134, v26, -v3
	s_delay_alu instid0(VALU_DEP_2) | instskip(NEXT) | instid1(VALU_DEP_1)
	v_dual_add_f32 v2, v2, v4 :: v_dual_add_f32 v1, v1, v142
	v_add_f32_e32 v2, v2, v3
	s_delay_alu instid0(VALU_DEP_2) | instskip(NEXT) | instid1(VALU_DEP_1)
	v_add_f32_e32 v1, v1, v143
	v_add_f32_e32 v1, v1, v144
	s_delay_alu instid0(VALU_DEP_1) | instskip(NEXT) | instid1(VALU_DEP_1)
	v_add_f32_e32 v1, v1, v145
	v_add_f32_e32 v1, v1, v146
	s_delay_alu instid0(VALU_DEP_1) | instskip(SKIP_1) | instid1(VALU_DEP_1)
	v_add_f32_e32 v3, v1, v147
	s_wait_loadcnt 0x0
	v_dual_sub_f32 v1, v136, v2 :: v_dual_sub_f32 v2, v137, v3
	scratch_store_b64 off, v[1:2], off offset:232
	v_cmpx_lt_u32_e32 28, v0
	s_cbranch_execz .LBB41_209
; %bb.208:
	scratch_load_b64 v[1:2], off, off offset:224
	v_mov_b32_e32 v3, 0
	s_delay_alu instid0(VALU_DEP_1)
	v_mov_b32_e32 v4, v3
	scratch_store_b64 off, v[3:4], off offset:224
	s_wait_loadcnt 0x0
	ds_store_b64 v23, v[1:2]
.LBB41_209:
	s_wait_alu 0xfffe
	s_or_b32 exec_lo, exec_lo, s0
	s_wait_storecnt_dscnt 0x0
	s_barrier_signal -1
	s_barrier_wait -1
	global_inv scope:SCOPE_SE
	s_clause 0x7
	scratch_load_b128 v[2:5], off, off offset:232
	scratch_load_b128 v[6:9], off, off offset:248
	;; [unrolled: 1-line block ×6, first 2 shown]
	scratch_load_b64 v[136:137], off, off offset:328
	scratch_load_b64 v[138:139], off, off offset:224
	v_mov_b32_e32 v1, 0
	ds_load_2addr_b64 v[112:115], v1 offset0:71 offset1:72
	ds_load_2addr_b64 v[116:119], v1 offset0:73 offset1:74
	;; [unrolled: 1-line block ×6, first 2 shown]
	ds_load_b64 v[140:141], v1 offset:664
	s_mov_b32 s0, exec_lo
	s_wait_loadcnt_dscnt 0x706
	v_mul_f32_e32 v22, v112, v3
	v_dual_mul_f32 v3, v113, v3 :: v_dual_mul_f32 v142, v114, v5
	s_wait_loadcnt_dscnt 0x302
	v_dual_mul_f32 v143, v116, v7 :: v_dual_mul_f32 v150, v130, v21
	v_mul_f32_e32 v5, v115, v5
	s_delay_alu instid0(VALU_DEP_3)
	v_fma_f32 v3, v112, v2, -v3
	v_dual_mul_f32 v144, v118, v9 :: v_dual_mul_f32 v145, v120, v11
	s_wait_loadcnt_dscnt 0x100
	v_dual_mul_f32 v153, v140, v137 :: v_dual_fmac_f32 v22, v113, v2
	v_mul_f32_e32 v2, v117, v7
	v_dual_fmac_f32 v142, v115, v4 :: v_dual_add_f32 v3, 0, v3
	v_fma_f32 v4, v114, v4, -v5
	s_delay_alu instid0(VALU_DEP_4) | instskip(SKIP_2) | instid1(VALU_DEP_4)
	v_dual_add_f32 v5, 0, v22 :: v_dual_fmac_f32 v144, v119, v8
	v_mul_f32_e32 v7, v119, v9
	v_fma_f32 v2, v116, v6, -v2
	v_add_f32_e32 v3, v3, v4
	v_fmac_f32_e32 v143, v117, v6
	v_add_f32_e32 v4, v5, v142
	v_mul_f32_e32 v5, v121, v11
	v_fma_f32 v6, v118, v8, -v7
	v_add_f32_e32 v2, v3, v2
	v_dual_mul_f32 v146, v122, v13 :: v_dual_mul_f32 v147, v124, v15
	v_dual_add_f32 v3, v4, v143 :: v_dual_mul_f32 v4, v123, v13
	v_fma_f32 v5, v120, v10, -v5
	s_delay_alu instid0(VALU_DEP_4)
	v_add_f32_e32 v2, v2, v6
	v_fmac_f32_e32 v145, v121, v10
	v_mul_f32_e32 v6, v125, v15
	v_fmac_f32_e32 v146, v123, v12
	v_add_f32_e32 v3, v3, v144
	v_fma_f32 v4, v122, v12, -v4
	v_add_f32_e32 v2, v2, v5
	v_dual_mul_f32 v148, v126, v17 :: v_dual_mul_f32 v149, v128, v19
	s_delay_alu instid0(VALU_DEP_4)
	v_add_f32_e32 v3, v3, v145
	v_mul_f32_e32 v5, v127, v17
	v_fma_f32 v6, v124, v14, -v6
	v_dual_add_f32 v2, v2, v4 :: v_dual_fmac_f32 v147, v125, v14
	v_fmac_f32_e32 v148, v127, v16
	v_mul_f32_e32 v4, v129, v19
	v_fma_f32 v5, v126, v16, -v5
	s_delay_alu instid0(VALU_DEP_4) | instskip(SKIP_3) | instid1(VALU_DEP_3)
	v_add_f32_e32 v2, v2, v6
	v_add_f32_e32 v3, v3, v146
	v_dual_mul_f32 v6, v131, v21 :: v_dual_fmac_f32 v149, v129, v18
	v_fma_f32 v4, v128, v18, -v4
	v_dual_add_f32 v2, v2, v5 :: v_dual_add_f32 v3, v3, v147
	s_delay_alu instid0(VALU_DEP_3) | instskip(SKIP_1) | instid1(VALU_DEP_3)
	v_fma_f32 v6, v130, v20, -v6
	v_dual_mul_f32 v151, v132, v25 :: v_dual_mul_f32 v152, v134, v27
	v_add_f32_e32 v2, v2, v4
	s_delay_alu instid0(VALU_DEP_4) | instskip(SKIP_1) | instid1(VALU_DEP_4)
	v_add_f32_e32 v3, v3, v148
	v_dual_mul_f32 v5, v133, v25 :: v_dual_fmac_f32 v150, v131, v20
	v_dual_mul_f32 v4, v135, v27 :: v_dual_fmac_f32 v151, v133, v24
	s_delay_alu instid0(VALU_DEP_3) | instskip(NEXT) | instid1(VALU_DEP_3)
	v_dual_add_f32 v2, v2, v6 :: v_dual_add_f32 v3, v3, v149
	v_fma_f32 v5, v132, v24, -v5
	v_mul_f32_e32 v6, v141, v137
	v_dual_fmac_f32 v152, v135, v26 :: v_dual_fmac_f32 v153, v141, v136
	s_delay_alu instid0(VALU_DEP_4) | instskip(SKIP_3) | instid1(VALU_DEP_4)
	v_add_f32_e32 v3, v3, v150
	v_fma_f32 v4, v134, v26, -v4
	v_add_f32_e32 v2, v2, v5
	v_fma_f32 v5, v140, v136, -v6
	v_add_f32_e32 v3, v3, v151
	s_delay_alu instid0(VALU_DEP_1) | instskip(NEXT) | instid1(VALU_DEP_1)
	v_add_f32_e32 v3, v3, v152
	v_dual_add_f32 v2, v2, v4 :: v_dual_add_f32 v3, v3, v153
	s_wait_loadcnt 0x0
	s_delay_alu instid0(VALU_DEP_1) | instskip(NEXT) | instid1(VALU_DEP_1)
	v_dual_add_f32 v2, v2, v5 :: v_dual_sub_f32 v3, v139, v3
	v_sub_f32_e32 v2, v138, v2
	scratch_store_b64 off, v[2:3], off offset:224
	v_cmpx_lt_u32_e32 27, v0
	s_cbranch_execz .LBB41_211
; %bb.210:
	scratch_load_b64 v[3:4], off, off offset:216
	v_mov_b32_e32 v2, v1
	scratch_store_b64 off, v[1:2], off offset:216
	s_wait_loadcnt 0x0
	ds_store_b64 v23, v[3:4]
.LBB41_211:
	s_wait_alu 0xfffe
	s_or_b32 exec_lo, exec_lo, s0
	s_wait_storecnt_dscnt 0x0
	s_barrier_signal -1
	s_barrier_wait -1
	global_inv scope:SCOPE_SE
	s_clause 0x7
	scratch_load_b128 v[2:5], off, off offset:224
	scratch_load_b128 v[6:9], off, off offset:240
	;; [unrolled: 1-line block ×7, first 2 shown]
	scratch_load_b64 v[144:145], off, off offset:216
	ds_load_b128 v[116:119], v1 offset:560
	ds_load_b128 v[120:123], v1 offset:576
	;; [unrolled: 1-line block ×7, first 2 shown]
	s_mov_b32 s0, exec_lo
	s_wait_loadcnt_dscnt 0x706
	v_dual_mul_f32 v1, v116, v3 :: v_dual_mul_f32 v22, v118, v5
	v_mul_f32_e32 v3, v117, v3
	s_wait_loadcnt_dscnt 0x605
	v_dual_mul_f32 v5, v119, v5 :: v_dual_mul_f32 v146, v120, v7
	v_mul_f32_e32 v147, v122, v9
	s_wait_loadcnt_dscnt 0x201
	v_mul_f32_e32 v154, v136, v25
	v_fma_f32 v3, v116, v2, -v3
	s_wait_loadcnt_dscnt 0x100
	v_dual_mul_f32 v157, v142, v115 :: v_dual_fmac_f32 v22, v119, v4
	v_fmac_f32_e32 v1, v117, v2
	v_mul_f32_e32 v2, v121, v7
	v_fma_f32 v4, v118, v4, -v5
	v_dual_add_f32 v3, 0, v3 :: v_dual_fmac_f32 v146, v121, v6
	v_dual_mul_f32 v148, v124, v11 :: v_dual_mul_f32 v149, v126, v13
	v_dual_mul_f32 v150, v128, v15 :: v_dual_mul_f32 v151, v130, v17
	s_delay_alu instid0(VALU_DEP_2) | instskip(SKIP_1) | instid1(VALU_DEP_3)
	v_dual_mul_f32 v5, v123, v9 :: v_dual_fmac_f32 v148, v125, v10
	v_fma_f32 v2, v120, v6, -v2
	v_dual_add_f32 v3, v3, v4 :: v_dual_fmac_f32 v150, v129, v14
	s_delay_alu instid0(VALU_DEP_3) | instskip(SKIP_1) | instid1(VALU_DEP_3)
	v_fma_f32 v5, v122, v8, -v5
	v_dual_mul_f32 v152, v132, v19 :: v_dual_mul_f32 v153, v134, v21
	v_add_f32_e32 v2, v3, v2
	v_dual_mul_f32 v4, v125, v11 :: v_dual_mul_f32 v3, v127, v13
	s_delay_alu instid0(VALU_DEP_3) | instskip(NEXT) | instid1(VALU_DEP_3)
	v_dual_fmac_f32 v152, v133, v18 :: v_dual_fmac_f32 v151, v131, v16
	v_add_f32_e32 v2, v2, v5
	v_add_f32_e32 v1, 0, v1
	s_delay_alu instid0(VALU_DEP_4) | instskip(SKIP_2) | instid1(VALU_DEP_3)
	v_fma_f32 v4, v124, v10, -v4
	v_fma_f32 v3, v126, v12, -v3
	v_dual_mul_f32 v155, v138, v27 :: v_dual_mul_f32 v156, v140, v113
	v_dual_add_f32 v1, v1, v22 :: v_dual_add_f32 v2, v2, v4
	v_mul_f32_e32 v4, v131, v17
	v_fmac_f32_e32 v147, v123, v8
	s_delay_alu instid0(VALU_DEP_4) | instskip(NEXT) | instid1(VALU_DEP_4)
	v_fmac_f32_e32 v155, v139, v26
	v_dual_add_f32 v1, v1, v146 :: v_dual_add_f32 v2, v2, v3
	s_delay_alu instid0(VALU_DEP_4) | instskip(SKIP_2) | instid1(VALU_DEP_4)
	v_fma_f32 v4, v130, v16, -v4
	v_mul_f32_e32 v5, v129, v15
	v_fmac_f32_e32 v157, v143, v114
	v_add_f32_e32 v1, v1, v147
	v_fmac_f32_e32 v154, v137, v24
	v_fmac_f32_e32 v156, v141, v112
	v_fma_f32 v5, v128, v14, -v5
	s_delay_alu instid0(VALU_DEP_1) | instskip(NEXT) | instid1(VALU_DEP_1)
	v_dual_fmac_f32 v149, v127, v12 :: v_dual_add_f32 v2, v2, v5
	v_dual_mul_f32 v5, v135, v21 :: v_dual_add_f32 v2, v2, v4
	s_delay_alu instid0(VALU_DEP_1) | instskip(SKIP_2) | instid1(VALU_DEP_2)
	v_fma_f32 v5, v134, v20, -v5
	v_mul_f32_e32 v3, v133, v19
	v_mul_f32_e32 v4, v137, v25
	v_fma_f32 v3, v132, v18, -v3
	v_add_f32_e32 v1, v1, v148
	s_delay_alu instid0(VALU_DEP_3) | instskip(NEXT) | instid1(VALU_DEP_3)
	v_fma_f32 v4, v136, v24, -v4
	v_add_f32_e32 v2, v2, v3
	s_delay_alu instid0(VALU_DEP_1) | instskip(NEXT) | instid1(VALU_DEP_4)
	v_dual_mul_f32 v3, v139, v27 :: v_dual_add_f32 v2, v2, v5
	v_add_f32_e32 v1, v1, v149
	v_mul_f32_e32 v5, v141, v113
	s_delay_alu instid0(VALU_DEP_3) | instskip(NEXT) | instid1(VALU_DEP_3)
	v_fma_f32 v3, v138, v26, -v3
	v_dual_add_f32 v2, v2, v4 :: v_dual_add_f32 v1, v1, v150
	v_mul_f32_e32 v4, v143, v115
	v_fmac_f32_e32 v153, v135, v20
	v_fma_f32 v5, v140, v112, -v5
	s_delay_alu instid0(VALU_DEP_4) | instskip(SKIP_2) | instid1(VALU_DEP_2)
	v_add_f32_e32 v2, v2, v3
	v_add_f32_e32 v1, v1, v151
	v_fma_f32 v3, v142, v114, -v4
	v_dual_add_f32 v2, v2, v5 :: v_dual_add_f32 v1, v1, v152
	s_delay_alu instid0(VALU_DEP_1) | instskip(NEXT) | instid1(VALU_DEP_1)
	v_dual_add_f32 v2, v2, v3 :: v_dual_add_f32 v1, v1, v153
	v_add_f32_e32 v1, v1, v154
	s_delay_alu instid0(VALU_DEP_1) | instskip(NEXT) | instid1(VALU_DEP_1)
	v_add_f32_e32 v1, v1, v155
	v_add_f32_e32 v1, v1, v156
	s_delay_alu instid0(VALU_DEP_1) | instskip(SKIP_1) | instid1(VALU_DEP_1)
	v_add_f32_e32 v3, v1, v157
	s_wait_loadcnt 0x0
	v_dual_sub_f32 v1, v144, v2 :: v_dual_sub_f32 v2, v145, v3
	scratch_store_b64 off, v[1:2], off offset:216
	v_cmpx_lt_u32_e32 26, v0
	s_cbranch_execz .LBB41_213
; %bb.212:
	scratch_load_b64 v[1:2], off, off offset:208
	v_mov_b32_e32 v3, 0
	s_delay_alu instid0(VALU_DEP_1)
	v_mov_b32_e32 v4, v3
	scratch_store_b64 off, v[3:4], off offset:208
	s_wait_loadcnt 0x0
	ds_store_b64 v23, v[1:2]
.LBB41_213:
	s_wait_alu 0xfffe
	s_or_b32 exec_lo, exec_lo, s0
	s_wait_storecnt_dscnt 0x0
	s_barrier_signal -1
	s_barrier_wait -1
	global_inv scope:SCOPE_SE
	s_clause 0x8
	scratch_load_b128 v[2:5], off, off offset:216
	scratch_load_b128 v[6:9], off, off offset:232
	;; [unrolled: 1-line block ×7, first 2 shown]
	scratch_load_b64 v[144:145], off, off offset:328
	scratch_load_b64 v[146:147], off, off offset:208
	v_mov_b32_e32 v1, 0
	ds_load_2addr_b64 v[116:119], v1 offset0:69 offset1:70
	ds_load_2addr_b64 v[120:123], v1 offset0:71 offset1:72
	;; [unrolled: 1-line block ×7, first 2 shown]
	ds_load_b64 v[148:149], v1 offset:664
	s_mov_b32 s0, exec_lo
	s_wait_loadcnt_dscnt 0x807
	v_mul_f32_e32 v22, v116, v3
	v_dual_mul_f32 v3, v117, v3 :: v_dual_mul_f32 v150, v118, v5
	s_wait_loadcnt_dscnt 0x403
	v_dual_mul_f32 v151, v120, v7 :: v_dual_mul_f32 v158, v134, v21
	v_mul_f32_e32 v5, v119, v5
	s_delay_alu instid0(VALU_DEP_3)
	v_fma_f32 v3, v116, v2, -v3
	v_dual_mul_f32 v152, v122, v9 :: v_dual_mul_f32 v153, v124, v11
	s_wait_loadcnt_dscnt 0x100
	v_dual_mul_f32 v163, v148, v145 :: v_dual_fmac_f32 v22, v117, v2
	v_mul_f32_e32 v2, v121, v7
	v_dual_fmac_f32 v150, v119, v4 :: v_dual_add_f32 v3, 0, v3
	v_fma_f32 v4, v118, v4, -v5
	s_delay_alu instid0(VALU_DEP_4) | instskip(SKIP_2) | instid1(VALU_DEP_4)
	v_dual_add_f32 v5, 0, v22 :: v_dual_fmac_f32 v152, v123, v8
	v_mul_f32_e32 v7, v123, v9
	v_fma_f32 v2, v120, v6, -v2
	v_add_f32_e32 v3, v3, v4
	v_fmac_f32_e32 v151, v121, v6
	v_add_f32_e32 v4, v5, v150
	v_mul_f32_e32 v5, v125, v11
	v_fma_f32 v6, v122, v8, -v7
	v_add_f32_e32 v2, v3, v2
	v_dual_mul_f32 v154, v126, v13 :: v_dual_mul_f32 v155, v128, v15
	v_dual_add_f32 v3, v4, v151 :: v_dual_mul_f32 v4, v127, v13
	v_fma_f32 v5, v124, v10, -v5
	s_delay_alu instid0(VALU_DEP_4)
	v_add_f32_e32 v2, v2, v6
	v_fmac_f32_e32 v153, v125, v10
	v_mul_f32_e32 v6, v129, v15
	v_fmac_f32_e32 v154, v127, v12
	v_add_f32_e32 v3, v3, v152
	v_fma_f32 v4, v126, v12, -v4
	v_add_f32_e32 v2, v2, v5
	v_dual_mul_f32 v156, v130, v17 :: v_dual_mul_f32 v157, v132, v19
	s_delay_alu instid0(VALU_DEP_4)
	v_add_f32_e32 v3, v3, v153
	v_mul_f32_e32 v5, v131, v17
	v_fma_f32 v6, v128, v14, -v6
	v_dual_add_f32 v2, v2, v4 :: v_dual_fmac_f32 v155, v129, v14
	v_fmac_f32_e32 v156, v131, v16
	v_mul_f32_e32 v4, v133, v19
	v_fma_f32 v5, v130, v16, -v5
	s_delay_alu instid0(VALU_DEP_4) | instskip(SKIP_3) | instid1(VALU_DEP_3)
	v_add_f32_e32 v2, v2, v6
	v_add_f32_e32 v3, v3, v154
	v_dual_mul_f32 v6, v135, v21 :: v_dual_fmac_f32 v157, v133, v18
	v_fma_f32 v4, v132, v18, -v4
	v_dual_add_f32 v2, v2, v5 :: v_dual_add_f32 v3, v3, v155
	s_delay_alu instid0(VALU_DEP_3) | instskip(SKIP_1) | instid1(VALU_DEP_3)
	v_fma_f32 v6, v134, v20, -v6
	v_dual_mul_f32 v159, v136, v25 :: v_dual_mul_f32 v160, v138, v27
	v_add_f32_e32 v2, v2, v4
	s_delay_alu instid0(VALU_DEP_4) | instskip(SKIP_1) | instid1(VALU_DEP_4)
	v_add_f32_e32 v3, v3, v156
	v_dual_mul_f32 v5, v137, v25 :: v_dual_fmac_f32 v158, v135, v20
	v_dual_mul_f32 v4, v139, v27 :: v_dual_fmac_f32 v159, v137, v24
	s_delay_alu instid0(VALU_DEP_3) | instskip(NEXT) | instid1(VALU_DEP_3)
	v_dual_add_f32 v2, v2, v6 :: v_dual_add_f32 v3, v3, v157
	v_fma_f32 v5, v136, v24, -v5
	v_dual_mul_f32 v161, v140, v113 :: v_dual_mul_f32 v162, v142, v115
	s_delay_alu instid0(VALU_DEP_3) | instskip(NEXT) | instid1(VALU_DEP_2)
	v_dual_mul_f32 v6, v141, v113 :: v_dual_add_f32 v3, v3, v158
	v_dual_fmac_f32 v160, v139, v26 :: v_dual_fmac_f32 v161, v141, v112
	v_fma_f32 v4, v138, v26, -v4
	s_delay_alu instid0(VALU_DEP_3) | instskip(SKIP_3) | instid1(VALU_DEP_4)
	v_dual_add_f32 v2, v2, v5 :: v_dual_add_f32 v3, v3, v159
	v_mul_f32_e32 v5, v143, v115
	v_fma_f32 v6, v140, v112, -v6
	v_dual_fmac_f32 v162, v143, v114 :: v_dual_fmac_f32 v163, v149, v144
	v_add_f32_e32 v2, v2, v4
	v_dual_add_f32 v3, v3, v160 :: v_dual_mul_f32 v4, v149, v145
	v_fma_f32 v5, v142, v114, -v5
	s_delay_alu instid0(VALU_DEP_2) | instskip(NEXT) | instid1(VALU_DEP_3)
	v_dual_add_f32 v2, v2, v6 :: v_dual_add_f32 v3, v3, v161
	v_fma_f32 v4, v148, v144, -v4
	s_delay_alu instid0(VALU_DEP_2) | instskip(NEXT) | instid1(VALU_DEP_1)
	v_dual_add_f32 v2, v2, v5 :: v_dual_add_f32 v3, v3, v162
	v_dual_add_f32 v2, v2, v4 :: v_dual_add_f32 v3, v3, v163
	s_wait_loadcnt 0x0
	s_delay_alu instid0(VALU_DEP_1)
	v_dual_sub_f32 v2, v146, v2 :: v_dual_sub_f32 v3, v147, v3
	scratch_store_b64 off, v[2:3], off offset:208
	v_cmpx_lt_u32_e32 25, v0
	s_cbranch_execz .LBB41_215
; %bb.214:
	scratch_load_b64 v[3:4], off, off offset:200
	v_mov_b32_e32 v2, v1
	scratch_store_b64 off, v[1:2], off offset:200
	s_wait_loadcnt 0x0
	ds_store_b64 v23, v[3:4]
.LBB41_215:
	s_wait_alu 0xfffe
	s_or_b32 exec_lo, exec_lo, s0
	s_wait_storecnt_dscnt 0x0
	s_barrier_signal -1
	s_barrier_wait -1
	global_inv scope:SCOPE_SE
	s_clause 0x8
	scratch_load_b128 v[2:5], off, off offset:208
	scratch_load_b128 v[6:9], off, off offset:224
	;; [unrolled: 1-line block ×8, first 2 shown]
	scratch_load_b64 v[152:153], off, off offset:200
	ds_load_b128 v[120:123], v1 offset:544
	ds_load_b128 v[124:127], v1 offset:560
	;; [unrolled: 1-line block ×8, first 2 shown]
	s_mov_b32 s0, exec_lo
	s_wait_loadcnt_dscnt 0x807
	v_dual_mul_f32 v1, v120, v3 :: v_dual_mul_f32 v22, v122, v5
	v_mul_f32_e32 v3, v121, v3
	s_wait_loadcnt_dscnt 0x706
	v_dual_mul_f32 v5, v123, v5 :: v_dual_mul_f32 v154, v124, v7
	v_mul_f32_e32 v155, v126, v9
	s_wait_loadcnt_dscnt 0x201
	v_mul_f32_e32 v164, v144, v113
	v_fma_f32 v3, v120, v2, -v3
	s_wait_loadcnt_dscnt 0x100
	v_dual_mul_f32 v167, v150, v119 :: v_dual_fmac_f32 v22, v123, v4
	v_fmac_f32_e32 v1, v121, v2
	v_mul_f32_e32 v2, v125, v7
	v_fma_f32 v4, v122, v4, -v5
	v_dual_add_f32 v3, 0, v3 :: v_dual_fmac_f32 v154, v125, v6
	v_dual_mul_f32 v156, v128, v11 :: v_dual_mul_f32 v157, v130, v13
	v_dual_mul_f32 v158, v132, v15 :: v_dual_mul_f32 v159, v134, v17
	s_delay_alu instid0(VALU_DEP_2) | instskip(SKIP_1) | instid1(VALU_DEP_3)
	v_dual_mul_f32 v5, v127, v9 :: v_dual_fmac_f32 v156, v129, v10
	v_fma_f32 v2, v124, v6, -v2
	v_dual_add_f32 v3, v3, v4 :: v_dual_fmac_f32 v158, v133, v14
	s_delay_alu instid0(VALU_DEP_3) | instskip(SKIP_1) | instid1(VALU_DEP_3)
	v_fma_f32 v5, v126, v8, -v5
	v_dual_mul_f32 v160, v136, v19 :: v_dual_mul_f32 v161, v138, v21
	v_add_f32_e32 v2, v3, v2
	v_dual_mul_f32 v4, v129, v11 :: v_dual_mul_f32 v3, v131, v13
	s_delay_alu instid0(VALU_DEP_3) | instskip(SKIP_1) | instid1(VALU_DEP_4)
	v_fmac_f32_e32 v160, v137, v18
	v_dual_mul_f32 v162, v140, v25 :: v_dual_mul_f32 v163, v142, v27
	v_add_f32_e32 v2, v2, v5
	v_add_f32_e32 v1, 0, v1
	v_fma_f32 v4, v128, v10, -v4
	v_fma_f32 v3, v130, v12, -v3
	v_fmac_f32_e32 v159, v135, v16
	v_dual_mul_f32 v165, v146, v115 :: v_dual_mul_f32 v166, v148, v117
	s_delay_alu instid0(VALU_DEP_4) | instskip(SKIP_2) | instid1(VALU_DEP_4)
	v_dual_add_f32 v1, v1, v22 :: v_dual_add_f32 v2, v2, v4
	v_mul_f32_e32 v4, v135, v17
	v_fmac_f32_e32 v155, v127, v8
	v_dual_fmac_f32 v163, v143, v26 :: v_dual_fmac_f32 v166, v149, v116
	s_delay_alu instid0(VALU_DEP_4) | instskip(NEXT) | instid1(VALU_DEP_4)
	v_add_f32_e32 v1, v1, v154
	v_fma_f32 v4, v134, v16, -v4
	v_mul_f32_e32 v5, v133, v15
	v_dual_add_f32 v2, v2, v3 :: v_dual_fmac_f32 v165, v147, v114
	s_delay_alu instid0(VALU_DEP_4) | instskip(SKIP_1) | instid1(VALU_DEP_4)
	v_add_f32_e32 v1, v1, v155
	v_fmac_f32_e32 v162, v141, v24
	v_fma_f32 v5, v132, v14, -v5
	v_fmac_f32_e32 v157, v131, v12
	v_dual_fmac_f32 v167, v151, v118 :: v_dual_fmac_f32 v164, v145, v112
	s_delay_alu instid0(VALU_DEP_3) | instskip(NEXT) | instid1(VALU_DEP_1)
	v_add_f32_e32 v2, v2, v5
	v_dual_mul_f32 v5, v139, v21 :: v_dual_add_f32 v2, v2, v4
	s_delay_alu instid0(VALU_DEP_1) | instskip(SKIP_2) | instid1(VALU_DEP_2)
	v_fma_f32 v5, v138, v20, -v5
	v_mul_f32_e32 v3, v137, v19
	v_mul_f32_e32 v4, v141, v25
	v_fma_f32 v3, v136, v18, -v3
	v_add_f32_e32 v1, v1, v156
	s_delay_alu instid0(VALU_DEP_3) | instskip(NEXT) | instid1(VALU_DEP_3)
	v_fma_f32 v4, v140, v24, -v4
	v_add_f32_e32 v2, v2, v3
	s_delay_alu instid0(VALU_DEP_1) | instskip(NEXT) | instid1(VALU_DEP_4)
	v_dual_mul_f32 v3, v143, v27 :: v_dual_add_f32 v2, v2, v5
	v_add_f32_e32 v1, v1, v157
	s_delay_alu instid0(VALU_DEP_2) | instskip(NEXT) | instid1(VALU_DEP_2)
	v_fma_f32 v3, v142, v26, -v3
	v_dual_add_f32 v2, v2, v4 :: v_dual_add_f32 v1, v1, v158
	v_mul_f32_e32 v4, v147, v115
	s_delay_alu instid0(VALU_DEP_2) | instskip(SKIP_1) | instid1(VALU_DEP_3)
	v_dual_fmac_f32 v161, v139, v20 :: v_dual_add_f32 v2, v2, v3
	v_mul_f32_e32 v3, v149, v117
	v_fma_f32 v4, v146, v114, -v4
	v_mul_f32_e32 v5, v145, v113
	s_delay_alu instid0(VALU_DEP_3) | instskip(NEXT) | instid1(VALU_DEP_2)
	v_fma_f32 v3, v148, v116, -v3
	v_fma_f32 v5, v144, v112, -v5
	s_delay_alu instid0(VALU_DEP_1) | instskip(NEXT) | instid1(VALU_DEP_1)
	v_dual_add_f32 v1, v1, v159 :: v_dual_add_f32 v2, v2, v5
	v_dual_mul_f32 v5, v151, v119 :: v_dual_add_f32 v2, v2, v4
	s_delay_alu instid0(VALU_DEP_2) | instskip(NEXT) | instid1(VALU_DEP_2)
	v_add_f32_e32 v1, v1, v160
	v_fma_f32 v4, v150, v118, -v5
	s_delay_alu instid0(VALU_DEP_2) | instskip(NEXT) | instid1(VALU_DEP_1)
	v_dual_add_f32 v2, v2, v3 :: v_dual_add_f32 v1, v1, v161
	v_dual_add_f32 v2, v2, v4 :: v_dual_add_f32 v1, v1, v162
	s_delay_alu instid0(VALU_DEP_1) | instskip(NEXT) | instid1(VALU_DEP_1)
	v_add_f32_e32 v1, v1, v163
	v_add_f32_e32 v1, v1, v164
	s_delay_alu instid0(VALU_DEP_1) | instskip(NEXT) | instid1(VALU_DEP_1)
	v_add_f32_e32 v1, v1, v165
	v_add_f32_e32 v1, v1, v166
	s_delay_alu instid0(VALU_DEP_1) | instskip(SKIP_1) | instid1(VALU_DEP_1)
	v_add_f32_e32 v3, v1, v167
	s_wait_loadcnt 0x0
	v_dual_sub_f32 v1, v152, v2 :: v_dual_sub_f32 v2, v153, v3
	scratch_store_b64 off, v[1:2], off offset:200
	v_cmpx_lt_u32_e32 24, v0
	s_cbranch_execz .LBB41_217
; %bb.216:
	scratch_load_b64 v[1:2], off, off offset:192
	v_mov_b32_e32 v3, 0
	s_delay_alu instid0(VALU_DEP_1)
	v_mov_b32_e32 v4, v3
	scratch_store_b64 off, v[3:4], off offset:192
	s_wait_loadcnt 0x0
	ds_store_b64 v23, v[1:2]
.LBB41_217:
	s_wait_alu 0xfffe
	s_or_b32 exec_lo, exec_lo, s0
	s_wait_storecnt_dscnt 0x0
	s_barrier_signal -1
	s_barrier_wait -1
	global_inv scope:SCOPE_SE
	s_clause 0x9
	scratch_load_b128 v[2:5], off, off offset:200
	scratch_load_b128 v[6:9], off, off offset:216
	;; [unrolled: 1-line block ×8, first 2 shown]
	scratch_load_b64 v[152:153], off, off offset:328
	scratch_load_b64 v[154:155], off, off offset:192
	v_mov_b32_e32 v1, 0
	ds_load_2addr_b64 v[120:123], v1 offset0:67 offset1:68
	ds_load_2addr_b64 v[124:127], v1 offset0:69 offset1:70
	;; [unrolled: 1-line block ×8, first 2 shown]
	ds_load_b64 v[156:157], v1 offset:664
	s_mov_b32 s0, exec_lo
	s_wait_loadcnt_dscnt 0x908
	v_mul_f32_e32 v22, v120, v3
	v_dual_mul_f32 v3, v121, v3 :: v_dual_mul_f32 v158, v122, v5
	s_wait_loadcnt_dscnt 0x504
	v_dual_mul_f32 v159, v124, v7 :: v_dual_mul_f32 v166, v138, v21
	v_mul_f32_e32 v5, v123, v5
	s_delay_alu instid0(VALU_DEP_3)
	v_fma_f32 v3, v120, v2, -v3
	v_dual_mul_f32 v160, v126, v9 :: v_dual_mul_f32 v161, v128, v11
	s_wait_loadcnt_dscnt 0x100
	v_dual_mul_f32 v173, v156, v153 :: v_dual_fmac_f32 v22, v121, v2
	v_mul_f32_e32 v2, v125, v7
	v_dual_fmac_f32 v158, v123, v4 :: v_dual_add_f32 v3, 0, v3
	v_fma_f32 v4, v122, v4, -v5
	s_delay_alu instid0(VALU_DEP_4) | instskip(SKIP_2) | instid1(VALU_DEP_4)
	v_dual_add_f32 v5, 0, v22 :: v_dual_fmac_f32 v160, v127, v8
	v_mul_f32_e32 v7, v127, v9
	v_fma_f32 v2, v124, v6, -v2
	v_add_f32_e32 v3, v3, v4
	v_fmac_f32_e32 v159, v125, v6
	v_add_f32_e32 v4, v5, v158
	v_mul_f32_e32 v5, v129, v11
	v_fma_f32 v6, v126, v8, -v7
	v_add_f32_e32 v2, v3, v2
	v_dual_mul_f32 v162, v130, v13 :: v_dual_mul_f32 v163, v132, v15
	v_dual_add_f32 v3, v4, v159 :: v_dual_mul_f32 v4, v131, v13
	v_fma_f32 v5, v128, v10, -v5
	s_delay_alu instid0(VALU_DEP_4)
	v_add_f32_e32 v2, v2, v6
	v_fmac_f32_e32 v161, v129, v10
	v_mul_f32_e32 v6, v133, v15
	v_fmac_f32_e32 v162, v131, v12
	v_add_f32_e32 v3, v3, v160
	v_fma_f32 v4, v130, v12, -v4
	v_add_f32_e32 v2, v2, v5
	v_dual_mul_f32 v164, v134, v17 :: v_dual_mul_f32 v165, v136, v19
	s_delay_alu instid0(VALU_DEP_4)
	v_add_f32_e32 v3, v3, v161
	v_mul_f32_e32 v5, v135, v17
	v_fma_f32 v6, v132, v14, -v6
	v_dual_add_f32 v2, v2, v4 :: v_dual_fmac_f32 v163, v133, v14
	v_fmac_f32_e32 v164, v135, v16
	v_mul_f32_e32 v4, v137, v19
	v_fma_f32 v5, v134, v16, -v5
	s_delay_alu instid0(VALU_DEP_4) | instskip(SKIP_3) | instid1(VALU_DEP_3)
	v_add_f32_e32 v2, v2, v6
	v_add_f32_e32 v3, v3, v162
	v_dual_mul_f32 v6, v139, v21 :: v_dual_fmac_f32 v165, v137, v18
	v_fma_f32 v4, v136, v18, -v4
	v_dual_add_f32 v2, v2, v5 :: v_dual_add_f32 v3, v3, v163
	s_delay_alu instid0(VALU_DEP_3) | instskip(SKIP_1) | instid1(VALU_DEP_3)
	v_fma_f32 v6, v138, v20, -v6
	v_dual_mul_f32 v167, v140, v25 :: v_dual_mul_f32 v168, v142, v27
	v_add_f32_e32 v2, v2, v4
	s_delay_alu instid0(VALU_DEP_4) | instskip(SKIP_1) | instid1(VALU_DEP_4)
	v_add_f32_e32 v3, v3, v164
	v_dual_mul_f32 v5, v141, v25 :: v_dual_fmac_f32 v166, v139, v20
	v_dual_mul_f32 v4, v143, v27 :: v_dual_fmac_f32 v167, v141, v24
	s_delay_alu instid0(VALU_DEP_3) | instskip(NEXT) | instid1(VALU_DEP_3)
	v_dual_add_f32 v2, v2, v6 :: v_dual_add_f32 v3, v3, v165
	v_fma_f32 v5, v140, v24, -v5
	v_dual_mul_f32 v169, v144, v113 :: v_dual_mul_f32 v170, v146, v115
	s_delay_alu instid0(VALU_DEP_3) | instskip(NEXT) | instid1(VALU_DEP_2)
	v_dual_mul_f32 v6, v145, v113 :: v_dual_add_f32 v3, v3, v166
	v_dual_fmac_f32 v168, v143, v26 :: v_dual_fmac_f32 v169, v145, v112
	v_fma_f32 v4, v142, v26, -v4
	s_delay_alu instid0(VALU_DEP_3) | instskip(SKIP_3) | instid1(VALU_DEP_4)
	v_dual_add_f32 v2, v2, v5 :: v_dual_add_f32 v3, v3, v167
	v_mul_f32_e32 v5, v147, v115
	v_fma_f32 v6, v144, v112, -v6
	v_dual_mul_f32 v171, v148, v117 :: v_dual_mul_f32 v172, v150, v119
	v_add_f32_e32 v2, v2, v4
	v_dual_add_f32 v3, v3, v168 :: v_dual_mul_f32 v4, v149, v117
	s_delay_alu instid0(VALU_DEP_3) | instskip(SKIP_1) | instid1(VALU_DEP_3)
	v_dual_fmac_f32 v170, v147, v114 :: v_dual_fmac_f32 v171, v149, v116
	v_fma_f32 v5, v146, v114, -v5
	v_dual_add_f32 v2, v2, v6 :: v_dual_add_f32 v3, v3, v169
	v_mul_f32_e32 v6, v151, v119
	v_fma_f32 v4, v148, v116, -v4
	v_dual_fmac_f32 v172, v151, v118 :: v_dual_fmac_f32 v173, v157, v152
	s_delay_alu instid0(VALU_DEP_4) | instskip(SKIP_2) | instid1(VALU_DEP_3)
	v_dual_add_f32 v2, v2, v5 :: v_dual_add_f32 v3, v3, v170
	v_mul_f32_e32 v5, v157, v153
	v_fma_f32 v6, v150, v118, -v6
	v_dual_add_f32 v2, v2, v4 :: v_dual_add_f32 v3, v3, v171
	s_delay_alu instid0(VALU_DEP_3) | instskip(NEXT) | instid1(VALU_DEP_2)
	v_fma_f32 v4, v156, v152, -v5
	v_dual_add_f32 v2, v2, v6 :: v_dual_add_f32 v3, v3, v172
	s_delay_alu instid0(VALU_DEP_1) | instskip(SKIP_1) | instid1(VALU_DEP_1)
	v_dual_add_f32 v2, v2, v4 :: v_dual_add_f32 v3, v3, v173
	s_wait_loadcnt 0x0
	v_dual_sub_f32 v2, v154, v2 :: v_dual_sub_f32 v3, v155, v3
	scratch_store_b64 off, v[2:3], off offset:192
	v_cmpx_lt_u32_e32 23, v0
	s_cbranch_execz .LBB41_219
; %bb.218:
	scratch_load_b64 v[3:4], off, off offset:184
	v_mov_b32_e32 v2, v1
	scratch_store_b64 off, v[1:2], off offset:184
	s_wait_loadcnt 0x0
	ds_store_b64 v23, v[3:4]
.LBB41_219:
	s_wait_alu 0xfffe
	s_or_b32 exec_lo, exec_lo, s0
	s_wait_storecnt_dscnt 0x0
	s_barrier_signal -1
	s_barrier_wait -1
	global_inv scope:SCOPE_SE
	s_clause 0x9
	scratch_load_b128 v[2:5], off, off offset:192
	scratch_load_b128 v[6:9], off, off offset:208
	;; [unrolled: 1-line block ×9, first 2 shown]
	scratch_load_b64 v[160:161], off, off offset:184
	ds_load_b128 v[124:127], v1 offset:528
	ds_load_b128 v[128:131], v1 offset:544
	;; [unrolled: 1-line block ×9, first 2 shown]
	s_mov_b32 s0, exec_lo
	s_wait_loadcnt_dscnt 0x908
	v_dual_mul_f32 v1, v124, v3 :: v_dual_mul_f32 v22, v126, v5
	v_mul_f32_e32 v5, v127, v5
	v_mul_f32_e32 v3, v125, v3
	s_wait_loadcnt_dscnt 0x807
	v_dual_mul_f32 v162, v128, v7 :: v_dual_mul_f32 v163, v130, v9
	s_wait_loadcnt_dscnt 0x201
	v_dual_fmac_f32 v1, v125, v2 :: v_dual_mul_f32 v174, v152, v117
	v_fma_f32 v3, v124, v2, -v3
	s_wait_loadcnt_dscnt 0x100
	v_dual_mul_f32 v177, v158, v123 :: v_dual_fmac_f32 v22, v127, v4
	v_mul_f32_e32 v2, v129, v7
	v_fma_f32 v4, v126, v4, -v5
	v_dual_add_f32 v3, 0, v3 :: v_dual_fmac_f32 v162, v129, v6
	v_dual_mul_f32 v164, v132, v11 :: v_dual_mul_f32 v165, v134, v13
	v_dual_mul_f32 v166, v136, v15 :: v_dual_mul_f32 v167, v138, v17
	s_delay_alu instid0(VALU_DEP_2) | instskip(SKIP_1) | instid1(VALU_DEP_3)
	v_dual_mul_f32 v5, v131, v9 :: v_dual_fmac_f32 v164, v133, v10
	v_fma_f32 v2, v128, v6, -v2
	v_dual_add_f32 v3, v3, v4 :: v_dual_fmac_f32 v166, v137, v14
	s_delay_alu instid0(VALU_DEP_3) | instskip(SKIP_1) | instid1(VALU_DEP_3)
	v_fma_f32 v5, v130, v8, -v5
	v_dual_mul_f32 v168, v140, v19 :: v_dual_mul_f32 v169, v142, v21
	v_add_f32_e32 v2, v3, v2
	v_dual_mul_f32 v4, v133, v11 :: v_dual_mul_f32 v3, v135, v13
	s_delay_alu instid0(VALU_DEP_3) | instskip(SKIP_1) | instid1(VALU_DEP_4)
	v_fmac_f32_e32 v168, v141, v18
	v_dual_mul_f32 v170, v144, v25 :: v_dual_mul_f32 v171, v146, v27
	v_add_f32_e32 v2, v2, v5
	v_add_f32_e32 v1, 0, v1
	v_fma_f32 v4, v132, v10, -v4
	v_fma_f32 v3, v134, v12, -v3
	v_dual_fmac_f32 v167, v139, v16 :: v_dual_mul_f32 v172, v148, v113
	v_mul_f32_e32 v173, v150, v115
	s_delay_alu instid0(VALU_DEP_4) | instskip(SKIP_3) | instid1(VALU_DEP_4)
	v_dual_add_f32 v1, v1, v22 :: v_dual_add_f32 v2, v2, v4
	v_mul_f32_e32 v4, v139, v17
	v_fmac_f32_e32 v163, v131, v8
	v_dual_mul_f32 v175, v154, v119 :: v_dual_mul_f32 v176, v156, v121
	v_add_f32_e32 v1, v1, v162
	s_delay_alu instid0(VALU_DEP_4) | instskip(SKIP_2) | instid1(VALU_DEP_4)
	v_fma_f32 v4, v138, v16, -v4
	v_mul_f32_e32 v5, v137, v15
	v_dual_add_f32 v2, v2, v3 :: v_dual_fmac_f32 v173, v151, v114
	v_add_f32_e32 v1, v1, v163
	v_dual_fmac_f32 v171, v147, v26 :: v_dual_fmac_f32 v174, v153, v116
	s_delay_alu instid0(VALU_DEP_4) | instskip(SKIP_3) | instid1(VALU_DEP_4)
	v_fma_f32 v5, v136, v14, -v5
	v_fmac_f32_e32 v165, v135, v12
	v_dual_fmac_f32 v170, v145, v24 :: v_dual_fmac_f32 v177, v159, v122
	v_fmac_f32_e32 v172, v149, v112
	v_add_f32_e32 v2, v2, v5
	v_dual_mul_f32 v5, v143, v21 :: v_dual_fmac_f32 v176, v157, v120
	s_delay_alu instid0(VALU_DEP_2) | instskip(NEXT) | instid1(VALU_DEP_2)
	v_add_f32_e32 v2, v2, v4
	v_fma_f32 v5, v142, v20, -v5
	v_mul_f32_e32 v3, v141, v19
	v_mul_f32_e32 v4, v145, v25
	s_delay_alu instid0(VALU_DEP_2) | instskip(SKIP_1) | instid1(VALU_DEP_3)
	v_fma_f32 v3, v140, v18, -v3
	v_add_f32_e32 v1, v1, v164
	v_fma_f32 v4, v144, v24, -v4
	s_delay_alu instid0(VALU_DEP_3) | instskip(NEXT) | instid1(VALU_DEP_1)
	v_add_f32_e32 v2, v2, v3
	v_dual_mul_f32 v3, v147, v27 :: v_dual_add_f32 v2, v2, v5
	s_delay_alu instid0(VALU_DEP_4) | instskip(NEXT) | instid1(VALU_DEP_2)
	v_add_f32_e32 v1, v1, v165
	v_fma_f32 v3, v146, v26, -v3
	s_delay_alu instid0(VALU_DEP_2) | instskip(SKIP_1) | instid1(VALU_DEP_2)
	v_dual_add_f32 v2, v2, v4 :: v_dual_add_f32 v1, v1, v166
	v_mul_f32_e32 v4, v151, v115
	v_dual_fmac_f32 v169, v143, v20 :: v_dual_add_f32 v2, v2, v3
	v_mul_f32_e32 v3, v153, v117
	s_delay_alu instid0(VALU_DEP_3) | instskip(SKIP_1) | instid1(VALU_DEP_3)
	v_fma_f32 v4, v150, v114, -v4
	v_mul_f32_e32 v5, v149, v113
	v_fma_f32 v3, v152, v116, -v3
	s_delay_alu instid0(VALU_DEP_2) | instskip(NEXT) | instid1(VALU_DEP_1)
	v_fma_f32 v5, v148, v112, -v5
	v_dual_add_f32 v1, v1, v167 :: v_dual_add_f32 v2, v2, v5
	s_delay_alu instid0(VALU_DEP_1) | instskip(NEXT) | instid1(VALU_DEP_2)
	v_dual_mul_f32 v5, v155, v119 :: v_dual_add_f32 v2, v2, v4
	v_add_f32_e32 v1, v1, v168
	v_mul_f32_e32 v4, v157, v121
	s_delay_alu instid0(VALU_DEP_3) | instskip(NEXT) | instid1(VALU_DEP_4)
	v_fma_f32 v5, v154, v118, -v5
	v_dual_add_f32 v2, v2, v3 :: v_dual_fmac_f32 v175, v155, v118
	v_mul_f32_e32 v3, v159, v123
	s_delay_alu instid0(VALU_DEP_4) | instskip(NEXT) | instid1(VALU_DEP_3)
	v_fma_f32 v4, v156, v120, -v4
	v_add_f32_e32 v2, v2, v5
	v_add_f32_e32 v1, v1, v169
	s_delay_alu instid0(VALU_DEP_4) | instskip(NEXT) | instid1(VALU_DEP_2)
	v_fma_f32 v3, v158, v122, -v3
	v_dual_add_f32 v2, v2, v4 :: v_dual_add_f32 v1, v1, v170
	s_delay_alu instid0(VALU_DEP_1) | instskip(NEXT) | instid1(VALU_DEP_2)
	v_add_f32_e32 v2, v2, v3
	v_add_f32_e32 v1, v1, v171
	s_delay_alu instid0(VALU_DEP_1) | instskip(NEXT) | instid1(VALU_DEP_1)
	v_add_f32_e32 v1, v1, v172
	v_add_f32_e32 v1, v1, v173
	s_delay_alu instid0(VALU_DEP_1) | instskip(NEXT) | instid1(VALU_DEP_1)
	;; [unrolled: 3-line block ×3, first 2 shown]
	v_add_f32_e32 v1, v1, v176
	v_add_f32_e32 v3, v1, v177
	s_wait_loadcnt 0x0
	s_delay_alu instid0(VALU_DEP_1)
	v_dual_sub_f32 v1, v160, v2 :: v_dual_sub_f32 v2, v161, v3
	scratch_store_b64 off, v[1:2], off offset:184
	v_cmpx_lt_u32_e32 22, v0
	s_cbranch_execz .LBB41_221
; %bb.220:
	scratch_load_b64 v[1:2], off, off offset:176
	v_mov_b32_e32 v3, 0
	s_delay_alu instid0(VALU_DEP_1)
	v_mov_b32_e32 v4, v3
	scratch_store_b64 off, v[3:4], off offset:176
	s_wait_loadcnt 0x0
	ds_store_b64 v23, v[1:2]
.LBB41_221:
	s_wait_alu 0xfffe
	s_or_b32 exec_lo, exec_lo, s0
	s_wait_storecnt_dscnt 0x0
	s_barrier_signal -1
	s_barrier_wait -1
	global_inv scope:SCOPE_SE
	s_clause 0xa
	scratch_load_b128 v[2:5], off, off offset:184
	scratch_load_b128 v[6:9], off, off offset:200
	;; [unrolled: 1-line block ×9, first 2 shown]
	scratch_load_b64 v[160:161], off, off offset:328
	scratch_load_b64 v[162:163], off, off offset:176
	v_mov_b32_e32 v1, 0
	ds_load_2addr_b64 v[124:127], v1 offset0:65 offset1:66
	ds_load_2addr_b64 v[128:131], v1 offset0:67 offset1:68
	;; [unrolled: 1-line block ×9, first 2 shown]
	ds_load_b64 v[164:165], v1 offset:664
	s_mov_b32 s0, exec_lo
	s_wait_loadcnt_dscnt 0xa09
	v_mul_f32_e32 v22, v124, v3
	v_dual_mul_f32 v3, v125, v3 :: v_dual_mul_f32 v166, v126, v5
	s_wait_loadcnt_dscnt 0x605
	v_dual_mul_f32 v167, v128, v7 :: v_dual_mul_f32 v174, v142, v21
	v_mul_f32_e32 v5, v127, v5
	s_delay_alu instid0(VALU_DEP_3)
	v_fma_f32 v3, v124, v2, -v3
	v_dual_mul_f32 v168, v130, v9 :: v_dual_mul_f32 v169, v132, v11
	s_wait_loadcnt_dscnt 0x100
	v_dual_mul_f32 v183, v164, v161 :: v_dual_fmac_f32 v22, v125, v2
	v_mul_f32_e32 v2, v129, v7
	v_dual_fmac_f32 v166, v127, v4 :: v_dual_add_f32 v3, 0, v3
	v_fma_f32 v4, v126, v4, -v5
	s_delay_alu instid0(VALU_DEP_4) | instskip(SKIP_2) | instid1(VALU_DEP_4)
	v_dual_add_f32 v5, 0, v22 :: v_dual_fmac_f32 v168, v131, v8
	v_mul_f32_e32 v7, v131, v9
	v_fma_f32 v2, v128, v6, -v2
	v_add_f32_e32 v3, v3, v4
	v_fmac_f32_e32 v167, v129, v6
	v_add_f32_e32 v4, v5, v166
	v_mul_f32_e32 v5, v133, v11
	v_fma_f32 v6, v130, v8, -v7
	v_add_f32_e32 v2, v3, v2
	v_dual_mul_f32 v170, v134, v13 :: v_dual_mul_f32 v171, v136, v15
	v_dual_add_f32 v3, v4, v167 :: v_dual_mul_f32 v4, v135, v13
	v_fma_f32 v5, v132, v10, -v5
	s_delay_alu instid0(VALU_DEP_4)
	v_add_f32_e32 v2, v2, v6
	v_fmac_f32_e32 v169, v133, v10
	v_mul_f32_e32 v6, v137, v15
	v_fmac_f32_e32 v170, v135, v12
	v_add_f32_e32 v3, v3, v168
	v_fma_f32 v4, v134, v12, -v4
	v_add_f32_e32 v2, v2, v5
	v_dual_mul_f32 v172, v138, v17 :: v_dual_mul_f32 v173, v140, v19
	s_delay_alu instid0(VALU_DEP_4)
	v_add_f32_e32 v3, v3, v169
	v_mul_f32_e32 v5, v139, v17
	v_fma_f32 v6, v136, v14, -v6
	v_dual_add_f32 v2, v2, v4 :: v_dual_fmac_f32 v171, v137, v14
	v_fmac_f32_e32 v172, v139, v16
	v_mul_f32_e32 v4, v141, v19
	v_fma_f32 v5, v138, v16, -v5
	s_delay_alu instid0(VALU_DEP_4) | instskip(SKIP_3) | instid1(VALU_DEP_3)
	v_add_f32_e32 v2, v2, v6
	v_add_f32_e32 v3, v3, v170
	v_dual_mul_f32 v6, v143, v21 :: v_dual_fmac_f32 v173, v141, v18
	v_fma_f32 v4, v140, v18, -v4
	v_dual_add_f32 v2, v2, v5 :: v_dual_add_f32 v3, v3, v171
	s_delay_alu instid0(VALU_DEP_3) | instskip(SKIP_1) | instid1(VALU_DEP_3)
	v_fma_f32 v6, v142, v20, -v6
	v_dual_mul_f32 v175, v144, v25 :: v_dual_mul_f32 v176, v146, v27
	v_add_f32_e32 v2, v2, v4
	s_delay_alu instid0(VALU_DEP_4) | instskip(SKIP_1) | instid1(VALU_DEP_4)
	v_add_f32_e32 v3, v3, v172
	v_dual_mul_f32 v5, v145, v25 :: v_dual_fmac_f32 v174, v143, v20
	v_dual_mul_f32 v4, v147, v27 :: v_dual_fmac_f32 v175, v145, v24
	s_delay_alu instid0(VALU_DEP_3) | instskip(NEXT) | instid1(VALU_DEP_3)
	v_dual_add_f32 v2, v2, v6 :: v_dual_add_f32 v3, v3, v173
	v_fma_f32 v5, v144, v24, -v5
	v_dual_mul_f32 v177, v148, v113 :: v_dual_mul_f32 v178, v150, v115
	s_delay_alu instid0(VALU_DEP_3) | instskip(NEXT) | instid1(VALU_DEP_2)
	v_dual_mul_f32 v6, v149, v113 :: v_dual_add_f32 v3, v3, v174
	v_dual_fmac_f32 v176, v147, v26 :: v_dual_fmac_f32 v177, v149, v112
	v_fma_f32 v4, v146, v26, -v4
	s_delay_alu instid0(VALU_DEP_3) | instskip(SKIP_3) | instid1(VALU_DEP_4)
	v_dual_add_f32 v2, v2, v5 :: v_dual_add_f32 v3, v3, v175
	v_mul_f32_e32 v5, v151, v115
	v_fma_f32 v6, v148, v112, -v6
	v_dual_mul_f32 v179, v152, v117 :: v_dual_mul_f32 v180, v154, v119
	v_add_f32_e32 v2, v2, v4
	v_dual_add_f32 v3, v3, v176 :: v_dual_mul_f32 v4, v153, v117
	s_delay_alu instid0(VALU_DEP_3) | instskip(SKIP_1) | instid1(VALU_DEP_3)
	v_dual_fmac_f32 v178, v151, v114 :: v_dual_fmac_f32 v179, v153, v116
	v_fma_f32 v5, v150, v114, -v5
	v_dual_add_f32 v2, v2, v6 :: v_dual_add_f32 v3, v3, v177
	v_mul_f32_e32 v6, v155, v119
	v_fma_f32 v4, v152, v116, -v4
	v_dual_mul_f32 v181, v156, v121 :: v_dual_mul_f32 v182, v158, v123
	s_delay_alu instid0(VALU_DEP_4) | instskip(SKIP_1) | instid1(VALU_DEP_3)
	v_dual_add_f32 v2, v2, v5 :: v_dual_add_f32 v3, v3, v178
	v_dual_mul_f32 v5, v157, v121 :: v_dual_fmac_f32 v180, v155, v118
	v_fmac_f32_e32 v181, v157, v120
	v_fma_f32 v6, v154, v118, -v6
	s_delay_alu instid0(VALU_DEP_4) | instskip(SKIP_2) | instid1(VALU_DEP_3)
	v_dual_add_f32 v2, v2, v4 :: v_dual_add_f32 v3, v3, v179
	v_dual_mul_f32 v4, v159, v123 :: v_dual_fmac_f32 v183, v165, v160
	v_fma_f32 v5, v156, v120, -v5
	v_dual_add_f32 v2, v2, v6 :: v_dual_add_f32 v3, v3, v180
	v_fmac_f32_e32 v182, v159, v122
	s_delay_alu instid0(VALU_DEP_4) | instskip(NEXT) | instid1(VALU_DEP_3)
	v_fma_f32 v4, v158, v122, -v4
	v_add_f32_e32 v3, v3, v181
	s_delay_alu instid0(VALU_DEP_1) | instskip(SKIP_1) | instid1(VALU_DEP_2)
	v_dual_mul_f32 v6, v165, v161 :: v_dual_add_f32 v3, v3, v182
	v_add_f32_e32 v2, v2, v5
	v_fma_f32 v5, v164, v160, -v6
	s_delay_alu instid0(VALU_DEP_2) | instskip(SKIP_1) | instid1(VALU_DEP_1)
	v_dual_add_f32 v3, v3, v183 :: v_dual_add_f32 v2, v2, v4
	s_wait_loadcnt 0x0
	v_dual_sub_f32 v3, v163, v3 :: v_dual_add_f32 v2, v2, v5
	s_delay_alu instid0(VALU_DEP_1)
	v_sub_f32_e32 v2, v162, v2
	scratch_store_b64 off, v[2:3], off offset:176
	v_cmpx_lt_u32_e32 21, v0
	s_cbranch_execz .LBB41_223
; %bb.222:
	scratch_load_b64 v[3:4], off, off offset:168
	v_mov_b32_e32 v2, v1
	scratch_store_b64 off, v[1:2], off offset:168
	s_wait_loadcnt 0x0
	ds_store_b64 v23, v[3:4]
.LBB41_223:
	s_wait_alu 0xfffe
	s_or_b32 exec_lo, exec_lo, s0
	s_wait_storecnt_dscnt 0x0
	s_barrier_signal -1
	s_barrier_wait -1
	global_inv scope:SCOPE_SE
	s_clause 0xa
	scratch_load_b128 v[2:5], off, off offset:176
	scratch_load_b128 v[6:9], off, off offset:192
	scratch_load_b128 v[10:13], off, off offset:208
	scratch_load_b128 v[14:17], off, off offset:224
	scratch_load_b128 v[18:21], off, off offset:240
	scratch_load_b128 v[24:27], off, off offset:256
	scratch_load_b128 v[112:115], off, off offset:272
	scratch_load_b128 v[116:119], off, off offset:288
	scratch_load_b128 v[120:123], off, off offset:304
	scratch_load_b128 v[124:127], off, off offset:320
	scratch_load_b64 v[168:169], off, off offset:168
	ds_load_b128 v[128:131], v1 offset:512
	ds_load_b128 v[132:135], v1 offset:528
	;; [unrolled: 1-line block ×10, first 2 shown]
	s_mov_b32 s0, exec_lo
	s_wait_loadcnt_dscnt 0xa09
	v_dual_mul_f32 v1, v128, v3 :: v_dual_mul_f32 v22, v130, v5
	s_wait_loadcnt_dscnt 0x908
	v_dual_mul_f32 v5, v131, v5 :: v_dual_mul_f32 v170, v132, v7
	v_mul_f32_e32 v171, v134, v9
	v_mul_f32_e32 v3, v129, v3
	v_dual_fmac_f32 v1, v129, v2 :: v_dual_fmac_f32 v22, v131, v4
	s_wait_loadcnt_dscnt 0x100
	v_dual_mul_f32 v184, v160, v121 :: v_dual_mul_f32 v187, v166, v127
	s_delay_alu instid0(VALU_DEP_3) | instskip(SKIP_3) | instid1(VALU_DEP_4)
	v_fma_f32 v3, v128, v2, -v3
	v_mul_f32_e32 v2, v133, v7
	v_fma_f32 v4, v130, v4, -v5
	v_dual_mul_f32 v172, v136, v11 :: v_dual_mul_f32 v173, v138, v13
	v_dual_add_f32 v3, 0, v3 :: v_dual_fmac_f32 v170, v133, v6
	v_dual_mul_f32 v174, v140, v15 :: v_dual_mul_f32 v175, v142, v17
	s_delay_alu instid0(VALU_DEP_3) | instskip(SKIP_1) | instid1(VALU_DEP_3)
	v_dual_mul_f32 v5, v135, v9 :: v_dual_fmac_f32 v172, v137, v10
	v_fma_f32 v2, v132, v6, -v2
	v_dual_add_f32 v3, v3, v4 :: v_dual_fmac_f32 v174, v141, v14
	s_delay_alu instid0(VALU_DEP_3) | instskip(SKIP_1) | instid1(VALU_DEP_3)
	v_fma_f32 v5, v134, v8, -v5
	v_dual_mul_f32 v176, v144, v19 :: v_dual_mul_f32 v177, v146, v21
	v_add_f32_e32 v2, v3, v2
	v_dual_mul_f32 v3, v139, v13 :: v_dual_mul_f32 v4, v137, v11
	s_delay_alu instid0(VALU_DEP_3) | instskip(SKIP_1) | instid1(VALU_DEP_4)
	v_fmac_f32_e32 v176, v145, v18
	v_dual_mul_f32 v178, v148, v25 :: v_dual_mul_f32 v179, v150, v27
	v_add_f32_e32 v2, v2, v5
	v_add_f32_e32 v1, 0, v1
	v_fma_f32 v4, v136, v10, -v4
	v_fma_f32 v3, v138, v12, -v3
	v_dual_fmac_f32 v175, v143, v16 :: v_dual_mul_f32 v180, v152, v113
	v_mul_f32_e32 v181, v154, v115
	s_delay_alu instid0(VALU_DEP_4) | instskip(SKIP_3) | instid1(VALU_DEP_4)
	v_dual_add_f32 v1, v1, v22 :: v_dual_add_f32 v2, v2, v4
	v_mul_f32_e32 v4, v143, v17
	v_dual_fmac_f32 v171, v135, v8 :: v_dual_mul_f32 v182, v156, v117
	v_mul_f32_e32 v183, v158, v119
	v_add_f32_e32 v1, v1, v170
	s_delay_alu instid0(VALU_DEP_4) | instskip(SKIP_2) | instid1(VALU_DEP_4)
	v_fma_f32 v4, v142, v16, -v4
	v_mul_f32_e32 v5, v141, v15
	v_dual_add_f32 v2, v2, v3 :: v_dual_fmac_f32 v181, v155, v114
	v_add_f32_e32 v1, v1, v171
	v_dual_mul_f32 v185, v162, v123 :: v_dual_mul_f32 v186, v164, v125
	s_delay_alu instid0(VALU_DEP_4) | instskip(SKIP_3) | instid1(VALU_DEP_4)
	v_fma_f32 v5, v140, v14, -v5
	v_fmac_f32_e32 v173, v139, v12
	v_dual_fmac_f32 v178, v149, v24 :: v_dual_fmac_f32 v179, v151, v26
	v_fmac_f32_e32 v182, v157, v116
	v_add_f32_e32 v2, v2, v5
	v_mul_f32_e32 v5, v147, v21
	v_fmac_f32_e32 v185, v163, v122
	v_dual_fmac_f32 v187, v167, v126 :: v_dual_fmac_f32 v180, v153, v112
	s_delay_alu instid0(VALU_DEP_4) | instskip(NEXT) | instid1(VALU_DEP_4)
	v_add_f32_e32 v2, v2, v4
	v_fma_f32 v5, v146, v20, -v5
	v_mul_f32_e32 v3, v145, v19
	v_mul_f32_e32 v4, v149, v25
	v_fmac_f32_e32 v184, v161, v120
	v_fmac_f32_e32 v186, v165, v124
	s_delay_alu instid0(VALU_DEP_4) | instskip(SKIP_2) | instid1(VALU_DEP_3)
	v_fma_f32 v3, v144, v18, -v3
	v_add_f32_e32 v1, v1, v172
	v_fma_f32 v4, v148, v24, -v4
	v_add_f32_e32 v2, v2, v3
	s_delay_alu instid0(VALU_DEP_1) | instskip(NEXT) | instid1(VALU_DEP_4)
	v_dual_mul_f32 v3, v151, v27 :: v_dual_add_f32 v2, v2, v5
	v_add_f32_e32 v1, v1, v173
	s_delay_alu instid0(VALU_DEP_2) | instskip(NEXT) | instid1(VALU_DEP_2)
	v_fma_f32 v3, v150, v26, -v3
	v_dual_add_f32 v2, v2, v4 :: v_dual_add_f32 v1, v1, v174
	v_mul_f32_e32 v4, v155, v115
	s_delay_alu instid0(VALU_DEP_2) | instskip(SKIP_1) | instid1(VALU_DEP_3)
	v_dual_fmac_f32 v177, v147, v20 :: v_dual_add_f32 v2, v2, v3
	v_mul_f32_e32 v3, v157, v117
	v_fma_f32 v4, v154, v114, -v4
	v_mul_f32_e32 v5, v153, v113
	s_delay_alu instid0(VALU_DEP_3) | instskip(NEXT) | instid1(VALU_DEP_2)
	v_fma_f32 v3, v156, v116, -v3
	v_fma_f32 v5, v152, v112, -v5
	s_delay_alu instid0(VALU_DEP_1) | instskip(NEXT) | instid1(VALU_DEP_1)
	v_dual_add_f32 v1, v1, v175 :: v_dual_add_f32 v2, v2, v5
	v_dual_mul_f32 v5, v159, v119 :: v_dual_add_f32 v2, v2, v4
	s_delay_alu instid0(VALU_DEP_2) | instskip(SKIP_1) | instid1(VALU_DEP_3)
	v_add_f32_e32 v1, v1, v176
	v_mul_f32_e32 v4, v161, v121
	v_fma_f32 v5, v158, v118, -v5
	s_delay_alu instid0(VALU_DEP_4) | instskip(SKIP_1) | instid1(VALU_DEP_4)
	v_dual_add_f32 v2, v2, v3 :: v_dual_fmac_f32 v183, v159, v118
	v_mul_f32_e32 v3, v163, v123
	v_fma_f32 v4, v160, v120, -v4
	s_delay_alu instid0(VALU_DEP_3) | instskip(SKIP_1) | instid1(VALU_DEP_4)
	v_add_f32_e32 v2, v2, v5
	v_add_f32_e32 v1, v1, v177
	v_fma_f32 v3, v162, v122, -v3
	s_delay_alu instid0(VALU_DEP_2) | instskip(SKIP_1) | instid1(VALU_DEP_2)
	v_dual_add_f32 v2, v2, v4 :: v_dual_add_f32 v1, v1, v178
	v_dual_mul_f32 v4, v167, v127 :: v_dual_mul_f32 v5, v165, v125
	v_add_f32_e32 v2, v2, v3
	s_delay_alu instid0(VALU_DEP_2) | instskip(NEXT) | instid1(VALU_DEP_3)
	v_fma_f32 v3, v166, v126, -v4
	v_fma_f32 v5, v164, v124, -v5
	s_delay_alu instid0(VALU_DEP_1) | instskip(NEXT) | instid1(VALU_DEP_1)
	v_dual_add_f32 v1, v1, v179 :: v_dual_add_f32 v2, v2, v5
	v_dual_add_f32 v1, v1, v180 :: v_dual_add_f32 v2, v2, v3
	s_delay_alu instid0(VALU_DEP_1) | instskip(NEXT) | instid1(VALU_DEP_1)
	v_add_f32_e32 v1, v1, v181
	v_add_f32_e32 v1, v1, v182
	s_delay_alu instid0(VALU_DEP_1) | instskip(NEXT) | instid1(VALU_DEP_1)
	v_add_f32_e32 v1, v1, v183
	v_add_f32_e32 v1, v1, v184
	;; [unrolled: 3-line block ×3, first 2 shown]
	s_delay_alu instid0(VALU_DEP_1) | instskip(SKIP_1) | instid1(VALU_DEP_1)
	v_add_f32_e32 v3, v1, v187
	s_wait_loadcnt 0x0
	v_dual_sub_f32 v1, v168, v2 :: v_dual_sub_f32 v2, v169, v3
	scratch_store_b64 off, v[1:2], off offset:168
	v_cmpx_lt_u32_e32 20, v0
	s_cbranch_execz .LBB41_225
; %bb.224:
	scratch_load_b64 v[1:2], off, off offset:160
	v_mov_b32_e32 v3, 0
	s_delay_alu instid0(VALU_DEP_1)
	v_mov_b32_e32 v4, v3
	scratch_store_b64 off, v[3:4], off offset:160
	s_wait_loadcnt 0x0
	ds_store_b64 v23, v[1:2]
.LBB41_225:
	s_wait_alu 0xfffe
	s_or_b32 exec_lo, exec_lo, s0
	s_wait_storecnt_dscnt 0x0
	s_barrier_signal -1
	s_barrier_wait -1
	global_inv scope:SCOPE_SE
	s_clause 0xb
	scratch_load_b128 v[2:5], off, off offset:168
	scratch_load_b128 v[6:9], off, off offset:184
	;; [unrolled: 1-line block ×10, first 2 shown]
	scratch_load_b64 v[168:169], off, off offset:328
	scratch_load_b64 v[170:171], off, off offset:160
	v_mov_b32_e32 v1, 0
	ds_load_2addr_b64 v[128:131], v1 offset0:63 offset1:64
	ds_load_2addr_b64 v[132:135], v1 offset0:65 offset1:66
	;; [unrolled: 1-line block ×10, first 2 shown]
	ds_load_b64 v[172:173], v1 offset:664
	s_mov_b32 s0, exec_lo
	s_wait_loadcnt_dscnt 0xb0a
	v_mul_f32_e32 v22, v128, v3
	v_dual_mul_f32 v3, v129, v3 :: v_dual_mul_f32 v174, v130, v5
	s_wait_loadcnt_dscnt 0x706
	v_dual_mul_f32 v175, v132, v7 :: v_dual_mul_f32 v182, v146, v21
	v_mul_f32_e32 v5, v131, v5
	s_delay_alu instid0(VALU_DEP_3)
	v_fma_f32 v3, v128, v2, -v3
	v_dual_mul_f32 v176, v134, v9 :: v_dual_mul_f32 v177, v136, v11
	s_wait_loadcnt_dscnt 0x100
	v_dual_fmac_f32 v22, v129, v2 :: v_dual_mul_f32 v193, v172, v169
	v_mul_f32_e32 v2, v133, v7
	v_dual_fmac_f32 v174, v131, v4 :: v_dual_add_f32 v3, 0, v3
	v_fma_f32 v4, v130, v4, -v5
	s_delay_alu instid0(VALU_DEP_4) | instskip(SKIP_2) | instid1(VALU_DEP_4)
	v_dual_add_f32 v5, 0, v22 :: v_dual_fmac_f32 v176, v135, v8
	v_mul_f32_e32 v7, v135, v9
	v_fma_f32 v2, v132, v6, -v2
	v_add_f32_e32 v3, v3, v4
	v_fmac_f32_e32 v175, v133, v6
	v_add_f32_e32 v4, v5, v174
	v_mul_f32_e32 v5, v137, v11
	v_fma_f32 v6, v134, v8, -v7
	v_add_f32_e32 v2, v3, v2
	v_dual_mul_f32 v178, v138, v13 :: v_dual_mul_f32 v179, v140, v15
	v_dual_add_f32 v3, v4, v175 :: v_dual_mul_f32 v4, v139, v13
	v_fma_f32 v5, v136, v10, -v5
	s_delay_alu instid0(VALU_DEP_4)
	v_add_f32_e32 v2, v2, v6
	v_fmac_f32_e32 v177, v137, v10
	v_mul_f32_e32 v6, v141, v15
	v_fmac_f32_e32 v178, v139, v12
	v_add_f32_e32 v3, v3, v176
	v_fma_f32 v4, v138, v12, -v4
	v_add_f32_e32 v2, v2, v5
	v_dual_mul_f32 v180, v142, v17 :: v_dual_mul_f32 v181, v144, v19
	s_delay_alu instid0(VALU_DEP_4)
	v_add_f32_e32 v3, v3, v177
	v_mul_f32_e32 v5, v143, v17
	v_fma_f32 v6, v140, v14, -v6
	v_dual_add_f32 v2, v2, v4 :: v_dual_fmac_f32 v179, v141, v14
	v_fmac_f32_e32 v180, v143, v16
	v_mul_f32_e32 v4, v145, v19
	v_fma_f32 v5, v142, v16, -v5
	s_delay_alu instid0(VALU_DEP_4) | instskip(SKIP_3) | instid1(VALU_DEP_3)
	v_add_f32_e32 v2, v2, v6
	v_add_f32_e32 v3, v3, v178
	v_dual_mul_f32 v6, v147, v21 :: v_dual_fmac_f32 v181, v145, v18
	v_fma_f32 v4, v144, v18, -v4
	v_dual_add_f32 v2, v2, v5 :: v_dual_add_f32 v3, v3, v179
	s_delay_alu instid0(VALU_DEP_3) | instskip(SKIP_1) | instid1(VALU_DEP_3)
	v_fma_f32 v6, v146, v20, -v6
	v_dual_mul_f32 v183, v148, v25 :: v_dual_mul_f32 v184, v150, v27
	v_add_f32_e32 v2, v2, v4
	s_delay_alu instid0(VALU_DEP_4) | instskip(SKIP_1) | instid1(VALU_DEP_4)
	v_add_f32_e32 v3, v3, v180
	v_dual_mul_f32 v5, v149, v25 :: v_dual_fmac_f32 v182, v147, v20
	v_dual_mul_f32 v4, v151, v27 :: v_dual_fmac_f32 v183, v149, v24
	s_delay_alu instid0(VALU_DEP_3) | instskip(NEXT) | instid1(VALU_DEP_3)
	v_dual_add_f32 v2, v2, v6 :: v_dual_add_f32 v3, v3, v181
	v_fma_f32 v5, v148, v24, -v5
	v_dual_mul_f32 v185, v152, v113 :: v_dual_mul_f32 v186, v154, v115
	s_delay_alu instid0(VALU_DEP_3) | instskip(NEXT) | instid1(VALU_DEP_2)
	v_dual_mul_f32 v6, v153, v113 :: v_dual_add_f32 v3, v3, v182
	v_dual_fmac_f32 v184, v151, v26 :: v_dual_fmac_f32 v185, v153, v112
	v_fma_f32 v4, v150, v26, -v4
	s_delay_alu instid0(VALU_DEP_3) | instskip(SKIP_3) | instid1(VALU_DEP_4)
	v_dual_add_f32 v2, v2, v5 :: v_dual_add_f32 v3, v3, v183
	v_mul_f32_e32 v5, v155, v115
	v_fma_f32 v6, v152, v112, -v6
	v_dual_mul_f32 v187, v156, v117 :: v_dual_mul_f32 v188, v158, v119
	v_add_f32_e32 v2, v2, v4
	v_dual_add_f32 v3, v3, v184 :: v_dual_mul_f32 v4, v157, v117
	s_delay_alu instid0(VALU_DEP_3) | instskip(SKIP_1) | instid1(VALU_DEP_3)
	v_dual_fmac_f32 v186, v155, v114 :: v_dual_fmac_f32 v187, v157, v116
	v_fma_f32 v5, v154, v114, -v5
	v_dual_add_f32 v2, v2, v6 :: v_dual_add_f32 v3, v3, v185
	v_mul_f32_e32 v6, v159, v119
	v_fma_f32 v4, v156, v116, -v4
	v_dual_mul_f32 v189, v160, v121 :: v_dual_mul_f32 v190, v162, v123
	s_delay_alu instid0(VALU_DEP_4) | instskip(SKIP_1) | instid1(VALU_DEP_3)
	v_dual_add_f32 v2, v2, v5 :: v_dual_add_f32 v3, v3, v186
	v_dual_mul_f32 v5, v161, v121 :: v_dual_fmac_f32 v188, v159, v118
	v_fmac_f32_e32 v189, v161, v120
	v_fma_f32 v6, v158, v118, -v6
	s_delay_alu instid0(VALU_DEP_4) | instskip(SKIP_2) | instid1(VALU_DEP_3)
	v_dual_add_f32 v2, v2, v4 :: v_dual_add_f32 v3, v3, v187
	v_dual_mul_f32 v191, v164, v125 :: v_dual_mul_f32 v192, v166, v127
	v_mul_f32_e32 v4, v163, v123
	v_dual_add_f32 v2, v2, v6 :: v_dual_add_f32 v3, v3, v188
	v_fma_f32 v5, v160, v120, -v5
	v_dual_fmac_f32 v190, v163, v122 :: v_dual_fmac_f32 v193, v173, v168
	v_fmac_f32_e32 v191, v165, v124
	v_fma_f32 v4, v162, v122, -v4
	v_add_f32_e32 v3, v3, v189
	v_mul_f32_e32 v6, v165, v125
	v_dual_add_f32 v2, v2, v5 :: v_dual_mul_f32 v5, v167, v127
	v_fmac_f32_e32 v192, v167, v126
	s_delay_alu instid0(VALU_DEP_4) | instskip(NEXT) | instid1(VALU_DEP_4)
	v_add_f32_e32 v3, v3, v190
	v_fma_f32 v6, v164, v124, -v6
	s_delay_alu instid0(VALU_DEP_4) | instskip(SKIP_2) | instid1(VALU_DEP_3)
	v_add_f32_e32 v2, v2, v4
	v_mul_f32_e32 v4, v173, v169
	v_fma_f32 v5, v166, v126, -v5
	v_dual_add_f32 v3, v3, v191 :: v_dual_add_f32 v2, v2, v6
	s_delay_alu instid0(VALU_DEP_3) | instskip(NEXT) | instid1(VALU_DEP_2)
	v_fma_f32 v4, v172, v168, -v4
	v_add_f32_e32 v3, v3, v192
	s_delay_alu instid0(VALU_DEP_1) | instskip(SKIP_1) | instid1(VALU_DEP_1)
	v_add_f32_e32 v3, v3, v193
	s_wait_loadcnt 0x0
	v_dual_add_f32 v2, v2, v5 :: v_dual_sub_f32 v3, v171, v3
	s_delay_alu instid0(VALU_DEP_1) | instskip(NEXT) | instid1(VALU_DEP_1)
	v_add_f32_e32 v2, v2, v4
	v_sub_f32_e32 v2, v170, v2
	scratch_store_b64 off, v[2:3], off offset:160
	v_cmpx_lt_u32_e32 19, v0
	s_cbranch_execz .LBB41_227
; %bb.226:
	scratch_load_b64 v[3:4], off, off offset:152
	v_mov_b32_e32 v2, v1
	scratch_store_b64 off, v[1:2], off offset:152
	s_wait_loadcnt 0x0
	ds_store_b64 v23, v[3:4]
.LBB41_227:
	s_wait_alu 0xfffe
	s_or_b32 exec_lo, exec_lo, s0
	s_wait_storecnt_dscnt 0x0
	s_barrier_signal -1
	s_barrier_wait -1
	global_inv scope:SCOPE_SE
	s_clause 0xb
	scratch_load_b128 v[2:5], off, off offset:160
	scratch_load_b128 v[6:9], off, off offset:176
	;; [unrolled: 1-line block ×11, first 2 shown]
	scratch_load_b64 v[176:177], off, off offset:152
	ds_load_b128 v[132:135], v1 offset:496
	ds_load_b128 v[136:139], v1 offset:512
	;; [unrolled: 1-line block ×11, first 2 shown]
	s_mov_b32 s0, exec_lo
	s_wait_loadcnt_dscnt 0xb0a
	v_dual_mul_f32 v1, v132, v3 :: v_dual_mul_f32 v22, v134, v5
	s_wait_loadcnt_dscnt 0xa09
	v_dual_mul_f32 v5, v135, v5 :: v_dual_mul_f32 v178, v136, v7
	v_mul_f32_e32 v179, v138, v9
	v_mul_f32_e32 v3, v133, v3
	v_dual_fmac_f32 v1, v133, v2 :: v_dual_fmac_f32 v22, v135, v4
	s_wait_loadcnt_dscnt 0x908
	v_dual_mul_f32 v180, v140, v11 :: v_dual_mul_f32 v181, v142, v13
	s_wait_loadcnt_dscnt 0x201
	v_mul_f32_e32 v194, v168, v125
	v_fma_f32 v3, v132, v2, -v3
	s_wait_loadcnt_dscnt 0x100
	v_mul_f32_e32 v197, v174, v131
	v_mul_f32_e32 v2, v137, v7
	v_fma_f32 v4, v134, v4, -v5
	v_dual_mul_f32 v182, v144, v15 :: v_dual_mul_f32 v183, v146, v17
	v_dual_add_f32 v3, 0, v3 :: v_dual_fmac_f32 v178, v137, v6
	v_dual_mul_f32 v5, v139, v9 :: v_dual_fmac_f32 v180, v141, v10
	v_fma_f32 v2, v136, v6, -v2
	s_delay_alu instid0(VALU_DEP_3) | instskip(NEXT) | instid1(VALU_DEP_3)
	v_dual_add_f32 v3, v3, v4 :: v_dual_fmac_f32 v182, v145, v14
	v_fma_f32 v5, v138, v8, -v5
	v_dual_mul_f32 v184, v148, v19 :: v_dual_mul_f32 v185, v150, v21
	s_delay_alu instid0(VALU_DEP_3) | instskip(SKIP_3) | instid1(VALU_DEP_4)
	v_add_f32_e32 v2, v3, v2
	v_mul_f32_e32 v3, v143, v13
	v_dual_mul_f32 v186, v152, v25 :: v_dual_mul_f32 v187, v154, v27
	v_mul_f32_e32 v4, v141, v11
	v_add_f32_e32 v2, v2, v5
	v_dual_add_f32 v1, 0, v1 :: v_dual_fmac_f32 v184, v149, v18
	v_fma_f32 v3, v142, v12, -v3
	s_delay_alu instid0(VALU_DEP_4) | instskip(SKIP_1) | instid1(VALU_DEP_4)
	v_fma_f32 v4, v140, v10, -v4
	v_fmac_f32_e32 v183, v147, v16
	v_dual_add_f32 v1, v1, v22 :: v_dual_mul_f32 v188, v156, v113
	v_mul_f32_e32 v189, v158, v115
	s_delay_alu instid0(VALU_DEP_4) | instskip(NEXT) | instid1(VALU_DEP_3)
	v_add_f32_e32 v2, v2, v4
	v_dual_mul_f32 v4, v147, v17 :: v_dual_add_f32 v1, v1, v178
	v_dual_fmac_f32 v179, v139, v8 :: v_dual_mul_f32 v192, v164, v121
	v_mul_f32_e32 v193, v166, v123
	s_delay_alu instid0(VALU_DEP_3) | instskip(SKIP_4) | instid1(VALU_DEP_4)
	v_fma_f32 v4, v146, v16, -v4
	v_mul_f32_e32 v5, v145, v15
	v_add_f32_e32 v2, v2, v3
	v_dual_add_f32 v1, v1, v179 :: v_dual_mul_f32 v190, v160, v117
	v_mul_f32_e32 v191, v162, v119
	v_fma_f32 v5, v144, v14, -v5
	v_fmac_f32_e32 v181, v143, v12
	v_dual_fmac_f32 v186, v153, v24 :: v_dual_fmac_f32 v189, v159, v114
	v_dual_fmac_f32 v187, v155, v26 :: v_dual_fmac_f32 v190, v161, v116
	s_delay_alu instid0(VALU_DEP_4) | instskip(SKIP_2) | instid1(VALU_DEP_3)
	v_add_f32_e32 v2, v2, v5
	v_mul_f32_e32 v5, v151, v21
	v_dual_mul_f32 v195, v170, v127 :: v_dual_mul_f32 v196, v172, v129
	v_dual_fmac_f32 v193, v167, v122 :: v_dual_add_f32 v2, v2, v4
	s_delay_alu instid0(VALU_DEP_3) | instskip(SKIP_4) | instid1(VALU_DEP_4)
	v_fma_f32 v5, v150, v20, -v5
	v_mul_f32_e32 v3, v149, v19
	v_mul_f32_e32 v4, v153, v25
	v_dual_fmac_f32 v196, v173, v128 :: v_dual_fmac_f32 v195, v171, v126
	v_fmac_f32_e32 v188, v157, v112
	v_fma_f32 v3, v148, v18, -v3
	v_add_f32_e32 v1, v1, v180
	v_fma_f32 v4, v152, v24, -v4
	v_dual_fmac_f32 v197, v175, v130 :: v_dual_fmac_f32 v192, v165, v120
	s_delay_alu instid0(VALU_DEP_4) | instskip(SKIP_1) | instid1(VALU_DEP_2)
	v_add_f32_e32 v2, v2, v3
	v_dual_mul_f32 v3, v155, v27 :: v_dual_fmac_f32 v194, v169, v124
	v_add_f32_e32 v2, v2, v5
	v_add_f32_e32 v1, v1, v181
	s_delay_alu instid0(VALU_DEP_3) | instskip(NEXT) | instid1(VALU_DEP_2)
	v_fma_f32 v3, v154, v26, -v3
	v_dual_add_f32 v2, v2, v4 :: v_dual_add_f32 v1, v1, v182
	v_mul_f32_e32 v4, v159, v115
	s_delay_alu instid0(VALU_DEP_2) | instskip(SKIP_1) | instid1(VALU_DEP_3)
	v_dual_fmac_f32 v185, v151, v20 :: v_dual_add_f32 v2, v2, v3
	v_mul_f32_e32 v3, v161, v117
	v_fma_f32 v4, v158, v114, -v4
	v_mul_f32_e32 v5, v157, v113
	s_delay_alu instid0(VALU_DEP_3) | instskip(NEXT) | instid1(VALU_DEP_2)
	v_fma_f32 v3, v160, v116, -v3
	v_fma_f32 v5, v156, v112, -v5
	s_delay_alu instid0(VALU_DEP_1) | instskip(NEXT) | instid1(VALU_DEP_1)
	v_dual_add_f32 v1, v1, v183 :: v_dual_add_f32 v2, v2, v5
	v_dual_mul_f32 v5, v163, v119 :: v_dual_add_f32 v2, v2, v4
	s_delay_alu instid0(VALU_DEP_2) | instskip(SKIP_1) | instid1(VALU_DEP_3)
	v_add_f32_e32 v1, v1, v184
	v_mul_f32_e32 v4, v165, v121
	v_fma_f32 v5, v162, v118, -v5
	s_delay_alu instid0(VALU_DEP_4) | instskip(SKIP_1) | instid1(VALU_DEP_4)
	v_dual_add_f32 v2, v2, v3 :: v_dual_fmac_f32 v191, v163, v118
	v_mul_f32_e32 v3, v167, v123
	v_fma_f32 v4, v164, v120, -v4
	s_delay_alu instid0(VALU_DEP_3) | instskip(SKIP_1) | instid1(VALU_DEP_4)
	v_add_f32_e32 v2, v2, v5
	v_add_f32_e32 v1, v1, v185
	v_fma_f32 v3, v166, v122, -v3
	s_delay_alu instid0(VALU_DEP_3) | instskip(NEXT) | instid1(VALU_DEP_3)
	v_dual_add_f32 v2, v2, v4 :: v_dual_mul_f32 v5, v169, v125
	v_dual_add_f32 v1, v1, v186 :: v_dual_mul_f32 v4, v171, v127
	s_delay_alu instid0(VALU_DEP_2) | instskip(NEXT) | instid1(VALU_DEP_3)
	v_add_f32_e32 v2, v2, v3
	v_fma_f32 v5, v168, v124, -v5
	s_delay_alu instid0(VALU_DEP_3) | instskip(SKIP_2) | instid1(VALU_DEP_4)
	v_add_f32_e32 v1, v1, v187
	v_mul_f32_e32 v3, v173, v129
	v_fma_f32 v4, v170, v126, -v4
	v_dual_add_f32 v2, v2, v5 :: v_dual_mul_f32 v5, v175, v131
	s_delay_alu instid0(VALU_DEP_3) | instskip(NEXT) | instid1(VALU_DEP_2)
	v_fma_f32 v3, v172, v128, -v3
	v_add_f32_e32 v2, v2, v4
	v_add_f32_e32 v1, v1, v188
	s_delay_alu instid0(VALU_DEP_4) | instskip(NEXT) | instid1(VALU_DEP_2)
	v_fma_f32 v4, v174, v130, -v5
	v_dual_add_f32 v2, v2, v3 :: v_dual_add_f32 v1, v1, v189
	s_delay_alu instid0(VALU_DEP_1) | instskip(NEXT) | instid1(VALU_DEP_1)
	v_dual_add_f32 v2, v2, v4 :: v_dual_add_f32 v1, v1, v190
	v_add_f32_e32 v1, v1, v191
	s_delay_alu instid0(VALU_DEP_1) | instskip(NEXT) | instid1(VALU_DEP_1)
	v_add_f32_e32 v1, v1, v192
	v_add_f32_e32 v1, v1, v193
	s_delay_alu instid0(VALU_DEP_1) | instskip(NEXT) | instid1(VALU_DEP_1)
	v_add_f32_e32 v1, v1, v194
	;; [unrolled: 3-line block ×3, first 2 shown]
	v_add_f32_e32 v3, v1, v197
	s_wait_loadcnt 0x0
	s_delay_alu instid0(VALU_DEP_1)
	v_dual_sub_f32 v1, v176, v2 :: v_dual_sub_f32 v2, v177, v3
	scratch_store_b64 off, v[1:2], off offset:152
	v_cmpx_lt_u32_e32 18, v0
	s_cbranch_execz .LBB41_229
; %bb.228:
	scratch_load_b64 v[1:2], off, off offset:144
	v_mov_b32_e32 v3, 0
	s_delay_alu instid0(VALU_DEP_1)
	v_mov_b32_e32 v4, v3
	scratch_store_b64 off, v[3:4], off offset:144
	s_wait_loadcnt 0x0
	ds_store_b64 v23, v[1:2]
.LBB41_229:
	s_wait_alu 0xfffe
	s_or_b32 exec_lo, exec_lo, s0
	s_wait_storecnt_dscnt 0x0
	s_barrier_signal -1
	s_barrier_wait -1
	global_inv scope:SCOPE_SE
	s_clause 0xc
	scratch_load_b128 v[2:5], off, off offset:152
	scratch_load_b128 v[6:9], off, off offset:168
	scratch_load_b128 v[10:13], off, off offset:184
	scratch_load_b128 v[14:17], off, off offset:200
	scratch_load_b128 v[18:21], off, off offset:216
	scratch_load_b128 v[24:27], off, off offset:232
	scratch_load_b128 v[112:115], off, off offset:248
	scratch_load_b128 v[116:119], off, off offset:264
	scratch_load_b128 v[120:123], off, off offset:280
	scratch_load_b128 v[124:127], off, off offset:296
	scratch_load_b128 v[128:131], off, off offset:312
	scratch_load_b64 v[176:177], off, off offset:328
	scratch_load_b64 v[178:179], off, off offset:144
	v_mov_b32_e32 v1, 0
	ds_load_2addr_b64 v[132:135], v1 offset0:61 offset1:62
	ds_load_2addr_b64 v[136:139], v1 offset0:63 offset1:64
	;; [unrolled: 1-line block ×11, first 2 shown]
	ds_load_b64 v[180:181], v1 offset:664
	s_mov_b32 s0, exec_lo
	s_wait_loadcnt_dscnt 0xc0b
	v_mul_f32_e32 v22, v132, v3
	v_dual_mul_f32 v3, v133, v3 :: v_dual_mul_f32 v182, v134, v5
	s_wait_loadcnt_dscnt 0x807
	v_dual_mul_f32 v183, v136, v7 :: v_dual_mul_f32 v190, v150, v21
	v_mul_f32_e32 v5, v135, v5
	s_delay_alu instid0(VALU_DEP_3)
	v_fma_f32 v3, v132, v2, -v3
	v_dual_mul_f32 v184, v138, v9 :: v_dual_mul_f32 v185, v140, v11
	v_fmac_f32_e32 v22, v133, v2
	s_wait_loadcnt_dscnt 0x100
	v_dual_mul_f32 v2, v137, v7 :: v_dual_mul_f32 v203, v180, v177
	v_dual_fmac_f32 v182, v135, v4 :: v_dual_add_f32 v3, 0, v3
	v_fma_f32 v4, v134, v4, -v5
	v_dual_add_f32 v5, 0, v22 :: v_dual_fmac_f32 v184, v139, v8
	v_mul_f32_e32 v7, v139, v9
	v_fma_f32 v2, v136, v6, -v2
	s_delay_alu instid0(VALU_DEP_4)
	v_add_f32_e32 v3, v3, v4
	v_fmac_f32_e32 v183, v137, v6
	v_add_f32_e32 v4, v5, v182
	v_mul_f32_e32 v5, v141, v11
	v_fma_f32 v6, v138, v8, -v7
	v_add_f32_e32 v2, v3, v2
	v_dual_mul_f32 v186, v142, v13 :: v_dual_mul_f32 v187, v144, v15
	v_dual_add_f32 v3, v4, v183 :: v_dual_mul_f32 v4, v143, v13
	v_fma_f32 v5, v140, v10, -v5
	s_delay_alu instid0(VALU_DEP_4)
	v_add_f32_e32 v2, v2, v6
	v_fmac_f32_e32 v185, v141, v10
	v_mul_f32_e32 v6, v145, v15
	v_fmac_f32_e32 v186, v143, v12
	v_add_f32_e32 v3, v3, v184
	v_fma_f32 v4, v142, v12, -v4
	v_add_f32_e32 v2, v2, v5
	v_dual_mul_f32 v188, v146, v17 :: v_dual_mul_f32 v189, v148, v19
	s_delay_alu instid0(VALU_DEP_4)
	v_add_f32_e32 v3, v3, v185
	v_mul_f32_e32 v5, v147, v17
	v_fma_f32 v6, v144, v14, -v6
	v_dual_add_f32 v2, v2, v4 :: v_dual_fmac_f32 v187, v145, v14
	v_fmac_f32_e32 v188, v147, v16
	v_mul_f32_e32 v4, v149, v19
	v_fma_f32 v5, v146, v16, -v5
	s_delay_alu instid0(VALU_DEP_4) | instskip(SKIP_3) | instid1(VALU_DEP_3)
	v_add_f32_e32 v2, v2, v6
	v_add_f32_e32 v3, v3, v186
	v_dual_mul_f32 v6, v151, v21 :: v_dual_fmac_f32 v189, v149, v18
	v_fma_f32 v4, v148, v18, -v4
	v_dual_add_f32 v2, v2, v5 :: v_dual_add_f32 v3, v3, v187
	s_delay_alu instid0(VALU_DEP_3) | instskip(SKIP_1) | instid1(VALU_DEP_3)
	v_fma_f32 v6, v150, v20, -v6
	v_dual_mul_f32 v191, v152, v25 :: v_dual_mul_f32 v192, v154, v27
	v_add_f32_e32 v2, v2, v4
	s_delay_alu instid0(VALU_DEP_4) | instskip(SKIP_1) | instid1(VALU_DEP_4)
	v_add_f32_e32 v3, v3, v188
	v_dual_mul_f32 v5, v153, v25 :: v_dual_fmac_f32 v190, v151, v20
	v_dual_mul_f32 v4, v155, v27 :: v_dual_fmac_f32 v191, v153, v24
	s_delay_alu instid0(VALU_DEP_3) | instskip(NEXT) | instid1(VALU_DEP_3)
	v_dual_add_f32 v2, v2, v6 :: v_dual_add_f32 v3, v3, v189
	v_fma_f32 v5, v152, v24, -v5
	v_dual_mul_f32 v193, v156, v113 :: v_dual_mul_f32 v194, v158, v115
	s_delay_alu instid0(VALU_DEP_3) | instskip(NEXT) | instid1(VALU_DEP_2)
	v_dual_mul_f32 v6, v157, v113 :: v_dual_add_f32 v3, v3, v190
	v_dual_fmac_f32 v192, v155, v26 :: v_dual_fmac_f32 v193, v157, v112
	v_fma_f32 v4, v154, v26, -v4
	s_delay_alu instid0(VALU_DEP_3) | instskip(SKIP_3) | instid1(VALU_DEP_4)
	v_dual_add_f32 v2, v2, v5 :: v_dual_add_f32 v3, v3, v191
	v_mul_f32_e32 v5, v159, v115
	v_fma_f32 v6, v156, v112, -v6
	v_dual_mul_f32 v195, v160, v117 :: v_dual_mul_f32 v196, v162, v119
	v_add_f32_e32 v2, v2, v4
	v_dual_add_f32 v3, v3, v192 :: v_dual_mul_f32 v4, v161, v117
	s_delay_alu instid0(VALU_DEP_3) | instskip(SKIP_1) | instid1(VALU_DEP_3)
	v_dual_fmac_f32 v194, v159, v114 :: v_dual_fmac_f32 v195, v161, v116
	v_fma_f32 v5, v158, v114, -v5
	v_dual_add_f32 v2, v2, v6 :: v_dual_add_f32 v3, v3, v193
	v_mul_f32_e32 v6, v163, v119
	v_fma_f32 v4, v160, v116, -v4
	v_dual_mul_f32 v197, v164, v121 :: v_dual_mul_f32 v198, v166, v123
	s_delay_alu instid0(VALU_DEP_4) | instskip(SKIP_1) | instid1(VALU_DEP_3)
	v_dual_add_f32 v2, v2, v5 :: v_dual_add_f32 v3, v3, v194
	v_dual_mul_f32 v5, v165, v121 :: v_dual_fmac_f32 v196, v163, v118
	v_fmac_f32_e32 v197, v165, v120
	v_fma_f32 v6, v162, v118, -v6
	s_delay_alu instid0(VALU_DEP_4) | instskip(SKIP_2) | instid1(VALU_DEP_2)
	v_dual_add_f32 v2, v2, v4 :: v_dual_add_f32 v3, v3, v195
	v_dual_mul_f32 v199, v168, v125 :: v_dual_mul_f32 v200, v170, v127
	v_dual_mul_f32 v201, v172, v129 :: v_dual_mul_f32 v202, v174, v131
	v_dual_mul_f32 v4, v167, v123 :: v_dual_fmac_f32 v199, v169, v124
	v_fma_f32 v5, v164, v120, -v5
	v_dual_add_f32 v2, v2, v6 :: v_dual_add_f32 v3, v3, v196
	v_mul_f32_e32 v6, v169, v125
	v_dual_fmac_f32 v198, v167, v122 :: v_dual_fmac_f32 v201, v173, v128
	v_fma_f32 v4, v166, v122, -v4
	s_delay_alu instid0(VALU_DEP_4) | instskip(SKIP_3) | instid1(VALU_DEP_3)
	v_add_f32_e32 v3, v3, v197
	v_dual_add_f32 v2, v2, v5 :: v_dual_mul_f32 v5, v171, v127
	v_fma_f32 v6, v168, v124, -v6
	v_fmac_f32_e32 v200, v171, v126
	v_dual_add_f32 v3, v3, v198 :: v_dual_add_f32 v2, v2, v4
	v_mul_f32_e32 v4, v173, v129
	v_fma_f32 v5, v170, v126, -v5
	v_fmac_f32_e32 v202, v175, v130
	s_delay_alu instid0(VALU_DEP_4) | instskip(SKIP_2) | instid1(VALU_DEP_3)
	v_dual_add_f32 v3, v3, v199 :: v_dual_add_f32 v2, v2, v6
	v_dual_mul_f32 v6, v175, v131 :: v_dual_fmac_f32 v203, v181, v176
	v_fma_f32 v4, v172, v128, -v4
	v_add_f32_e32 v2, v2, v5
	v_mul_f32_e32 v5, v181, v177
	v_add_f32_e32 v3, v3, v200
	v_fma_f32 v6, v174, v130, -v6
	s_delay_alu instid0(VALU_DEP_2) | instskip(NEXT) | instid1(VALU_DEP_1)
	v_add_f32_e32 v3, v3, v201
	v_dual_add_f32 v3, v3, v202 :: v_dual_add_f32 v2, v2, v4
	v_fma_f32 v4, v180, v176, -v5
	s_delay_alu instid0(VALU_DEP_2) | instskip(SKIP_1) | instid1(VALU_DEP_1)
	v_dual_add_f32 v3, v3, v203 :: v_dual_add_f32 v2, v2, v6
	s_wait_loadcnt 0x0
	v_dual_sub_f32 v3, v179, v3 :: v_dual_add_f32 v2, v2, v4
	s_delay_alu instid0(VALU_DEP_1)
	v_sub_f32_e32 v2, v178, v2
	scratch_store_b64 off, v[2:3], off offset:144
	v_cmpx_lt_u32_e32 17, v0
	s_cbranch_execz .LBB41_231
; %bb.230:
	scratch_load_b64 v[3:4], off, off offset:136
	v_mov_b32_e32 v2, v1
	scratch_store_b64 off, v[1:2], off offset:136
	s_wait_loadcnt 0x0
	ds_store_b64 v23, v[3:4]
.LBB41_231:
	s_wait_alu 0xfffe
	s_or_b32 exec_lo, exec_lo, s0
	s_wait_storecnt_dscnt 0x0
	s_barrier_signal -1
	s_barrier_wait -1
	global_inv scope:SCOPE_SE
	s_clause 0xc
	scratch_load_b128 v[2:5], off, off offset:144
	scratch_load_b128 v[6:9], off, off offset:160
	;; [unrolled: 1-line block ×12, first 2 shown]
	scratch_load_b64 v[184:185], off, off offset:136
	ds_load_b128 v[136:139], v1 offset:480
	ds_load_b128 v[140:143], v1 offset:496
	;; [unrolled: 1-line block ×12, first 2 shown]
	s_mov_b32 s0, exec_lo
	s_wait_loadcnt_dscnt 0xc0b
	v_dual_mul_f32 v1, v136, v3 :: v_dual_mul_f32 v22, v138, v5
	s_wait_loadcnt_dscnt 0xb0a
	v_dual_mul_f32 v5, v139, v5 :: v_dual_mul_f32 v186, v140, v7
	v_mul_f32_e32 v187, v142, v9
	s_delay_alu instid0(VALU_DEP_3)
	v_fmac_f32_e32 v1, v137, v2
	v_dual_mul_f32 v3, v137, v3 :: v_dual_fmac_f32 v22, v139, v4
	s_wait_loadcnt_dscnt 0xa09
	v_dual_mul_f32 v188, v144, v11 :: v_dual_mul_f32 v189, v146, v13
	s_wait_loadcnt_dscnt 0x201
	v_mul_f32_e32 v204, v176, v129
	v_fma_f32 v3, v136, v2, -v3
	s_wait_loadcnt_dscnt 0x100
	v_mul_f32_e32 v207, v182, v135
	v_mul_f32_e32 v2, v141, v7
	v_fma_f32 v4, v138, v4, -v5
	v_dual_mul_f32 v190, v148, v15 :: v_dual_mul_f32 v191, v150, v17
	v_dual_add_f32 v3, 0, v3 :: v_dual_fmac_f32 v186, v141, v6
	v_dual_mul_f32 v5, v143, v9 :: v_dual_fmac_f32 v188, v145, v10
	v_fma_f32 v2, v140, v6, -v2
	s_delay_alu instid0(VALU_DEP_3) | instskip(NEXT) | instid1(VALU_DEP_3)
	v_dual_add_f32 v3, v3, v4 :: v_dual_fmac_f32 v190, v149, v14
	v_fma_f32 v5, v142, v8, -v5
	v_dual_mul_f32 v192, v152, v19 :: v_dual_mul_f32 v193, v154, v21
	s_delay_alu instid0(VALU_DEP_3) | instskip(SKIP_3) | instid1(VALU_DEP_4)
	v_add_f32_e32 v2, v3, v2
	v_mul_f32_e32 v3, v147, v13
	v_dual_mul_f32 v194, v156, v25 :: v_dual_mul_f32 v195, v158, v27
	v_mul_f32_e32 v4, v145, v11
	v_add_f32_e32 v2, v2, v5
	v_dual_add_f32 v1, 0, v1 :: v_dual_fmac_f32 v192, v153, v18
	v_fma_f32 v3, v146, v12, -v3
	s_delay_alu instid0(VALU_DEP_4) | instskip(SKIP_1) | instid1(VALU_DEP_4)
	v_fma_f32 v4, v144, v10, -v4
	v_fmac_f32_e32 v191, v151, v16
	v_dual_add_f32 v1, v1, v22 :: v_dual_mul_f32 v196, v160, v113
	v_mul_f32_e32 v197, v162, v115
	s_delay_alu instid0(VALU_DEP_4) | instskip(NEXT) | instid1(VALU_DEP_3)
	v_add_f32_e32 v2, v2, v4
	v_dual_mul_f32 v4, v151, v17 :: v_dual_add_f32 v1, v1, v186
	v_dual_fmac_f32 v187, v143, v8 :: v_dual_mul_f32 v200, v168, v121
	v_mul_f32_e32 v201, v170, v123
	s_delay_alu instid0(VALU_DEP_3) | instskip(SKIP_4) | instid1(VALU_DEP_4)
	v_fma_f32 v4, v150, v16, -v4
	v_mul_f32_e32 v5, v149, v15
	v_add_f32_e32 v2, v2, v3
	v_dual_add_f32 v1, v1, v187 :: v_dual_mul_f32 v198, v164, v117
	v_mul_f32_e32 v199, v166, v119
	v_fma_f32 v5, v148, v14, -v5
	v_fmac_f32_e32 v189, v147, v12
	v_dual_fmac_f32 v197, v163, v114 :: v_dual_fmac_f32 v194, v157, v24
	v_dual_mul_f32 v202, v172, v125 :: v_dual_mul_f32 v203, v174, v127
	s_delay_alu instid0(VALU_DEP_4) | instskip(SKIP_3) | instid1(VALU_DEP_3)
	v_add_f32_e32 v2, v2, v5
	v_mul_f32_e32 v5, v155, v21
	v_dual_fmac_f32 v195, v159, v26 :: v_dual_fmac_f32 v198, v165, v116
	v_dual_mul_f32 v205, v178, v131 :: v_dual_mul_f32 v206, v180, v133
	v_fma_f32 v5, v154, v20, -v5
	v_dual_mul_f32 v3, v153, v19 :: v_dual_add_f32 v2, v2, v4
	v_dual_mul_f32 v4, v157, v25 :: v_dual_fmac_f32 v203, v175, v126
	v_dual_fmac_f32 v201, v171, v122 :: v_dual_fmac_f32 v204, v177, v128
	s_delay_alu instid0(VALU_DEP_3) | instskip(SKIP_1) | instid1(VALU_DEP_4)
	v_fma_f32 v3, v152, v18, -v3
	v_add_f32_e32 v1, v1, v188
	v_fma_f32 v4, v156, v24, -v4
	v_dual_fmac_f32 v196, v161, v112 :: v_dual_fmac_f32 v207, v183, v134
	s_delay_alu instid0(VALU_DEP_4) | instskip(SKIP_3) | instid1(VALU_DEP_4)
	v_add_f32_e32 v2, v2, v3
	v_dual_mul_f32 v3, v159, v27 :: v_dual_fmac_f32 v200, v169, v120
	v_fmac_f32_e32 v202, v173, v124
	v_fmac_f32_e32 v206, v181, v132
	v_add_f32_e32 v2, v2, v5
	v_add_f32_e32 v1, v1, v189
	v_fma_f32 v3, v158, v26, -v3
	s_delay_alu instid0(VALU_DEP_2) | instskip(SKIP_1) | instid1(VALU_DEP_2)
	v_dual_add_f32 v2, v2, v4 :: v_dual_add_f32 v1, v1, v190
	v_mul_f32_e32 v4, v163, v115
	v_dual_fmac_f32 v193, v155, v20 :: v_dual_add_f32 v2, v2, v3
	v_mul_f32_e32 v3, v165, v117
	s_delay_alu instid0(VALU_DEP_3) | instskip(SKIP_1) | instid1(VALU_DEP_3)
	v_fma_f32 v4, v162, v114, -v4
	v_mul_f32_e32 v5, v161, v113
	v_fma_f32 v3, v164, v116, -v3
	s_delay_alu instid0(VALU_DEP_2) | instskip(NEXT) | instid1(VALU_DEP_1)
	v_fma_f32 v5, v160, v112, -v5
	v_dual_add_f32 v1, v1, v191 :: v_dual_add_f32 v2, v2, v5
	s_delay_alu instid0(VALU_DEP_1) | instskip(NEXT) | instid1(VALU_DEP_2)
	v_dual_mul_f32 v5, v167, v119 :: v_dual_add_f32 v2, v2, v4
	v_add_f32_e32 v1, v1, v192
	v_mul_f32_e32 v4, v169, v121
	s_delay_alu instid0(VALU_DEP_3) | instskip(NEXT) | instid1(VALU_DEP_4)
	v_fma_f32 v5, v166, v118, -v5
	v_dual_add_f32 v2, v2, v3 :: v_dual_fmac_f32 v199, v167, v118
	v_mul_f32_e32 v3, v171, v123
	s_delay_alu instid0(VALU_DEP_4) | instskip(NEXT) | instid1(VALU_DEP_3)
	v_fma_f32 v4, v168, v120, -v4
	v_add_f32_e32 v2, v2, v5
	v_add_f32_e32 v1, v1, v193
	s_delay_alu instid0(VALU_DEP_4) | instskip(NEXT) | instid1(VALU_DEP_3)
	v_fma_f32 v3, v170, v122, -v3
	v_dual_add_f32 v2, v2, v4 :: v_dual_mul_f32 v5, v173, v125
	s_delay_alu instid0(VALU_DEP_3) | instskip(NEXT) | instid1(VALU_DEP_2)
	v_dual_add_f32 v1, v1, v194 :: v_dual_mul_f32 v4, v175, v127
	v_add_f32_e32 v2, v2, v3
	s_delay_alu instid0(VALU_DEP_3) | instskip(NEXT) | instid1(VALU_DEP_3)
	v_fma_f32 v5, v172, v124, -v5
	v_add_f32_e32 v1, v1, v195
	v_mul_f32_e32 v3, v177, v129
	v_fma_f32 v4, v174, v126, -v4
	s_delay_alu instid0(VALU_DEP_4) | instskip(NEXT) | instid1(VALU_DEP_3)
	v_dual_add_f32 v2, v2, v5 :: v_dual_mul_f32 v5, v179, v131
	v_fma_f32 v3, v176, v128, -v3
	s_delay_alu instid0(VALU_DEP_2) | instskip(SKIP_3) | instid1(VALU_DEP_4)
	v_add_f32_e32 v2, v2, v4
	v_add_f32_e32 v1, v1, v196
	v_mul_f32_e32 v4, v181, v133
	v_fma_f32 v5, v178, v130, -v5
	v_dual_add_f32 v2, v2, v3 :: v_dual_fmac_f32 v205, v179, v130
	v_mul_f32_e32 v3, v183, v135
	s_delay_alu instid0(VALU_DEP_4) | instskip(NEXT) | instid1(VALU_DEP_3)
	v_fma_f32 v4, v180, v132, -v4
	v_add_f32_e32 v2, v2, v5
	v_add_f32_e32 v1, v1, v197
	s_delay_alu instid0(VALU_DEP_4) | instskip(NEXT) | instid1(VALU_DEP_2)
	v_fma_f32 v3, v182, v134, -v3
	v_dual_add_f32 v2, v2, v4 :: v_dual_add_f32 v1, v1, v198
	s_delay_alu instid0(VALU_DEP_1) | instskip(NEXT) | instid1(VALU_DEP_2)
	v_add_f32_e32 v2, v2, v3
	v_add_f32_e32 v1, v1, v199
	s_delay_alu instid0(VALU_DEP_1) | instskip(NEXT) | instid1(VALU_DEP_1)
	v_add_f32_e32 v1, v1, v200
	v_add_f32_e32 v1, v1, v201
	s_delay_alu instid0(VALU_DEP_1) | instskip(NEXT) | instid1(VALU_DEP_1)
	;; [unrolled: 3-line block ×4, first 2 shown]
	v_add_f32_e32 v1, v1, v206
	v_add_f32_e32 v3, v1, v207
	s_wait_loadcnt 0x0
	s_delay_alu instid0(VALU_DEP_1)
	v_dual_sub_f32 v1, v184, v2 :: v_dual_sub_f32 v2, v185, v3
	scratch_store_b64 off, v[1:2], off offset:136
	v_cmpx_lt_u32_e32 16, v0
	s_cbranch_execz .LBB41_233
; %bb.232:
	scratch_load_b64 v[1:2], off, off offset:128
	v_mov_b32_e32 v3, 0
	s_delay_alu instid0(VALU_DEP_1)
	v_mov_b32_e32 v4, v3
	scratch_store_b64 off, v[3:4], off offset:128
	s_wait_loadcnt 0x0
	ds_store_b64 v23, v[1:2]
.LBB41_233:
	s_wait_alu 0xfffe
	s_or_b32 exec_lo, exec_lo, s0
	s_wait_storecnt_dscnt 0x0
	s_barrier_signal -1
	s_barrier_wait -1
	global_inv scope:SCOPE_SE
	s_clause 0xd
	scratch_load_b128 v[2:5], off, off offset:136
	scratch_load_b128 v[6:9], off, off offset:152
	;; [unrolled: 1-line block ×12, first 2 shown]
	scratch_load_b64 v[184:185], off, off offset:328
	scratch_load_b64 v[186:187], off, off offset:128
	v_mov_b32_e32 v1, 0
	ds_load_2addr_b64 v[136:139], v1 offset0:59 offset1:60
	ds_load_2addr_b64 v[140:143], v1 offset0:61 offset1:62
	ds_load_2addr_b64 v[144:147], v1 offset0:63 offset1:64
	ds_load_2addr_b64 v[148:151], v1 offset0:65 offset1:66
	ds_load_2addr_b64 v[152:155], v1 offset0:67 offset1:68
	ds_load_2addr_b64 v[156:159], v1 offset0:69 offset1:70
	ds_load_2addr_b64 v[160:163], v1 offset0:71 offset1:72
	ds_load_2addr_b64 v[164:167], v1 offset0:73 offset1:74
	ds_load_2addr_b64 v[168:171], v1 offset0:75 offset1:76
	ds_load_2addr_b64 v[172:175], v1 offset0:77 offset1:78
	ds_load_2addr_b64 v[176:179], v1 offset0:79 offset1:80
	ds_load_2addr_b64 v[180:183], v1 offset0:81 offset1:82
	ds_load_b64 v[188:189], v1 offset:664
	s_mov_b32 s0, exec_lo
	s_wait_loadcnt_dscnt 0xd0c
	v_mul_f32_e32 v22, v136, v3
	v_dual_mul_f32 v3, v137, v3 :: v_dual_mul_f32 v190, v138, v5
	s_wait_loadcnt_dscnt 0x908
	v_dual_mul_f32 v191, v140, v7 :: v_dual_mul_f32 v198, v154, v21
	v_mul_f32_e32 v5, v139, v5
	s_delay_alu instid0(VALU_DEP_3) | instskip(SKIP_3) | instid1(VALU_DEP_4)
	v_fma_f32 v3, v136, v2, -v3
	v_dual_mul_f32 v192, v142, v9 :: v_dual_mul_f32 v193, v144, v11
	v_fmac_f32_e32 v22, v137, v2
	v_mul_f32_e32 v2, v141, v7
	v_dual_fmac_f32 v190, v139, v4 :: v_dual_add_f32 v3, 0, v3
	s_wait_loadcnt_dscnt 0x100
	v_mul_f32_e32 v213, v188, v185
	v_fma_f32 v4, v138, v4, -v5
	v_dual_add_f32 v5, 0, v22 :: v_dual_fmac_f32 v192, v143, v8
	v_mul_f32_e32 v7, v143, v9
	v_fma_f32 v2, v140, v6, -v2
	s_delay_alu instid0(VALU_DEP_4)
	v_add_f32_e32 v3, v3, v4
	v_fmac_f32_e32 v191, v141, v6
	v_add_f32_e32 v4, v5, v190
	v_mul_f32_e32 v5, v145, v11
	v_fma_f32 v6, v142, v8, -v7
	v_add_f32_e32 v2, v3, v2
	v_dual_mul_f32 v194, v146, v13 :: v_dual_mul_f32 v195, v148, v15
	v_dual_add_f32 v3, v4, v191 :: v_dual_mul_f32 v4, v147, v13
	v_fma_f32 v5, v144, v10, -v5
	s_delay_alu instid0(VALU_DEP_4)
	v_add_f32_e32 v2, v2, v6
	v_fmac_f32_e32 v193, v145, v10
	v_mul_f32_e32 v6, v149, v15
	v_fmac_f32_e32 v194, v147, v12
	v_add_f32_e32 v3, v3, v192
	v_fma_f32 v4, v146, v12, -v4
	v_add_f32_e32 v2, v2, v5
	v_dual_mul_f32 v196, v150, v17 :: v_dual_mul_f32 v197, v152, v19
	s_delay_alu instid0(VALU_DEP_4)
	v_add_f32_e32 v3, v3, v193
	v_mul_f32_e32 v5, v151, v17
	v_fma_f32 v6, v148, v14, -v6
	v_dual_add_f32 v2, v2, v4 :: v_dual_fmac_f32 v195, v149, v14
	v_fmac_f32_e32 v196, v151, v16
	v_mul_f32_e32 v4, v153, v19
	v_fma_f32 v5, v150, v16, -v5
	s_delay_alu instid0(VALU_DEP_4) | instskip(SKIP_3) | instid1(VALU_DEP_3)
	v_add_f32_e32 v2, v2, v6
	v_add_f32_e32 v3, v3, v194
	v_dual_mul_f32 v6, v155, v21 :: v_dual_fmac_f32 v197, v153, v18
	v_fma_f32 v4, v152, v18, -v4
	v_dual_add_f32 v2, v2, v5 :: v_dual_add_f32 v3, v3, v195
	s_delay_alu instid0(VALU_DEP_3) | instskip(SKIP_1) | instid1(VALU_DEP_3)
	v_fma_f32 v6, v154, v20, -v6
	v_dual_mul_f32 v199, v156, v25 :: v_dual_mul_f32 v200, v158, v27
	v_add_f32_e32 v2, v2, v4
	s_delay_alu instid0(VALU_DEP_4) | instskip(SKIP_1) | instid1(VALU_DEP_4)
	v_add_f32_e32 v3, v3, v196
	v_dual_mul_f32 v5, v157, v25 :: v_dual_fmac_f32 v198, v155, v20
	v_dual_mul_f32 v4, v159, v27 :: v_dual_fmac_f32 v199, v157, v24
	s_delay_alu instid0(VALU_DEP_3) | instskip(NEXT) | instid1(VALU_DEP_3)
	v_dual_add_f32 v2, v2, v6 :: v_dual_add_f32 v3, v3, v197
	v_fma_f32 v5, v156, v24, -v5
	v_dual_mul_f32 v201, v160, v113 :: v_dual_mul_f32 v202, v162, v115
	s_delay_alu instid0(VALU_DEP_3) | instskip(NEXT) | instid1(VALU_DEP_2)
	v_dual_mul_f32 v6, v161, v113 :: v_dual_add_f32 v3, v3, v198
	v_dual_fmac_f32 v200, v159, v26 :: v_dual_fmac_f32 v201, v161, v112
	v_fma_f32 v4, v158, v26, -v4
	s_delay_alu instid0(VALU_DEP_3) | instskip(SKIP_3) | instid1(VALU_DEP_4)
	v_dual_add_f32 v2, v2, v5 :: v_dual_add_f32 v3, v3, v199
	v_mul_f32_e32 v5, v163, v115
	v_fma_f32 v6, v160, v112, -v6
	v_dual_mul_f32 v203, v164, v117 :: v_dual_mul_f32 v204, v166, v119
	v_add_f32_e32 v2, v2, v4
	v_dual_add_f32 v3, v3, v200 :: v_dual_mul_f32 v4, v165, v117
	s_delay_alu instid0(VALU_DEP_3) | instskip(SKIP_1) | instid1(VALU_DEP_3)
	v_dual_fmac_f32 v202, v163, v114 :: v_dual_fmac_f32 v203, v165, v116
	v_fma_f32 v5, v162, v114, -v5
	v_dual_add_f32 v2, v2, v6 :: v_dual_add_f32 v3, v3, v201
	v_mul_f32_e32 v6, v167, v119
	v_fma_f32 v4, v164, v116, -v4
	v_dual_mul_f32 v205, v168, v121 :: v_dual_mul_f32 v206, v170, v123
	s_delay_alu instid0(VALU_DEP_4) | instskip(SKIP_1) | instid1(VALU_DEP_3)
	v_dual_add_f32 v2, v2, v5 :: v_dual_add_f32 v3, v3, v202
	v_dual_mul_f32 v5, v169, v121 :: v_dual_fmac_f32 v204, v167, v118
	v_fmac_f32_e32 v205, v169, v120
	v_fma_f32 v6, v166, v118, -v6
	s_delay_alu instid0(VALU_DEP_4) | instskip(SKIP_2) | instid1(VALU_DEP_2)
	v_dual_add_f32 v2, v2, v4 :: v_dual_add_f32 v3, v3, v203
	v_dual_mul_f32 v207, v172, v125 :: v_dual_mul_f32 v208, v174, v127
	v_dual_mul_f32 v209, v176, v129 :: v_dual_mul_f32 v210, v178, v131
	v_dual_mul_f32 v4, v171, v123 :: v_dual_fmac_f32 v207, v173, v124
	v_fma_f32 v5, v168, v120, -v5
	v_dual_add_f32 v2, v2, v6 :: v_dual_add_f32 v3, v3, v204
	v_mul_f32_e32 v6, v173, v125
	v_dual_fmac_f32 v206, v171, v122 :: v_dual_fmac_f32 v209, v177, v128
	v_fma_f32 v4, v170, v122, -v4
	s_delay_alu instid0(VALU_DEP_4) | instskip(SKIP_3) | instid1(VALU_DEP_3)
	v_add_f32_e32 v3, v3, v205
	v_dual_add_f32 v2, v2, v5 :: v_dual_mul_f32 v5, v175, v127
	v_fma_f32 v6, v172, v124, -v6
	v_fmac_f32_e32 v208, v175, v126
	v_dual_add_f32 v3, v3, v206 :: v_dual_add_f32 v2, v2, v4
	v_mul_f32_e32 v4, v177, v129
	v_fma_f32 v5, v174, v126, -v5
	v_dual_mul_f32 v211, v180, v133 :: v_dual_mul_f32 v212, v182, v135
	s_delay_alu instid0(VALU_DEP_4) | instskip(NEXT) | instid1(VALU_DEP_2)
	v_dual_add_f32 v3, v3, v207 :: v_dual_add_f32 v2, v2, v6
	v_dual_mul_f32 v6, v179, v131 :: v_dual_fmac_f32 v211, v181, v132
	v_dual_fmac_f32 v210, v179, v130 :: v_dual_fmac_f32 v213, v189, v184
	s_delay_alu instid0(VALU_DEP_3)
	v_add_f32_e32 v2, v2, v5
	v_mul_f32_e32 v5, v181, v133
	v_add_f32_e32 v3, v3, v208
	v_fma_f32 v6, v178, v130, -v6
	v_fma_f32 v4, v176, v128, -v4
	v_fmac_f32_e32 v212, v183, v134
	v_fma_f32 v5, v180, v132, -v5
	v_add_f32_e32 v3, v3, v209
	s_delay_alu instid0(VALU_DEP_1) | instskip(SKIP_1) | instid1(VALU_DEP_2)
	v_dual_add_f32 v3, v3, v210 :: v_dual_add_f32 v2, v2, v4
	v_mul_f32_e32 v4, v183, v135
	v_dual_add_f32 v3, v3, v211 :: v_dual_add_f32 v2, v2, v6
	v_mul_f32_e32 v6, v189, v185
	s_delay_alu instid0(VALU_DEP_3) | instskip(NEXT) | instid1(VALU_DEP_3)
	v_fma_f32 v4, v182, v134, -v4
	v_add_f32_e32 v3, v3, v212
	s_delay_alu instid0(VALU_DEP_1) | instskip(SKIP_3) | instid1(VALU_DEP_2)
	v_add_f32_e32 v3, v3, v213
	v_add_f32_e32 v2, v2, v5
	v_fma_f32 v5, v188, v184, -v6
	s_wait_loadcnt 0x0
	v_dual_sub_f32 v3, v187, v3 :: v_dual_add_f32 v2, v2, v4
	s_delay_alu instid0(VALU_DEP_1) | instskip(NEXT) | instid1(VALU_DEP_1)
	v_add_f32_e32 v2, v2, v5
	v_sub_f32_e32 v2, v186, v2
	scratch_store_b64 off, v[2:3], off offset:128
	v_cmpx_lt_u32_e32 15, v0
	s_cbranch_execz .LBB41_235
; %bb.234:
	scratch_load_b64 v[3:4], off, off offset:120
	v_mov_b32_e32 v2, v1
	scratch_store_b64 off, v[1:2], off offset:120
	s_wait_loadcnt 0x0
	ds_store_b64 v23, v[3:4]
.LBB41_235:
	s_wait_alu 0xfffe
	s_or_b32 exec_lo, exec_lo, s0
	s_wait_storecnt_dscnt 0x0
	s_barrier_signal -1
	s_barrier_wait -1
	global_inv scope:SCOPE_SE
	s_clause 0xd
	scratch_load_b128 v[2:5], off, off offset:128
	scratch_load_b128 v[6:9], off, off offset:144
	;; [unrolled: 1-line block ×13, first 2 shown]
	scratch_load_b64 v[192:193], off, off offset:120
	ds_load_b128 v[140:143], v1 offset:464
	ds_load_b128 v[144:147], v1 offset:480
	;; [unrolled: 1-line block ×13, first 2 shown]
	s_mov_b32 s0, exec_lo
	s_wait_loadcnt_dscnt 0xd0c
	v_dual_mul_f32 v1, v140, v3 :: v_dual_mul_f32 v22, v142, v5
	s_wait_loadcnt_dscnt 0xc0b
	v_dual_mul_f32 v5, v143, v5 :: v_dual_mul_f32 v194, v144, v7
	v_mul_f32_e32 v195, v146, v9
	s_wait_loadcnt_dscnt 0xb0a
	v_dual_fmac_f32 v1, v141, v2 :: v_dual_mul_f32 v196, v148, v11
	v_mul_f32_e32 v197, v150, v13
	v_dual_mul_f32 v3, v141, v3 :: v_dual_fmac_f32 v22, v143, v4
	s_wait_loadcnt_dscnt 0xa09
	v_dual_mul_f32 v198, v152, v15 :: v_dual_mul_f32 v199, v154, v17
	s_wait_loadcnt_dscnt 0x201
	v_mul_f32_e32 v214, v184, v133
	v_fma_f32 v3, v140, v2, -v3
	s_wait_loadcnt_dscnt 0x100
	v_mul_f32_e32 v217, v190, v139
	v_mul_f32_e32 v2, v145, v7
	v_fma_f32 v4, v142, v4, -v5
	v_dual_mul_f32 v5, v147, v9 :: v_dual_fmac_f32 v196, v149, v10
	v_dual_add_f32 v3, 0, v3 :: v_dual_fmac_f32 v194, v145, v6
	s_delay_alu instid0(VALU_DEP_4) | instskip(NEXT) | instid1(VALU_DEP_3)
	v_fma_f32 v2, v144, v6, -v2
	v_fma_f32 v5, v146, v8, -v5
	s_delay_alu instid0(VALU_DEP_3) | instskip(SKIP_2) | instid1(VALU_DEP_3)
	v_dual_fmac_f32 v198, v153, v14 :: v_dual_add_f32 v3, v3, v4
	v_dual_mul_f32 v200, v156, v19 :: v_dual_mul_f32 v201, v158, v21
	v_dual_mul_f32 v202, v160, v25 :: v_dual_mul_f32 v203, v162, v27
	v_add_f32_e32 v2, v3, v2
	s_delay_alu instid0(VALU_DEP_3) | instskip(SKIP_1) | instid1(VALU_DEP_3)
	v_dual_mul_f32 v3, v151, v13 :: v_dual_fmac_f32 v200, v157, v18
	v_dual_mul_f32 v4, v149, v11 :: v_dual_fmac_f32 v199, v155, v16
	v_add_f32_e32 v2, v2, v5
	v_add_f32_e32 v1, 0, v1
	s_delay_alu instid0(VALU_DEP_4) | instskip(NEXT) | instid1(VALU_DEP_4)
	v_fma_f32 v3, v150, v12, -v3
	v_fma_f32 v4, v148, v10, -v4
	v_dual_mul_f32 v204, v164, v113 :: v_dual_mul_f32 v205, v166, v115
	s_delay_alu instid0(VALU_DEP_4) | instskip(SKIP_1) | instid1(VALU_DEP_4)
	v_dual_add_f32 v1, v1, v22 :: v_dual_mul_f32 v208, v172, v121
	v_mul_f32_e32 v209, v174, v123
	v_add_f32_e32 v2, v2, v4
	s_delay_alu instid0(VALU_DEP_3) | instskip(SKIP_2) | instid1(VALU_DEP_3)
	v_dual_mul_f32 v4, v155, v17 :: v_dual_add_f32 v1, v1, v194
	v_dual_fmac_f32 v195, v147, v8 :: v_dual_mul_f32 v206, v168, v117
	v_mul_f32_e32 v207, v170, v119
	v_fma_f32 v4, v154, v16, -v4
	v_mul_f32_e32 v5, v153, v15
	v_add_f32_e32 v2, v2, v3
	v_add_f32_e32 v1, v1, v195
	v_dual_fmac_f32 v205, v167, v114 :: v_dual_mul_f32 v210, v176, v125
	v_mul_f32_e32 v211, v178, v127
	v_fma_f32 v5, v152, v14, -v5
	v_fmac_f32_e32 v197, v151, v12
	v_dual_fmac_f32 v202, v161, v24 :: v_dual_fmac_f32 v203, v163, v26
	v_fmac_f32_e32 v206, v169, v116
	s_delay_alu instid0(VALU_DEP_4) | instskip(SKIP_2) | instid1(VALU_DEP_3)
	v_add_f32_e32 v2, v2, v5
	v_mul_f32_e32 v5, v159, v21
	v_dual_mul_f32 v212, v180, v129 :: v_dual_mul_f32 v213, v182, v131
	v_dual_fmac_f32 v211, v179, v126 :: v_dual_add_f32 v2, v2, v4
	s_delay_alu instid0(VALU_DEP_3) | instskip(SKIP_4) | instid1(VALU_DEP_4)
	v_fma_f32 v5, v158, v20, -v5
	v_mul_f32_e32 v3, v157, v19
	v_dual_mul_f32 v4, v161, v25 :: v_dual_mul_f32 v215, v186, v135
	v_mul_f32_e32 v216, v188, v137
	v_fmac_f32_e32 v204, v165, v112
	v_fma_f32 v3, v156, v18, -v3
	v_add_f32_e32 v1, v1, v196
	v_fma_f32 v4, v160, v24, -v4
	v_dual_fmac_f32 v209, v175, v122 :: v_dual_fmac_f32 v212, v181, v128
	s_delay_alu instid0(VALU_DEP_4) | instskip(SKIP_3) | instid1(VALU_DEP_4)
	v_add_f32_e32 v2, v2, v3
	v_mul_f32_e32 v3, v163, v27
	v_fmac_f32_e32 v215, v187, v134
	v_dual_fmac_f32 v217, v191, v138 :: v_dual_fmac_f32 v208, v173, v120
	v_add_f32_e32 v2, v2, v5
	v_add_f32_e32 v1, v1, v197
	v_fma_f32 v3, v162, v26, -v3
	v_fmac_f32_e32 v210, v177, v124
	v_fmac_f32_e32 v214, v185, v132
	s_delay_alu instid0(VALU_DEP_4) | instskip(SKIP_3) | instid1(VALU_DEP_4)
	v_dual_add_f32 v2, v2, v4 :: v_dual_add_f32 v1, v1, v198
	v_mul_f32_e32 v4, v167, v115
	v_fmac_f32_e32 v201, v159, v20
	v_fmac_f32_e32 v216, v189, v136
	v_dual_add_f32 v2, v2, v3 :: v_dual_mul_f32 v3, v169, v117
	s_delay_alu instid0(VALU_DEP_4) | instskip(SKIP_1) | instid1(VALU_DEP_3)
	v_fma_f32 v4, v166, v114, -v4
	v_mul_f32_e32 v5, v165, v113
	v_fma_f32 v3, v168, v116, -v3
	s_delay_alu instid0(VALU_DEP_2) | instskip(NEXT) | instid1(VALU_DEP_1)
	v_fma_f32 v5, v164, v112, -v5
	v_dual_add_f32 v1, v1, v199 :: v_dual_add_f32 v2, v2, v5
	s_delay_alu instid0(VALU_DEP_1) | instskip(NEXT) | instid1(VALU_DEP_2)
	v_dual_mul_f32 v5, v171, v119 :: v_dual_add_f32 v2, v2, v4
	v_add_f32_e32 v1, v1, v200
	v_mul_f32_e32 v4, v173, v121
	s_delay_alu instid0(VALU_DEP_3) | instskip(NEXT) | instid1(VALU_DEP_4)
	v_fma_f32 v5, v170, v118, -v5
	v_dual_add_f32 v2, v2, v3 :: v_dual_fmac_f32 v207, v171, v118
	v_mul_f32_e32 v3, v175, v123
	s_delay_alu instid0(VALU_DEP_4) | instskip(NEXT) | instid1(VALU_DEP_3)
	v_fma_f32 v4, v172, v120, -v4
	v_add_f32_e32 v2, v2, v5
	v_add_f32_e32 v1, v1, v201
	s_delay_alu instid0(VALU_DEP_4) | instskip(NEXT) | instid1(VALU_DEP_3)
	v_fma_f32 v3, v174, v122, -v3
	v_dual_add_f32 v2, v2, v4 :: v_dual_mul_f32 v5, v177, v125
	s_delay_alu instid0(VALU_DEP_3) | instskip(NEXT) | instid1(VALU_DEP_2)
	v_dual_add_f32 v1, v1, v202 :: v_dual_mul_f32 v4, v179, v127
	v_add_f32_e32 v2, v2, v3
	s_delay_alu instid0(VALU_DEP_3) | instskip(NEXT) | instid1(VALU_DEP_3)
	v_fma_f32 v5, v176, v124, -v5
	v_add_f32_e32 v1, v1, v203
	v_mul_f32_e32 v3, v181, v129
	v_fma_f32 v4, v178, v126, -v4
	s_delay_alu instid0(VALU_DEP_4) | instskip(NEXT) | instid1(VALU_DEP_3)
	v_dual_add_f32 v2, v2, v5 :: v_dual_mul_f32 v5, v183, v131
	v_fma_f32 v3, v180, v128, -v3
	s_delay_alu instid0(VALU_DEP_2) | instskip(SKIP_3) | instid1(VALU_DEP_4)
	v_add_f32_e32 v2, v2, v4
	v_add_f32_e32 v1, v1, v204
	v_mul_f32_e32 v4, v185, v133
	v_fma_f32 v5, v182, v130, -v5
	v_dual_add_f32 v2, v2, v3 :: v_dual_fmac_f32 v213, v183, v130
	v_mul_f32_e32 v3, v187, v135
	s_delay_alu instid0(VALU_DEP_4) | instskip(NEXT) | instid1(VALU_DEP_3)
	v_fma_f32 v4, v184, v132, -v4
	v_add_f32_e32 v2, v2, v5
	v_add_f32_e32 v1, v1, v205
	s_delay_alu instid0(VALU_DEP_4) | instskip(NEXT) | instid1(VALU_DEP_2)
	v_fma_f32 v3, v186, v134, -v3
	v_dual_add_f32 v2, v2, v4 :: v_dual_add_f32 v1, v1, v206
	v_dual_mul_f32 v4, v191, v139 :: v_dual_mul_f32 v5, v189, v137
	s_delay_alu instid0(VALU_DEP_2) | instskip(NEXT) | instid1(VALU_DEP_2)
	v_add_f32_e32 v2, v2, v3
	v_fma_f32 v3, v190, v138, -v4
	s_delay_alu instid0(VALU_DEP_3) | instskip(NEXT) | instid1(VALU_DEP_1)
	v_fma_f32 v5, v188, v136, -v5
	v_dual_add_f32 v1, v1, v207 :: v_dual_add_f32 v2, v2, v5
	s_delay_alu instid0(VALU_DEP_1) | instskip(NEXT) | instid1(VALU_DEP_1)
	v_dual_add_f32 v1, v1, v208 :: v_dual_add_f32 v2, v2, v3
	v_add_f32_e32 v1, v1, v209
	s_delay_alu instid0(VALU_DEP_1) | instskip(NEXT) | instid1(VALU_DEP_1)
	v_add_f32_e32 v1, v1, v210
	v_add_f32_e32 v1, v1, v211
	s_delay_alu instid0(VALU_DEP_1) | instskip(NEXT) | instid1(VALU_DEP_1)
	v_add_f32_e32 v1, v1, v212
	v_add_f32_e32 v1, v1, v213
	s_delay_alu instid0(VALU_DEP_1) | instskip(NEXT) | instid1(VALU_DEP_1)
	v_add_f32_e32 v1, v1, v214
	v_add_f32_e32 v1, v1, v215
	s_delay_alu instid0(VALU_DEP_1) | instskip(NEXT) | instid1(VALU_DEP_1)
	v_add_f32_e32 v1, v1, v216
	v_add_f32_e32 v3, v1, v217
	s_wait_loadcnt 0x0
	s_delay_alu instid0(VALU_DEP_1)
	v_dual_sub_f32 v1, v192, v2 :: v_dual_sub_f32 v2, v193, v3
	scratch_store_b64 off, v[1:2], off offset:120
	v_cmpx_lt_u32_e32 14, v0
	s_cbranch_execz .LBB41_237
; %bb.236:
	scratch_load_b64 v[1:2], off, off offset:112
	v_mov_b32_e32 v3, 0
	s_delay_alu instid0(VALU_DEP_1)
	v_mov_b32_e32 v4, v3
	scratch_store_b64 off, v[3:4], off offset:112
	s_wait_loadcnt 0x0
	ds_store_b64 v23, v[1:2]
.LBB41_237:
	s_wait_alu 0xfffe
	s_or_b32 exec_lo, exec_lo, s0
	s_wait_storecnt_dscnt 0x0
	s_barrier_signal -1
	s_barrier_wait -1
	global_inv scope:SCOPE_SE
	s_clause 0xe
	scratch_load_b128 v[2:5], off, off offset:120
	scratch_load_b128 v[6:9], off, off offset:136
	;; [unrolled: 1-line block ×13, first 2 shown]
	scratch_load_b64 v[192:193], off, off offset:328
	scratch_load_b64 v[194:195], off, off offset:112
	v_mov_b32_e32 v1, 0
	ds_load_2addr_b64 v[140:143], v1 offset0:57 offset1:58
	ds_load_2addr_b64 v[144:147], v1 offset0:59 offset1:60
	;; [unrolled: 1-line block ×13, first 2 shown]
	ds_load_b64 v[196:197], v1 offset:664
	s_mov_b32 s0, exec_lo
	s_wait_loadcnt_dscnt 0xe0d
	v_mul_f32_e32 v22, v140, v3
	v_dual_mul_f32 v3, v141, v3 :: v_dual_mul_f32 v198, v142, v5
	s_wait_loadcnt_dscnt 0xa09
	v_dual_mul_f32 v199, v144, v7 :: v_dual_mul_f32 v206, v158, v21
	v_mul_f32_e32 v5, v143, v5
	s_delay_alu instid0(VALU_DEP_3) | instskip(SKIP_3) | instid1(VALU_DEP_4)
	v_fma_f32 v3, v140, v2, -v3
	v_dual_mul_f32 v200, v146, v9 :: v_dual_mul_f32 v201, v148, v11
	v_fmac_f32_e32 v22, v141, v2
	v_mul_f32_e32 v2, v145, v7
	v_dual_fmac_f32 v198, v143, v4 :: v_dual_add_f32 v3, 0, v3
	s_wait_loadcnt_dscnt 0x100
	v_mul_f32_e32 v223, v196, v193
	v_fma_f32 v4, v142, v4, -v5
	v_dual_add_f32 v5, 0, v22 :: v_dual_fmac_f32 v200, v147, v8
	v_mul_f32_e32 v7, v147, v9
	v_fma_f32 v2, v144, v6, -v2
	s_delay_alu instid0(VALU_DEP_4)
	v_add_f32_e32 v3, v3, v4
	v_fmac_f32_e32 v199, v145, v6
	v_add_f32_e32 v4, v5, v198
	v_mul_f32_e32 v5, v149, v11
	v_fma_f32 v6, v146, v8, -v7
	v_add_f32_e32 v2, v3, v2
	v_dual_mul_f32 v202, v150, v13 :: v_dual_mul_f32 v203, v152, v15
	v_dual_add_f32 v3, v4, v199 :: v_dual_mul_f32 v4, v151, v13
	v_fma_f32 v5, v148, v10, -v5
	s_delay_alu instid0(VALU_DEP_4)
	v_add_f32_e32 v2, v2, v6
	v_fmac_f32_e32 v201, v149, v10
	v_mul_f32_e32 v6, v153, v15
	v_fmac_f32_e32 v202, v151, v12
	v_add_f32_e32 v3, v3, v200
	v_fma_f32 v4, v150, v12, -v4
	v_add_f32_e32 v2, v2, v5
	v_dual_mul_f32 v204, v154, v17 :: v_dual_mul_f32 v205, v156, v19
	s_delay_alu instid0(VALU_DEP_4)
	v_add_f32_e32 v3, v3, v201
	v_mul_f32_e32 v5, v155, v17
	v_fma_f32 v6, v152, v14, -v6
	v_dual_add_f32 v2, v2, v4 :: v_dual_fmac_f32 v203, v153, v14
	v_fmac_f32_e32 v204, v155, v16
	v_mul_f32_e32 v4, v157, v19
	v_fma_f32 v5, v154, v16, -v5
	s_delay_alu instid0(VALU_DEP_4) | instskip(SKIP_3) | instid1(VALU_DEP_3)
	v_add_f32_e32 v2, v2, v6
	v_add_f32_e32 v3, v3, v202
	v_dual_mul_f32 v6, v159, v21 :: v_dual_fmac_f32 v205, v157, v18
	v_fma_f32 v4, v156, v18, -v4
	v_dual_add_f32 v2, v2, v5 :: v_dual_add_f32 v3, v3, v203
	s_delay_alu instid0(VALU_DEP_3) | instskip(SKIP_1) | instid1(VALU_DEP_3)
	v_fma_f32 v6, v158, v20, -v6
	v_dual_mul_f32 v207, v160, v25 :: v_dual_mul_f32 v208, v162, v27
	v_add_f32_e32 v2, v2, v4
	s_delay_alu instid0(VALU_DEP_4) | instskip(SKIP_1) | instid1(VALU_DEP_4)
	v_add_f32_e32 v3, v3, v204
	v_dual_mul_f32 v5, v161, v25 :: v_dual_fmac_f32 v206, v159, v20
	v_dual_mul_f32 v4, v163, v27 :: v_dual_fmac_f32 v207, v161, v24
	s_delay_alu instid0(VALU_DEP_3) | instskip(NEXT) | instid1(VALU_DEP_3)
	v_dual_add_f32 v2, v2, v6 :: v_dual_add_f32 v3, v3, v205
	v_fma_f32 v5, v160, v24, -v5
	v_dual_mul_f32 v209, v164, v113 :: v_dual_mul_f32 v210, v166, v115
	s_delay_alu instid0(VALU_DEP_3) | instskip(NEXT) | instid1(VALU_DEP_2)
	v_dual_mul_f32 v6, v165, v113 :: v_dual_add_f32 v3, v3, v206
	v_dual_fmac_f32 v208, v163, v26 :: v_dual_fmac_f32 v209, v165, v112
	v_fma_f32 v4, v162, v26, -v4
	s_delay_alu instid0(VALU_DEP_3) | instskip(SKIP_3) | instid1(VALU_DEP_4)
	v_dual_add_f32 v2, v2, v5 :: v_dual_add_f32 v3, v3, v207
	v_mul_f32_e32 v5, v167, v115
	v_fma_f32 v6, v164, v112, -v6
	v_dual_mul_f32 v211, v168, v117 :: v_dual_mul_f32 v212, v170, v119
	v_add_f32_e32 v2, v2, v4
	v_dual_add_f32 v3, v3, v208 :: v_dual_mul_f32 v4, v169, v117
	s_delay_alu instid0(VALU_DEP_3) | instskip(SKIP_1) | instid1(VALU_DEP_3)
	v_dual_fmac_f32 v210, v167, v114 :: v_dual_fmac_f32 v211, v169, v116
	v_fma_f32 v5, v166, v114, -v5
	v_dual_add_f32 v2, v2, v6 :: v_dual_add_f32 v3, v3, v209
	v_mul_f32_e32 v6, v171, v119
	v_fma_f32 v4, v168, v116, -v4
	v_dual_mul_f32 v213, v172, v121 :: v_dual_mul_f32 v214, v174, v123
	s_delay_alu instid0(VALU_DEP_4) | instskip(SKIP_1) | instid1(VALU_DEP_3)
	v_dual_add_f32 v2, v2, v5 :: v_dual_add_f32 v3, v3, v210
	v_dual_mul_f32 v5, v173, v121 :: v_dual_fmac_f32 v212, v171, v118
	v_fmac_f32_e32 v213, v173, v120
	v_fma_f32 v6, v170, v118, -v6
	s_delay_alu instid0(VALU_DEP_4) | instskip(SKIP_2) | instid1(VALU_DEP_2)
	v_dual_add_f32 v2, v2, v4 :: v_dual_add_f32 v3, v3, v211
	v_dual_mul_f32 v215, v176, v125 :: v_dual_mul_f32 v216, v178, v127
	v_dual_mul_f32 v217, v180, v129 :: v_dual_mul_f32 v218, v182, v131
	v_dual_mul_f32 v4, v175, v123 :: v_dual_fmac_f32 v215, v177, v124
	v_fma_f32 v5, v172, v120, -v5
	v_dual_add_f32 v2, v2, v6 :: v_dual_add_f32 v3, v3, v212
	v_mul_f32_e32 v6, v177, v125
	v_dual_fmac_f32 v214, v175, v122 :: v_dual_fmac_f32 v217, v181, v128
	v_fma_f32 v4, v174, v122, -v4
	s_delay_alu instid0(VALU_DEP_4) | instskip(SKIP_3) | instid1(VALU_DEP_3)
	v_add_f32_e32 v3, v3, v213
	v_dual_add_f32 v2, v2, v5 :: v_dual_mul_f32 v5, v179, v127
	v_fma_f32 v6, v176, v124, -v6
	v_dual_mul_f32 v221, v188, v137 :: v_dual_mul_f32 v222, v190, v139
	v_dual_add_f32 v3, v3, v214 :: v_dual_add_f32 v2, v2, v4
	v_mul_f32_e32 v4, v181, v129
	v_fmac_f32_e32 v216, v179, v126
	v_fma_f32 v5, v178, v126, -v5
	s_delay_alu instid0(VALU_DEP_4) | instskip(SKIP_3) | instid1(VALU_DEP_4)
	v_dual_add_f32 v3, v3, v215 :: v_dual_add_f32 v2, v2, v6
	v_dual_mul_f32 v219, v184, v133 :: v_dual_mul_f32 v220, v186, v135
	v_mul_f32_e32 v6, v183, v131
	v_dual_fmac_f32 v218, v183, v130 :: v_dual_fmac_f32 v221, v189, v136
	v_add_f32_e32 v2, v2, v5
	v_mul_f32_e32 v5, v185, v133
	v_add_f32_e32 v3, v3, v216
	v_fma_f32 v4, v180, v128, -v4
	v_fmac_f32_e32 v219, v185, v132
	v_fma_f32 v6, v182, v130, -v6
	v_fma_f32 v5, v184, v132, -v5
	v_add_f32_e32 v3, v3, v217
	v_dual_fmac_f32 v220, v187, v134 :: v_dual_fmac_f32 v223, v197, v192
	v_fmac_f32_e32 v222, v191, v138
	s_delay_alu instid0(VALU_DEP_3) | instskip(SKIP_1) | instid1(VALU_DEP_2)
	v_dual_add_f32 v3, v3, v218 :: v_dual_add_f32 v2, v2, v4
	v_mul_f32_e32 v4, v187, v135
	v_dual_add_f32 v3, v3, v219 :: v_dual_add_f32 v2, v2, v6
	v_mul_f32_e32 v6, v189, v137
	s_delay_alu instid0(VALU_DEP_3) | instskip(NEXT) | instid1(VALU_DEP_3)
	v_fma_f32 v4, v186, v134, -v4
	v_dual_add_f32 v3, v3, v220 :: v_dual_add_f32 v2, v2, v5
	v_mul_f32_e32 v5, v191, v139
	s_delay_alu instid0(VALU_DEP_4) | instskip(NEXT) | instid1(VALU_DEP_3)
	v_fma_f32 v6, v188, v136, -v6
	v_dual_add_f32 v3, v3, v221 :: v_dual_add_f32 v2, v2, v4
	v_mul_f32_e32 v4, v197, v193
	s_delay_alu instid0(VALU_DEP_4) | instskip(NEXT) | instid1(VALU_DEP_3)
	v_fma_f32 v5, v190, v138, -v5
	v_add_f32_e32 v3, v3, v222
	s_delay_alu instid0(VALU_DEP_4) | instskip(NEXT) | instid1(VALU_DEP_4)
	v_add_f32_e32 v2, v2, v6
	v_fma_f32 v4, v196, v192, -v4
	s_delay_alu instid0(VALU_DEP_2) | instskip(SKIP_1) | instid1(VALU_DEP_1)
	v_dual_add_f32 v3, v3, v223 :: v_dual_add_f32 v2, v2, v5
	s_wait_loadcnt 0x0
	v_dual_sub_f32 v3, v195, v3 :: v_dual_add_f32 v2, v2, v4
	s_delay_alu instid0(VALU_DEP_1)
	v_sub_f32_e32 v2, v194, v2
	scratch_store_b64 off, v[2:3], off offset:112
	v_cmpx_lt_u32_e32 13, v0
	s_cbranch_execz .LBB41_239
; %bb.238:
	scratch_load_b64 v[3:4], off, off offset:104
	v_mov_b32_e32 v2, v1
	scratch_store_b64 off, v[1:2], off offset:104
	s_wait_loadcnt 0x0
	ds_store_b64 v23, v[3:4]
.LBB41_239:
	s_wait_alu 0xfffe
	s_or_b32 exec_lo, exec_lo, s0
	s_wait_storecnt_dscnt 0x0
	s_barrier_signal -1
	s_barrier_wait -1
	global_inv scope:SCOPE_SE
	s_clause 0xe
	scratch_load_b128 v[2:5], off, off offset:112
	scratch_load_b128 v[6:9], off, off offset:128
	;; [unrolled: 1-line block ×14, first 2 shown]
	scratch_load_b64 v[200:201], off, off offset:104
	ds_load_b128 v[144:147], v1 offset:448
	ds_load_b128 v[148:151], v1 offset:464
	;; [unrolled: 1-line block ×14, first 2 shown]
	s_mov_b32 s0, exec_lo
	s_wait_loadcnt_dscnt 0xe0d
	v_dual_mul_f32 v1, v144, v3 :: v_dual_mul_f32 v22, v146, v5
	s_wait_loadcnt_dscnt 0xd0c
	v_dual_mul_f32 v5, v147, v5 :: v_dual_mul_f32 v202, v148, v7
	v_mul_f32_e32 v203, v150, v9
	s_wait_loadcnt_dscnt 0xc0b
	v_dual_fmac_f32 v1, v145, v2 :: v_dual_mul_f32 v204, v152, v11
	v_mul_f32_e32 v205, v154, v13
	v_dual_mul_f32 v3, v145, v3 :: v_dual_fmac_f32 v22, v147, v4
	s_wait_loadcnt_dscnt 0xb0a
	v_dual_mul_f32 v206, v156, v15 :: v_dual_mul_f32 v207, v158, v17
	s_wait_loadcnt_dscnt 0x201
	v_mul_f32_e32 v224, v192, v137
	v_fma_f32 v3, v144, v2, -v3
	s_wait_loadcnt_dscnt 0x100
	v_mul_f32_e32 v227, v198, v143
	v_mul_f32_e32 v2, v149, v7
	v_fma_f32 v4, v146, v4, -v5
	v_dual_mul_f32 v5, v151, v9 :: v_dual_fmac_f32 v204, v153, v10
	v_dual_add_f32 v3, 0, v3 :: v_dual_fmac_f32 v202, v149, v6
	s_delay_alu instid0(VALU_DEP_4) | instskip(NEXT) | instid1(VALU_DEP_3)
	v_fma_f32 v2, v148, v6, -v2
	v_fma_f32 v5, v150, v8, -v5
	s_delay_alu instid0(VALU_DEP_3) | instskip(SKIP_2) | instid1(VALU_DEP_3)
	v_dual_fmac_f32 v206, v157, v14 :: v_dual_add_f32 v3, v3, v4
	v_dual_mul_f32 v208, v160, v19 :: v_dual_mul_f32 v209, v162, v21
	v_dual_mul_f32 v210, v164, v25 :: v_dual_mul_f32 v211, v166, v27
	v_add_f32_e32 v2, v3, v2
	s_delay_alu instid0(VALU_DEP_3) | instskip(SKIP_1) | instid1(VALU_DEP_3)
	v_dual_mul_f32 v3, v155, v13 :: v_dual_fmac_f32 v208, v161, v18
	v_dual_fmac_f32 v207, v159, v16 :: v_dual_mul_f32 v4, v153, v11
	v_add_f32_e32 v2, v2, v5
	v_add_f32_e32 v1, 0, v1
	s_delay_alu instid0(VALU_DEP_4) | instskip(SKIP_2) | instid1(VALU_DEP_4)
	v_fma_f32 v3, v154, v12, -v3
	v_dual_mul_f32 v212, v168, v113 :: v_dual_mul_f32 v213, v170, v115
	v_fma_f32 v4, v152, v10, -v4
	v_dual_add_f32 v1, v1, v22 :: v_dual_mul_f32 v216, v176, v121
	v_dual_mul_f32 v217, v178, v123 :: v_dual_mul_f32 v214, v172, v117
	v_mul_f32_e32 v215, v174, v119
	s_delay_alu instid0(VALU_DEP_3) | instskip(SKIP_2) | instid1(VALU_DEP_3)
	v_dual_add_f32 v2, v2, v4 :: v_dual_add_f32 v1, v1, v202
	v_mul_f32_e32 v4, v159, v17
	v_fmac_f32_e32 v203, v151, v8
	v_dual_fmac_f32 v213, v171, v114 :: v_dual_add_f32 v2, v2, v3
	v_dual_mul_f32 v218, v180, v125 :: v_dual_mul_f32 v219, v182, v127
	s_delay_alu instid0(VALU_DEP_4) | instskip(SKIP_4) | instid1(VALU_DEP_4)
	v_fma_f32 v4, v158, v16, -v4
	v_mul_f32_e32 v5, v157, v15
	v_add_f32_e32 v1, v1, v203
	v_dual_fmac_f32 v211, v167, v26 :: v_dual_fmac_f32 v214, v173, v116
	v_fmac_f32_e32 v210, v165, v24
	v_fma_f32 v5, v156, v14, -v5
	v_dual_fmac_f32 v205, v155, v12 :: v_dual_mul_f32 v222, v188, v133
	v_dual_mul_f32 v223, v190, v135 :: v_dual_mul_f32 v220, v184, v129
	v_mul_f32_e32 v221, v186, v131
	s_delay_alu instid0(VALU_DEP_4) | instskip(SKIP_3) | instid1(VALU_DEP_4)
	v_add_f32_e32 v2, v2, v5
	v_mul_f32_e32 v5, v163, v21
	v_fmac_f32_e32 v219, v183, v126
	v_dual_fmac_f32 v217, v179, v122 :: v_dual_fmac_f32 v220, v185, v128
	v_add_f32_e32 v2, v2, v4
	s_delay_alu instid0(VALU_DEP_4) | instskip(SKIP_4) | instid1(VALU_DEP_4)
	v_fma_f32 v5, v162, v20, -v5
	v_mul_f32_e32 v3, v161, v19
	v_mul_f32_e32 v4, v165, v25
	v_dual_fmac_f32 v212, v169, v112 :: v_dual_mul_f32 v225, v194, v139
	v_mul_f32_e32 v226, v196, v141
	v_fma_f32 v3, v160, v18, -v3
	v_add_f32_e32 v1, v1, v204
	v_fma_f32 v4, v164, v24, -v4
	s_delay_alu instid0(VALU_DEP_4) | instskip(NEXT) | instid1(VALU_DEP_4)
	v_dual_fmac_f32 v223, v191, v134 :: v_dual_fmac_f32 v226, v197, v140
	v_add_f32_e32 v2, v2, v3
	v_mul_f32_e32 v3, v167, v27
	v_fmac_f32_e32 v225, v195, v138
	v_dual_fmac_f32 v227, v199, v142 :: v_dual_fmac_f32 v216, v177, v120
	s_delay_alu instid0(VALU_DEP_4) | instskip(SKIP_4) | instid1(VALU_DEP_4)
	v_add_f32_e32 v2, v2, v5
	v_add_f32_e32 v1, v1, v205
	v_fma_f32 v3, v166, v26, -v3
	v_fmac_f32_e32 v218, v181, v124
	v_fmac_f32_e32 v222, v189, v132
	v_dual_add_f32 v2, v2, v4 :: v_dual_add_f32 v1, v1, v206
	v_mul_f32_e32 v4, v171, v115
	v_fmac_f32_e32 v209, v163, v20
	v_fmac_f32_e32 v224, v193, v136
	s_delay_alu instid0(VALU_DEP_4) | instskip(NEXT) | instid1(VALU_DEP_4)
	v_dual_add_f32 v2, v2, v3 :: v_dual_mul_f32 v3, v173, v117
	v_fma_f32 v4, v170, v114, -v4
	v_mul_f32_e32 v5, v169, v113
	s_delay_alu instid0(VALU_DEP_3) | instskip(NEXT) | instid1(VALU_DEP_2)
	v_fma_f32 v3, v172, v116, -v3
	v_fma_f32 v5, v168, v112, -v5
	s_delay_alu instid0(VALU_DEP_1) | instskip(NEXT) | instid1(VALU_DEP_1)
	v_dual_add_f32 v1, v1, v207 :: v_dual_add_f32 v2, v2, v5
	v_dual_mul_f32 v5, v175, v119 :: v_dual_add_f32 v2, v2, v4
	s_delay_alu instid0(VALU_DEP_2) | instskip(SKIP_1) | instid1(VALU_DEP_3)
	v_add_f32_e32 v1, v1, v208
	v_mul_f32_e32 v4, v177, v121
	v_fma_f32 v5, v174, v118, -v5
	s_delay_alu instid0(VALU_DEP_4) | instskip(SKIP_1) | instid1(VALU_DEP_4)
	v_dual_add_f32 v2, v2, v3 :: v_dual_fmac_f32 v215, v175, v118
	v_mul_f32_e32 v3, v179, v123
	v_fma_f32 v4, v176, v120, -v4
	s_delay_alu instid0(VALU_DEP_3) | instskip(SKIP_1) | instid1(VALU_DEP_4)
	v_add_f32_e32 v2, v2, v5
	v_add_f32_e32 v1, v1, v209
	v_fma_f32 v3, v178, v122, -v3
	s_delay_alu instid0(VALU_DEP_3) | instskip(NEXT) | instid1(VALU_DEP_3)
	v_dual_add_f32 v2, v2, v4 :: v_dual_mul_f32 v5, v181, v125
	v_dual_add_f32 v1, v1, v210 :: v_dual_mul_f32 v4, v183, v127
	s_delay_alu instid0(VALU_DEP_2) | instskip(NEXT) | instid1(VALU_DEP_3)
	v_add_f32_e32 v2, v2, v3
	v_fma_f32 v5, v180, v124, -v5
	s_delay_alu instid0(VALU_DEP_3) | instskip(SKIP_2) | instid1(VALU_DEP_4)
	v_add_f32_e32 v1, v1, v211
	v_mul_f32_e32 v3, v185, v129
	v_fma_f32 v4, v182, v126, -v4
	v_dual_add_f32 v2, v2, v5 :: v_dual_mul_f32 v5, v187, v131
	s_delay_alu instid0(VALU_DEP_3) | instskip(NEXT) | instid1(VALU_DEP_2)
	v_fma_f32 v3, v184, v128, -v3
	v_add_f32_e32 v2, v2, v4
	v_add_f32_e32 v1, v1, v212
	v_mul_f32_e32 v4, v189, v133
	v_fma_f32 v5, v186, v130, -v5
	s_delay_alu instid0(VALU_DEP_4) | instskip(SKIP_1) | instid1(VALU_DEP_4)
	v_dual_add_f32 v2, v2, v3 :: v_dual_fmac_f32 v221, v187, v130
	v_mul_f32_e32 v3, v191, v135
	v_fma_f32 v4, v188, v132, -v4
	s_delay_alu instid0(VALU_DEP_3) | instskip(SKIP_1) | instid1(VALU_DEP_4)
	v_add_f32_e32 v2, v2, v5
	v_add_f32_e32 v1, v1, v213
	v_fma_f32 v3, v190, v134, -v3
	s_delay_alu instid0(VALU_DEP_3) | instskip(NEXT) | instid1(VALU_DEP_3)
	v_dual_add_f32 v2, v2, v4 :: v_dual_mul_f32 v5, v193, v137
	v_dual_add_f32 v1, v1, v214 :: v_dual_mul_f32 v4, v195, v139
	s_delay_alu instid0(VALU_DEP_2) | instskip(NEXT) | instid1(VALU_DEP_3)
	v_add_f32_e32 v2, v2, v3
	v_fma_f32 v5, v192, v136, -v5
	s_delay_alu instid0(VALU_DEP_3) | instskip(SKIP_2) | instid1(VALU_DEP_4)
	v_add_f32_e32 v1, v1, v215
	v_mul_f32_e32 v3, v197, v141
	v_fma_f32 v4, v194, v138, -v4
	v_dual_add_f32 v2, v2, v5 :: v_dual_mul_f32 v5, v199, v143
	s_delay_alu instid0(VALU_DEP_3) | instskip(NEXT) | instid1(VALU_DEP_2)
	v_fma_f32 v3, v196, v140, -v3
	v_add_f32_e32 v2, v2, v4
	v_add_f32_e32 v1, v1, v216
	s_delay_alu instid0(VALU_DEP_4) | instskip(NEXT) | instid1(VALU_DEP_2)
	v_fma_f32 v4, v198, v142, -v5
	v_dual_add_f32 v2, v2, v3 :: v_dual_add_f32 v1, v1, v217
	s_delay_alu instid0(VALU_DEP_1) | instskip(NEXT) | instid1(VALU_DEP_1)
	v_dual_add_f32 v2, v2, v4 :: v_dual_add_f32 v1, v1, v218
	v_add_f32_e32 v1, v1, v219
	s_delay_alu instid0(VALU_DEP_1) | instskip(NEXT) | instid1(VALU_DEP_1)
	v_add_f32_e32 v1, v1, v220
	v_add_f32_e32 v1, v1, v221
	s_delay_alu instid0(VALU_DEP_1) | instskip(NEXT) | instid1(VALU_DEP_1)
	v_add_f32_e32 v1, v1, v222
	;; [unrolled: 3-line block ×4, first 2 shown]
	v_add_f32_e32 v3, v1, v227
	s_wait_loadcnt 0x0
	s_delay_alu instid0(VALU_DEP_1)
	v_dual_sub_f32 v1, v200, v2 :: v_dual_sub_f32 v2, v201, v3
	scratch_store_b64 off, v[1:2], off offset:104
	v_cmpx_lt_u32_e32 12, v0
	s_cbranch_execz .LBB41_241
; %bb.240:
	scratch_load_b64 v[1:2], off, off offset:96
	v_mov_b32_e32 v3, 0
	s_delay_alu instid0(VALU_DEP_1)
	v_mov_b32_e32 v4, v3
	scratch_store_b64 off, v[3:4], off offset:96
	s_wait_loadcnt 0x0
	ds_store_b64 v23, v[1:2]
.LBB41_241:
	s_wait_alu 0xfffe
	s_or_b32 exec_lo, exec_lo, s0
	s_wait_storecnt_dscnt 0x0
	s_barrier_signal -1
	s_barrier_wait -1
	global_inv scope:SCOPE_SE
	s_clause 0xf
	scratch_load_b128 v[2:5], off, off offset:104
	scratch_load_b128 v[6:9], off, off offset:120
	;; [unrolled: 1-line block ×14, first 2 shown]
	scratch_load_b64 v[200:201], off, off offset:328
	scratch_load_b64 v[202:203], off, off offset:96
	v_mov_b32_e32 v1, 0
	ds_load_2addr_b64 v[144:147], v1 offset0:55 offset1:56
	ds_load_2addr_b64 v[148:151], v1 offset0:57 offset1:58
	;; [unrolled: 1-line block ×14, first 2 shown]
	ds_load_b64 v[204:205], v1 offset:664
	s_mov_b32 s0, exec_lo
	s_wait_loadcnt_dscnt 0xf0e
	v_mul_f32_e32 v22, v144, v3
	v_dual_mul_f32 v3, v145, v3 :: v_dual_mul_f32 v206, v146, v5
	s_wait_loadcnt_dscnt 0xb0a
	v_dual_mul_f32 v207, v148, v7 :: v_dual_mul_f32 v214, v162, v21
	v_mul_f32_e32 v5, v147, v5
	s_delay_alu instid0(VALU_DEP_3)
	v_fma_f32 v3, v144, v2, -v3
	v_dual_mul_f32 v208, v150, v9 :: v_dual_mul_f32 v209, v152, v11
	v_fmac_f32_e32 v206, v147, v4
	v_fmac_f32_e32 v22, v145, v2
	v_mul_f32_e32 v2, v149, v7
	v_fma_f32 v4, v146, v4, -v5
	v_add_f32_e32 v3, 0, v3
	s_wait_loadcnt_dscnt 0x100
	v_mul_f32_e32 v233, v204, v201
	v_dual_add_f32 v5, 0, v22 :: v_dual_fmac_f32 v208, v151, v8
	v_mul_f32_e32 v7, v151, v9
	v_fma_f32 v2, v148, v6, -v2
	v_add_f32_e32 v3, v3, v4
	v_fmac_f32_e32 v207, v149, v6
	v_add_f32_e32 v4, v5, v206
	v_mul_f32_e32 v5, v153, v11
	v_fma_f32 v6, v150, v8, -v7
	v_add_f32_e32 v2, v3, v2
	v_dual_mul_f32 v210, v154, v13 :: v_dual_mul_f32 v211, v156, v15
	v_dual_add_f32 v3, v4, v207 :: v_dual_mul_f32 v4, v155, v13
	v_fma_f32 v5, v152, v10, -v5
	s_delay_alu instid0(VALU_DEP_4)
	v_add_f32_e32 v2, v2, v6
	v_fmac_f32_e32 v209, v153, v10
	v_mul_f32_e32 v6, v157, v15
	v_fmac_f32_e32 v210, v155, v12
	v_add_f32_e32 v3, v3, v208
	v_fma_f32 v4, v154, v12, -v4
	v_add_f32_e32 v2, v2, v5
	v_dual_mul_f32 v212, v158, v17 :: v_dual_mul_f32 v213, v160, v19
	s_delay_alu instid0(VALU_DEP_4)
	v_add_f32_e32 v3, v3, v209
	v_mul_f32_e32 v5, v159, v17
	v_fma_f32 v6, v156, v14, -v6
	v_dual_add_f32 v2, v2, v4 :: v_dual_fmac_f32 v211, v157, v14
	v_fmac_f32_e32 v212, v159, v16
	v_mul_f32_e32 v4, v161, v19
	v_fma_f32 v5, v158, v16, -v5
	s_delay_alu instid0(VALU_DEP_4) | instskip(SKIP_3) | instid1(VALU_DEP_3)
	v_add_f32_e32 v2, v2, v6
	v_add_f32_e32 v3, v3, v210
	v_dual_mul_f32 v6, v163, v21 :: v_dual_fmac_f32 v213, v161, v18
	v_fma_f32 v4, v160, v18, -v4
	v_dual_add_f32 v2, v2, v5 :: v_dual_add_f32 v3, v3, v211
	s_delay_alu instid0(VALU_DEP_3) | instskip(SKIP_1) | instid1(VALU_DEP_3)
	v_fma_f32 v6, v162, v20, -v6
	v_dual_mul_f32 v215, v164, v25 :: v_dual_mul_f32 v216, v166, v27
	v_add_f32_e32 v2, v2, v4
	s_delay_alu instid0(VALU_DEP_4) | instskip(SKIP_1) | instid1(VALU_DEP_4)
	v_add_f32_e32 v3, v3, v212
	v_dual_mul_f32 v5, v165, v25 :: v_dual_fmac_f32 v214, v163, v20
	v_dual_mul_f32 v4, v167, v27 :: v_dual_fmac_f32 v215, v165, v24
	s_delay_alu instid0(VALU_DEP_3) | instskip(NEXT) | instid1(VALU_DEP_3)
	v_dual_add_f32 v2, v2, v6 :: v_dual_add_f32 v3, v3, v213
	v_fma_f32 v5, v164, v24, -v5
	v_dual_mul_f32 v217, v168, v113 :: v_dual_mul_f32 v218, v170, v115
	s_delay_alu instid0(VALU_DEP_3) | instskip(NEXT) | instid1(VALU_DEP_2)
	v_dual_mul_f32 v6, v169, v113 :: v_dual_add_f32 v3, v3, v214
	v_dual_fmac_f32 v216, v167, v26 :: v_dual_fmac_f32 v217, v169, v112
	v_fma_f32 v4, v166, v26, -v4
	s_delay_alu instid0(VALU_DEP_3) | instskip(SKIP_3) | instid1(VALU_DEP_4)
	v_dual_add_f32 v2, v2, v5 :: v_dual_add_f32 v3, v3, v215
	v_mul_f32_e32 v5, v171, v115
	v_fma_f32 v6, v168, v112, -v6
	v_dual_mul_f32 v219, v172, v117 :: v_dual_mul_f32 v220, v174, v119
	v_add_f32_e32 v2, v2, v4
	v_dual_add_f32 v3, v3, v216 :: v_dual_mul_f32 v4, v173, v117
	s_delay_alu instid0(VALU_DEP_3) | instskip(SKIP_1) | instid1(VALU_DEP_3)
	v_dual_fmac_f32 v218, v171, v114 :: v_dual_fmac_f32 v219, v173, v116
	v_fma_f32 v5, v170, v114, -v5
	v_dual_add_f32 v2, v2, v6 :: v_dual_add_f32 v3, v3, v217
	v_mul_f32_e32 v6, v175, v119
	v_fma_f32 v4, v172, v116, -v4
	v_dual_mul_f32 v221, v176, v121 :: v_dual_mul_f32 v222, v178, v123
	s_delay_alu instid0(VALU_DEP_4) | instskip(SKIP_1) | instid1(VALU_DEP_3)
	v_dual_add_f32 v2, v2, v5 :: v_dual_add_f32 v3, v3, v218
	v_dual_mul_f32 v5, v177, v121 :: v_dual_fmac_f32 v220, v175, v118
	v_fmac_f32_e32 v221, v177, v120
	v_fma_f32 v6, v174, v118, -v6
	s_delay_alu instid0(VALU_DEP_4) | instskip(SKIP_2) | instid1(VALU_DEP_2)
	v_dual_add_f32 v2, v2, v4 :: v_dual_add_f32 v3, v3, v219
	v_dual_mul_f32 v223, v180, v125 :: v_dual_mul_f32 v224, v182, v127
	v_dual_mul_f32 v225, v184, v129 :: v_dual_mul_f32 v226, v186, v131
	v_dual_mul_f32 v4, v179, v123 :: v_dual_fmac_f32 v223, v181, v124
	v_fma_f32 v5, v176, v120, -v5
	v_dual_add_f32 v2, v2, v6 :: v_dual_add_f32 v3, v3, v220
	v_mul_f32_e32 v6, v181, v125
	v_dual_fmac_f32 v222, v179, v122 :: v_dual_fmac_f32 v225, v185, v128
	v_fma_f32 v4, v178, v122, -v4
	s_delay_alu instid0(VALU_DEP_4) | instskip(SKIP_3) | instid1(VALU_DEP_3)
	v_add_f32_e32 v3, v3, v221
	v_dual_add_f32 v2, v2, v5 :: v_dual_mul_f32 v5, v183, v127
	v_fma_f32 v6, v180, v124, -v6
	v_dual_mul_f32 v229, v192, v137 :: v_dual_mul_f32 v230, v194, v139
	v_dual_add_f32 v3, v3, v222 :: v_dual_add_f32 v2, v2, v4
	v_mul_f32_e32 v4, v185, v129
	v_fmac_f32_e32 v224, v183, v126
	v_fma_f32 v5, v182, v126, -v5
	s_delay_alu instid0(VALU_DEP_4) | instskip(SKIP_3) | instid1(VALU_DEP_4)
	v_dual_add_f32 v3, v3, v223 :: v_dual_add_f32 v2, v2, v6
	v_dual_mul_f32 v227, v188, v133 :: v_dual_mul_f32 v228, v190, v135
	v_mul_f32_e32 v6, v187, v131
	v_dual_fmac_f32 v226, v187, v130 :: v_dual_fmac_f32 v229, v193, v136
	v_add_f32_e32 v2, v2, v5
	v_mul_f32_e32 v5, v189, v133
	v_add_f32_e32 v3, v3, v224
	v_fma_f32 v4, v184, v128, -v4
	v_fmac_f32_e32 v227, v189, v132
	v_fma_f32 v6, v186, v130, -v6
	v_dual_mul_f32 v231, v196, v141 :: v_dual_mul_f32 v232, v198, v143
	v_add_f32_e32 v3, v3, v225
	v_fma_f32 v5, v188, v132, -v5
	s_delay_alu instid0(VALU_DEP_3) | instskip(NEXT) | instid1(VALU_DEP_4)
	v_dual_fmac_f32 v228, v191, v134 :: v_dual_fmac_f32 v231, v197, v140
	v_fmac_f32_e32 v232, v199, v142
	s_delay_alu instid0(VALU_DEP_4) | instskip(SKIP_2) | instid1(VALU_DEP_3)
	v_dual_add_f32 v3, v3, v226 :: v_dual_add_f32 v2, v2, v4
	v_mul_f32_e32 v4, v191, v135
	v_dual_fmac_f32 v230, v195, v138 :: v_dual_fmac_f32 v233, v205, v200
	v_dual_add_f32 v3, v3, v227 :: v_dual_add_f32 v2, v2, v6
	v_mul_f32_e32 v6, v193, v137
	s_delay_alu instid0(VALU_DEP_4) | instskip(NEXT) | instid1(VALU_DEP_3)
	v_fma_f32 v4, v190, v134, -v4
	v_dual_add_f32 v2, v2, v5 :: v_dual_mul_f32 v5, v195, v139
	s_delay_alu instid0(VALU_DEP_3) | instskip(NEXT) | instid1(VALU_DEP_2)
	v_fma_f32 v6, v192, v136, -v6
	v_add_f32_e32 v2, v2, v4
	s_delay_alu instid0(VALU_DEP_3) | instskip(NEXT) | instid1(VALU_DEP_2)
	v_fma_f32 v5, v194, v138, -v5
	v_add_f32_e32 v2, v2, v6
	v_mul_f32_e32 v6, v199, v143
	s_delay_alu instid0(VALU_DEP_2) | instskip(SKIP_2) | instid1(VALU_DEP_4)
	v_add_f32_e32 v2, v2, v5
	v_mul_f32_e32 v5, v205, v201
	v_add_f32_e32 v3, v3, v228
	v_fma_f32 v6, v198, v142, -v6
	s_delay_alu instid0(VALU_DEP_2) | instskip(NEXT) | instid1(VALU_DEP_1)
	v_add_f32_e32 v3, v3, v229
	v_dual_mul_f32 v4, v197, v141 :: v_dual_add_f32 v3, v3, v230
	s_delay_alu instid0(VALU_DEP_1) | instskip(NEXT) | instid1(VALU_DEP_2)
	v_fma_f32 v4, v196, v140, -v4
	v_add_f32_e32 v3, v3, v231
	s_delay_alu instid0(VALU_DEP_1) | instskip(NEXT) | instid1(VALU_DEP_3)
	v_add_f32_e32 v3, v3, v232
	v_add_f32_e32 v2, v2, v4
	v_fma_f32 v4, v204, v200, -v5
	s_delay_alu instid0(VALU_DEP_2) | instskip(SKIP_1) | instid1(VALU_DEP_1)
	v_dual_add_f32 v3, v3, v233 :: v_dual_add_f32 v2, v2, v6
	s_wait_loadcnt 0x0
	v_dual_sub_f32 v3, v203, v3 :: v_dual_add_f32 v2, v2, v4
	s_delay_alu instid0(VALU_DEP_1)
	v_sub_f32_e32 v2, v202, v2
	scratch_store_b64 off, v[2:3], off offset:96
	v_cmpx_lt_u32_e32 11, v0
	s_cbranch_execz .LBB41_243
; %bb.242:
	scratch_load_b64 v[3:4], off, off offset:88
	v_mov_b32_e32 v2, v1
	scratch_store_b64 off, v[1:2], off offset:88
	s_wait_loadcnt 0x0
	ds_store_b64 v23, v[3:4]
.LBB41_243:
	s_wait_alu 0xfffe
	s_or_b32 exec_lo, exec_lo, s0
	s_wait_storecnt_dscnt 0x0
	s_barrier_signal -1
	s_barrier_wait -1
	global_inv scope:SCOPE_SE
	s_clause 0xf
	scratch_load_b128 v[2:5], off, off offset:96
	scratch_load_b128 v[6:9], off, off offset:112
	;; [unrolled: 1-line block ×15, first 2 shown]
	scratch_load_b64 v[208:209], off, off offset:88
	ds_load_b128 v[148:151], v1 offset:432
	ds_load_b128 v[152:155], v1 offset:448
	;; [unrolled: 1-line block ×15, first 2 shown]
	s_mov_b32 s0, exec_lo
	s_wait_loadcnt_dscnt 0xf0e
	v_dual_mul_f32 v1, v148, v3 :: v_dual_mul_f32 v22, v150, v5
	s_wait_loadcnt_dscnt 0xe0d
	v_dual_mul_f32 v5, v151, v5 :: v_dual_mul_f32 v210, v152, v7
	v_mul_f32_e32 v211, v154, v9
	s_wait_loadcnt_dscnt 0xd0c
	v_dual_fmac_f32 v1, v149, v2 :: v_dual_mul_f32 v212, v156, v11
	s_wait_loadcnt_dscnt 0xc0b
	v_dual_mul_f32 v213, v158, v13 :: v_dual_mul_f32 v214, v160, v15
	v_mul_f32_e32 v215, v162, v17
	v_dual_mul_f32 v3, v149, v3 :: v_dual_fmac_f32 v22, v151, v4
	s_wait_loadcnt_dscnt 0xb0a
	v_dual_mul_f32 v216, v164, v19 :: v_dual_mul_f32 v217, v166, v21
	s_wait_loadcnt_dscnt 0x201
	v_mul_f32_e32 v234, v200, v141
	v_fma_f32 v3, v148, v2, -v3
	s_wait_loadcnt_dscnt 0x100
	v_mul_f32_e32 v237, v206, v147
	v_mul_f32_e32 v2, v153, v7
	v_fma_f32 v4, v150, v4, -v5
	v_dual_mul_f32 v5, v155, v9 :: v_dual_fmac_f32 v212, v157, v10
	v_dual_add_f32 v3, 0, v3 :: v_dual_fmac_f32 v210, v153, v6
	s_delay_alu instid0(VALU_DEP_4) | instskip(NEXT) | instid1(VALU_DEP_3)
	v_fma_f32 v2, v152, v6, -v2
	v_fma_f32 v5, v154, v8, -v5
	s_delay_alu instid0(VALU_DEP_3) | instskip(SKIP_2) | instid1(VALU_DEP_3)
	v_dual_fmac_f32 v214, v161, v14 :: v_dual_add_f32 v3, v3, v4
	v_dual_mul_f32 v218, v168, v25 :: v_dual_mul_f32 v219, v170, v27
	v_dual_fmac_f32 v216, v165, v18 :: v_dual_fmac_f32 v215, v163, v16
	v_add_f32_e32 v2, v3, v2
	v_mul_f32_e32 v3, v159, v13
	v_dual_mul_f32 v220, v172, v113 :: v_dual_mul_f32 v221, v174, v115
	v_mul_f32_e32 v4, v157, v11
	s_delay_alu instid0(VALU_DEP_4) | instskip(SKIP_4) | instid1(VALU_DEP_4)
	v_add_f32_e32 v2, v2, v5
	v_add_f32_e32 v1, 0, v1
	v_fma_f32 v3, v158, v12, -v3
	v_dual_mul_f32 v224, v180, v121 :: v_dual_mul_f32 v225, v182, v123
	v_fma_f32 v4, v156, v10, -v4
	v_dual_add_f32 v1, v1, v22 :: v_dual_mul_f32 v222, v176, v117
	v_mul_f32_e32 v223, v178, v119
	s_delay_alu instid0(VALU_DEP_3) | instskip(NEXT) | instid1(VALU_DEP_3)
	v_dual_fmac_f32 v221, v175, v114 :: v_dual_add_f32 v2, v2, v4
	v_dual_add_f32 v1, v1, v210 :: v_dual_mul_f32 v4, v163, v17
	v_dual_fmac_f32 v211, v155, v8 :: v_dual_mul_f32 v226, v184, v125
	v_mul_f32_e32 v227, v186, v127
	s_delay_alu instid0(VALU_DEP_4) | instskip(NEXT) | instid1(VALU_DEP_4)
	v_add_f32_e32 v2, v2, v3
	v_fma_f32 v4, v162, v16, -v4
	v_mul_f32_e32 v5, v161, v15
	v_add_f32_e32 v1, v1, v211
	v_dual_fmac_f32 v219, v171, v26 :: v_dual_fmac_f32 v222, v177, v116
	v_dual_mul_f32 v230, v192, v133 :: v_dual_mul_f32 v231, v194, v135
	s_delay_alu instid0(VALU_DEP_4) | instskip(SKIP_3) | instid1(VALU_DEP_4)
	v_fma_f32 v5, v160, v14, -v5
	v_fmac_f32_e32 v213, v159, v12
	v_fmac_f32_e32 v218, v169, v24
	v_dual_mul_f32 v228, v188, v129 :: v_dual_mul_f32 v229, v190, v131
	v_add_f32_e32 v2, v2, v5
	v_mul_f32_e32 v5, v167, v21
	v_dual_fmac_f32 v227, v187, v126 :: v_dual_mul_f32 v232, v196, v137
	v_mul_f32_e32 v233, v198, v139
	s_delay_alu instid0(VALU_DEP_4) | instskip(NEXT) | instid1(VALU_DEP_4)
	v_add_f32_e32 v2, v2, v4
	v_fma_f32 v5, v166, v20, -v5
	v_mul_f32_e32 v3, v165, v19
	v_mul_f32_e32 v4, v169, v25
	v_dual_fmac_f32 v220, v173, v112 :: v_dual_mul_f32 v235, v202, v143
	v_mul_f32_e32 v236, v204, v145
	s_delay_alu instid0(VALU_DEP_4) | instskip(SKIP_3) | instid1(VALU_DEP_4)
	v_fma_f32 v3, v164, v18, -v3
	v_add_f32_e32 v1, v1, v212
	v_fma_f32 v4, v168, v24, -v4
	v_dual_fmac_f32 v225, v183, v122 :: v_dual_fmac_f32 v228, v189, v128
	v_add_f32_e32 v2, v2, v3
	v_mul_f32_e32 v3, v171, v27
	v_fmac_f32_e32 v233, v199, v138
	v_dual_fmac_f32 v231, v195, v134 :: v_dual_fmac_f32 v234, v201, v140
	s_delay_alu instid0(VALU_DEP_4) | instskip(SKIP_3) | instid1(VALU_DEP_3)
	v_add_f32_e32 v2, v2, v5
	v_add_f32_e32 v1, v1, v213
	v_fma_f32 v3, v170, v26, -v3
	v_dual_fmac_f32 v237, v207, v146 :: v_dual_fmac_f32 v224, v181, v120
	v_dual_add_f32 v2, v2, v4 :: v_dual_add_f32 v1, v1, v214
	v_mul_f32_e32 v4, v175, v115
	v_fmac_f32_e32 v217, v167, v20
	v_fmac_f32_e32 v226, v185, v124
	s_delay_alu instid0(VALU_DEP_4) | instskip(NEXT) | instid1(VALU_DEP_4)
	v_dual_add_f32 v2, v2, v3 :: v_dual_mul_f32 v3, v177, v117
	v_fma_f32 v4, v174, v114, -v4
	v_mul_f32_e32 v5, v173, v113
	v_fmac_f32_e32 v230, v193, v132
	v_fmac_f32_e32 v232, v197, v136
	v_fma_f32 v3, v176, v116, -v3
	v_fmac_f32_e32 v236, v205, v144
	v_fma_f32 v5, v172, v112, -v5
	s_delay_alu instid0(VALU_DEP_1) | instskip(NEXT) | instid1(VALU_DEP_1)
	v_dual_add_f32 v1, v1, v215 :: v_dual_add_f32 v2, v2, v5
	v_dual_mul_f32 v5, v179, v119 :: v_dual_add_f32 v2, v2, v4
	s_delay_alu instid0(VALU_DEP_2) | instskip(SKIP_1) | instid1(VALU_DEP_3)
	v_add_f32_e32 v1, v1, v216
	v_mul_f32_e32 v4, v181, v121
	v_fma_f32 v5, v178, v118, -v5
	s_delay_alu instid0(VALU_DEP_4) | instskip(SKIP_1) | instid1(VALU_DEP_4)
	v_dual_add_f32 v2, v2, v3 :: v_dual_fmac_f32 v223, v179, v118
	v_mul_f32_e32 v3, v183, v123
	v_fma_f32 v4, v180, v120, -v4
	s_delay_alu instid0(VALU_DEP_3) | instskip(SKIP_1) | instid1(VALU_DEP_4)
	v_add_f32_e32 v2, v2, v5
	v_add_f32_e32 v1, v1, v217
	v_fma_f32 v3, v182, v122, -v3
	s_delay_alu instid0(VALU_DEP_3) | instskip(NEXT) | instid1(VALU_DEP_3)
	v_dual_add_f32 v2, v2, v4 :: v_dual_mul_f32 v5, v185, v125
	v_dual_add_f32 v1, v1, v218 :: v_dual_mul_f32 v4, v187, v127
	s_delay_alu instid0(VALU_DEP_2) | instskip(NEXT) | instid1(VALU_DEP_3)
	v_add_f32_e32 v2, v2, v3
	v_fma_f32 v5, v184, v124, -v5
	s_delay_alu instid0(VALU_DEP_3) | instskip(SKIP_2) | instid1(VALU_DEP_4)
	v_add_f32_e32 v1, v1, v219
	v_mul_f32_e32 v3, v189, v129
	v_fma_f32 v4, v186, v126, -v4
	v_dual_add_f32 v2, v2, v5 :: v_dual_mul_f32 v5, v191, v131
	s_delay_alu instid0(VALU_DEP_3) | instskip(NEXT) | instid1(VALU_DEP_2)
	v_fma_f32 v3, v188, v128, -v3
	v_add_f32_e32 v2, v2, v4
	v_add_f32_e32 v1, v1, v220
	v_mul_f32_e32 v4, v193, v133
	v_fma_f32 v5, v190, v130, -v5
	s_delay_alu instid0(VALU_DEP_4) | instskip(SKIP_1) | instid1(VALU_DEP_4)
	v_dual_add_f32 v2, v2, v3 :: v_dual_fmac_f32 v229, v191, v130
	v_mul_f32_e32 v3, v195, v135
	v_fma_f32 v4, v192, v132, -v4
	s_delay_alu instid0(VALU_DEP_3) | instskip(SKIP_1) | instid1(VALU_DEP_4)
	v_add_f32_e32 v2, v2, v5
	v_add_f32_e32 v1, v1, v221
	v_fma_f32 v3, v194, v134, -v3
	s_delay_alu instid0(VALU_DEP_3) | instskip(NEXT) | instid1(VALU_DEP_3)
	v_dual_add_f32 v2, v2, v4 :: v_dual_mul_f32 v5, v197, v137
	v_dual_add_f32 v1, v1, v222 :: v_dual_mul_f32 v4, v199, v139
	s_delay_alu instid0(VALU_DEP_2) | instskip(NEXT) | instid1(VALU_DEP_3)
	v_add_f32_e32 v2, v2, v3
	v_fma_f32 v5, v196, v136, -v5
	s_delay_alu instid0(VALU_DEP_3) | instskip(SKIP_2) | instid1(VALU_DEP_4)
	v_add_f32_e32 v1, v1, v223
	v_mul_f32_e32 v3, v201, v141
	v_fma_f32 v4, v198, v138, -v4
	v_dual_add_f32 v2, v2, v5 :: v_dual_mul_f32 v5, v203, v143
	s_delay_alu instid0(VALU_DEP_3) | instskip(NEXT) | instid1(VALU_DEP_2)
	v_fma_f32 v3, v200, v140, -v3
	v_add_f32_e32 v2, v2, v4
	v_add_f32_e32 v1, v1, v224
	v_mul_f32_e32 v4, v205, v145
	v_fma_f32 v5, v202, v142, -v5
	s_delay_alu instid0(VALU_DEP_4) | instskip(SKIP_1) | instid1(VALU_DEP_4)
	v_dual_add_f32 v2, v2, v3 :: v_dual_fmac_f32 v235, v203, v142
	v_mul_f32_e32 v3, v207, v147
	v_fma_f32 v4, v204, v144, -v4
	s_delay_alu instid0(VALU_DEP_3) | instskip(SKIP_1) | instid1(VALU_DEP_4)
	v_add_f32_e32 v2, v2, v5
	v_add_f32_e32 v1, v1, v225
	v_fma_f32 v3, v206, v146, -v3
	s_delay_alu instid0(VALU_DEP_2) | instskip(NEXT) | instid1(VALU_DEP_1)
	v_dual_add_f32 v2, v2, v4 :: v_dual_add_f32 v1, v1, v226
	v_add_f32_e32 v2, v2, v3
	s_delay_alu instid0(VALU_DEP_2) | instskip(NEXT) | instid1(VALU_DEP_1)
	v_add_f32_e32 v1, v1, v227
	v_add_f32_e32 v1, v1, v228
	s_delay_alu instid0(VALU_DEP_1) | instskip(NEXT) | instid1(VALU_DEP_1)
	v_add_f32_e32 v1, v1, v229
	v_add_f32_e32 v1, v1, v230
	s_delay_alu instid0(VALU_DEP_1) | instskip(NEXT) | instid1(VALU_DEP_1)
	v_add_f32_e32 v1, v1, v231
	v_add_f32_e32 v1, v1, v232
	s_delay_alu instid0(VALU_DEP_1) | instskip(NEXT) | instid1(VALU_DEP_1)
	v_add_f32_e32 v1, v1, v233
	v_add_f32_e32 v1, v1, v234
	s_delay_alu instid0(VALU_DEP_1) | instskip(NEXT) | instid1(VALU_DEP_1)
	v_add_f32_e32 v1, v1, v235
	v_add_f32_e32 v1, v1, v236
	s_delay_alu instid0(VALU_DEP_1) | instskip(SKIP_1) | instid1(VALU_DEP_1)
	v_add_f32_e32 v3, v1, v237
	s_wait_loadcnt 0x0
	v_dual_sub_f32 v1, v208, v2 :: v_dual_sub_f32 v2, v209, v3
	scratch_store_b64 off, v[1:2], off offset:88
	v_cmpx_lt_u32_e32 10, v0
	s_cbranch_execz .LBB41_245
; %bb.244:
	scratch_load_b64 v[1:2], off, off offset:80
	v_mov_b32_e32 v3, 0
	s_delay_alu instid0(VALU_DEP_1)
	v_mov_b32_e32 v4, v3
	scratch_store_b64 off, v[3:4], off offset:80
	s_wait_loadcnt 0x0
	ds_store_b64 v23, v[1:2]
.LBB41_245:
	s_wait_alu 0xfffe
	s_or_b32 exec_lo, exec_lo, s0
	s_wait_storecnt_dscnt 0x0
	s_barrier_signal -1
	s_barrier_wait -1
	global_inv scope:SCOPE_SE
	s_clause 0x10
	scratch_load_b128 v[2:5], off, off offset:88
	scratch_load_b128 v[6:9], off, off offset:104
	;; [unrolled: 1-line block ×15, first 2 shown]
	scratch_load_b64 v[208:209], off, off offset:328
	scratch_load_b64 v[210:211], off, off offset:80
	v_mov_b32_e32 v1, 0
	ds_load_2addr_b64 v[148:151], v1 offset0:53 offset1:54
	ds_load_2addr_b64 v[152:155], v1 offset0:55 offset1:56
	;; [unrolled: 1-line block ×15, first 2 shown]
	ds_load_b64 v[212:213], v1 offset:664
	s_mov_b32 s0, exec_lo
	s_wait_loadcnt_dscnt 0x100f
	v_mul_f32_e32 v22, v148, v3
	v_dual_mul_f32 v3, v149, v3 :: v_dual_mul_f32 v214, v150, v5
	s_wait_loadcnt_dscnt 0xc0b
	v_dual_mul_f32 v215, v152, v7 :: v_dual_mul_f32 v222, v166, v21
	v_mul_f32_e32 v5, v151, v5
	s_delay_alu instid0(VALU_DEP_3) | instskip(SKIP_1) | instid1(VALU_DEP_4)
	v_fma_f32 v3, v148, v2, -v3
	v_dual_mul_f32 v216, v154, v9 :: v_dual_mul_f32 v217, v156, v11
	v_dual_fmac_f32 v214, v151, v4 :: v_dual_fmac_f32 v215, v153, v6
	v_fmac_f32_e32 v22, v149, v2
	v_mul_f32_e32 v2, v153, v7
	v_fma_f32 v4, v150, v4, -v5
	v_add_f32_e32 v3, 0, v3
	s_wait_loadcnt_dscnt 0x100
	v_mul_f32_e32 v243, v212, v209
	v_dual_add_f32 v5, 0, v22 :: v_dual_fmac_f32 v216, v155, v8
	v_mul_f32_e32 v7, v155, v9
	v_fma_f32 v2, v152, v6, -v2
	s_delay_alu instid0(VALU_DEP_3) | instskip(SKIP_1) | instid1(VALU_DEP_4)
	v_dual_add_f32 v3, v3, v4 :: v_dual_add_f32 v4, v5, v214
	v_mul_f32_e32 v5, v157, v11
	v_fma_f32 v6, v154, v8, -v7
	v_dual_mul_f32 v218, v158, v13 :: v_dual_mul_f32 v219, v160, v15
	s_delay_alu instid0(VALU_DEP_4) | instskip(SKIP_2) | instid1(VALU_DEP_4)
	v_dual_add_f32 v2, v3, v2 :: v_dual_add_f32 v3, v4, v215
	v_mul_f32_e32 v4, v159, v13
	v_fma_f32 v5, v156, v10, -v5
	v_fmac_f32_e32 v218, v159, v12
	s_delay_alu instid0(VALU_DEP_4) | instskip(SKIP_3) | instid1(VALU_DEP_4)
	v_add_f32_e32 v2, v2, v6
	v_fmac_f32_e32 v217, v157, v10
	v_dual_add_f32 v3, v3, v216 :: v_dual_mul_f32 v6, v161, v15
	v_fma_f32 v4, v158, v12, -v4
	v_add_f32_e32 v2, v2, v5
	v_dual_mul_f32 v220, v162, v17 :: v_dual_mul_f32 v221, v164, v19
	s_delay_alu instid0(VALU_DEP_4)
	v_add_f32_e32 v3, v3, v217
	v_mul_f32_e32 v5, v163, v17
	v_fma_f32 v6, v160, v14, -v6
	v_dual_add_f32 v2, v2, v4 :: v_dual_fmac_f32 v219, v161, v14
	v_fmac_f32_e32 v220, v163, v16
	v_mul_f32_e32 v4, v165, v19
	v_fma_f32 v5, v162, v16, -v5
	s_delay_alu instid0(VALU_DEP_4) | instskip(SKIP_3) | instid1(VALU_DEP_3)
	v_add_f32_e32 v2, v2, v6
	v_add_f32_e32 v3, v3, v218
	v_dual_mul_f32 v6, v167, v21 :: v_dual_fmac_f32 v221, v165, v18
	v_fma_f32 v4, v164, v18, -v4
	v_dual_add_f32 v2, v2, v5 :: v_dual_add_f32 v3, v3, v219
	s_delay_alu instid0(VALU_DEP_3) | instskip(SKIP_1) | instid1(VALU_DEP_3)
	v_fma_f32 v6, v166, v20, -v6
	v_dual_mul_f32 v223, v168, v25 :: v_dual_mul_f32 v224, v170, v27
	v_add_f32_e32 v2, v2, v4
	s_delay_alu instid0(VALU_DEP_4) | instskip(SKIP_1) | instid1(VALU_DEP_4)
	v_add_f32_e32 v3, v3, v220
	v_dual_mul_f32 v5, v169, v25 :: v_dual_fmac_f32 v222, v167, v20
	v_dual_mul_f32 v4, v171, v27 :: v_dual_fmac_f32 v223, v169, v24
	s_delay_alu instid0(VALU_DEP_3) | instskip(NEXT) | instid1(VALU_DEP_3)
	v_dual_add_f32 v2, v2, v6 :: v_dual_add_f32 v3, v3, v221
	v_fma_f32 v5, v168, v24, -v5
	v_dual_mul_f32 v225, v172, v113 :: v_dual_mul_f32 v226, v174, v115
	s_delay_alu instid0(VALU_DEP_3) | instskip(NEXT) | instid1(VALU_DEP_2)
	v_dual_mul_f32 v6, v173, v113 :: v_dual_add_f32 v3, v3, v222
	v_dual_fmac_f32 v224, v171, v26 :: v_dual_fmac_f32 v225, v173, v112
	v_fma_f32 v4, v170, v26, -v4
	s_delay_alu instid0(VALU_DEP_3) | instskip(SKIP_3) | instid1(VALU_DEP_4)
	v_dual_add_f32 v2, v2, v5 :: v_dual_add_f32 v3, v3, v223
	v_mul_f32_e32 v5, v175, v115
	v_fma_f32 v6, v172, v112, -v6
	v_dual_mul_f32 v227, v176, v117 :: v_dual_mul_f32 v228, v178, v119
	v_add_f32_e32 v2, v2, v4
	v_dual_add_f32 v3, v3, v224 :: v_dual_mul_f32 v4, v177, v117
	s_delay_alu instid0(VALU_DEP_3) | instskip(SKIP_1) | instid1(VALU_DEP_3)
	v_dual_fmac_f32 v226, v175, v114 :: v_dual_fmac_f32 v227, v177, v116
	v_fma_f32 v5, v174, v114, -v5
	v_dual_add_f32 v2, v2, v6 :: v_dual_add_f32 v3, v3, v225
	v_mul_f32_e32 v6, v179, v119
	v_fma_f32 v4, v176, v116, -v4
	v_dual_mul_f32 v229, v180, v121 :: v_dual_mul_f32 v230, v182, v123
	s_delay_alu instid0(VALU_DEP_4) | instskip(SKIP_1) | instid1(VALU_DEP_3)
	v_dual_add_f32 v2, v2, v5 :: v_dual_add_f32 v3, v3, v226
	v_dual_mul_f32 v5, v181, v121 :: v_dual_fmac_f32 v228, v179, v118
	v_fmac_f32_e32 v229, v181, v120
	v_fma_f32 v6, v178, v118, -v6
	s_delay_alu instid0(VALU_DEP_4) | instskip(SKIP_2) | instid1(VALU_DEP_2)
	v_dual_add_f32 v2, v2, v4 :: v_dual_add_f32 v3, v3, v227
	v_dual_mul_f32 v231, v184, v125 :: v_dual_mul_f32 v232, v186, v127
	v_dual_mul_f32 v233, v188, v129 :: v_dual_mul_f32 v234, v190, v131
	v_dual_mul_f32 v4, v183, v123 :: v_dual_fmac_f32 v231, v185, v124
	v_fma_f32 v5, v180, v120, -v5
	v_dual_add_f32 v2, v2, v6 :: v_dual_add_f32 v3, v3, v228
	v_mul_f32_e32 v6, v185, v125
	v_dual_fmac_f32 v230, v183, v122 :: v_dual_fmac_f32 v233, v189, v128
	v_fma_f32 v4, v182, v122, -v4
	s_delay_alu instid0(VALU_DEP_4) | instskip(SKIP_3) | instid1(VALU_DEP_3)
	v_add_f32_e32 v3, v3, v229
	v_dual_add_f32 v2, v2, v5 :: v_dual_mul_f32 v5, v187, v127
	v_fma_f32 v6, v184, v124, -v6
	v_dual_mul_f32 v237, v196, v137 :: v_dual_mul_f32 v238, v198, v139
	v_dual_add_f32 v3, v3, v230 :: v_dual_add_f32 v2, v2, v4
	v_mul_f32_e32 v4, v189, v129
	v_fmac_f32_e32 v232, v187, v126
	v_fma_f32 v5, v186, v126, -v5
	s_delay_alu instid0(VALU_DEP_4) | instskip(SKIP_3) | instid1(VALU_DEP_4)
	v_dual_add_f32 v3, v3, v231 :: v_dual_add_f32 v2, v2, v6
	v_dual_mul_f32 v235, v192, v133 :: v_dual_mul_f32 v236, v194, v135
	v_mul_f32_e32 v6, v191, v131
	v_dual_fmac_f32 v234, v191, v130 :: v_dual_fmac_f32 v237, v197, v136
	v_add_f32_e32 v2, v2, v5
	v_mul_f32_e32 v5, v193, v133
	v_add_f32_e32 v3, v3, v232
	v_fma_f32 v4, v188, v128, -v4
	v_fmac_f32_e32 v235, v193, v132
	v_fma_f32 v6, v190, v130, -v6
	v_dual_mul_f32 v239, v200, v141 :: v_dual_mul_f32 v240, v202, v143
	v_add_f32_e32 v3, v3, v233
	v_fma_f32 v5, v192, v132, -v5
	s_delay_alu instid0(VALU_DEP_3) | instskip(NEXT) | instid1(VALU_DEP_4)
	v_dual_fmac_f32 v236, v195, v134 :: v_dual_fmac_f32 v239, v201, v140
	v_fmac_f32_e32 v240, v203, v142
	s_delay_alu instid0(VALU_DEP_4) | instskip(SKIP_2) | instid1(VALU_DEP_3)
	v_dual_add_f32 v3, v3, v234 :: v_dual_add_f32 v2, v2, v4
	v_dual_mul_f32 v4, v195, v135 :: v_dual_mul_f32 v241, v204, v145
	v_mul_f32_e32 v242, v206, v147
	v_dual_add_f32 v3, v3, v235 :: v_dual_add_f32 v2, v2, v6
	v_mul_f32_e32 v6, v197, v137
	s_delay_alu instid0(VALU_DEP_4) | instskip(SKIP_1) | instid1(VALU_DEP_4)
	v_fma_f32 v4, v194, v134, -v4
	v_dual_fmac_f32 v238, v199, v138 :: v_dual_fmac_f32 v241, v205, v144
	v_dual_add_f32 v2, v2, v5 :: v_dual_mul_f32 v5, v199, v139
	s_delay_alu instid0(VALU_DEP_4) | instskip(SKIP_1) | instid1(VALU_DEP_3)
	v_fma_f32 v6, v196, v136, -v6
	v_dual_fmac_f32 v242, v207, v146 :: v_dual_fmac_f32 v243, v213, v208
	v_add_f32_e32 v2, v2, v4
	s_delay_alu instid0(VALU_DEP_4) | instskip(NEXT) | instid1(VALU_DEP_2)
	v_fma_f32 v5, v198, v138, -v5
	v_add_f32_e32 v2, v2, v6
	v_mul_f32_e32 v6, v203, v143
	s_delay_alu instid0(VALU_DEP_2) | instskip(SKIP_2) | instid1(VALU_DEP_4)
	v_add_f32_e32 v2, v2, v5
	v_mul_f32_e32 v5, v205, v145
	v_add_f32_e32 v3, v3, v236
	v_fma_f32 v6, v202, v142, -v6
	s_delay_alu instid0(VALU_DEP_3) | instskip(NEXT) | instid1(VALU_DEP_3)
	v_fma_f32 v5, v204, v144, -v5
	v_add_f32_e32 v3, v3, v237
	s_delay_alu instid0(VALU_DEP_1) | instskip(NEXT) | instid1(VALU_DEP_1)
	v_dual_mul_f32 v4, v201, v141 :: v_dual_add_f32 v3, v3, v238
	v_fma_f32 v4, v200, v140, -v4
	s_delay_alu instid0(VALU_DEP_2) | instskip(NEXT) | instid1(VALU_DEP_1)
	v_add_f32_e32 v3, v3, v239
	v_add_f32_e32 v3, v3, v240
	s_delay_alu instid0(VALU_DEP_3) | instskip(SKIP_1) | instid1(VALU_DEP_3)
	v_add_f32_e32 v2, v2, v4
	v_mul_f32_e32 v4, v207, v147
	v_add_f32_e32 v3, v3, v241
	s_delay_alu instid0(VALU_DEP_2) | instskip(NEXT) | instid1(VALU_DEP_2)
	v_fma_f32 v4, v206, v146, -v4
	v_add_f32_e32 v3, v3, v242
	s_delay_alu instid0(VALU_DEP_1) | instskip(SKIP_2) | instid1(VALU_DEP_2)
	v_dual_add_f32 v2, v2, v6 :: v_dual_add_f32 v3, v3, v243
	v_mul_f32_e32 v6, v213, v209
	s_wait_loadcnt 0x0
	v_dual_add_f32 v2, v2, v5 :: v_dual_sub_f32 v3, v211, v3
	s_delay_alu instid0(VALU_DEP_2) | instskip(NEXT) | instid1(VALU_DEP_2)
	v_fma_f32 v5, v212, v208, -v6
	v_add_f32_e32 v2, v2, v4
	s_delay_alu instid0(VALU_DEP_1) | instskip(NEXT) | instid1(VALU_DEP_1)
	v_add_f32_e32 v2, v2, v5
	v_sub_f32_e32 v2, v210, v2
	scratch_store_b64 off, v[2:3], off offset:80
	v_cmpx_lt_u32_e32 9, v0
	s_cbranch_execz .LBB41_247
; %bb.246:
	scratch_load_b64 v[3:4], off, off offset:72
	v_mov_b32_e32 v2, v1
	scratch_store_b64 off, v[1:2], off offset:72
	s_wait_loadcnt 0x0
	ds_store_b64 v23, v[3:4]
.LBB41_247:
	s_wait_alu 0xfffe
	s_or_b32 exec_lo, exec_lo, s0
	s_wait_storecnt_dscnt 0x0
	s_barrier_signal -1
	s_barrier_wait -1
	global_inv scope:SCOPE_SE
	s_clause 0x10
	scratch_load_b128 v[2:5], off, off offset:80
	scratch_load_b128 v[6:9], off, off offset:96
	;; [unrolled: 1-line block ×16, first 2 shown]
	scratch_load_b64 v[216:217], off, off offset:72
	ds_load_b128 v[152:155], v1 offset:416
	ds_load_b128 v[156:159], v1 offset:432
	;; [unrolled: 1-line block ×16, first 2 shown]
	s_mov_b32 s0, exec_lo
	s_wait_loadcnt_dscnt 0x100f
	v_dual_mul_f32 v1, v152, v3 :: v_dual_mul_f32 v22, v154, v5
	s_wait_loadcnt_dscnt 0xf0e
	v_dual_mul_f32 v5, v155, v5 :: v_dual_mul_f32 v218, v156, v7
	v_mul_f32_e32 v219, v158, v9
	s_wait_loadcnt_dscnt 0xe0d
	v_dual_fmac_f32 v1, v153, v2 :: v_dual_mul_f32 v220, v160, v11
	s_wait_loadcnt_dscnt 0xd0c
	v_dual_mul_f32 v221, v162, v13 :: v_dual_mul_f32 v222, v164, v15
	v_mul_f32_e32 v223, v166, v17
	v_dual_mul_f32 v3, v153, v3 :: v_dual_fmac_f32 v22, v155, v4
	s_wait_loadcnt_dscnt 0xc0b
	v_dual_mul_f32 v224, v168, v19 :: v_dual_mul_f32 v225, v170, v21
	s_wait_loadcnt_dscnt 0x201
	v_mul_f32_e32 v244, v208, v145
	v_fma_f32 v3, v152, v2, -v3
	s_wait_loadcnt_dscnt 0x100
	v_mul_f32_e32 v247, v214, v151
	v_mul_f32_e32 v2, v157, v7
	v_fma_f32 v4, v154, v4, -v5
	v_dual_mul_f32 v5, v159, v9 :: v_dual_fmac_f32 v220, v161, v10
	v_dual_add_f32 v3, 0, v3 :: v_dual_fmac_f32 v218, v157, v6
	s_delay_alu instid0(VALU_DEP_4) | instskip(NEXT) | instid1(VALU_DEP_3)
	v_fma_f32 v2, v156, v6, -v2
	v_fma_f32 v5, v158, v8, -v5
	s_delay_alu instid0(VALU_DEP_3) | instskip(SKIP_2) | instid1(VALU_DEP_3)
	v_dual_fmac_f32 v222, v165, v14 :: v_dual_add_f32 v3, v3, v4
	v_dual_mul_f32 v226, v172, v25 :: v_dual_mul_f32 v227, v174, v27
	v_dual_fmac_f32 v223, v167, v16 :: v_dual_fmac_f32 v224, v169, v18
	v_add_f32_e32 v2, v3, v2
	v_mul_f32_e32 v3, v163, v13
	v_dual_mul_f32 v228, v176, v113 :: v_dual_mul_f32 v229, v178, v115
	v_mul_f32_e32 v4, v161, v11
	s_delay_alu instid0(VALU_DEP_4) | instskip(SKIP_4) | instid1(VALU_DEP_4)
	v_add_f32_e32 v2, v2, v5
	v_add_f32_e32 v1, 0, v1
	v_fma_f32 v3, v162, v12, -v3
	v_dual_mul_f32 v232, v184, v121 :: v_dual_mul_f32 v233, v186, v123
	v_fma_f32 v4, v160, v10, -v4
	v_dual_add_f32 v1, v1, v22 :: v_dual_mul_f32 v230, v180, v117
	v_mul_f32_e32 v231, v182, v119
	s_delay_alu instid0(VALU_DEP_3) | instskip(NEXT) | instid1(VALU_DEP_3)
	v_dual_fmac_f32 v229, v179, v114 :: v_dual_add_f32 v2, v2, v4
	v_dual_add_f32 v1, v1, v218 :: v_dual_mul_f32 v4, v167, v17
	v_dual_fmac_f32 v219, v159, v8 :: v_dual_mul_f32 v234, v188, v125
	v_mul_f32_e32 v235, v190, v127
	s_delay_alu instid0(VALU_DEP_4) | instskip(NEXT) | instid1(VALU_DEP_4)
	v_add_f32_e32 v2, v2, v3
	v_fma_f32 v4, v166, v16, -v4
	v_mul_f32_e32 v5, v165, v15
	v_add_f32_e32 v1, v1, v219
	v_dual_fmac_f32 v227, v175, v26 :: v_dual_fmac_f32 v230, v181, v116
	v_dual_mul_f32 v238, v196, v133 :: v_dual_mul_f32 v239, v198, v135
	s_delay_alu instid0(VALU_DEP_4) | instskip(SKIP_3) | instid1(VALU_DEP_4)
	v_fma_f32 v5, v164, v14, -v5
	v_fmac_f32_e32 v221, v163, v12
	v_fmac_f32_e32 v226, v173, v24
	v_dual_mul_f32 v236, v192, v129 :: v_dual_mul_f32 v237, v194, v131
	v_add_f32_e32 v2, v2, v5
	v_mul_f32_e32 v5, v171, v21
	v_dual_fmac_f32 v235, v191, v126 :: v_dual_mul_f32 v240, v200, v137
	v_mul_f32_e32 v241, v202, v139
	s_delay_alu instid0(VALU_DEP_4) | instskip(NEXT) | instid1(VALU_DEP_4)
	v_add_f32_e32 v2, v2, v4
	v_fma_f32 v5, v170, v20, -v5
	v_mul_f32_e32 v3, v169, v19
	v_mul_f32_e32 v4, v173, v25
	v_dual_mul_f32 v242, v204, v141 :: v_dual_mul_f32 v243, v206, v143
	v_fmac_f32_e32 v228, v177, v112
	s_delay_alu instid0(VALU_DEP_4) | instskip(SKIP_3) | instid1(VALU_DEP_4)
	v_fma_f32 v3, v168, v18, -v3
	v_add_f32_e32 v1, v1, v220
	v_fma_f32 v4, v172, v24, -v4
	v_dual_fmac_f32 v233, v187, v122 :: v_dual_fmac_f32 v236, v193, v128
	v_add_f32_e32 v2, v2, v3
	v_mul_f32_e32 v3, v175, v27
	v_fmac_f32_e32 v241, v203, v138
	v_dual_mul_f32 v245, v210, v147 :: v_dual_mul_f32 v246, v212, v149
	s_delay_alu instid0(VALU_DEP_4) | instskip(SKIP_3) | instid1(VALU_DEP_3)
	v_add_f32_e32 v2, v2, v5
	v_add_f32_e32 v1, v1, v221
	v_fma_f32 v3, v174, v26, -v3
	v_dual_fmac_f32 v239, v199, v134 :: v_dual_fmac_f32 v242, v205, v140
	v_dual_add_f32 v2, v2, v4 :: v_dual_add_f32 v1, v1, v222
	v_mul_f32_e32 v4, v179, v115
	v_fmac_f32_e32 v225, v171, v20
	s_delay_alu instid0(VALU_DEP_3) | instskip(SKIP_1) | instid1(VALU_DEP_4)
	v_dual_fmac_f32 v245, v211, v146 :: v_dual_add_f32 v2, v2, v3
	v_mul_f32_e32 v3, v181, v117
	v_fma_f32 v4, v178, v114, -v4
	v_mul_f32_e32 v5, v177, v113
	v_dual_fmac_f32 v232, v185, v120 :: v_dual_fmac_f32 v247, v215, v150
	s_delay_alu instid0(VALU_DEP_4) | instskip(SKIP_1) | instid1(VALU_DEP_4)
	v_fma_f32 v3, v180, v116, -v3
	v_fmac_f32_e32 v234, v189, v124
	v_fma_f32 v5, v176, v112, -v5
	v_add_f32_e32 v1, v1, v223
	v_fmac_f32_e32 v238, v197, v132
	v_fmac_f32_e32 v240, v201, v136
	;; [unrolled: 1-line block ×3, first 2 shown]
	v_dual_add_f32 v2, v2, v5 :: v_dual_mul_f32 v5, v183, v119
	v_fmac_f32_e32 v246, v213, v148
	s_delay_alu instid0(VALU_DEP_2) | instskip(SKIP_3) | instid1(VALU_DEP_4)
	v_add_f32_e32 v2, v2, v4
	v_add_f32_e32 v1, v1, v224
	v_mul_f32_e32 v4, v185, v121
	v_fma_f32 v5, v182, v118, -v5
	v_dual_add_f32 v2, v2, v3 :: v_dual_fmac_f32 v231, v183, v118
	v_mul_f32_e32 v3, v187, v123
	s_delay_alu instid0(VALU_DEP_4) | instskip(NEXT) | instid1(VALU_DEP_3)
	v_fma_f32 v4, v184, v120, -v4
	v_add_f32_e32 v2, v2, v5
	v_add_f32_e32 v1, v1, v225
	s_delay_alu instid0(VALU_DEP_4) | instskip(NEXT) | instid1(VALU_DEP_3)
	v_fma_f32 v3, v186, v122, -v3
	v_dual_add_f32 v2, v2, v4 :: v_dual_mul_f32 v5, v189, v125
	s_delay_alu instid0(VALU_DEP_3) | instskip(NEXT) | instid1(VALU_DEP_2)
	v_dual_add_f32 v1, v1, v226 :: v_dual_mul_f32 v4, v191, v127
	v_add_f32_e32 v2, v2, v3
	s_delay_alu instid0(VALU_DEP_3) | instskip(NEXT) | instid1(VALU_DEP_3)
	v_fma_f32 v5, v188, v124, -v5
	v_add_f32_e32 v1, v1, v227
	v_mul_f32_e32 v3, v193, v129
	v_fma_f32 v4, v190, v126, -v4
	s_delay_alu instid0(VALU_DEP_4) | instskip(NEXT) | instid1(VALU_DEP_3)
	v_dual_add_f32 v2, v2, v5 :: v_dual_mul_f32 v5, v195, v131
	v_fma_f32 v3, v192, v128, -v3
	s_delay_alu instid0(VALU_DEP_2) | instskip(SKIP_3) | instid1(VALU_DEP_4)
	v_add_f32_e32 v2, v2, v4
	v_add_f32_e32 v1, v1, v228
	v_mul_f32_e32 v4, v197, v133
	v_fma_f32 v5, v194, v130, -v5
	v_dual_add_f32 v2, v2, v3 :: v_dual_fmac_f32 v237, v195, v130
	v_mul_f32_e32 v3, v199, v135
	s_delay_alu instid0(VALU_DEP_4) | instskip(NEXT) | instid1(VALU_DEP_3)
	v_fma_f32 v4, v196, v132, -v4
	v_add_f32_e32 v2, v2, v5
	v_add_f32_e32 v1, v1, v229
	s_delay_alu instid0(VALU_DEP_4) | instskip(NEXT) | instid1(VALU_DEP_3)
	v_fma_f32 v3, v198, v134, -v3
	v_dual_add_f32 v2, v2, v4 :: v_dual_mul_f32 v5, v201, v137
	s_delay_alu instid0(VALU_DEP_3) | instskip(NEXT) | instid1(VALU_DEP_2)
	v_dual_add_f32 v1, v1, v230 :: v_dual_mul_f32 v4, v203, v139
	v_add_f32_e32 v2, v2, v3
	s_delay_alu instid0(VALU_DEP_3) | instskip(NEXT) | instid1(VALU_DEP_3)
	v_fma_f32 v5, v200, v136, -v5
	v_add_f32_e32 v1, v1, v231
	v_mul_f32_e32 v3, v205, v141
	v_fma_f32 v4, v202, v138, -v4
	s_delay_alu instid0(VALU_DEP_4) | instskip(NEXT) | instid1(VALU_DEP_3)
	v_dual_add_f32 v2, v2, v5 :: v_dual_mul_f32 v5, v207, v143
	v_fma_f32 v3, v204, v140, -v3
	s_delay_alu instid0(VALU_DEP_2) | instskip(SKIP_3) | instid1(VALU_DEP_4)
	v_add_f32_e32 v2, v2, v4
	v_add_f32_e32 v1, v1, v232
	v_mul_f32_e32 v4, v209, v145
	v_fma_f32 v5, v206, v142, -v5
	v_dual_add_f32 v2, v2, v3 :: v_dual_fmac_f32 v243, v207, v142
	v_mul_f32_e32 v3, v211, v147
	s_delay_alu instid0(VALU_DEP_4) | instskip(NEXT) | instid1(VALU_DEP_3)
	v_fma_f32 v4, v208, v144, -v4
	v_add_f32_e32 v2, v2, v5
	v_add_f32_e32 v1, v1, v233
	s_delay_alu instid0(VALU_DEP_4) | instskip(NEXT) | instid1(VALU_DEP_2)
	v_fma_f32 v3, v210, v146, -v3
	v_dual_add_f32 v2, v2, v4 :: v_dual_add_f32 v1, v1, v234
	v_dual_mul_f32 v4, v215, v151 :: v_dual_mul_f32 v5, v213, v149
	s_delay_alu instid0(VALU_DEP_2) | instskip(NEXT) | instid1(VALU_DEP_2)
	v_add_f32_e32 v2, v2, v3
	v_fma_f32 v3, v214, v150, -v4
	s_delay_alu instid0(VALU_DEP_3) | instskip(NEXT) | instid1(VALU_DEP_1)
	v_fma_f32 v5, v212, v148, -v5
	v_dual_add_f32 v1, v1, v235 :: v_dual_add_f32 v2, v2, v5
	s_delay_alu instid0(VALU_DEP_1) | instskip(NEXT) | instid1(VALU_DEP_1)
	v_dual_add_f32 v1, v1, v236 :: v_dual_add_f32 v2, v2, v3
	v_add_f32_e32 v1, v1, v237
	s_delay_alu instid0(VALU_DEP_1) | instskip(NEXT) | instid1(VALU_DEP_1)
	v_add_f32_e32 v1, v1, v238
	v_add_f32_e32 v1, v1, v239
	s_delay_alu instid0(VALU_DEP_1) | instskip(NEXT) | instid1(VALU_DEP_1)
	v_add_f32_e32 v1, v1, v240
	;; [unrolled: 3-line block ×5, first 2 shown]
	v_add_f32_e32 v3, v1, v247
	s_wait_loadcnt 0x0
	s_delay_alu instid0(VALU_DEP_1)
	v_dual_sub_f32 v1, v216, v2 :: v_dual_sub_f32 v2, v217, v3
	scratch_store_b64 off, v[1:2], off offset:72
	v_cmpx_lt_u32_e32 8, v0
	s_cbranch_execz .LBB41_249
; %bb.248:
	scratch_load_b64 v[1:2], off, off offset:64
	v_mov_b32_e32 v3, 0
	s_delay_alu instid0(VALU_DEP_1)
	v_mov_b32_e32 v4, v3
	scratch_store_b64 off, v[3:4], off offset:64
	s_wait_loadcnt 0x0
	ds_store_b64 v23, v[1:2]
.LBB41_249:
	s_wait_alu 0xfffe
	s_or_b32 exec_lo, exec_lo, s0
	s_wait_storecnt_dscnt 0x0
	s_barrier_signal -1
	s_barrier_wait -1
	global_inv scope:SCOPE_SE
	s_clause 0x11
	scratch_load_b128 v[1:4], off, off offset:72
	scratch_load_b128 v[5:8], off, off offset:88
	;; [unrolled: 1-line block ×16, first 2 shown]
	scratch_load_b64 v[216:217], off, off offset:328
	scratch_load_b64 v[218:219], off, off offset:64
	v_mov_b32_e32 v21, 0
	ds_load_2addr_b64 v[152:155], v21 offset0:51 offset1:52
	ds_load_2addr_b64 v[156:159], v21 offset0:53 offset1:54
	;; [unrolled: 1-line block ×16, first 2 shown]
	ds_load_b64 v[220:221], v21 offset:664
	s_mov_b32 s0, exec_lo
	s_wait_loadcnt_dscnt 0x1110
	v_mul_f32_e32 v22, v152, v2
	v_mul_f32_e32 v2, v153, v2
	s_wait_loadcnt_dscnt 0x100f
	v_dual_mul_f32 v222, v154, v4 :: v_dual_mul_f32 v223, v156, v6
	v_mul_f32_e32 v4, v155, v4
	s_wait_loadcnt_dscnt 0xf0e
	v_dual_mul_f32 v224, v158, v8 :: v_dual_mul_f32 v225, v160, v10
	s_delay_alu instid0(VALU_DEP_3)
	v_fmac_f32_e32 v222, v155, v3
	v_fmac_f32_e32 v22, v153, v1
	;; [unrolled: 1-line block ×3, first 2 shown]
	v_fma_f32 v3, v154, v3, -v4
	v_dual_fmac_f32 v225, v161, v9 :: v_dual_mul_f32 v226, v162, v12
	s_wait_loadcnt_dscnt 0xe0d
	v_mul_f32_e32 v227, v164, v14
	v_add_f32_e32 v4, 0, v22
	s_wait_loadcnt_dscnt 0x100
	v_dual_mul_f32 v252, v214, v151 :: v_dual_mul_f32 v253, v220, v217
	v_fma_f32 v2, v152, v1, -v2
	v_dual_mul_f32 v1, v157, v6 :: v_dual_fmac_f32 v226, v163, v11
	v_dual_mul_f32 v228, v166, v16 :: v_dual_mul_f32 v229, v168, v18
	s_delay_alu instid0(VALU_DEP_3) | instskip(NEXT) | instid1(VALU_DEP_3)
	v_add_f32_e32 v2, 0, v2
	v_fma_f32 v1, v156, v5, -v1
	v_dual_mul_f32 v230, v170, v20 :: v_dual_mul_f32 v231, v172, v25
	s_delay_alu instid0(VALU_DEP_4) | instskip(NEXT) | instid1(VALU_DEP_4)
	v_fmac_f32_e32 v228, v167, v15
	v_add_f32_e32 v2, v2, v3
	v_dual_mul_f32 v232, v174, v27 :: v_dual_mul_f32 v233, v176, v113
	s_delay_alu instid0(VALU_DEP_4) | instskip(NEXT) | instid1(VALU_DEP_3)
	v_dual_fmac_f32 v231, v173, v24 :: v_dual_fmac_f32 v230, v171, v19
	v_dual_add_f32 v1, v2, v1 :: v_dual_mul_f32 v6, v159, v8
	v_add_f32_e32 v3, v4, v222
	v_mul_f32_e32 v4, v161, v10
	v_dual_fmac_f32 v227, v165, v13 :: v_dual_fmac_f32 v232, v175, v26
	v_fmac_f32_e32 v233, v177, v112
	v_fma_f32 v5, v158, v7, -v6
	v_add_f32_e32 v2, v3, v223
	v_mul_f32_e32 v3, v163, v12
	v_fma_f32 v4, v160, v9, -v4
	v_dual_mul_f32 v234, v178, v115 :: v_dual_mul_f32 v235, v180, v117
	v_dual_add_f32 v1, v1, v5 :: v_dual_fmac_f32 v224, v159, v7
	v_mul_f32_e32 v5, v165, v14
	v_fma_f32 v3, v162, v11, -v3
	s_delay_alu instid0(VALU_DEP_4) | instskip(NEXT) | instid1(VALU_DEP_4)
	v_dual_fmac_f32 v234, v179, v114 :: v_dual_fmac_f32 v235, v181, v116
	v_add_f32_e32 v1, v1, v4
	v_add_f32_e32 v2, v2, v224
	v_fma_f32 v5, v164, v13, -v5
	v_dual_mul_f32 v236, v182, v119 :: v_dual_mul_f32 v237, v184, v121
	s_delay_alu instid0(VALU_DEP_4) | instskip(SKIP_1) | instid1(VALU_DEP_3)
	v_dual_add_f32 v1, v1, v3 :: v_dual_mul_f32 v4, v167, v16
	v_mul_f32_e32 v3, v169, v18
	v_dual_fmac_f32 v229, v169, v17 :: v_dual_fmac_f32 v236, v183, v118
	s_delay_alu instid0(VALU_DEP_4) | instskip(NEXT) | instid1(VALU_DEP_4)
	v_fmac_f32_e32 v237, v185, v120
	v_add_f32_e32 v1, v1, v5
	v_fma_f32 v4, v166, v15, -v4
	v_dual_add_f32 v2, v2, v225 :: v_dual_mul_f32 v5, v171, v20
	v_fma_f32 v3, v168, v17, -v3
	v_dual_mul_f32 v238, v186, v123 :: v_dual_mul_f32 v239, v188, v125
	s_delay_alu instid0(VALU_DEP_3) | instskip(NEXT) | instid1(VALU_DEP_4)
	v_dual_add_f32 v1, v1, v4 :: v_dual_add_f32 v2, v2, v226
	v_fma_f32 v5, v170, v19, -v5
	v_mul_f32_e32 v4, v173, v25
	v_dual_mul_f32 v240, v190, v127 :: v_dual_mul_f32 v241, v192, v129
	s_delay_alu instid0(VALU_DEP_4) | instskip(SKIP_4) | instid1(VALU_DEP_4)
	v_add_f32_e32 v1, v1, v3
	v_add_f32_e32 v2, v2, v227
	v_mul_f32_e32 v3, v175, v27
	v_fma_f32 v4, v172, v24, -v4
	v_dual_mul_f32 v242, v194, v131 :: v_dual_mul_f32 v243, v196, v133
	v_dual_add_f32 v1, v1, v5 :: v_dual_add_f32 v2, v2, v228
	v_mul_f32_e32 v5, v177, v113
	v_fma_f32 v3, v174, v26, -v3
	v_dual_mul_f32 v244, v198, v135 :: v_dual_mul_f32 v245, v200, v137
	s_delay_alu instid0(VALU_DEP_4) | instskip(NEXT) | instid1(VALU_DEP_4)
	v_dual_add_f32 v2, v2, v229 :: v_dual_add_f32 v1, v1, v4
	v_fma_f32 v5, v176, v112, -v5
	v_dual_mul_f32 v246, v202, v139 :: v_dual_mul_f32 v247, v204, v141
	s_delay_alu instid0(VALU_DEP_3) | instskip(SKIP_2) | instid1(VALU_DEP_3)
	v_dual_add_f32 v2, v2, v230 :: v_dual_fmac_f32 v245, v201, v136
	v_dual_mul_f32 v248, v206, v143 :: v_dual_mul_f32 v249, v208, v145
	v_dual_mul_f32 v250, v210, v147 :: v_dual_mul_f32 v251, v212, v149
	v_add_f32_e32 v2, v2, v231
	v_add_f32_e32 v1, v1, v3
	v_dual_mul_f32 v3, v181, v117 :: v_dual_fmac_f32 v246, v203, v138
	s_delay_alu instid0(VALU_DEP_4) | instskip(NEXT) | instid1(VALU_DEP_4)
	v_dual_fmac_f32 v247, v205, v140 :: v_dual_fmac_f32 v250, v211, v146
	v_add_f32_e32 v2, v2, v232
	s_delay_alu instid0(VALU_DEP_4) | instskip(SKIP_3) | instid1(VALU_DEP_4)
	v_dual_mul_f32 v4, v179, v115 :: v_dual_add_f32 v1, v1, v5
	v_mul_f32_e32 v5, v183, v119
	v_fma_f32 v3, v180, v116, -v3
	v_fmac_f32_e32 v249, v209, v144
	v_fma_f32 v4, v178, v114, -v4
	v_add_f32_e32 v2, v2, v233
	v_fma_f32 v5, v182, v118, -v5
	v_fmac_f32_e32 v239, v189, v124
	v_fmac_f32_e32 v253, v221, v216
	s_delay_alu instid0(VALU_DEP_4) | instskip(SKIP_3) | instid1(VALU_DEP_4)
	v_dual_add_f32 v1, v1, v4 :: v_dual_add_f32 v2, v2, v234
	v_mul_f32_e32 v4, v185, v121
	v_fmac_f32_e32 v251, v213, v148
	v_fmac_f32_e32 v241, v193, v128
	v_add_f32_e32 v1, v1, v3
	v_add_f32_e32 v2, v2, v235
	v_mul_f32_e32 v3, v187, v123
	v_fma_f32 v4, v184, v120, -v4
	s_delay_alu instid0(VALU_DEP_4) | instskip(NEXT) | instid1(VALU_DEP_4)
	v_dual_fmac_f32 v242, v195, v130 :: v_dual_add_f32 v1, v1, v5
	v_dual_add_f32 v2, v2, v236 :: v_dual_mul_f32 v5, v189, v125
	v_fmac_f32_e32 v238, v187, v122
	v_fma_f32 v3, v186, v122, -v3
	s_delay_alu instid0(VALU_DEP_3) | instskip(SKIP_2) | instid1(VALU_DEP_3)
	v_dual_add_f32 v1, v1, v4 :: v_dual_add_f32 v2, v2, v237
	v_mul_f32_e32 v4, v191, v127
	v_fma_f32 v5, v188, v124, -v5
	v_dual_fmac_f32 v244, v199, v134 :: v_dual_add_f32 v1, v1, v3
	s_delay_alu instid0(VALU_DEP_4) | instskip(SKIP_2) | instid1(VALU_DEP_3)
	v_dual_add_f32 v2, v2, v238 :: v_dual_mul_f32 v3, v193, v129
	v_fmac_f32_e32 v240, v191, v126
	v_fma_f32 v4, v190, v126, -v4
	v_dual_add_f32 v1, v1, v5 :: v_dual_add_f32 v2, v2, v239
	v_mul_f32_e32 v5, v195, v131
	v_fma_f32 v3, v192, v128, -v3
	s_delay_alu instid0(VALU_DEP_3) | instskip(NEXT) | instid1(VALU_DEP_4)
	v_dual_fmac_f32 v248, v207, v142 :: v_dual_add_f32 v1, v1, v4
	v_add_f32_e32 v2, v2, v240
	v_mul_f32_e32 v4, v197, v133
	v_fma_f32 v5, v194, v130, -v5
	s_delay_alu instid0(VALU_DEP_4) | instskip(NEXT) | instid1(VALU_DEP_4)
	v_dual_fmac_f32 v252, v215, v150 :: v_dual_add_f32 v1, v1, v3
	v_dual_add_f32 v2, v2, v241 :: v_dual_mul_f32 v3, v199, v135
	v_fmac_f32_e32 v243, v197, v132
	v_fma_f32 v4, v196, v132, -v4
	s_delay_alu instid0(VALU_DEP_3) | instskip(SKIP_2) | instid1(VALU_DEP_3)
	v_dual_add_f32 v1, v1, v5 :: v_dual_add_f32 v2, v2, v242
	v_mul_f32_e32 v5, v201, v137
	v_fma_f32 v3, v198, v134, -v3
	v_dual_add_f32 v1, v1, v4 :: v_dual_mul_f32 v4, v203, v139
	s_delay_alu instid0(VALU_DEP_4) | instskip(NEXT) | instid1(VALU_DEP_4)
	v_add_f32_e32 v2, v2, v243
	v_fma_f32 v5, v200, v136, -v5
	s_delay_alu instid0(VALU_DEP_3) | instskip(NEXT) | instid1(VALU_DEP_4)
	v_add_f32_e32 v1, v1, v3
	v_fma_f32 v4, v202, v138, -v4
	s_delay_alu instid0(VALU_DEP_2) | instskip(NEXT) | instid1(VALU_DEP_1)
	v_dual_add_f32 v2, v2, v244 :: v_dual_add_f32 v1, v1, v5
	v_dual_mul_f32 v5, v207, v143 :: v_dual_add_f32 v2, v2, v245
	v_mul_f32_e32 v3, v205, v141
	s_delay_alu instid0(VALU_DEP_2) | instskip(NEXT) | instid1(VALU_DEP_3)
	v_fma_f32 v5, v206, v142, -v5
	v_add_f32_e32 v2, v2, v246
	s_delay_alu instid0(VALU_DEP_3) | instskip(SKIP_2) | instid1(VALU_DEP_4)
	v_fma_f32 v3, v204, v140, -v3
	v_add_f32_e32 v1, v1, v4
	v_mul_f32_e32 v4, v209, v145
	v_add_f32_e32 v2, v2, v247
	s_delay_alu instid0(VALU_DEP_3) | instskip(SKIP_1) | instid1(VALU_DEP_4)
	v_add_f32_e32 v1, v1, v3
	v_mul_f32_e32 v3, v211, v147
	v_fma_f32 v4, v208, v144, -v4
	s_delay_alu instid0(VALU_DEP_3) | instskip(SKIP_1) | instid1(VALU_DEP_4)
	v_dual_add_f32 v2, v2, v248 :: v_dual_add_f32 v1, v1, v5
	v_mul_f32_e32 v5, v213, v149
	v_fma_f32 v3, v210, v146, -v3
	s_delay_alu instid0(VALU_DEP_3) | instskip(NEXT) | instid1(VALU_DEP_4)
	v_dual_add_f32 v1, v1, v4 :: v_dual_mul_f32 v4, v215, v151
	v_add_f32_e32 v2, v2, v249
	s_delay_alu instid0(VALU_DEP_4) | instskip(NEXT) | instid1(VALU_DEP_3)
	v_fma_f32 v5, v212, v148, -v5
	v_fma_f32 v4, v214, v150, -v4
	s_delay_alu instid0(VALU_DEP_3) | instskip(NEXT) | instid1(VALU_DEP_1)
	v_add_f32_e32 v2, v2, v250
	v_add_f32_e32 v2, v2, v251
	s_delay_alu instid0(VALU_DEP_1) | instskip(NEXT) | instid1(VALU_DEP_1)
	v_dual_add_f32 v1, v1, v3 :: v_dual_add_f32 v2, v2, v252
	v_add_f32_e32 v1, v1, v5
	s_delay_alu instid0(VALU_DEP_2) | instskip(SKIP_2) | instid1(VALU_DEP_2)
	v_add_f32_e32 v2, v2, v253
	v_mul_f32_e32 v3, v221, v217
	s_wait_loadcnt 0x0
	v_dual_add_f32 v1, v1, v4 :: v_dual_sub_f32 v2, v219, v2
	s_delay_alu instid0(VALU_DEP_2) | instskip(NEXT) | instid1(VALU_DEP_1)
	v_fma_f32 v3, v220, v216, -v3
	v_add_f32_e32 v1, v1, v3
	s_delay_alu instid0(VALU_DEP_1)
	v_sub_f32_e32 v1, v218, v1
	scratch_store_b64 off, v[1:2], off offset:64
	v_cmpx_lt_u32_e32 7, v0
	s_cbranch_execz .LBB41_251
; %bb.250:
	scratch_load_b64 v[1:2], off, off offset:56
	v_mov_b32_e32 v22, v21
	scratch_store_b64 off, v[21:22], off offset:56
	s_wait_loadcnt 0x0
	ds_store_b64 v23, v[1:2]
.LBB41_251:
	s_wait_alu 0xfffe
	s_or_b32 exec_lo, exec_lo, s0
	s_wait_storecnt_dscnt 0x0
	s_barrier_signal -1
	s_barrier_wait -1
	global_inv scope:SCOPE_SE
	s_clause 0x4
	scratch_load_b128 v[5:8], off, off offset:64
	scratch_load_b128 v[1:4], off, off offset:80
	;; [unrolled: 1-line block ×5, first 2 shown]
	ds_load_b128 v[24:27], v21 offset:400
	ds_load_b128 v[112:115], v21 offset:416
	;; [unrolled: 1-line block ×3, first 2 shown]
	scratch_load_b64 v[120:121], off, off offset:56
	s_mov_b32 s0, exec_lo
	s_wait_loadcnt_dscnt 0x502
	v_dual_mul_f32 v22, v25, v6 :: v_dual_mul_f32 v123, v26, v8
	v_mul_f32_e32 v122, v24, v6
	v_mul_f32_e32 v6, v27, v8
	s_wait_loadcnt_dscnt 0x300
	v_mul_f32_e32 v124, v118, v12
	v_fma_f32 v22, v24, v5, -v22
	v_dual_fmac_f32 v123, v27, v7 :: v_dual_fmac_f32 v122, v25, v5
	v_mul_f32_e32 v27, v116, v10
	v_mul_f32_e32 v25, v112, v2
	v_fma_f32 v24, v26, v7, -v6
	ds_load_b128 v[5:8], v21 offset:448
	v_mul_f32_e32 v26, v114, v4
	v_dual_mul_f32 v4, v115, v4 :: v_dual_fmac_f32 v27, v117, v9
	v_mul_f32_e32 v10, v117, v10
	v_mul_f32_e32 v12, v119, v12
	;; [unrolled: 1-line block ×3, first 2 shown]
	v_dual_fmac_f32 v25, v113, v1 :: v_dual_fmac_f32 v26, v115, v3
	v_fma_f32 v113, v114, v3, -v4
	v_fma_f32 v114, v116, v9, -v10
	v_fmac_f32_e32 v124, v119, v11
	v_fma_f32 v115, v118, v11, -v12
	ds_load_b128 v[9:12], v21 offset:464
	s_wait_loadcnt_dscnt 0x201
	v_mul_f32_e32 v117, v7, v16
	v_fma_f32 v112, v112, v1, -v2
	scratch_load_b128 v[1:4], off, off offset:144
	v_mul_f32_e32 v116, v5, v14
	v_mul_f32_e32 v14, v6, v14
	;; [unrolled: 1-line block ×3, first 2 shown]
	s_delay_alu instid0(VALU_DEP_3) | instskip(NEXT) | instid1(VALU_DEP_3)
	v_dual_fmac_f32 v117, v8, v15 :: v_dual_fmac_f32 v116, v6, v13
	v_fma_f32 v13, v5, v13, -v14
	s_delay_alu instid0(VALU_DEP_3)
	v_fma_f32 v14, v7, v15, -v16
	ds_load_b128 v[5:8], v21 offset:480
	s_wait_loadcnt_dscnt 0x201
	v_mul_f32_e32 v15, v9, v18
	v_mul_f32_e32 v16, v10, v18
	;; [unrolled: 1-line block ×3, first 2 shown]
	s_delay_alu instid0(VALU_DEP_3) | instskip(NEXT) | instid1(VALU_DEP_3)
	v_dual_mul_f32 v20, v12, v20 :: v_dual_fmac_f32 v15, v10, v17
	v_fma_f32 v16, v9, v17, -v16
	s_delay_alu instid0(VALU_DEP_3) | instskip(NEXT) | instid1(VALU_DEP_3)
	v_fmac_f32_e32 v18, v12, v19
	v_fma_f32 v17, v11, v19, -v20
	scratch_load_b128 v[9:12], off, off offset:160
	s_wait_loadcnt_dscnt 0x100
	v_mul_f32_e32 v19, v5, v2
	v_mul_f32_e32 v2, v6, v2
	;; [unrolled: 1-line block ×3, first 2 shown]
	s_delay_alu instid0(VALU_DEP_3) | instskip(NEXT) | instid1(VALU_DEP_3)
	v_dual_mul_f32 v4, v8, v4 :: v_dual_fmac_f32 v19, v6, v1
	v_fma_f32 v118, v5, v1, -v2
	s_delay_alu instid0(VALU_DEP_3) | instskip(NEXT) | instid1(VALU_DEP_3)
	v_fmac_f32_e32 v20, v8, v3
	v_fma_f32 v119, v7, v3, -v4
	ds_load_b128 v[1:4], v21 offset:496
	ds_load_b128 v[5:8], v21 offset:512
	s_wait_loadcnt_dscnt 0x1
	v_mul_f32_e32 v125, v1, v10
	v_mul_f32_e32 v10, v2, v10
	s_delay_alu instid0(VALU_DEP_2) | instskip(NEXT) | instid1(VALU_DEP_2)
	v_dual_mul_f32 v126, v3, v12 :: v_dual_fmac_f32 v125, v2, v9
	v_fma_f32 v127, v1, v9, -v10
	v_mul_f32_e32 v1, v4, v12
	s_delay_alu instid0(VALU_DEP_3) | instskip(NEXT) | instid1(VALU_DEP_2)
	v_fmac_f32_e32 v126, v4, v11
	v_fma_f32 v128, v3, v11, -v1
	s_clause 0x1
	scratch_load_b128 v[1:4], off, off offset:176
	scratch_load_b128 v[9:12], off, off offset:192
	s_wait_loadcnt_dscnt 0x100
	v_mul_f32_e32 v129, v5, v2
	v_dual_mul_f32 v2, v6, v2 :: v_dual_mul_f32 v131, v7, v4
	s_delay_alu instid0(VALU_DEP_2) | instskip(NEXT) | instid1(VALU_DEP_2)
	v_fmac_f32_e32 v129, v6, v1
	v_fma_f32 v130, v5, v1, -v2
	v_mul_f32_e32 v1, v8, v4
	s_delay_alu instid0(VALU_DEP_4) | instskip(NEXT) | instid1(VALU_DEP_2)
	v_fmac_f32_e32 v131, v8, v3
	v_fma_f32 v132, v7, v3, -v1
	ds_load_b128 v[1:4], v21 offset:528
	ds_load_b128 v[5:8], v21 offset:544
	s_wait_loadcnt_dscnt 0x1
	v_mul_f32_e32 v133, v1, v10
	v_mul_f32_e32 v135, v3, v12
	s_delay_alu instid0(VALU_DEP_2) | instskip(NEXT) | instid1(VALU_DEP_2)
	v_fmac_f32_e32 v133, v2, v9
	v_dual_mul_f32 v2, v2, v10 :: v_dual_fmac_f32 v135, v4, v11
	s_delay_alu instid0(VALU_DEP_1) | instskip(SKIP_1) | instid1(VALU_DEP_1)
	v_fma_f32 v134, v1, v9, -v2
	v_mul_f32_e32 v1, v4, v12
	v_fma_f32 v136, v3, v11, -v1
	s_clause 0x1
	scratch_load_b128 v[1:4], off, off offset:208
	scratch_load_b128 v[9:12], off, off offset:224
	s_wait_loadcnt_dscnt 0x100
	v_mul_f32_e32 v137, v5, v2
	v_dual_mul_f32 v2, v6, v2 :: v_dual_mul_f32 v139, v7, v4
	s_delay_alu instid0(VALU_DEP_2) | instskip(NEXT) | instid1(VALU_DEP_2)
	v_fmac_f32_e32 v137, v6, v1
	v_fma_f32 v138, v5, v1, -v2
	v_mul_f32_e32 v1, v8, v4
	s_delay_alu instid0(VALU_DEP_4) | instskip(NEXT) | instid1(VALU_DEP_2)
	v_fmac_f32_e32 v139, v8, v3
	v_fma_f32 v140, v7, v3, -v1
	ds_load_b128 v[1:4], v21 offset:560
	ds_load_b128 v[5:8], v21 offset:576
	s_wait_loadcnt_dscnt 0x1
	v_mul_f32_e32 v141, v1, v10
	v_mul_f32_e32 v143, v3, v12
	s_delay_alu instid0(VALU_DEP_2) | instskip(NEXT) | instid1(VALU_DEP_2)
	v_fmac_f32_e32 v141, v2, v9
	v_dual_mul_f32 v2, v2, v10 :: v_dual_fmac_f32 v143, v4, v11
	s_delay_alu instid0(VALU_DEP_1) | instskip(SKIP_1) | instid1(VALU_DEP_1)
	v_fma_f32 v142, v1, v9, -v2
	v_mul_f32_e32 v1, v4, v12
	v_fma_f32 v144, v3, v11, -v1
	s_clause 0x1
	scratch_load_b128 v[1:4], off, off offset:240
	scratch_load_b128 v[9:12], off, off offset:256
	s_wait_loadcnt_dscnt 0x100
	v_mul_f32_e32 v145, v5, v2
	v_mul_f32_e32 v2, v6, v2
	s_delay_alu instid0(VALU_DEP_1) | instskip(SKIP_1) | instid1(VALU_DEP_1)
	v_fma_f32 v146, v5, v1, -v2
	v_add_f32_e32 v2, 0, v122
	v_add_f32_e32 v2, v2, v123
	s_delay_alu instid0(VALU_DEP_1) | instskip(NEXT) | instid1(VALU_DEP_1)
	v_dual_add_f32 v2, v2, v25 :: v_dual_mul_f32 v147, v7, v4
	v_add_f32_e32 v2, v2, v26
	s_delay_alu instid0(VALU_DEP_1) | instskip(NEXT) | instid1(VALU_DEP_3)
	v_add_f32_e32 v2, v2, v27
	v_fmac_f32_e32 v147, v8, v3
	v_fmac_f32_e32 v145, v6, v1
	s_delay_alu instid0(VALU_DEP_3) | instskip(NEXT) | instid1(VALU_DEP_1)
	v_add_f32_e32 v2, v2, v124
	v_add_f32_e32 v2, v2, v116
	s_delay_alu instid0(VALU_DEP_1) | instskip(NEXT) | instid1(VALU_DEP_1)
	v_dual_mul_f32 v1, v8, v4 :: v_dual_add_f32 v2, v2, v117
	v_fma_f32 v148, v7, v3, -v1
	s_delay_alu instid0(VALU_DEP_2) | instskip(NEXT) | instid1(VALU_DEP_1)
	v_dual_add_f32 v1, 0, v22 :: v_dual_add_f32 v2, v2, v15
	v_add_f32_e32 v1, v1, v24
	s_delay_alu instid0(VALU_DEP_2) | instskip(NEXT) | instid1(VALU_DEP_2)
	v_add_f32_e32 v5, v2, v18
	v_add_f32_e32 v1, v1, v112
	s_delay_alu instid0(VALU_DEP_1) | instskip(NEXT) | instid1(VALU_DEP_1)
	v_add_f32_e32 v1, v1, v113
	v_add_f32_e32 v1, v1, v114
	s_delay_alu instid0(VALU_DEP_1) | instskip(NEXT) | instid1(VALU_DEP_1)
	v_add_f32_e32 v1, v1, v115
	v_add_f32_e32 v1, v1, v13
	v_add_f32_e32 v13, v5, v19
	s_delay_alu instid0(VALU_DEP_2) | instskip(NEXT) | instid1(VALU_DEP_2)
	v_add_f32_e32 v1, v1, v14
	v_add_f32_e32 v13, v13, v20
	s_delay_alu instid0(VALU_DEP_2) | instskip(NEXT) | instid1(VALU_DEP_1)
	v_add_f32_e32 v1, v1, v16
	v_add_f32_e32 v1, v1, v17
	s_delay_alu instid0(VALU_DEP_1) | instskip(SKIP_4) | instid1(VALU_DEP_1)
	v_add_f32_e32 v6, v1, v118
	ds_load_b128 v[1:4], v21 offset:592
	v_add_f32_e32 v14, v6, v119
	scratch_load_b128 v[5:8], off, off offset:272
	v_dual_add_f32 v13, v13, v125 :: v_dual_add_f32 v14, v14, v127
	v_dual_add_f32 v18, v13, v126 :: v_dual_add_f32 v17, v14, v128
	ds_load_b128 v[13:16], v21 offset:608
	v_add_f32_e32 v18, v18, v129
	s_wait_loadcnt_dscnt 0x101
	v_mul_f32_e32 v22, v1, v10
	s_delay_alu instid0(VALU_DEP_2)
	v_add_f32_e32 v18, v18, v131
	v_mul_f32_e32 v10, v2, v10
	v_mul_f32_e32 v112, v3, v12
	;; [unrolled: 1-line block ×3, first 2 shown]
	v_fmac_f32_e32 v22, v2, v9
	v_add_f32_e32 v24, v18, v133
	v_fma_f32 v113, v1, v9, -v10
	v_fmac_f32_e32 v112, v4, v11
	v_fma_f32 v114, v3, v11, -v12
	scratch_load_b128 v[1:4], off, off offset:288
	v_dual_add_f32 v24, v24, v135 :: v_dual_add_f32 v17, v17, v130
	scratch_load_b128 v[9:12], off, off offset:304
	s_wait_loadcnt_dscnt 0x200
	v_dual_add_f32 v24, v24, v137 :: v_dual_mul_f32 v115, v13, v6
	v_mul_f32_e32 v116, v15, v8
	v_add_f32_e32 v17, v17, v132
	v_mul_f32_e32 v8, v16, v8
	v_mul_f32_e32 v6, v14, v6
	s_delay_alu instid0(VALU_DEP_4) | instskip(NEXT) | instid1(VALU_DEP_4)
	v_dual_fmac_f32 v115, v14, v5 :: v_dual_fmac_f32 v116, v16, v7
	v_add_f32_e32 v17, v17, v134
	s_delay_alu instid0(VALU_DEP_4) | instskip(NEXT) | instid1(VALU_DEP_4)
	v_fma_f32 v118, v15, v7, -v8
	v_fma_f32 v117, v13, v5, -v6
	ds_load_b128 v[5:8], v21 offset:624
	v_add_f32_e32 v25, v17, v136
	scratch_load_b128 v[17:20], off, off offset:320
	v_add_f32_e32 v25, v25, v138
	s_delay_alu instid0(VALU_DEP_1) | instskip(NEXT) | instid1(VALU_DEP_1)
	v_add_f32_e32 v25, v25, v140
	v_dual_add_f32 v13, v24, v139 :: v_dual_add_f32 v24, v25, v142
	s_delay_alu instid0(VALU_DEP_1)
	v_add_f32_e32 v25, v13, v141
	ds_load_b128 v[13:16], v21 offset:640
	v_dual_add_f32 v119, v24, v144 :: v_dual_add_f32 v122, v25, v143
	ds_load_b128 v[24:27], v21 offset:656
	v_add_f32_e32 v21, v119, v146
	s_wait_loadcnt_dscnt 0x202
	v_dual_add_f32 v119, v122, v145 :: v_dual_mul_f32 v122, v5, v2
	s_delay_alu instid0(VALU_DEP_1) | instskip(NEXT) | instid1(VALU_DEP_2)
	v_dual_mul_f32 v2, v6, v2 :: v_dual_add_f32 v119, v119, v147
	v_fmac_f32_e32 v122, v6, v1
	s_delay_alu instid0(VALU_DEP_2) | instskip(NEXT) | instid1(VALU_DEP_3)
	v_fma_f32 v2, v5, v1, -v2
	v_add_f32_e32 v22, v119, v22
	s_wait_loadcnt_dscnt 0x101
	v_mul_f32_e32 v119, v13, v10
	v_mul_f32_e32 v6, v14, v10
	s_delay_alu instid0(VALU_DEP_3) | instskip(NEXT) | instid1(VALU_DEP_1)
	v_add_f32_e32 v22, v22, v112
	v_dual_add_f32 v21, v21, v148 :: v_dual_add_f32 v22, v22, v115
	s_delay_alu instid0(VALU_DEP_1) | instskip(SKIP_4) | instid1(VALU_DEP_1)
	v_add_f32_e32 v21, v21, v113
	v_mul_f32_e32 v113, v7, v4
	v_mul_f32_e32 v4, v8, v4
	s_wait_loadcnt_dscnt 0x0
	v_dual_mul_f32 v112, v24, v18 :: v_dual_add_f32 v5, v22, v116
	v_dual_fmac_f32 v112, v25, v17 :: v_dual_fmac_f32 v113, v8, v3
	v_add_f32_e32 v21, v21, v114
	v_fma_f32 v3, v7, v3, -v4
	v_dual_mul_f32 v4, v16, v12 :: v_dual_fmac_f32 v119, v14, v9
	v_mul_f32_e32 v123, v15, v12
	s_delay_alu instid0(VALU_DEP_4) | instskip(NEXT) | instid1(VALU_DEP_3)
	v_dual_add_f32 v21, v21, v117 :: v_dual_mul_f32 v114, v26, v20
	v_fma_f32 v4, v15, v11, -v4
	s_delay_alu instid0(VALU_DEP_2) | instskip(NEXT) | instid1(VALU_DEP_1)
	v_dual_add_f32 v1, v21, v118 :: v_dual_fmac_f32 v114, v27, v19
	v_add_f32_e32 v1, v1, v2
	v_dual_add_f32 v2, v5, v122 :: v_dual_fmac_f32 v123, v16, v11
	v_fma_f32 v5, v13, v9, -v6
	s_delay_alu instid0(VALU_DEP_2) | instskip(NEXT) | instid1(VALU_DEP_1)
	v_add_f32_e32 v2, v2, v113
	v_add_f32_e32 v2, v2, v119
	s_delay_alu instid0(VALU_DEP_1) | instskip(NEXT) | instid1(VALU_DEP_1)
	v_add_f32_e32 v2, v2, v123
	v_dual_add_f32 v2, v2, v112 :: v_dual_add_f32 v1, v1, v3
	v_mul_f32_e32 v3, v25, v18
	s_delay_alu instid0(VALU_DEP_2) | instskip(SKIP_1) | instid1(VALU_DEP_3)
	v_dual_add_f32 v2, v2, v114 :: v_dual_add_f32 v1, v1, v5
	v_mul_f32_e32 v5, v27, v20
	v_fma_f32 v3, v24, v17, -v3
	s_delay_alu instid0(VALU_DEP_3) | instskip(NEXT) | instid1(VALU_DEP_4)
	v_sub_f32_e32 v2, v121, v2
	v_add_f32_e32 v1, v1, v4
	s_delay_alu instid0(VALU_DEP_4) | instskip(NEXT) | instid1(VALU_DEP_2)
	v_fma_f32 v4, v26, v19, -v5
	v_add_f32_e32 v1, v1, v3
	s_delay_alu instid0(VALU_DEP_1) | instskip(NEXT) | instid1(VALU_DEP_1)
	v_add_f32_e32 v1, v1, v4
	v_sub_f32_e32 v1, v120, v1
	scratch_store_b64 off, v[1:2], off offset:56
	v_cmpx_lt_u32_e32 6, v0
	s_cbranch_execz .LBB41_253
; %bb.252:
	scratch_load_b64 v[1:2], off, off offset:48
	v_mov_b32_e32 v3, 0
	s_delay_alu instid0(VALU_DEP_1)
	v_mov_b32_e32 v4, v3
	scratch_store_b64 off, v[3:4], off offset:48
	s_wait_loadcnt 0x0
	ds_store_b64 v23, v[1:2]
.LBB41_253:
	s_wait_alu 0xfffe
	s_or_b32 exec_lo, exec_lo, s0
	s_wait_storecnt_dscnt 0x0
	s_barrier_signal -1
	s_barrier_wait -1
	global_inv scope:SCOPE_SE
	s_clause 0x4
	scratch_load_b128 v[5:8], off, off offset:56
	scratch_load_b128 v[1:4], off, off offset:72
	;; [unrolled: 1-line block ×5, first 2 shown]
	v_mov_b32_e32 v21, 0
	ds_load_2addr_b64 v[24:27], v21 offset0:49 offset1:50
	ds_load_2addr_b64 v[112:115], v21 offset0:51 offset1:52
	;; [unrolled: 1-line block ×3, first 2 shown]
	scratch_load_b64 v[120:121], off, off offset:48
	s_mov_b32 s0, exec_lo
	s_wait_loadcnt_dscnt 0x502
	v_mul_f32_e32 v22, v25, v6
	v_dual_mul_f32 v122, v24, v6 :: v_dual_mul_f32 v123, v26, v8
	v_mul_f32_e32 v6, v27, v8
	s_delay_alu instid0(VALU_DEP_3) | instskip(NEXT) | instid1(VALU_DEP_3)
	v_fma_f32 v22, v24, v5, -v22
	v_dual_fmac_f32 v122, v25, v5 :: v_dual_fmac_f32 v123, v27, v7
	s_wait_loadcnt_dscnt 0x401
	v_mul_f32_e32 v25, v112, v2
	v_fma_f32 v24, v26, v7, -v6
	ds_load_2addr_b64 v[5:8], v21 offset0:55 offset1:56
	s_wait_loadcnt_dscnt 0x301
	v_dual_mul_f32 v26, v114, v4 :: v_dual_mul_f32 v27, v116, v10
	v_dual_mul_f32 v4, v115, v4 :: v_dual_fmac_f32 v25, v113, v1
	v_mul_f32_e32 v10, v117, v10
	s_delay_alu instid0(VALU_DEP_3)
	v_dual_mul_f32 v124, v118, v12 :: v_dual_fmac_f32 v27, v117, v9
	v_mul_f32_e32 v12, v119, v12
	v_mul_f32_e32 v2, v113, v2
	v_fmac_f32_e32 v26, v115, v3
	v_fma_f32 v113, v114, v3, -v4
	v_fma_f32 v114, v116, v9, -v10
	v_fmac_f32_e32 v124, v119, v11
	v_fma_f32 v115, v118, v11, -v12
	ds_load_2addr_b64 v[9:12], v21 offset0:57 offset1:58
	s_wait_loadcnt_dscnt 0x201
	v_mul_f32_e32 v117, v7, v16
	v_fma_f32 v112, v112, v1, -v2
	scratch_load_b128 v[1:4], off, off offset:136
	v_mul_f32_e32 v116, v5, v14
	v_mul_f32_e32 v14, v6, v14
	;; [unrolled: 1-line block ×3, first 2 shown]
	s_delay_alu instid0(VALU_DEP_3) | instskip(NEXT) | instid1(VALU_DEP_3)
	v_dual_fmac_f32 v117, v8, v15 :: v_dual_fmac_f32 v116, v6, v13
	v_fma_f32 v13, v5, v13, -v14
	s_delay_alu instid0(VALU_DEP_3)
	v_fma_f32 v14, v7, v15, -v16
	ds_load_2addr_b64 v[5:8], v21 offset0:59 offset1:60
	s_wait_loadcnt_dscnt 0x201
	v_mul_f32_e32 v15, v9, v18
	v_mul_f32_e32 v16, v10, v18
	;; [unrolled: 1-line block ×3, first 2 shown]
	s_delay_alu instid0(VALU_DEP_3) | instskip(NEXT) | instid1(VALU_DEP_3)
	v_dual_mul_f32 v20, v12, v20 :: v_dual_fmac_f32 v15, v10, v17
	v_fma_f32 v16, v9, v17, -v16
	s_delay_alu instid0(VALU_DEP_3) | instskip(NEXT) | instid1(VALU_DEP_3)
	v_fmac_f32_e32 v18, v12, v19
	v_fma_f32 v17, v11, v19, -v20
	scratch_load_b128 v[9:12], off, off offset:152
	s_wait_loadcnt_dscnt 0x100
	v_mul_f32_e32 v19, v5, v2
	v_mul_f32_e32 v2, v6, v2
	;; [unrolled: 1-line block ×3, first 2 shown]
	s_delay_alu instid0(VALU_DEP_3) | instskip(NEXT) | instid1(VALU_DEP_3)
	v_dual_mul_f32 v4, v8, v4 :: v_dual_fmac_f32 v19, v6, v1
	v_fma_f32 v118, v5, v1, -v2
	s_delay_alu instid0(VALU_DEP_3) | instskip(NEXT) | instid1(VALU_DEP_3)
	v_fmac_f32_e32 v20, v8, v3
	v_fma_f32 v119, v7, v3, -v4
	ds_load_2addr_b64 v[1:4], v21 offset0:61 offset1:62
	ds_load_2addr_b64 v[5:8], v21 offset0:63 offset1:64
	s_wait_loadcnt_dscnt 0x1
	v_mul_f32_e32 v125, v1, v10
	v_mul_f32_e32 v10, v2, v10
	s_delay_alu instid0(VALU_DEP_2) | instskip(NEXT) | instid1(VALU_DEP_2)
	v_dual_mul_f32 v126, v3, v12 :: v_dual_fmac_f32 v125, v2, v9
	v_fma_f32 v127, v1, v9, -v10
	v_mul_f32_e32 v1, v4, v12
	s_delay_alu instid0(VALU_DEP_3) | instskip(NEXT) | instid1(VALU_DEP_2)
	v_fmac_f32_e32 v126, v4, v11
	v_fma_f32 v128, v3, v11, -v1
	s_clause 0x1
	scratch_load_b128 v[1:4], off, off offset:168
	scratch_load_b128 v[9:12], off, off offset:184
	s_wait_loadcnt_dscnt 0x100
	v_mul_f32_e32 v129, v5, v2
	v_dual_mul_f32 v2, v6, v2 :: v_dual_mul_f32 v131, v7, v4
	s_delay_alu instid0(VALU_DEP_2) | instskip(NEXT) | instid1(VALU_DEP_2)
	v_fmac_f32_e32 v129, v6, v1
	v_fma_f32 v130, v5, v1, -v2
	v_mul_f32_e32 v1, v8, v4
	s_delay_alu instid0(VALU_DEP_4) | instskip(NEXT) | instid1(VALU_DEP_2)
	v_fmac_f32_e32 v131, v8, v3
	v_fma_f32 v132, v7, v3, -v1
	ds_load_2addr_b64 v[1:4], v21 offset0:65 offset1:66
	ds_load_2addr_b64 v[5:8], v21 offset0:67 offset1:68
	s_wait_loadcnt_dscnt 0x1
	v_mul_f32_e32 v133, v1, v10
	v_mul_f32_e32 v135, v3, v12
	s_delay_alu instid0(VALU_DEP_2) | instskip(NEXT) | instid1(VALU_DEP_2)
	v_fmac_f32_e32 v133, v2, v9
	v_dual_mul_f32 v2, v2, v10 :: v_dual_fmac_f32 v135, v4, v11
	s_delay_alu instid0(VALU_DEP_1) | instskip(SKIP_1) | instid1(VALU_DEP_1)
	v_fma_f32 v134, v1, v9, -v2
	v_mul_f32_e32 v1, v4, v12
	v_fma_f32 v136, v3, v11, -v1
	s_clause 0x1
	scratch_load_b128 v[1:4], off, off offset:200
	scratch_load_b128 v[9:12], off, off offset:216
	s_wait_loadcnt_dscnt 0x100
	v_mul_f32_e32 v137, v5, v2
	v_dual_mul_f32 v139, v7, v4 :: v_dual_mul_f32 v2, v6, v2
	s_delay_alu instid0(VALU_DEP_2) | instskip(NEXT) | instid1(VALU_DEP_2)
	v_fmac_f32_e32 v137, v6, v1
	v_fmac_f32_e32 v139, v8, v3
	s_delay_alu instid0(VALU_DEP_3) | instskip(SKIP_1) | instid1(VALU_DEP_1)
	v_fma_f32 v138, v5, v1, -v2
	v_mul_f32_e32 v1, v8, v4
	v_fma_f32 v140, v7, v3, -v1
	ds_load_2addr_b64 v[1:4], v21 offset0:69 offset1:70
	ds_load_2addr_b64 v[5:8], v21 offset0:71 offset1:72
	s_wait_loadcnt_dscnt 0x1
	v_mul_f32_e32 v141, v1, v10
	v_mul_f32_e32 v143, v3, v12
	s_delay_alu instid0(VALU_DEP_2) | instskip(NEXT) | instid1(VALU_DEP_2)
	v_fmac_f32_e32 v141, v2, v9
	v_dual_mul_f32 v2, v2, v10 :: v_dual_fmac_f32 v143, v4, v11
	s_delay_alu instid0(VALU_DEP_1) | instskip(SKIP_1) | instid1(VALU_DEP_1)
	v_fma_f32 v142, v1, v9, -v2
	v_mul_f32_e32 v1, v4, v12
	v_fma_f32 v144, v3, v11, -v1
	s_clause 0x1
	scratch_load_b128 v[1:4], off, off offset:232
	scratch_load_b128 v[9:12], off, off offset:248
	s_wait_loadcnt_dscnt 0x100
	v_mul_f32_e32 v145, v5, v2
	v_mul_f32_e32 v2, v6, v2
	s_delay_alu instid0(VALU_DEP_1) | instskip(SKIP_1) | instid1(VALU_DEP_1)
	v_fma_f32 v146, v5, v1, -v2
	v_add_f32_e32 v2, 0, v122
	v_add_f32_e32 v2, v2, v123
	s_delay_alu instid0(VALU_DEP_1) | instskip(NEXT) | instid1(VALU_DEP_1)
	v_add_f32_e32 v2, v2, v25
	v_add_f32_e32 v2, v2, v26
	s_delay_alu instid0(VALU_DEP_1) | instskip(SKIP_1) | instid1(VALU_DEP_2)
	v_add_f32_e32 v2, v2, v27
	v_fmac_f32_e32 v145, v6, v1
	v_add_f32_e32 v2, v2, v124
	s_delay_alu instid0(VALU_DEP_1) | instskip(NEXT) | instid1(VALU_DEP_1)
	v_add_f32_e32 v2, v2, v116
	v_dual_mul_f32 v147, v7, v4 :: v_dual_add_f32 v2, v2, v117
	s_delay_alu instid0(VALU_DEP_1) | instskip(NEXT) | instid1(VALU_DEP_1)
	v_dual_mul_f32 v1, v8, v4 :: v_dual_add_f32 v2, v2, v15
	v_fma_f32 v148, v7, v3, -v1
	v_add_f32_e32 v1, 0, v22
	s_delay_alu instid0(VALU_DEP_3) | instskip(NEXT) | instid1(VALU_DEP_2)
	v_add_f32_e32 v5, v2, v18
	v_add_f32_e32 v1, v1, v24
	s_delay_alu instid0(VALU_DEP_1) | instskip(NEXT) | instid1(VALU_DEP_1)
	v_add_f32_e32 v1, v1, v112
	v_add_f32_e32 v1, v1, v113
	scratch_load_b64 v[112:113], off, off offset:328
	v_add_f32_e32 v1, v1, v114
	s_delay_alu instid0(VALU_DEP_1) | instskip(NEXT) | instid1(VALU_DEP_1)
	v_add_f32_e32 v1, v1, v115
	v_add_f32_e32 v1, v1, v13
	;; [unrolled: 1-line block ×3, first 2 shown]
	s_delay_alu instid0(VALU_DEP_2) | instskip(NEXT) | instid1(VALU_DEP_2)
	v_add_f32_e32 v1, v1, v14
	v_add_f32_e32 v13, v13, v20
	s_delay_alu instid0(VALU_DEP_2) | instskip(NEXT) | instid1(VALU_DEP_2)
	v_add_f32_e32 v1, v1, v16
	v_add_f32_e32 v13, v13, v125
	v_fmac_f32_e32 v147, v8, v3
	s_delay_alu instid0(VALU_DEP_3) | instskip(NEXT) | instid1(VALU_DEP_3)
	v_add_f32_e32 v1, v1, v17
	v_add_f32_e32 v18, v13, v126
	s_delay_alu instid0(VALU_DEP_2)
	v_add_f32_e32 v6, v1, v118
	scratch_load_b128 v[1:4], off, off offset:264
	v_add_f32_e32 v18, v18, v129
	v_add_f32_e32 v14, v6, v119
	ds_load_2addr_b64 v[5:8], v21 offset0:73 offset1:74
	v_add_f32_e32 v18, v18, v131
	v_add_f32_e32 v14, v14, v127
	s_delay_alu instid0(VALU_DEP_2) | instskip(NEXT) | instid1(VALU_DEP_2)
	v_add_f32_e32 v24, v18, v133
	v_add_f32_e32 v17, v14, v128
	ds_load_2addr_b64 v[13:16], v21 offset0:75 offset1:76
	v_add_f32_e32 v24, v24, v135
	s_delay_alu instid0(VALU_DEP_1)
	v_add_f32_e32 v24, v24, v137
	s_wait_loadcnt_dscnt 0x201
	v_mul_f32_e32 v22, v5, v10
	v_mul_f32_e32 v10, v6, v10
	;; [unrolled: 1-line block ×3, first 2 shown]
	v_dual_mul_f32 v12, v8, v12 :: v_dual_add_f32 v17, v17, v130
	s_delay_alu instid0(VALU_DEP_4) | instskip(NEXT) | instid1(VALU_DEP_4)
	v_fmac_f32_e32 v22, v6, v9
	v_fma_f32 v117, v5, v9, -v10
	s_delay_alu instid0(VALU_DEP_4) | instskip(NEXT) | instid1(VALU_DEP_4)
	v_fmac_f32_e32 v116, v8, v11
	v_fma_f32 v118, v7, v11, -v12
	s_clause 0x1
	scratch_load_b128 v[5:8], off, off offset:280
	scratch_load_b128 v[9:12], off, off offset:296
	v_dual_add_f32 v17, v17, v132 :: v_dual_add_f32 v24, v24, v139
	s_wait_loadcnt_dscnt 0x200
	s_delay_alu instid0(VALU_DEP_1) | instskip(NEXT) | instid1(VALU_DEP_1)
	v_dual_add_f32 v17, v17, v134 :: v_dual_mul_f32 v122, v15, v4
	v_add_f32_e32 v25, v17, v136
	scratch_load_b128 v[17:20], off, off offset:312
	v_mul_f32_e32 v119, v13, v2
	v_mul_f32_e32 v2, v14, v2
	v_dual_fmac_f32 v122, v16, v3 :: v_dual_add_f32 v25, v25, v138
	v_mul_f32_e32 v4, v16, v4
	s_delay_alu instid0(VALU_DEP_3) | instskip(SKIP_1) | instid1(VALU_DEP_4)
	v_fma_f32 v123, v13, v1, -v2
	v_add_f32_e32 v13, v24, v141
	v_add_f32_e32 v25, v25, v140
	s_delay_alu instid0(VALU_DEP_4) | instskip(NEXT) | instid1(VALU_DEP_3)
	v_fma_f32 v124, v15, v3, -v4
	v_add_f32_e32 v24, v13, v143
	s_delay_alu instid0(VALU_DEP_1) | instskip(NEXT) | instid1(VALU_DEP_1)
	v_add_f32_e32 v115, v24, v145
	v_add_f32_e32 v126, v115, v147
	s_delay_alu instid0(VALU_DEP_1) | instskip(NEXT) | instid1(VALU_DEP_1)
	v_add_f32_e32 v22, v126, v22
	v_dual_add_f32 v25, v25, v142 :: v_dual_add_f32 v22, v22, v116
	s_delay_alu instid0(VALU_DEP_1)
	v_dual_fmac_f32 v119, v14, v1 :: v_dual_add_f32 v14, v25, v144
	ds_load_2addr_b64 v[1:4], v21 offset0:77 offset1:78
	ds_load_2addr_b64 v[24:27], v21 offset0:81 offset1:82
	v_add_f32_e32 v22, v22, v119
	v_add_f32_e32 v114, v14, v146
	ds_load_2addr_b64 v[13:16], v21 offset0:79 offset1:80
	v_add_f32_e32 v22, v22, v122
	v_add_f32_e32 v125, v114, v148
	ds_load_b64 v[114:115], v21 offset:664
	s_wait_loadcnt_dscnt 0x203
	v_dual_add_f32 v117, v125, v117 :: v_dual_mul_f32 v116, v3, v8
	s_delay_alu instid0(VALU_DEP_1)
	v_add_f32_e32 v117, v117, v118
	v_dual_mul_f32 v125, v1, v6 :: v_dual_mul_f32 v8, v4, v8
	v_mul_f32_e32 v6, v2, v6
	s_wait_loadcnt_dscnt 0x101
	v_dual_mul_f32 v118, v13, v10 :: v_dual_mul_f32 v119, v15, v12
	v_add_f32_e32 v117, v117, v123
	v_dual_fmac_f32 v125, v2, v5 :: v_dual_fmac_f32 v116, v4, v7
	v_fma_f32 v1, v1, v5, -v6
	v_fma_f32 v2, v3, v7, -v8
	s_delay_alu instid0(VALU_DEP_3) | instskip(SKIP_2) | instid1(VALU_DEP_3)
	v_dual_add_f32 v117, v117, v124 :: v_dual_add_f32 v4, v22, v125
	v_dual_mul_f32 v5, v16, v12 :: v_dual_fmac_f32 v118, v14, v9
	v_mul_f32_e32 v3, v14, v10
	v_add_f32_e32 v1, v117, v1
	s_wait_dscnt 0x0
	v_dual_fmac_f32 v119, v16, v11 :: v_dual_mul_f32 v122, v114, v113
	v_fma_f32 v5, v15, v11, -v5
	s_delay_alu instid0(VALU_DEP_3) | instskip(SKIP_1) | instid1(VALU_DEP_4)
	v_dual_add_f32 v1, v1, v2 :: v_dual_add_f32 v2, v4, v116
	v_fma_f32 v3, v13, v9, -v3
	v_fmac_f32_e32 v122, v115, v112
	s_delay_alu instid0(VALU_DEP_2) | instskip(SKIP_1) | instid1(VALU_DEP_1)
	v_dual_add_f32 v2, v2, v118 :: v_dual_add_f32 v1, v1, v3
	s_wait_loadcnt 0x0
	v_dual_add_f32 v2, v2, v119 :: v_dual_mul_f32 v3, v27, v20
	v_mul_f32_e32 v123, v24, v18
	v_mul_f32_e32 v4, v25, v18
	;; [unrolled: 1-line block ×3, first 2 shown]
	s_delay_alu instid0(VALU_DEP_4) | instskip(NEXT) | instid1(VALU_DEP_4)
	v_fma_f32 v3, v26, v19, -v3
	v_fmac_f32_e32 v123, v25, v17
	s_delay_alu instid0(VALU_DEP_4) | instskip(NEXT) | instid1(VALU_DEP_4)
	v_fma_f32 v4, v24, v17, -v4
	v_dual_fmac_f32 v124, v27, v19 :: v_dual_add_f32 v1, v1, v5
	s_delay_alu instid0(VALU_DEP_3) | instskip(NEXT) | instid1(VALU_DEP_1)
	v_dual_add_f32 v2, v2, v123 :: v_dual_mul_f32 v5, v115, v113
	v_add_f32_e32 v2, v2, v124
	s_delay_alu instid0(VALU_DEP_3) | instskip(NEXT) | instid1(VALU_DEP_3)
	v_add_f32_e32 v1, v1, v4
	v_fma_f32 v4, v114, v112, -v5
	s_delay_alu instid0(VALU_DEP_2) | instskip(NEXT) | instid1(VALU_DEP_1)
	v_dual_add_f32 v2, v2, v122 :: v_dual_add_f32 v1, v1, v3
	v_sub_f32_e32 v2, v121, v2
	s_delay_alu instid0(VALU_DEP_2) | instskip(NEXT) | instid1(VALU_DEP_1)
	v_add_f32_e32 v1, v1, v4
	v_sub_f32_e32 v1, v120, v1
	scratch_store_b64 off, v[1:2], off offset:48
	v_cmpx_lt_u32_e32 5, v0
	s_cbranch_execz .LBB41_255
; %bb.254:
	scratch_load_b64 v[1:2], off, off offset:40
	v_mov_b32_e32 v22, v21
	scratch_store_b64 off, v[21:22], off offset:40
	s_wait_loadcnt 0x0
	ds_store_b64 v23, v[1:2]
.LBB41_255:
	s_wait_alu 0xfffe
	s_or_b32 exec_lo, exec_lo, s0
	s_wait_storecnt_dscnt 0x0
	s_barrier_signal -1
	s_barrier_wait -1
	global_inv scope:SCOPE_SE
	s_clause 0x4
	scratch_load_b128 v[5:8], off, off offset:48
	scratch_load_b128 v[1:4], off, off offset:64
	;; [unrolled: 1-line block ×5, first 2 shown]
	ds_load_b128 v[24:27], v21 offset:384
	ds_load_b128 v[112:115], v21 offset:400
	;; [unrolled: 1-line block ×3, first 2 shown]
	scratch_load_b64 v[120:121], off, off offset:40
	s_mov_b32 s0, exec_lo
	s_wait_loadcnt_dscnt 0x502
	v_dual_mul_f32 v22, v25, v6 :: v_dual_mul_f32 v123, v26, v8
	v_mul_f32_e32 v122, v24, v6
	v_mul_f32_e32 v6, v27, v8
	s_wait_loadcnt_dscnt 0x300
	v_mul_f32_e32 v124, v118, v12
	v_fma_f32 v22, v24, v5, -v22
	v_dual_fmac_f32 v123, v27, v7 :: v_dual_fmac_f32 v122, v25, v5
	v_mul_f32_e32 v27, v116, v10
	v_mul_f32_e32 v25, v112, v2
	v_fma_f32 v24, v26, v7, -v6
	ds_load_b128 v[5:8], v21 offset:432
	v_mul_f32_e32 v26, v114, v4
	v_dual_mul_f32 v4, v115, v4 :: v_dual_fmac_f32 v27, v117, v9
	v_mul_f32_e32 v10, v117, v10
	v_mul_f32_e32 v12, v119, v12
	;; [unrolled: 1-line block ×3, first 2 shown]
	v_dual_fmac_f32 v25, v113, v1 :: v_dual_fmac_f32 v26, v115, v3
	v_fma_f32 v113, v114, v3, -v4
	v_fma_f32 v114, v116, v9, -v10
	v_fmac_f32_e32 v124, v119, v11
	v_fma_f32 v115, v118, v11, -v12
	ds_load_b128 v[9:12], v21 offset:448
	s_wait_loadcnt_dscnt 0x201
	v_mul_f32_e32 v117, v7, v16
	v_fma_f32 v112, v112, v1, -v2
	scratch_load_b128 v[1:4], off, off offset:128
	v_mul_f32_e32 v116, v5, v14
	v_mul_f32_e32 v14, v6, v14
	;; [unrolled: 1-line block ×3, first 2 shown]
	s_delay_alu instid0(VALU_DEP_3) | instskip(NEXT) | instid1(VALU_DEP_3)
	v_dual_fmac_f32 v117, v8, v15 :: v_dual_fmac_f32 v116, v6, v13
	v_fma_f32 v13, v5, v13, -v14
	s_delay_alu instid0(VALU_DEP_3)
	v_fma_f32 v14, v7, v15, -v16
	ds_load_b128 v[5:8], v21 offset:464
	s_wait_loadcnt_dscnt 0x201
	v_mul_f32_e32 v15, v9, v18
	v_mul_f32_e32 v16, v10, v18
	;; [unrolled: 1-line block ×3, first 2 shown]
	s_delay_alu instid0(VALU_DEP_3) | instskip(NEXT) | instid1(VALU_DEP_3)
	v_dual_mul_f32 v20, v12, v20 :: v_dual_fmac_f32 v15, v10, v17
	v_fma_f32 v16, v9, v17, -v16
	s_delay_alu instid0(VALU_DEP_3) | instskip(NEXT) | instid1(VALU_DEP_3)
	v_fmac_f32_e32 v18, v12, v19
	v_fma_f32 v17, v11, v19, -v20
	scratch_load_b128 v[9:12], off, off offset:144
	s_wait_loadcnt_dscnt 0x100
	v_mul_f32_e32 v19, v5, v2
	v_mul_f32_e32 v2, v6, v2
	;; [unrolled: 1-line block ×3, first 2 shown]
	s_delay_alu instid0(VALU_DEP_3) | instskip(NEXT) | instid1(VALU_DEP_3)
	v_dual_mul_f32 v4, v8, v4 :: v_dual_fmac_f32 v19, v6, v1
	v_fma_f32 v118, v5, v1, -v2
	s_delay_alu instid0(VALU_DEP_3) | instskip(NEXT) | instid1(VALU_DEP_3)
	v_fmac_f32_e32 v20, v8, v3
	v_fma_f32 v119, v7, v3, -v4
	ds_load_b128 v[1:4], v21 offset:480
	ds_load_b128 v[5:8], v21 offset:496
	s_wait_loadcnt_dscnt 0x1
	v_mul_f32_e32 v125, v1, v10
	v_mul_f32_e32 v10, v2, v10
	s_delay_alu instid0(VALU_DEP_2) | instskip(NEXT) | instid1(VALU_DEP_2)
	v_dual_mul_f32 v126, v3, v12 :: v_dual_fmac_f32 v125, v2, v9
	v_fma_f32 v127, v1, v9, -v10
	v_mul_f32_e32 v1, v4, v12
	s_delay_alu instid0(VALU_DEP_3) | instskip(NEXT) | instid1(VALU_DEP_2)
	v_fmac_f32_e32 v126, v4, v11
	v_fma_f32 v128, v3, v11, -v1
	s_clause 0x1
	scratch_load_b128 v[1:4], off, off offset:160
	scratch_load_b128 v[9:12], off, off offset:176
	s_wait_loadcnt_dscnt 0x100
	v_mul_f32_e32 v129, v5, v2
	v_dual_mul_f32 v2, v6, v2 :: v_dual_mul_f32 v131, v7, v4
	s_delay_alu instid0(VALU_DEP_2) | instskip(NEXT) | instid1(VALU_DEP_2)
	v_fmac_f32_e32 v129, v6, v1
	v_fma_f32 v130, v5, v1, -v2
	v_mul_f32_e32 v1, v8, v4
	s_delay_alu instid0(VALU_DEP_4) | instskip(NEXT) | instid1(VALU_DEP_2)
	v_fmac_f32_e32 v131, v8, v3
	v_fma_f32 v132, v7, v3, -v1
	ds_load_b128 v[1:4], v21 offset:512
	ds_load_b128 v[5:8], v21 offset:528
	s_wait_loadcnt_dscnt 0x1
	v_mul_f32_e32 v133, v1, v10
	v_mul_f32_e32 v135, v3, v12
	s_delay_alu instid0(VALU_DEP_2) | instskip(NEXT) | instid1(VALU_DEP_2)
	v_fmac_f32_e32 v133, v2, v9
	v_dual_mul_f32 v2, v2, v10 :: v_dual_fmac_f32 v135, v4, v11
	s_delay_alu instid0(VALU_DEP_1) | instskip(SKIP_1) | instid1(VALU_DEP_1)
	v_fma_f32 v134, v1, v9, -v2
	v_mul_f32_e32 v1, v4, v12
	v_fma_f32 v136, v3, v11, -v1
	s_clause 0x1
	scratch_load_b128 v[1:4], off, off offset:192
	scratch_load_b128 v[9:12], off, off offset:208
	s_wait_loadcnt_dscnt 0x100
	v_mul_f32_e32 v137, v5, v2
	v_dual_mul_f32 v2, v6, v2 :: v_dual_mul_f32 v139, v7, v4
	s_delay_alu instid0(VALU_DEP_2) | instskip(NEXT) | instid1(VALU_DEP_2)
	v_fmac_f32_e32 v137, v6, v1
	v_fma_f32 v138, v5, v1, -v2
	v_mul_f32_e32 v1, v8, v4
	s_delay_alu instid0(VALU_DEP_4) | instskip(NEXT) | instid1(VALU_DEP_2)
	v_fmac_f32_e32 v139, v8, v3
	v_fma_f32 v140, v7, v3, -v1
	ds_load_b128 v[1:4], v21 offset:544
	ds_load_b128 v[5:8], v21 offset:560
	s_wait_loadcnt_dscnt 0x1
	v_mul_f32_e32 v141, v1, v10
	v_mul_f32_e32 v143, v3, v12
	s_delay_alu instid0(VALU_DEP_2) | instskip(NEXT) | instid1(VALU_DEP_2)
	v_fmac_f32_e32 v141, v2, v9
	v_dual_mul_f32 v2, v2, v10 :: v_dual_fmac_f32 v143, v4, v11
	s_delay_alu instid0(VALU_DEP_1) | instskip(SKIP_1) | instid1(VALU_DEP_1)
	v_fma_f32 v142, v1, v9, -v2
	v_mul_f32_e32 v1, v4, v12
	;; [unrolled: 25-line block ×3, first 2 shown]
	v_fma_f32 v152, v3, v11, -v1
	s_clause 0x1
	scratch_load_b128 v[1:4], off, off offset:256
	scratch_load_b128 v[9:12], off, off offset:272
	s_wait_loadcnt_dscnt 0x100
	v_mul_f32_e32 v153, v5, v2
	v_mul_f32_e32 v2, v6, v2
	s_delay_alu instid0(VALU_DEP_1) | instskip(SKIP_1) | instid1(VALU_DEP_1)
	v_fma_f32 v154, v5, v1, -v2
	v_add_f32_e32 v2, 0, v122
	v_add_f32_e32 v2, v2, v123
	s_delay_alu instid0(VALU_DEP_1) | instskip(NEXT) | instid1(VALU_DEP_1)
	v_add_f32_e32 v2, v2, v25
	v_add_f32_e32 v2, v2, v26
	s_delay_alu instid0(VALU_DEP_1) | instskip(NEXT) | instid1(VALU_DEP_1)
	;; [unrolled: 3-line block ×4, first 2 shown]
	v_dual_add_f32 v2, v2, v15 :: v_dual_mul_f32 v155, v7, v4
	v_add_f32_e32 v2, v2, v18
	s_delay_alu instid0(VALU_DEP_1) | instskip(SKIP_2) | instid1(VALU_DEP_3)
	v_add_f32_e32 v2, v2, v19
	v_fmac_f32_e32 v153, v6, v1
	v_mul_f32_e32 v1, v8, v4
	v_dual_fmac_f32 v155, v8, v3 :: v_dual_add_f32 v2, v2, v20
	s_delay_alu instid0(VALU_DEP_2) | instskip(SKIP_1) | instid1(VALU_DEP_3)
	v_fma_f32 v156, v7, v3, -v1
	v_add_f32_e32 v1, 0, v22
	v_add_f32_e32 v5, v2, v125
	s_delay_alu instid0(VALU_DEP_2) | instskip(NEXT) | instid1(VALU_DEP_2)
	v_add_f32_e32 v1, v1, v24
	v_add_f32_e32 v5, v5, v126
	s_delay_alu instid0(VALU_DEP_2) | instskip(NEXT) | instid1(VALU_DEP_2)
	v_add_f32_e32 v1, v1, v112
	v_add_f32_e32 v5, v5, v129
	s_delay_alu instid0(VALU_DEP_2) | instskip(NEXT) | instid1(VALU_DEP_1)
	v_add_f32_e32 v1, v1, v113
	v_add_f32_e32 v1, v1, v114
	s_delay_alu instid0(VALU_DEP_1) | instskip(NEXT) | instid1(VALU_DEP_1)
	v_add_f32_e32 v1, v1, v115
	v_add_f32_e32 v1, v1, v13
	s_delay_alu instid0(VALU_DEP_1) | instskip(SKIP_1) | instid1(VALU_DEP_1)
	v_add_f32_e32 v1, v1, v14
	v_add_f32_e32 v14, v5, v131
	;; [unrolled: 1-line block ×3, first 2 shown]
	s_delay_alu instid0(VALU_DEP_1) | instskip(NEXT) | instid1(VALU_DEP_1)
	v_dual_add_f32 v14, v14, v135 :: v_dual_add_f32 v1, v1, v16
	v_add_f32_e32 v1, v1, v17
	s_delay_alu instid0(VALU_DEP_2) | instskip(NEXT) | instid1(VALU_DEP_2)
	v_add_f32_e32 v17, v14, v137
	v_add_f32_e32 v1, v1, v118
	s_delay_alu instid0(VALU_DEP_2) | instskip(NEXT) | instid1(VALU_DEP_2)
	v_add_f32_e32 v17, v17, v139
	v_add_f32_e32 v1, v1, v119
	s_delay_alu instid0(VALU_DEP_2) | instskip(NEXT) | instid1(VALU_DEP_2)
	v_add_f32_e32 v17, v17, v141
	v_add_f32_e32 v1, v1, v127
	s_delay_alu instid0(VALU_DEP_2) | instskip(NEXT) | instid1(VALU_DEP_2)
	v_add_f32_e32 v17, v17, v143
	v_add_f32_e32 v6, v1, v128
	ds_load_b128 v[1:4], v21 offset:608
	v_dual_add_f32 v25, v17, v145 :: v_dual_add_f32 v6, v6, v130
	s_delay_alu instid0(VALU_DEP_1)
	v_dual_add_f32 v116, v25, v147 :: v_dual_add_f32 v13, v6, v132
	ds_load_b128 v[5:8], v21 offset:624
	s_wait_loadcnt_dscnt 0x1
	v_mul_f32_e32 v22, v1, v10
	v_mul_f32_e32 v112, v3, v12
	;; [unrolled: 1-line block ×4, first 2 shown]
	s_delay_alu instid0(VALU_DEP_4) | instskip(NEXT) | instid1(VALU_DEP_4)
	v_fmac_f32_e32 v22, v2, v9
	v_fmac_f32_e32 v112, v4, v11
	s_delay_alu instid0(VALU_DEP_4) | instskip(NEXT) | instid1(VALU_DEP_4)
	v_fma_f32 v113, v1, v9, -v10
	v_fma_f32 v114, v3, v11, -v12
	s_clause 0x1
	scratch_load_b128 v[1:4], off, off offset:288
	scratch_load_b128 v[9:12], off, off offset:304
	v_add_f32_e32 v13, v13, v134
	s_delay_alu instid0(VALU_DEP_1) | instskip(NEXT) | instid1(VALU_DEP_1)
	v_add_f32_e32 v13, v13, v136
	v_add_f32_e32 v13, v13, v138
	s_delay_alu instid0(VALU_DEP_1) | instskip(SKIP_2) | instid1(VALU_DEP_1)
	v_add_f32_e32 v18, v13, v140
	scratch_load_b128 v[13:16], off, off offset:320
	v_add_f32_e32 v18, v18, v142
	v_add_f32_e32 v18, v18, v144
	s_delay_alu instid0(VALU_DEP_1)
	v_add_f32_e32 v24, v18, v146
	ds_load_b128 v[17:20], v21 offset:640
	v_add_f32_e32 v115, v24, v148
	ds_load_b128 v[24:27], v21 offset:656
	s_wait_loadcnt_dscnt 0x101
	v_dual_mul_f32 v117, v7, v4 :: v_dual_mul_f32 v118, v17, v10
	v_add_f32_e32 v21, v115, v150
	v_dual_add_f32 v115, v116, v149 :: v_dual_mul_f32 v116, v5, v2
	v_mul_f32_e32 v2, v6, v2
	v_mul_f32_e32 v4, v8, v4
	s_delay_alu instid0(VALU_DEP_4) | instskip(NEXT) | instid1(VALU_DEP_4)
	v_add_f32_e32 v21, v21, v152
	v_dual_fmac_f32 v117, v8, v3 :: v_dual_fmac_f32 v116, v6, v1
	s_delay_alu instid0(VALU_DEP_4) | instskip(SKIP_1) | instid1(VALU_DEP_4)
	v_fma_f32 v2, v5, v1, -v2
	v_mul_f32_e32 v6, v18, v10
	v_add_f32_e32 v21, v21, v154
	v_fma_f32 v3, v7, v3, -v4
	v_mul_f32_e32 v119, v19, v12
	v_mul_f32_e32 v4, v20, v12
	s_delay_alu instid0(VALU_DEP_4)
	v_dual_fmac_f32 v118, v18, v9 :: v_dual_add_f32 v21, v21, v156
	s_wait_loadcnt_dscnt 0x0
	v_dual_mul_f32 v122, v24, v14 :: v_dual_add_f32 v115, v115, v151
	v_fmac_f32_e32 v119, v20, v11
	v_fma_f32 v4, v19, v11, -v4
	v_add_f32_e32 v21, v21, v113
	s_delay_alu instid0(VALU_DEP_4) | instskip(SKIP_2) | instid1(VALU_DEP_4)
	v_fmac_f32_e32 v122, v25, v13
	v_add_f32_e32 v115, v115, v153
	v_mul_f32_e32 v113, v26, v16
	v_add_f32_e32 v1, v21, v114
	s_delay_alu instid0(VALU_DEP_3) | instskip(NEXT) | instid1(VALU_DEP_3)
	v_add_f32_e32 v115, v115, v155
	v_fmac_f32_e32 v113, v27, v15
	s_delay_alu instid0(VALU_DEP_3) | instskip(NEXT) | instid1(VALU_DEP_1)
	v_add_f32_e32 v1, v1, v2
	v_dual_add_f32 v22, v115, v22 :: v_dual_add_f32 v1, v1, v3
	v_mul_f32_e32 v3, v25, v14
	s_delay_alu instid0(VALU_DEP_2) | instskip(NEXT) | instid1(VALU_DEP_2)
	v_add_f32_e32 v5, v22, v112
	v_fma_f32 v3, v24, v13, -v3
	s_delay_alu instid0(VALU_DEP_2) | instskip(SKIP_1) | instid1(VALU_DEP_2)
	v_add_f32_e32 v2, v5, v116
	v_fma_f32 v5, v17, v9, -v6
	v_add_f32_e32 v2, v2, v117
	s_delay_alu instid0(VALU_DEP_2) | instskip(NEXT) | instid1(VALU_DEP_2)
	v_add_f32_e32 v1, v1, v5
	v_dual_mul_f32 v5, v27, v16 :: v_dual_add_f32 v2, v2, v118
	s_delay_alu instid0(VALU_DEP_2) | instskip(NEXT) | instid1(VALU_DEP_2)
	v_add_f32_e32 v1, v1, v4
	v_fma_f32 v4, v26, v15, -v5
	s_delay_alu instid0(VALU_DEP_3) | instskip(NEXT) | instid1(VALU_DEP_1)
	v_add_f32_e32 v2, v2, v119
	v_dual_add_f32 v1, v1, v3 :: v_dual_add_f32 v2, v2, v122
	s_delay_alu instid0(VALU_DEP_1) | instskip(NEXT) | instid1(VALU_DEP_1)
	v_dual_add_f32 v1, v1, v4 :: v_dual_add_f32 v2, v2, v113
	v_dual_sub_f32 v1, v120, v1 :: v_dual_sub_f32 v2, v121, v2
	scratch_store_b64 off, v[1:2], off offset:40
	v_cmpx_lt_u32_e32 4, v0
	s_cbranch_execz .LBB41_257
; %bb.256:
	scratch_load_b64 v[1:2], off, off offset:32
	v_mov_b32_e32 v3, 0
	s_delay_alu instid0(VALU_DEP_1)
	v_mov_b32_e32 v4, v3
	scratch_store_b64 off, v[3:4], off offset:32
	s_wait_loadcnt 0x0
	ds_store_b64 v23, v[1:2]
.LBB41_257:
	s_wait_alu 0xfffe
	s_or_b32 exec_lo, exec_lo, s0
	s_wait_storecnt_dscnt 0x0
	s_barrier_signal -1
	s_barrier_wait -1
	global_inv scope:SCOPE_SE
	s_clause 0x4
	scratch_load_b128 v[5:8], off, off offset:40
	scratch_load_b128 v[1:4], off, off offset:56
	;; [unrolled: 1-line block ×5, first 2 shown]
	v_mov_b32_e32 v21, 0
	ds_load_2addr_b64 v[24:27], v21 offset0:47 offset1:48
	ds_load_2addr_b64 v[112:115], v21 offset0:49 offset1:50
	;; [unrolled: 1-line block ×3, first 2 shown]
	scratch_load_b64 v[120:121], off, off offset:32
	s_mov_b32 s0, exec_lo
	s_wait_loadcnt_dscnt 0x502
	v_mul_f32_e32 v22, v25, v6
	v_dual_mul_f32 v122, v24, v6 :: v_dual_mul_f32 v123, v26, v8
	v_mul_f32_e32 v6, v27, v8
	s_delay_alu instid0(VALU_DEP_3) | instskip(NEXT) | instid1(VALU_DEP_3)
	v_fma_f32 v22, v24, v5, -v22
	v_dual_fmac_f32 v122, v25, v5 :: v_dual_fmac_f32 v123, v27, v7
	s_wait_loadcnt_dscnt 0x401
	v_mul_f32_e32 v25, v112, v2
	v_fma_f32 v24, v26, v7, -v6
	ds_load_2addr_b64 v[5:8], v21 offset0:53 offset1:54
	s_wait_loadcnt_dscnt 0x301
	v_dual_mul_f32 v26, v114, v4 :: v_dual_mul_f32 v27, v116, v10
	v_dual_mul_f32 v4, v115, v4 :: v_dual_fmac_f32 v25, v113, v1
	v_mul_f32_e32 v10, v117, v10
	s_delay_alu instid0(VALU_DEP_3)
	v_dual_mul_f32 v124, v118, v12 :: v_dual_fmac_f32 v27, v117, v9
	v_mul_f32_e32 v12, v119, v12
	v_mul_f32_e32 v2, v113, v2
	v_fmac_f32_e32 v26, v115, v3
	v_fma_f32 v113, v114, v3, -v4
	v_fma_f32 v114, v116, v9, -v10
	v_fmac_f32_e32 v124, v119, v11
	v_fma_f32 v115, v118, v11, -v12
	ds_load_2addr_b64 v[9:12], v21 offset0:55 offset1:56
	s_wait_loadcnt_dscnt 0x201
	v_mul_f32_e32 v117, v7, v16
	v_fma_f32 v112, v112, v1, -v2
	scratch_load_b128 v[1:4], off, off offset:120
	v_mul_f32_e32 v116, v5, v14
	v_mul_f32_e32 v14, v6, v14
	;; [unrolled: 1-line block ×3, first 2 shown]
	s_delay_alu instid0(VALU_DEP_3) | instskip(NEXT) | instid1(VALU_DEP_3)
	v_dual_fmac_f32 v117, v8, v15 :: v_dual_fmac_f32 v116, v6, v13
	v_fma_f32 v13, v5, v13, -v14
	s_delay_alu instid0(VALU_DEP_3)
	v_fma_f32 v14, v7, v15, -v16
	ds_load_2addr_b64 v[5:8], v21 offset0:57 offset1:58
	s_wait_loadcnt_dscnt 0x201
	v_mul_f32_e32 v15, v9, v18
	v_mul_f32_e32 v16, v10, v18
	;; [unrolled: 1-line block ×3, first 2 shown]
	s_delay_alu instid0(VALU_DEP_3) | instskip(NEXT) | instid1(VALU_DEP_3)
	v_dual_mul_f32 v20, v12, v20 :: v_dual_fmac_f32 v15, v10, v17
	v_fma_f32 v16, v9, v17, -v16
	s_delay_alu instid0(VALU_DEP_3) | instskip(NEXT) | instid1(VALU_DEP_3)
	v_fmac_f32_e32 v18, v12, v19
	v_fma_f32 v17, v11, v19, -v20
	scratch_load_b128 v[9:12], off, off offset:136
	s_wait_loadcnt_dscnt 0x100
	v_mul_f32_e32 v19, v5, v2
	v_mul_f32_e32 v2, v6, v2
	;; [unrolled: 1-line block ×3, first 2 shown]
	s_delay_alu instid0(VALU_DEP_3) | instskip(NEXT) | instid1(VALU_DEP_3)
	v_dual_mul_f32 v4, v8, v4 :: v_dual_fmac_f32 v19, v6, v1
	v_fma_f32 v118, v5, v1, -v2
	s_delay_alu instid0(VALU_DEP_3) | instskip(NEXT) | instid1(VALU_DEP_3)
	v_fmac_f32_e32 v20, v8, v3
	v_fma_f32 v119, v7, v3, -v4
	ds_load_2addr_b64 v[1:4], v21 offset0:59 offset1:60
	ds_load_2addr_b64 v[5:8], v21 offset0:61 offset1:62
	s_wait_loadcnt_dscnt 0x1
	v_mul_f32_e32 v125, v1, v10
	v_mul_f32_e32 v10, v2, v10
	s_delay_alu instid0(VALU_DEP_2) | instskip(NEXT) | instid1(VALU_DEP_2)
	v_dual_mul_f32 v126, v3, v12 :: v_dual_fmac_f32 v125, v2, v9
	v_fma_f32 v127, v1, v9, -v10
	v_mul_f32_e32 v1, v4, v12
	s_delay_alu instid0(VALU_DEP_3) | instskip(NEXT) | instid1(VALU_DEP_2)
	v_fmac_f32_e32 v126, v4, v11
	v_fma_f32 v128, v3, v11, -v1
	s_clause 0x1
	scratch_load_b128 v[1:4], off, off offset:152
	scratch_load_b128 v[9:12], off, off offset:168
	s_wait_loadcnt_dscnt 0x100
	v_mul_f32_e32 v129, v5, v2
	v_dual_mul_f32 v2, v6, v2 :: v_dual_mul_f32 v131, v7, v4
	s_delay_alu instid0(VALU_DEP_2) | instskip(NEXT) | instid1(VALU_DEP_2)
	v_fmac_f32_e32 v129, v6, v1
	v_fma_f32 v130, v5, v1, -v2
	v_mul_f32_e32 v1, v8, v4
	s_delay_alu instid0(VALU_DEP_4) | instskip(NEXT) | instid1(VALU_DEP_2)
	v_fmac_f32_e32 v131, v8, v3
	v_fma_f32 v132, v7, v3, -v1
	ds_load_2addr_b64 v[1:4], v21 offset0:63 offset1:64
	ds_load_2addr_b64 v[5:8], v21 offset0:65 offset1:66
	s_wait_loadcnt_dscnt 0x1
	v_mul_f32_e32 v133, v1, v10
	v_mul_f32_e32 v135, v3, v12
	s_delay_alu instid0(VALU_DEP_2) | instskip(NEXT) | instid1(VALU_DEP_2)
	v_fmac_f32_e32 v133, v2, v9
	v_dual_mul_f32 v2, v2, v10 :: v_dual_fmac_f32 v135, v4, v11
	s_delay_alu instid0(VALU_DEP_1) | instskip(SKIP_1) | instid1(VALU_DEP_1)
	v_fma_f32 v134, v1, v9, -v2
	v_mul_f32_e32 v1, v4, v12
	v_fma_f32 v136, v3, v11, -v1
	s_clause 0x1
	scratch_load_b128 v[1:4], off, off offset:184
	scratch_load_b128 v[9:12], off, off offset:200
	s_wait_loadcnt_dscnt 0x100
	v_mul_f32_e32 v137, v5, v2
	v_dual_mul_f32 v139, v7, v4 :: v_dual_mul_f32 v2, v6, v2
	s_delay_alu instid0(VALU_DEP_2) | instskip(NEXT) | instid1(VALU_DEP_2)
	v_fmac_f32_e32 v137, v6, v1
	v_fmac_f32_e32 v139, v8, v3
	s_delay_alu instid0(VALU_DEP_3) | instskip(SKIP_1) | instid1(VALU_DEP_1)
	v_fma_f32 v138, v5, v1, -v2
	v_mul_f32_e32 v1, v8, v4
	v_fma_f32 v140, v7, v3, -v1
	ds_load_2addr_b64 v[1:4], v21 offset0:67 offset1:68
	ds_load_2addr_b64 v[5:8], v21 offset0:69 offset1:70
	s_wait_loadcnt_dscnt 0x1
	v_mul_f32_e32 v141, v1, v10
	v_mul_f32_e32 v143, v3, v12
	s_delay_alu instid0(VALU_DEP_2) | instskip(NEXT) | instid1(VALU_DEP_2)
	v_fmac_f32_e32 v141, v2, v9
	v_dual_mul_f32 v2, v2, v10 :: v_dual_fmac_f32 v143, v4, v11
	s_delay_alu instid0(VALU_DEP_1) | instskip(SKIP_1) | instid1(VALU_DEP_1)
	v_fma_f32 v142, v1, v9, -v2
	v_mul_f32_e32 v1, v4, v12
	v_fma_f32 v144, v3, v11, -v1
	s_clause 0x1
	scratch_load_b128 v[1:4], off, off offset:216
	scratch_load_b128 v[9:12], off, off offset:232
	s_wait_loadcnt_dscnt 0x100
	v_mul_f32_e32 v145, v5, v2
	v_dual_mul_f32 v2, v6, v2 :: v_dual_mul_f32 v147, v7, v4
	s_delay_alu instid0(VALU_DEP_2) | instskip(NEXT) | instid1(VALU_DEP_2)
	v_fmac_f32_e32 v145, v6, v1
	v_fma_f32 v146, v5, v1, -v2
	v_mul_f32_e32 v1, v8, v4
	s_delay_alu instid0(VALU_DEP_4) | instskip(NEXT) | instid1(VALU_DEP_2)
	v_fmac_f32_e32 v147, v8, v3
	v_fma_f32 v148, v7, v3, -v1
	ds_load_2addr_b64 v[1:4], v21 offset0:71 offset1:72
	ds_load_2addr_b64 v[5:8], v21 offset0:73 offset1:74
	s_wait_loadcnt_dscnt 0x1
	v_mul_f32_e32 v149, v1, v10
	v_mul_f32_e32 v151, v3, v12
	s_delay_alu instid0(VALU_DEP_2) | instskip(NEXT) | instid1(VALU_DEP_2)
	v_fmac_f32_e32 v149, v2, v9
	v_dual_mul_f32 v2, v2, v10 :: v_dual_fmac_f32 v151, v4, v11
	s_delay_alu instid0(VALU_DEP_1) | instskip(SKIP_1) | instid1(VALU_DEP_1)
	v_fma_f32 v150, v1, v9, -v2
	v_mul_f32_e32 v1, v4, v12
	v_fma_f32 v152, v3, v11, -v1
	s_clause 0x1
	scratch_load_b128 v[1:4], off, off offset:248
	scratch_load_b128 v[9:12], off, off offset:264
	s_wait_loadcnt_dscnt 0x100
	v_mul_f32_e32 v153, v5, v2
	v_mul_f32_e32 v2, v6, v2
	s_delay_alu instid0(VALU_DEP_1) | instskip(SKIP_1) | instid1(VALU_DEP_1)
	v_fma_f32 v154, v5, v1, -v2
	v_add_f32_e32 v2, 0, v122
	v_add_f32_e32 v2, v2, v123
	s_delay_alu instid0(VALU_DEP_1) | instskip(NEXT) | instid1(VALU_DEP_1)
	v_add_f32_e32 v2, v2, v25
	v_add_f32_e32 v2, v2, v26
	s_delay_alu instid0(VALU_DEP_1) | instskip(NEXT) | instid1(VALU_DEP_1)
	;; [unrolled: 3-line block ×4, first 2 shown]
	v_add_f32_e32 v2, v2, v15
	v_add_f32_e32 v2, v2, v18
	s_delay_alu instid0(VALU_DEP_1) | instskip(SKIP_2) | instid1(VALU_DEP_3)
	v_add_f32_e32 v2, v2, v19
	v_fmac_f32_e32 v153, v6, v1
	v_mul_f32_e32 v1, v8, v4
	v_add_f32_e32 v2, v2, v20
	s_delay_alu instid0(VALU_DEP_2) | instskip(SKIP_1) | instid1(VALU_DEP_1)
	v_fma_f32 v156, v7, v3, -v1
	v_add_f32_e32 v1, 0, v22
	v_add_f32_e32 v1, v1, v24
	s_delay_alu instid0(VALU_DEP_1) | instskip(NEXT) | instid1(VALU_DEP_1)
	v_add_f32_e32 v1, v1, v112
	v_add_f32_e32 v1, v1, v113
	scratch_load_b64 v[112:113], off, off offset:328
	v_add_f32_e32 v1, v1, v114
	s_delay_alu instid0(VALU_DEP_1) | instskip(NEXT) | instid1(VALU_DEP_1)
	v_add_f32_e32 v1, v1, v115
	v_add_f32_e32 v1, v1, v13
	s_delay_alu instid0(VALU_DEP_1) | instskip(NEXT) | instid1(VALU_DEP_1)
	v_add_f32_e32 v1, v1, v14
	v_add_f32_e32 v1, v1, v16
	s_delay_alu instid0(VALU_DEP_1) | instskip(NEXT) | instid1(VALU_DEP_1)
	v_add_f32_e32 v1, v1, v17
	v_add_f32_e32 v1, v1, v118
	s_delay_alu instid0(VALU_DEP_1) | instskip(NEXT) | instid1(VALU_DEP_1)
	v_add_f32_e32 v1, v1, v119
	v_add_f32_e32 v1, v1, v127
	s_delay_alu instid0(VALU_DEP_1) | instskip(NEXT) | instid1(VALU_DEP_1)
	v_add_f32_e32 v6, v1, v128
	v_dual_mul_f32 v155, v7, v4 :: v_dual_add_f32 v6, v6, v130
	s_delay_alu instid0(VALU_DEP_1) | instskip(NEXT) | instid1(VALU_DEP_2)
	v_fmac_f32_e32 v155, v8, v3
	v_add_f32_e32 v13, v6, v132
	s_delay_alu instid0(VALU_DEP_1) | instskip(NEXT) | instid1(VALU_DEP_1)
	v_add_f32_e32 v13, v13, v134
	v_add_f32_e32 v13, v13, v136
	s_delay_alu instid0(VALU_DEP_1) | instskip(SKIP_4) | instid1(VALU_DEP_1)
	v_add_f32_e32 v13, v13, v138
	v_add_f32_e32 v5, v2, v125
	ds_load_2addr_b64 v[1:4], v21 offset0:75 offset1:76
	v_add_f32_e32 v18, v13, v140
	v_add_f32_e32 v5, v5, v126
	v_dual_add_f32 v18, v18, v142 :: v_dual_add_f32 v5, v5, v129
	s_delay_alu instid0(VALU_DEP_1) | instskip(NEXT) | instid1(VALU_DEP_2)
	v_add_f32_e32 v18, v18, v144
	v_add_f32_e32 v14, v5, v131
	ds_load_2addr_b64 v[5:8], v21 offset0:77 offset1:78
	v_add_f32_e32 v18, v18, v146
	v_add_f32_e32 v14, v14, v133
	s_wait_loadcnt_dscnt 0x101
	v_mul_f32_e32 v22, v1, v10
	v_mul_f32_e32 v10, v2, v10
	;; [unrolled: 1-line block ×4, first 2 shown]
	v_add_f32_e32 v14, v14, v135
	v_fmac_f32_e32 v22, v2, v9
	v_fma_f32 v117, v1, v9, -v10
	v_fmac_f32_e32 v116, v4, v11
	v_fma_f32 v118, v3, v11, -v12
	s_clause 0x1
	scratch_load_b128 v[1:4], off, off offset:280
	scratch_load_b128 v[9:12], off, off offset:296
	v_add_f32_e32 v17, v14, v137
	scratch_load_b128 v[13:16], off, off offset:312
	v_dual_add_f32 v18, v18, v148 :: v_dual_add_f32 v17, v17, v139
	s_delay_alu instid0(VALU_DEP_1) | instskip(NEXT) | instid1(VALU_DEP_1)
	v_dual_add_f32 v114, v18, v150 :: v_dual_add_f32 v17, v17, v141
	v_add_f32_e32 v119, v114, v152
	s_wait_loadcnt_dscnt 0x200
	s_delay_alu instid0(VALU_DEP_2) | instskip(NEXT) | instid1(VALU_DEP_1)
	v_dual_add_f32 v17, v17, v143 :: v_dual_mul_f32 v124, v7, v4
	v_dual_add_f32 v17, v17, v145 :: v_dual_mul_f32 v4, v8, v4
	s_delay_alu instid0(VALU_DEP_2) | instskip(NEXT) | instid1(VALU_DEP_2)
	v_dual_fmac_f32 v124, v8, v3 :: v_dual_mul_f32 v123, v5, v2
	v_add_f32_e32 v24, v17, v147
	ds_load_2addr_b64 v[17:20], v21 offset0:79 offset1:80
	v_mul_f32_e32 v2, v6, v2
	v_fmac_f32_e32 v123, v6, v1
	v_add_f32_e32 v119, v119, v154
	s_delay_alu instid0(VALU_DEP_3) | instskip(SKIP_1) | instid1(VALU_DEP_3)
	v_fma_f32 v2, v5, v1, -v2
	v_fma_f32 v1, v7, v3, -v4
	v_add_f32_e32 v119, v119, v156
	s_delay_alu instid0(VALU_DEP_1) | instskip(NEXT) | instid1(VALU_DEP_1)
	v_add_f32_e32 v117, v119, v117
	v_add_f32_e32 v117, v117, v118
	;; [unrolled: 1-line block ×3, first 2 shown]
	ds_load_2addr_b64 v[24:27], v21 offset0:81 offset1:82
	s_wait_loadcnt_dscnt 0x101
	v_mul_f32_e32 v3, v18, v10
	v_add_f32_e32 v2, v117, v2
	v_add_f32_e32 v122, v115, v151
	ds_load_b64 v[114:115], v21 offset:664
	v_fma_f32 v3, v17, v9, -v3
	v_add_f32_e32 v1, v2, v1
	v_add_f32_e32 v122, v122, v153
	s_delay_alu instid0(VALU_DEP_1) | instskip(NEXT) | instid1(VALU_DEP_1)
	v_add_f32_e32 v122, v122, v155
	v_add_f32_e32 v22, v122, v22
	s_wait_loadcnt_dscnt 0x1
	v_dual_mul_f32 v118, v26, v16 :: v_dual_mul_f32 v119, v17, v10
	v_mul_f32_e32 v122, v19, v12
	s_delay_alu instid0(VALU_DEP_3) | instskip(NEXT) | instid1(VALU_DEP_3)
	v_add_f32_e32 v22, v22, v116
	v_dual_fmac_f32 v118, v27, v15 :: v_dual_fmac_f32 v119, v18, v9
	s_wait_dscnt 0x0
	v_dual_mul_f32 v116, v114, v113 :: v_dual_mul_f32 v125, v24, v14
	s_delay_alu instid0(VALU_DEP_3) | instskip(SKIP_1) | instid1(VALU_DEP_3)
	v_add_f32_e32 v4, v22, v123
	v_fmac_f32_e32 v122, v20, v11
	v_dual_fmac_f32 v116, v115, v112 :: v_dual_fmac_f32 v125, v25, v13
	s_delay_alu instid0(VALU_DEP_3) | instskip(SKIP_1) | instid1(VALU_DEP_2)
	v_add_f32_e32 v2, v4, v124
	v_mul_f32_e32 v4, v25, v14
	v_dual_add_f32 v2, v2, v119 :: v_dual_mul_f32 v5, v20, v12
	s_delay_alu instid0(VALU_DEP_2) | instskip(NEXT) | instid1(VALU_DEP_2)
	v_fma_f32 v4, v24, v13, -v4
	v_add_f32_e32 v2, v2, v122
	s_delay_alu instid0(VALU_DEP_3) | instskip(NEXT) | instid1(VALU_DEP_2)
	v_fma_f32 v5, v19, v11, -v5
	v_dual_add_f32 v2, v2, v125 :: v_dual_add_f32 v1, v1, v3
	s_delay_alu instid0(VALU_DEP_1) | instskip(NEXT) | instid1(VALU_DEP_2)
	v_dual_mul_f32 v3, v27, v16 :: v_dual_add_f32 v2, v2, v118
	v_add_f32_e32 v1, v1, v5
	v_mul_f32_e32 v5, v115, v113
	s_delay_alu instid0(VALU_DEP_3) | instskip(NEXT) | instid1(VALU_DEP_4)
	v_fma_f32 v3, v26, v15, -v3
	v_add_f32_e32 v2, v2, v116
	s_delay_alu instid0(VALU_DEP_4) | instskip(NEXT) | instid1(VALU_DEP_4)
	v_add_f32_e32 v1, v1, v4
	v_fma_f32 v4, v114, v112, -v5
	s_delay_alu instid0(VALU_DEP_3) | instskip(NEXT) | instid1(VALU_DEP_3)
	v_sub_f32_e32 v2, v121, v2
	v_add_f32_e32 v1, v1, v3
	s_delay_alu instid0(VALU_DEP_1) | instskip(NEXT) | instid1(VALU_DEP_1)
	v_add_f32_e32 v1, v1, v4
	v_sub_f32_e32 v1, v120, v1
	scratch_store_b64 off, v[1:2], off offset:32
	v_cmpx_lt_u32_e32 3, v0
	s_cbranch_execz .LBB41_259
; %bb.258:
	scratch_load_b64 v[1:2], off, off offset:24
	v_mov_b32_e32 v22, v21
	scratch_store_b64 off, v[21:22], off offset:24
	s_wait_loadcnt 0x0
	ds_store_b64 v23, v[1:2]
.LBB41_259:
	s_wait_alu 0xfffe
	s_or_b32 exec_lo, exec_lo, s0
	s_wait_storecnt_dscnt 0x0
	s_barrier_signal -1
	s_barrier_wait -1
	global_inv scope:SCOPE_SE
	s_clause 0x4
	scratch_load_b128 v[5:8], off, off offset:32
	scratch_load_b128 v[1:4], off, off offset:48
	;; [unrolled: 1-line block ×5, first 2 shown]
	ds_load_b128 v[24:27], v21 offset:368
	ds_load_b128 v[112:115], v21 offset:384
	;; [unrolled: 1-line block ×3, first 2 shown]
	scratch_load_b64 v[120:121], off, off offset:24
	s_mov_b32 s0, exec_lo
	s_wait_loadcnt_dscnt 0x502
	v_dual_mul_f32 v22, v25, v6 :: v_dual_mul_f32 v123, v26, v8
	v_mul_f32_e32 v122, v24, v6
	v_mul_f32_e32 v6, v27, v8
	s_wait_loadcnt_dscnt 0x300
	v_mul_f32_e32 v124, v118, v12
	v_fma_f32 v22, v24, v5, -v22
	v_dual_fmac_f32 v123, v27, v7 :: v_dual_fmac_f32 v122, v25, v5
	v_mul_f32_e32 v27, v116, v10
	v_mul_f32_e32 v25, v112, v2
	v_fma_f32 v24, v26, v7, -v6
	ds_load_b128 v[5:8], v21 offset:416
	v_mul_f32_e32 v26, v114, v4
	v_dual_mul_f32 v4, v115, v4 :: v_dual_fmac_f32 v27, v117, v9
	v_mul_f32_e32 v10, v117, v10
	v_mul_f32_e32 v12, v119, v12
	;; [unrolled: 1-line block ×3, first 2 shown]
	v_dual_fmac_f32 v25, v113, v1 :: v_dual_fmac_f32 v26, v115, v3
	v_fma_f32 v113, v114, v3, -v4
	v_fma_f32 v114, v116, v9, -v10
	v_fmac_f32_e32 v124, v119, v11
	v_fma_f32 v115, v118, v11, -v12
	ds_load_b128 v[9:12], v21 offset:432
	s_wait_loadcnt_dscnt 0x201
	v_mul_f32_e32 v117, v7, v16
	v_fma_f32 v112, v112, v1, -v2
	scratch_load_b128 v[1:4], off, off offset:112
	v_mul_f32_e32 v116, v5, v14
	v_mul_f32_e32 v14, v6, v14
	;; [unrolled: 1-line block ×3, first 2 shown]
	s_delay_alu instid0(VALU_DEP_3) | instskip(NEXT) | instid1(VALU_DEP_3)
	v_dual_fmac_f32 v117, v8, v15 :: v_dual_fmac_f32 v116, v6, v13
	v_fma_f32 v13, v5, v13, -v14
	s_delay_alu instid0(VALU_DEP_3)
	v_fma_f32 v14, v7, v15, -v16
	ds_load_b128 v[5:8], v21 offset:448
	s_wait_loadcnt_dscnt 0x201
	v_mul_f32_e32 v15, v9, v18
	v_mul_f32_e32 v16, v10, v18
	;; [unrolled: 1-line block ×3, first 2 shown]
	s_delay_alu instid0(VALU_DEP_3) | instskip(NEXT) | instid1(VALU_DEP_3)
	v_dual_mul_f32 v20, v12, v20 :: v_dual_fmac_f32 v15, v10, v17
	v_fma_f32 v16, v9, v17, -v16
	s_delay_alu instid0(VALU_DEP_3) | instskip(NEXT) | instid1(VALU_DEP_3)
	v_fmac_f32_e32 v18, v12, v19
	v_fma_f32 v17, v11, v19, -v20
	scratch_load_b128 v[9:12], off, off offset:128
	s_wait_loadcnt_dscnt 0x100
	v_mul_f32_e32 v19, v5, v2
	v_mul_f32_e32 v2, v6, v2
	;; [unrolled: 1-line block ×3, first 2 shown]
	s_delay_alu instid0(VALU_DEP_3) | instskip(NEXT) | instid1(VALU_DEP_3)
	v_dual_mul_f32 v4, v8, v4 :: v_dual_fmac_f32 v19, v6, v1
	v_fma_f32 v118, v5, v1, -v2
	s_delay_alu instid0(VALU_DEP_3) | instskip(NEXT) | instid1(VALU_DEP_3)
	v_fmac_f32_e32 v20, v8, v3
	v_fma_f32 v119, v7, v3, -v4
	ds_load_b128 v[1:4], v21 offset:464
	ds_load_b128 v[5:8], v21 offset:480
	s_wait_loadcnt_dscnt 0x1
	v_mul_f32_e32 v125, v1, v10
	v_mul_f32_e32 v10, v2, v10
	s_delay_alu instid0(VALU_DEP_2) | instskip(NEXT) | instid1(VALU_DEP_2)
	v_dual_mul_f32 v126, v3, v12 :: v_dual_fmac_f32 v125, v2, v9
	v_fma_f32 v127, v1, v9, -v10
	v_mul_f32_e32 v1, v4, v12
	s_delay_alu instid0(VALU_DEP_3) | instskip(NEXT) | instid1(VALU_DEP_2)
	v_fmac_f32_e32 v126, v4, v11
	v_fma_f32 v128, v3, v11, -v1
	s_clause 0x1
	scratch_load_b128 v[1:4], off, off offset:144
	scratch_load_b128 v[9:12], off, off offset:160
	s_wait_loadcnt_dscnt 0x100
	v_mul_f32_e32 v129, v5, v2
	v_dual_mul_f32 v2, v6, v2 :: v_dual_mul_f32 v131, v7, v4
	s_delay_alu instid0(VALU_DEP_2) | instskip(NEXT) | instid1(VALU_DEP_2)
	v_fmac_f32_e32 v129, v6, v1
	v_fma_f32 v130, v5, v1, -v2
	v_mul_f32_e32 v1, v8, v4
	s_delay_alu instid0(VALU_DEP_4) | instskip(NEXT) | instid1(VALU_DEP_2)
	v_fmac_f32_e32 v131, v8, v3
	v_fma_f32 v132, v7, v3, -v1
	ds_load_b128 v[1:4], v21 offset:496
	ds_load_b128 v[5:8], v21 offset:512
	s_wait_loadcnt_dscnt 0x1
	v_mul_f32_e32 v133, v1, v10
	v_mul_f32_e32 v135, v3, v12
	s_delay_alu instid0(VALU_DEP_2) | instskip(NEXT) | instid1(VALU_DEP_2)
	v_fmac_f32_e32 v133, v2, v9
	v_dual_mul_f32 v2, v2, v10 :: v_dual_fmac_f32 v135, v4, v11
	s_delay_alu instid0(VALU_DEP_1) | instskip(SKIP_1) | instid1(VALU_DEP_1)
	v_fma_f32 v134, v1, v9, -v2
	v_mul_f32_e32 v1, v4, v12
	v_fma_f32 v136, v3, v11, -v1
	s_clause 0x1
	scratch_load_b128 v[1:4], off, off offset:176
	scratch_load_b128 v[9:12], off, off offset:192
	s_wait_loadcnt_dscnt 0x100
	v_mul_f32_e32 v137, v5, v2
	v_dual_mul_f32 v2, v6, v2 :: v_dual_mul_f32 v139, v7, v4
	s_delay_alu instid0(VALU_DEP_2) | instskip(NEXT) | instid1(VALU_DEP_2)
	v_fmac_f32_e32 v137, v6, v1
	v_fma_f32 v138, v5, v1, -v2
	v_mul_f32_e32 v1, v8, v4
	s_delay_alu instid0(VALU_DEP_4) | instskip(NEXT) | instid1(VALU_DEP_2)
	v_fmac_f32_e32 v139, v8, v3
	v_fma_f32 v140, v7, v3, -v1
	ds_load_b128 v[1:4], v21 offset:528
	ds_load_b128 v[5:8], v21 offset:544
	s_wait_loadcnt_dscnt 0x1
	v_mul_f32_e32 v141, v1, v10
	v_mul_f32_e32 v143, v3, v12
	s_delay_alu instid0(VALU_DEP_2) | instskip(NEXT) | instid1(VALU_DEP_2)
	v_fmac_f32_e32 v141, v2, v9
	v_dual_mul_f32 v2, v2, v10 :: v_dual_fmac_f32 v143, v4, v11
	s_delay_alu instid0(VALU_DEP_1) | instskip(SKIP_1) | instid1(VALU_DEP_1)
	v_fma_f32 v142, v1, v9, -v2
	v_mul_f32_e32 v1, v4, v12
	;; [unrolled: 25-line block ×3, first 2 shown]
	v_fma_f32 v152, v3, v11, -v1
	s_clause 0x1
	scratch_load_b128 v[1:4], off, off offset:240
	scratch_load_b128 v[9:12], off, off offset:256
	s_wait_loadcnt_dscnt 0x100
	v_mul_f32_e32 v153, v5, v2
	v_mul_f32_e32 v2, v6, v2
	s_delay_alu instid0(VALU_DEP_1) | instskip(SKIP_1) | instid1(VALU_DEP_1)
	v_fma_f32 v154, v5, v1, -v2
	v_add_f32_e32 v2, 0, v122
	v_add_f32_e32 v2, v2, v123
	s_delay_alu instid0(VALU_DEP_1) | instskip(NEXT) | instid1(VALU_DEP_1)
	v_add_f32_e32 v2, v2, v25
	v_add_f32_e32 v2, v2, v26
	s_delay_alu instid0(VALU_DEP_1) | instskip(NEXT) | instid1(VALU_DEP_1)
	;; [unrolled: 3-line block ×4, first 2 shown]
	v_dual_add_f32 v2, v2, v15 :: v_dual_mul_f32 v155, v7, v4
	v_add_f32_e32 v2, v2, v18
	s_delay_alu instid0(VALU_DEP_1) | instskip(SKIP_1) | instid1(VALU_DEP_2)
	v_add_f32_e32 v2, v2, v19
	v_fmac_f32_e32 v153, v6, v1
	v_dual_fmac_f32 v155, v8, v3 :: v_dual_add_f32 v2, v2, v20
	s_delay_alu instid0(VALU_DEP_1) | instskip(NEXT) | instid1(VALU_DEP_1)
	v_dual_mul_f32 v1, v8, v4 :: v_dual_add_f32 v2, v2, v125
	v_fma_f32 v156, v7, v3, -v1
	v_add_f32_e32 v1, 0, v22
	s_delay_alu instid0(VALU_DEP_3) | instskip(NEXT) | instid1(VALU_DEP_2)
	v_add_f32_e32 v5, v2, v126
	v_add_f32_e32 v1, v1, v24
	s_delay_alu instid0(VALU_DEP_1) | instskip(NEXT) | instid1(VALU_DEP_1)
	v_add_f32_e32 v1, v1, v112
	v_add_f32_e32 v1, v1, v113
	s_delay_alu instid0(VALU_DEP_1) | instskip(NEXT) | instid1(VALU_DEP_1)
	v_add_f32_e32 v1, v1, v114
	v_add_f32_e32 v1, v1, v115
	s_delay_alu instid0(VALU_DEP_1) | instskip(SKIP_1) | instid1(VALU_DEP_2)
	v_add_f32_e32 v1, v1, v13
	v_add_f32_e32 v13, v5, v129
	;; [unrolled: 1-line block ×3, first 2 shown]
	s_delay_alu instid0(VALU_DEP_2) | instskip(NEXT) | instid1(VALU_DEP_1)
	v_add_f32_e32 v13, v13, v131
	v_add_f32_e32 v13, v13, v133
	s_delay_alu instid0(VALU_DEP_1) | instskip(NEXT) | instid1(VALU_DEP_1)
	v_add_f32_e32 v18, v13, v135
	v_dual_add_f32 v18, v18, v137 :: v_dual_add_f32 v1, v1, v16
	s_delay_alu instid0(VALU_DEP_1) | instskip(NEXT) | instid1(VALU_DEP_1)
	v_add_f32_e32 v18, v18, v139
	v_add_f32_e32 v24, v18, v141
	s_delay_alu instid0(VALU_DEP_1) | instskip(NEXT) | instid1(VALU_DEP_1)
	v_dual_add_f32 v1, v1, v17 :: v_dual_add_f32 v24, v24, v143
	v_add_f32_e32 v1, v1, v118
	s_delay_alu instid0(VALU_DEP_1) | instskip(NEXT) | instid1(VALU_DEP_1)
	v_add_f32_e32 v1, v1, v119
	v_add_f32_e32 v1, v1, v127
	s_delay_alu instid0(VALU_DEP_1) | instskip(NEXT) | instid1(VALU_DEP_1)
	v_add_f32_e32 v1, v1, v128
	v_add_f32_e32 v6, v1, v130
	ds_load_b128 v[1:4], v21 offset:592
	v_add_f32_e32 v24, v24, v145
	v_add_f32_e32 v14, v6, v132
	scratch_load_b128 v[5:8], off, off offset:272
	v_add_f32_e32 v14, v14, v134
	s_delay_alu instid0(VALU_DEP_1)
	v_add_f32_e32 v17, v14, v136
	ds_load_b128 v[13:16], v21 offset:608
	s_wait_loadcnt_dscnt 0x101
	v_mul_f32_e32 v22, v1, v10
	v_mul_f32_e32 v10, v2, v10
	v_mul_f32_e32 v112, v3, v12
	v_mul_f32_e32 v12, v4, v12
	s_delay_alu instid0(VALU_DEP_4) | instskip(NEXT) | instid1(VALU_DEP_4)
	v_fmac_f32_e32 v22, v2, v9
	v_fma_f32 v113, v1, v9, -v10
	s_delay_alu instid0(VALU_DEP_4) | instskip(NEXT) | instid1(VALU_DEP_4)
	v_fmac_f32_e32 v112, v4, v11
	v_fma_f32 v114, v3, v11, -v12
	s_clause 0x1
	scratch_load_b128 v[1:4], off, off offset:288
	scratch_load_b128 v[9:12], off, off offset:304
	s_wait_loadcnt_dscnt 0x200
	v_mul_f32_e32 v115, v13, v6
	v_mul_f32_e32 v6, v14, v6
	;; [unrolled: 1-line block ×3, first 2 shown]
	s_delay_alu instid0(VALU_DEP_3) | instskip(NEXT) | instid1(VALU_DEP_3)
	v_dual_mul_f32 v8, v16, v8 :: v_dual_fmac_f32 v115, v14, v5
	v_fma_f32 v117, v13, v5, -v6
	s_delay_alu instid0(VALU_DEP_3) | instskip(NEXT) | instid1(VALU_DEP_3)
	v_fmac_f32_e32 v116, v16, v7
	v_fma_f32 v118, v15, v7, -v8
	ds_load_b128 v[5:8], v21 offset:624
	v_add_f32_e32 v17, v17, v138
	v_add_f32_e32 v13, v24, v147
	s_delay_alu instid0(VALU_DEP_2) | instskip(NEXT) | instid1(VALU_DEP_1)
	v_add_f32_e32 v17, v17, v140
	v_add_f32_e32 v17, v17, v142
	s_delay_alu instid0(VALU_DEP_1) | instskip(SKIP_2) | instid1(VALU_DEP_1)
	v_add_f32_e32 v25, v17, v144
	scratch_load_b128 v[17:20], off, off offset:320
	v_add_f32_e32 v25, v25, v146
	v_add_f32_e32 v25, v25, v148
	s_delay_alu instid0(VALU_DEP_1)
	v_add_f32_e32 v24, v25, v150
	v_add_f32_e32 v25, v13, v149
	ds_load_b128 v[13:16], v21 offset:640
	v_dual_add_f32 v119, v24, v152 :: v_dual_add_f32 v122, v25, v151
	ds_load_b128 v[24:27], v21 offset:656
	v_add_f32_e32 v21, v119, v154
	s_delay_alu instid0(VALU_DEP_1) | instskip(SKIP_2) | instid1(VALU_DEP_1)
	v_add_f32_e32 v21, v21, v156
	s_wait_loadcnt_dscnt 0x101
	v_mul_f32_e32 v123, v15, v12
	v_fmac_f32_e32 v123, v16, v11
	s_delay_alu instid0(VALU_DEP_3) | instskip(NEXT) | instid1(VALU_DEP_1)
	v_add_f32_e32 v21, v21, v113
	v_add_f32_e32 v21, v21, v114
	s_wait_loadcnt_dscnt 0x0
	s_delay_alu instid0(VALU_DEP_1) | instskip(SKIP_2) | instid1(VALU_DEP_3)
	v_dual_add_f32 v21, v21, v117 :: v_dual_mul_f32 v114, v26, v20
	v_dual_add_f32 v119, v122, v153 :: v_dual_mul_f32 v122, v5, v2
	v_mul_f32_e32 v2, v6, v2
	v_fmac_f32_e32 v114, v27, v19
	s_delay_alu instid0(VALU_DEP_3)
	v_add_f32_e32 v119, v119, v155
	v_mul_f32_e32 v113, v7, v4
	v_mul_f32_e32 v4, v8, v4
	v_fma_f32 v2, v5, v1, -v2
	v_fmac_f32_e32 v122, v6, v1
	v_add_f32_e32 v22, v119, v22
	v_add_f32_e32 v1, v21, v118
	v_dual_mul_f32 v6, v14, v10 :: v_dual_fmac_f32 v113, v8, v3
	v_fma_f32 v3, v7, v3, -v4
	s_delay_alu instid0(VALU_DEP_4) | instskip(SKIP_2) | instid1(VALU_DEP_3)
	v_add_f32_e32 v22, v22, v112
	v_mul_f32_e32 v112, v24, v18
	v_dual_add_f32 v1, v1, v2 :: v_dual_mul_f32 v4, v16, v12
	v_add_f32_e32 v22, v22, v115
	s_delay_alu instid0(VALU_DEP_3) | instskip(SKIP_1) | instid1(VALU_DEP_4)
	v_fmac_f32_e32 v112, v25, v17
	v_mul_f32_e32 v119, v13, v10
	v_add_f32_e32 v1, v1, v3
	v_mul_f32_e32 v3, v25, v18
	v_add_f32_e32 v5, v22, v116
	v_fma_f32 v4, v15, v11, -v4
	v_fmac_f32_e32 v119, v14, v9
	s_delay_alu instid0(VALU_DEP_4) | instskip(NEXT) | instid1(VALU_DEP_4)
	v_fma_f32 v3, v24, v17, -v3
	v_add_f32_e32 v2, v5, v122
	v_fma_f32 v5, v13, v9, -v6
	s_delay_alu instid0(VALU_DEP_2) | instskip(NEXT) | instid1(VALU_DEP_2)
	v_add_f32_e32 v2, v2, v113
	v_add_f32_e32 v1, v1, v5
	s_delay_alu instid0(VALU_DEP_2) | instskip(NEXT) | instid1(VALU_DEP_2)
	v_dual_mul_f32 v5, v27, v20 :: v_dual_add_f32 v2, v2, v119
	v_add_f32_e32 v1, v1, v4
	s_delay_alu instid0(VALU_DEP_2) | instskip(NEXT) | instid1(VALU_DEP_3)
	v_fma_f32 v4, v26, v19, -v5
	v_add_f32_e32 v2, v2, v123
	s_delay_alu instid0(VALU_DEP_1) | instskip(NEXT) | instid1(VALU_DEP_1)
	v_dual_add_f32 v1, v1, v3 :: v_dual_add_f32 v2, v2, v112
	v_dual_add_f32 v1, v1, v4 :: v_dual_add_f32 v2, v2, v114
	s_delay_alu instid0(VALU_DEP_1)
	v_dual_sub_f32 v1, v120, v1 :: v_dual_sub_f32 v2, v121, v2
	scratch_store_b64 off, v[1:2], off offset:24
	v_cmpx_lt_u32_e32 2, v0
	s_cbranch_execz .LBB41_261
; %bb.260:
	scratch_load_b64 v[1:2], off, off offset:16
	v_mov_b32_e32 v3, 0
	s_delay_alu instid0(VALU_DEP_1)
	v_mov_b32_e32 v4, v3
	scratch_store_b64 off, v[3:4], off offset:16
	s_wait_loadcnt 0x0
	ds_store_b64 v23, v[1:2]
.LBB41_261:
	s_wait_alu 0xfffe
	s_or_b32 exec_lo, exec_lo, s0
	s_wait_storecnt_dscnt 0x0
	s_barrier_signal -1
	s_barrier_wait -1
	global_inv scope:SCOPE_SE
	s_clause 0x4
	scratch_load_b128 v[5:8], off, off offset:24
	scratch_load_b128 v[1:4], off, off offset:40
	;; [unrolled: 1-line block ×5, first 2 shown]
	v_mov_b32_e32 v21, 0
	ds_load_2addr_b64 v[24:27], v21 offset0:45 offset1:46
	ds_load_2addr_b64 v[112:115], v21 offset0:47 offset1:48
	;; [unrolled: 1-line block ×3, first 2 shown]
	scratch_load_b64 v[120:121], off, off offset:16
	s_mov_b32 s0, exec_lo
	s_wait_loadcnt_dscnt 0x502
	v_mul_f32_e32 v22, v25, v6
	v_dual_mul_f32 v122, v24, v6 :: v_dual_mul_f32 v123, v26, v8
	v_mul_f32_e32 v6, v27, v8
	s_delay_alu instid0(VALU_DEP_3) | instskip(NEXT) | instid1(VALU_DEP_3)
	v_fma_f32 v22, v24, v5, -v22
	v_dual_fmac_f32 v122, v25, v5 :: v_dual_fmac_f32 v123, v27, v7
	s_wait_loadcnt_dscnt 0x401
	v_mul_f32_e32 v25, v112, v2
	v_fma_f32 v24, v26, v7, -v6
	ds_load_2addr_b64 v[5:8], v21 offset0:51 offset1:52
	s_wait_loadcnt_dscnt 0x301
	v_dual_mul_f32 v26, v114, v4 :: v_dual_mul_f32 v27, v116, v10
	v_dual_mul_f32 v4, v115, v4 :: v_dual_fmac_f32 v25, v113, v1
	v_mul_f32_e32 v10, v117, v10
	s_delay_alu instid0(VALU_DEP_3)
	v_dual_mul_f32 v124, v118, v12 :: v_dual_fmac_f32 v27, v117, v9
	v_mul_f32_e32 v12, v119, v12
	v_mul_f32_e32 v2, v113, v2
	v_fmac_f32_e32 v26, v115, v3
	v_fma_f32 v113, v114, v3, -v4
	v_fma_f32 v114, v116, v9, -v10
	v_fmac_f32_e32 v124, v119, v11
	v_fma_f32 v115, v118, v11, -v12
	ds_load_2addr_b64 v[9:12], v21 offset0:53 offset1:54
	s_wait_loadcnt_dscnt 0x201
	v_mul_f32_e32 v117, v7, v16
	v_fma_f32 v112, v112, v1, -v2
	scratch_load_b128 v[1:4], off, off offset:104
	v_mul_f32_e32 v116, v5, v14
	v_mul_f32_e32 v14, v6, v14
	;; [unrolled: 1-line block ×3, first 2 shown]
	s_delay_alu instid0(VALU_DEP_3) | instskip(NEXT) | instid1(VALU_DEP_3)
	v_dual_fmac_f32 v117, v8, v15 :: v_dual_fmac_f32 v116, v6, v13
	v_fma_f32 v13, v5, v13, -v14
	s_delay_alu instid0(VALU_DEP_3)
	v_fma_f32 v14, v7, v15, -v16
	ds_load_2addr_b64 v[5:8], v21 offset0:55 offset1:56
	s_wait_loadcnt_dscnt 0x201
	v_mul_f32_e32 v15, v9, v18
	v_mul_f32_e32 v16, v10, v18
	;; [unrolled: 1-line block ×3, first 2 shown]
	s_delay_alu instid0(VALU_DEP_3) | instskip(NEXT) | instid1(VALU_DEP_3)
	v_dual_mul_f32 v20, v12, v20 :: v_dual_fmac_f32 v15, v10, v17
	v_fma_f32 v16, v9, v17, -v16
	s_delay_alu instid0(VALU_DEP_3) | instskip(NEXT) | instid1(VALU_DEP_3)
	v_fmac_f32_e32 v18, v12, v19
	v_fma_f32 v17, v11, v19, -v20
	scratch_load_b128 v[9:12], off, off offset:120
	s_wait_loadcnt_dscnt 0x100
	v_mul_f32_e32 v19, v5, v2
	v_mul_f32_e32 v2, v6, v2
	;; [unrolled: 1-line block ×3, first 2 shown]
	s_delay_alu instid0(VALU_DEP_3) | instskip(NEXT) | instid1(VALU_DEP_3)
	v_dual_mul_f32 v4, v8, v4 :: v_dual_fmac_f32 v19, v6, v1
	v_fma_f32 v118, v5, v1, -v2
	s_delay_alu instid0(VALU_DEP_3) | instskip(NEXT) | instid1(VALU_DEP_3)
	v_fmac_f32_e32 v20, v8, v3
	v_fma_f32 v119, v7, v3, -v4
	ds_load_2addr_b64 v[1:4], v21 offset0:57 offset1:58
	ds_load_2addr_b64 v[5:8], v21 offset0:59 offset1:60
	s_wait_loadcnt_dscnt 0x1
	v_mul_f32_e32 v125, v1, v10
	v_mul_f32_e32 v10, v2, v10
	s_delay_alu instid0(VALU_DEP_2) | instskip(NEXT) | instid1(VALU_DEP_2)
	v_dual_mul_f32 v126, v3, v12 :: v_dual_fmac_f32 v125, v2, v9
	v_fma_f32 v127, v1, v9, -v10
	v_mul_f32_e32 v1, v4, v12
	s_delay_alu instid0(VALU_DEP_3) | instskip(NEXT) | instid1(VALU_DEP_2)
	v_fmac_f32_e32 v126, v4, v11
	v_fma_f32 v128, v3, v11, -v1
	s_clause 0x1
	scratch_load_b128 v[1:4], off, off offset:136
	scratch_load_b128 v[9:12], off, off offset:152
	s_wait_loadcnt_dscnt 0x100
	v_mul_f32_e32 v129, v5, v2
	v_dual_mul_f32 v2, v6, v2 :: v_dual_mul_f32 v131, v7, v4
	s_delay_alu instid0(VALU_DEP_2) | instskip(NEXT) | instid1(VALU_DEP_2)
	v_fmac_f32_e32 v129, v6, v1
	v_fma_f32 v130, v5, v1, -v2
	v_mul_f32_e32 v1, v8, v4
	s_delay_alu instid0(VALU_DEP_4) | instskip(NEXT) | instid1(VALU_DEP_2)
	v_fmac_f32_e32 v131, v8, v3
	v_fma_f32 v132, v7, v3, -v1
	ds_load_2addr_b64 v[1:4], v21 offset0:61 offset1:62
	ds_load_2addr_b64 v[5:8], v21 offset0:63 offset1:64
	s_wait_loadcnt_dscnt 0x1
	v_mul_f32_e32 v133, v1, v10
	v_mul_f32_e32 v135, v3, v12
	s_delay_alu instid0(VALU_DEP_2) | instskip(NEXT) | instid1(VALU_DEP_2)
	v_fmac_f32_e32 v133, v2, v9
	v_dual_mul_f32 v2, v2, v10 :: v_dual_fmac_f32 v135, v4, v11
	s_delay_alu instid0(VALU_DEP_1) | instskip(SKIP_1) | instid1(VALU_DEP_1)
	v_fma_f32 v134, v1, v9, -v2
	v_mul_f32_e32 v1, v4, v12
	v_fma_f32 v136, v3, v11, -v1
	s_clause 0x1
	scratch_load_b128 v[1:4], off, off offset:168
	scratch_load_b128 v[9:12], off, off offset:184
	s_wait_loadcnt_dscnt 0x100
	v_mul_f32_e32 v137, v5, v2
	v_dual_mul_f32 v139, v7, v4 :: v_dual_mul_f32 v2, v6, v2
	s_delay_alu instid0(VALU_DEP_2) | instskip(NEXT) | instid1(VALU_DEP_2)
	v_fmac_f32_e32 v137, v6, v1
	v_fmac_f32_e32 v139, v8, v3
	s_delay_alu instid0(VALU_DEP_3) | instskip(SKIP_1) | instid1(VALU_DEP_1)
	v_fma_f32 v138, v5, v1, -v2
	v_mul_f32_e32 v1, v8, v4
	v_fma_f32 v140, v7, v3, -v1
	ds_load_2addr_b64 v[1:4], v21 offset0:65 offset1:66
	ds_load_2addr_b64 v[5:8], v21 offset0:67 offset1:68
	s_wait_loadcnt_dscnt 0x1
	v_mul_f32_e32 v141, v1, v10
	v_mul_f32_e32 v143, v3, v12
	s_delay_alu instid0(VALU_DEP_2) | instskip(NEXT) | instid1(VALU_DEP_2)
	v_fmac_f32_e32 v141, v2, v9
	v_dual_mul_f32 v2, v2, v10 :: v_dual_fmac_f32 v143, v4, v11
	s_delay_alu instid0(VALU_DEP_1) | instskip(SKIP_1) | instid1(VALU_DEP_1)
	v_fma_f32 v142, v1, v9, -v2
	v_mul_f32_e32 v1, v4, v12
	v_fma_f32 v144, v3, v11, -v1
	s_clause 0x1
	scratch_load_b128 v[1:4], off, off offset:200
	scratch_load_b128 v[9:12], off, off offset:216
	s_wait_loadcnt_dscnt 0x100
	v_mul_f32_e32 v145, v5, v2
	v_dual_mul_f32 v2, v6, v2 :: v_dual_mul_f32 v147, v7, v4
	s_delay_alu instid0(VALU_DEP_2) | instskip(NEXT) | instid1(VALU_DEP_2)
	v_fmac_f32_e32 v145, v6, v1
	v_fma_f32 v146, v5, v1, -v2
	v_mul_f32_e32 v1, v8, v4
	s_delay_alu instid0(VALU_DEP_4) | instskip(NEXT) | instid1(VALU_DEP_2)
	v_fmac_f32_e32 v147, v8, v3
	v_fma_f32 v148, v7, v3, -v1
	ds_load_2addr_b64 v[1:4], v21 offset0:69 offset1:70
	ds_load_2addr_b64 v[5:8], v21 offset0:71 offset1:72
	s_wait_loadcnt_dscnt 0x1
	v_mul_f32_e32 v149, v1, v10
	v_mul_f32_e32 v151, v3, v12
	s_delay_alu instid0(VALU_DEP_2) | instskip(NEXT) | instid1(VALU_DEP_2)
	v_fmac_f32_e32 v149, v2, v9
	v_dual_mul_f32 v2, v2, v10 :: v_dual_fmac_f32 v151, v4, v11
	s_delay_alu instid0(VALU_DEP_1) | instskip(SKIP_1) | instid1(VALU_DEP_1)
	v_fma_f32 v150, v1, v9, -v2
	v_mul_f32_e32 v1, v4, v12
	v_fma_f32 v152, v3, v11, -v1
	s_clause 0x1
	scratch_load_b128 v[1:4], off, off offset:232
	scratch_load_b128 v[9:12], off, off offset:248
	s_wait_loadcnt_dscnt 0x100
	v_mul_f32_e32 v153, v5, v2
	v_mul_f32_e32 v2, v6, v2
	s_delay_alu instid0(VALU_DEP_1) | instskip(SKIP_1) | instid1(VALU_DEP_1)
	v_fma_f32 v154, v5, v1, -v2
	v_add_f32_e32 v2, 0, v122
	v_add_f32_e32 v2, v2, v123
	s_delay_alu instid0(VALU_DEP_1) | instskip(NEXT) | instid1(VALU_DEP_1)
	v_add_f32_e32 v2, v2, v25
	v_add_f32_e32 v2, v2, v26
	s_delay_alu instid0(VALU_DEP_1) | instskip(NEXT) | instid1(VALU_DEP_1)
	v_add_f32_e32 v2, v2, v27
	v_add_f32_e32 v2, v2, v124
	s_delay_alu instid0(VALU_DEP_1) | instskip(NEXT) | instid1(VALU_DEP_1)
	v_add_f32_e32 v2, v2, v116
	v_add_f32_e32 v2, v2, v117
	s_delay_alu instid0(VALU_DEP_1) | instskip(NEXT) | instid1(VALU_DEP_1)
	v_add_f32_e32 v2, v2, v15
	v_add_f32_e32 v2, v2, v18
	s_delay_alu instid0(VALU_DEP_1) | instskip(SKIP_2) | instid1(VALU_DEP_3)
	v_add_f32_e32 v2, v2, v19
	v_fmac_f32_e32 v153, v6, v1
	v_mul_f32_e32 v1, v8, v4
	v_add_f32_e32 v2, v2, v20
	v_mul_f32_e32 v155, v7, v4
	s_delay_alu instid0(VALU_DEP_3) | instskip(NEXT) | instid1(VALU_DEP_3)
	v_fma_f32 v156, v7, v3, -v1
	v_dual_add_f32 v1, 0, v22 :: v_dual_add_f32 v2, v2, v125
	s_delay_alu instid0(VALU_DEP_1) | instskip(NEXT) | instid1(VALU_DEP_2)
	v_add_f32_e32 v1, v1, v24
	v_add_f32_e32 v5, v2, v126
	s_delay_alu instid0(VALU_DEP_2) | instskip(NEXT) | instid1(VALU_DEP_1)
	v_add_f32_e32 v1, v1, v112
	v_add_f32_e32 v1, v1, v113
	scratch_load_b64 v[112:113], off, off offset:328
	v_add_f32_e32 v1, v1, v114
	s_delay_alu instid0(VALU_DEP_1) | instskip(NEXT) | instid1(VALU_DEP_1)
	v_add_f32_e32 v1, v1, v115
	v_add_f32_e32 v1, v1, v13
	;; [unrolled: 1-line block ×3, first 2 shown]
	s_delay_alu instid0(VALU_DEP_1) | instskip(NEXT) | instid1(VALU_DEP_1)
	v_add_f32_e32 v13, v13, v131
	v_add_f32_e32 v13, v13, v133
	s_delay_alu instid0(VALU_DEP_1) | instskip(NEXT) | instid1(VALU_DEP_1)
	v_add_f32_e32 v18, v13, v135
	v_dual_add_f32 v18, v18, v137 :: v_dual_add_f32 v1, v1, v14
	s_delay_alu instid0(VALU_DEP_1) | instskip(NEXT) | instid1(VALU_DEP_1)
	v_dual_add_f32 v18, v18, v139 :: v_dual_add_f32 v1, v1, v16
	v_add_f32_e32 v24, v18, v141
	s_delay_alu instid0(VALU_DEP_1) | instskip(NEXT) | instid1(VALU_DEP_1)
	v_dual_add_f32 v1, v1, v17 :: v_dual_add_f32 v24, v24, v143
	v_add_f32_e32 v1, v1, v118
	s_delay_alu instid0(VALU_DEP_1) | instskip(NEXT) | instid1(VALU_DEP_1)
	v_add_f32_e32 v1, v1, v119
	v_add_f32_e32 v1, v1, v127
	s_delay_alu instid0(VALU_DEP_1) | instskip(NEXT) | instid1(VALU_DEP_1)
	v_add_f32_e32 v1, v1, v128
	v_dual_add_f32 v6, v1, v130 :: v_dual_fmac_f32 v155, v8, v3
	scratch_load_b128 v[1:4], off, off offset:264
	v_add_f32_e32 v24, v24, v145
	v_add_f32_e32 v14, v6, v132
	ds_load_2addr_b64 v[5:8], v21 offset0:73 offset1:74
	v_add_f32_e32 v24, v24, v147
	v_add_f32_e32 v14, v14, v134
	s_delay_alu instid0(VALU_DEP_1)
	v_add_f32_e32 v17, v14, v136
	ds_load_2addr_b64 v[13:16], v21 offset0:75 offset1:76
	s_wait_loadcnt_dscnt 0x201
	v_mul_f32_e32 v22, v5, v10
	v_mul_f32_e32 v10, v6, v10
	;; [unrolled: 1-line block ×4, first 2 shown]
	s_delay_alu instid0(VALU_DEP_4) | instskip(NEXT) | instid1(VALU_DEP_4)
	v_fmac_f32_e32 v22, v6, v9
	v_fma_f32 v117, v5, v9, -v10
	s_delay_alu instid0(VALU_DEP_4) | instskip(NEXT) | instid1(VALU_DEP_4)
	v_fmac_f32_e32 v116, v8, v11
	v_fma_f32 v118, v7, v11, -v12
	s_clause 0x1
	scratch_load_b128 v[5:8], off, off offset:280
	scratch_load_b128 v[9:12], off, off offset:296
	s_wait_loadcnt_dscnt 0x200
	v_mul_f32_e32 v119, v13, v2
	v_mul_f32_e32 v2, v14, v2
	;; [unrolled: 1-line block ×3, first 2 shown]
	s_delay_alu instid0(VALU_DEP_3) | instskip(NEXT) | instid1(VALU_DEP_3)
	v_dual_mul_f32 v4, v16, v4 :: v_dual_fmac_f32 v119, v14, v1
	v_fma_f32 v123, v13, v1, -v2
	v_add_f32_e32 v13, v24, v149
	s_delay_alu instid0(VALU_DEP_4) | instskip(NEXT) | instid1(VALU_DEP_4)
	v_fmac_f32_e32 v122, v16, v3
	v_fma_f32 v124, v15, v3, -v4
	ds_load_2addr_b64 v[1:4], v21 offset0:77 offset1:78
	v_add_f32_e32 v24, v13, v151
	s_delay_alu instid0(VALU_DEP_1) | instskip(NEXT) | instid1(VALU_DEP_1)
	v_add_f32_e32 v115, v24, v153
	v_add_f32_e32 v126, v115, v155
	s_delay_alu instid0(VALU_DEP_1) | instskip(NEXT) | instid1(VALU_DEP_1)
	v_add_f32_e32 v22, v126, v22
	v_dual_add_f32 v17, v17, v138 :: v_dual_add_f32 v22, v22, v116
	s_delay_alu instid0(VALU_DEP_1) | instskip(NEXT) | instid1(VALU_DEP_1)
	v_dual_add_f32 v17, v17, v140 :: v_dual_add_f32 v22, v22, v119
	v_add_f32_e32 v17, v17, v142
	s_delay_alu instid0(VALU_DEP_1) | instskip(SKIP_2) | instid1(VALU_DEP_1)
	v_dual_add_f32 v22, v22, v122 :: v_dual_add_f32 v25, v17, v144
	scratch_load_b128 v[17:20], off, off offset:312
	v_add_f32_e32 v25, v25, v146
	v_add_f32_e32 v25, v25, v148
	s_delay_alu instid0(VALU_DEP_1) | instskip(NEXT) | instid1(VALU_DEP_1)
	v_add_f32_e32 v25, v25, v150
	v_add_f32_e32 v14, v25, v152
	ds_load_2addr_b64 v[24:27], v21 offset0:81 offset1:82
	v_add_f32_e32 v114, v14, v154
	ds_load_2addr_b64 v[13:16], v21 offset0:79 offset1:80
	s_wait_loadcnt_dscnt 0x202
	v_mul_f32_e32 v116, v3, v8
	v_mul_f32_e32 v8, v4, v8
	v_add_f32_e32 v125, v114, v156
	ds_load_b64 v[114:115], v21 offset:664
	v_dual_fmac_f32 v116, v4, v7 :: v_dual_add_f32 v117, v125, v117
	s_delay_alu instid0(VALU_DEP_1)
	v_add_f32_e32 v117, v117, v118
	s_wait_loadcnt_dscnt 0x101
	v_mul_f32_e32 v118, v13, v10
	v_mul_f32_e32 v125, v1, v6
	v_dual_mul_f32 v6, v2, v6 :: v_dual_mul_f32 v119, v15, v12
	s_wait_dscnt 0x0
	v_mul_f32_e32 v122, v114, v113
	v_fmac_f32_e32 v118, v14, v9
	v_fmac_f32_e32 v125, v2, v5
	v_fma_f32 v1, v1, v5, -v6
	v_fma_f32 v2, v3, v7, -v8
	v_dual_fmac_f32 v122, v115, v112 :: v_dual_mul_f32 v3, v14, v10
	s_delay_alu instid0(VALU_DEP_4) | instskip(NEXT) | instid1(VALU_DEP_2)
	v_dual_add_f32 v4, v22, v125 :: v_dual_add_f32 v117, v117, v123
	v_fma_f32 v3, v13, v9, -v3
	s_delay_alu instid0(VALU_DEP_2) | instskip(SKIP_2) | instid1(VALU_DEP_1)
	v_add_f32_e32 v117, v117, v124
	s_wait_loadcnt 0x0
	v_mul_f32_e32 v124, v26, v20
	v_dual_fmac_f32 v124, v27, v19 :: v_dual_add_f32 v1, v117, v1
	s_delay_alu instid0(VALU_DEP_1) | instskip(SKIP_1) | instid1(VALU_DEP_2)
	v_dual_add_f32 v1, v1, v2 :: v_dual_add_f32 v2, v4, v116
	v_dual_mul_f32 v4, v25, v18 :: v_dual_fmac_f32 v119, v16, v11
	v_add_f32_e32 v2, v2, v118
	v_mul_f32_e32 v123, v24, v18
	s_delay_alu instid0(VALU_DEP_3) | instskip(NEXT) | instid1(VALU_DEP_2)
	v_fma_f32 v4, v24, v17, -v4
	v_dual_add_f32 v2, v2, v119 :: v_dual_fmac_f32 v123, v25, v17
	s_delay_alu instid0(VALU_DEP_1) | instskip(NEXT) | instid1(VALU_DEP_1)
	v_add_f32_e32 v2, v2, v123
	v_add_f32_e32 v2, v2, v124
	v_mul_f32_e32 v5, v16, v12
	v_add_f32_e32 v1, v1, v3
	s_delay_alu instid0(VALU_DEP_3) | instskip(NEXT) | instid1(VALU_DEP_3)
	v_dual_mul_f32 v3, v27, v20 :: v_dual_add_f32 v2, v2, v122
	v_fma_f32 v5, v15, v11, -v5
	s_delay_alu instid0(VALU_DEP_2) | instskip(NEXT) | instid1(VALU_DEP_3)
	v_fma_f32 v3, v26, v19, -v3
	v_sub_f32_e32 v2, v121, v2
	s_delay_alu instid0(VALU_DEP_3) | instskip(SKIP_1) | instid1(VALU_DEP_2)
	v_add_f32_e32 v1, v1, v5
	v_mul_f32_e32 v5, v115, v113
	v_add_f32_e32 v1, v1, v4
	s_delay_alu instid0(VALU_DEP_2) | instskip(NEXT) | instid1(VALU_DEP_2)
	v_fma_f32 v4, v114, v112, -v5
	v_add_f32_e32 v1, v1, v3
	s_delay_alu instid0(VALU_DEP_1) | instskip(NEXT) | instid1(VALU_DEP_1)
	v_add_f32_e32 v1, v1, v4
	v_sub_f32_e32 v1, v120, v1
	scratch_store_b64 off, v[1:2], off offset:16
	v_cmpx_lt_u32_e32 1, v0
	s_cbranch_execz .LBB41_263
; %bb.262:
	scratch_load_b64 v[1:2], off, off offset:8
	v_mov_b32_e32 v22, v21
	scratch_store_b64 off, v[21:22], off offset:8
	s_wait_loadcnt 0x0
	ds_store_b64 v23, v[1:2]
.LBB41_263:
	s_wait_alu 0xfffe
	s_or_b32 exec_lo, exec_lo, s0
	s_wait_storecnt_dscnt 0x0
	s_barrier_signal -1
	s_barrier_wait -1
	global_inv scope:SCOPE_SE
	s_clause 0x4
	scratch_load_b128 v[5:8], off, off offset:16
	scratch_load_b128 v[1:4], off, off offset:32
	;; [unrolled: 1-line block ×5, first 2 shown]
	ds_load_b128 v[24:27], v21 offset:352
	ds_load_b128 v[112:115], v21 offset:368
	;; [unrolled: 1-line block ×3, first 2 shown]
	scratch_load_b64 v[120:121], off, off offset:8
	s_mov_b32 s0, exec_lo
	s_wait_loadcnt_dscnt 0x502
	v_dual_mul_f32 v22, v25, v6 :: v_dual_mul_f32 v123, v26, v8
	v_mul_f32_e32 v122, v24, v6
	v_mul_f32_e32 v6, v27, v8
	s_wait_loadcnt_dscnt 0x300
	v_mul_f32_e32 v124, v118, v12
	v_fma_f32 v22, v24, v5, -v22
	v_dual_fmac_f32 v123, v27, v7 :: v_dual_fmac_f32 v122, v25, v5
	v_mul_f32_e32 v27, v116, v10
	v_mul_f32_e32 v25, v112, v2
	v_fma_f32 v24, v26, v7, -v6
	ds_load_b128 v[5:8], v21 offset:400
	v_mul_f32_e32 v26, v114, v4
	v_dual_mul_f32 v4, v115, v4 :: v_dual_fmac_f32 v27, v117, v9
	v_mul_f32_e32 v10, v117, v10
	v_mul_f32_e32 v12, v119, v12
	;; [unrolled: 1-line block ×3, first 2 shown]
	v_dual_fmac_f32 v25, v113, v1 :: v_dual_fmac_f32 v26, v115, v3
	v_fma_f32 v113, v114, v3, -v4
	v_fma_f32 v114, v116, v9, -v10
	v_fmac_f32_e32 v124, v119, v11
	v_fma_f32 v115, v118, v11, -v12
	ds_load_b128 v[9:12], v21 offset:416
	s_wait_loadcnt_dscnt 0x201
	v_mul_f32_e32 v117, v7, v16
	v_fma_f32 v112, v112, v1, -v2
	scratch_load_b128 v[1:4], off, off offset:96
	v_mul_f32_e32 v116, v5, v14
	v_mul_f32_e32 v14, v6, v14
	;; [unrolled: 1-line block ×3, first 2 shown]
	s_delay_alu instid0(VALU_DEP_3) | instskip(NEXT) | instid1(VALU_DEP_3)
	v_dual_fmac_f32 v117, v8, v15 :: v_dual_fmac_f32 v116, v6, v13
	v_fma_f32 v13, v5, v13, -v14
	s_delay_alu instid0(VALU_DEP_3)
	v_fma_f32 v14, v7, v15, -v16
	ds_load_b128 v[5:8], v21 offset:432
	s_wait_loadcnt_dscnt 0x201
	v_mul_f32_e32 v15, v9, v18
	v_mul_f32_e32 v16, v10, v18
	;; [unrolled: 1-line block ×3, first 2 shown]
	s_delay_alu instid0(VALU_DEP_3) | instskip(NEXT) | instid1(VALU_DEP_3)
	v_dual_mul_f32 v20, v12, v20 :: v_dual_fmac_f32 v15, v10, v17
	v_fma_f32 v16, v9, v17, -v16
	s_delay_alu instid0(VALU_DEP_3) | instskip(NEXT) | instid1(VALU_DEP_3)
	v_fmac_f32_e32 v18, v12, v19
	v_fma_f32 v17, v11, v19, -v20
	scratch_load_b128 v[9:12], off, off offset:112
	s_wait_loadcnt_dscnt 0x100
	v_mul_f32_e32 v19, v5, v2
	v_mul_f32_e32 v2, v6, v2
	;; [unrolled: 1-line block ×3, first 2 shown]
	s_delay_alu instid0(VALU_DEP_3) | instskip(NEXT) | instid1(VALU_DEP_3)
	v_dual_mul_f32 v4, v8, v4 :: v_dual_fmac_f32 v19, v6, v1
	v_fma_f32 v118, v5, v1, -v2
	s_delay_alu instid0(VALU_DEP_3) | instskip(NEXT) | instid1(VALU_DEP_3)
	v_fmac_f32_e32 v20, v8, v3
	v_fma_f32 v119, v7, v3, -v4
	ds_load_b128 v[1:4], v21 offset:448
	ds_load_b128 v[5:8], v21 offset:464
	s_wait_loadcnt_dscnt 0x1
	v_mul_f32_e32 v125, v1, v10
	v_mul_f32_e32 v10, v2, v10
	s_delay_alu instid0(VALU_DEP_2) | instskip(NEXT) | instid1(VALU_DEP_2)
	v_dual_mul_f32 v126, v3, v12 :: v_dual_fmac_f32 v125, v2, v9
	v_fma_f32 v127, v1, v9, -v10
	v_mul_f32_e32 v1, v4, v12
	s_delay_alu instid0(VALU_DEP_3) | instskip(NEXT) | instid1(VALU_DEP_2)
	v_fmac_f32_e32 v126, v4, v11
	v_fma_f32 v128, v3, v11, -v1
	s_clause 0x1
	scratch_load_b128 v[1:4], off, off offset:128
	scratch_load_b128 v[9:12], off, off offset:144
	s_wait_loadcnt_dscnt 0x100
	v_mul_f32_e32 v129, v5, v2
	v_dual_mul_f32 v2, v6, v2 :: v_dual_mul_f32 v131, v7, v4
	s_delay_alu instid0(VALU_DEP_2) | instskip(NEXT) | instid1(VALU_DEP_2)
	v_fmac_f32_e32 v129, v6, v1
	v_fma_f32 v130, v5, v1, -v2
	v_mul_f32_e32 v1, v8, v4
	s_delay_alu instid0(VALU_DEP_4) | instskip(NEXT) | instid1(VALU_DEP_2)
	v_fmac_f32_e32 v131, v8, v3
	v_fma_f32 v132, v7, v3, -v1
	ds_load_b128 v[1:4], v21 offset:480
	ds_load_b128 v[5:8], v21 offset:496
	s_wait_loadcnt_dscnt 0x1
	v_mul_f32_e32 v133, v1, v10
	v_mul_f32_e32 v135, v3, v12
	s_delay_alu instid0(VALU_DEP_2) | instskip(NEXT) | instid1(VALU_DEP_2)
	v_fmac_f32_e32 v133, v2, v9
	v_dual_mul_f32 v2, v2, v10 :: v_dual_fmac_f32 v135, v4, v11
	s_delay_alu instid0(VALU_DEP_1) | instskip(SKIP_1) | instid1(VALU_DEP_1)
	v_fma_f32 v134, v1, v9, -v2
	v_mul_f32_e32 v1, v4, v12
	v_fma_f32 v136, v3, v11, -v1
	s_clause 0x1
	scratch_load_b128 v[1:4], off, off offset:160
	scratch_load_b128 v[9:12], off, off offset:176
	s_wait_loadcnt_dscnt 0x100
	v_mul_f32_e32 v137, v5, v2
	v_dual_mul_f32 v2, v6, v2 :: v_dual_mul_f32 v139, v7, v4
	s_delay_alu instid0(VALU_DEP_2) | instskip(NEXT) | instid1(VALU_DEP_2)
	v_fmac_f32_e32 v137, v6, v1
	v_fma_f32 v138, v5, v1, -v2
	v_mul_f32_e32 v1, v8, v4
	s_delay_alu instid0(VALU_DEP_4) | instskip(NEXT) | instid1(VALU_DEP_2)
	v_fmac_f32_e32 v139, v8, v3
	v_fma_f32 v140, v7, v3, -v1
	ds_load_b128 v[1:4], v21 offset:512
	ds_load_b128 v[5:8], v21 offset:528
	s_wait_loadcnt_dscnt 0x1
	v_mul_f32_e32 v141, v1, v10
	v_mul_f32_e32 v143, v3, v12
	s_delay_alu instid0(VALU_DEP_2) | instskip(NEXT) | instid1(VALU_DEP_2)
	v_fmac_f32_e32 v141, v2, v9
	v_dual_mul_f32 v2, v2, v10 :: v_dual_fmac_f32 v143, v4, v11
	s_delay_alu instid0(VALU_DEP_1) | instskip(SKIP_1) | instid1(VALU_DEP_1)
	v_fma_f32 v142, v1, v9, -v2
	v_mul_f32_e32 v1, v4, v12
	;; [unrolled: 25-line block ×4, first 2 shown]
	v_fma_f32 v160, v3, v11, -v1
	s_clause 0x1
	scratch_load_b128 v[1:4], off, off offset:256
	scratch_load_b128 v[9:12], off, off offset:272
	s_wait_loadcnt_dscnt 0x100
	v_mul_f32_e32 v161, v5, v2
	v_mul_f32_e32 v2, v6, v2
	s_delay_alu instid0(VALU_DEP_1) | instskip(SKIP_1) | instid1(VALU_DEP_1)
	v_fma_f32 v162, v5, v1, -v2
	v_add_f32_e32 v2, 0, v122
	v_add_f32_e32 v2, v2, v123
	s_delay_alu instid0(VALU_DEP_1) | instskip(NEXT) | instid1(VALU_DEP_1)
	v_add_f32_e32 v2, v2, v25
	v_add_f32_e32 v2, v2, v26
	s_delay_alu instid0(VALU_DEP_1) | instskip(NEXT) | instid1(VALU_DEP_1)
	;; [unrolled: 3-line block ×7, first 2 shown]
	v_add_f32_e32 v2, v2, v129
	v_add_f32_e32 v2, v2, v131
	v_fmac_f32_e32 v161, v6, v1
	v_mul_f32_e32 v1, v8, v4
	s_delay_alu instid0(VALU_DEP_1) | instskip(SKIP_1) | instid1(VALU_DEP_1)
	v_fma_f32 v164, v7, v3, -v1
	v_add_f32_e32 v1, 0, v22
	v_add_f32_e32 v1, v1, v24
	s_delay_alu instid0(VALU_DEP_1) | instskip(NEXT) | instid1(VALU_DEP_1)
	v_add_f32_e32 v1, v1, v112
	v_add_f32_e32 v1, v1, v113
	s_delay_alu instid0(VALU_DEP_1) | instskip(NEXT) | instid1(VALU_DEP_1)
	v_add_f32_e32 v1, v1, v114
	v_add_f32_e32 v1, v1, v115
	s_delay_alu instid0(VALU_DEP_1) | instskip(NEXT) | instid1(VALU_DEP_1)
	v_add_f32_e32 v1, v1, v13
	v_add_f32_e32 v1, v1, v14
	s_delay_alu instid0(VALU_DEP_1) | instskip(NEXT) | instid1(VALU_DEP_1)
	v_add_f32_e32 v1, v1, v16
	v_add_f32_e32 v1, v1, v17
	s_delay_alu instid0(VALU_DEP_1) | instskip(NEXT) | instid1(VALU_DEP_1)
	v_add_f32_e32 v1, v1, v118
	v_add_f32_e32 v1, v1, v119
	s_delay_alu instid0(VALU_DEP_1) | instskip(NEXT) | instid1(VALU_DEP_1)
	v_add_f32_e32 v1, v1, v127
	v_add_f32_e32 v1, v1, v128
	s_delay_alu instid0(VALU_DEP_1) | instskip(NEXT) | instid1(VALU_DEP_1)
	v_add_f32_e32 v1, v1, v130
	v_add_f32_e32 v1, v1, v132
	s_delay_alu instid0(VALU_DEP_1) | instskip(NEXT) | instid1(VALU_DEP_1)
	v_add_f32_e32 v1, v1, v134
	v_add_f32_e32 v6, v1, v136
	s_delay_alu instid0(VALU_DEP_1) | instskip(NEXT) | instid1(VALU_DEP_1)
	v_dual_mul_f32 v163, v7, v4 :: v_dual_add_f32 v6, v6, v138
	v_add_f32_e32 v13, v6, v140
	s_delay_alu instid0(VALU_DEP_1) | instskip(NEXT) | instid1(VALU_DEP_1)
	v_add_f32_e32 v13, v13, v142
	v_add_f32_e32 v13, v13, v144
	s_delay_alu instid0(VALU_DEP_1) | instskip(NEXT) | instid1(VALU_DEP_1)
	v_add_f32_e32 v13, v13, v146
	v_dual_add_f32 v5, v2, v133 :: v_dual_add_f32 v18, v13, v148
	s_delay_alu instid0(VALU_DEP_1) | instskip(NEXT) | instid1(VALU_DEP_1)
	v_dual_add_f32 v5, v5, v135 :: v_dual_add_f32 v18, v18, v150
	v_dual_add_f32 v5, v5, v137 :: v_dual_add_f32 v18, v18, v152
	s_delay_alu instid0(VALU_DEP_1)
	v_add_f32_e32 v14, v5, v139
	v_fmac_f32_e32 v163, v8, v3
	ds_load_b128 v[1:4], v21 offset:608
	ds_load_b128 v[5:8], v21 offset:624
	v_add_f32_e32 v24, v18, v154
	v_add_f32_e32 v14, v14, v141
	s_delay_alu instid0(VALU_DEP_1)
	v_add_f32_e32 v14, v14, v143
	s_wait_loadcnt_dscnt 0x1
	v_mul_f32_e32 v22, v1, v10
	v_mul_f32_e32 v112, v3, v12
	;; [unrolled: 1-line block ×4, first 2 shown]
	s_delay_alu instid0(VALU_DEP_4) | instskip(NEXT) | instid1(VALU_DEP_4)
	v_fmac_f32_e32 v22, v2, v9
	v_fmac_f32_e32 v112, v4, v11
	s_delay_alu instid0(VALU_DEP_4) | instskip(NEXT) | instid1(VALU_DEP_4)
	v_fma_f32 v113, v1, v9, -v10
	v_fma_f32 v114, v3, v11, -v12
	s_clause 0x1
	scratch_load_b128 v[1:4], off, off offset:288
	scratch_load_b128 v[9:12], off, off offset:304
	v_add_f32_e32 v17, v14, v145
	scratch_load_b128 v[13:16], off, off offset:320
	v_add_f32_e32 v17, v17, v147
	s_delay_alu instid0(VALU_DEP_1) | instskip(NEXT) | instid1(VALU_DEP_1)
	v_add_f32_e32 v17, v17, v149
	v_add_f32_e32 v17, v17, v151
	s_delay_alu instid0(VALU_DEP_1)
	v_add_f32_e32 v25, v17, v153
	ds_load_b128 v[17:20], v21 offset:640
	v_dual_add_f32 v115, v24, v156 :: v_dual_add_f32 v116, v25, v155
	ds_load_b128 v[24:27], v21 offset:656
	s_wait_loadcnt_dscnt 0x101
	v_dual_mul_f32 v117, v7, v4 :: v_dual_mul_f32 v118, v17, v10
	v_add_f32_e32 v21, v115, v158
	v_add_f32_e32 v115, v116, v157
	s_wait_loadcnt_dscnt 0x0
	v_mul_f32_e32 v122, v24, v14
	v_mul_f32_e32 v116, v5, v2
	v_dual_mul_f32 v2, v6, v2 :: v_dual_add_f32 v21, v21, v160
	s_delay_alu instid0(VALU_DEP_3) | instskip(SKIP_1) | instid1(VALU_DEP_3)
	v_dual_add_f32 v115, v115, v159 :: v_dual_fmac_f32 v122, v25, v13
	v_mul_f32_e32 v4, v8, v4
	v_fma_f32 v2, v5, v1, -v2
	s_delay_alu instid0(VALU_DEP_4) | instskip(NEXT) | instid1(VALU_DEP_4)
	v_add_f32_e32 v21, v21, v162
	v_add_f32_e32 v115, v115, v161
	v_fmac_f32_e32 v116, v6, v1
	v_dual_mul_f32 v6, v18, v10 :: v_dual_fmac_f32 v117, v8, v3
	s_delay_alu instid0(VALU_DEP_4) | instskip(NEXT) | instid1(VALU_DEP_4)
	v_add_f32_e32 v21, v21, v164
	v_add_f32_e32 v115, v115, v163
	v_fma_f32 v3, v7, v3, -v4
	v_mul_f32_e32 v119, v19, v12
	s_delay_alu instid0(VALU_DEP_4) | instskip(NEXT) | instid1(VALU_DEP_4)
	v_dual_mul_f32 v4, v20, v12 :: v_dual_add_f32 v21, v21, v113
	v_add_f32_e32 v22, v115, v22
	s_delay_alu instid0(VALU_DEP_3) | instskip(NEXT) | instid1(VALU_DEP_3)
	v_dual_fmac_f32 v118, v18, v9 :: v_dual_fmac_f32 v119, v20, v11
	v_fma_f32 v4, v19, v11, -v4
	s_delay_alu instid0(VALU_DEP_4) | instskip(NEXT) | instid1(VALU_DEP_4)
	v_add_f32_e32 v1, v21, v114
	v_add_f32_e32 v5, v22, v112
	v_mul_f32_e32 v113, v26, v16
	s_delay_alu instid0(VALU_DEP_3) | instskip(NEXT) | instid1(VALU_DEP_3)
	v_add_f32_e32 v1, v1, v2
	v_add_f32_e32 v2, v5, v116
	v_fma_f32 v5, v17, v9, -v6
	s_delay_alu instid0(VALU_DEP_4) | instskip(NEXT) | instid1(VALU_DEP_3)
	v_fmac_f32_e32 v113, v27, v15
	v_dual_add_f32 v1, v1, v3 :: v_dual_add_f32 v2, v2, v117
	v_mul_f32_e32 v3, v25, v14
	s_delay_alu instid0(VALU_DEP_2) | instskip(SKIP_1) | instid1(VALU_DEP_3)
	v_dual_add_f32 v1, v1, v5 :: v_dual_add_f32 v2, v2, v118
	v_mul_f32_e32 v5, v27, v16
	v_fma_f32 v3, v24, v13, -v3
	s_delay_alu instid0(VALU_DEP_3) | instskip(NEXT) | instid1(VALU_DEP_3)
	v_dual_add_f32 v1, v1, v4 :: v_dual_add_f32 v2, v2, v119
	v_fma_f32 v4, v26, v15, -v5
	s_delay_alu instid0(VALU_DEP_2) | instskip(NEXT) | instid1(VALU_DEP_1)
	v_dual_add_f32 v1, v1, v3 :: v_dual_add_f32 v2, v2, v122
	v_dual_add_f32 v1, v1, v4 :: v_dual_add_f32 v2, v2, v113
	s_delay_alu instid0(VALU_DEP_1)
	v_dual_sub_f32 v1, v120, v1 :: v_dual_sub_f32 v2, v121, v2
	scratch_store_b64 off, v[1:2], off offset:8
	v_cmpx_ne_u32_e32 0, v0
	s_cbranch_execz .LBB41_265
; %bb.264:
	scratch_load_b64 v[0:1], off, off
	v_mov_b32_e32 v2, 0
	s_delay_alu instid0(VALU_DEP_1)
	v_mov_b32_e32 v3, v2
	scratch_store_b64 off, v[2:3], off
	s_wait_loadcnt 0x0
	ds_store_b64 v23, v[0:1]
.LBB41_265:
	s_wait_alu 0xfffe
	s_or_b32 exec_lo, exec_lo, s0
	s_wait_storecnt_dscnt 0x0
	s_barrier_signal -1
	s_barrier_wait -1
	global_inv scope:SCOPE_SE
	s_clause 0x6
	scratch_load_b128 v[0:3], off, off offset:8
	scratch_load_b128 v[4:7], off, off offset:24
	;; [unrolled: 1-line block ×7, first 2 shown]
	v_mov_b32_e32 v112, 0
	scratch_load_b64 v[121:122], off, off
	s_and_b32 vcc_lo, exec_lo, s18
	ds_load_2addr_b64 v[113:116], v112 offset0:43 offset1:44
	ds_load_2addr_b64 v[117:120], v112 offset0:45 offset1:46
	s_wait_loadcnt_dscnt 0x701
	v_mul_f32_e32 v123, v114, v1
	v_dual_mul_f32 v124, v113, v1 :: v_dual_mul_f32 v125, v115, v3
	v_mul_f32_e32 v1, v116, v3
	s_delay_alu instid0(VALU_DEP_3) | instskip(NEXT) | instid1(VALU_DEP_3)
	v_fma_f32 v113, v113, v0, -v123
	v_dual_fmac_f32 v124, v114, v0 :: v_dual_fmac_f32 v125, v116, v2
	s_wait_loadcnt_dscnt 0x600
	v_mul_f32_e32 v116, v119, v7
	v_fma_f32 v114, v115, v2, -v1
	ds_load_2addr_b64 v[0:3], v112 offset0:47 offset1:48
	v_mul_f32_e32 v115, v117, v5
	v_mul_f32_e32 v5, v118, v5
	;; [unrolled: 1-line block ×3, first 2 shown]
	s_delay_alu instid0(VALU_DEP_3) | instskip(NEXT) | instid1(VALU_DEP_3)
	v_dual_fmac_f32 v116, v120, v6 :: v_dual_fmac_f32 v115, v118, v4
	v_fma_f32 v117, v117, v4, -v5
	s_delay_alu instid0(VALU_DEP_3)
	v_fma_f32 v118, v119, v6, -v7
	ds_load_2addr_b64 v[4:7], v112 offset0:49 offset1:50
	s_wait_loadcnt_dscnt 0x501
	v_dual_mul_f32 v119, v0, v9 :: v_dual_mul_f32 v120, v2, v11
	v_mul_f32_e32 v9, v1, v9
	v_mul_f32_e32 v11, v3, v11
	s_delay_alu instid0(VALU_DEP_3) | instskip(NEXT) | instid1(VALU_DEP_3)
	v_dual_fmac_f32 v119, v1, v8 :: v_dual_fmac_f32 v120, v3, v10
	v_fma_f32 v123, v0, v8, -v9
	s_delay_alu instid0(VALU_DEP_3)
	v_fma_f32 v126, v2, v10, -v11
	ds_load_2addr_b64 v[0:3], v112 offset0:51 offset1:52
	s_wait_loadcnt_dscnt 0x401
	v_mul_f32_e32 v127, v4, v13
	v_dual_mul_f32 v8, v5, v13 :: v_dual_mul_f32 v13, v6, v15
	v_mul_f32_e32 v9, v7, v15
	s_delay_alu instid0(VALU_DEP_3) | instskip(NEXT) | instid1(VALU_DEP_3)
	v_fmac_f32_e32 v127, v5, v12
	v_fma_f32 v12, v4, v12, -v8
	s_delay_alu instid0(VALU_DEP_4) | instskip(NEXT) | instid1(VALU_DEP_4)
	v_fmac_f32_e32 v13, v7, v14
	v_fma_f32 v14, v6, v14, -v9
	ds_load_2addr_b64 v[4:7], v112 offset0:53 offset1:54
	s_wait_loadcnt_dscnt 0x301
	v_mul_f32_e32 v15, v0, v17
	v_dual_mul_f32 v8, v1, v17 :: v_dual_mul_f32 v17, v2, v19
	v_mul_f32_e32 v9, v3, v19
	s_delay_alu instid0(VALU_DEP_3) | instskip(NEXT) | instid1(VALU_DEP_3)
	v_fmac_f32_e32 v15, v1, v16
	v_fma_f32 v16, v0, v16, -v8
	s_delay_alu instid0(VALU_DEP_4) | instskip(NEXT) | instid1(VALU_DEP_4)
	v_fmac_f32_e32 v17, v3, v18
	;; [unrolled: 11-line block ×4, first 2 shown]
	v_fma_f32 v26, v2, v26, -v9
	s_clause 0x1
	scratch_load_b128 v[0:3], off, off offset:120
	scratch_load_b128 v[8:11], off, off offset:136
	s_wait_loadcnt_dscnt 0x100
	v_mul_f32_e32 v27, v4, v1
	v_mul_f32_e32 v1, v5, v1
	s_delay_alu instid0(VALU_DEP_2) | instskip(NEXT) | instid1(VALU_DEP_2)
	v_fmac_f32_e32 v27, v5, v0
	v_fma_f32 v128, v4, v0, -v1
	v_mul_f32_e32 v129, v6, v3
	v_mul_f32_e32 v0, v7, v3
	s_delay_alu instid0(VALU_DEP_2) | instskip(NEXT) | instid1(VALU_DEP_2)
	v_fmac_f32_e32 v129, v7, v2
	v_fma_f32 v130, v6, v2, -v0
	ds_load_2addr_b64 v[0:3], v112 offset0:59 offset1:60
	ds_load_2addr_b64 v[4:7], v112 offset0:61 offset1:62
	s_wait_loadcnt_dscnt 0x1
	v_mul_f32_e32 v131, v0, v9
	v_mul_f32_e32 v133, v2, v11
	s_delay_alu instid0(VALU_DEP_2) | instskip(SKIP_1) | instid1(VALU_DEP_3)
	v_fmac_f32_e32 v131, v1, v8
	v_mul_f32_e32 v1, v1, v9
	v_fmac_f32_e32 v133, v3, v10
	s_delay_alu instid0(VALU_DEP_2) | instskip(SKIP_1) | instid1(VALU_DEP_1)
	v_fma_f32 v132, v0, v8, -v1
	v_mul_f32_e32 v0, v3, v11
	v_fma_f32 v134, v2, v10, -v0
	s_clause 0x1
	scratch_load_b128 v[0:3], off, off offset:152
	scratch_load_b128 v[8:11], off, off offset:168
	s_wait_loadcnt_dscnt 0x100
	v_mul_f32_e32 v135, v4, v1
	v_mul_f32_e32 v1, v5, v1
	v_mul_f32_e32 v137, v6, v3
	s_delay_alu instid0(VALU_DEP_3) | instskip(NEXT) | instid1(VALU_DEP_3)
	v_fmac_f32_e32 v135, v5, v0
	v_fma_f32 v136, v4, v0, -v1
	v_mul_f32_e32 v0, v7, v3
	s_delay_alu instid0(VALU_DEP_4) | instskip(NEXT) | instid1(VALU_DEP_2)
	v_fmac_f32_e32 v137, v7, v2
	v_fma_f32 v138, v6, v2, -v0
	ds_load_2addr_b64 v[0:3], v112 offset0:63 offset1:64
	ds_load_2addr_b64 v[4:7], v112 offset0:65 offset1:66
	s_wait_loadcnt_dscnt 0x1
	v_mul_f32_e32 v139, v0, v9
	v_mul_f32_e32 v141, v2, v11
	s_delay_alu instid0(VALU_DEP_2) | instskip(SKIP_1) | instid1(VALU_DEP_3)
	v_fmac_f32_e32 v139, v1, v8
	v_mul_f32_e32 v1, v1, v9
	v_fmac_f32_e32 v141, v3, v10
	s_delay_alu instid0(VALU_DEP_2) | instskip(SKIP_1) | instid1(VALU_DEP_1)
	v_fma_f32 v140, v0, v8, -v1
	v_mul_f32_e32 v0, v3, v11
	v_fma_f32 v142, v2, v10, -v0
	s_clause 0x1
	scratch_load_b128 v[0:3], off, off offset:184
	scratch_load_b128 v[8:11], off, off offset:200
	s_wait_loadcnt_dscnt 0x100
	v_mul_f32_e32 v143, v4, v1
	v_mul_f32_e32 v1, v5, v1
	v_mul_f32_e32 v145, v6, v3
	s_delay_alu instid0(VALU_DEP_3) | instskip(NEXT) | instid1(VALU_DEP_3)
	v_fmac_f32_e32 v143, v5, v0
	v_fma_f32 v144, v4, v0, -v1
	v_mul_f32_e32 v0, v7, v3
	s_delay_alu instid0(VALU_DEP_4) | instskip(NEXT) | instid1(VALU_DEP_2)
	;; [unrolled: 27-line block ×3, first 2 shown]
	v_fmac_f32_e32 v153, v7, v2
	v_fma_f32 v154, v6, v2, -v0
	ds_load_2addr_b64 v[0:3], v112 offset0:71 offset1:72
	ds_load_2addr_b64 v[4:7], v112 offset0:73 offset1:74
	s_wait_loadcnt_dscnt 0x1
	v_mul_f32_e32 v155, v0, v9
	v_mul_f32_e32 v157, v2, v11
	s_delay_alu instid0(VALU_DEP_2) | instskip(SKIP_1) | instid1(VALU_DEP_3)
	v_fmac_f32_e32 v155, v1, v8
	v_mul_f32_e32 v1, v1, v9
	v_fmac_f32_e32 v157, v3, v10
	s_delay_alu instid0(VALU_DEP_2) | instskip(SKIP_1) | instid1(VALU_DEP_1)
	v_fma_f32 v156, v0, v8, -v1
	v_mul_f32_e32 v0, v3, v11
	v_fma_f32 v158, v2, v10, -v0
	s_clause 0x1
	scratch_load_b128 v[0:3], off, off offset:248
	scratch_load_b128 v[8:11], off, off offset:264
	s_wait_loadcnt_dscnt 0x100
	v_mul_f32_e32 v159, v4, v1
	v_mul_f32_e32 v1, v5, v1
	;; [unrolled: 1-line block ×3, first 2 shown]
	s_delay_alu instid0(VALU_DEP_3) | instskip(NEXT) | instid1(VALU_DEP_3)
	v_fmac_f32_e32 v159, v5, v0
	v_fma_f32 v160, v4, v0, -v1
	v_dual_mul_f32 v0, v7, v3 :: v_dual_add_f32 v1, 0, v124
	s_delay_alu instid0(VALU_DEP_4) | instskip(NEXT) | instid1(VALU_DEP_2)
	v_fmac_f32_e32 v161, v7, v2
	v_fma_f32 v162, v6, v2, -v0
	v_add_f32_e32 v0, 0, v113
	s_delay_alu instid0(VALU_DEP_1) | instskip(NEXT) | instid1(VALU_DEP_1)
	v_dual_add_f32 v1, v1, v125 :: v_dual_add_f32 v0, v0, v114
	v_dual_add_f32 v1, v1, v115 :: v_dual_add_f32 v0, v0, v117
	s_delay_alu instid0(VALU_DEP_1) | instskip(NEXT) | instid1(VALU_DEP_1)
	v_dual_add_f32 v1, v1, v116 :: v_dual_add_f32 v0, v0, v118
	v_add_f32_e32 v1, v1, v119
	s_delay_alu instid0(VALU_DEP_1) | instskip(NEXT) | instid1(VALU_DEP_1)
	v_dual_add_f32 v0, v0, v123 :: v_dual_add_f32 v1, v1, v120
	v_dual_add_f32 v0, v0, v126 :: v_dual_add_f32 v1, v1, v127
	s_delay_alu instid0(VALU_DEP_1) | instskip(NEXT) | instid1(VALU_DEP_1)
	v_dual_add_f32 v0, v0, v12 :: v_dual_add_f32 v1, v1, v13
	v_dual_add_f32 v0, v0, v14 :: v_dual_add_f32 v1, v1, v15
	;; [unrolled: 3-line block ×4, first 2 shown]
	s_delay_alu instid0(VALU_DEP_1) | instskip(SKIP_2) | instid1(VALU_DEP_1)
	v_dual_add_f32 v0, v0, v24 :: v_dual_add_f32 v1, v1, v25
	scratch_load_b64 v[24:25], off, off offset:328
	v_dual_add_f32 v0, v0, v26 :: v_dual_add_f32 v1, v1, v27
	v_add_f32_e32 v0, v0, v128
	s_delay_alu instid0(VALU_DEP_2) | instskip(NEXT) | instid1(VALU_DEP_2)
	v_add_f32_e32 v4, v1, v129
	v_add_f32_e32 v0, v0, v130
	s_delay_alu instid0(VALU_DEP_2) | instskip(NEXT) | instid1(VALU_DEP_2)
	v_add_f32_e32 v4, v4, v131
	v_add_f32_e32 v5, v0, v132
	ds_load_2addr_b64 v[0:3], v112 offset0:75 offset1:76
	v_add_f32_e32 v5, v5, v134
	s_delay_alu instid0(VALU_DEP_1) | instskip(NEXT) | instid1(VALU_DEP_1)
	v_add_f32_e32 v12, v5, v136
	v_add_f32_e32 v12, v12, v138
	s_delay_alu instid0(VALU_DEP_1) | instskip(SKIP_1) | instid1(VALU_DEP_2)
	v_add_f32_e32 v12, v12, v140
	v_add_f32_e32 v4, v4, v133
	;; [unrolled: 1-line block ×3, first 2 shown]
	s_delay_alu instid0(VALU_DEP_2)
	v_add_f32_e32 v13, v4, v135
	ds_load_2addr_b64 v[4:7], v112 offset0:77 offset1:78
	s_wait_loadcnt_dscnt 0x101
	v_mul_f32_e32 v113, v0, v9
	v_dual_mul_f32 v9, v1, v9 :: v_dual_mul_f32 v114, v2, v11
	v_mul_f32_e32 v11, v3, v11
	v_add_f32_e32 v13, v13, v137
	s_delay_alu instid0(VALU_DEP_4) | instskip(NEXT) | instid1(VALU_DEP_4)
	v_fmac_f32_e32 v113, v1, v8
	v_fma_f32 v115, v0, v8, -v9
	v_fmac_f32_e32 v114, v3, v10
	v_fma_f32 v116, v2, v10, -v11
	s_clause 0x1
	scratch_load_b128 v[0:3], off, off offset:280
	scratch_load_b128 v[8:11], off, off offset:296
	v_add_f32_e32 v13, v13, v139
	s_delay_alu instid0(VALU_DEP_1) | instskip(SKIP_2) | instid1(VALU_DEP_1)
	v_dual_add_f32 v17, v12, v144 :: v_dual_add_f32 v16, v13, v141
	scratch_load_b128 v[12:15], off, off offset:312
	v_dual_add_f32 v17, v17, v146 :: v_dual_add_f32 v16, v16, v143
	v_add_f32_e32 v17, v17, v148
	s_delay_alu instid0(VALU_DEP_1) | instskip(NEXT) | instid1(VALU_DEP_1)
	v_add_f32_e32 v17, v17, v150
	v_add_f32_e32 v17, v17, v152
	s_delay_alu instid0(VALU_DEP_1) | instskip(NEXT) | instid1(VALU_DEP_1)
	v_add_f32_e32 v26, v17, v154
	;; [unrolled: 3-line block ×4, first 2 shown]
	v_add_f32_e32 v115, v117, v115
	s_wait_loadcnt_dscnt 0x200
	v_mul_f32_e32 v119, v4, v1
	v_dual_mul_f32 v1, v5, v1 :: v_dual_mul_f32 v120, v6, v3
	v_dual_add_f32 v16, v16, v145 :: v_dual_mul_f32 v3, v7, v3
	s_delay_alu instid0(VALU_DEP_3) | instskip(NEXT) | instid1(VALU_DEP_3)
	v_fmac_f32_e32 v119, v5, v0
	v_fma_f32 v0, v4, v0, -v1
	s_delay_alu instid0(VALU_DEP_3) | instskip(SKIP_2) | instid1(VALU_DEP_3)
	v_dual_add_f32 v1, v115, v116 :: v_dual_add_f32 v16, v16, v147
	v_fmac_f32_e32 v120, v7, v2
	v_fma_f32 v2, v6, v2, -v3
	v_add_f32_e32 v0, v1, v0
	s_delay_alu instid0(VALU_DEP_4) | instskip(NEXT) | instid1(VALU_DEP_2)
	v_add_f32_e32 v16, v16, v149
	v_add_f32_e32 v0, v0, v2
	s_delay_alu instid0(VALU_DEP_2)
	v_add_f32_e32 v20, v16, v151
	ds_load_2addr_b64 v[16:19], v112 offset0:79 offset1:80
	v_add_f32_e32 v27, v20, v153
	ds_load_2addr_b64 v[20:23], v112 offset0:81 offset1:82
	v_add_f32_e32 v118, v27, v155
	ds_load_b64 v[26:27], v112 offset:664
	v_add_f32_e32 v118, v118, v157
	s_wait_loadcnt_dscnt 0x102
	s_delay_alu instid0(VALU_DEP_1) | instskip(SKIP_1) | instid1(VALU_DEP_2)
	v_dual_add_f32 v118, v118, v159 :: v_dual_mul_f32 v123, v16, v9
	v_dual_mul_f32 v5, v17, v9 :: v_dual_mul_f32 v124, v18, v11
	v_dual_mul_f32 v3, v19, v11 :: v_dual_add_f32 v118, v118, v161
	s_delay_alu instid0(VALU_DEP_3)
	v_fmac_f32_e32 v123, v17, v8
	s_wait_loadcnt_dscnt 0x1
	v_mul_f32_e32 v125, v20, v13
	v_mul_f32_e32 v2, v21, v13
	v_dual_fmac_f32 v124, v19, v10 :: v_dual_add_f32 v113, v118, v113
	v_fma_f32 v3, v18, v10, -v3
	v_mul_f32_e32 v117, v22, v15
	v_fmac_f32_e32 v125, v21, v12
	v_fma_f32 v2, v20, v12, -v2
	v_add_f32_e32 v4, v113, v114
	s_wait_dscnt 0x0
	v_dual_mul_f32 v118, v26, v25 :: v_dual_fmac_f32 v117, v23, v14
	s_delay_alu instid0(VALU_DEP_2) | instskip(SKIP_1) | instid1(VALU_DEP_3)
	v_add_f32_e32 v1, v4, v119
	v_fma_f32 v4, v16, v8, -v5
	v_fmac_f32_e32 v118, v27, v24
	s_delay_alu instid0(VALU_DEP_3) | instskip(NEXT) | instid1(VALU_DEP_3)
	v_add_f32_e32 v1, v1, v120
	v_add_f32_e32 v0, v0, v4
	v_mul_f32_e32 v4, v23, v15
	s_delay_alu instid0(VALU_DEP_3) | instskip(NEXT) | instid1(VALU_DEP_3)
	v_add_f32_e32 v1, v1, v123
	v_dual_add_f32 v0, v0, v3 :: v_dual_mul_f32 v3, v27, v25
	s_delay_alu instid0(VALU_DEP_3) | instskip(NEXT) | instid1(VALU_DEP_2)
	v_fma_f32 v4, v22, v14, -v4
	v_dual_add_f32 v1, v1, v124 :: v_dual_add_f32 v0, v0, v2
	s_delay_alu instid0(VALU_DEP_3) | instskip(NEXT) | instid1(VALU_DEP_2)
	v_fma_f32 v2, v26, v24, -v3
	v_dual_add_f32 v1, v1, v125 :: v_dual_add_f32 v0, v0, v4
	s_delay_alu instid0(VALU_DEP_1) | instskip(NEXT) | instid1(VALU_DEP_1)
	v_dual_add_f32 v1, v1, v117 :: v_dual_add_f32 v0, v0, v2
	v_add_f32_e32 v1, v1, v118
	s_delay_alu instid0(VALU_DEP_1)
	v_dual_sub_f32 v0, v121, v0 :: v_dual_sub_f32 v1, v122, v1
	scratch_store_b64 off, v[0:1], off
	s_wait_alu 0xfffe
	s_cbranch_vccz .LBB41_348
; %bb.266:
	global_load_b32 v0, v112, s[2:3] offset:160
	s_wait_loadcnt 0x0
	v_cmp_ne_u32_e32 vcc_lo, 41, v0
	s_cbranch_vccz .LBB41_268
; %bb.267:
	v_lshlrev_b32_e32 v0, 3, v0
	s_delay_alu instid0(VALU_DEP_1)
	v_mov_b32_e32 v4, v0
	scratch_load_b64 v[0:1], v4, off offset:-8
	scratch_load_b64 v[2:3], off, off offset:320
	s_wait_loadcnt 0x1
	scratch_store_b64 off, v[0:1], off offset:320
	s_wait_loadcnt 0x0
	scratch_store_b64 v4, v[2:3], off offset:-8
.LBB41_268:
	v_mov_b32_e32 v0, 0
	global_load_b32 v1, v0, s[2:3] offset:156
	s_wait_loadcnt 0x0
	v_cmp_eq_u32_e32 vcc_lo, 40, v1
	s_cbranch_vccnz .LBB41_270
; %bb.269:
	v_lshlrev_b32_e32 v1, 3, v1
	s_delay_alu instid0(VALU_DEP_1)
	v_mov_b32_e32 v5, v1
	scratch_load_b64 v[1:2], v5, off offset:-8
	scratch_load_b64 v[3:4], off, off offset:312
	s_wait_loadcnt 0x1
	scratch_store_b64 off, v[1:2], off offset:312
	s_wait_loadcnt 0x0
	scratch_store_b64 v5, v[3:4], off offset:-8
.LBB41_270:
	global_load_b32 v0, v0, s[2:3] offset:152
	s_wait_loadcnt 0x0
	v_cmp_eq_u32_e32 vcc_lo, 39, v0
	s_cbranch_vccnz .LBB41_272
; %bb.271:
	v_lshlrev_b32_e32 v0, 3, v0
	s_delay_alu instid0(VALU_DEP_1)
	v_mov_b32_e32 v4, v0
	scratch_load_b64 v[0:1], v4, off offset:-8
	scratch_load_b64 v[2:3], off, off offset:304
	s_wait_loadcnt 0x1
	scratch_store_b64 off, v[0:1], off offset:304
	s_wait_loadcnt 0x0
	scratch_store_b64 v4, v[2:3], off offset:-8
.LBB41_272:
	v_mov_b32_e32 v0, 0
	global_load_b32 v1, v0, s[2:3] offset:148
	s_wait_loadcnt 0x0
	v_cmp_eq_u32_e32 vcc_lo, 38, v1
	s_cbranch_vccnz .LBB41_274
; %bb.273:
	v_lshlrev_b32_e32 v1, 3, v1
	s_delay_alu instid0(VALU_DEP_1)
	v_mov_b32_e32 v5, v1
	scratch_load_b64 v[1:2], v5, off offset:-8
	scratch_load_b64 v[3:4], off, off offset:296
	s_wait_loadcnt 0x1
	scratch_store_b64 off, v[1:2], off offset:296
	s_wait_loadcnt 0x0
	scratch_store_b64 v5, v[3:4], off offset:-8
.LBB41_274:
	global_load_b32 v0, v0, s[2:3] offset:144
	s_wait_loadcnt 0x0
	v_cmp_eq_u32_e32 vcc_lo, 37, v0
	s_cbranch_vccnz .LBB41_276
; %bb.275:
	v_lshlrev_b32_e32 v0, 3, v0
	s_delay_alu instid0(VALU_DEP_1)
	v_mov_b32_e32 v4, v0
	scratch_load_b64 v[0:1], v4, off offset:-8
	scratch_load_b64 v[2:3], off, off offset:288
	s_wait_loadcnt 0x1
	scratch_store_b64 off, v[0:1], off offset:288
	s_wait_loadcnt 0x0
	scratch_store_b64 v4, v[2:3], off offset:-8
.LBB41_276:
	;; [unrolled: 31-line block ×19, first 2 shown]
	v_mov_b32_e32 v0, 0
	global_load_b32 v1, v0, s[2:3] offset:4
	s_wait_loadcnt 0x0
	v_cmp_eq_u32_e32 vcc_lo, 2, v1
	s_cbranch_vccnz .LBB41_346
; %bb.345:
	v_lshlrev_b32_e32 v1, 3, v1
	s_delay_alu instid0(VALU_DEP_1)
	v_mov_b32_e32 v5, v1
	scratch_load_b64 v[1:2], v5, off offset:-8
	scratch_load_b64 v[3:4], off, off offset:8
	s_wait_loadcnt 0x1
	scratch_store_b64 off, v[1:2], off offset:8
	s_wait_loadcnt 0x0
	scratch_store_b64 v5, v[3:4], off offset:-8
.LBB41_346:
	global_load_b32 v0, v0, s[2:3]
	s_wait_loadcnt 0x0
	v_cmp_eq_u32_e32 vcc_lo, 1, v0
	s_cbranch_vccnz .LBB41_348
; %bb.347:
	v_lshlrev_b32_e32 v0, 3, v0
	s_delay_alu instid0(VALU_DEP_1)
	v_mov_b32_e32 v4, v0
	scratch_load_b64 v[0:1], v4, off offset:-8
	scratch_load_b64 v[2:3], off, off
	s_wait_loadcnt 0x1
	scratch_store_b64 off, v[0:1], off
	s_wait_loadcnt 0x0
	scratch_store_b64 v4, v[2:3], off offset:-8
.LBB41_348:
	s_clause 0x14
	scratch_load_b128 v[0:3], off, off
	scratch_load_b128 v[4:7], off, off offset:16
	scratch_load_b128 v[8:11], off, off offset:32
	;; [unrolled: 1-line block ×20, first 2 shown]
	s_wait_loadcnt 0x14
	s_clause 0x1
	global_store_b64 v[28:29], v[0:1], off
	global_store_b64 v[30:31], v[2:3], off
	s_wait_loadcnt 0x13
	s_clause 0x1
	global_store_b64 v[32:33], v[4:5], off
	global_store_b64 v[34:35], v[6:7], off
	;; [unrolled: 4-line block ×21, first 2 shown]
	s_nop 0
	s_sendmsg sendmsg(MSG_DEALLOC_VGPRS)
	s_endpgm
	.section	.rodata,"a",@progbits
	.p2align	6, 0x0
	.amdhsa_kernel _ZN9rocsolver6v33100L18getri_kernel_smallILi42E19rocblas_complex_numIfEPS3_EEvT1_iilPiilS6_bb
		.amdhsa_group_segment_fixed_size 676
		.amdhsa_private_segment_fixed_size 352
		.amdhsa_kernarg_size 60
		.amdhsa_user_sgpr_count 2
		.amdhsa_user_sgpr_dispatch_ptr 0
		.amdhsa_user_sgpr_queue_ptr 0
		.amdhsa_user_sgpr_kernarg_segment_ptr 1
		.amdhsa_user_sgpr_dispatch_id 0
		.amdhsa_user_sgpr_private_segment_size 0
		.amdhsa_wavefront_size32 1
		.amdhsa_uses_dynamic_stack 0
		.amdhsa_enable_private_segment 1
		.amdhsa_system_sgpr_workgroup_id_x 1
		.amdhsa_system_sgpr_workgroup_id_y 0
		.amdhsa_system_sgpr_workgroup_id_z 0
		.amdhsa_system_sgpr_workgroup_info 0
		.amdhsa_system_vgpr_workitem_id 0
		.amdhsa_next_free_vgpr 254
		.amdhsa_next_free_sgpr 19
		.amdhsa_reserve_vcc 1
		.amdhsa_float_round_mode_32 0
		.amdhsa_float_round_mode_16_64 0
		.amdhsa_float_denorm_mode_32 3
		.amdhsa_float_denorm_mode_16_64 3
		.amdhsa_fp16_overflow 0
		.amdhsa_workgroup_processor_mode 1
		.amdhsa_memory_ordered 1
		.amdhsa_forward_progress 1
		.amdhsa_inst_pref_size 255
		.amdhsa_round_robin_scheduling 0
		.amdhsa_exception_fp_ieee_invalid_op 0
		.amdhsa_exception_fp_denorm_src 0
		.amdhsa_exception_fp_ieee_div_zero 0
		.amdhsa_exception_fp_ieee_overflow 0
		.amdhsa_exception_fp_ieee_underflow 0
		.amdhsa_exception_fp_ieee_inexact 0
		.amdhsa_exception_int_div_zero 0
	.end_amdhsa_kernel
	.section	.text._ZN9rocsolver6v33100L18getri_kernel_smallILi42E19rocblas_complex_numIfEPS3_EEvT1_iilPiilS6_bb,"axG",@progbits,_ZN9rocsolver6v33100L18getri_kernel_smallILi42E19rocblas_complex_numIfEPS3_EEvT1_iilPiilS6_bb,comdat
.Lfunc_end41:
	.size	_ZN9rocsolver6v33100L18getri_kernel_smallILi42E19rocblas_complex_numIfEPS3_EEvT1_iilPiilS6_bb, .Lfunc_end41-_ZN9rocsolver6v33100L18getri_kernel_smallILi42E19rocblas_complex_numIfEPS3_EEvT1_iilPiilS6_bb
                                        ; -- End function
	.set _ZN9rocsolver6v33100L18getri_kernel_smallILi42E19rocblas_complex_numIfEPS3_EEvT1_iilPiilS6_bb.num_vgpr, 254
	.set _ZN9rocsolver6v33100L18getri_kernel_smallILi42E19rocblas_complex_numIfEPS3_EEvT1_iilPiilS6_bb.num_agpr, 0
	.set _ZN9rocsolver6v33100L18getri_kernel_smallILi42E19rocblas_complex_numIfEPS3_EEvT1_iilPiilS6_bb.numbered_sgpr, 19
	.set _ZN9rocsolver6v33100L18getri_kernel_smallILi42E19rocblas_complex_numIfEPS3_EEvT1_iilPiilS6_bb.num_named_barrier, 0
	.set _ZN9rocsolver6v33100L18getri_kernel_smallILi42E19rocblas_complex_numIfEPS3_EEvT1_iilPiilS6_bb.private_seg_size, 352
	.set _ZN9rocsolver6v33100L18getri_kernel_smallILi42E19rocblas_complex_numIfEPS3_EEvT1_iilPiilS6_bb.uses_vcc, 1
	.set _ZN9rocsolver6v33100L18getri_kernel_smallILi42E19rocblas_complex_numIfEPS3_EEvT1_iilPiilS6_bb.uses_flat_scratch, 1
	.set _ZN9rocsolver6v33100L18getri_kernel_smallILi42E19rocblas_complex_numIfEPS3_EEvT1_iilPiilS6_bb.has_dyn_sized_stack, 0
	.set _ZN9rocsolver6v33100L18getri_kernel_smallILi42E19rocblas_complex_numIfEPS3_EEvT1_iilPiilS6_bb.has_recursion, 0
	.set _ZN9rocsolver6v33100L18getri_kernel_smallILi42E19rocblas_complex_numIfEPS3_EEvT1_iilPiilS6_bb.has_indirect_call, 0
	.section	.AMDGPU.csdata,"",@progbits
; Kernel info:
; codeLenInByte = 62932
; TotalNumSgprs: 21
; NumVgprs: 254
; ScratchSize: 352
; MemoryBound: 0
; FloatMode: 240
; IeeeMode: 1
; LDSByteSize: 676 bytes/workgroup (compile time only)
; SGPRBlocks: 0
; VGPRBlocks: 31
; NumSGPRsForWavesPerEU: 21
; NumVGPRsForWavesPerEU: 254
; Occupancy: 5
; WaveLimiterHint : 1
; COMPUTE_PGM_RSRC2:SCRATCH_EN: 1
; COMPUTE_PGM_RSRC2:USER_SGPR: 2
; COMPUTE_PGM_RSRC2:TRAP_HANDLER: 0
; COMPUTE_PGM_RSRC2:TGID_X_EN: 1
; COMPUTE_PGM_RSRC2:TGID_Y_EN: 0
; COMPUTE_PGM_RSRC2:TGID_Z_EN: 0
; COMPUTE_PGM_RSRC2:TIDIG_COMP_CNT: 0
	.section	.text._ZN9rocsolver6v33100L18getri_kernel_smallILi43E19rocblas_complex_numIfEPS3_EEvT1_iilPiilS6_bb,"axG",@progbits,_ZN9rocsolver6v33100L18getri_kernel_smallILi43E19rocblas_complex_numIfEPS3_EEvT1_iilPiilS6_bb,comdat
	.globl	_ZN9rocsolver6v33100L18getri_kernel_smallILi43E19rocblas_complex_numIfEPS3_EEvT1_iilPiilS6_bb ; -- Begin function _ZN9rocsolver6v33100L18getri_kernel_smallILi43E19rocblas_complex_numIfEPS3_EEvT1_iilPiilS6_bb
	.p2align	8
	.type	_ZN9rocsolver6v33100L18getri_kernel_smallILi43E19rocblas_complex_numIfEPS3_EEvT1_iilPiilS6_bb,@function
_ZN9rocsolver6v33100L18getri_kernel_smallILi43E19rocblas_complex_numIfEPS3_EEvT1_iilPiilS6_bb: ; @_ZN9rocsolver6v33100L18getri_kernel_smallILi43E19rocblas_complex_numIfEPS3_EEvT1_iilPiilS6_bb
; %bb.0:
	s_mov_b32 s2, exec_lo
	v_cmpx_gt_u32_e32 43, v0
	s_cbranch_execz .LBB42_186
; %bb.1:
	s_clause 0x2
	s_load_b32 s2, s[0:1], 0x38
	s_load_b128 s[12:15], s[0:1], 0x10
	s_load_b128 s[4:7], s[0:1], 0x28
	s_mov_b32 s16, ttmp9
	s_wait_kmcnt 0x0
	s_bitcmp1_b32 s2, 8
	s_cselect_b32 s18, -1, 0
	s_bfe_u32 s2, s2, 0x10008
	s_ashr_i32 s17, ttmp9, 31
	s_cmp_eq_u32 s2, 0
                                        ; implicit-def: $sgpr2_sgpr3
	s_cbranch_scc1 .LBB42_3
; %bb.2:
	s_load_b32 s2, s[0:1], 0x20
	s_mul_u64 s[4:5], s[4:5], s[16:17]
	s_delay_alu instid0(SALU_CYCLE_1) | instskip(NEXT) | instid1(SALU_CYCLE_1)
	s_lshl_b64 s[4:5], s[4:5], 2
	s_add_nc_u64 s[4:5], s[14:15], s[4:5]
	s_wait_kmcnt 0x0
	s_ashr_i32 s3, s2, 31
	s_delay_alu instid0(SALU_CYCLE_1) | instskip(NEXT) | instid1(SALU_CYCLE_1)
	s_lshl_b64 s[2:3], s[2:3], 2
	s_add_nc_u64 s[2:3], s[4:5], s[2:3]
.LBB42_3:
	s_clause 0x1
	s_load_b128 s[8:11], s[0:1], 0x0
	s_load_b32 s4, s[0:1], 0x38
	s_mul_u64 s[0:1], s[12:13], s[16:17]
	v_lshlrev_b32_e32 v13, 3, v0
	s_lshl_b64 s[0:1], s[0:1], 3
	s_wait_kmcnt 0x0
	v_add3_u32 v3, s11, s11, v0
	s_ashr_i32 s13, s10, 31
	s_mov_b32 s12, s10
	s_add_nc_u64 s[0:1], s[8:9], s[0:1]
	s_lshl_b64 s[12:13], s[12:13], 3
	v_add_nc_u32_e32 v5, s11, v3
	v_ashrrev_i32_e32 v4, 31, v3
	s_add_nc_u64 s[0:1], s[0:1], s[12:13]
	s_ashr_i32 s9, s11, 31
	v_add_co_u32 v24, s5, s0, v13
	v_add_nc_u32_e32 v7, s11, v5
	s_mov_b32 s8, s11
	v_lshlrev_b64_e32 v[3:4], 3, v[3:4]
	v_add_co_ci_u32_e64 v25, null, s1, 0, s5
	s_delay_alu instid0(VALU_DEP_3) | instskip(SKIP_3) | instid1(VALU_DEP_1)
	v_add_nc_u32_e32 v9, s11, v7
	s_lshl_b64 s[8:9], s[8:9], 3
	v_ashrrev_i32_e32 v6, 31, v5
	v_add_co_u32 v26, vcc_lo, v24, s8
	v_add_co_ci_u32_e64 v27, null, s9, v25, vcc_lo
	v_add_co_u32 v28, vcc_lo, s0, v3
	v_add_nc_u32_e32 v3, s11, v9
	v_lshlrev_b64_e32 v[5:6], 3, v[5:6]
	v_ashrrev_i32_e32 v8, 31, v7
	v_ashrrev_i32_e32 v10, 31, v9
	s_wait_alu 0xfffd
	v_add_co_ci_u32_e64 v29, null, s1, v4, vcc_lo
	v_add_nc_u32_e32 v11, s11, v3
	v_ashrrev_i32_e32 v4, 31, v3
	v_lshlrev_b64_e32 v[7:8], 3, v[7:8]
	v_add_co_u32 v30, vcc_lo, s0, v5
	s_wait_alu 0xfffd
	v_add_co_ci_u32_e64 v31, null, s1, v6, vcc_lo
	v_lshlrev_b64_e32 v[5:6], 3, v[9:10]
	v_add_nc_u32_e32 v16, s11, v11
	v_lshlrev_b64_e32 v[14:15], 3, v[3:4]
	v_ashrrev_i32_e32 v12, 31, v11
	v_add_co_u32 v32, vcc_lo, s0, v7
	s_delay_alu instid0(VALU_DEP_4)
	v_ashrrev_i32_e32 v17, 31, v16
	v_add_nc_u32_e32 v18, s11, v16
	s_wait_alu 0xfffd
	v_add_co_ci_u32_e64 v33, null, s1, v8, vcc_lo
	v_add_co_u32 v34, vcc_lo, s0, v5
	v_lshlrev_b64_e32 v[11:12], 3, v[11:12]
	s_wait_alu 0xfffd
	v_add_co_ci_u32_e64 v35, null, s1, v6, vcc_lo
	v_add_co_u32 v36, vcc_lo, s0, v14
	s_wait_alu 0xfffd
	v_add_co_ci_u32_e64 v37, null, s1, v15, vcc_lo
	v_lshlrev_b64_e32 v[14:15], 3, v[16:17]
	v_ashrrev_i32_e32 v19, 31, v18
	v_add_nc_u32_e32 v16, s11, v18
	v_add_co_u32 v38, vcc_lo, s0, v11
	s_wait_alu 0xfffd
	v_add_co_ci_u32_e64 v39, null, s1, v12, vcc_lo
	v_lshlrev_b64_e32 v[11:12], 3, v[18:19]
	v_ashrrev_i32_e32 v17, 31, v16
	v_add_nc_u32_e32 v18, s11, v16
	;; [unrolled: 6-line block ×24, first 2 shown]
	v_add_co_u32 v84, vcc_lo, s0, v14
	s_wait_alu 0xfffd
	v_add_co_ci_u32_e64 v85, null, s1, v15, vcc_lo
	v_lshlrev_b64_e32 v[14:15], 3, v[16:17]
	v_add_nc_u32_e32 v16, s11, v18
	v_ashrrev_i32_e32 v19, 31, v18
	v_add_co_u32 v86, vcc_lo, s0, v11
	s_wait_alu 0xfffd
	v_add_co_ci_u32_e64 v87, null, s1, v12, vcc_lo
	v_add_nc_u32_e32 v22, s11, v16
	v_lshlrev_b64_e32 v[11:12], 3, v[18:19]
	v_add_co_u32 v88, vcc_lo, s0, v14
	s_wait_alu 0xfffd
	v_add_co_ci_u32_e64 v89, null, s1, v15, vcc_lo
	v_ashrrev_i32_e32 v23, 31, v22
	s_delay_alu instid0(VALU_DEP_4) | instskip(SKIP_2) | instid1(VALU_DEP_3)
	v_add_co_u32 v90, vcc_lo, s0, v11
	s_wait_alu 0xfffd
	v_add_co_ci_u32_e64 v91, null, s1, v12, vcc_lo
	v_lshlrev_b64_e32 v[11:12], 3, v[22:23]
	v_add_nc_u32_e32 v22, s11, v22
	v_ashrrev_i32_e32 v17, 31, v16
	s_clause 0x4
	global_load_b64 v[1:2], v13, s[0:1]
	global_load_b64 v[3:4], v[26:27], off
	global_load_b64 v[5:6], v[28:29], off
	;; [unrolled: 1-line block ×4, first 2 shown]
	s_bitcmp0_b32 s4, 0
	v_add_nc_u32_e32 v98, s11, v22
	v_ashrrev_i32_e32 v23, 31, v22
	v_lshlrev_b64_e32 v[14:15], 3, v[16:17]
	s_delay_alu instid0(VALU_DEP_3) | instskip(NEXT) | instid1(VALU_DEP_3)
	v_add_nc_u32_e32 v100, s11, v98
	v_lshlrev_b64_e32 v[22:23], 3, v[22:23]
	v_ashrrev_i32_e32 v99, 31, v98
	s_delay_alu instid0(VALU_DEP_4) | instskip(NEXT) | instid1(VALU_DEP_4)
	v_add_co_u32 v92, vcc_lo, s0, v14
	v_add_nc_u32_e32 v102, s11, v100
	s_wait_alu 0xfffd
	v_add_co_ci_u32_e64 v93, null, s1, v15, vcc_lo
	v_add_co_u32 v94, vcc_lo, s0, v11
	s_wait_alu 0xfffd
	v_add_co_ci_u32_e64 v95, null, s1, v12, vcc_lo
	v_add_co_u32 v96, vcc_lo, s0, v22
	v_add_nc_u32_e32 v104, s11, v102
	s_wait_alu 0xfffd
	v_add_co_ci_u32_e64 v97, null, s1, v23, vcc_lo
	v_lshlrev_b64_e32 v[22:23], 3, v[98:99]
	v_ashrrev_i32_e32 v101, 31, v100
	v_ashrrev_i32_e32 v103, 31, v102
	v_add_nc_u32_e32 v106, s11, v104
	v_ashrrev_i32_e32 v105, 31, v104
	s_clause 0xf
	global_load_b64 v[11:12], v[34:35], off
	global_load_b64 v[14:15], v[36:37], off
	;; [unrolled: 1-line block ×16, first 2 shown]
	v_lshlrev_b64_e32 v[100:101], 3, v[100:101]
	v_add_co_u32 v98, vcc_lo, s0, v22
	s_wait_alu 0xfffd
	v_add_co_ci_u32_e64 v99, null, s1, v23, vcc_lo
	v_lshlrev_b64_e32 v[22:23], 3, v[102:103]
	v_add_nc_u32_e32 v108, s11, v106
	v_ashrrev_i32_e32 v107, 31, v106
	v_add_co_u32 v100, vcc_lo, s0, v100
	s_wait_alu 0xfffd
	v_add_co_ci_u32_e64 v101, null, s1, v101, vcc_lo
	v_ashrrev_i32_e32 v109, 31, v108
	v_lshlrev_b64_e32 v[104:105], 3, v[104:105]
	v_add_co_u32 v102, vcc_lo, s0, v22
	s_wait_alu 0xfffd
	v_add_co_ci_u32_e64 v103, null, s1, v23, vcc_lo
	v_lshlrev_b64_e32 v[22:23], 3, v[106:107]
	v_lshlrev_b64_e32 v[108:109], 3, v[108:109]
	v_add_co_u32 v104, vcc_lo, s0, v104
	s_wait_alu 0xfffd
	v_add_co_ci_u32_e64 v105, null, s1, v105, vcc_lo
	s_delay_alu instid0(VALU_DEP_4)
	v_add_co_u32 v106, vcc_lo, s0, v22
	s_wait_alu 0xfffd
	v_add_co_ci_u32_e64 v107, null, s1, v23, vcc_lo
	v_add_co_u32 v108, vcc_lo, s0, v108
	s_clause 0xf
	global_load_b64 v[132:133], v[66:67], off
	global_load_b64 v[134:135], v[68:69], off
	;; [unrolled: 1-line block ×16, first 2 shown]
	s_wait_alu 0xfffd
	v_add_co_ci_u32_e64 v109, null, s1, v109, vcc_lo
	s_clause 0x5
	global_load_b64 v[164:165], v[98:99], off
	global_load_b64 v[166:167], v[100:101], off
	;; [unrolled: 1-line block ×6, first 2 shown]
	s_mov_b32 s1, -1
	s_wait_loadcnt 0x29
	scratch_store_b128 off, v[1:4], off
	s_wait_loadcnt 0x27
	scratch_store_b128 off, v[5:8], off offset:16
	s_wait_loadcnt 0x25
	scratch_store_b128 off, v[9:12], off offset:32
	;; [unrolled: 2-line block ×20, first 2 shown]
	s_wait_loadcnt 0x0
	scratch_store_b64 off, v[22:23], off offset:336
	s_cbranch_scc1 .LBB42_184
; %bb.4:
	v_cmp_eq_u32_e64 s0, 0, v0
	s_and_saveexec_b32 s1, s0
; %bb.5:
	v_mov_b32_e32 v1, 0
	ds_store_b32 v1, v1 offset:344
; %bb.6:
	s_wait_alu 0xfffe
	s_or_b32 exec_lo, exec_lo, s1
	s_wait_storecnt_dscnt 0x0
	s_barrier_signal -1
	s_barrier_wait -1
	global_inv scope:SCOPE_SE
	scratch_load_b64 v[1:2], v13, off
	s_wait_loadcnt 0x0
	v_cmp_eq_f32_e32 vcc_lo, 0, v1
	v_cmp_eq_f32_e64 s1, 0, v2
	s_and_b32 s1, vcc_lo, s1
	s_wait_alu 0xfffe
	s_and_saveexec_b32 s4, s1
	s_cbranch_execz .LBB42_10
; %bb.7:
	v_mov_b32_e32 v1, 0
	s_mov_b32 s5, 0
	ds_load_b32 v2, v1 offset:344
	s_wait_dscnt 0x0
	v_readfirstlane_b32 s1, v2
	v_add_nc_u32_e32 v2, 1, v0
	s_cmp_eq_u32 s1, 0
	s_delay_alu instid0(VALU_DEP_1)
	v_cmp_gt_i32_e32 vcc_lo, s1, v2
	s_cselect_b32 s8, -1, 0
	s_wait_alu 0xfffe
	s_or_b32 s8, s8, vcc_lo
	s_wait_alu 0xfffe
	s_and_b32 exec_lo, exec_lo, s8
	s_cbranch_execz .LBB42_10
; %bb.8:
	v_mov_b32_e32 v3, s1
.LBB42_9:                               ; =>This Inner Loop Header: Depth=1
	ds_cmpstore_rtn_b32 v3, v1, v2, v3 offset:344
	s_wait_dscnt 0x0
	v_cmp_ne_u32_e32 vcc_lo, 0, v3
	v_cmp_le_i32_e64 s1, v3, v2
	s_and_b32 s1, vcc_lo, s1
	s_wait_alu 0xfffe
	s_and_b32 s1, exec_lo, s1
	s_wait_alu 0xfffe
	s_or_b32 s5, s1, s5
	s_wait_alu 0xfffe
	s_and_not1_b32 exec_lo, exec_lo, s5
	s_cbranch_execnz .LBB42_9
.LBB42_10:
	s_wait_alu 0xfffe
	s_or_b32 exec_lo, exec_lo, s4
	v_mov_b32_e32 v1, 0
	s_barrier_signal -1
	s_barrier_wait -1
	global_inv scope:SCOPE_SE
	ds_load_b32 v2, v1 offset:344
	s_and_saveexec_b32 s1, s0
	s_cbranch_execz .LBB42_12
; %bb.11:
	s_lshl_b64 s[4:5], s[16:17], 2
	s_wait_alu 0xfffe
	s_add_nc_u64 s[4:5], s[6:7], s[4:5]
	s_wait_dscnt 0x0
	global_store_b32 v1, v2, s[4:5]
.LBB42_12:
	s_wait_alu 0xfffe
	s_or_b32 exec_lo, exec_lo, s1
	s_wait_dscnt 0x0
	v_cmp_ne_u32_e32 vcc_lo, 0, v2
	s_mov_b32 s1, 0
	s_cbranch_vccnz .LBB42_184
; %bb.13:
	v_mov_b32_e32 v7, v13
                                        ; implicit-def: $vgpr3
                                        ; implicit-def: $vgpr5
	scratch_load_b64 v[1:2], v7, off
	s_wait_loadcnt 0x0
	v_cmp_ngt_f32_e64 s1, |v1|, |v2|
	s_wait_alu 0xfffe
	s_and_saveexec_b32 s4, s1
	s_wait_alu 0xfffe
	s_xor_b32 s1, exec_lo, s4
	s_cbranch_execz .LBB42_15
; %bb.14:
	v_div_scale_f32 v3, null, v2, v2, v1
	v_div_scale_f32 v6, vcc_lo, v1, v2, v1
	s_delay_alu instid0(VALU_DEP_2) | instskip(NEXT) | instid1(TRANS32_DEP_1)
	v_rcp_f32_e32 v4, v3
	v_fma_f32 v5, -v3, v4, 1.0
	s_delay_alu instid0(VALU_DEP_1) | instskip(NEXT) | instid1(VALU_DEP_1)
	v_fmac_f32_e32 v4, v5, v4
	v_mul_f32_e32 v5, v6, v4
	s_delay_alu instid0(VALU_DEP_1) | instskip(NEXT) | instid1(VALU_DEP_1)
	v_fma_f32 v8, -v3, v5, v6
	v_fmac_f32_e32 v5, v8, v4
	s_delay_alu instid0(VALU_DEP_1) | instskip(SKIP_1) | instid1(VALU_DEP_1)
	v_fma_f32 v3, -v3, v5, v6
	s_wait_alu 0xfffd
	v_div_fmas_f32 v3, v3, v4, v5
	s_delay_alu instid0(VALU_DEP_1) | instskip(NEXT) | instid1(VALU_DEP_1)
	v_div_fixup_f32 v3, v3, v2, v1
	v_fmac_f32_e32 v2, v1, v3
	s_delay_alu instid0(VALU_DEP_1) | instskip(NEXT) | instid1(VALU_DEP_1)
	v_div_scale_f32 v1, null, v2, v2, 1.0
	v_rcp_f32_e32 v4, v1
	s_delay_alu instid0(TRANS32_DEP_1) | instskip(NEXT) | instid1(VALU_DEP_1)
	v_fma_f32 v5, -v1, v4, 1.0
	v_fmac_f32_e32 v4, v5, v4
	v_div_scale_f32 v5, vcc_lo, 1.0, v2, 1.0
	s_delay_alu instid0(VALU_DEP_1) | instskip(NEXT) | instid1(VALU_DEP_1)
	v_mul_f32_e32 v6, v5, v4
	v_fma_f32 v8, -v1, v6, v5
	s_delay_alu instid0(VALU_DEP_1) | instskip(NEXT) | instid1(VALU_DEP_1)
	v_fmac_f32_e32 v6, v8, v4
	v_fma_f32 v1, -v1, v6, v5
	s_wait_alu 0xfffd
	s_delay_alu instid0(VALU_DEP_1) | instskip(NEXT) | instid1(VALU_DEP_1)
	v_div_fmas_f32 v1, v1, v4, v6
	v_div_fixup_f32 v1, v1, v2, 1.0
	s_delay_alu instid0(VALU_DEP_1) | instskip(SKIP_1) | instid1(VALU_DEP_2)
	v_mul_f32_e32 v3, v3, v1
	v_xor_b32_e32 v4, 0x80000000, v1
                                        ; implicit-def: $vgpr1_vgpr2
	v_xor_b32_e32 v5, 0x80000000, v3
.LBB42_15:
	s_wait_alu 0xfffe
	s_and_not1_saveexec_b32 s1, s1
	s_cbranch_execz .LBB42_17
; %bb.16:
	v_div_scale_f32 v3, null, v1, v1, v2
	v_div_scale_f32 v6, vcc_lo, v2, v1, v2
	s_delay_alu instid0(VALU_DEP_2) | instskip(NEXT) | instid1(TRANS32_DEP_1)
	v_rcp_f32_e32 v4, v3
	v_fma_f32 v5, -v3, v4, 1.0
	s_delay_alu instid0(VALU_DEP_1) | instskip(NEXT) | instid1(VALU_DEP_1)
	v_fmac_f32_e32 v4, v5, v4
	v_mul_f32_e32 v5, v6, v4
	s_delay_alu instid0(VALU_DEP_1) | instskip(NEXT) | instid1(VALU_DEP_1)
	v_fma_f32 v8, -v3, v5, v6
	v_fmac_f32_e32 v5, v8, v4
	s_delay_alu instid0(VALU_DEP_1) | instskip(SKIP_1) | instid1(VALU_DEP_1)
	v_fma_f32 v3, -v3, v5, v6
	s_wait_alu 0xfffd
	v_div_fmas_f32 v3, v3, v4, v5
	s_delay_alu instid0(VALU_DEP_1) | instskip(NEXT) | instid1(VALU_DEP_1)
	v_div_fixup_f32 v4, v3, v1, v2
	v_fmac_f32_e32 v1, v2, v4
	s_delay_alu instid0(VALU_DEP_1) | instskip(SKIP_1) | instid1(VALU_DEP_2)
	v_div_scale_f32 v2, null, v1, v1, 1.0
	v_div_scale_f32 v6, vcc_lo, 1.0, v1, 1.0
	v_rcp_f32_e32 v3, v2
	s_delay_alu instid0(TRANS32_DEP_1) | instskip(NEXT) | instid1(VALU_DEP_1)
	v_fma_f32 v5, -v2, v3, 1.0
	v_fmac_f32_e32 v3, v5, v3
	s_delay_alu instid0(VALU_DEP_1) | instskip(NEXT) | instid1(VALU_DEP_1)
	v_mul_f32_e32 v5, v6, v3
	v_fma_f32 v8, -v2, v5, v6
	s_delay_alu instid0(VALU_DEP_1) | instskip(NEXT) | instid1(VALU_DEP_1)
	v_fmac_f32_e32 v5, v8, v3
	v_fma_f32 v2, -v2, v5, v6
	s_wait_alu 0xfffd
	s_delay_alu instid0(VALU_DEP_1) | instskip(NEXT) | instid1(VALU_DEP_1)
	v_div_fmas_f32 v2, v2, v3, v5
	v_div_fixup_f32 v3, v2, v1, 1.0
	s_delay_alu instid0(VALU_DEP_1)
	v_xor_b32_e32 v5, 0x80000000, v3
	v_mul_f32_e64 v4, v4, -v3
.LBB42_17:
	s_wait_alu 0xfffe
	s_or_b32 exec_lo, exec_lo, s1
	scratch_store_b64 v7, v[3:4], off
	scratch_load_b64 v[2:3], off, off offset:8
	v_xor_b32_e32 v6, 0x80000000, v4
	v_add_nc_u32_e32 v1, 0x160, v13
	s_wait_loadcnt 0x0
	ds_store_2addr_b64 v13, v[5:6], v[2:3] offset1:44
	s_wait_storecnt_dscnt 0x0
	s_barrier_signal -1
	s_barrier_wait -1
	global_inv scope:SCOPE_SE
	s_and_saveexec_b32 s1, s0
	s_cbranch_execz .LBB42_19
; %bb.18:
	scratch_load_b64 v[2:3], v7, off
	ds_load_b64 v[4:5], v1
	v_mov_b32_e32 v6, 0
	ds_load_b64 v[8:9], v6 offset:8
	s_wait_loadcnt_dscnt 0x1
	v_mul_f32_e32 v6, v4, v3
	v_mul_f32_e32 v3, v5, v3
	s_delay_alu instid0(VALU_DEP_2) | instskip(NEXT) | instid1(VALU_DEP_2)
	v_fmac_f32_e32 v6, v5, v2
	v_fma_f32 v2, v4, v2, -v3
	s_delay_alu instid0(VALU_DEP_2) | instskip(SKIP_1) | instid1(VALU_DEP_1)
	v_add_f32_e32 v4, 0, v6
	s_wait_dscnt 0x0
	v_dual_add_f32 v2, 0, v2 :: v_dual_mul_f32 v5, v4, v9
	s_delay_alu instid0(VALU_DEP_1) | instskip(NEXT) | instid1(VALU_DEP_1)
	v_mul_f32_e32 v3, v2, v9
	v_fmac_f32_e32 v3, v4, v8
	s_delay_alu instid0(VALU_DEP_3)
	v_fma_f32 v2, v2, v8, -v5
	scratch_store_b64 off, v[2:3], off offset:8
.LBB42_19:
	s_wait_alu 0xfffe
	s_or_b32 exec_lo, exec_lo, s1
	s_wait_loadcnt 0x0
	s_wait_storecnt 0x0
	s_barrier_signal -1
	s_barrier_wait -1
	global_inv scope:SCOPE_SE
	scratch_load_b64 v[2:3], off, off offset:16
	s_mov_b32 s1, exec_lo
	s_wait_loadcnt 0x0
	ds_store_b64 v1, v[2:3]
	s_wait_dscnt 0x0
	s_barrier_signal -1
	s_barrier_wait -1
	global_inv scope:SCOPE_SE
	v_cmpx_gt_u32_e32 2, v0
	s_cbranch_execz .LBB42_23
; %bb.20:
	scratch_load_b64 v[2:3], v7, off
	ds_load_b64 v[4:5], v1
	s_wait_loadcnt_dscnt 0x0
	v_mul_f32_e32 v6, v5, v3
	v_mul_f32_e32 v8, v4, v3
	s_delay_alu instid0(VALU_DEP_2) | instskip(NEXT) | instid1(VALU_DEP_1)
	v_fma_f32 v3, v4, v2, -v6
	v_dual_fmac_f32 v8, v5, v2 :: v_dual_add_f32 v3, 0, v3
	s_delay_alu instid0(VALU_DEP_1)
	v_add_f32_e32 v2, 0, v8
	s_and_saveexec_b32 s4, s0
	s_cbranch_execz .LBB42_22
; %bb.21:
	scratch_load_b64 v[4:5], off, off offset:8
	v_mov_b32_e32 v6, 0
	ds_load_b64 v[8:9], v6 offset:360
	s_wait_loadcnt_dscnt 0x0
	v_mul_f32_e32 v6, v8, v5
	v_mul_f32_e32 v5, v9, v5
	s_delay_alu instid0(VALU_DEP_2) | instskip(NEXT) | instid1(VALU_DEP_2)
	v_fmac_f32_e32 v6, v9, v4
	v_fma_f32 v4, v8, v4, -v5
	s_delay_alu instid0(VALU_DEP_1)
	v_dual_add_f32 v2, v2, v6 :: v_dual_add_f32 v3, v3, v4
.LBB42_22:
	s_wait_alu 0xfffe
	s_or_b32 exec_lo, exec_lo, s4
	v_mov_b32_e32 v4, 0
	ds_load_b64 v[4:5], v4 offset:16
	s_wait_dscnt 0x0
	v_mul_f32_e32 v8, v2, v5
	v_mul_f32_e32 v6, v3, v5
	s_delay_alu instid0(VALU_DEP_2) | instskip(NEXT) | instid1(VALU_DEP_2)
	v_fma_f32 v5, v3, v4, -v8
	v_fmac_f32_e32 v6, v2, v4
	scratch_store_b64 off, v[5:6], off offset:16
.LBB42_23:
	s_wait_alu 0xfffe
	s_or_b32 exec_lo, exec_lo, s1
	s_wait_loadcnt 0x0
	s_wait_storecnt 0x0
	s_barrier_signal -1
	s_barrier_wait -1
	global_inv scope:SCOPE_SE
	scratch_load_b64 v[3:4], off, off offset:24
	v_add_nc_u32_e32 v2, -1, v0
	s_mov_b32 s0, exec_lo
	s_wait_loadcnt 0x0
	ds_store_b64 v1, v[3:4]
	s_wait_dscnt 0x0
	s_barrier_signal -1
	s_barrier_wait -1
	global_inv scope:SCOPE_SE
	v_cmpx_gt_u32_e32 3, v0
	s_cbranch_execz .LBB42_27
; %bb.24:
	v_dual_mov_b32 v3, 0 :: v_dual_add_nc_u32 v4, -1, v0
	v_dual_mov_b32 v6, v13 :: v_dual_add_nc_u32 v5, 0x160, v13
	v_mov_b32_e32 v8, 0
	s_mov_b32 s1, 0
.LBB42_25:                              ; =>This Inner Loop Header: Depth=1
	scratch_load_b64 v[9:10], v6, off
	ds_load_b64 v[11:12], v5
	v_add_nc_u32_e32 v6, 8, v6
	s_wait_loadcnt_dscnt 0x0
	v_dual_mul_f32 v14, v12, v10 :: v_dual_add_nc_u32 v5, 8, v5
	v_mul_f32_e32 v10, v11, v10
	s_delay_alu instid0(VALU_DEP_2) | instskip(NEXT) | instid1(VALU_DEP_2)
	v_fma_f32 v11, v11, v9, -v14
	v_fmac_f32_e32 v10, v12, v9
	v_add_nc_u32_e32 v4, 1, v4
	s_delay_alu instid0(VALU_DEP_2) | instskip(NEXT) | instid1(VALU_DEP_2)
	v_dual_add_f32 v8, v8, v11 :: v_dual_add_f32 v3, v3, v10
	v_cmp_lt_u32_e32 vcc_lo, 1, v4
	s_wait_alu 0xfffe
	s_or_b32 s1, vcc_lo, s1
	s_wait_alu 0xfffe
	s_and_not1_b32 exec_lo, exec_lo, s1
	s_cbranch_execnz .LBB42_25
; %bb.26:
	s_or_b32 exec_lo, exec_lo, s1
	v_mov_b32_e32 v4, 0
	ds_load_b64 v[4:5], v4 offset:24
	s_wait_dscnt 0x0
	v_mul_f32_e32 v9, v3, v5
	v_mul_f32_e32 v6, v8, v5
	s_delay_alu instid0(VALU_DEP_2) | instskip(NEXT) | instid1(VALU_DEP_2)
	v_fma_f32 v5, v8, v4, -v9
	v_fmac_f32_e32 v6, v3, v4
	scratch_store_b64 off, v[5:6], off offset:24
.LBB42_27:
	s_wait_alu 0xfffe
	s_or_b32 exec_lo, exec_lo, s0
	s_wait_loadcnt 0x0
	s_wait_storecnt 0x0
	s_barrier_signal -1
	s_barrier_wait -1
	global_inv scope:SCOPE_SE
	scratch_load_b64 v[3:4], off, off offset:32
	s_mov_b32 s0, exec_lo
	s_wait_loadcnt 0x0
	ds_store_b64 v1, v[3:4]
	s_wait_dscnt 0x0
	s_barrier_signal -1
	s_barrier_wait -1
	global_inv scope:SCOPE_SE
	v_cmpx_gt_u32_e32 4, v0
	s_cbranch_execz .LBB42_31
; %bb.28:
	v_dual_mov_b32 v3, 0 :: v_dual_add_nc_u32 v4, -1, v0
	v_dual_mov_b32 v6, v13 :: v_dual_add_nc_u32 v5, 0x160, v13
	v_mov_b32_e32 v8, 0
	s_mov_b32 s1, 0
.LBB42_29:                              ; =>This Inner Loop Header: Depth=1
	scratch_load_b64 v[9:10], v6, off
	ds_load_b64 v[11:12], v5
	v_add_nc_u32_e32 v6, 8, v6
	s_wait_loadcnt_dscnt 0x0
	v_dual_mul_f32 v14, v12, v10 :: v_dual_add_nc_u32 v5, 8, v5
	v_mul_f32_e32 v10, v11, v10
	s_delay_alu instid0(VALU_DEP_2) | instskip(NEXT) | instid1(VALU_DEP_2)
	v_fma_f32 v11, v11, v9, -v14
	v_fmac_f32_e32 v10, v12, v9
	v_add_nc_u32_e32 v4, 1, v4
	s_delay_alu instid0(VALU_DEP_2) | instskip(NEXT) | instid1(VALU_DEP_2)
	v_dual_add_f32 v8, v8, v11 :: v_dual_add_f32 v3, v3, v10
	v_cmp_lt_u32_e32 vcc_lo, 2, v4
	s_wait_alu 0xfffe
	s_or_b32 s1, vcc_lo, s1
	s_wait_alu 0xfffe
	s_and_not1_b32 exec_lo, exec_lo, s1
	s_cbranch_execnz .LBB42_29
; %bb.30:
	s_or_b32 exec_lo, exec_lo, s1
	v_mov_b32_e32 v4, 0
	ds_load_b64 v[4:5], v4 offset:32
	s_wait_dscnt 0x0
	v_mul_f32_e32 v9, v3, v5
	v_mul_f32_e32 v6, v8, v5
	s_delay_alu instid0(VALU_DEP_2) | instskip(NEXT) | instid1(VALU_DEP_2)
	v_fma_f32 v5, v8, v4, -v9
	v_fmac_f32_e32 v6, v3, v4
	scratch_store_b64 off, v[5:6], off offset:32
.LBB42_31:
	s_wait_alu 0xfffe
	s_or_b32 exec_lo, exec_lo, s0
	s_wait_loadcnt 0x0
	s_wait_storecnt 0x0
	s_barrier_signal -1
	s_barrier_wait -1
	global_inv scope:SCOPE_SE
	scratch_load_b64 v[3:4], off, off offset:40
	;; [unrolled: 53-line block ×19, first 2 shown]
	s_mov_b32 s0, exec_lo
	s_wait_loadcnt 0x0
	ds_store_b64 v1, v[3:4]
	s_wait_dscnt 0x0
	s_barrier_signal -1
	s_barrier_wait -1
	global_inv scope:SCOPE_SE
	v_cmpx_gt_u32_e32 22, v0
	s_cbranch_execz .LBB42_103
; %bb.100:
	v_dual_mov_b32 v3, 0 :: v_dual_add_nc_u32 v4, -1, v0
	v_dual_mov_b32 v6, v13 :: v_dual_add_nc_u32 v5, 0x160, v13
	v_mov_b32_e32 v8, 0
	s_mov_b32 s1, 0
.LBB42_101:                             ; =>This Inner Loop Header: Depth=1
	scratch_load_b64 v[9:10], v6, off
	ds_load_b64 v[11:12], v5
	v_add_nc_u32_e32 v6, 8, v6
	s_wait_loadcnt_dscnt 0x0
	v_dual_mul_f32 v14, v12, v10 :: v_dual_add_nc_u32 v5, 8, v5
	v_mul_f32_e32 v10, v11, v10
	s_delay_alu instid0(VALU_DEP_2) | instskip(NEXT) | instid1(VALU_DEP_2)
	v_fma_f32 v11, v11, v9, -v14
	v_fmac_f32_e32 v10, v12, v9
	v_add_nc_u32_e32 v4, 1, v4
	s_delay_alu instid0(VALU_DEP_2) | instskip(NEXT) | instid1(VALU_DEP_2)
	v_dual_add_f32 v8, v8, v11 :: v_dual_add_f32 v3, v3, v10
	v_cmp_lt_u32_e32 vcc_lo, 20, v4
	s_wait_alu 0xfffe
	s_or_b32 s1, vcc_lo, s1
	s_wait_alu 0xfffe
	s_and_not1_b32 exec_lo, exec_lo, s1
	s_cbranch_execnz .LBB42_101
; %bb.102:
	s_or_b32 exec_lo, exec_lo, s1
	v_mov_b32_e32 v4, 0
	ds_load_b64 v[4:5], v4 offset:176
	s_wait_dscnt 0x0
	v_mul_f32_e32 v9, v3, v5
	v_mul_f32_e32 v6, v8, v5
	s_delay_alu instid0(VALU_DEP_2) | instskip(NEXT) | instid1(VALU_DEP_2)
	v_fma_f32 v5, v8, v4, -v9
	v_fmac_f32_e32 v6, v3, v4
	scratch_store_b64 off, v[5:6], off offset:176
.LBB42_103:
	s_wait_alu 0xfffe
	s_or_b32 exec_lo, exec_lo, s0
	s_wait_loadcnt 0x0
	s_wait_storecnt 0x0
	s_barrier_signal -1
	s_barrier_wait -1
	global_inv scope:SCOPE_SE
	scratch_load_b64 v[3:4], off, off offset:184
	s_mov_b32 s0, exec_lo
	s_wait_loadcnt 0x0
	ds_store_b64 v1, v[3:4]
	s_wait_dscnt 0x0
	s_barrier_signal -1
	s_barrier_wait -1
	global_inv scope:SCOPE_SE
	v_cmpx_gt_u32_e32 23, v0
	s_cbranch_execz .LBB42_107
; %bb.104:
	v_dual_mov_b32 v3, 0 :: v_dual_add_nc_u32 v4, -1, v0
	v_dual_mov_b32 v6, v13 :: v_dual_add_nc_u32 v5, 0x160, v13
	v_mov_b32_e32 v8, 0
	s_mov_b32 s1, 0
.LBB42_105:                             ; =>This Inner Loop Header: Depth=1
	scratch_load_b64 v[9:10], v6, off
	ds_load_b64 v[11:12], v5
	v_add_nc_u32_e32 v6, 8, v6
	s_wait_loadcnt_dscnt 0x0
	v_dual_mul_f32 v14, v12, v10 :: v_dual_add_nc_u32 v5, 8, v5
	v_mul_f32_e32 v10, v11, v10
	s_delay_alu instid0(VALU_DEP_2) | instskip(NEXT) | instid1(VALU_DEP_2)
	v_fma_f32 v11, v11, v9, -v14
	v_fmac_f32_e32 v10, v12, v9
	v_add_nc_u32_e32 v4, 1, v4
	s_delay_alu instid0(VALU_DEP_2) | instskip(NEXT) | instid1(VALU_DEP_2)
	v_dual_add_f32 v8, v8, v11 :: v_dual_add_f32 v3, v3, v10
	v_cmp_lt_u32_e32 vcc_lo, 21, v4
	s_wait_alu 0xfffe
	s_or_b32 s1, vcc_lo, s1
	s_wait_alu 0xfffe
	s_and_not1_b32 exec_lo, exec_lo, s1
	s_cbranch_execnz .LBB42_105
; %bb.106:
	s_or_b32 exec_lo, exec_lo, s1
	v_mov_b32_e32 v4, 0
	ds_load_b64 v[4:5], v4 offset:184
	s_wait_dscnt 0x0
	v_mul_f32_e32 v9, v3, v5
	v_mul_f32_e32 v6, v8, v5
	s_delay_alu instid0(VALU_DEP_2) | instskip(NEXT) | instid1(VALU_DEP_2)
	v_fma_f32 v5, v8, v4, -v9
	v_fmac_f32_e32 v6, v3, v4
	scratch_store_b64 off, v[5:6], off offset:184
.LBB42_107:
	s_wait_alu 0xfffe
	s_or_b32 exec_lo, exec_lo, s0
	s_wait_loadcnt 0x0
	s_wait_storecnt 0x0
	s_barrier_signal -1
	s_barrier_wait -1
	global_inv scope:SCOPE_SE
	scratch_load_b64 v[3:4], off, off offset:192
	;; [unrolled: 53-line block ×19, first 2 shown]
	s_mov_b32 s0, exec_lo
	s_wait_loadcnt 0x0
	ds_store_b64 v1, v[3:4]
	s_wait_dscnt 0x0
	s_barrier_signal -1
	s_barrier_wait -1
	global_inv scope:SCOPE_SE
	v_cmpx_gt_u32_e32 41, v0
	s_cbranch_execz .LBB42_179
; %bb.176:
	v_dual_mov_b32 v3, 0 :: v_dual_add_nc_u32 v4, -1, v0
	v_dual_mov_b32 v6, v13 :: v_dual_add_nc_u32 v5, 0x160, v13
	v_mov_b32_e32 v8, 0
	s_mov_b32 s1, 0
.LBB42_177:                             ; =>This Inner Loop Header: Depth=1
	scratch_load_b64 v[9:10], v6, off
	ds_load_b64 v[11:12], v5
	v_add_nc_u32_e32 v6, 8, v6
	v_add_nc_u32_e32 v4, 1, v4
	;; [unrolled: 1-line block ×3, first 2 shown]
	s_delay_alu instid0(VALU_DEP_2)
	v_cmp_lt_u32_e32 vcc_lo, 39, v4
	s_wait_alu 0xfffe
	s_or_b32 s1, vcc_lo, s1
	s_wait_loadcnt_dscnt 0x0
	v_mul_f32_e32 v13, v12, v10
	v_mul_f32_e32 v10, v11, v10
	s_delay_alu instid0(VALU_DEP_2) | instskip(NEXT) | instid1(VALU_DEP_2)
	v_fma_f32 v11, v11, v9, -v13
	v_fmac_f32_e32 v10, v12, v9
	s_delay_alu instid0(VALU_DEP_1)
	v_dual_add_f32 v8, v8, v11 :: v_dual_add_f32 v3, v3, v10
	s_wait_alu 0xfffe
	s_and_not1_b32 exec_lo, exec_lo, s1
	s_cbranch_execnz .LBB42_177
; %bb.178:
	s_or_b32 exec_lo, exec_lo, s1
	v_mov_b32_e32 v4, 0
	ds_load_b64 v[4:5], v4 offset:328
	s_wait_dscnt 0x0
	v_mul_f32_e32 v9, v3, v5
	v_mul_f32_e32 v6, v8, v5
	s_delay_alu instid0(VALU_DEP_2) | instskip(NEXT) | instid1(VALU_DEP_2)
	v_fma_f32 v5, v8, v4, -v9
	v_fmac_f32_e32 v6, v3, v4
	scratch_store_b64 off, v[5:6], off offset:328
.LBB42_179:
	s_wait_alu 0xfffe
	s_or_b32 exec_lo, exec_lo, s0
	s_wait_loadcnt 0x0
	s_wait_storecnt 0x0
	s_barrier_signal -1
	s_barrier_wait -1
	global_inv scope:SCOPE_SE
	scratch_load_b64 v[3:4], off, off offset:336
	s_mov_b32 s0, exec_lo
	s_wait_loadcnt 0x0
	ds_store_b64 v1, v[3:4]
	s_wait_dscnt 0x0
	s_barrier_signal -1
	s_barrier_wait -1
	global_inv scope:SCOPE_SE
	v_cmpx_ne_u32_e32 42, v0
	s_cbranch_execz .LBB42_183
; %bb.180:
	v_dual_mov_b32 v3, 0 :: v_dual_mov_b32 v4, 0
	s_mov_b32 s1, 0
.LBB42_181:                             ; =>This Inner Loop Header: Depth=1
	scratch_load_b64 v[5:6], v7, off
	ds_load_b64 v[8:9], v1
	v_add_nc_u32_e32 v2, 1, v2
	v_add_nc_u32_e32 v1, 8, v1
	;; [unrolled: 1-line block ×3, first 2 shown]
	s_delay_alu instid0(VALU_DEP_3)
	v_cmp_lt_u32_e32 vcc_lo, 40, v2
	s_wait_alu 0xfffe
	s_or_b32 s1, vcc_lo, s1
	s_wait_loadcnt_dscnt 0x0
	v_mul_f32_e32 v10, v9, v6
	v_mul_f32_e32 v6, v8, v6
	s_delay_alu instid0(VALU_DEP_2) | instskip(NEXT) | instid1(VALU_DEP_2)
	v_fma_f32 v8, v8, v5, -v10
	v_fmac_f32_e32 v6, v9, v5
	s_delay_alu instid0(VALU_DEP_1)
	v_dual_add_f32 v4, v4, v8 :: v_dual_add_f32 v3, v3, v6
	s_wait_alu 0xfffe
	s_and_not1_b32 exec_lo, exec_lo, s1
	s_cbranch_execnz .LBB42_181
; %bb.182:
	s_or_b32 exec_lo, exec_lo, s1
	v_mov_b32_e32 v1, 0
	ds_load_b64 v[1:2], v1 offset:336
	s_wait_dscnt 0x0
	v_mul_f32_e32 v6, v3, v2
	v_mul_f32_e32 v5, v4, v2
	s_delay_alu instid0(VALU_DEP_2) | instskip(NEXT) | instid1(VALU_DEP_2)
	v_fma_f32 v4, v4, v1, -v6
	v_fmac_f32_e32 v5, v3, v1
	scratch_store_b64 off, v[4:5], off offset:336
.LBB42_183:
	s_wait_alu 0xfffe
	s_or_b32 exec_lo, exec_lo, s0
	s_mov_b32 s1, -1
	s_wait_loadcnt 0x0
	s_wait_storecnt 0x0
	s_barrier_signal -1
	s_barrier_wait -1
	global_inv scope:SCOPE_SE
.LBB42_184:
	s_wait_alu 0xfffe
	s_and_b32 vcc_lo, exec_lo, s1
	s_wait_alu 0xfffe
	s_cbranch_vccz .LBB42_186
; %bb.185:
	v_mov_b32_e32 v1, 0
	s_lshl_b64 s[0:1], s[16:17], 2
	s_wait_alu 0xfffe
	s_add_nc_u64 s[0:1], s[6:7], s[0:1]
	global_load_b32 v1, v1, s[0:1]
	s_wait_loadcnt 0x0
	v_cmp_ne_u32_e32 vcc_lo, 0, v1
	s_cbranch_vccz .LBB42_187
.LBB42_186:
	s_nop 0
	s_sendmsg sendmsg(MSG_DEALLOC_VGPRS)
	s_endpgm
.LBB42_187:
	v_lshl_add_u32 v23, v0, 3, 0x160
	s_mov_b32 s0, exec_lo
	v_cmpx_eq_u32_e32 42, v0
	s_cbranch_execz .LBB42_189
; %bb.188:
	scratch_load_b64 v[1:2], off, off offset:328
	v_mov_b32_e32 v3, 0
	s_delay_alu instid0(VALU_DEP_1)
	v_mov_b32_e32 v4, v3
	scratch_store_b64 off, v[3:4], off offset:328
	s_wait_loadcnt 0x0
	ds_store_b64 v23, v[1:2]
.LBB42_189:
	s_wait_alu 0xfffe
	s_or_b32 exec_lo, exec_lo, s0
	s_wait_storecnt_dscnt 0x0
	s_barrier_signal -1
	s_barrier_wait -1
	global_inv scope:SCOPE_SE
	s_clause 0x1
	scratch_load_b64 v[2:3], off, off offset:336
	scratch_load_b64 v[4:5], off, off offset:328
	v_mov_b32_e32 v1, 0
	s_mov_b32 s0, exec_lo
	ds_load_b64 v[6:7], v1 offset:688
	s_wait_loadcnt_dscnt 0x100
	v_mul_f32_e32 v8, v7, v3
	v_mul_f32_e32 v3, v6, v3
	s_delay_alu instid0(VALU_DEP_2) | instskip(NEXT) | instid1(VALU_DEP_2)
	v_fma_f32 v6, v6, v2, -v8
	v_fmac_f32_e32 v3, v7, v2
	s_delay_alu instid0(VALU_DEP_1) | instskip(SKIP_1) | instid1(VALU_DEP_1)
	v_dual_add_f32 v2, 0, v6 :: v_dual_add_f32 v3, 0, v3
	s_wait_loadcnt 0x0
	v_dual_sub_f32 v2, v4, v2 :: v_dual_sub_f32 v3, v5, v3
	scratch_store_b64 off, v[2:3], off offset:328
	v_cmpx_lt_u32_e32 40, v0
	s_cbranch_execz .LBB42_191
; %bb.190:
	scratch_load_b64 v[3:4], off, off offset:320
	v_mov_b32_e32 v2, v1
	scratch_store_b64 off, v[1:2], off offset:320
	s_wait_loadcnt 0x0
	ds_store_b64 v23, v[3:4]
.LBB42_191:
	s_wait_alu 0xfffe
	s_or_b32 exec_lo, exec_lo, s0
	s_wait_storecnt_dscnt 0x0
	s_barrier_signal -1
	s_barrier_wait -1
	global_inv scope:SCOPE_SE
	s_clause 0x1
	scratch_load_b128 v[2:5], off, off offset:328
	scratch_load_b64 v[10:11], off, off offset:320
	ds_load_2addr_b64 v[6:9], v1 offset0:85 offset1:86
	s_mov_b32 s0, exec_lo
	s_wait_loadcnt_dscnt 0x100
	v_dual_mul_f32 v1, v7, v3 :: v_dual_mul_f32 v12, v8, v5
	v_mul_f32_e32 v3, v6, v3
	s_delay_alu instid0(VALU_DEP_2) | instskip(NEXT) | instid1(VALU_DEP_2)
	v_fma_f32 v1, v6, v2, -v1
	v_dual_fmac_f32 v12, v9, v4 :: v_dual_fmac_f32 v3, v7, v2
	s_delay_alu instid0(VALU_DEP_2) | instskip(NEXT) | instid1(VALU_DEP_2)
	v_add_f32_e32 v1, 0, v1
	v_add_f32_e32 v3, 0, v3
	v_mul_f32_e32 v5, v9, v5
	s_delay_alu instid0(VALU_DEP_1) | instskip(NEXT) | instid1(VALU_DEP_1)
	v_fma_f32 v2, v8, v4, -v5
	v_dual_add_f32 v1, v1, v2 :: v_dual_add_f32 v2, v3, v12
	s_wait_loadcnt 0x0
	s_delay_alu instid0(VALU_DEP_1)
	v_dual_sub_f32 v1, v10, v1 :: v_dual_sub_f32 v2, v11, v2
	scratch_store_b64 off, v[1:2], off offset:320
	v_cmpx_lt_u32_e32 39, v0
	s_cbranch_execz .LBB42_193
; %bb.192:
	scratch_load_b64 v[1:2], off, off offset:312
	v_mov_b32_e32 v3, 0
	s_delay_alu instid0(VALU_DEP_1)
	v_mov_b32_e32 v4, v3
	scratch_store_b64 off, v[3:4], off offset:312
	s_wait_loadcnt 0x0
	ds_store_b64 v23, v[1:2]
.LBB42_193:
	s_wait_alu 0xfffe
	s_or_b32 exec_lo, exec_lo, s0
	s_wait_storecnt_dscnt 0x0
	s_barrier_signal -1
	s_barrier_wait -1
	global_inv scope:SCOPE_SE
	s_clause 0x2
	scratch_load_b128 v[2:5], off, off offset:320
	scratch_load_b64 v[10:11], off, off offset:336
	scratch_load_b64 v[12:13], off, off offset:312
	v_mov_b32_e32 v1, 0
	ds_load_b128 v[6:9], v1 offset:672
	ds_load_b64 v[14:15], v1 offset:688
	s_mov_b32 s0, exec_lo
	s_wait_loadcnt_dscnt 0x201
	v_dual_mul_f32 v16, v7, v3 :: v_dual_mul_f32 v17, v8, v5
	s_wait_loadcnt_dscnt 0x100
	v_mul_f32_e32 v18, v14, v11
	v_mul_f32_e32 v3, v6, v3
	v_mul_f32_e32 v5, v9, v5
	v_fma_f32 v6, v6, v2, -v16
	s_delay_alu instid0(VALU_DEP_4) | instskip(NEXT) | instid1(VALU_DEP_4)
	v_fmac_f32_e32 v18, v15, v10
	v_fmac_f32_e32 v3, v7, v2
	v_mul_f32_e32 v2, v15, v11
	s_delay_alu instid0(VALU_DEP_1) | instskip(SKIP_3) | instid1(VALU_DEP_1)
	v_fma_f32 v2, v14, v10, -v2
	v_fmac_f32_e32 v17, v9, v4
	v_fma_f32 v4, v8, v4, -v5
	v_add_f32_e32 v5, 0, v6
	v_add_f32_e32 v4, v5, v4
	s_delay_alu instid0(VALU_DEP_1) | instskip(SKIP_1) | instid1(VALU_DEP_1)
	v_dual_add_f32 v2, v4, v2 :: v_dual_add_f32 v3, 0, v3
	s_wait_loadcnt 0x0
	v_dual_sub_f32 v2, v12, v2 :: v_dual_add_f32 v3, v3, v17
	s_delay_alu instid0(VALU_DEP_1) | instskip(NEXT) | instid1(VALU_DEP_1)
	v_add_f32_e32 v3, v3, v18
	v_sub_f32_e32 v3, v13, v3
	scratch_store_b64 off, v[2:3], off offset:312
	v_cmpx_lt_u32_e32 38, v0
	s_cbranch_execz .LBB42_195
; %bb.194:
	scratch_load_b64 v[3:4], off, off offset:304
	v_mov_b32_e32 v2, v1
	scratch_store_b64 off, v[1:2], off offset:304
	s_wait_loadcnt 0x0
	ds_store_b64 v23, v[3:4]
.LBB42_195:
	s_wait_alu 0xfffe
	s_or_b32 exec_lo, exec_lo, s0
	s_wait_storecnt_dscnt 0x0
	s_barrier_signal -1
	s_barrier_wait -1
	global_inv scope:SCOPE_SE
	s_clause 0x2
	scratch_load_b128 v[2:5], off, off offset:312
	scratch_load_b128 v[6:9], off, off offset:328
	scratch_load_b64 v[18:19], off, off offset:304
	ds_load_2addr_b64 v[10:13], v1 offset0:83 offset1:84
	ds_load_2addr_b64 v[14:17], v1 offset0:85 offset1:86
	s_mov_b32 s0, exec_lo
	s_wait_loadcnt_dscnt 0x201
	v_dual_mul_f32 v1, v10, v3 :: v_dual_mul_f32 v20, v12, v5
	s_wait_loadcnt_dscnt 0x100
	v_dual_mul_f32 v3, v11, v3 :: v_dual_mul_f32 v22, v16, v9
	v_mul_f32_e32 v5, v13, v5
	s_delay_alu instid0(VALU_DEP_3) | instskip(NEXT) | instid1(VALU_DEP_3)
	v_dual_mul_f32 v21, v14, v7 :: v_dual_fmac_f32 v20, v13, v4
	v_fma_f32 v3, v10, v2, -v3
	s_delay_alu instid0(VALU_DEP_4) | instskip(SKIP_2) | instid1(VALU_DEP_4)
	v_dual_fmac_f32 v1, v11, v2 :: v_dual_fmac_f32 v22, v17, v8
	v_mul_f32_e32 v2, v15, v7
	v_fma_f32 v4, v12, v4, -v5
	v_add_f32_e32 v3, 0, v3
	v_fmac_f32_e32 v21, v15, v6
	s_delay_alu instid0(VALU_DEP_4) | instskip(NEXT) | instid1(VALU_DEP_3)
	v_fma_f32 v2, v14, v6, -v2
	v_add_f32_e32 v3, v3, v4
	s_delay_alu instid0(VALU_DEP_1) | instskip(NEXT) | instid1(VALU_DEP_1)
	v_dual_add_f32 v1, 0, v1 :: v_dual_add_f32 v2, v3, v2
	v_add_f32_e32 v1, v1, v20
	s_delay_alu instid0(VALU_DEP_1) | instskip(NEXT) | instid1(VALU_DEP_1)
	v_add_f32_e32 v1, v1, v21
	v_add_f32_e32 v3, v1, v22
	v_mul_f32_e32 v5, v17, v9
	s_delay_alu instid0(VALU_DEP_1) | instskip(NEXT) | instid1(VALU_DEP_1)
	v_fma_f32 v4, v16, v8, -v5
	v_add_f32_e32 v2, v2, v4
	s_wait_loadcnt 0x0
	s_delay_alu instid0(VALU_DEP_1)
	v_dual_sub_f32 v1, v18, v2 :: v_dual_sub_f32 v2, v19, v3
	scratch_store_b64 off, v[1:2], off offset:304
	v_cmpx_lt_u32_e32 37, v0
	s_cbranch_execz .LBB42_197
; %bb.196:
	scratch_load_b64 v[1:2], off, off offset:296
	v_mov_b32_e32 v3, 0
	s_delay_alu instid0(VALU_DEP_1)
	v_mov_b32_e32 v4, v3
	scratch_store_b64 off, v[3:4], off offset:296
	s_wait_loadcnt 0x0
	ds_store_b64 v23, v[1:2]
.LBB42_197:
	s_wait_alu 0xfffe
	s_or_b32 exec_lo, exec_lo, s0
	s_wait_storecnt_dscnt 0x0
	s_barrier_signal -1
	s_barrier_wait -1
	global_inv scope:SCOPE_SE
	s_clause 0x3
	scratch_load_b128 v[2:5], off, off offset:304
	scratch_load_b128 v[6:9], off, off offset:320
	scratch_load_b64 v[18:19], off, off offset:336
	scratch_load_b64 v[20:21], off, off offset:296
	v_mov_b32_e32 v1, 0
	ds_load_b128 v[10:13], v1 offset:656
	ds_load_b128 v[14:17], v1 offset:672
	ds_load_b64 v[110:111], v1 offset:688
	s_mov_b32 s0, exec_lo
	s_wait_loadcnt_dscnt 0x302
	v_mul_f32_e32 v22, v10, v3
	v_dual_mul_f32 v112, v12, v5 :: v_dual_mul_f32 v3, v11, v3
	v_mul_f32_e32 v5, v13, v5
	s_wait_loadcnt_dscnt 0x100
	s_delay_alu instid0(VALU_DEP_3)
	v_dual_mul_f32 v115, v110, v19 :: v_dual_fmac_f32 v22, v11, v2
	v_dual_mul_f32 v113, v14, v7 :: v_dual_mul_f32 v114, v16, v9
	v_fma_f32 v3, v10, v2, -v3
	v_mul_f32_e32 v2, v15, v7
	v_fmac_f32_e32 v112, v13, v4
	v_fma_f32 v4, v12, v4, -v5
	v_dual_add_f32 v5, 0, v22 :: v_dual_fmac_f32 v114, v17, v8
	v_add_f32_e32 v3, 0, v3
	v_fma_f32 v2, v14, v6, -v2
	v_fmac_f32_e32 v113, v15, v6
	v_fmac_f32_e32 v115, v111, v18
	s_delay_alu instid0(VALU_DEP_4) | instskip(SKIP_2) | instid1(VALU_DEP_3)
	v_add_f32_e32 v3, v3, v4
	v_mul_f32_e32 v7, v17, v9
	v_add_f32_e32 v4, v5, v112
	v_add_f32_e32 v2, v3, v2
	s_delay_alu instid0(VALU_DEP_3) | instskip(NEXT) | instid1(VALU_DEP_1)
	v_fma_f32 v6, v16, v8, -v7
	v_dual_add_f32 v3, v4, v113 :: v_dual_add_f32 v2, v2, v6
	v_mul_f32_e32 v5, v111, v19
	s_delay_alu instid0(VALU_DEP_2) | instskip(NEXT) | instid1(VALU_DEP_2)
	v_add_f32_e32 v3, v3, v114
	v_fma_f32 v4, v110, v18, -v5
	s_delay_alu instid0(VALU_DEP_1) | instskip(SKIP_1) | instid1(VALU_DEP_1)
	v_dual_add_f32 v2, v2, v4 :: v_dual_add_f32 v3, v3, v115
	s_wait_loadcnt 0x0
	v_dual_sub_f32 v2, v20, v2 :: v_dual_sub_f32 v3, v21, v3
	scratch_store_b64 off, v[2:3], off offset:296
	v_cmpx_lt_u32_e32 36, v0
	s_cbranch_execz .LBB42_199
; %bb.198:
	scratch_load_b64 v[3:4], off, off offset:288
	v_mov_b32_e32 v2, v1
	scratch_store_b64 off, v[1:2], off offset:288
	s_wait_loadcnt 0x0
	ds_store_b64 v23, v[3:4]
.LBB42_199:
	s_wait_alu 0xfffe
	s_or_b32 exec_lo, exec_lo, s0
	s_wait_storecnt_dscnt 0x0
	s_barrier_signal -1
	s_barrier_wait -1
	global_inv scope:SCOPE_SE
	s_clause 0x3
	scratch_load_b128 v[2:5], off, off offset:296
	scratch_load_b128 v[6:9], off, off offset:312
	;; [unrolled: 1-line block ×3, first 2 shown]
	scratch_load_b64 v[114:115], off, off offset:288
	ds_load_2addr_b64 v[14:17], v1 offset0:81 offset1:82
	ds_load_2addr_b64 v[18:21], v1 offset0:83 offset1:84
	;; [unrolled: 1-line block ×3, first 2 shown]
	s_mov_b32 s0, exec_lo
	s_wait_loadcnt_dscnt 0x302
	v_dual_mul_f32 v1, v14, v3 :: v_dual_mul_f32 v22, v16, v5
	v_mul_f32_e32 v3, v15, v3
	s_wait_loadcnt_dscnt 0x201
	v_dual_mul_f32 v5, v17, v5 :: v_dual_mul_f32 v116, v18, v7
	s_delay_alu instid0(VALU_DEP_3) | instskip(NEXT) | instid1(VALU_DEP_3)
	v_dual_mul_f32 v117, v20, v9 :: v_dual_fmac_f32 v22, v17, v4
	v_fma_f32 v3, v14, v2, -v3
	v_fmac_f32_e32 v1, v15, v2
	v_mul_f32_e32 v2, v19, v7
	v_fma_f32 v4, v16, v4, -v5
	s_delay_alu instid0(VALU_DEP_4)
	v_dual_fmac_f32 v116, v19, v6 :: v_dual_add_f32 v3, 0, v3
	s_wait_loadcnt_dscnt 0x100
	v_dual_mul_f32 v118, v110, v11 :: v_dual_mul_f32 v119, v112, v13
	v_fma_f32 v2, v18, v6, -v2
	v_fmac_f32_e32 v117, v21, v8
	v_add_f32_e32 v3, v3, v4
	s_delay_alu instid0(VALU_DEP_4) | instskip(SKIP_1) | instid1(VALU_DEP_3)
	v_dual_mul_f32 v5, v21, v9 :: v_dual_fmac_f32 v118, v111, v10
	v_dual_fmac_f32 v119, v113, v12 :: v_dual_mul_f32 v4, v111, v11
	v_add_f32_e32 v2, v3, v2
	s_delay_alu instid0(VALU_DEP_3) | instskip(SKIP_1) | instid1(VALU_DEP_4)
	v_fma_f32 v5, v20, v8, -v5
	v_mul_f32_e32 v3, v113, v13
	v_fma_f32 v4, v110, v10, -v4
	s_delay_alu instid0(VALU_DEP_3) | instskip(SKIP_1) | instid1(VALU_DEP_4)
	v_add_f32_e32 v2, v2, v5
	v_add_f32_e32 v1, 0, v1
	v_fma_f32 v3, v112, v12, -v3
	s_delay_alu instid0(VALU_DEP_2) | instskip(NEXT) | instid1(VALU_DEP_1)
	v_dual_add_f32 v2, v2, v4 :: v_dual_add_f32 v1, v1, v22
	v_dual_add_f32 v2, v2, v3 :: v_dual_add_f32 v1, v1, v116
	s_delay_alu instid0(VALU_DEP_1) | instskip(NEXT) | instid1(VALU_DEP_1)
	v_add_f32_e32 v1, v1, v117
	v_add_f32_e32 v1, v1, v118
	s_delay_alu instid0(VALU_DEP_1) | instskip(SKIP_1) | instid1(VALU_DEP_1)
	v_add_f32_e32 v3, v1, v119
	s_wait_loadcnt 0x0
	v_dual_sub_f32 v1, v114, v2 :: v_dual_sub_f32 v2, v115, v3
	scratch_store_b64 off, v[1:2], off offset:288
	v_cmpx_lt_u32_e32 35, v0
	s_cbranch_execz .LBB42_201
; %bb.200:
	scratch_load_b64 v[1:2], off, off offset:280
	v_mov_b32_e32 v3, 0
	s_delay_alu instid0(VALU_DEP_1)
	v_mov_b32_e32 v4, v3
	scratch_store_b64 off, v[3:4], off offset:280
	s_wait_loadcnt 0x0
	ds_store_b64 v23, v[1:2]
.LBB42_201:
	s_wait_alu 0xfffe
	s_or_b32 exec_lo, exec_lo, s0
	s_wait_storecnt_dscnt 0x0
	s_barrier_signal -1
	s_barrier_wait -1
	global_inv scope:SCOPE_SE
	s_clause 0x4
	scratch_load_b128 v[2:5], off, off offset:288
	scratch_load_b128 v[6:9], off, off offset:304
	;; [unrolled: 1-line block ×3, first 2 shown]
	scratch_load_b64 v[114:115], off, off offset:336
	scratch_load_b64 v[116:117], off, off offset:280
	v_mov_b32_e32 v1, 0
	ds_load_b128 v[14:17], v1 offset:640
	ds_load_b128 v[18:21], v1 offset:656
	;; [unrolled: 1-line block ×3, first 2 shown]
	ds_load_b64 v[118:119], v1 offset:688
	s_mov_b32 s0, exec_lo
	s_wait_loadcnt_dscnt 0x403
	v_mul_f32_e32 v22, v14, v3
	s_wait_loadcnt_dscnt 0x302
	v_dual_mul_f32 v122, v20, v9 :: v_dual_mul_f32 v3, v15, v3
	v_dual_mul_f32 v120, v16, v5 :: v_dual_mul_f32 v121, v18, v7
	v_mul_f32_e32 v5, v17, v5
	s_wait_loadcnt_dscnt 0x100
	v_dual_mul_f32 v125, v118, v115 :: v_dual_fmac_f32 v22, v15, v2
	v_fma_f32 v3, v14, v2, -v3
	v_mul_f32_e32 v2, v19, v7
	v_fmac_f32_e32 v120, v17, v4
	v_fma_f32 v4, v16, v4, -v5
	v_dual_add_f32 v5, 0, v22 :: v_dual_fmac_f32 v122, v21, v8
	v_add_f32_e32 v3, 0, v3
	v_fma_f32 v2, v18, v6, -v2
	v_fmac_f32_e32 v121, v19, v6
	v_dual_mul_f32 v123, v110, v11 :: v_dual_mul_f32 v124, v112, v13
	s_delay_alu instid0(VALU_DEP_4) | instskip(SKIP_1) | instid1(VALU_DEP_3)
	v_add_f32_e32 v3, v3, v4
	v_mul_f32_e32 v7, v21, v9
	v_dual_add_f32 v4, v5, v120 :: v_dual_fmac_f32 v123, v111, v10
	s_delay_alu instid0(VALU_DEP_4) | instskip(NEXT) | instid1(VALU_DEP_4)
	v_fmac_f32_e32 v124, v113, v12
	v_add_f32_e32 v2, v3, v2
	s_delay_alu instid0(VALU_DEP_4) | instskip(SKIP_3) | instid1(VALU_DEP_4)
	v_fma_f32 v6, v20, v8, -v7
	v_mul_f32_e32 v5, v111, v11
	v_add_f32_e32 v3, v4, v121
	v_mul_f32_e32 v4, v113, v13
	v_add_f32_e32 v2, v2, v6
	s_delay_alu instid0(VALU_DEP_4) | instskip(SKIP_3) | instid1(VALU_DEP_4)
	v_fma_f32 v5, v110, v10, -v5
	v_mul_f32_e32 v6, v119, v115
	v_add_f32_e32 v3, v3, v122
	v_fma_f32 v4, v112, v12, -v4
	v_add_f32_e32 v2, v2, v5
	s_delay_alu instid0(VALU_DEP_4) | instskip(NEXT) | instid1(VALU_DEP_2)
	v_fma_f32 v5, v118, v114, -v6
	v_dual_add_f32 v3, v3, v123 :: v_dual_add_f32 v2, v2, v4
	s_delay_alu instid0(VALU_DEP_1) | instskip(SKIP_1) | instid1(VALU_DEP_1)
	v_dual_fmac_f32 v125, v119, v114 :: v_dual_add_f32 v2, v2, v5
	s_wait_loadcnt 0x0
	v_dual_add_f32 v3, v3, v124 :: v_dual_sub_f32 v2, v116, v2
	s_delay_alu instid0(VALU_DEP_1) | instskip(NEXT) | instid1(VALU_DEP_1)
	v_add_f32_e32 v3, v3, v125
	v_sub_f32_e32 v3, v117, v3
	scratch_store_b64 off, v[2:3], off offset:280
	v_cmpx_lt_u32_e32 34, v0
	s_cbranch_execz .LBB42_203
; %bb.202:
	scratch_load_b64 v[3:4], off, off offset:272
	v_mov_b32_e32 v2, v1
	scratch_store_b64 off, v[1:2], off offset:272
	s_wait_loadcnt 0x0
	ds_store_b64 v23, v[3:4]
.LBB42_203:
	s_wait_alu 0xfffe
	s_or_b32 exec_lo, exec_lo, s0
	s_wait_storecnt_dscnt 0x0
	s_barrier_signal -1
	s_barrier_wait -1
	global_inv scope:SCOPE_SE
	s_clause 0x4
	scratch_load_b128 v[2:5], off, off offset:280
	scratch_load_b128 v[6:9], off, off offset:296
	;; [unrolled: 1-line block ×4, first 2 shown]
	scratch_load_b64 v[122:123], off, off offset:272
	ds_load_2addr_b64 v[18:21], v1 offset0:79 offset1:80
	ds_load_2addr_b64 v[110:113], v1 offset0:81 offset1:82
	;; [unrolled: 1-line block ×4, first 2 shown]
	s_mov_b32 s0, exec_lo
	s_wait_loadcnt_dscnt 0x403
	v_dual_mul_f32 v1, v18, v3 :: v_dual_mul_f32 v22, v20, v5
	v_mul_f32_e32 v3, v19, v3
	s_wait_loadcnt_dscnt 0x302
	v_dual_mul_f32 v5, v21, v5 :: v_dual_mul_f32 v124, v110, v7
	s_delay_alu instid0(VALU_DEP_3) | instskip(NEXT) | instid1(VALU_DEP_3)
	v_dual_mul_f32 v125, v112, v9 :: v_dual_fmac_f32 v22, v21, v4
	v_fma_f32 v3, v18, v2, -v3
	v_fmac_f32_e32 v1, v19, v2
	v_mul_f32_e32 v2, v111, v7
	v_fma_f32 v4, v20, v4, -v5
	s_delay_alu instid0(VALU_DEP_4)
	v_dual_fmac_f32 v124, v111, v6 :: v_dual_add_f32 v3, 0, v3
	s_wait_loadcnt_dscnt 0x201
	v_dual_mul_f32 v126, v114, v11 :: v_dual_mul_f32 v127, v116, v13
	v_fma_f32 v2, v110, v6, -v2
	s_wait_loadcnt_dscnt 0x100
	v_dual_mul_f32 v128, v118, v15 :: v_dual_mul_f32 v129, v120, v17
	v_add_f32_e32 v3, v3, v4
	v_mul_f32_e32 v5, v113, v9
	v_dual_fmac_f32 v125, v113, v8 :: v_dual_fmac_f32 v126, v115, v10
	v_mul_f32_e32 v4, v115, v11
	s_delay_alu instid0(VALU_DEP_4) | instskip(NEXT) | instid1(VALU_DEP_4)
	v_add_f32_e32 v2, v3, v2
	v_fma_f32 v5, v112, v8, -v5
	v_mul_f32_e32 v3, v117, v13
	v_fmac_f32_e32 v129, v121, v16
	v_fma_f32 v4, v114, v10, -v4
	v_fmac_f32_e32 v128, v119, v14
	v_add_f32_e32 v2, v2, v5
	v_add_f32_e32 v1, 0, v1
	v_mul_f32_e32 v5, v119, v15
	v_fma_f32 v3, v116, v12, -v3
	s_delay_alu instid0(VALU_DEP_3) | instskip(SKIP_1) | instid1(VALU_DEP_4)
	v_dual_add_f32 v2, v2, v4 :: v_dual_add_f32 v1, v1, v22
	v_mul_f32_e32 v4, v121, v17
	v_fma_f32 v5, v118, v14, -v5
	s_delay_alu instid0(VALU_DEP_3) | instskip(SKIP_1) | instid1(VALU_DEP_4)
	v_dual_add_f32 v2, v2, v3 :: v_dual_add_f32 v1, v1, v124
	v_fmac_f32_e32 v127, v117, v12
	v_fma_f32 v3, v120, v16, -v4
	s_delay_alu instid0(VALU_DEP_3) | instskip(NEXT) | instid1(VALU_DEP_1)
	v_add_f32_e32 v2, v2, v5
	v_dual_add_f32 v1, v1, v125 :: v_dual_add_f32 v2, v2, v3
	s_delay_alu instid0(VALU_DEP_1) | instskip(NEXT) | instid1(VALU_DEP_1)
	v_add_f32_e32 v1, v1, v126
	v_add_f32_e32 v1, v1, v127
	s_delay_alu instid0(VALU_DEP_1) | instskip(NEXT) | instid1(VALU_DEP_1)
	v_add_f32_e32 v1, v1, v128
	v_add_f32_e32 v3, v1, v129
	s_wait_loadcnt 0x0
	s_delay_alu instid0(VALU_DEP_1)
	v_dual_sub_f32 v1, v122, v2 :: v_dual_sub_f32 v2, v123, v3
	scratch_store_b64 off, v[1:2], off offset:272
	v_cmpx_lt_u32_e32 33, v0
	s_cbranch_execz .LBB42_205
; %bb.204:
	scratch_load_b64 v[1:2], off, off offset:264
	v_mov_b32_e32 v3, 0
	s_delay_alu instid0(VALU_DEP_1)
	v_mov_b32_e32 v4, v3
	scratch_store_b64 off, v[3:4], off offset:264
	s_wait_loadcnt 0x0
	ds_store_b64 v23, v[1:2]
.LBB42_205:
	s_wait_alu 0xfffe
	s_or_b32 exec_lo, exec_lo, s0
	s_wait_storecnt_dscnt 0x0
	s_barrier_signal -1
	s_barrier_wait -1
	global_inv scope:SCOPE_SE
	s_clause 0x5
	scratch_load_b128 v[2:5], off, off offset:272
	scratch_load_b128 v[6:9], off, off offset:288
	;; [unrolled: 1-line block ×4, first 2 shown]
	scratch_load_b64 v[122:123], off, off offset:336
	scratch_load_b64 v[124:125], off, off offset:264
	v_mov_b32_e32 v1, 0
	ds_load_b128 v[18:21], v1 offset:624
	ds_load_b128 v[110:113], v1 offset:640
	;; [unrolled: 1-line block ×4, first 2 shown]
	ds_load_b64 v[126:127], v1 offset:688
	s_mov_b32 s0, exec_lo
	s_wait_loadcnt_dscnt 0x504
	v_mul_f32_e32 v22, v18, v3
	s_wait_loadcnt_dscnt 0x302
	v_dual_mul_f32 v3, v19, v3 :: v_dual_mul_f32 v132, v116, v13
	v_dual_mul_f32 v128, v20, v5 :: v_dual_mul_f32 v129, v110, v7
	v_mul_f32_e32 v5, v21, v5
	s_delay_alu instid0(VALU_DEP_3) | instskip(SKIP_3) | instid1(VALU_DEP_3)
	v_fma_f32 v3, v18, v2, -v3
	s_wait_loadcnt_dscnt 0x100
	v_dual_mul_f32 v135, v126, v123 :: v_dual_fmac_f32 v22, v19, v2
	v_mul_f32_e32 v2, v111, v7
	v_dual_fmac_f32 v128, v21, v4 :: v_dual_add_f32 v3, 0, v3
	v_fma_f32 v4, v20, v4, -v5
	v_dual_mul_f32 v130, v112, v9 :: v_dual_mul_f32 v131, v114, v11
	v_add_f32_e32 v5, 0, v22
	v_fma_f32 v2, v110, v6, -v2
	s_delay_alu instid0(VALU_DEP_4) | instskip(SKIP_3) | instid1(VALU_DEP_4)
	v_add_f32_e32 v3, v3, v4
	v_mul_f32_e32 v7, v113, v9
	v_dual_fmac_f32 v130, v113, v8 :: v_dual_fmac_f32 v129, v111, v6
	v_add_f32_e32 v4, v5, v128
	v_add_f32_e32 v2, v3, v2
	s_delay_alu instid0(VALU_DEP_4)
	v_fma_f32 v6, v112, v8, -v7
	v_mul_f32_e32 v5, v115, v11
	v_dual_fmac_f32 v131, v115, v10 :: v_dual_fmac_f32 v132, v117, v12
	v_add_f32_e32 v3, v4, v129
	v_mul_f32_e32 v4, v117, v13
	v_add_f32_e32 v2, v2, v6
	v_fma_f32 v5, v114, v10, -v5
	v_mul_f32_e32 v6, v119, v15
	v_add_f32_e32 v3, v3, v130
	v_fma_f32 v4, v116, v12, -v4
	v_dual_mul_f32 v133, v118, v15 :: v_dual_mul_f32 v134, v120, v17
	s_delay_alu instid0(VALU_DEP_3) | instskip(SKIP_2) | instid1(VALU_DEP_4)
	v_dual_add_f32 v2, v2, v5 :: v_dual_add_f32 v3, v3, v131
	v_mul_f32_e32 v5, v121, v17
	v_fma_f32 v6, v118, v14, -v6
	v_dual_fmac_f32 v133, v119, v14 :: v_dual_fmac_f32 v134, v121, v16
	s_delay_alu instid0(VALU_DEP_4) | instskip(SKIP_3) | instid1(VALU_DEP_4)
	v_add_f32_e32 v2, v2, v4
	v_add_f32_e32 v3, v3, v132
	v_mul_f32_e32 v4, v127, v123
	v_fma_f32 v5, v120, v16, -v5
	v_add_f32_e32 v2, v2, v6
	v_fmac_f32_e32 v135, v127, v122
	s_delay_alu instid0(VALU_DEP_4) | instskip(NEXT) | instid1(VALU_DEP_3)
	v_fma_f32 v4, v126, v122, -v4
	v_add_f32_e32 v2, v2, v5
	s_delay_alu instid0(VALU_DEP_1) | instskip(NEXT) | instid1(VALU_DEP_1)
	v_dual_add_f32 v3, v3, v133 :: v_dual_add_f32 v2, v2, v4
	v_add_f32_e32 v3, v3, v134
	s_wait_loadcnt 0x0
	s_delay_alu instid0(VALU_DEP_1) | instskip(NEXT) | instid1(VALU_DEP_1)
	v_dual_sub_f32 v2, v124, v2 :: v_dual_add_f32 v3, v3, v135
	v_sub_f32_e32 v3, v125, v3
	scratch_store_b64 off, v[2:3], off offset:264
	v_cmpx_lt_u32_e32 32, v0
	s_cbranch_execz .LBB42_207
; %bb.206:
	scratch_load_b64 v[3:4], off, off offset:256
	v_mov_b32_e32 v2, v1
	scratch_store_b64 off, v[1:2], off offset:256
	s_wait_loadcnt 0x0
	ds_store_b64 v23, v[3:4]
.LBB42_207:
	s_wait_alu 0xfffe
	s_or_b32 exec_lo, exec_lo, s0
	s_wait_storecnt_dscnt 0x0
	s_barrier_signal -1
	s_barrier_wait -1
	global_inv scope:SCOPE_SE
	s_clause 0x5
	scratch_load_b128 v[2:5], off, off offset:264
	scratch_load_b128 v[6:9], off, off offset:280
	;; [unrolled: 1-line block ×5, first 2 shown]
	scratch_load_b64 v[130:131], off, off offset:256
	ds_load_2addr_b64 v[110:113], v1 offset0:77 offset1:78
	ds_load_2addr_b64 v[114:117], v1 offset0:79 offset1:80
	;; [unrolled: 1-line block ×5, first 2 shown]
	s_mov_b32 s0, exec_lo
	s_wait_loadcnt_dscnt 0x504
	v_dual_mul_f32 v1, v110, v3 :: v_dual_mul_f32 v22, v112, v5
	v_mul_f32_e32 v3, v111, v3
	s_wait_loadcnt_dscnt 0x403
	v_dual_mul_f32 v5, v113, v5 :: v_dual_mul_f32 v132, v114, v7
	s_delay_alu instid0(VALU_DEP_3) | instskip(NEXT) | instid1(VALU_DEP_3)
	v_dual_mul_f32 v133, v116, v9 :: v_dual_fmac_f32 v22, v113, v4
	v_fma_f32 v3, v110, v2, -v3
	v_fmac_f32_e32 v1, v111, v2
	v_mul_f32_e32 v2, v115, v7
	v_fma_f32 v4, v112, v4, -v5
	s_delay_alu instid0(VALU_DEP_4)
	v_dual_fmac_f32 v132, v115, v6 :: v_dual_add_f32 v3, 0, v3
	s_wait_loadcnt_dscnt 0x100
	v_dual_mul_f32 v138, v126, v19 :: v_dual_mul_f32 v139, v128, v21
	v_fma_f32 v2, v114, v6, -v2
	v_dual_mul_f32 v134, v118, v11 :: v_dual_mul_f32 v135, v120, v13
	v_add_f32_e32 v3, v3, v4
	v_dual_mul_f32 v5, v117, v9 :: v_dual_mul_f32 v136, v122, v15
	v_dual_mul_f32 v137, v124, v17 :: v_dual_mul_f32 v4, v119, v11
	s_delay_alu instid0(VALU_DEP_3) | instskip(NEXT) | instid1(VALU_DEP_3)
	v_add_f32_e32 v2, v3, v2
	v_fma_f32 v5, v116, v8, -v5
	v_dual_mul_f32 v3, v121, v13 :: v_dual_fmac_f32 v138, v127, v18
	s_delay_alu instid0(VALU_DEP_4) | instskip(SKIP_1) | instid1(VALU_DEP_4)
	v_fma_f32 v4, v118, v10, -v4
	v_dual_fmac_f32 v133, v117, v8 :: v_dual_fmac_f32 v134, v119, v10
	v_add_f32_e32 v2, v2, v5
	v_add_f32_e32 v1, 0, v1
	v_fma_f32 v3, v120, v12, -v3
	v_dual_fmac_f32 v136, v123, v14 :: v_dual_fmac_f32 v137, v125, v16
	s_delay_alu instid0(VALU_DEP_3) | instskip(SKIP_1) | instid1(VALU_DEP_2)
	v_dual_add_f32 v2, v2, v4 :: v_dual_add_f32 v1, v1, v22
	v_mul_f32_e32 v4, v125, v17
	v_dual_fmac_f32 v139, v129, v20 :: v_dual_add_f32 v2, v2, v3
	s_delay_alu instid0(VALU_DEP_3) | instskip(NEXT) | instid1(VALU_DEP_3)
	v_add_f32_e32 v1, v1, v132
	v_fma_f32 v4, v124, v16, -v4
	v_mul_f32_e32 v5, v123, v15
	v_mul_f32_e32 v3, v127, v19
	s_delay_alu instid0(VALU_DEP_4) | instskip(NEXT) | instid1(VALU_DEP_3)
	v_add_f32_e32 v1, v1, v133
	v_fma_f32 v5, v122, v14, -v5
	v_fmac_f32_e32 v135, v121, v12
	s_delay_alu instid0(VALU_DEP_4) | instskip(NEXT) | instid1(VALU_DEP_3)
	v_fma_f32 v3, v126, v18, -v3
	v_add_f32_e32 v2, v2, v5
	s_delay_alu instid0(VALU_DEP_1) | instskip(SKIP_1) | instid1(VALU_DEP_2)
	v_dual_mul_f32 v5, v129, v21 :: v_dual_add_f32 v2, v2, v4
	v_add_f32_e32 v1, v1, v134
	v_fma_f32 v4, v128, v20, -v5
	s_delay_alu instid0(VALU_DEP_3) | instskip(NEXT) | instid1(VALU_DEP_1)
	v_add_f32_e32 v2, v2, v3
	v_dual_add_f32 v1, v1, v135 :: v_dual_add_f32 v2, v2, v4
	s_delay_alu instid0(VALU_DEP_1) | instskip(NEXT) | instid1(VALU_DEP_1)
	v_add_f32_e32 v1, v1, v136
	v_add_f32_e32 v1, v1, v137
	s_delay_alu instid0(VALU_DEP_1) | instskip(NEXT) | instid1(VALU_DEP_1)
	v_add_f32_e32 v1, v1, v138
	v_add_f32_e32 v3, v1, v139
	s_wait_loadcnt 0x0
	s_delay_alu instid0(VALU_DEP_1)
	v_dual_sub_f32 v1, v130, v2 :: v_dual_sub_f32 v2, v131, v3
	scratch_store_b64 off, v[1:2], off offset:256
	v_cmpx_lt_u32_e32 31, v0
	s_cbranch_execz .LBB42_209
; %bb.208:
	scratch_load_b64 v[1:2], off, off offset:248
	v_mov_b32_e32 v3, 0
	s_delay_alu instid0(VALU_DEP_1)
	v_mov_b32_e32 v4, v3
	scratch_store_b64 off, v[3:4], off offset:248
	s_wait_loadcnt 0x0
	ds_store_b64 v23, v[1:2]
.LBB42_209:
	s_wait_alu 0xfffe
	s_or_b32 exec_lo, exec_lo, s0
	s_wait_storecnt_dscnt 0x0
	s_barrier_signal -1
	s_barrier_wait -1
	global_inv scope:SCOPE_SE
	s_clause 0x6
	scratch_load_b128 v[2:5], off, off offset:256
	scratch_load_b128 v[6:9], off, off offset:272
	;; [unrolled: 1-line block ×5, first 2 shown]
	scratch_load_b64 v[130:131], off, off offset:336
	scratch_load_b64 v[132:133], off, off offset:248
	v_mov_b32_e32 v1, 0
	ds_load_b128 v[110:113], v1 offset:608
	ds_load_b128 v[114:117], v1 offset:624
	;; [unrolled: 1-line block ×5, first 2 shown]
	ds_load_b64 v[134:135], v1 offset:688
	s_mov_b32 s0, exec_lo
	s_wait_loadcnt_dscnt 0x605
	v_mul_f32_e32 v22, v110, v3
	v_dual_mul_f32 v3, v111, v3 :: v_dual_mul_f32 v136, v112, v5
	s_wait_loadcnt_dscnt 0x302
	v_dual_mul_f32 v137, v114, v7 :: v_dual_mul_f32 v142, v124, v17
	v_mul_f32_e32 v5, v113, v5
	s_delay_alu instid0(VALU_DEP_3) | instskip(SKIP_3) | instid1(VALU_DEP_3)
	v_fma_f32 v3, v110, v2, -v3
	s_wait_loadcnt_dscnt 0x100
	v_dual_mul_f32 v145, v134, v131 :: v_dual_fmac_f32 v22, v111, v2
	v_mul_f32_e32 v2, v115, v7
	v_dual_fmac_f32 v136, v113, v4 :: v_dual_add_f32 v3, 0, v3
	v_fma_f32 v4, v112, v4, -v5
	v_dual_mul_f32 v138, v116, v9 :: v_dual_mul_f32 v139, v118, v11
	v_add_f32_e32 v5, 0, v22
	v_fma_f32 v2, v114, v6, -v2
	s_delay_alu instid0(VALU_DEP_4) | instskip(SKIP_3) | instid1(VALU_DEP_4)
	v_add_f32_e32 v3, v3, v4
	v_mul_f32_e32 v7, v117, v9
	v_dual_fmac_f32 v138, v117, v8 :: v_dual_fmac_f32 v137, v115, v6
	v_add_f32_e32 v4, v5, v136
	v_add_f32_e32 v2, v3, v2
	s_delay_alu instid0(VALU_DEP_4)
	v_fma_f32 v6, v116, v8, -v7
	v_dual_mul_f32 v5, v119, v11 :: v_dual_mul_f32 v140, v120, v13
	v_mul_f32_e32 v141, v122, v15
	v_add_f32_e32 v3, v4, v137
	v_mul_f32_e32 v4, v121, v13
	v_add_f32_e32 v2, v2, v6
	v_fma_f32 v5, v118, v10, -v5
	v_dual_fmac_f32 v139, v119, v10 :: v_dual_fmac_f32 v140, v121, v12
	v_mul_f32_e32 v6, v123, v15
	s_delay_alu instid0(VALU_DEP_3) | instskip(SKIP_2) | instid1(VALU_DEP_4)
	v_dual_add_f32 v3, v3, v138 :: v_dual_add_f32 v2, v2, v5
	v_fma_f32 v4, v120, v12, -v4
	v_mul_f32_e32 v5, v125, v17
	v_fma_f32 v6, v122, v14, -v6
	s_delay_alu instid0(VALU_DEP_4) | instskip(SKIP_3) | instid1(VALU_DEP_4)
	v_add_f32_e32 v3, v3, v139
	v_dual_mul_f32 v143, v126, v19 :: v_dual_mul_f32 v144, v128, v21
	v_dual_add_f32 v2, v2, v4 :: v_dual_fmac_f32 v141, v123, v14
	v_fmac_f32_e32 v142, v125, v16
	v_add_f32_e32 v3, v3, v140
	v_mul_f32_e32 v4, v127, v19
	v_fma_f32 v5, v124, v16, -v5
	v_add_f32_e32 v2, v2, v6
	v_dual_mul_f32 v6, v129, v21 :: v_dual_fmac_f32 v143, v127, v18
	v_dual_add_f32 v3, v3, v141 :: v_dual_fmac_f32 v144, v129, v20
	v_fma_f32 v4, v126, v18, -v4
	s_delay_alu instid0(VALU_DEP_4) | instskip(NEXT) | instid1(VALU_DEP_4)
	v_add_f32_e32 v2, v2, v5
	v_fma_f32 v6, v128, v20, -v6
	s_delay_alu instid0(VALU_DEP_4) | instskip(NEXT) | instid1(VALU_DEP_3)
	v_add_f32_e32 v3, v3, v142
	v_dual_mul_f32 v5, v135, v131 :: v_dual_add_f32 v2, v2, v4
	s_delay_alu instid0(VALU_DEP_2) | instskip(NEXT) | instid1(VALU_DEP_2)
	v_add_f32_e32 v3, v3, v143
	v_fma_f32 v4, v134, v130, -v5
	s_delay_alu instid0(VALU_DEP_3) | instskip(NEXT) | instid1(VALU_DEP_1)
	v_add_f32_e32 v2, v2, v6
	v_dual_fmac_f32 v145, v135, v130 :: v_dual_add_f32 v2, v2, v4
	s_wait_loadcnt 0x0
	s_delay_alu instid0(VALU_DEP_1) | instskip(NEXT) | instid1(VALU_DEP_1)
	v_dual_add_f32 v3, v3, v144 :: v_dual_sub_f32 v2, v132, v2
	v_add_f32_e32 v3, v3, v145
	s_delay_alu instid0(VALU_DEP_1)
	v_sub_f32_e32 v3, v133, v3
	scratch_store_b64 off, v[2:3], off offset:248
	v_cmpx_lt_u32_e32 30, v0
	s_cbranch_execz .LBB42_211
; %bb.210:
	scratch_load_b64 v[3:4], off, off offset:240
	v_mov_b32_e32 v2, v1
	scratch_store_b64 off, v[1:2], off offset:240
	s_wait_loadcnt 0x0
	ds_store_b64 v23, v[3:4]
.LBB42_211:
	s_wait_alu 0xfffe
	s_or_b32 exec_lo, exec_lo, s0
	s_wait_storecnt_dscnt 0x0
	s_barrier_signal -1
	s_barrier_wait -1
	global_inv scope:SCOPE_SE
	s_clause 0x6
	scratch_load_b128 v[2:5], off, off offset:248
	scratch_load_b128 v[6:9], off, off offset:264
	;; [unrolled: 1-line block ×6, first 2 shown]
	scratch_load_b64 v[138:139], off, off offset:240
	ds_load_2addr_b64 v[114:117], v1 offset0:75 offset1:76
	ds_load_2addr_b64 v[118:121], v1 offset0:77 offset1:78
	;; [unrolled: 1-line block ×6, first 2 shown]
	s_mov_b32 s0, exec_lo
	s_wait_loadcnt_dscnt 0x605
	v_dual_mul_f32 v1, v114, v3 :: v_dual_mul_f32 v22, v116, v5
	v_mul_f32_e32 v3, v115, v3
	s_wait_loadcnt_dscnt 0x504
	v_dual_mul_f32 v5, v117, v5 :: v_dual_mul_f32 v140, v118, v7
	s_delay_alu instid0(VALU_DEP_3) | instskip(NEXT) | instid1(VALU_DEP_3)
	v_dual_mul_f32 v141, v120, v9 :: v_dual_fmac_f32 v22, v117, v4
	v_fma_f32 v3, v114, v2, -v3
	v_fmac_f32_e32 v1, v115, v2
	v_mul_f32_e32 v2, v119, v7
	v_fma_f32 v4, v116, v4, -v5
	s_delay_alu instid0(VALU_DEP_4)
	v_dual_fmac_f32 v140, v119, v6 :: v_dual_add_f32 v3, 0, v3
	s_wait_loadcnt_dscnt 0x201
	v_dual_mul_f32 v146, v130, v19 :: v_dual_mul_f32 v147, v132, v21
	v_fma_f32 v2, v118, v6, -v2
	v_dual_mul_f32 v142, v122, v11 :: v_dual_mul_f32 v143, v124, v13
	v_add_f32_e32 v3, v3, v4
	v_dual_mul_f32 v5, v121, v9 :: v_dual_mul_f32 v144, v126, v15
	v_dual_mul_f32 v145, v128, v17 :: v_dual_mul_f32 v4, v123, v11
	s_delay_alu instid0(VALU_DEP_3) | instskip(NEXT) | instid1(VALU_DEP_3)
	v_add_f32_e32 v2, v3, v2
	v_fma_f32 v5, v120, v8, -v5
	v_dual_mul_f32 v3, v125, v13 :: v_dual_fmac_f32 v146, v131, v18
	s_delay_alu instid0(VALU_DEP_4) | instskip(SKIP_1) | instid1(VALU_DEP_4)
	v_fma_f32 v4, v122, v10, -v4
	v_dual_fmac_f32 v141, v121, v8 :: v_dual_fmac_f32 v142, v123, v10
	v_add_f32_e32 v2, v2, v5
	v_add_f32_e32 v1, 0, v1
	v_fma_f32 v3, v124, v12, -v3
	v_fmac_f32_e32 v144, v127, v14
	s_wait_loadcnt_dscnt 0x100
	v_dual_mul_f32 v148, v134, v111 :: v_dual_mul_f32 v149, v136, v113
	v_dual_add_f32 v1, v1, v22 :: v_dual_add_f32 v2, v2, v4
	v_mul_f32_e32 v4, v129, v17
	v_fmac_f32_e32 v147, v133, v20
	s_delay_alu instid0(VALU_DEP_4) | instskip(NEXT) | instid1(VALU_DEP_4)
	v_fmac_f32_e32 v149, v137, v112
	v_dual_add_f32 v1, v1, v140 :: v_dual_add_f32 v2, v2, v3
	s_delay_alu instid0(VALU_DEP_4) | instskip(SKIP_1) | instid1(VALU_DEP_3)
	v_fma_f32 v4, v128, v16, -v4
	v_mul_f32_e32 v5, v127, v15
	v_dual_fmac_f32 v148, v135, v110 :: v_dual_add_f32 v1, v1, v141
	s_delay_alu instid0(VALU_DEP_2) | instskip(SKIP_1) | instid1(VALU_DEP_2)
	v_fma_f32 v5, v126, v14, -v5
	v_fmac_f32_e32 v143, v125, v12
	v_dual_add_f32 v1, v1, v142 :: v_dual_add_f32 v2, v2, v5
	s_delay_alu instid0(VALU_DEP_1) | instskip(SKIP_1) | instid1(VALU_DEP_3)
	v_add_f32_e32 v2, v2, v4
	v_mul_f32_e32 v4, v135, v111
	v_add_f32_e32 v1, v1, v143
	s_delay_alu instid0(VALU_DEP_2) | instskip(SKIP_1) | instid1(VALU_DEP_1)
	v_fma_f32 v4, v134, v110, -v4
	v_mul_f32_e32 v5, v133, v21
	v_fma_f32 v5, v132, v20, -v5
	v_mul_f32_e32 v3, v131, v19
	s_delay_alu instid0(VALU_DEP_1) | instskip(NEXT) | instid1(VALU_DEP_1)
	v_fma_f32 v3, v130, v18, -v3
	v_dual_fmac_f32 v145, v129, v16 :: v_dual_add_f32 v2, v2, v3
	v_mul_f32_e32 v3, v137, v113
	s_delay_alu instid0(VALU_DEP_2) | instskip(NEXT) | instid1(VALU_DEP_2)
	v_add_f32_e32 v2, v2, v5
	v_fma_f32 v3, v136, v112, -v3
	s_delay_alu instid0(VALU_DEP_2) | instskip(NEXT) | instid1(VALU_DEP_1)
	v_add_f32_e32 v2, v2, v4
	v_dual_add_f32 v1, v1, v144 :: v_dual_add_f32 v2, v2, v3
	s_delay_alu instid0(VALU_DEP_1) | instskip(NEXT) | instid1(VALU_DEP_1)
	v_add_f32_e32 v1, v1, v145
	v_add_f32_e32 v1, v1, v146
	s_delay_alu instid0(VALU_DEP_1) | instskip(NEXT) | instid1(VALU_DEP_1)
	v_add_f32_e32 v1, v1, v147
	v_add_f32_e32 v1, v1, v148
	s_delay_alu instid0(VALU_DEP_1) | instskip(SKIP_1) | instid1(VALU_DEP_1)
	v_add_f32_e32 v3, v1, v149
	s_wait_loadcnt 0x0
	v_dual_sub_f32 v1, v138, v2 :: v_dual_sub_f32 v2, v139, v3
	scratch_store_b64 off, v[1:2], off offset:240
	v_cmpx_lt_u32_e32 29, v0
	s_cbranch_execz .LBB42_213
; %bb.212:
	scratch_load_b64 v[1:2], off, off offset:232
	v_mov_b32_e32 v3, 0
	s_delay_alu instid0(VALU_DEP_1)
	v_mov_b32_e32 v4, v3
	scratch_store_b64 off, v[3:4], off offset:232
	s_wait_loadcnt 0x0
	ds_store_b64 v23, v[1:2]
.LBB42_213:
	s_wait_alu 0xfffe
	s_or_b32 exec_lo, exec_lo, s0
	s_wait_storecnt_dscnt 0x0
	s_barrier_signal -1
	s_barrier_wait -1
	global_inv scope:SCOPE_SE
	s_clause 0x7
	scratch_load_b128 v[2:5], off, off offset:240
	scratch_load_b128 v[6:9], off, off offset:256
	;; [unrolled: 1-line block ×6, first 2 shown]
	scratch_load_b64 v[138:139], off, off offset:336
	scratch_load_b64 v[140:141], off, off offset:232
	v_mov_b32_e32 v1, 0
	ds_load_b128 v[114:117], v1 offset:592
	ds_load_b128 v[118:121], v1 offset:608
	;; [unrolled: 1-line block ×6, first 2 shown]
	ds_load_b64 v[142:143], v1 offset:688
	s_mov_b32 s0, exec_lo
	s_wait_loadcnt_dscnt 0x706
	v_mul_f32_e32 v22, v114, v3
	v_dual_mul_f32 v3, v115, v3 :: v_dual_mul_f32 v144, v116, v5
	s_wait_loadcnt_dscnt 0x302
	v_dual_mul_f32 v145, v118, v7 :: v_dual_mul_f32 v152, v132, v21
	v_mul_f32_e32 v5, v117, v5
	s_wait_loadcnt_dscnt 0x100
	v_dual_mul_f32 v155, v142, v139 :: v_dual_fmac_f32 v22, v115, v2
	v_fma_f32 v3, v114, v2, -v3
	v_dual_mul_f32 v146, v120, v9 :: v_dual_mul_f32 v147, v122, v11
	v_mul_f32_e32 v2, v119, v7
	s_delay_alu instid0(VALU_DEP_3) | instskip(SKIP_1) | instid1(VALU_DEP_4)
	v_dual_fmac_f32 v144, v117, v4 :: v_dual_add_f32 v3, 0, v3
	v_fma_f32 v4, v116, v4, -v5
	v_dual_add_f32 v5, 0, v22 :: v_dual_fmac_f32 v146, v121, v8
	v_fmac_f32_e32 v145, v119, v6
	v_fma_f32 v2, v118, v6, -v2
	s_delay_alu instid0(VALU_DEP_4) | instskip(SKIP_3) | instid1(VALU_DEP_4)
	v_add_f32_e32 v3, v3, v4
	v_mul_f32_e32 v7, v121, v9
	v_add_f32_e32 v4, v5, v144
	v_dual_mul_f32 v148, v124, v13 :: v_dual_mul_f32 v149, v126, v15
	v_add_f32_e32 v2, v3, v2
	s_delay_alu instid0(VALU_DEP_4)
	v_fma_f32 v6, v120, v8, -v7
	v_mul_f32_e32 v5, v123, v11
	v_add_f32_e32 v3, v4, v145
	v_dual_mul_f32 v4, v125, v13 :: v_dual_fmac_f32 v147, v123, v10
	v_fmac_f32_e32 v148, v125, v12
	v_add_f32_e32 v2, v2, v6
	v_fma_f32 v5, v122, v10, -v5
	v_mul_f32_e32 v6, v127, v15
	v_add_f32_e32 v3, v3, v146
	v_fma_f32 v4, v124, v12, -v4
	v_dual_mul_f32 v150, v128, v17 :: v_dual_mul_f32 v151, v130, v19
	s_delay_alu instid0(VALU_DEP_3) | instskip(SKIP_1) | instid1(VALU_DEP_3)
	v_dual_add_f32 v2, v2, v5 :: v_dual_add_f32 v3, v3, v147
	v_mul_f32_e32 v5, v129, v17
	v_dual_fmac_f32 v149, v127, v14 :: v_dual_fmac_f32 v150, v129, v16
	v_fma_f32 v6, v126, v14, -v6
	s_delay_alu instid0(VALU_DEP_4) | instskip(SKIP_4) | instid1(VALU_DEP_4)
	v_add_f32_e32 v2, v2, v4
	v_add_f32_e32 v3, v3, v148
	v_mul_f32_e32 v4, v131, v19
	v_fma_f32 v5, v128, v16, -v5
	v_fmac_f32_e32 v151, v131, v18
	v_dual_add_f32 v2, v2, v6 :: v_dual_add_f32 v3, v3, v149
	v_fmac_f32_e32 v152, v133, v20
	v_mul_f32_e32 v6, v133, v21
	v_fma_f32 v4, v130, v18, -v4
	s_delay_alu instid0(VALU_DEP_4) | instskip(SKIP_1) | instid1(VALU_DEP_2)
	v_dual_add_f32 v2, v2, v5 :: v_dual_add_f32 v3, v3, v150
	v_dual_mul_f32 v153, v134, v111 :: v_dual_mul_f32 v154, v136, v113
	v_dual_mul_f32 v5, v135, v111 :: v_dual_add_f32 v2, v2, v4
	v_fma_f32 v6, v132, v20, -v6
	s_delay_alu instid0(VALU_DEP_4) | instskip(NEXT) | instid1(VALU_DEP_4)
	v_dual_add_f32 v3, v3, v151 :: v_dual_mul_f32 v4, v137, v113
	v_dual_fmac_f32 v153, v135, v110 :: v_dual_fmac_f32 v154, v137, v112
	s_delay_alu instid0(VALU_DEP_4) | instskip(NEXT) | instid1(VALU_DEP_3)
	v_fma_f32 v5, v134, v110, -v5
	v_dual_add_f32 v2, v2, v6 :: v_dual_add_f32 v3, v3, v152
	v_mul_f32_e32 v6, v143, v139
	v_fma_f32 v4, v136, v112, -v4
	s_delay_alu instid0(VALU_DEP_3) | instskip(NEXT) | instid1(VALU_DEP_4)
	v_dual_fmac_f32 v155, v143, v138 :: v_dual_add_f32 v2, v2, v5
	v_add_f32_e32 v3, v3, v153
	s_delay_alu instid0(VALU_DEP_4) | instskip(NEXT) | instid1(VALU_DEP_2)
	v_fma_f32 v5, v142, v138, -v6
	v_dual_add_f32 v2, v2, v4 :: v_dual_add_f32 v3, v3, v154
	s_delay_alu instid0(VALU_DEP_1) | instskip(SKIP_1) | instid1(VALU_DEP_1)
	v_dual_add_f32 v2, v2, v5 :: v_dual_add_f32 v3, v3, v155
	s_wait_loadcnt 0x0
	v_dual_sub_f32 v2, v140, v2 :: v_dual_sub_f32 v3, v141, v3
	scratch_store_b64 off, v[2:3], off offset:232
	v_cmpx_lt_u32_e32 28, v0
	s_cbranch_execz .LBB42_215
; %bb.214:
	scratch_load_b64 v[3:4], off, off offset:224
	v_mov_b32_e32 v2, v1
	scratch_store_b64 off, v[1:2], off offset:224
	s_wait_loadcnt 0x0
	ds_store_b64 v23, v[3:4]
.LBB42_215:
	s_wait_alu 0xfffe
	s_or_b32 exec_lo, exec_lo, s0
	s_wait_storecnt_dscnt 0x0
	s_barrier_signal -1
	s_barrier_wait -1
	global_inv scope:SCOPE_SE
	s_clause 0x7
	scratch_load_b128 v[2:5], off, off offset:232
	scratch_load_b128 v[6:9], off, off offset:248
	;; [unrolled: 1-line block ×7, first 2 shown]
	scratch_load_b64 v[146:147], off, off offset:224
	ds_load_2addr_b64 v[118:121], v1 offset0:73 offset1:74
	ds_load_2addr_b64 v[122:125], v1 offset0:75 offset1:76
	ds_load_2addr_b64 v[126:129], v1 offset0:77 offset1:78
	ds_load_2addr_b64 v[130:133], v1 offset0:79 offset1:80
	ds_load_2addr_b64 v[134:137], v1 offset0:81 offset1:82
	ds_load_2addr_b64 v[138:141], v1 offset0:83 offset1:84
	ds_load_2addr_b64 v[142:145], v1 offset0:85 offset1:86
	s_mov_b32 s0, exec_lo
	s_wait_loadcnt_dscnt 0x706
	v_dual_mul_f32 v1, v118, v3 :: v_dual_mul_f32 v22, v120, v5
	v_mul_f32_e32 v3, v119, v3
	s_wait_loadcnt_dscnt 0x605
	v_dual_mul_f32 v5, v121, v5 :: v_dual_mul_f32 v148, v122, v7
	s_delay_alu instid0(VALU_DEP_3) | instskip(NEXT) | instid1(VALU_DEP_3)
	v_dual_mul_f32 v149, v124, v9 :: v_dual_fmac_f32 v22, v121, v4
	v_fma_f32 v3, v118, v2, -v3
	v_fmac_f32_e32 v1, v119, v2
	v_mul_f32_e32 v2, v123, v7
	v_fma_f32 v4, v120, v4, -v5
	s_delay_alu instid0(VALU_DEP_4)
	v_dual_fmac_f32 v148, v123, v6 :: v_dual_add_f32 v3, 0, v3
	s_wait_loadcnt_dscnt 0x302
	v_dual_mul_f32 v154, v134, v19 :: v_dual_mul_f32 v155, v136, v21
	v_fma_f32 v2, v122, v6, -v2
	v_dual_mul_f32 v150, v126, v11 :: v_dual_mul_f32 v151, v128, v13
	v_add_f32_e32 v3, v3, v4
	v_dual_mul_f32 v5, v125, v9 :: v_dual_mul_f32 v152, v130, v15
	v_dual_mul_f32 v153, v132, v17 :: v_dual_mul_f32 v4, v127, v11
	s_delay_alu instid0(VALU_DEP_3) | instskip(NEXT) | instid1(VALU_DEP_3)
	v_add_f32_e32 v2, v3, v2
	v_fma_f32 v5, v124, v8, -v5
	v_dual_mul_f32 v3, v129, v13 :: v_dual_fmac_f32 v154, v135, v18
	s_delay_alu instid0(VALU_DEP_4) | instskip(SKIP_1) | instid1(VALU_DEP_4)
	v_fma_f32 v4, v126, v10, -v4
	v_dual_fmac_f32 v149, v125, v8 :: v_dual_fmac_f32 v150, v127, v10
	v_add_f32_e32 v2, v2, v5
	v_add_f32_e32 v1, 0, v1
	v_fma_f32 v3, v128, v12, -v3
	v_fmac_f32_e32 v152, v131, v14
	s_wait_loadcnt_dscnt 0x201
	v_dual_mul_f32 v156, v138, v111 :: v_dual_mul_f32 v157, v140, v113
	v_dual_add_f32 v1, v1, v22 :: v_dual_add_f32 v2, v2, v4
	v_mul_f32_e32 v4, v133, v17
	s_wait_loadcnt_dscnt 0x100
	v_dual_mul_f32 v158, v142, v115 :: v_dual_mul_f32 v159, v144, v117
	s_delay_alu instid0(VALU_DEP_3) | instskip(NEXT) | instid1(VALU_DEP_3)
	v_dual_add_f32 v1, v1, v148 :: v_dual_add_f32 v2, v2, v3
	v_fma_f32 v4, v132, v16, -v4
	v_mul_f32_e32 v5, v131, v15
	v_fmac_f32_e32 v157, v141, v112
	s_delay_alu instid0(VALU_DEP_4) | instskip(SKIP_1) | instid1(VALU_DEP_4)
	v_add_f32_e32 v1, v1, v149
	v_dual_fmac_f32 v159, v145, v116 :: v_dual_fmac_f32 v156, v139, v110
	v_fma_f32 v5, v130, v14, -v5
	v_fmac_f32_e32 v151, v129, v12
	s_delay_alu instid0(VALU_DEP_4) | instskip(SKIP_1) | instid1(VALU_DEP_4)
	v_add_f32_e32 v1, v1, v150
	v_fmac_f32_e32 v158, v143, v114
	v_add_f32_e32 v2, v2, v5
	s_delay_alu instid0(VALU_DEP_1) | instskip(SKIP_2) | instid1(VALU_DEP_2)
	v_add_f32_e32 v2, v2, v4
	v_mul_f32_e32 v4, v139, v111
	v_add_f32_e32 v1, v1, v151
	v_fma_f32 v4, v138, v110, -v4
	v_mul_f32_e32 v5, v137, v21
	s_delay_alu instid0(VALU_DEP_3) | instskip(NEXT) | instid1(VALU_DEP_2)
	v_add_f32_e32 v1, v1, v152
	v_fma_f32 v5, v136, v20, -v5
	v_mul_f32_e32 v3, v135, v19
	s_delay_alu instid0(VALU_DEP_1) | instskip(NEXT) | instid1(VALU_DEP_1)
	v_fma_f32 v3, v134, v18, -v3
	v_dual_fmac_f32 v153, v133, v16 :: v_dual_add_f32 v2, v2, v3
	v_mul_f32_e32 v3, v141, v113
	s_delay_alu instid0(VALU_DEP_2) | instskip(NEXT) | instid1(VALU_DEP_2)
	v_dual_add_f32 v2, v2, v5 :: v_dual_mul_f32 v5, v143, v115
	v_fma_f32 v3, v140, v112, -v3
	s_delay_alu instid0(VALU_DEP_2) | instskip(SKIP_1) | instid1(VALU_DEP_4)
	v_dual_add_f32 v2, v2, v4 :: v_dual_add_f32 v1, v1, v153
	v_mul_f32_e32 v4, v145, v117
	v_fma_f32 v5, v142, v114, -v5
	s_delay_alu instid0(VALU_DEP_3) | instskip(NEXT) | instid1(VALU_DEP_3)
	v_dual_add_f32 v2, v2, v3 :: v_dual_fmac_f32 v155, v137, v20
	v_fma_f32 v3, v144, v116, -v4
	s_delay_alu instid0(VALU_DEP_2) | instskip(NEXT) | instid1(VALU_DEP_1)
	v_dual_add_f32 v2, v2, v5 :: v_dual_add_f32 v1, v1, v154
	v_add_f32_e32 v2, v2, v3
	s_delay_alu instid0(VALU_DEP_2) | instskip(NEXT) | instid1(VALU_DEP_1)
	v_add_f32_e32 v1, v1, v155
	v_add_f32_e32 v1, v1, v156
	s_delay_alu instid0(VALU_DEP_1) | instskip(NEXT) | instid1(VALU_DEP_1)
	v_add_f32_e32 v1, v1, v157
	v_add_f32_e32 v1, v1, v158
	s_delay_alu instid0(VALU_DEP_1) | instskip(SKIP_1) | instid1(VALU_DEP_1)
	v_add_f32_e32 v3, v1, v159
	s_wait_loadcnt 0x0
	v_dual_sub_f32 v1, v146, v2 :: v_dual_sub_f32 v2, v147, v3
	scratch_store_b64 off, v[1:2], off offset:224
	v_cmpx_lt_u32_e32 27, v0
	s_cbranch_execz .LBB42_217
; %bb.216:
	scratch_load_b64 v[1:2], off, off offset:216
	v_mov_b32_e32 v3, 0
	s_delay_alu instid0(VALU_DEP_1)
	v_mov_b32_e32 v4, v3
	scratch_store_b64 off, v[3:4], off offset:216
	s_wait_loadcnt 0x0
	ds_store_b64 v23, v[1:2]
.LBB42_217:
	s_wait_alu 0xfffe
	s_or_b32 exec_lo, exec_lo, s0
	s_wait_storecnt_dscnt 0x0
	s_barrier_signal -1
	s_barrier_wait -1
	global_inv scope:SCOPE_SE
	s_clause 0x8
	scratch_load_b128 v[2:5], off, off offset:224
	scratch_load_b128 v[6:9], off, off offset:240
	;; [unrolled: 1-line block ×7, first 2 shown]
	scratch_load_b64 v[146:147], off, off offset:336
	scratch_load_b64 v[148:149], off, off offset:216
	v_mov_b32_e32 v1, 0
	ds_load_b128 v[118:121], v1 offset:576
	ds_load_b128 v[122:125], v1 offset:592
	;; [unrolled: 1-line block ×7, first 2 shown]
	ds_load_b64 v[150:151], v1 offset:688
	s_mov_b32 s0, exec_lo
	s_wait_loadcnt_dscnt 0x807
	v_mul_f32_e32 v22, v118, v3
	v_dual_mul_f32 v3, v119, v3 :: v_dual_mul_f32 v152, v120, v5
	s_wait_loadcnt_dscnt 0x706
	v_mul_f32_e32 v153, v122, v7
	v_mul_f32_e32 v5, v121, v5
	s_wait_loadcnt_dscnt 0x302
	v_mul_f32_e32 v162, v140, v113
	v_fma_f32 v3, v118, v2, -v3
	s_wait_loadcnt_dscnt 0x100
	v_dual_mul_f32 v165, v150, v147 :: v_dual_fmac_f32 v22, v119, v2
	v_mul_f32_e32 v2, v123, v7
	s_delay_alu instid0(VALU_DEP_3) | instskip(SKIP_4) | instid1(VALU_DEP_4)
	v_dual_fmac_f32 v152, v121, v4 :: v_dual_add_f32 v3, 0, v3
	v_fma_f32 v4, v120, v4, -v5
	v_dual_mul_f32 v154, v124, v9 :: v_dual_mul_f32 v155, v126, v11
	v_add_f32_e32 v5, 0, v22
	v_fma_f32 v2, v122, v6, -v2
	v_add_f32_e32 v3, v3, v4
	v_mul_f32_e32 v7, v125, v9
	v_dual_fmac_f32 v154, v125, v8 :: v_dual_fmac_f32 v153, v123, v6
	v_add_f32_e32 v4, v5, v152
	s_delay_alu instid0(VALU_DEP_4) | instskip(NEXT) | instid1(VALU_DEP_4)
	v_add_f32_e32 v2, v3, v2
	v_fma_f32 v6, v124, v8, -v7
	v_dual_mul_f32 v5, v127, v11 :: v_dual_mul_f32 v156, v128, v13
	v_mul_f32_e32 v157, v130, v15
	v_add_f32_e32 v3, v4, v153
	v_mul_f32_e32 v4, v129, v13
	v_add_f32_e32 v2, v2, v6
	v_fma_f32 v5, v126, v10, -v5
	v_dual_fmac_f32 v155, v127, v10 :: v_dual_fmac_f32 v156, v129, v12
	v_mul_f32_e32 v6, v131, v15
	s_delay_alu instid0(VALU_DEP_3) | instskip(SKIP_2) | instid1(VALU_DEP_4)
	v_dual_add_f32 v3, v3, v154 :: v_dual_add_f32 v2, v2, v5
	v_fma_f32 v4, v128, v12, -v4
	v_mul_f32_e32 v5, v133, v17
	v_fma_f32 v6, v130, v14, -v6
	s_delay_alu instid0(VALU_DEP_4) | instskip(SKIP_3) | instid1(VALU_DEP_4)
	v_dual_add_f32 v3, v3, v155 :: v_dual_mul_f32 v158, v132, v17
	v_mul_f32_e32 v159, v134, v19
	v_add_f32_e32 v2, v2, v4
	v_dual_mul_f32 v160, v136, v21 :: v_dual_mul_f32 v161, v138, v111
	v_dual_fmac_f32 v157, v131, v14 :: v_dual_fmac_f32 v158, v133, v16
	s_delay_alu instid0(VALU_DEP_3) | instskip(SKIP_3) | instid1(VALU_DEP_4)
	v_dual_add_f32 v3, v3, v156 :: v_dual_add_f32 v2, v2, v6
	v_mul_f32_e32 v4, v135, v19
	v_fma_f32 v5, v132, v16, -v5
	v_dual_mul_f32 v6, v137, v21 :: v_dual_fmac_f32 v159, v135, v18
	v_dual_add_f32 v3, v3, v157 :: v_dual_fmac_f32 v160, v137, v20
	s_delay_alu instid0(VALU_DEP_4) | instskip(NEXT) | instid1(VALU_DEP_4)
	v_fma_f32 v4, v134, v18, -v4
	v_add_f32_e32 v2, v2, v5
	s_delay_alu instid0(VALU_DEP_4) | instskip(NEXT) | instid1(VALU_DEP_4)
	v_fma_f32 v6, v136, v20, -v6
	v_add_f32_e32 v3, v3, v158
	v_mul_f32_e32 v5, v139, v111
	v_dual_mul_f32 v163, v142, v115 :: v_dual_mul_f32 v164, v144, v117
	s_delay_alu instid0(VALU_DEP_3) | instskip(SKIP_1) | instid1(VALU_DEP_4)
	v_dual_add_f32 v2, v2, v4 :: v_dual_add_f32 v3, v3, v159
	v_mul_f32_e32 v4, v141, v113
	v_fma_f32 v5, v138, v110, -v5
	v_dual_fmac_f32 v161, v139, v110 :: v_dual_fmac_f32 v162, v141, v112
	s_delay_alu instid0(VALU_DEP_4) | instskip(SKIP_2) | instid1(VALU_DEP_3)
	v_dual_add_f32 v2, v2, v6 :: v_dual_add_f32 v3, v3, v160
	v_mul_f32_e32 v6, v143, v115
	v_fma_f32 v4, v140, v112, -v4
	v_dual_fmac_f32 v163, v143, v114 :: v_dual_add_f32 v2, v2, v5
	s_delay_alu instid0(VALU_DEP_4) | instskip(SKIP_3) | instid1(VALU_DEP_4)
	v_add_f32_e32 v3, v3, v161
	v_mul_f32_e32 v5, v145, v117
	v_fma_f32 v6, v142, v114, -v6
	v_fmac_f32_e32 v164, v145, v116
	v_dual_add_f32 v2, v2, v4 :: v_dual_add_f32 v3, v3, v162
	v_mul_f32_e32 v4, v151, v147
	v_fma_f32 v5, v144, v116, -v5
	s_delay_alu instid0(VALU_DEP_3) | instskip(SKIP_1) | instid1(VALU_DEP_4)
	v_dual_add_f32 v2, v2, v6 :: v_dual_add_f32 v3, v3, v163
	v_fmac_f32_e32 v165, v151, v146
	v_fma_f32 v4, v150, v146, -v4
	s_delay_alu instid0(VALU_DEP_3) | instskip(NEXT) | instid1(VALU_DEP_1)
	v_add_f32_e32 v2, v2, v5
	v_add_f32_e32 v2, v2, v4
	s_wait_loadcnt 0x0
	s_delay_alu instid0(VALU_DEP_1) | instskip(NEXT) | instid1(VALU_DEP_1)
	v_dual_add_f32 v3, v3, v164 :: v_dual_sub_f32 v2, v148, v2
	v_add_f32_e32 v3, v3, v165
	s_delay_alu instid0(VALU_DEP_1)
	v_sub_f32_e32 v3, v149, v3
	scratch_store_b64 off, v[2:3], off offset:216
	v_cmpx_lt_u32_e32 26, v0
	s_cbranch_execz .LBB42_219
; %bb.218:
	scratch_load_b64 v[3:4], off, off offset:208
	v_mov_b32_e32 v2, v1
	scratch_store_b64 off, v[1:2], off offset:208
	s_wait_loadcnt 0x0
	ds_store_b64 v23, v[3:4]
.LBB42_219:
	s_wait_alu 0xfffe
	s_or_b32 exec_lo, exec_lo, s0
	s_wait_storecnt_dscnt 0x0
	s_barrier_signal -1
	s_barrier_wait -1
	global_inv scope:SCOPE_SE
	s_clause 0x8
	scratch_load_b128 v[2:5], off, off offset:216
	scratch_load_b128 v[6:9], off, off offset:232
	scratch_load_b128 v[10:13], off, off offset:248
	scratch_load_b128 v[14:17], off, off offset:264
	scratch_load_b128 v[18:21], off, off offset:280
	scratch_load_b128 v[110:113], off, off offset:296
	scratch_load_b128 v[114:117], off, off offset:312
	scratch_load_b128 v[118:121], off, off offset:328
	scratch_load_b64 v[154:155], off, off offset:208
	ds_load_2addr_b64 v[122:125], v1 offset0:71 offset1:72
	ds_load_2addr_b64 v[126:129], v1 offset0:73 offset1:74
	ds_load_2addr_b64 v[130:133], v1 offset0:75 offset1:76
	ds_load_2addr_b64 v[134:137], v1 offset0:77 offset1:78
	ds_load_2addr_b64 v[138:141], v1 offset0:79 offset1:80
	ds_load_2addr_b64 v[142:145], v1 offset0:81 offset1:82
	ds_load_2addr_b64 v[146:149], v1 offset0:83 offset1:84
	ds_load_2addr_b64 v[150:153], v1 offset0:85 offset1:86
	s_mov_b32 s0, exec_lo
	s_wait_loadcnt_dscnt 0x807
	v_dual_mul_f32 v1, v122, v3 :: v_dual_mul_f32 v22, v124, v5
	v_mul_f32_e32 v3, v123, v3
	s_wait_loadcnt_dscnt 0x706
	v_dual_mul_f32 v5, v125, v5 :: v_dual_mul_f32 v156, v126, v7
	s_delay_alu instid0(VALU_DEP_3) | instskip(NEXT) | instid1(VALU_DEP_3)
	v_dual_mul_f32 v157, v128, v9 :: v_dual_fmac_f32 v22, v125, v4
	v_fma_f32 v3, v122, v2, -v3
	v_fmac_f32_e32 v1, v123, v2
	v_mul_f32_e32 v2, v127, v7
	v_fma_f32 v4, v124, v4, -v5
	s_delay_alu instid0(VALU_DEP_4)
	v_dual_fmac_f32 v156, v127, v6 :: v_dual_add_f32 v3, 0, v3
	s_wait_loadcnt_dscnt 0x403
	v_dual_mul_f32 v162, v138, v19 :: v_dual_mul_f32 v163, v140, v21
	v_fma_f32 v2, v126, v6, -v2
	v_dual_mul_f32 v158, v130, v11 :: v_dual_mul_f32 v159, v132, v13
	v_add_f32_e32 v3, v3, v4
	v_dual_mul_f32 v5, v129, v9 :: v_dual_mul_f32 v160, v134, v15
	v_dual_mul_f32 v161, v136, v17 :: v_dual_mul_f32 v4, v131, v11
	s_delay_alu instid0(VALU_DEP_3) | instskip(NEXT) | instid1(VALU_DEP_3)
	v_add_f32_e32 v2, v3, v2
	v_fma_f32 v5, v128, v8, -v5
	v_dual_mul_f32 v3, v133, v13 :: v_dual_fmac_f32 v162, v139, v18
	s_delay_alu instid0(VALU_DEP_4) | instskip(SKIP_1) | instid1(VALU_DEP_4)
	v_fma_f32 v4, v130, v10, -v4
	v_dual_fmac_f32 v157, v129, v8 :: v_dual_fmac_f32 v158, v131, v10
	v_add_f32_e32 v2, v2, v5
	v_add_f32_e32 v1, 0, v1
	v_fma_f32 v3, v132, v12, -v3
	v_fmac_f32_e32 v160, v135, v14
	s_wait_loadcnt_dscnt 0x302
	v_dual_mul_f32 v164, v142, v111 :: v_dual_mul_f32 v165, v144, v113
	v_dual_add_f32 v1, v1, v22 :: v_dual_add_f32 v2, v2, v4
	v_mul_f32_e32 v4, v137, v17
	s_wait_loadcnt_dscnt 0x100
	v_dual_mul_f32 v168, v150, v119 :: v_dual_mul_f32 v169, v152, v121
	s_delay_alu instid0(VALU_DEP_3) | instskip(NEXT) | instid1(VALU_DEP_3)
	v_dual_add_f32 v1, v1, v156 :: v_dual_add_f32 v2, v2, v3
	v_fma_f32 v4, v136, v16, -v4
	v_mul_f32_e32 v5, v135, v15
	v_dual_mul_f32 v166, v146, v115 :: v_dual_mul_f32 v167, v148, v117
	s_delay_alu instid0(VALU_DEP_4) | instskip(SKIP_1) | instid1(VALU_DEP_4)
	v_add_f32_e32 v1, v1, v157
	v_fmac_f32_e32 v169, v153, v120
	v_fma_f32 v5, v134, v14, -v5
	v_dual_fmac_f32 v159, v133, v12 :: v_dual_fmac_f32 v164, v143, v110
	s_delay_alu instid0(VALU_DEP_4) | instskip(NEXT) | instid1(VALU_DEP_3)
	v_add_f32_e32 v1, v1, v158
	v_dual_fmac_f32 v167, v149, v116 :: v_dual_add_f32 v2, v2, v5
	v_fmac_f32_e32 v166, v147, v114
	v_fmac_f32_e32 v168, v151, v118
	s_delay_alu instid0(VALU_DEP_3) | instskip(SKIP_2) | instid1(VALU_DEP_2)
	v_add_f32_e32 v2, v2, v4
	v_mul_f32_e32 v4, v143, v111
	v_add_f32_e32 v1, v1, v159
	v_fma_f32 v4, v142, v110, -v4
	v_mul_f32_e32 v5, v141, v21
	s_delay_alu instid0(VALU_DEP_3) | instskip(NEXT) | instid1(VALU_DEP_2)
	v_add_f32_e32 v1, v1, v160
	v_fma_f32 v5, v140, v20, -v5
	v_mul_f32_e32 v3, v139, v19
	s_delay_alu instid0(VALU_DEP_1) | instskip(NEXT) | instid1(VALU_DEP_1)
	v_fma_f32 v3, v138, v18, -v3
	v_dual_fmac_f32 v161, v137, v16 :: v_dual_add_f32 v2, v2, v3
	v_mul_f32_e32 v3, v145, v113
	s_delay_alu instid0(VALU_DEP_2) | instskip(NEXT) | instid1(VALU_DEP_2)
	v_dual_add_f32 v2, v2, v5 :: v_dual_mul_f32 v5, v147, v115
	v_fma_f32 v3, v144, v112, -v3
	s_delay_alu instid0(VALU_DEP_2) | instskip(SKIP_1) | instid1(VALU_DEP_4)
	v_dual_add_f32 v2, v2, v4 :: v_dual_add_f32 v1, v1, v161
	v_mul_f32_e32 v4, v149, v117
	v_fma_f32 v5, v146, v114, -v5
	s_delay_alu instid0(VALU_DEP_3) | instskip(SKIP_1) | instid1(VALU_DEP_4)
	v_dual_add_f32 v2, v2, v3 :: v_dual_fmac_f32 v163, v141, v20
	v_mul_f32_e32 v3, v151, v119
	v_fma_f32 v4, v148, v116, -v4
	s_delay_alu instid0(VALU_DEP_3) | instskip(SKIP_1) | instid1(VALU_DEP_4)
	v_dual_add_f32 v2, v2, v5 :: v_dual_add_f32 v1, v1, v162
	v_mul_f32_e32 v5, v153, v121
	v_fma_f32 v3, v150, v118, -v3
	s_delay_alu instid0(VALU_DEP_3) | instskip(SKIP_1) | instid1(VALU_DEP_4)
	v_add_f32_e32 v2, v2, v4
	v_fmac_f32_e32 v165, v145, v112
	v_fma_f32 v4, v152, v120, -v5
	s_delay_alu instid0(VALU_DEP_3) | instskip(NEXT) | instid1(VALU_DEP_1)
	v_add_f32_e32 v2, v2, v3
	v_dual_add_f32 v1, v1, v163 :: v_dual_add_f32 v2, v2, v4
	s_delay_alu instid0(VALU_DEP_1) | instskip(NEXT) | instid1(VALU_DEP_1)
	v_add_f32_e32 v1, v1, v164
	v_add_f32_e32 v1, v1, v165
	s_delay_alu instid0(VALU_DEP_1) | instskip(NEXT) | instid1(VALU_DEP_1)
	v_add_f32_e32 v1, v1, v166
	v_add_f32_e32 v1, v1, v167
	;; [unrolled: 3-line block ×3, first 2 shown]
	s_wait_loadcnt 0x0
	s_delay_alu instid0(VALU_DEP_1)
	v_dual_sub_f32 v1, v154, v2 :: v_dual_sub_f32 v2, v155, v3
	scratch_store_b64 off, v[1:2], off offset:208
	v_cmpx_lt_u32_e32 25, v0
	s_cbranch_execz .LBB42_221
; %bb.220:
	scratch_load_b64 v[1:2], off, off offset:200
	v_mov_b32_e32 v3, 0
	s_delay_alu instid0(VALU_DEP_1)
	v_mov_b32_e32 v4, v3
	scratch_store_b64 off, v[3:4], off offset:200
	s_wait_loadcnt 0x0
	ds_store_b64 v23, v[1:2]
.LBB42_221:
	s_wait_alu 0xfffe
	s_or_b32 exec_lo, exec_lo, s0
	s_wait_storecnt_dscnt 0x0
	s_barrier_signal -1
	s_barrier_wait -1
	global_inv scope:SCOPE_SE
	s_clause 0x9
	scratch_load_b128 v[2:5], off, off offset:208
	scratch_load_b128 v[6:9], off, off offset:224
	;; [unrolled: 1-line block ×8, first 2 shown]
	scratch_load_b64 v[154:155], off, off offset:336
	scratch_load_b64 v[156:157], off, off offset:200
	v_mov_b32_e32 v1, 0
	ds_load_b128 v[122:125], v1 offset:560
	ds_load_b128 v[126:129], v1 offset:576
	;; [unrolled: 1-line block ×8, first 2 shown]
	ds_load_b64 v[158:159], v1 offset:688
	s_mov_b32 s0, exec_lo
	s_wait_loadcnt_dscnt 0x908
	v_mul_f32_e32 v22, v122, v3
	s_wait_loadcnt_dscnt 0x807
	v_dual_mul_f32 v160, v124, v5 :: v_dual_mul_f32 v161, v126, v7
	v_mul_f32_e32 v3, v123, v3
	s_delay_alu instid0(VALU_DEP_3)
	v_dual_mul_f32 v5, v125, v5 :: v_dual_fmac_f32 v22, v123, v2
	s_wait_loadcnt_dscnt 0x302
	v_mul_f32_e32 v172, v148, v117
	v_dual_mul_f32 v162, v128, v9 :: v_dual_mul_f32 v163, v130, v11
	s_wait_loadcnt_dscnt 0x100
	v_mul_f32_e32 v175, v158, v155
	v_fma_f32 v3, v122, v2, -v3
	v_mul_f32_e32 v2, v127, v7
	v_fmac_f32_e32 v160, v125, v4
	v_fma_f32 v4, v124, v4, -v5
	v_dual_add_f32 v5, 0, v22 :: v_dual_fmac_f32 v162, v129, v8
	v_add_f32_e32 v3, 0, v3
	v_fmac_f32_e32 v161, v127, v6
	v_fma_f32 v2, v126, v6, -v2
	v_dual_mul_f32 v164, v132, v13 :: v_dual_mul_f32 v165, v134, v15
	s_delay_alu instid0(VALU_DEP_4) | instskip(SKIP_2) | instid1(VALU_DEP_4)
	v_add_f32_e32 v3, v3, v4
	v_mul_f32_e32 v7, v129, v9
	v_dual_add_f32 v4, v5, v160 :: v_dual_fmac_f32 v163, v131, v10
	v_fmac_f32_e32 v164, v133, v12
	s_delay_alu instid0(VALU_DEP_4) | instskip(NEXT) | instid1(VALU_DEP_4)
	v_add_f32_e32 v2, v3, v2
	v_fma_f32 v6, v128, v8, -v7
	v_mul_f32_e32 v5, v131, v11
	v_add_f32_e32 v3, v4, v161
	v_mul_f32_e32 v4, v133, v13
	v_dual_mul_f32 v166, v136, v17 :: v_dual_mul_f32 v167, v138, v19
	v_add_f32_e32 v2, v2, v6
	v_fma_f32 v5, v130, v10, -v5
	v_mul_f32_e32 v6, v135, v15
	v_add_f32_e32 v3, v3, v162
	v_fma_f32 v4, v132, v12, -v4
	v_dual_fmac_f32 v165, v135, v14 :: v_dual_fmac_f32 v166, v137, v16
	s_delay_alu instid0(VALU_DEP_3) | instskip(SKIP_3) | instid1(VALU_DEP_4)
	v_dual_add_f32 v2, v2, v5 :: v_dual_add_f32 v3, v3, v163
	v_mul_f32_e32 v5, v137, v17
	v_fma_f32 v6, v134, v14, -v6
	v_dual_mul_f32 v168, v140, v21 :: v_dual_mul_f32 v169, v142, v111
	v_add_f32_e32 v2, v2, v4
	v_add_f32_e32 v3, v3, v164
	v_mul_f32_e32 v4, v139, v19
	v_fma_f32 v5, v136, v16, -v5
	v_fmac_f32_e32 v167, v139, v18
	s_delay_alu instid0(VALU_DEP_4) | instskip(SKIP_3) | instid1(VALU_DEP_4)
	v_dual_add_f32 v2, v2, v6 :: v_dual_add_f32 v3, v3, v165
	v_fmac_f32_e32 v168, v141, v20
	v_mul_f32_e32 v6, v141, v21
	v_fma_f32 v4, v138, v18, -v4
	v_dual_add_f32 v2, v2, v5 :: v_dual_add_f32 v3, v3, v166
	v_mul_f32_e32 v5, v143, v111
	s_delay_alu instid0(VALU_DEP_4) | instskip(SKIP_1) | instid1(VALU_DEP_4)
	v_fma_f32 v6, v140, v20, -v6
	v_dual_mul_f32 v170, v144, v113 :: v_dual_mul_f32 v171, v146, v115
	v_dual_add_f32 v2, v2, v4 :: v_dual_add_f32 v3, v3, v167
	v_dual_mul_f32 v4, v145, v113 :: v_dual_fmac_f32 v169, v143, v110
	s_delay_alu instid0(VALU_DEP_3) | instskip(SKIP_1) | instid1(VALU_DEP_4)
	v_fmac_f32_e32 v170, v145, v112
	v_fma_f32 v5, v142, v110, -v5
	v_dual_add_f32 v2, v2, v6 :: v_dual_add_f32 v3, v3, v168
	v_mul_f32_e32 v6, v147, v115
	v_fma_f32 v4, v144, v112, -v4
	s_delay_alu instid0(VALU_DEP_3) | instskip(NEXT) | instid1(VALU_DEP_4)
	v_dual_fmac_f32 v171, v147, v114 :: v_dual_add_f32 v2, v2, v5
	v_add_f32_e32 v3, v3, v169
	v_mul_f32_e32 v5, v149, v117
	v_fma_f32 v6, v146, v114, -v6
	v_dual_mul_f32 v173, v150, v119 :: v_dual_mul_f32 v174, v152, v121
	s_delay_alu instid0(VALU_DEP_4) | instskip(SKIP_3) | instid1(VALU_DEP_4)
	v_dual_add_f32 v2, v2, v4 :: v_dual_add_f32 v3, v3, v170
	v_fmac_f32_e32 v172, v149, v116
	v_mul_f32_e32 v4, v151, v119
	v_fma_f32 v5, v148, v116, -v5
	v_dual_add_f32 v2, v2, v6 :: v_dual_add_f32 v3, v3, v171
	v_dual_mul_f32 v6, v153, v121 :: v_dual_fmac_f32 v173, v151, v118
	s_delay_alu instid0(VALU_DEP_4) | instskip(NEXT) | instid1(VALU_DEP_3)
	v_fma_f32 v4, v150, v118, -v4
	v_dual_add_f32 v2, v2, v5 :: v_dual_add_f32 v3, v3, v172
	v_dual_mul_f32 v5, v159, v155 :: v_dual_fmac_f32 v174, v153, v120
	s_delay_alu instid0(VALU_DEP_4) | instskip(NEXT) | instid1(VALU_DEP_3)
	v_fma_f32 v6, v152, v120, -v6
	v_dual_add_f32 v2, v2, v4 :: v_dual_add_f32 v3, v3, v173
	s_delay_alu instid0(VALU_DEP_3) | instskip(NEXT) | instid1(VALU_DEP_2)
	v_fma_f32 v4, v158, v154, -v5
	v_add_f32_e32 v3, v3, v174
	s_delay_alu instid0(VALU_DEP_3) | instskip(NEXT) | instid1(VALU_DEP_1)
	v_add_f32_e32 v2, v2, v6
	v_dual_fmac_f32 v175, v159, v154 :: v_dual_add_f32 v2, v2, v4
	s_wait_loadcnt 0x0
	s_delay_alu instid0(VALU_DEP_1) | instskip(NEXT) | instid1(VALU_DEP_1)
	v_dual_add_f32 v3, v3, v175 :: v_dual_sub_f32 v2, v156, v2
	v_sub_f32_e32 v3, v157, v3
	scratch_store_b64 off, v[2:3], off offset:200
	v_cmpx_lt_u32_e32 24, v0
	s_cbranch_execz .LBB42_223
; %bb.222:
	scratch_load_b64 v[3:4], off, off offset:192
	v_mov_b32_e32 v2, v1
	scratch_store_b64 off, v[1:2], off offset:192
	s_wait_loadcnt 0x0
	ds_store_b64 v23, v[3:4]
.LBB42_223:
	s_wait_alu 0xfffe
	s_or_b32 exec_lo, exec_lo, s0
	s_wait_storecnt_dscnt 0x0
	s_barrier_signal -1
	s_barrier_wait -1
	global_inv scope:SCOPE_SE
	s_clause 0x9
	scratch_load_b128 v[2:5], off, off offset:200
	scratch_load_b128 v[6:9], off, off offset:216
	;; [unrolled: 1-line block ×9, first 2 shown]
	scratch_load_b64 v[162:163], off, off offset:192
	ds_load_2addr_b64 v[126:129], v1 offset0:69 offset1:70
	ds_load_2addr_b64 v[130:133], v1 offset0:71 offset1:72
	;; [unrolled: 1-line block ×9, first 2 shown]
	s_mov_b32 s0, exec_lo
	s_wait_loadcnt_dscnt 0x908
	v_dual_mul_f32 v1, v126, v3 :: v_dual_mul_f32 v22, v128, v5
	v_mul_f32_e32 v3, v127, v3
	s_wait_loadcnt_dscnt 0x807
	v_dual_mul_f32 v5, v129, v5 :: v_dual_mul_f32 v164, v130, v7
	s_delay_alu instid0(VALU_DEP_3) | instskip(NEXT) | instid1(VALU_DEP_3)
	v_dual_mul_f32 v165, v132, v9 :: v_dual_fmac_f32 v22, v129, v4
	v_fma_f32 v3, v126, v2, -v3
	v_fmac_f32_e32 v1, v127, v2
	v_mul_f32_e32 v2, v131, v7
	v_fma_f32 v4, v128, v4, -v5
	s_delay_alu instid0(VALU_DEP_4)
	v_dual_fmac_f32 v164, v131, v6 :: v_dual_add_f32 v3, 0, v3
	s_wait_loadcnt_dscnt 0x504
	v_dual_mul_f32 v170, v142, v19 :: v_dual_mul_f32 v171, v144, v21
	v_fma_f32 v2, v130, v6, -v2
	v_dual_mul_f32 v166, v134, v11 :: v_dual_mul_f32 v167, v136, v13
	v_add_f32_e32 v3, v3, v4
	v_dual_mul_f32 v5, v133, v9 :: v_dual_mul_f32 v168, v138, v15
	v_dual_mul_f32 v169, v140, v17 :: v_dual_mul_f32 v4, v135, v11
	s_delay_alu instid0(VALU_DEP_3) | instskip(NEXT) | instid1(VALU_DEP_3)
	v_add_f32_e32 v2, v3, v2
	v_fma_f32 v5, v132, v8, -v5
	v_dual_mul_f32 v3, v137, v13 :: v_dual_fmac_f32 v170, v143, v18
	s_delay_alu instid0(VALU_DEP_4) | instskip(SKIP_1) | instid1(VALU_DEP_4)
	v_fma_f32 v4, v134, v10, -v4
	v_dual_fmac_f32 v165, v133, v8 :: v_dual_fmac_f32 v166, v135, v10
	v_add_f32_e32 v2, v2, v5
	v_add_f32_e32 v1, 0, v1
	v_fma_f32 v3, v136, v12, -v3
	v_fmac_f32_e32 v168, v139, v14
	s_wait_loadcnt_dscnt 0x403
	v_dual_mul_f32 v172, v146, v111 :: v_dual_mul_f32 v173, v148, v113
	v_dual_add_f32 v1, v1, v22 :: v_dual_add_f32 v2, v2, v4
	v_mul_f32_e32 v4, v141, v17
	s_wait_loadcnt_dscnt 0x201
	v_dual_mul_f32 v176, v154, v119 :: v_dual_mul_f32 v177, v156, v121
	s_delay_alu instid0(VALU_DEP_3) | instskip(NEXT) | instid1(VALU_DEP_3)
	v_dual_add_f32 v1, v1, v164 :: v_dual_add_f32 v2, v2, v3
	v_fma_f32 v4, v140, v16, -v4
	v_mul_f32_e32 v5, v139, v15
	v_dual_mul_f32 v174, v150, v115 :: v_dual_mul_f32 v175, v152, v117
	s_wait_loadcnt_dscnt 0x100
	v_dual_add_f32 v1, v1, v165 :: v_dual_mul_f32 v178, v158, v123
	v_mul_f32_e32 v179, v160, v125
	v_fma_f32 v5, v138, v14, -v5
	v_fmac_f32_e32 v167, v137, v12
	s_delay_alu instid0(VALU_DEP_4) | instskip(SKIP_1) | instid1(VALU_DEP_4)
	v_add_f32_e32 v1, v1, v166
	v_dual_fmac_f32 v172, v147, v110 :: v_dual_fmac_f32 v173, v149, v112
	v_add_f32_e32 v2, v2, v5
	v_dual_fmac_f32 v174, v151, v114 :: v_dual_fmac_f32 v177, v157, v120
	v_dual_fmac_f32 v179, v161, v124 :: v_dual_fmac_f32 v176, v155, v118
	s_delay_alu instid0(VALU_DEP_3) | instskip(SKIP_2) | instid1(VALU_DEP_2)
	v_add_f32_e32 v2, v2, v4
	v_mul_f32_e32 v4, v147, v111
	v_dual_add_f32 v1, v1, v167 :: v_dual_fmac_f32 v178, v159, v122
	v_fma_f32 v4, v146, v110, -v4
	v_mul_f32_e32 v5, v145, v21
	s_delay_alu instid0(VALU_DEP_3) | instskip(NEXT) | instid1(VALU_DEP_2)
	v_add_f32_e32 v1, v1, v168
	v_fma_f32 v5, v144, v20, -v5
	v_mul_f32_e32 v3, v143, v19
	s_delay_alu instid0(VALU_DEP_1) | instskip(NEXT) | instid1(VALU_DEP_1)
	v_fma_f32 v3, v142, v18, -v3
	v_dual_fmac_f32 v169, v141, v16 :: v_dual_add_f32 v2, v2, v3
	v_mul_f32_e32 v3, v149, v113
	s_delay_alu instid0(VALU_DEP_2) | instskip(NEXT) | instid1(VALU_DEP_2)
	v_dual_add_f32 v2, v2, v5 :: v_dual_mul_f32 v5, v151, v115
	v_fma_f32 v3, v148, v112, -v3
	s_delay_alu instid0(VALU_DEP_2) | instskip(SKIP_1) | instid1(VALU_DEP_4)
	v_dual_add_f32 v2, v2, v4 :: v_dual_add_f32 v1, v1, v169
	v_mul_f32_e32 v4, v153, v117
	v_fma_f32 v5, v150, v114, -v5
	s_delay_alu instid0(VALU_DEP_3) | instskip(NEXT) | instid1(VALU_DEP_3)
	v_dual_add_f32 v2, v2, v3 :: v_dual_fmac_f32 v171, v145, v20
	v_fma_f32 v4, v152, v116, -v4
	s_delay_alu instid0(VALU_DEP_2) | instskip(SKIP_1) | instid1(VALU_DEP_2)
	v_add_f32_e32 v2, v2, v5
	v_mul_f32_e32 v5, v157, v121
	v_dual_add_f32 v1, v1, v170 :: v_dual_add_f32 v2, v2, v4
	s_delay_alu instid0(VALU_DEP_2) | instskip(SKIP_1) | instid1(VALU_DEP_3)
	v_fma_f32 v5, v156, v120, -v5
	v_mul_f32_e32 v3, v155, v119
	v_add_f32_e32 v1, v1, v171
	v_mul_f32_e32 v4, v159, v123
	s_delay_alu instid0(VALU_DEP_3) | instskip(NEXT) | instid1(VALU_DEP_3)
	v_fma_f32 v3, v154, v118, -v3
	v_add_f32_e32 v1, v1, v172
	s_delay_alu instid0(VALU_DEP_3) | instskip(NEXT) | instid1(VALU_DEP_3)
	v_fma_f32 v4, v158, v122, -v4
	v_dual_add_f32 v2, v2, v3 :: v_dual_mul_f32 v3, v161, v125
	s_delay_alu instid0(VALU_DEP_1) | instskip(NEXT) | instid1(VALU_DEP_4)
	v_add_f32_e32 v2, v2, v5
	v_add_f32_e32 v1, v1, v173
	s_delay_alu instid0(VALU_DEP_3) | instskip(NEXT) | instid1(VALU_DEP_3)
	v_fma_f32 v3, v160, v124, -v3
	v_add_f32_e32 v2, v2, v4
	v_fmac_f32_e32 v175, v153, v116
	s_delay_alu instid0(VALU_DEP_2) | instskip(NEXT) | instid1(VALU_DEP_1)
	v_dual_add_f32 v1, v1, v174 :: v_dual_add_f32 v2, v2, v3
	v_add_f32_e32 v1, v1, v175
	s_delay_alu instid0(VALU_DEP_1) | instskip(NEXT) | instid1(VALU_DEP_1)
	v_add_f32_e32 v1, v1, v176
	v_add_f32_e32 v1, v1, v177
	s_delay_alu instid0(VALU_DEP_1) | instskip(NEXT) | instid1(VALU_DEP_1)
	v_add_f32_e32 v1, v1, v178
	v_add_f32_e32 v3, v1, v179
	s_wait_loadcnt 0x0
	s_delay_alu instid0(VALU_DEP_1)
	v_dual_sub_f32 v1, v162, v2 :: v_dual_sub_f32 v2, v163, v3
	scratch_store_b64 off, v[1:2], off offset:192
	v_cmpx_lt_u32_e32 23, v0
	s_cbranch_execz .LBB42_225
; %bb.224:
	scratch_load_b64 v[1:2], off, off offset:184
	v_mov_b32_e32 v3, 0
	s_delay_alu instid0(VALU_DEP_1)
	v_mov_b32_e32 v4, v3
	scratch_store_b64 off, v[3:4], off offset:184
	s_wait_loadcnt 0x0
	ds_store_b64 v23, v[1:2]
.LBB42_225:
	s_wait_alu 0xfffe
	s_or_b32 exec_lo, exec_lo, s0
	s_wait_storecnt_dscnt 0x0
	s_barrier_signal -1
	s_barrier_wait -1
	global_inv scope:SCOPE_SE
	s_clause 0xa
	scratch_load_b128 v[2:5], off, off offset:192
	scratch_load_b128 v[6:9], off, off offset:208
	;; [unrolled: 1-line block ×9, first 2 shown]
	scratch_load_b64 v[162:163], off, off offset:336
	scratch_load_b64 v[164:165], off, off offset:184
	v_mov_b32_e32 v1, 0
	ds_load_b128 v[126:129], v1 offset:544
	ds_load_b128 v[130:133], v1 offset:560
	;; [unrolled: 1-line block ×9, first 2 shown]
	ds_load_b64 v[166:167], v1 offset:688
	s_mov_b32 s0, exec_lo
	s_wait_loadcnt_dscnt 0xa09
	v_mul_f32_e32 v22, v126, v3
	s_wait_loadcnt_dscnt 0x908
	v_dual_mul_f32 v168, v128, v5 :: v_dual_mul_f32 v169, v130, v7
	v_mul_f32_e32 v3, v127, v3
	s_delay_alu instid0(VALU_DEP_3)
	v_dual_mul_f32 v5, v129, v5 :: v_dual_fmac_f32 v22, v127, v2
	s_wait_loadcnt_dscnt 0x807
	v_dual_mul_f32 v170, v132, v9 :: v_dual_mul_f32 v171, v134, v11
	s_wait_loadcnt_dscnt 0x100
	v_dual_mul_f32 v182, v156, v121 :: v_dual_mul_f32 v185, v166, v163
	v_fma_f32 v3, v126, v2, -v3
	v_mul_f32_e32 v2, v131, v7
	v_fmac_f32_e32 v168, v129, v4
	v_fma_f32 v4, v128, v4, -v5
	v_dual_add_f32 v5, 0, v22 :: v_dual_fmac_f32 v170, v133, v8
	v_add_f32_e32 v3, 0, v3
	v_fmac_f32_e32 v169, v131, v6
	v_fma_f32 v2, v130, v6, -v2
	v_dual_mul_f32 v172, v136, v13 :: v_dual_mul_f32 v173, v138, v15
	s_delay_alu instid0(VALU_DEP_4) | instskip(SKIP_2) | instid1(VALU_DEP_4)
	v_add_f32_e32 v3, v3, v4
	v_mul_f32_e32 v7, v133, v9
	v_dual_add_f32 v4, v5, v168 :: v_dual_fmac_f32 v171, v135, v10
	v_fmac_f32_e32 v172, v137, v12
	s_delay_alu instid0(VALU_DEP_4) | instskip(NEXT) | instid1(VALU_DEP_4)
	v_add_f32_e32 v2, v3, v2
	v_fma_f32 v6, v132, v8, -v7
	v_mul_f32_e32 v5, v135, v11
	v_add_f32_e32 v3, v4, v169
	v_mul_f32_e32 v4, v137, v13
	v_dual_mul_f32 v174, v140, v17 :: v_dual_mul_f32 v175, v142, v19
	v_add_f32_e32 v2, v2, v6
	v_fma_f32 v5, v134, v10, -v5
	v_mul_f32_e32 v6, v139, v15
	v_add_f32_e32 v3, v3, v170
	v_fma_f32 v4, v136, v12, -v4
	v_dual_fmac_f32 v173, v139, v14 :: v_dual_fmac_f32 v174, v141, v16
	s_delay_alu instid0(VALU_DEP_3) | instskip(SKIP_3) | instid1(VALU_DEP_4)
	v_dual_add_f32 v2, v2, v5 :: v_dual_add_f32 v3, v3, v171
	v_mul_f32_e32 v5, v141, v17
	v_fma_f32 v6, v138, v14, -v6
	v_dual_mul_f32 v176, v144, v21 :: v_dual_mul_f32 v177, v146, v111
	v_add_f32_e32 v2, v2, v4
	v_add_f32_e32 v3, v3, v172
	v_mul_f32_e32 v4, v143, v19
	v_fma_f32 v5, v140, v16, -v5
	v_fmac_f32_e32 v175, v143, v18
	s_delay_alu instid0(VALU_DEP_4) | instskip(SKIP_3) | instid1(VALU_DEP_4)
	v_dual_add_f32 v2, v2, v6 :: v_dual_add_f32 v3, v3, v173
	v_fmac_f32_e32 v176, v145, v20
	v_mul_f32_e32 v6, v145, v21
	v_fma_f32 v4, v142, v18, -v4
	v_dual_add_f32 v2, v2, v5 :: v_dual_add_f32 v3, v3, v174
	v_mul_f32_e32 v5, v147, v111
	s_delay_alu instid0(VALU_DEP_4) | instskip(SKIP_1) | instid1(VALU_DEP_4)
	v_fma_f32 v6, v144, v20, -v6
	v_dual_mul_f32 v178, v148, v113 :: v_dual_mul_f32 v179, v150, v115
	v_dual_add_f32 v2, v2, v4 :: v_dual_add_f32 v3, v3, v175
	v_dual_mul_f32 v4, v149, v113 :: v_dual_fmac_f32 v177, v147, v110
	s_delay_alu instid0(VALU_DEP_3) | instskip(SKIP_1) | instid1(VALU_DEP_4)
	v_fmac_f32_e32 v178, v149, v112
	v_fma_f32 v5, v146, v110, -v5
	v_dual_add_f32 v2, v2, v6 :: v_dual_add_f32 v3, v3, v176
	v_mul_f32_e32 v6, v151, v115
	v_fma_f32 v4, v148, v112, -v4
	s_delay_alu instid0(VALU_DEP_3) | instskip(NEXT) | instid1(VALU_DEP_4)
	v_dual_fmac_f32 v179, v151, v114 :: v_dual_add_f32 v2, v2, v5
	v_add_f32_e32 v3, v3, v177
	v_dual_mul_f32 v180, v152, v117 :: v_dual_mul_f32 v181, v154, v119
	v_mul_f32_e32 v5, v153, v117
	v_fma_f32 v6, v150, v114, -v6
	s_delay_alu instid0(VALU_DEP_4) | instskip(NEXT) | instid1(VALU_DEP_4)
	v_dual_add_f32 v2, v2, v4 :: v_dual_add_f32 v3, v3, v178
	v_fmac_f32_e32 v180, v153, v116
	v_mul_f32_e32 v4, v155, v119
	v_fma_f32 v5, v152, v116, -v5
	s_delay_alu instid0(VALU_DEP_4) | instskip(SKIP_1) | instid1(VALU_DEP_4)
	v_dual_add_f32 v2, v2, v6 :: v_dual_add_f32 v3, v3, v179
	v_dual_mul_f32 v6, v157, v121 :: v_dual_fmac_f32 v181, v155, v118
	v_fma_f32 v4, v154, v118, -v4
	s_delay_alu instid0(VALU_DEP_3) | instskip(SKIP_3) | instid1(VALU_DEP_4)
	v_dual_add_f32 v2, v2, v5 :: v_dual_add_f32 v3, v3, v180
	v_dual_mul_f32 v183, v158, v123 :: v_dual_mul_f32 v184, v160, v125
	v_dual_mul_f32 v5, v159, v123 :: v_dual_fmac_f32 v182, v157, v120
	v_fma_f32 v6, v156, v120, -v6
	v_dual_add_f32 v2, v2, v4 :: v_dual_add_f32 v3, v3, v181
	s_delay_alu instid0(VALU_DEP_4) | instskip(NEXT) | instid1(VALU_DEP_4)
	v_dual_mul_f32 v4, v161, v125 :: v_dual_fmac_f32 v183, v159, v122
	v_fma_f32 v5, v158, v122, -v5
	s_delay_alu instid0(VALU_DEP_3) | instskip(NEXT) | instid1(VALU_DEP_4)
	v_dual_fmac_f32 v184, v161, v124 :: v_dual_add_f32 v3, v3, v182
	v_add_f32_e32 v2, v2, v6
	v_mul_f32_e32 v6, v167, v163
	v_fma_f32 v4, v160, v124, -v4
	v_fmac_f32_e32 v185, v167, v162
	s_delay_alu instid0(VALU_DEP_4) | instskip(NEXT) | instid1(VALU_DEP_4)
	v_dual_add_f32 v3, v3, v183 :: v_dual_add_f32 v2, v2, v5
	v_fma_f32 v5, v166, v162, -v6
	s_delay_alu instid0(VALU_DEP_2) | instskip(NEXT) | instid1(VALU_DEP_1)
	v_add_f32_e32 v3, v3, v184
	v_dual_add_f32 v2, v2, v4 :: v_dual_add_f32 v3, v3, v185
	s_wait_loadcnt 0x0
	s_delay_alu instid0(VALU_DEP_1) | instskip(NEXT) | instid1(VALU_DEP_1)
	v_dual_add_f32 v2, v2, v5 :: v_dual_sub_f32 v3, v165, v3
	v_sub_f32_e32 v2, v164, v2
	scratch_store_b64 off, v[2:3], off offset:184
	v_cmpx_lt_u32_e32 22, v0
	s_cbranch_execz .LBB42_227
; %bb.226:
	scratch_load_b64 v[3:4], off, off offset:176
	v_mov_b32_e32 v2, v1
	scratch_store_b64 off, v[1:2], off offset:176
	s_wait_loadcnt 0x0
	ds_store_b64 v23, v[3:4]
.LBB42_227:
	s_wait_alu 0xfffe
	s_or_b32 exec_lo, exec_lo, s0
	s_wait_storecnt_dscnt 0x0
	s_barrier_signal -1
	s_barrier_wait -1
	global_inv scope:SCOPE_SE
	s_clause 0xa
	scratch_load_b128 v[2:5], off, off offset:184
	scratch_load_b128 v[6:9], off, off offset:200
	;; [unrolled: 1-line block ×10, first 2 shown]
	scratch_load_b64 v[170:171], off, off offset:176
	ds_load_2addr_b64 v[130:133], v1 offset0:67 offset1:68
	ds_load_2addr_b64 v[134:137], v1 offset0:69 offset1:70
	;; [unrolled: 1-line block ×10, first 2 shown]
	s_mov_b32 s0, exec_lo
	s_wait_loadcnt_dscnt 0xa09
	v_dual_mul_f32 v1, v130, v3 :: v_dual_mul_f32 v22, v132, v5
	v_mul_f32_e32 v3, v131, v3
	s_wait_loadcnt_dscnt 0x908
	v_dual_mul_f32 v5, v133, v5 :: v_dual_mul_f32 v172, v134, v7
	s_delay_alu instid0(VALU_DEP_3) | instskip(NEXT) | instid1(VALU_DEP_3)
	v_dual_mul_f32 v173, v136, v9 :: v_dual_fmac_f32 v22, v133, v4
	v_fma_f32 v3, v130, v2, -v3
	v_fmac_f32_e32 v1, v131, v2
	v_mul_f32_e32 v2, v135, v7
	v_fma_f32 v4, v132, v4, -v5
	s_delay_alu instid0(VALU_DEP_4)
	v_dual_fmac_f32 v172, v135, v6 :: v_dual_add_f32 v3, 0, v3
	s_wait_loadcnt_dscnt 0x605
	v_dual_mul_f32 v178, v146, v19 :: v_dual_mul_f32 v179, v148, v21
	v_fma_f32 v2, v134, v6, -v2
	v_dual_mul_f32 v174, v138, v11 :: v_dual_mul_f32 v175, v140, v13
	v_add_f32_e32 v3, v3, v4
	v_dual_mul_f32 v5, v137, v9 :: v_dual_mul_f32 v176, v142, v15
	v_dual_mul_f32 v177, v144, v17 :: v_dual_mul_f32 v4, v139, v11
	s_delay_alu instid0(VALU_DEP_3) | instskip(NEXT) | instid1(VALU_DEP_3)
	v_add_f32_e32 v2, v3, v2
	v_fma_f32 v5, v136, v8, -v5
	v_dual_mul_f32 v3, v141, v13 :: v_dual_fmac_f32 v178, v147, v18
	s_delay_alu instid0(VALU_DEP_4) | instskip(SKIP_1) | instid1(VALU_DEP_4)
	v_fma_f32 v4, v138, v10, -v4
	v_dual_fmac_f32 v173, v137, v8 :: v_dual_fmac_f32 v174, v139, v10
	v_add_f32_e32 v2, v2, v5
	v_add_f32_e32 v1, 0, v1
	v_fma_f32 v3, v140, v12, -v3
	v_fmac_f32_e32 v176, v143, v14
	s_wait_loadcnt_dscnt 0x504
	v_dual_mul_f32 v180, v150, v111 :: v_dual_mul_f32 v181, v152, v113
	v_dual_add_f32 v1, v1, v22 :: v_dual_add_f32 v2, v2, v4
	v_mul_f32_e32 v4, v145, v17
	s_wait_loadcnt_dscnt 0x302
	v_dual_mul_f32 v184, v158, v119 :: v_dual_mul_f32 v185, v160, v121
	s_delay_alu instid0(VALU_DEP_3) | instskip(NEXT) | instid1(VALU_DEP_3)
	v_dual_add_f32 v1, v1, v172 :: v_dual_add_f32 v2, v2, v3
	v_fma_f32 v4, v144, v16, -v4
	v_mul_f32_e32 v5, v143, v15
	v_dual_mul_f32 v182, v154, v115 :: v_dual_mul_f32 v183, v156, v117
	s_wait_loadcnt_dscnt 0x201
	v_dual_add_f32 v1, v1, v173 :: v_dual_mul_f32 v186, v162, v123
	v_mul_f32_e32 v187, v164, v125
	v_fma_f32 v5, v142, v14, -v5
	v_fmac_f32_e32 v175, v141, v12
	s_delay_alu instid0(VALU_DEP_4) | instskip(SKIP_1) | instid1(VALU_DEP_4)
	v_add_f32_e32 v1, v1, v174
	v_dual_fmac_f32 v180, v151, v110 :: v_dual_fmac_f32 v181, v153, v112
	v_add_f32_e32 v2, v2, v5
	v_fmac_f32_e32 v182, v155, v114
	s_wait_loadcnt_dscnt 0x100
	v_dual_mul_f32 v188, v166, v127 :: v_dual_mul_f32 v189, v168, v129
	v_fmac_f32_e32 v183, v157, v116
	v_add_f32_e32 v2, v2, v4
	v_mul_f32_e32 v4, v151, v111
	s_delay_alu instid0(VALU_DEP_4) | instskip(SKIP_2) | instid1(VALU_DEP_4)
	v_dual_add_f32 v1, v1, v175 :: v_dual_fmac_f32 v188, v167, v126
	v_fmac_f32_e32 v185, v161, v120
	v_fmac_f32_e32 v187, v165, v124
	v_fma_f32 v4, v150, v110, -v4
	v_mul_f32_e32 v5, v149, v21
	v_add_f32_e32 v1, v1, v176
	v_dual_fmac_f32 v189, v169, v128 :: v_dual_fmac_f32 v184, v159, v118
	v_fmac_f32_e32 v186, v163, v122
	s_delay_alu instid0(VALU_DEP_4) | instskip(SKIP_1) | instid1(VALU_DEP_1)
	v_fma_f32 v5, v148, v20, -v5
	v_mul_f32_e32 v3, v147, v19
	v_fma_f32 v3, v146, v18, -v3
	s_delay_alu instid0(VALU_DEP_1) | instskip(SKIP_1) | instid1(VALU_DEP_2)
	v_dual_fmac_f32 v177, v145, v16 :: v_dual_add_f32 v2, v2, v3
	v_mul_f32_e32 v3, v153, v113
	v_dual_add_f32 v2, v2, v5 :: v_dual_mul_f32 v5, v155, v115
	s_delay_alu instid0(VALU_DEP_2) | instskip(NEXT) | instid1(VALU_DEP_2)
	v_fma_f32 v3, v152, v112, -v3
	v_dual_add_f32 v2, v2, v4 :: v_dual_add_f32 v1, v1, v177
	v_mul_f32_e32 v4, v157, v117
	s_delay_alu instid0(VALU_DEP_4) | instskip(NEXT) | instid1(VALU_DEP_3)
	v_fma_f32 v5, v154, v114, -v5
	v_dual_add_f32 v2, v2, v3 :: v_dual_fmac_f32 v179, v149, v20
	s_delay_alu instid0(VALU_DEP_3) | instskip(NEXT) | instid1(VALU_DEP_2)
	v_fma_f32 v4, v156, v116, -v4
	v_add_f32_e32 v2, v2, v5
	v_mul_f32_e32 v5, v161, v121
	s_delay_alu instid0(VALU_DEP_2) | instskip(NEXT) | instid1(VALU_DEP_2)
	v_dual_add_f32 v1, v1, v178 :: v_dual_add_f32 v2, v2, v4
	v_fma_f32 v5, v160, v120, -v5
	v_mul_f32_e32 v3, v159, v119
	s_delay_alu instid0(VALU_DEP_3) | instskip(SKIP_1) | instid1(VALU_DEP_3)
	v_add_f32_e32 v1, v1, v179
	v_mul_f32_e32 v4, v163, v123
	v_fma_f32 v3, v158, v118, -v3
	s_delay_alu instid0(VALU_DEP_3) | instskip(NEXT) | instid1(VALU_DEP_3)
	v_add_f32_e32 v1, v1, v180
	v_fma_f32 v4, v162, v122, -v4
	s_delay_alu instid0(VALU_DEP_3) | instskip(NEXT) | instid1(VALU_DEP_1)
	v_dual_add_f32 v2, v2, v3 :: v_dual_mul_f32 v3, v165, v125
	v_add_f32_e32 v2, v2, v5
	s_delay_alu instid0(VALU_DEP_4) | instskip(SKIP_1) | instid1(VALU_DEP_4)
	v_add_f32_e32 v1, v1, v181
	v_mul_f32_e32 v5, v167, v127
	v_fma_f32 v3, v164, v124, -v3
	s_delay_alu instid0(VALU_DEP_3) | instskip(SKIP_1) | instid1(VALU_DEP_4)
	v_dual_add_f32 v2, v2, v4 :: v_dual_add_f32 v1, v1, v182
	v_mul_f32_e32 v4, v169, v129
	v_fma_f32 v5, v166, v126, -v5
	s_delay_alu instid0(VALU_DEP_3) | instskip(NEXT) | instid1(VALU_DEP_4)
	v_add_f32_e32 v2, v2, v3
	v_add_f32_e32 v1, v1, v183
	s_delay_alu instid0(VALU_DEP_4) | instskip(NEXT) | instid1(VALU_DEP_2)
	v_fma_f32 v3, v168, v128, -v4
	v_dual_add_f32 v2, v2, v5 :: v_dual_add_f32 v1, v1, v184
	s_delay_alu instid0(VALU_DEP_1) | instskip(NEXT) | instid1(VALU_DEP_1)
	v_dual_add_f32 v2, v2, v3 :: v_dual_add_f32 v1, v1, v185
	v_add_f32_e32 v1, v1, v186
	s_delay_alu instid0(VALU_DEP_1) | instskip(NEXT) | instid1(VALU_DEP_1)
	v_add_f32_e32 v1, v1, v187
	v_add_f32_e32 v1, v1, v188
	s_delay_alu instid0(VALU_DEP_1) | instskip(SKIP_1) | instid1(VALU_DEP_1)
	v_add_f32_e32 v3, v1, v189
	s_wait_loadcnt 0x0
	v_dual_sub_f32 v1, v170, v2 :: v_dual_sub_f32 v2, v171, v3
	scratch_store_b64 off, v[1:2], off offset:176
	v_cmpx_lt_u32_e32 21, v0
	s_cbranch_execz .LBB42_229
; %bb.228:
	scratch_load_b64 v[1:2], off, off offset:168
	v_mov_b32_e32 v3, 0
	s_delay_alu instid0(VALU_DEP_1)
	v_mov_b32_e32 v4, v3
	scratch_store_b64 off, v[3:4], off offset:168
	s_wait_loadcnt 0x0
	ds_store_b64 v23, v[1:2]
.LBB42_229:
	s_wait_alu 0xfffe
	s_or_b32 exec_lo, exec_lo, s0
	s_wait_storecnt_dscnt 0x0
	s_barrier_signal -1
	s_barrier_wait -1
	global_inv scope:SCOPE_SE
	s_clause 0xb
	scratch_load_b128 v[2:5], off, off offset:176
	scratch_load_b128 v[6:9], off, off offset:192
	;; [unrolled: 1-line block ×10, first 2 shown]
	scratch_load_b64 v[170:171], off, off offset:336
	scratch_load_b64 v[172:173], off, off offset:168
	v_mov_b32_e32 v1, 0
	ds_load_b128 v[130:133], v1 offset:528
	ds_load_b128 v[134:137], v1 offset:544
	;; [unrolled: 1-line block ×10, first 2 shown]
	ds_load_b64 v[174:175], v1 offset:688
	s_mov_b32 s0, exec_lo
	s_wait_loadcnt_dscnt 0xb0a
	v_mul_f32_e32 v22, v130, v3
	s_wait_loadcnt_dscnt 0xa09
	v_dual_mul_f32 v176, v132, v5 :: v_dual_mul_f32 v177, v134, v7
	v_mul_f32_e32 v5, v133, v5
	v_dual_mul_f32 v3, v131, v3 :: v_dual_mul_f32 v178, v136, v9
	s_wait_loadcnt_dscnt 0x908
	v_dual_mul_f32 v179, v138, v11 :: v_dual_fmac_f32 v22, v131, v2
	s_wait_loadcnt_dscnt 0x302
	v_mul_f32_e32 v192, v164, v125
	v_fma_f32 v3, v130, v2, -v3
	s_wait_loadcnt_dscnt 0x100
	v_mul_f32_e32 v195, v174, v171
	v_mul_f32_e32 v2, v135, v7
	v_fmac_f32_e32 v176, v133, v4
	v_fma_f32 v4, v132, v4, -v5
	v_add_f32_e32 v3, 0, v3
	v_dual_add_f32 v5, 0, v22 :: v_dual_fmac_f32 v178, v137, v8
	v_fmac_f32_e32 v177, v135, v6
	v_fma_f32 v2, v134, v6, -v2
	s_delay_alu instid0(VALU_DEP_4) | instskip(SKIP_3) | instid1(VALU_DEP_4)
	v_add_f32_e32 v3, v3, v4
	v_mul_f32_e32 v7, v137, v9
	v_add_f32_e32 v4, v5, v176
	v_dual_mul_f32 v180, v140, v13 :: v_dual_mul_f32 v181, v142, v15
	v_add_f32_e32 v2, v3, v2
	s_delay_alu instid0(VALU_DEP_4)
	v_fma_f32 v6, v136, v8, -v7
	v_mul_f32_e32 v5, v139, v11
	v_add_f32_e32 v3, v4, v177
	v_dual_mul_f32 v4, v141, v13 :: v_dual_fmac_f32 v179, v139, v10
	v_fmac_f32_e32 v180, v141, v12
	v_add_f32_e32 v2, v2, v6
	v_fma_f32 v5, v138, v10, -v5
	v_mul_f32_e32 v6, v143, v15
	v_add_f32_e32 v3, v3, v178
	v_fma_f32 v4, v140, v12, -v4
	v_dual_mul_f32 v182, v144, v17 :: v_dual_mul_f32 v183, v146, v19
	s_delay_alu instid0(VALU_DEP_3) | instskip(SKIP_1) | instid1(VALU_DEP_3)
	v_dual_add_f32 v2, v2, v5 :: v_dual_add_f32 v3, v3, v179
	v_mul_f32_e32 v5, v145, v17
	v_dual_fmac_f32 v181, v143, v14 :: v_dual_fmac_f32 v182, v145, v16
	v_fma_f32 v6, v142, v14, -v6
	s_delay_alu instid0(VALU_DEP_4) | instskip(SKIP_4) | instid1(VALU_DEP_4)
	v_add_f32_e32 v2, v2, v4
	v_dual_add_f32 v3, v3, v180 :: v_dual_mul_f32 v184, v148, v21
	v_mul_f32_e32 v185, v150, v111
	v_mul_f32_e32 v4, v147, v19
	v_fma_f32 v5, v144, v16, -v5
	v_dual_add_f32 v2, v2, v6 :: v_dual_add_f32 v3, v3, v181
	v_fmac_f32_e32 v184, v149, v20
	v_dual_mul_f32 v6, v149, v21 :: v_dual_fmac_f32 v183, v147, v18
	v_fma_f32 v4, v146, v18, -v4
	s_delay_alu instid0(VALU_DEP_4) | instskip(SKIP_1) | instid1(VALU_DEP_4)
	v_dual_add_f32 v2, v2, v5 :: v_dual_add_f32 v3, v3, v182
	v_mul_f32_e32 v5, v151, v111
	v_fma_f32 v6, v148, v20, -v6
	v_dual_mul_f32 v186, v152, v113 :: v_dual_mul_f32 v187, v154, v115
	s_delay_alu instid0(VALU_DEP_4) | instskip(SKIP_1) | instid1(VALU_DEP_3)
	v_dual_add_f32 v2, v2, v4 :: v_dual_add_f32 v3, v3, v183
	v_dual_mul_f32 v4, v153, v113 :: v_dual_fmac_f32 v185, v151, v110
	v_fmac_f32_e32 v186, v153, v112
	v_fma_f32 v5, v150, v110, -v5
	s_delay_alu instid0(VALU_DEP_4) | instskip(SKIP_2) | instid1(VALU_DEP_3)
	v_dual_add_f32 v2, v2, v6 :: v_dual_add_f32 v3, v3, v184
	v_mul_f32_e32 v6, v155, v115
	v_fma_f32 v4, v152, v112, -v4
	v_dual_fmac_f32 v187, v155, v114 :: v_dual_add_f32 v2, v2, v5
	s_delay_alu instid0(VALU_DEP_4) | instskip(SKIP_3) | instid1(VALU_DEP_4)
	v_add_f32_e32 v3, v3, v185
	v_dual_mul_f32 v188, v156, v117 :: v_dual_mul_f32 v189, v158, v119
	v_mul_f32_e32 v5, v157, v117
	v_fma_f32 v6, v154, v114, -v6
	v_dual_add_f32 v2, v2, v4 :: v_dual_add_f32 v3, v3, v186
	s_delay_alu instid0(VALU_DEP_4) | instskip(SKIP_2) | instid1(VALU_DEP_4)
	v_fmac_f32_e32 v188, v157, v116
	v_mul_f32_e32 v4, v159, v119
	v_fma_f32 v5, v156, v116, -v5
	v_dual_add_f32 v2, v2, v6 :: v_dual_add_f32 v3, v3, v187
	v_dual_mul_f32 v190, v160, v121 :: v_dual_mul_f32 v191, v162, v123
	v_dual_mul_f32 v6, v161, v121 :: v_dual_fmac_f32 v189, v159, v118
	v_fma_f32 v4, v158, v118, -v4
	s_delay_alu instid0(VALU_DEP_4) | instskip(NEXT) | instid1(VALU_DEP_4)
	v_dual_add_f32 v2, v2, v5 :: v_dual_add_f32 v3, v3, v188
	v_dual_mul_f32 v5, v163, v123 :: v_dual_fmac_f32 v190, v161, v120
	s_delay_alu instid0(VALU_DEP_4) | instskip(NEXT) | instid1(VALU_DEP_3)
	v_fma_f32 v6, v160, v120, -v6
	v_dual_add_f32 v2, v2, v4 :: v_dual_add_f32 v3, v3, v189
	v_dual_mul_f32 v4, v165, v125 :: v_dual_fmac_f32 v191, v163, v122
	s_delay_alu instid0(VALU_DEP_4) | instskip(NEXT) | instid1(VALU_DEP_3)
	v_fma_f32 v5, v162, v122, -v5
	v_dual_fmac_f32 v192, v165, v124 :: v_dual_add_f32 v3, v3, v190
	s_delay_alu instid0(VALU_DEP_4) | instskip(SKIP_3) | instid1(VALU_DEP_4)
	v_add_f32_e32 v2, v2, v6
	v_dual_mul_f32 v193, v166, v127 :: v_dual_mul_f32 v194, v168, v129
	v_mul_f32_e32 v6, v167, v127
	v_fma_f32 v4, v164, v124, -v4
	v_dual_add_f32 v3, v3, v191 :: v_dual_add_f32 v2, v2, v5
	s_delay_alu instid0(VALU_DEP_4) | instskip(SKIP_2) | instid1(VALU_DEP_4)
	v_fmac_f32_e32 v193, v167, v126
	v_mul_f32_e32 v5, v169, v129
	v_fma_f32 v6, v166, v126, -v6
	v_add_f32_e32 v3, v3, v192
	v_add_f32_e32 v2, v2, v4
	v_mul_f32_e32 v4, v175, v171
	v_dual_fmac_f32 v194, v169, v128 :: v_dual_fmac_f32 v195, v175, v170
	v_fma_f32 v5, v168, v128, -v5
	s_delay_alu instid0(VALU_DEP_4) | instskip(NEXT) | instid1(VALU_DEP_4)
	v_dual_add_f32 v3, v3, v193 :: v_dual_add_f32 v2, v2, v6
	v_fma_f32 v4, v174, v170, -v4
	s_delay_alu instid0(VALU_DEP_2) | instskip(NEXT) | instid1(VALU_DEP_1)
	v_dual_add_f32 v3, v3, v194 :: v_dual_add_f32 v2, v2, v5
	v_dual_add_f32 v3, v3, v195 :: v_dual_add_f32 v2, v2, v4
	s_wait_loadcnt 0x0
	s_delay_alu instid0(VALU_DEP_1)
	v_dual_sub_f32 v3, v173, v3 :: v_dual_sub_f32 v2, v172, v2
	scratch_store_b64 off, v[2:3], off offset:168
	v_cmpx_lt_u32_e32 20, v0
	s_cbranch_execz .LBB42_231
; %bb.230:
	scratch_load_b64 v[3:4], off, off offset:160
	v_mov_b32_e32 v2, v1
	scratch_store_b64 off, v[1:2], off offset:160
	s_wait_loadcnt 0x0
	ds_store_b64 v23, v[3:4]
.LBB42_231:
	s_wait_alu 0xfffe
	s_or_b32 exec_lo, exec_lo, s0
	s_wait_storecnt_dscnt 0x0
	s_barrier_signal -1
	s_barrier_wait -1
	global_inv scope:SCOPE_SE
	s_clause 0xb
	scratch_load_b128 v[2:5], off, off offset:168
	scratch_load_b128 v[6:9], off, off offset:184
	;; [unrolled: 1-line block ×11, first 2 shown]
	scratch_load_b64 v[178:179], off, off offset:160
	ds_load_2addr_b64 v[134:137], v1 offset0:65 offset1:66
	ds_load_2addr_b64 v[138:141], v1 offset0:67 offset1:68
	;; [unrolled: 1-line block ×11, first 2 shown]
	s_mov_b32 s0, exec_lo
	s_wait_loadcnt_dscnt 0xb0a
	v_dual_mul_f32 v1, v134, v3 :: v_dual_mul_f32 v22, v136, v5
	v_mul_f32_e32 v3, v135, v3
	s_wait_loadcnt_dscnt 0xa09
	v_dual_mul_f32 v5, v137, v5 :: v_dual_mul_f32 v180, v138, v7
	s_delay_alu instid0(VALU_DEP_3) | instskip(NEXT) | instid1(VALU_DEP_3)
	v_dual_mul_f32 v181, v140, v9 :: v_dual_fmac_f32 v22, v137, v4
	v_fma_f32 v3, v134, v2, -v3
	v_fmac_f32_e32 v1, v135, v2
	v_mul_f32_e32 v2, v139, v7
	v_fma_f32 v4, v136, v4, -v5
	s_delay_alu instid0(VALU_DEP_4)
	v_dual_fmac_f32 v180, v139, v6 :: v_dual_add_f32 v3, 0, v3
	s_wait_loadcnt_dscnt 0x706
	v_dual_mul_f32 v186, v150, v19 :: v_dual_mul_f32 v187, v152, v21
	v_fma_f32 v2, v138, v6, -v2
	v_dual_mul_f32 v182, v142, v11 :: v_dual_mul_f32 v183, v144, v13
	v_add_f32_e32 v3, v3, v4
	v_dual_mul_f32 v5, v141, v9 :: v_dual_mul_f32 v184, v146, v15
	v_dual_mul_f32 v185, v148, v17 :: v_dual_mul_f32 v4, v143, v11
	s_delay_alu instid0(VALU_DEP_3) | instskip(NEXT) | instid1(VALU_DEP_3)
	v_add_f32_e32 v2, v3, v2
	v_fma_f32 v5, v140, v8, -v5
	v_dual_mul_f32 v3, v145, v13 :: v_dual_fmac_f32 v186, v151, v18
	s_delay_alu instid0(VALU_DEP_4) | instskip(SKIP_1) | instid1(VALU_DEP_4)
	v_fma_f32 v4, v142, v10, -v4
	v_dual_fmac_f32 v181, v141, v8 :: v_dual_fmac_f32 v182, v143, v10
	v_add_f32_e32 v2, v2, v5
	v_add_f32_e32 v1, 0, v1
	v_fma_f32 v3, v144, v12, -v3
	v_fmac_f32_e32 v184, v147, v14
	s_wait_loadcnt_dscnt 0x605
	v_dual_mul_f32 v188, v154, v111 :: v_dual_mul_f32 v189, v156, v113
	v_dual_add_f32 v1, v1, v22 :: v_dual_add_f32 v2, v2, v4
	v_mul_f32_e32 v4, v149, v17
	s_wait_loadcnt_dscnt 0x403
	v_dual_mul_f32 v192, v162, v119 :: v_dual_mul_f32 v193, v164, v121
	s_delay_alu instid0(VALU_DEP_3) | instskip(NEXT) | instid1(VALU_DEP_3)
	v_dual_add_f32 v1, v1, v180 :: v_dual_add_f32 v2, v2, v3
	v_fma_f32 v4, v148, v16, -v4
	v_mul_f32_e32 v5, v147, v15
	v_dual_mul_f32 v190, v158, v115 :: v_dual_mul_f32 v191, v160, v117
	s_wait_loadcnt_dscnt 0x100
	v_dual_add_f32 v1, v1, v181 :: v_dual_mul_f32 v198, v174, v131
	v_mul_f32_e32 v199, v176, v133
	v_fma_f32 v5, v146, v14, -v5
	v_fmac_f32_e32 v183, v145, v12
	s_delay_alu instid0(VALU_DEP_4)
	v_add_f32_e32 v1, v1, v182
	v_fmac_f32_e32 v188, v155, v110
	v_dual_mul_f32 v194, v166, v123 :: v_dual_mul_f32 v195, v168, v125
	v_add_f32_e32 v2, v2, v5
	v_dual_fmac_f32 v190, v159, v114 :: v_dual_fmac_f32 v189, v157, v112
	v_dual_mul_f32 v196, v170, v127 :: v_dual_mul_f32 v197, v172, v129
	s_delay_alu instid0(VALU_DEP_3) | instskip(SKIP_2) | instid1(VALU_DEP_4)
	v_add_f32_e32 v2, v2, v4
	v_mul_f32_e32 v4, v155, v111
	v_add_f32_e32 v1, v1, v183
	v_dual_fmac_f32 v191, v161, v116 :: v_dual_fmac_f32 v196, v171, v126
	v_fmac_f32_e32 v195, v169, v124
	s_delay_alu instid0(VALU_DEP_4) | instskip(SKIP_4) | instid1(VALU_DEP_4)
	v_fma_f32 v4, v154, v110, -v4
	v_mul_f32_e32 v5, v153, v21
	v_add_f32_e32 v1, v1, v184
	v_dual_fmac_f32 v197, v173, v128 :: v_dual_fmac_f32 v192, v163, v118
	v_fmac_f32_e32 v199, v177, v132
	v_fma_f32 v5, v152, v20, -v5
	v_mul_f32_e32 v3, v151, v19
	v_fmac_f32_e32 v198, v175, v130
	v_fmac_f32_e32 v194, v167, v122
	s_delay_alu instid0(VALU_DEP_3) | instskip(NEXT) | instid1(VALU_DEP_1)
	v_fma_f32 v3, v150, v18, -v3
	v_dual_fmac_f32 v185, v149, v16 :: v_dual_add_f32 v2, v2, v3
	v_mul_f32_e32 v3, v157, v113
	s_delay_alu instid0(VALU_DEP_2) | instskip(NEXT) | instid1(VALU_DEP_2)
	v_dual_add_f32 v2, v2, v5 :: v_dual_mul_f32 v5, v159, v115
	v_fma_f32 v3, v156, v112, -v3
	s_delay_alu instid0(VALU_DEP_2) | instskip(SKIP_1) | instid1(VALU_DEP_4)
	v_dual_add_f32 v2, v2, v4 :: v_dual_add_f32 v1, v1, v185
	v_mul_f32_e32 v4, v161, v117
	v_fma_f32 v5, v158, v114, -v5
	s_delay_alu instid0(VALU_DEP_3) | instskip(NEXT) | instid1(VALU_DEP_3)
	v_dual_add_f32 v2, v2, v3 :: v_dual_fmac_f32 v187, v153, v20
	v_fma_f32 v4, v160, v116, -v4
	s_delay_alu instid0(VALU_DEP_2) | instskip(SKIP_1) | instid1(VALU_DEP_2)
	v_add_f32_e32 v2, v2, v5
	v_mul_f32_e32 v5, v165, v121
	v_dual_add_f32 v1, v1, v186 :: v_dual_add_f32 v2, v2, v4
	s_delay_alu instid0(VALU_DEP_2) | instskip(SKIP_1) | instid1(VALU_DEP_3)
	v_fma_f32 v5, v164, v120, -v5
	v_mul_f32_e32 v3, v163, v119
	v_add_f32_e32 v1, v1, v187
	v_mul_f32_e32 v4, v167, v123
	s_delay_alu instid0(VALU_DEP_3) | instskip(NEXT) | instid1(VALU_DEP_3)
	v_fma_f32 v3, v162, v118, -v3
	v_add_f32_e32 v1, v1, v188
	s_delay_alu instid0(VALU_DEP_3) | instskip(NEXT) | instid1(VALU_DEP_3)
	v_fma_f32 v4, v166, v122, -v4
	v_add_f32_e32 v2, v2, v3
	s_delay_alu instid0(VALU_DEP_1) | instskip(NEXT) | instid1(VALU_DEP_4)
	v_add_f32_e32 v2, v2, v5
	v_add_f32_e32 v1, v1, v189
	s_delay_alu instid0(VALU_DEP_2) | instskip(SKIP_1) | instid1(VALU_DEP_2)
	v_dual_mul_f32 v5, v171, v127 :: v_dual_add_f32 v2, v2, v4
	v_mul_f32_e32 v4, v173, v129
	v_fma_f32 v5, v170, v126, -v5
	s_delay_alu instid0(VALU_DEP_2) | instskip(SKIP_1) | instid1(VALU_DEP_1)
	v_fma_f32 v4, v172, v128, -v4
	v_mul_f32_e32 v3, v169, v125
	v_fma_f32 v3, v168, v124, -v3
	s_delay_alu instid0(VALU_DEP_1) | instskip(NEXT) | instid1(VALU_DEP_1)
	v_dual_add_f32 v1, v1, v190 :: v_dual_add_f32 v2, v2, v3
	v_add_f32_e32 v1, v1, v191
	s_delay_alu instid0(VALU_DEP_2) | instskip(NEXT) | instid1(VALU_DEP_2)
	v_dual_mul_f32 v3, v175, v131 :: v_dual_add_f32 v2, v2, v5
	v_add_f32_e32 v1, v1, v192
	v_mul_f32_e32 v5, v177, v133
	s_delay_alu instid0(VALU_DEP_3) | instskip(NEXT) | instid1(VALU_DEP_4)
	v_fma_f32 v3, v174, v130, -v3
	v_add_f32_e32 v2, v2, v4
	v_fmac_f32_e32 v193, v165, v120
	s_delay_alu instid0(VALU_DEP_4) | instskip(NEXT) | instid1(VALU_DEP_2)
	v_fma_f32 v4, v176, v132, -v5
	v_dual_add_f32 v2, v2, v3 :: v_dual_add_f32 v1, v1, v193
	s_delay_alu instid0(VALU_DEP_1) | instskip(NEXT) | instid1(VALU_DEP_1)
	v_dual_add_f32 v2, v2, v4 :: v_dual_add_f32 v1, v1, v194
	v_add_f32_e32 v1, v1, v195
	s_delay_alu instid0(VALU_DEP_1) | instskip(NEXT) | instid1(VALU_DEP_1)
	v_add_f32_e32 v1, v1, v196
	v_add_f32_e32 v1, v1, v197
	s_delay_alu instid0(VALU_DEP_1) | instskip(NEXT) | instid1(VALU_DEP_1)
	v_add_f32_e32 v1, v1, v198
	v_add_f32_e32 v3, v1, v199
	s_wait_loadcnt 0x0
	s_delay_alu instid0(VALU_DEP_1)
	v_dual_sub_f32 v1, v178, v2 :: v_dual_sub_f32 v2, v179, v3
	scratch_store_b64 off, v[1:2], off offset:160
	v_cmpx_lt_u32_e32 19, v0
	s_cbranch_execz .LBB42_233
; %bb.232:
	scratch_load_b64 v[1:2], off, off offset:152
	v_mov_b32_e32 v3, 0
	s_delay_alu instid0(VALU_DEP_1)
	v_mov_b32_e32 v4, v3
	scratch_store_b64 off, v[3:4], off offset:152
	s_wait_loadcnt 0x0
	ds_store_b64 v23, v[1:2]
.LBB42_233:
	s_wait_alu 0xfffe
	s_or_b32 exec_lo, exec_lo, s0
	s_wait_storecnt_dscnt 0x0
	s_barrier_signal -1
	s_barrier_wait -1
	global_inv scope:SCOPE_SE
	s_clause 0xc
	scratch_load_b128 v[2:5], off, off offset:160
	scratch_load_b128 v[6:9], off, off offset:176
	;; [unrolled: 1-line block ×11, first 2 shown]
	scratch_load_b64 v[178:179], off, off offset:336
	scratch_load_b64 v[180:181], off, off offset:152
	v_mov_b32_e32 v1, 0
	ds_load_b128 v[134:137], v1 offset:512
	ds_load_b128 v[138:141], v1 offset:528
	;; [unrolled: 1-line block ×11, first 2 shown]
	ds_load_b64 v[182:183], v1 offset:688
	s_mov_b32 s0, exec_lo
	s_wait_loadcnt_dscnt 0xc0b
	v_mul_f32_e32 v22, v134, v3
	s_wait_loadcnt_dscnt 0xb0a
	v_dual_mul_f32 v184, v136, v5 :: v_dual_mul_f32 v185, v138, v7
	v_mul_f32_e32 v5, v137, v5
	s_wait_loadcnt_dscnt 0xa09
	v_dual_mul_f32 v186, v140, v9 :: v_dual_mul_f32 v187, v142, v11
	v_mul_f32_e32 v3, v135, v3
	v_fmac_f32_e32 v22, v135, v2
	s_wait_loadcnt_dscnt 0x908
	v_dual_mul_f32 v188, v144, v13 :: v_dual_mul_f32 v189, v146, v15
	s_wait_loadcnt_dscnt 0x100
	v_dual_mul_f32 v202, v172, v129 :: v_dual_mul_f32 v205, v182, v179
	v_fma_f32 v3, v134, v2, -v3
	v_mul_f32_e32 v2, v139, v7
	v_fmac_f32_e32 v184, v137, v4
	v_fma_f32 v4, v136, v4, -v5
	v_dual_add_f32 v5, 0, v22 :: v_dual_fmac_f32 v186, v141, v8
	v_add_f32_e32 v3, 0, v3
	v_fmac_f32_e32 v185, v139, v6
	v_fma_f32 v2, v138, v6, -v2
	v_dual_fmac_f32 v187, v143, v10 :: v_dual_fmac_f32 v188, v145, v12
	s_delay_alu instid0(VALU_DEP_4) | instskip(SKIP_3) | instid1(VALU_DEP_4)
	v_add_f32_e32 v3, v3, v4
	v_mul_f32_e32 v7, v141, v9
	v_add_f32_e32 v4, v5, v184
	v_dual_mul_f32 v190, v148, v17 :: v_dual_mul_f32 v191, v150, v19
	v_add_f32_e32 v2, v3, v2
	s_delay_alu instid0(VALU_DEP_4)
	v_fma_f32 v6, v140, v8, -v7
	v_mul_f32_e32 v5, v143, v11
	v_add_f32_e32 v3, v4, v185
	v_dual_mul_f32 v4, v145, v13 :: v_dual_fmac_f32 v189, v147, v14
	v_fmac_f32_e32 v190, v149, v16
	v_add_f32_e32 v2, v2, v6
	v_fma_f32 v5, v142, v10, -v5
	v_mul_f32_e32 v6, v147, v15
	v_add_f32_e32 v3, v3, v186
	v_fma_f32 v4, v144, v12, -v4
	v_dual_mul_f32 v192, v152, v21 :: v_dual_mul_f32 v193, v154, v111
	s_delay_alu instid0(VALU_DEP_3) | instskip(SKIP_2) | instid1(VALU_DEP_3)
	v_dual_add_f32 v2, v2, v5 :: v_dual_add_f32 v3, v3, v187
	v_mul_f32_e32 v5, v149, v17
	v_fma_f32 v6, v146, v14, -v6
	v_dual_fmac_f32 v191, v151, v18 :: v_dual_add_f32 v2, v2, v4
	s_delay_alu instid0(VALU_DEP_4) | instskip(SKIP_3) | instid1(VALU_DEP_4)
	v_add_f32_e32 v3, v3, v188
	v_mul_f32_e32 v4, v151, v19
	v_fma_f32 v5, v148, v16, -v5
	v_fmac_f32_e32 v192, v153, v20
	v_dual_add_f32 v2, v2, v6 :: v_dual_add_f32 v3, v3, v189
	v_mul_f32_e32 v6, v153, v21
	v_fma_f32 v4, v150, v18, -v4
	v_dual_mul_f32 v194, v156, v113 :: v_dual_mul_f32 v195, v158, v115
	s_delay_alu instid0(VALU_DEP_4) | instskip(SKIP_2) | instid1(VALU_DEP_4)
	v_dual_add_f32 v2, v2, v5 :: v_dual_add_f32 v3, v3, v190
	v_mul_f32_e32 v5, v155, v111
	v_fma_f32 v6, v152, v20, -v6
	v_dual_fmac_f32 v193, v155, v110 :: v_dual_fmac_f32 v194, v157, v112
	s_delay_alu instid0(VALU_DEP_4) | instskip(SKIP_3) | instid1(VALU_DEP_4)
	v_dual_add_f32 v2, v2, v4 :: v_dual_add_f32 v3, v3, v191
	v_mul_f32_e32 v4, v157, v113
	v_fma_f32 v5, v154, v110, -v5
	v_fmac_f32_e32 v195, v159, v114
	v_dual_add_f32 v2, v2, v6 :: v_dual_add_f32 v3, v3, v192
	v_mul_f32_e32 v6, v159, v115
	v_fma_f32 v4, v156, v112, -v4
	v_dual_mul_f32 v196, v160, v117 :: v_dual_mul_f32 v197, v162, v119
	s_delay_alu instid0(VALU_DEP_4) | instskip(SKIP_4) | instid1(VALU_DEP_4)
	v_add_f32_e32 v2, v2, v5
	v_add_f32_e32 v3, v3, v193
	v_mul_f32_e32 v5, v161, v117
	v_fma_f32 v6, v158, v114, -v6
	v_fmac_f32_e32 v196, v161, v116
	v_dual_add_f32 v2, v2, v4 :: v_dual_add_f32 v3, v3, v194
	v_mul_f32_e32 v4, v163, v119
	v_fma_f32 v5, v160, v116, -v5
	v_dual_mul_f32 v198, v164, v121 :: v_dual_mul_f32 v199, v166, v123
	s_delay_alu instid0(VALU_DEP_4) | instskip(SKIP_2) | instid1(VALU_DEP_3)
	v_dual_add_f32 v2, v2, v6 :: v_dual_add_f32 v3, v3, v195
	v_dual_mul_f32 v6, v165, v121 :: v_dual_fmac_f32 v197, v163, v118
	v_fma_f32 v4, v162, v118, -v4
	v_dual_add_f32 v2, v2, v5 :: v_dual_add_f32 v3, v3, v196
	v_dual_mul_f32 v200, v168, v125 :: v_dual_mul_f32 v201, v170, v127
	v_dual_mul_f32 v5, v167, v123 :: v_dual_fmac_f32 v198, v165, v120
	v_fma_f32 v6, v164, v120, -v6
	s_delay_alu instid0(VALU_DEP_4) | instskip(SKIP_1) | instid1(VALU_DEP_4)
	v_dual_add_f32 v2, v2, v4 :: v_dual_add_f32 v3, v3, v197
	v_dual_mul_f32 v4, v169, v125 :: v_dual_fmac_f32 v199, v167, v122
	v_fma_f32 v5, v166, v122, -v5
	s_delay_alu instid0(VALU_DEP_3) | instskip(NEXT) | instid1(VALU_DEP_4)
	v_dual_fmac_f32 v200, v169, v124 :: v_dual_add_f32 v3, v3, v198
	v_add_f32_e32 v2, v2, v6
	v_mul_f32_e32 v6, v171, v127
	v_fma_f32 v4, v168, v124, -v4
	v_fmac_f32_e32 v201, v171, v126
	s_delay_alu instid0(VALU_DEP_4) | instskip(SKIP_3) | instid1(VALU_DEP_4)
	v_dual_add_f32 v3, v3, v199 :: v_dual_add_f32 v2, v2, v5
	v_mul_f32_e32 v5, v173, v129
	v_fma_f32 v6, v170, v126, -v6
	v_dual_mul_f32 v203, v174, v131 :: v_dual_mul_f32 v204, v176, v133
	v_add_f32_e32 v3, v3, v200
	v_add_f32_e32 v2, v2, v4
	v_mul_f32_e32 v4, v175, v131
	s_delay_alu instid0(VALU_DEP_4) | instskip(SKIP_1) | instid1(VALU_DEP_4)
	v_dual_fmac_f32 v202, v173, v128 :: v_dual_fmac_f32 v203, v175, v130
	v_fma_f32 v5, v172, v128, -v5
	v_dual_add_f32 v3, v3, v201 :: v_dual_add_f32 v2, v2, v6
	v_mul_f32_e32 v6, v177, v133
	v_fma_f32 v4, v174, v130, -v4
	v_fmac_f32_e32 v205, v183, v178
	s_delay_alu instid0(VALU_DEP_4) | instskip(SKIP_2) | instid1(VALU_DEP_3)
	v_dual_add_f32 v3, v3, v202 :: v_dual_add_f32 v2, v2, v5
	v_dual_mul_f32 v5, v183, v179 :: v_dual_fmac_f32 v204, v177, v132
	v_fma_f32 v6, v176, v132, -v6
	v_dual_add_f32 v3, v3, v203 :: v_dual_add_f32 v2, v2, v4
	s_delay_alu instid0(VALU_DEP_3) | instskip(NEXT) | instid1(VALU_DEP_2)
	v_fma_f32 v4, v182, v178, -v5
	v_dual_add_f32 v3, v3, v204 :: v_dual_add_f32 v2, v2, v6
	s_delay_alu instid0(VALU_DEP_1) | instskip(SKIP_1) | instid1(VALU_DEP_1)
	v_dual_add_f32 v3, v3, v205 :: v_dual_add_f32 v2, v2, v4
	s_wait_loadcnt 0x0
	v_dual_sub_f32 v3, v181, v3 :: v_dual_sub_f32 v2, v180, v2
	scratch_store_b64 off, v[2:3], off offset:152
	v_cmpx_lt_u32_e32 18, v0
	s_cbranch_execz .LBB42_235
; %bb.234:
	scratch_load_b64 v[3:4], off, off offset:144
	v_mov_b32_e32 v2, v1
	scratch_store_b64 off, v[1:2], off offset:144
	s_wait_loadcnt 0x0
	ds_store_b64 v23, v[3:4]
.LBB42_235:
	s_wait_alu 0xfffe
	s_or_b32 exec_lo, exec_lo, s0
	s_wait_storecnt_dscnt 0x0
	s_barrier_signal -1
	s_barrier_wait -1
	global_inv scope:SCOPE_SE
	s_clause 0xc
	scratch_load_b128 v[2:5], off, off offset:152
	scratch_load_b128 v[6:9], off, off offset:168
	;; [unrolled: 1-line block ×12, first 2 shown]
	scratch_load_b64 v[186:187], off, off offset:144
	ds_load_2addr_b64 v[138:141], v1 offset0:63 offset1:64
	ds_load_2addr_b64 v[142:145], v1 offset0:65 offset1:66
	;; [unrolled: 1-line block ×12, first 2 shown]
	s_mov_b32 s0, exec_lo
	s_wait_loadcnt_dscnt 0xc0b
	v_dual_mul_f32 v1, v138, v3 :: v_dual_mul_f32 v22, v140, v5
	v_mul_f32_e32 v3, v139, v3
	s_wait_loadcnt_dscnt 0xb0a
	v_dual_mul_f32 v5, v141, v5 :: v_dual_mul_f32 v188, v142, v7
	s_delay_alu instid0(VALU_DEP_3) | instskip(NEXT) | instid1(VALU_DEP_3)
	v_dual_mul_f32 v189, v144, v9 :: v_dual_fmac_f32 v22, v141, v4
	v_fma_f32 v3, v138, v2, -v3
	v_fmac_f32_e32 v1, v139, v2
	v_mul_f32_e32 v2, v143, v7
	v_fma_f32 v4, v140, v4, -v5
	s_delay_alu instid0(VALU_DEP_4)
	v_dual_fmac_f32 v188, v143, v6 :: v_dual_add_f32 v3, 0, v3
	s_wait_loadcnt_dscnt 0x807
	v_dual_mul_f32 v194, v154, v19 :: v_dual_mul_f32 v195, v156, v21
	v_fma_f32 v2, v142, v6, -v2
	v_dual_mul_f32 v190, v146, v11 :: v_dual_mul_f32 v191, v148, v13
	v_add_f32_e32 v3, v3, v4
	v_dual_mul_f32 v5, v145, v9 :: v_dual_mul_f32 v192, v150, v15
	v_dual_mul_f32 v193, v152, v17 :: v_dual_mul_f32 v4, v147, v11
	s_delay_alu instid0(VALU_DEP_3) | instskip(NEXT) | instid1(VALU_DEP_3)
	v_add_f32_e32 v2, v3, v2
	v_fma_f32 v5, v144, v8, -v5
	v_dual_mul_f32 v3, v149, v13 :: v_dual_fmac_f32 v194, v155, v18
	s_delay_alu instid0(VALU_DEP_4) | instskip(SKIP_1) | instid1(VALU_DEP_4)
	v_fma_f32 v4, v146, v10, -v4
	v_dual_fmac_f32 v189, v145, v8 :: v_dual_fmac_f32 v190, v147, v10
	v_add_f32_e32 v2, v2, v5
	v_add_f32_e32 v1, 0, v1
	v_fma_f32 v3, v148, v12, -v3
	v_fmac_f32_e32 v192, v151, v14
	s_wait_loadcnt_dscnt 0x706
	v_dual_mul_f32 v196, v158, v111 :: v_dual_mul_f32 v197, v160, v113
	v_dual_add_f32 v1, v1, v22 :: v_dual_add_f32 v2, v2, v4
	v_mul_f32_e32 v4, v153, v17
	s_wait_loadcnt_dscnt 0x504
	v_dual_mul_f32 v200, v166, v119 :: v_dual_mul_f32 v201, v168, v121
	s_delay_alu instid0(VALU_DEP_3) | instskip(NEXT) | instid1(VALU_DEP_3)
	v_dual_add_f32 v1, v1, v188 :: v_dual_add_f32 v2, v2, v3
	v_fma_f32 v4, v152, v16, -v4
	v_mul_f32_e32 v5, v151, v15
	v_dual_mul_f32 v198, v162, v115 :: v_dual_mul_f32 v199, v164, v117
	s_wait_loadcnt_dscnt 0x201
	v_dual_add_f32 v1, v1, v189 :: v_dual_mul_f32 v206, v178, v131
	v_mul_f32_e32 v207, v180, v133
	v_fma_f32 v5, v150, v14, -v5
	v_fmac_f32_e32 v191, v149, v12
	s_delay_alu instid0(VALU_DEP_4)
	v_add_f32_e32 v1, v1, v190
	v_fmac_f32_e32 v196, v159, v110
	v_dual_mul_f32 v202, v170, v123 :: v_dual_mul_f32 v203, v172, v125
	v_add_f32_e32 v2, v2, v5
	v_dual_fmac_f32 v198, v163, v114 :: v_dual_fmac_f32 v197, v161, v112
	v_dual_mul_f32 v204, v174, v127 :: v_dual_mul_f32 v205, v176, v129
	s_delay_alu instid0(VALU_DEP_3) | instskip(SKIP_2) | instid1(VALU_DEP_4)
	v_add_f32_e32 v2, v2, v4
	v_mul_f32_e32 v4, v159, v111
	v_add_f32_e32 v1, v1, v191
	v_dual_fmac_f32 v199, v165, v116 :: v_dual_fmac_f32 v204, v175, v126
	v_fmac_f32_e32 v201, v169, v120
	s_delay_alu instid0(VALU_DEP_4) | instskip(SKIP_4) | instid1(VALU_DEP_3)
	v_fma_f32 v4, v158, v110, -v4
	v_mul_f32_e32 v5, v157, v21
	s_wait_loadcnt_dscnt 0x100
	v_dual_add_f32 v1, v1, v192 :: v_dual_mul_f32 v208, v182, v135
	v_dual_mul_f32 v209, v184, v137 :: v_dual_fmac_f32 v200, v167, v118
	v_fma_f32 v5, v156, v20, -v5
	v_mul_f32_e32 v3, v155, v19
	v_fmac_f32_e32 v207, v181, v132
	s_delay_alu instid0(VALU_DEP_4) | instskip(SKIP_1) | instid1(VALU_DEP_4)
	v_dual_fmac_f32 v209, v185, v136 :: v_dual_fmac_f32 v206, v179, v130
	v_fmac_f32_e32 v202, v171, v122
	v_fma_f32 v3, v154, v18, -v3
	v_dual_fmac_f32 v193, v153, v16 :: v_dual_fmac_f32 v208, v183, v134
	s_delay_alu instid0(VALU_DEP_2) | instskip(NEXT) | instid1(VALU_DEP_1)
	v_dual_add_f32 v2, v2, v3 :: v_dual_mul_f32 v3, v161, v113
	v_dual_add_f32 v2, v2, v5 :: v_dual_mul_f32 v5, v163, v115
	s_delay_alu instid0(VALU_DEP_2) | instskip(NEXT) | instid1(VALU_DEP_2)
	v_fma_f32 v3, v160, v112, -v3
	v_dual_add_f32 v2, v2, v4 :: v_dual_add_f32 v1, v1, v193
	v_mul_f32_e32 v4, v165, v117
	s_delay_alu instid0(VALU_DEP_4) | instskip(NEXT) | instid1(VALU_DEP_3)
	v_fma_f32 v5, v162, v114, -v5
	v_dual_add_f32 v2, v2, v3 :: v_dual_fmac_f32 v195, v157, v20
	s_delay_alu instid0(VALU_DEP_3) | instskip(NEXT) | instid1(VALU_DEP_2)
	v_fma_f32 v4, v164, v116, -v4
	v_add_f32_e32 v2, v2, v5
	v_mul_f32_e32 v5, v169, v121
	s_delay_alu instid0(VALU_DEP_2) | instskip(NEXT) | instid1(VALU_DEP_2)
	v_dual_add_f32 v1, v1, v194 :: v_dual_add_f32 v2, v2, v4
	v_fma_f32 v5, v168, v120, -v5
	v_mul_f32_e32 v3, v167, v119
	s_delay_alu instid0(VALU_DEP_3) | instskip(SKIP_1) | instid1(VALU_DEP_3)
	v_add_f32_e32 v1, v1, v195
	v_mul_f32_e32 v4, v171, v123
	v_fma_f32 v3, v166, v118, -v3
	s_delay_alu instid0(VALU_DEP_3) | instskip(NEXT) | instid1(VALU_DEP_3)
	v_add_f32_e32 v1, v1, v196
	v_fma_f32 v4, v170, v122, -v4
	s_delay_alu instid0(VALU_DEP_3) | instskip(NEXT) | instid1(VALU_DEP_1)
	v_add_f32_e32 v2, v2, v3
	v_add_f32_e32 v2, v2, v5
	s_delay_alu instid0(VALU_DEP_4) | instskip(NEXT) | instid1(VALU_DEP_2)
	v_add_f32_e32 v1, v1, v197
	v_dual_mul_f32 v5, v175, v127 :: v_dual_add_f32 v2, v2, v4
	v_mul_f32_e32 v4, v177, v129
	s_delay_alu instid0(VALU_DEP_2) | instskip(NEXT) | instid1(VALU_DEP_2)
	v_fma_f32 v5, v174, v126, -v5
	v_fma_f32 v4, v176, v128, -v4
	v_mul_f32_e32 v3, v173, v125
	s_delay_alu instid0(VALU_DEP_1) | instskip(NEXT) | instid1(VALU_DEP_1)
	v_fma_f32 v3, v172, v124, -v3
	v_dual_add_f32 v1, v1, v198 :: v_dual_add_f32 v2, v2, v3
	s_delay_alu instid0(VALU_DEP_1) | instskip(NEXT) | instid1(VALU_DEP_2)
	v_add_f32_e32 v1, v1, v199
	v_dual_mul_f32 v3, v179, v131 :: v_dual_add_f32 v2, v2, v5
	v_mul_f32_e32 v5, v181, v133
	s_delay_alu instid0(VALU_DEP_2) | instskip(NEXT) | instid1(VALU_DEP_3)
	v_fma_f32 v3, v178, v130, -v3
	v_add_f32_e32 v2, v2, v4
	v_dual_add_f32 v1, v1, v200 :: v_dual_mul_f32 v4, v183, v135
	s_delay_alu instid0(VALU_DEP_4) | instskip(NEXT) | instid1(VALU_DEP_2)
	v_fma_f32 v5, v180, v132, -v5
	v_dual_add_f32 v2, v2, v3 :: v_dual_add_f32 v1, v1, v201
	v_fmac_f32_e32 v203, v173, v124
	s_delay_alu instid0(VALU_DEP_4) | instskip(SKIP_1) | instid1(VALU_DEP_4)
	v_fma_f32 v4, v182, v134, -v4
	v_mul_f32_e32 v3, v185, v137
	v_dual_add_f32 v2, v2, v5 :: v_dual_add_f32 v1, v1, v202
	s_delay_alu instid0(VALU_DEP_2) | instskip(NEXT) | instid1(VALU_DEP_2)
	v_fma_f32 v3, v184, v136, -v3
	v_dual_add_f32 v2, v2, v4 :: v_dual_add_f32 v1, v1, v203
	s_delay_alu instid0(VALU_DEP_1) | instskip(NEXT) | instid1(VALU_DEP_2)
	v_dual_fmac_f32 v205, v177, v128 :: v_dual_add_f32 v2, v2, v3
	v_add_f32_e32 v1, v1, v204
	s_delay_alu instid0(VALU_DEP_1) | instskip(NEXT) | instid1(VALU_DEP_1)
	v_add_f32_e32 v1, v1, v205
	v_add_f32_e32 v1, v1, v206
	s_delay_alu instid0(VALU_DEP_1) | instskip(NEXT) | instid1(VALU_DEP_1)
	v_add_f32_e32 v1, v1, v207
	v_add_f32_e32 v1, v1, v208
	s_delay_alu instid0(VALU_DEP_1) | instskip(SKIP_1) | instid1(VALU_DEP_1)
	v_add_f32_e32 v3, v1, v209
	s_wait_loadcnt 0x0
	v_dual_sub_f32 v1, v186, v2 :: v_dual_sub_f32 v2, v187, v3
	scratch_store_b64 off, v[1:2], off offset:144
	v_cmpx_lt_u32_e32 17, v0
	s_cbranch_execz .LBB42_237
; %bb.236:
	scratch_load_b64 v[1:2], off, off offset:136
	v_mov_b32_e32 v3, 0
	s_delay_alu instid0(VALU_DEP_1)
	v_mov_b32_e32 v4, v3
	scratch_store_b64 off, v[3:4], off offset:136
	s_wait_loadcnt 0x0
	ds_store_b64 v23, v[1:2]
.LBB42_237:
	s_wait_alu 0xfffe
	s_or_b32 exec_lo, exec_lo, s0
	s_wait_storecnt_dscnt 0x0
	s_barrier_signal -1
	s_barrier_wait -1
	global_inv scope:SCOPE_SE
	s_clause 0xd
	scratch_load_b128 v[2:5], off, off offset:144
	scratch_load_b128 v[6:9], off, off offset:160
	;; [unrolled: 1-line block ×12, first 2 shown]
	scratch_load_b64 v[186:187], off, off offset:336
	scratch_load_b64 v[188:189], off, off offset:136
	v_mov_b32_e32 v1, 0
	ds_load_b128 v[138:141], v1 offset:496
	ds_load_b128 v[142:145], v1 offset:512
	;; [unrolled: 1-line block ×12, first 2 shown]
	ds_load_b64 v[190:191], v1 offset:688
	s_mov_b32 s0, exec_lo
	s_wait_loadcnt_dscnt 0xd0c
	v_mul_f32_e32 v22, v138, v3
	s_wait_loadcnt_dscnt 0xc0b
	v_dual_mul_f32 v192, v140, v5 :: v_dual_mul_f32 v193, v142, v7
	v_mul_f32_e32 v5, v141, v5
	s_wait_loadcnt_dscnt 0xb0a
	v_dual_mul_f32 v194, v144, v9 :: v_dual_mul_f32 v195, v146, v11
	v_dual_mul_f32 v3, v139, v3 :: v_dual_mul_f32 v196, v148, v13
	s_wait_loadcnt_dscnt 0xa09
	v_dual_mul_f32 v197, v150, v15 :: v_dual_fmac_f32 v22, v139, v2
	s_wait_loadcnt_dscnt 0x302
	v_mul_f32_e32 v212, v180, v133
	v_fma_f32 v3, v138, v2, -v3
	s_wait_loadcnt_dscnt 0x100
	v_mul_f32_e32 v215, v190, v187
	v_mul_f32_e32 v2, v143, v7
	v_fmac_f32_e32 v192, v141, v4
	v_fma_f32 v4, v140, v4, -v5
	v_add_f32_e32 v3, 0, v3
	v_dual_add_f32 v5, 0, v22 :: v_dual_fmac_f32 v194, v145, v8
	v_fmac_f32_e32 v193, v143, v6
	v_fma_f32 v2, v142, v6, -v2
	s_delay_alu instid0(VALU_DEP_4) | instskip(SKIP_3) | instid1(VALU_DEP_4)
	v_add_f32_e32 v3, v3, v4
	v_mul_f32_e32 v7, v145, v9
	v_dual_add_f32 v4, v5, v192 :: v_dual_fmac_f32 v195, v147, v10
	v_fmac_f32_e32 v196, v149, v12
	v_add_f32_e32 v2, v3, v2
	s_delay_alu instid0(VALU_DEP_4)
	v_fma_f32 v6, v144, v8, -v7
	v_mul_f32_e32 v5, v147, v11
	v_add_f32_e32 v3, v4, v193
	v_mul_f32_e32 v4, v149, v13
	v_dual_mul_f32 v198, v152, v17 :: v_dual_mul_f32 v199, v154, v19
	v_add_f32_e32 v2, v2, v6
	v_fma_f32 v5, v146, v10, -v5
	v_mul_f32_e32 v6, v151, v15
	v_add_f32_e32 v3, v3, v194
	v_fma_f32 v4, v148, v12, -v4
	v_dual_fmac_f32 v197, v151, v14 :: v_dual_fmac_f32 v198, v153, v16
	s_delay_alu instid0(VALU_DEP_3) | instskip(SKIP_3) | instid1(VALU_DEP_4)
	v_dual_add_f32 v2, v2, v5 :: v_dual_add_f32 v3, v3, v195
	v_mul_f32_e32 v5, v153, v17
	v_fma_f32 v6, v150, v14, -v6
	v_dual_mul_f32 v200, v156, v21 :: v_dual_mul_f32 v201, v158, v111
	v_add_f32_e32 v2, v2, v4
	v_add_f32_e32 v3, v3, v196
	v_mul_f32_e32 v4, v155, v19
	v_fma_f32 v5, v152, v16, -v5
	v_fmac_f32_e32 v199, v155, v18
	s_delay_alu instid0(VALU_DEP_4) | instskip(SKIP_3) | instid1(VALU_DEP_4)
	v_dual_add_f32 v2, v2, v6 :: v_dual_add_f32 v3, v3, v197
	v_fmac_f32_e32 v200, v157, v20
	v_mul_f32_e32 v6, v157, v21
	v_fma_f32 v4, v154, v18, -v4
	v_dual_add_f32 v2, v2, v5 :: v_dual_add_f32 v3, v3, v198
	v_mul_f32_e32 v5, v159, v111
	s_delay_alu instid0(VALU_DEP_4) | instskip(SKIP_1) | instid1(VALU_DEP_4)
	v_fma_f32 v6, v156, v20, -v6
	v_dual_mul_f32 v202, v160, v113 :: v_dual_mul_f32 v203, v162, v115
	v_dual_add_f32 v2, v2, v4 :: v_dual_add_f32 v3, v3, v199
	v_dual_mul_f32 v4, v161, v113 :: v_dual_fmac_f32 v201, v159, v110
	s_delay_alu instid0(VALU_DEP_3) | instskip(SKIP_1) | instid1(VALU_DEP_4)
	v_fmac_f32_e32 v202, v161, v112
	v_fma_f32 v5, v158, v110, -v5
	v_dual_add_f32 v2, v2, v6 :: v_dual_add_f32 v3, v3, v200
	v_mul_f32_e32 v6, v163, v115
	v_fma_f32 v4, v160, v112, -v4
	s_delay_alu instid0(VALU_DEP_3) | instskip(NEXT) | instid1(VALU_DEP_4)
	v_dual_fmac_f32 v203, v163, v114 :: v_dual_add_f32 v2, v2, v5
	v_add_f32_e32 v3, v3, v201
	v_dual_mul_f32 v204, v164, v117 :: v_dual_mul_f32 v205, v166, v119
	v_mul_f32_e32 v5, v165, v117
	v_fma_f32 v6, v162, v114, -v6
	s_delay_alu instid0(VALU_DEP_4) | instskip(NEXT) | instid1(VALU_DEP_4)
	v_dual_add_f32 v2, v2, v4 :: v_dual_add_f32 v3, v3, v202
	v_fmac_f32_e32 v204, v165, v116
	v_mul_f32_e32 v4, v167, v119
	v_fma_f32 v5, v164, v116, -v5
	s_delay_alu instid0(VALU_DEP_4) | instskip(SKIP_3) | instid1(VALU_DEP_4)
	v_dual_add_f32 v2, v2, v6 :: v_dual_add_f32 v3, v3, v203
	v_dual_mul_f32 v206, v168, v121 :: v_dual_mul_f32 v207, v170, v123
	v_dual_mul_f32 v6, v169, v121 :: v_dual_fmac_f32 v205, v167, v118
	v_fma_f32 v4, v166, v118, -v4
	v_dual_add_f32 v2, v2, v5 :: v_dual_add_f32 v3, v3, v204
	v_dual_mul_f32 v208, v172, v125 :: v_dual_mul_f32 v209, v174, v127
	v_dual_mul_f32 v5, v171, v123 :: v_dual_fmac_f32 v206, v169, v120
	v_fma_f32 v6, v168, v120, -v6
	s_delay_alu instid0(VALU_DEP_4) | instskip(SKIP_1) | instid1(VALU_DEP_4)
	v_dual_add_f32 v2, v2, v4 :: v_dual_add_f32 v3, v3, v205
	v_dual_mul_f32 v4, v173, v125 :: v_dual_fmac_f32 v207, v171, v122
	v_fma_f32 v5, v170, v122, -v5
	s_delay_alu instid0(VALU_DEP_3) | instskip(NEXT) | instid1(VALU_DEP_4)
	v_dual_fmac_f32 v208, v173, v124 :: v_dual_add_f32 v3, v3, v206
	v_add_f32_e32 v2, v2, v6
	v_mul_f32_e32 v6, v175, v127
	v_fma_f32 v4, v172, v124, -v4
	v_dual_mul_f32 v210, v176, v129 :: v_dual_mul_f32 v211, v178, v131
	s_delay_alu instid0(VALU_DEP_4) | instskip(SKIP_3) | instid1(VALU_DEP_4)
	v_dual_add_f32 v3, v3, v207 :: v_dual_add_f32 v2, v2, v5
	v_fmac_f32_e32 v209, v175, v126
	v_mul_f32_e32 v5, v177, v129
	v_fma_f32 v6, v174, v126, -v6
	v_add_f32_e32 v3, v3, v208
	v_add_f32_e32 v2, v2, v4
	v_mul_f32_e32 v4, v179, v131
	v_dual_fmac_f32 v210, v177, v128 :: v_dual_fmac_f32 v211, v179, v130
	v_fma_f32 v5, v176, v128, -v5
	s_delay_alu instid0(VALU_DEP_4) | instskip(SKIP_3) | instid1(VALU_DEP_4)
	v_dual_add_f32 v3, v3, v209 :: v_dual_add_f32 v2, v2, v6
	v_mul_f32_e32 v6, v181, v133
	v_fma_f32 v4, v178, v130, -v4
	v_dual_mul_f32 v213, v182, v135 :: v_dual_mul_f32 v214, v184, v137
	v_dual_add_f32 v2, v2, v5 :: v_dual_mul_f32 v5, v183, v135
	v_dual_add_f32 v3, v3, v210 :: v_dual_fmac_f32 v212, v181, v132
	v_fma_f32 v6, v180, v132, -v6
	s_delay_alu instid0(VALU_DEP_3) | instskip(NEXT) | instid1(VALU_DEP_3)
	v_dual_add_f32 v2, v2, v4 :: v_dual_fmac_f32 v213, v183, v134
	v_dual_add_f32 v3, v3, v211 :: v_dual_mul_f32 v4, v185, v137
	v_fma_f32 v5, v182, v134, -v5
	v_dual_fmac_f32 v214, v185, v136 :: v_dual_fmac_f32 v215, v191, v186
	s_delay_alu instid0(VALU_DEP_3) | instskip(SKIP_2) | instid1(VALU_DEP_3)
	v_dual_add_f32 v3, v3, v212 :: v_dual_add_f32 v2, v2, v6
	v_mul_f32_e32 v6, v191, v187
	v_fma_f32 v4, v184, v136, -v4
	v_add_f32_e32 v3, v3, v213
	s_delay_alu instid0(VALU_DEP_4) | instskip(NEXT) | instid1(VALU_DEP_4)
	v_add_f32_e32 v2, v2, v5
	v_fma_f32 v5, v190, v186, -v6
	s_delay_alu instid0(VALU_DEP_2) | instskip(NEXT) | instid1(VALU_DEP_1)
	v_dual_add_f32 v3, v3, v214 :: v_dual_add_f32 v2, v2, v4
	v_dual_add_f32 v3, v3, v215 :: v_dual_add_f32 v2, v2, v5
	s_wait_loadcnt 0x0
	s_delay_alu instid0(VALU_DEP_1)
	v_dual_sub_f32 v3, v189, v3 :: v_dual_sub_f32 v2, v188, v2
	scratch_store_b64 off, v[2:3], off offset:136
	v_cmpx_lt_u32_e32 16, v0
	s_cbranch_execz .LBB42_239
; %bb.238:
	scratch_load_b64 v[3:4], off, off offset:128
	v_mov_b32_e32 v2, v1
	scratch_store_b64 off, v[1:2], off offset:128
	s_wait_loadcnt 0x0
	ds_store_b64 v23, v[3:4]
.LBB42_239:
	s_wait_alu 0xfffe
	s_or_b32 exec_lo, exec_lo, s0
	s_wait_storecnt_dscnt 0x0
	s_barrier_signal -1
	s_barrier_wait -1
	global_inv scope:SCOPE_SE
	s_clause 0xd
	scratch_load_b128 v[2:5], off, off offset:136
	scratch_load_b128 v[6:9], off, off offset:152
	scratch_load_b128 v[10:13], off, off offset:168
	scratch_load_b128 v[14:17], off, off offset:184
	scratch_load_b128 v[18:21], off, off offset:200
	scratch_load_b128 v[110:113], off, off offset:216
	scratch_load_b128 v[114:117], off, off offset:232
	scratch_load_b128 v[118:121], off, off offset:248
	scratch_load_b128 v[122:125], off, off offset:264
	scratch_load_b128 v[126:129], off, off offset:280
	scratch_load_b128 v[130:133], off, off offset:296
	scratch_load_b128 v[134:137], off, off offset:312
	scratch_load_b128 v[138:141], off, off offset:328
	scratch_load_b64 v[194:195], off, off offset:128
	ds_load_2addr_b64 v[142:145], v1 offset0:61 offset1:62
	ds_load_2addr_b64 v[146:149], v1 offset0:63 offset1:64
	;; [unrolled: 1-line block ×13, first 2 shown]
	s_mov_b32 s0, exec_lo
	s_wait_loadcnt_dscnt 0xd0c
	v_dual_mul_f32 v1, v142, v3 :: v_dual_mul_f32 v22, v144, v5
	v_mul_f32_e32 v3, v143, v3
	s_wait_loadcnt_dscnt 0xc0b
	v_dual_mul_f32 v5, v145, v5 :: v_dual_mul_f32 v196, v146, v7
	s_delay_alu instid0(VALU_DEP_3) | instskip(NEXT) | instid1(VALU_DEP_3)
	v_dual_mul_f32 v197, v148, v9 :: v_dual_fmac_f32 v22, v145, v4
	v_fma_f32 v3, v142, v2, -v3
	v_fmac_f32_e32 v1, v143, v2
	v_mul_f32_e32 v2, v147, v7
	v_fma_f32 v4, v144, v4, -v5
	s_delay_alu instid0(VALU_DEP_4)
	v_dual_fmac_f32 v196, v147, v6 :: v_dual_add_f32 v3, 0, v3
	s_wait_loadcnt_dscnt 0x908
	v_dual_mul_f32 v202, v158, v19 :: v_dual_mul_f32 v203, v160, v21
	v_fma_f32 v2, v146, v6, -v2
	v_dual_mul_f32 v198, v150, v11 :: v_dual_mul_f32 v199, v152, v13
	v_add_f32_e32 v3, v3, v4
	v_dual_mul_f32 v5, v149, v9 :: v_dual_mul_f32 v200, v154, v15
	v_dual_mul_f32 v201, v156, v17 :: v_dual_mul_f32 v4, v151, v11
	s_delay_alu instid0(VALU_DEP_3) | instskip(NEXT) | instid1(VALU_DEP_3)
	v_add_f32_e32 v2, v3, v2
	v_fma_f32 v5, v148, v8, -v5
	v_dual_mul_f32 v3, v153, v13 :: v_dual_fmac_f32 v202, v159, v18
	s_delay_alu instid0(VALU_DEP_4) | instskip(SKIP_1) | instid1(VALU_DEP_4)
	v_fma_f32 v4, v150, v10, -v4
	v_dual_fmac_f32 v197, v149, v8 :: v_dual_fmac_f32 v198, v151, v10
	v_add_f32_e32 v2, v2, v5
	v_add_f32_e32 v1, 0, v1
	v_fma_f32 v3, v152, v12, -v3
	v_fmac_f32_e32 v200, v155, v14
	s_wait_loadcnt_dscnt 0x807
	v_dual_mul_f32 v204, v162, v111 :: v_dual_mul_f32 v205, v164, v113
	v_dual_add_f32 v1, v1, v22 :: v_dual_add_f32 v2, v2, v4
	v_mul_f32_e32 v4, v157, v17
	s_wait_loadcnt_dscnt 0x605
	v_dual_mul_f32 v208, v170, v119 :: v_dual_mul_f32 v209, v172, v121
	s_delay_alu instid0(VALU_DEP_3) | instskip(NEXT) | instid1(VALU_DEP_3)
	v_dual_add_f32 v1, v1, v196 :: v_dual_add_f32 v2, v2, v3
	v_fma_f32 v4, v156, v16, -v4
	v_mul_f32_e32 v5, v155, v15
	v_dual_mul_f32 v206, v166, v115 :: v_dual_mul_f32 v207, v168, v117
	s_wait_loadcnt_dscnt 0x302
	v_dual_add_f32 v1, v1, v197 :: v_dual_mul_f32 v214, v182, v131
	v_mul_f32_e32 v215, v184, v133
	v_fma_f32 v5, v154, v14, -v5
	v_fmac_f32_e32 v199, v153, v12
	s_delay_alu instid0(VALU_DEP_4)
	v_add_f32_e32 v1, v1, v198
	v_fmac_f32_e32 v204, v163, v110
	v_dual_mul_f32 v210, v174, v123 :: v_dual_mul_f32 v211, v176, v125
	v_add_f32_e32 v2, v2, v5
	v_dual_fmac_f32 v206, v167, v114 :: v_dual_fmac_f32 v205, v165, v112
	v_dual_mul_f32 v212, v178, v127 :: v_dual_mul_f32 v213, v180, v129
	s_delay_alu instid0(VALU_DEP_3) | instskip(SKIP_2) | instid1(VALU_DEP_4)
	v_add_f32_e32 v2, v2, v4
	v_mul_f32_e32 v4, v163, v111
	v_add_f32_e32 v1, v1, v199
	v_dual_fmac_f32 v207, v169, v116 :: v_dual_fmac_f32 v212, v179, v126
	v_fmac_f32_e32 v209, v173, v120
	s_delay_alu instid0(VALU_DEP_4) | instskip(SKIP_4) | instid1(VALU_DEP_3)
	v_fma_f32 v4, v162, v110, -v4
	v_mul_f32_e32 v5, v161, v21
	s_wait_loadcnt_dscnt 0x201
	v_dual_add_f32 v1, v1, v200 :: v_dual_mul_f32 v216, v186, v135
	v_dual_mul_f32 v217, v188, v137 :: v_dual_fmac_f32 v208, v171, v118
	v_fma_f32 v5, v160, v20, -v5
	v_mul_f32_e32 v3, v159, v19
	s_wait_loadcnt_dscnt 0x100
	v_dual_mul_f32 v218, v190, v139 :: v_dual_mul_f32 v219, v192, v141
	v_fmac_f32_e32 v215, v185, v132
	v_fmac_f32_e32 v217, v189, v136
	v_fma_f32 v3, v158, v18, -v3
	v_fmac_f32_e32 v201, v157, v16
	v_dual_fmac_f32 v219, v193, v140 :: v_dual_fmac_f32 v214, v183, v130
	v_fmac_f32_e32 v210, v175, v122
	s_delay_alu instid0(VALU_DEP_4) | instskip(SKIP_2) | instid1(VALU_DEP_3)
	v_dual_add_f32 v2, v2, v3 :: v_dual_mul_f32 v3, v165, v113
	v_fmac_f32_e32 v216, v187, v134
	v_fmac_f32_e32 v218, v191, v138
	v_dual_add_f32 v2, v2, v5 :: v_dual_mul_f32 v5, v167, v115
	s_delay_alu instid0(VALU_DEP_4) | instskip(NEXT) | instid1(VALU_DEP_2)
	v_fma_f32 v3, v164, v112, -v3
	v_dual_add_f32 v2, v2, v4 :: v_dual_add_f32 v1, v1, v201
	v_mul_f32_e32 v4, v169, v117
	s_delay_alu instid0(VALU_DEP_4) | instskip(NEXT) | instid1(VALU_DEP_3)
	v_fma_f32 v5, v166, v114, -v5
	v_dual_add_f32 v2, v2, v3 :: v_dual_fmac_f32 v203, v161, v20
	s_delay_alu instid0(VALU_DEP_3) | instskip(NEXT) | instid1(VALU_DEP_2)
	v_fma_f32 v4, v168, v116, -v4
	v_add_f32_e32 v2, v2, v5
	v_mul_f32_e32 v5, v173, v121
	s_delay_alu instid0(VALU_DEP_2) | instskip(NEXT) | instid1(VALU_DEP_2)
	v_dual_add_f32 v1, v1, v202 :: v_dual_add_f32 v2, v2, v4
	v_fma_f32 v5, v172, v120, -v5
	v_mul_f32_e32 v3, v171, v119
	s_delay_alu instid0(VALU_DEP_3) | instskip(SKIP_1) | instid1(VALU_DEP_3)
	v_add_f32_e32 v1, v1, v203
	v_mul_f32_e32 v4, v175, v123
	v_fma_f32 v3, v170, v118, -v3
	s_delay_alu instid0(VALU_DEP_3) | instskip(NEXT) | instid1(VALU_DEP_3)
	v_add_f32_e32 v1, v1, v204
	v_fma_f32 v4, v174, v122, -v4
	s_delay_alu instid0(VALU_DEP_3) | instskip(NEXT) | instid1(VALU_DEP_1)
	v_add_f32_e32 v2, v2, v3
	v_add_f32_e32 v2, v2, v5
	s_delay_alu instid0(VALU_DEP_4) | instskip(NEXT) | instid1(VALU_DEP_2)
	v_add_f32_e32 v1, v1, v205
	v_dual_mul_f32 v5, v179, v127 :: v_dual_add_f32 v2, v2, v4
	v_mul_f32_e32 v4, v181, v129
	s_delay_alu instid0(VALU_DEP_2) | instskip(NEXT) | instid1(VALU_DEP_2)
	v_fma_f32 v5, v178, v126, -v5
	v_fma_f32 v4, v180, v128, -v4
	v_mul_f32_e32 v3, v177, v125
	s_delay_alu instid0(VALU_DEP_1) | instskip(NEXT) | instid1(VALU_DEP_1)
	v_fma_f32 v3, v176, v124, -v3
	v_dual_add_f32 v1, v1, v206 :: v_dual_add_f32 v2, v2, v3
	s_delay_alu instid0(VALU_DEP_1) | instskip(NEXT) | instid1(VALU_DEP_2)
	v_add_f32_e32 v1, v1, v207
	v_dual_mul_f32 v3, v183, v131 :: v_dual_add_f32 v2, v2, v5
	v_mul_f32_e32 v5, v185, v133
	s_delay_alu instid0(VALU_DEP_2) | instskip(NEXT) | instid1(VALU_DEP_3)
	v_fma_f32 v3, v182, v130, -v3
	v_add_f32_e32 v2, v2, v4
	v_dual_add_f32 v1, v1, v208 :: v_dual_mul_f32 v4, v187, v135
	s_delay_alu instid0(VALU_DEP_4) | instskip(NEXT) | instid1(VALU_DEP_2)
	v_fma_f32 v5, v184, v132, -v5
	v_dual_add_f32 v2, v2, v3 :: v_dual_add_f32 v1, v1, v209
	v_fmac_f32_e32 v211, v177, v124
	v_mul_f32_e32 v3, v189, v137
	v_fma_f32 v4, v186, v134, -v4
	s_delay_alu instid0(VALU_DEP_4) | instskip(SKIP_1) | instid1(VALU_DEP_4)
	v_dual_add_f32 v2, v2, v5 :: v_dual_add_f32 v1, v1, v210
	v_mul_f32_e32 v5, v191, v139
	v_fma_f32 v3, v188, v136, -v3
	s_delay_alu instid0(VALU_DEP_3) | instskip(SKIP_1) | instid1(VALU_DEP_4)
	v_dual_add_f32 v2, v2, v4 :: v_dual_add_f32 v1, v1, v211
	v_fmac_f32_e32 v213, v181, v128
	v_fma_f32 v5, v190, v138, -v5
	v_mul_f32_e32 v4, v193, v141
	s_delay_alu instid0(VALU_DEP_4) | instskip(NEXT) | instid1(VALU_DEP_2)
	v_dual_add_f32 v2, v2, v3 :: v_dual_add_f32 v1, v1, v212
	v_fma_f32 v3, v192, v140, -v4
	s_delay_alu instid0(VALU_DEP_2) | instskip(NEXT) | instid1(VALU_DEP_1)
	v_add_f32_e32 v2, v2, v5
	v_dual_add_f32 v1, v1, v213 :: v_dual_add_f32 v2, v2, v3
	s_delay_alu instid0(VALU_DEP_1) | instskip(NEXT) | instid1(VALU_DEP_1)
	v_add_f32_e32 v1, v1, v214
	v_add_f32_e32 v1, v1, v215
	s_delay_alu instid0(VALU_DEP_1) | instskip(NEXT) | instid1(VALU_DEP_1)
	v_add_f32_e32 v1, v1, v216
	v_add_f32_e32 v1, v1, v217
	;; [unrolled: 3-line block ×3, first 2 shown]
	s_wait_loadcnt 0x0
	s_delay_alu instid0(VALU_DEP_1)
	v_dual_sub_f32 v1, v194, v2 :: v_dual_sub_f32 v2, v195, v3
	scratch_store_b64 off, v[1:2], off offset:128
	v_cmpx_lt_u32_e32 15, v0
	s_cbranch_execz .LBB42_241
; %bb.240:
	scratch_load_b64 v[1:2], off, off offset:120
	v_mov_b32_e32 v3, 0
	s_delay_alu instid0(VALU_DEP_1)
	v_mov_b32_e32 v4, v3
	scratch_store_b64 off, v[3:4], off offset:120
	s_wait_loadcnt 0x0
	ds_store_b64 v23, v[1:2]
.LBB42_241:
	s_wait_alu 0xfffe
	s_or_b32 exec_lo, exec_lo, s0
	s_wait_storecnt_dscnt 0x0
	s_barrier_signal -1
	s_barrier_wait -1
	global_inv scope:SCOPE_SE
	s_clause 0xe
	scratch_load_b128 v[2:5], off, off offset:128
	scratch_load_b128 v[6:9], off, off offset:144
	;; [unrolled: 1-line block ×13, first 2 shown]
	scratch_load_b64 v[194:195], off, off offset:336
	scratch_load_b64 v[196:197], off, off offset:120
	v_mov_b32_e32 v1, 0
	ds_load_b128 v[142:145], v1 offset:480
	ds_load_b128 v[146:149], v1 offset:496
	ds_load_b128 v[150:153], v1 offset:512
	ds_load_b128 v[154:157], v1 offset:528
	ds_load_b128 v[158:161], v1 offset:544
	ds_load_b128 v[162:165], v1 offset:560
	ds_load_b128 v[166:169], v1 offset:576
	ds_load_b128 v[170:173], v1 offset:592
	ds_load_b128 v[174:177], v1 offset:608
	ds_load_b128 v[178:181], v1 offset:624
	ds_load_b128 v[182:185], v1 offset:640
	ds_load_b128 v[186:189], v1 offset:656
	ds_load_b128 v[190:193], v1 offset:672
	ds_load_b64 v[198:199], v1 offset:688
	s_mov_b32 s0, exec_lo
	s_wait_loadcnt_dscnt 0xe0d
	v_mul_f32_e32 v22, v142, v3
	s_wait_loadcnt_dscnt 0xd0c
	v_dual_mul_f32 v200, v144, v5 :: v_dual_mul_f32 v201, v146, v7
	v_mul_f32_e32 v5, v145, v5
	s_wait_loadcnt_dscnt 0xc0b
	v_dual_mul_f32 v202, v148, v9 :: v_dual_mul_f32 v203, v150, v11
	s_wait_loadcnt_dscnt 0xb0a
	v_dual_mul_f32 v204, v152, v13 :: v_dual_mul_f32 v205, v154, v15
	v_mul_f32_e32 v3, v143, v3
	v_fmac_f32_e32 v22, v143, v2
	s_delay_alu instid0(VALU_DEP_3)
	v_dual_fmac_f32 v203, v151, v10 :: v_dual_fmac_f32 v204, v153, v12
	s_wait_loadcnt_dscnt 0x100
	v_dual_mul_f32 v222, v188, v137 :: v_dual_mul_f32 v225, v198, v195
	v_fma_f32 v3, v142, v2, -v3
	v_mul_f32_e32 v2, v147, v7
	v_fmac_f32_e32 v200, v145, v4
	v_fma_f32 v4, v144, v4, -v5
	v_dual_add_f32 v5, 0, v22 :: v_dual_fmac_f32 v202, v149, v8
	v_add_f32_e32 v3, 0, v3
	v_fmac_f32_e32 v201, v147, v6
	v_fma_f32 v2, v146, v6, -v2
	v_dual_mul_f32 v206, v156, v17 :: v_dual_mul_f32 v207, v158, v19
	s_delay_alu instid0(VALU_DEP_4) | instskip(SKIP_2) | instid1(VALU_DEP_4)
	v_add_f32_e32 v3, v3, v4
	v_mul_f32_e32 v7, v149, v9
	v_dual_add_f32 v4, v5, v200 :: v_dual_fmac_f32 v205, v155, v14
	v_fmac_f32_e32 v206, v157, v16
	s_delay_alu instid0(VALU_DEP_4) | instskip(NEXT) | instid1(VALU_DEP_4)
	v_add_f32_e32 v2, v3, v2
	v_fma_f32 v6, v148, v8, -v7
	v_mul_f32_e32 v5, v151, v11
	v_add_f32_e32 v3, v4, v201
	v_mul_f32_e32 v4, v153, v13
	v_dual_mul_f32 v208, v160, v21 :: v_dual_mul_f32 v209, v162, v111
	v_add_f32_e32 v2, v2, v6
	v_fma_f32 v5, v150, v10, -v5
	v_mul_f32_e32 v6, v155, v15
	v_add_f32_e32 v3, v3, v202
	v_fma_f32 v4, v152, v12, -v4
	v_dual_mul_f32 v210, v164, v113 :: v_dual_mul_f32 v211, v166, v115
	s_delay_alu instid0(VALU_DEP_3) | instskip(SKIP_2) | instid1(VALU_DEP_3)
	v_dual_add_f32 v2, v2, v5 :: v_dual_add_f32 v3, v3, v203
	v_mul_f32_e32 v5, v157, v17
	v_fma_f32 v6, v154, v14, -v6
	v_dual_fmac_f32 v207, v159, v18 :: v_dual_add_f32 v2, v2, v4
	s_delay_alu instid0(VALU_DEP_4) | instskip(SKIP_3) | instid1(VALU_DEP_4)
	v_add_f32_e32 v3, v3, v204
	v_mul_f32_e32 v4, v159, v19
	v_fma_f32 v5, v156, v16, -v5
	v_fmac_f32_e32 v208, v161, v20
	v_dual_add_f32 v2, v2, v6 :: v_dual_add_f32 v3, v3, v205
	v_mul_f32_e32 v6, v161, v21
	v_fma_f32 v4, v158, v18, -v4
	v_dual_fmac_f32 v209, v163, v110 :: v_dual_fmac_f32 v210, v165, v112
	s_delay_alu instid0(VALU_DEP_4) | instskip(SKIP_3) | instid1(VALU_DEP_4)
	v_dual_add_f32 v2, v2, v5 :: v_dual_add_f32 v3, v3, v206
	v_mul_f32_e32 v5, v163, v111
	v_fma_f32 v6, v160, v20, -v6
	v_dual_mul_f32 v212, v168, v117 :: v_dual_mul_f32 v213, v170, v119
	v_dual_add_f32 v2, v2, v4 :: v_dual_add_f32 v3, v3, v207
	v_mul_f32_e32 v4, v165, v113
	v_fma_f32 v5, v162, v110, -v5
	v_fmac_f32_e32 v211, v167, v114
	s_delay_alu instid0(VALU_DEP_4) | instskip(SKIP_3) | instid1(VALU_DEP_4)
	v_dual_add_f32 v2, v2, v6 :: v_dual_add_f32 v3, v3, v208
	v_mul_f32_e32 v6, v167, v115
	v_fma_f32 v4, v164, v112, -v4
	v_fmac_f32_e32 v212, v169, v116
	v_add_f32_e32 v2, v2, v5
	v_add_f32_e32 v3, v3, v209
	v_mul_f32_e32 v5, v169, v117
	v_fma_f32 v6, v166, v114, -v6
	v_dual_mul_f32 v214, v172, v121 :: v_dual_mul_f32 v215, v174, v123
	s_delay_alu instid0(VALU_DEP_4) | instskip(SKIP_3) | instid1(VALU_DEP_4)
	v_dual_add_f32 v2, v2, v4 :: v_dual_add_f32 v3, v3, v210
	v_mul_f32_e32 v4, v171, v119
	v_fma_f32 v5, v168, v116, -v5
	v_fmac_f32_e32 v213, v171, v118
	v_dual_add_f32 v2, v2, v6 :: v_dual_add_f32 v3, v3, v211
	v_mul_f32_e32 v6, v173, v121
	v_fma_f32 v4, v170, v118, -v4
	v_fmac_f32_e32 v214, v173, v120
	s_delay_alu instid0(VALU_DEP_4) | instskip(SKIP_2) | instid1(VALU_DEP_3)
	v_dual_add_f32 v2, v2, v5 :: v_dual_add_f32 v3, v3, v212
	v_dual_mul_f32 v5, v175, v123 :: v_dual_mul_f32 v216, v176, v125
	v_mul_f32_e32 v217, v178, v127
	v_dual_add_f32 v2, v2, v4 :: v_dual_add_f32 v3, v3, v213
	v_fma_f32 v6, v172, v120, -v6
	v_dual_mul_f32 v4, v177, v125 :: v_dual_fmac_f32 v215, v175, v122
	v_fma_f32 v5, v174, v122, -v5
	s_delay_alu instid0(VALU_DEP_4) | instskip(NEXT) | instid1(VALU_DEP_4)
	v_dual_add_f32 v3, v3, v214 :: v_dual_fmac_f32 v216, v177, v124
	v_add_f32_e32 v2, v2, v6
	v_mul_f32_e32 v6, v179, v127
	v_dual_mul_f32 v218, v180, v129 :: v_dual_mul_f32 v219, v182, v131
	s_delay_alu instid0(VALU_DEP_4) | instskip(SKIP_3) | instid1(VALU_DEP_4)
	v_add_f32_e32 v3, v3, v215
	v_fma_f32 v4, v176, v124, -v4
	v_dual_add_f32 v2, v2, v5 :: v_dual_fmac_f32 v217, v179, v126
	v_fma_f32 v6, v178, v126, -v6
	v_add_f32_e32 v3, v3, v216
	s_delay_alu instid0(VALU_DEP_3) | instskip(SKIP_1) | instid1(VALU_DEP_3)
	v_dual_mul_f32 v5, v181, v129 :: v_dual_add_f32 v2, v2, v4
	v_dual_fmac_f32 v218, v181, v128 :: v_dual_fmac_f32 v219, v183, v130
	v_add_f32_e32 v3, v3, v217
	v_dual_mul_f32 v220, v184, v133 :: v_dual_mul_f32 v221, v186, v135
	v_mul_f32_e32 v4, v183, v131
	v_fma_f32 v5, v180, v128, -v5
	v_add_f32_e32 v2, v2, v6
	v_dual_mul_f32 v6, v185, v133 :: v_dual_add_f32 v3, v3, v218
	s_delay_alu instid0(VALU_DEP_4) | instskip(SKIP_1) | instid1(VALU_DEP_4)
	v_fma_f32 v4, v182, v130, -v4
	v_fmac_f32_e32 v220, v185, v132
	v_dual_add_f32 v2, v2, v5 :: v_dual_mul_f32 v5, v187, v135
	s_delay_alu instid0(VALU_DEP_4) | instskip(SKIP_1) | instid1(VALU_DEP_3)
	v_add_f32_e32 v3, v3, v219
	v_fma_f32 v6, v184, v132, -v6
	v_dual_fmac_f32 v221, v187, v134 :: v_dual_add_f32 v2, v2, v4
	s_delay_alu instid0(VALU_DEP_3) | instskip(SKIP_2) | instid1(VALU_DEP_3)
	v_dual_mul_f32 v4, v189, v137 :: v_dual_add_f32 v3, v3, v220
	v_dual_mul_f32 v223, v190, v139 :: v_dual_mul_f32 v224, v192, v141
	v_fma_f32 v5, v186, v134, -v5
	v_dual_add_f32 v2, v2, v6 :: v_dual_add_f32 v3, v3, v221
	s_delay_alu instid0(VALU_DEP_3) | instskip(SKIP_2) | instid1(VALU_DEP_3)
	v_dual_fmac_f32 v222, v189, v136 :: v_dual_fmac_f32 v223, v191, v138
	v_mul_f32_e32 v6, v191, v139
	v_fma_f32 v4, v188, v136, -v4
	v_dual_add_f32 v2, v2, v5 :: v_dual_add_f32 v3, v3, v222
	v_mul_f32_e32 v5, v193, v141
	s_delay_alu instid0(VALU_DEP_4) | instskip(SKIP_1) | instid1(VALU_DEP_4)
	v_fma_f32 v6, v190, v138, -v6
	v_dual_fmac_f32 v224, v193, v140 :: v_dual_fmac_f32 v225, v199, v194
	v_dual_add_f32 v2, v2, v4 :: v_dual_add_f32 v3, v3, v223
	v_mul_f32_e32 v4, v199, v195
	v_fma_f32 v5, v192, v140, -v5
	s_delay_alu instid0(VALU_DEP_3) | instskip(NEXT) | instid1(VALU_DEP_3)
	v_dual_add_f32 v2, v2, v6 :: v_dual_add_f32 v3, v3, v224
	v_fma_f32 v4, v198, v194, -v4
	s_delay_alu instid0(VALU_DEP_2) | instskip(SKIP_1) | instid1(VALU_DEP_1)
	v_add_f32_e32 v3, v3, v225
	s_wait_loadcnt 0x0
	v_dual_add_f32 v2, v2, v5 :: v_dual_sub_f32 v3, v197, v3
	s_delay_alu instid0(VALU_DEP_1) | instskip(NEXT) | instid1(VALU_DEP_1)
	v_add_f32_e32 v2, v2, v4
	v_sub_f32_e32 v2, v196, v2
	scratch_store_b64 off, v[2:3], off offset:120
	v_cmpx_lt_u32_e32 14, v0
	s_cbranch_execz .LBB42_243
; %bb.242:
	scratch_load_b64 v[3:4], off, off offset:112
	v_mov_b32_e32 v2, v1
	scratch_store_b64 off, v[1:2], off offset:112
	s_wait_loadcnt 0x0
	ds_store_b64 v23, v[3:4]
.LBB42_243:
	s_wait_alu 0xfffe
	s_or_b32 exec_lo, exec_lo, s0
	s_wait_storecnt_dscnt 0x0
	s_barrier_signal -1
	s_barrier_wait -1
	global_inv scope:SCOPE_SE
	s_clause 0xe
	scratch_load_b128 v[2:5], off, off offset:120
	scratch_load_b128 v[6:9], off, off offset:136
	;; [unrolled: 1-line block ×14, first 2 shown]
	scratch_load_b64 v[202:203], off, off offset:112
	ds_load_2addr_b64 v[146:149], v1 offset0:59 offset1:60
	ds_load_2addr_b64 v[150:153], v1 offset0:61 offset1:62
	;; [unrolled: 1-line block ×14, first 2 shown]
	s_mov_b32 s0, exec_lo
	s_wait_loadcnt_dscnt 0xe0d
	v_dual_mul_f32 v1, v146, v3 :: v_dual_mul_f32 v22, v148, v5
	v_mul_f32_e32 v3, v147, v3
	s_wait_loadcnt_dscnt 0xd0c
	v_dual_mul_f32 v5, v149, v5 :: v_dual_mul_f32 v204, v150, v7
	s_delay_alu instid0(VALU_DEP_3) | instskip(NEXT) | instid1(VALU_DEP_3)
	v_dual_mul_f32 v205, v152, v9 :: v_dual_fmac_f32 v22, v149, v4
	v_fma_f32 v3, v146, v2, -v3
	v_fmac_f32_e32 v1, v147, v2
	v_mul_f32_e32 v2, v151, v7
	v_fma_f32 v4, v148, v4, -v5
	s_delay_alu instid0(VALU_DEP_4)
	v_dual_fmac_f32 v204, v151, v6 :: v_dual_add_f32 v3, 0, v3
	s_wait_loadcnt_dscnt 0xa09
	v_dual_mul_f32 v210, v162, v19 :: v_dual_mul_f32 v211, v164, v21
	v_fma_f32 v2, v150, v6, -v2
	v_dual_mul_f32 v206, v154, v11 :: v_dual_mul_f32 v207, v156, v13
	v_add_f32_e32 v3, v3, v4
	v_dual_mul_f32 v5, v153, v9 :: v_dual_mul_f32 v208, v158, v15
	v_dual_mul_f32 v209, v160, v17 :: v_dual_mul_f32 v4, v155, v11
	s_delay_alu instid0(VALU_DEP_3) | instskip(NEXT) | instid1(VALU_DEP_3)
	v_add_f32_e32 v2, v3, v2
	v_fma_f32 v5, v152, v8, -v5
	v_dual_mul_f32 v3, v157, v13 :: v_dual_fmac_f32 v210, v163, v18
	s_delay_alu instid0(VALU_DEP_4) | instskip(SKIP_1) | instid1(VALU_DEP_4)
	v_fma_f32 v4, v154, v10, -v4
	v_dual_fmac_f32 v205, v153, v8 :: v_dual_fmac_f32 v206, v155, v10
	v_add_f32_e32 v2, v2, v5
	v_add_f32_e32 v1, 0, v1
	v_fma_f32 v3, v156, v12, -v3
	v_fmac_f32_e32 v208, v159, v14
	s_wait_loadcnt_dscnt 0x908
	v_dual_mul_f32 v212, v166, v111 :: v_dual_mul_f32 v213, v168, v113
	v_dual_add_f32 v1, v1, v22 :: v_dual_add_f32 v2, v2, v4
	v_mul_f32_e32 v4, v161, v17
	s_wait_loadcnt_dscnt 0x706
	v_dual_mul_f32 v216, v174, v119 :: v_dual_mul_f32 v217, v176, v121
	s_delay_alu instid0(VALU_DEP_3) | instskip(NEXT) | instid1(VALU_DEP_3)
	v_dual_add_f32 v1, v1, v204 :: v_dual_add_f32 v2, v2, v3
	v_fma_f32 v4, v160, v16, -v4
	v_mul_f32_e32 v5, v159, v15
	v_dual_mul_f32 v214, v170, v115 :: v_dual_mul_f32 v215, v172, v117
	s_wait_loadcnt_dscnt 0x403
	v_dual_add_f32 v1, v1, v205 :: v_dual_mul_f32 v222, v186, v131
	v_mul_f32_e32 v223, v188, v133
	v_fma_f32 v5, v158, v14, -v5
	v_fmac_f32_e32 v207, v157, v12
	s_delay_alu instid0(VALU_DEP_4)
	v_add_f32_e32 v1, v1, v206
	v_fmac_f32_e32 v212, v167, v110
	v_dual_mul_f32 v218, v178, v123 :: v_dual_mul_f32 v219, v180, v125
	v_add_f32_e32 v2, v2, v5
	v_dual_fmac_f32 v214, v171, v114 :: v_dual_fmac_f32 v213, v169, v112
	v_dual_mul_f32 v220, v182, v127 :: v_dual_mul_f32 v221, v184, v129
	s_delay_alu instid0(VALU_DEP_3) | instskip(SKIP_2) | instid1(VALU_DEP_4)
	v_add_f32_e32 v2, v2, v4
	v_mul_f32_e32 v4, v167, v111
	v_add_f32_e32 v1, v1, v207
	v_dual_fmac_f32 v215, v173, v116 :: v_dual_fmac_f32 v220, v183, v126
	s_wait_loadcnt_dscnt 0x100
	v_dual_mul_f32 v228, v198, v143 :: v_dual_mul_f32 v229, v200, v145
	v_fma_f32 v4, v166, v110, -v4
	v_mul_f32_e32 v5, v165, v21
	v_dual_add_f32 v1, v1, v208 :: v_dual_fmac_f32 v216, v175, v118
	v_dual_fmac_f32 v217, v177, v120 :: v_dual_mul_f32 v224, v190, v135
	v_mul_f32_e32 v225, v192, v137
	s_delay_alu instid0(VALU_DEP_4) | instskip(SKIP_2) | instid1(VALU_DEP_4)
	v_fma_f32 v5, v164, v20, -v5
	v_mul_f32_e32 v3, v163, v19
	v_dual_mul_f32 v226, v194, v139 :: v_dual_mul_f32 v227, v196, v141
	v_fmac_f32_e32 v225, v193, v136
	v_fmac_f32_e32 v229, v201, v144
	s_delay_alu instid0(VALU_DEP_4) | instskip(SKIP_3) | instid1(VALU_DEP_4)
	v_fma_f32 v3, v162, v18, -v3
	v_fmac_f32_e32 v209, v161, v16
	v_dual_fmac_f32 v227, v197, v140 :: v_dual_fmac_f32 v222, v187, v130
	v_fmac_f32_e32 v218, v179, v122
	v_dual_add_f32 v2, v2, v3 :: v_dual_mul_f32 v3, v169, v113
	v_fmac_f32_e32 v228, v199, v142
	v_fmac_f32_e32 v224, v191, v134
	;; [unrolled: 1-line block ×3, first 2 shown]
	s_delay_alu instid0(VALU_DEP_4) | instskip(SKIP_1) | instid1(VALU_DEP_2)
	v_dual_add_f32 v2, v2, v5 :: v_dual_mul_f32 v5, v171, v115
	v_fma_f32 v3, v168, v112, -v3
	v_dual_add_f32 v2, v2, v4 :: v_dual_add_f32 v1, v1, v209
	v_mul_f32_e32 v4, v173, v117
	s_delay_alu instid0(VALU_DEP_4) | instskip(NEXT) | instid1(VALU_DEP_3)
	v_fma_f32 v5, v170, v114, -v5
	v_dual_add_f32 v2, v2, v3 :: v_dual_fmac_f32 v211, v165, v20
	s_delay_alu instid0(VALU_DEP_3) | instskip(NEXT) | instid1(VALU_DEP_2)
	v_fma_f32 v4, v172, v116, -v4
	v_add_f32_e32 v2, v2, v5
	v_mul_f32_e32 v5, v177, v121
	s_delay_alu instid0(VALU_DEP_2) | instskip(NEXT) | instid1(VALU_DEP_2)
	v_dual_add_f32 v1, v1, v210 :: v_dual_add_f32 v2, v2, v4
	v_fma_f32 v5, v176, v120, -v5
	v_mul_f32_e32 v3, v175, v119
	s_delay_alu instid0(VALU_DEP_3) | instskip(SKIP_1) | instid1(VALU_DEP_3)
	v_add_f32_e32 v1, v1, v211
	v_mul_f32_e32 v4, v179, v123
	v_fma_f32 v3, v174, v118, -v3
	s_delay_alu instid0(VALU_DEP_3) | instskip(NEXT) | instid1(VALU_DEP_3)
	v_add_f32_e32 v1, v1, v212
	v_fma_f32 v4, v178, v122, -v4
	s_delay_alu instid0(VALU_DEP_3) | instskip(NEXT) | instid1(VALU_DEP_1)
	v_add_f32_e32 v2, v2, v3
	v_add_f32_e32 v2, v2, v5
	s_delay_alu instid0(VALU_DEP_4) | instskip(NEXT) | instid1(VALU_DEP_2)
	v_add_f32_e32 v1, v1, v213
	v_dual_mul_f32 v5, v183, v127 :: v_dual_add_f32 v2, v2, v4
	v_mul_f32_e32 v4, v185, v129
	s_delay_alu instid0(VALU_DEP_2) | instskip(NEXT) | instid1(VALU_DEP_2)
	v_fma_f32 v5, v182, v126, -v5
	v_fma_f32 v4, v184, v128, -v4
	v_mul_f32_e32 v3, v181, v125
	s_delay_alu instid0(VALU_DEP_1) | instskip(NEXT) | instid1(VALU_DEP_1)
	v_fma_f32 v3, v180, v124, -v3
	v_dual_add_f32 v1, v1, v214 :: v_dual_add_f32 v2, v2, v3
	s_delay_alu instid0(VALU_DEP_1) | instskip(NEXT) | instid1(VALU_DEP_2)
	v_add_f32_e32 v1, v1, v215
	v_dual_mul_f32 v3, v187, v131 :: v_dual_add_f32 v2, v2, v5
	v_mul_f32_e32 v5, v189, v133
	s_delay_alu instid0(VALU_DEP_2) | instskip(NEXT) | instid1(VALU_DEP_3)
	v_fma_f32 v3, v186, v130, -v3
	v_add_f32_e32 v2, v2, v4
	v_dual_add_f32 v1, v1, v216 :: v_dual_mul_f32 v4, v191, v135
	s_delay_alu instid0(VALU_DEP_4) | instskip(NEXT) | instid1(VALU_DEP_2)
	v_fma_f32 v5, v188, v132, -v5
	v_dual_add_f32 v2, v2, v3 :: v_dual_add_f32 v1, v1, v217
	v_fmac_f32_e32 v219, v181, v124
	v_mul_f32_e32 v3, v193, v137
	v_fma_f32 v4, v190, v134, -v4
	s_delay_alu instid0(VALU_DEP_4) | instskip(SKIP_1) | instid1(VALU_DEP_4)
	v_dual_add_f32 v2, v2, v5 :: v_dual_add_f32 v1, v1, v218
	v_mul_f32_e32 v5, v195, v139
	v_fma_f32 v3, v192, v136, -v3
	s_delay_alu instid0(VALU_DEP_3) | instskip(SKIP_3) | instid1(VALU_DEP_4)
	v_dual_add_f32 v2, v2, v4 :: v_dual_add_f32 v1, v1, v219
	v_fmac_f32_e32 v221, v185, v128
	v_mul_f32_e32 v4, v197, v141
	v_fma_f32 v5, v194, v138, -v5
	v_dual_add_f32 v2, v2, v3 :: v_dual_add_f32 v1, v1, v220
	v_mul_f32_e32 v3, v199, v143
	s_delay_alu instid0(VALU_DEP_4) | instskip(NEXT) | instid1(VALU_DEP_3)
	v_fma_f32 v4, v196, v140, -v4
	v_add_f32_e32 v2, v2, v5
	s_delay_alu instid0(VALU_DEP_4) | instskip(SKIP_2) | instid1(VALU_DEP_4)
	v_add_f32_e32 v1, v1, v221
	v_mul_f32_e32 v5, v201, v145
	v_fma_f32 v3, v198, v142, -v3
	v_add_f32_e32 v2, v2, v4
	v_fmac_f32_e32 v223, v189, v132
	s_delay_alu instid0(VALU_DEP_4) | instskip(NEXT) | instid1(VALU_DEP_3)
	v_fma_f32 v4, v200, v144, -v5
	v_dual_add_f32 v2, v2, v3 :: v_dual_add_f32 v1, v1, v222
	s_delay_alu instid0(VALU_DEP_1) | instskip(NEXT) | instid1(VALU_DEP_1)
	v_dual_add_f32 v2, v2, v4 :: v_dual_add_f32 v1, v1, v223
	v_add_f32_e32 v1, v1, v224
	s_delay_alu instid0(VALU_DEP_1) | instskip(NEXT) | instid1(VALU_DEP_1)
	v_add_f32_e32 v1, v1, v225
	v_add_f32_e32 v1, v1, v226
	s_delay_alu instid0(VALU_DEP_1) | instskip(NEXT) | instid1(VALU_DEP_1)
	v_add_f32_e32 v1, v1, v227
	v_add_f32_e32 v1, v1, v228
	s_delay_alu instid0(VALU_DEP_1) | instskip(SKIP_1) | instid1(VALU_DEP_1)
	v_add_f32_e32 v3, v1, v229
	s_wait_loadcnt 0x0
	v_dual_sub_f32 v1, v202, v2 :: v_dual_sub_f32 v2, v203, v3
	scratch_store_b64 off, v[1:2], off offset:112
	v_cmpx_lt_u32_e32 13, v0
	s_cbranch_execz .LBB42_245
; %bb.244:
	scratch_load_b64 v[1:2], off, off offset:104
	v_mov_b32_e32 v3, 0
	s_delay_alu instid0(VALU_DEP_1)
	v_mov_b32_e32 v4, v3
	scratch_store_b64 off, v[3:4], off offset:104
	s_wait_loadcnt 0x0
	ds_store_b64 v23, v[1:2]
.LBB42_245:
	s_wait_alu 0xfffe
	s_or_b32 exec_lo, exec_lo, s0
	s_wait_storecnt_dscnt 0x0
	s_barrier_signal -1
	s_barrier_wait -1
	global_inv scope:SCOPE_SE
	s_clause 0xf
	scratch_load_b128 v[2:5], off, off offset:112
	scratch_load_b128 v[6:9], off, off offset:128
	;; [unrolled: 1-line block ×14, first 2 shown]
	scratch_load_b64 v[202:203], off, off offset:336
	scratch_load_b64 v[204:205], off, off offset:104
	v_mov_b32_e32 v1, 0
	ds_load_b128 v[146:149], v1 offset:464
	ds_load_b128 v[150:153], v1 offset:480
	;; [unrolled: 1-line block ×14, first 2 shown]
	ds_load_b64 v[206:207], v1 offset:688
	s_mov_b32 s0, exec_lo
	s_wait_loadcnt_dscnt 0xf0e
	v_mul_f32_e32 v22, v146, v3
	s_wait_loadcnt_dscnt 0xe0d
	v_dual_mul_f32 v208, v148, v5 :: v_dual_mul_f32 v209, v150, v7
	v_mul_f32_e32 v5, v149, v5
	s_wait_loadcnt_dscnt 0xd0c
	v_dual_mul_f32 v210, v152, v9 :: v_dual_mul_f32 v211, v154, v11
	s_wait_loadcnt_dscnt 0xc0b
	v_dual_mul_f32 v212, v156, v13 :: v_dual_mul_f32 v213, v158, v15
	v_dual_mul_f32 v3, v147, v3 :: v_dual_mul_f32 v214, v160, v17
	s_wait_loadcnt_dscnt 0xb0a
	v_dual_mul_f32 v215, v162, v19 :: v_dual_fmac_f32 v22, v147, v2
	s_wait_loadcnt_dscnt 0x302
	v_mul_f32_e32 v232, v196, v141
	v_fma_f32 v3, v146, v2, -v3
	s_wait_loadcnt_dscnt 0x100
	v_mul_f32_e32 v235, v206, v203
	v_mul_f32_e32 v2, v151, v7
	v_fmac_f32_e32 v208, v149, v4
	v_fma_f32 v4, v148, v4, -v5
	v_add_f32_e32 v3, 0, v3
	v_dual_add_f32 v5, 0, v22 :: v_dual_fmac_f32 v210, v153, v8
	v_fmac_f32_e32 v209, v151, v6
	v_fma_f32 v2, v150, v6, -v2
	s_delay_alu instid0(VALU_DEP_4) | instskip(SKIP_3) | instid1(VALU_DEP_4)
	v_add_f32_e32 v3, v3, v4
	v_mul_f32_e32 v7, v153, v9
	v_dual_add_f32 v4, v5, v208 :: v_dual_fmac_f32 v211, v155, v10
	v_fmac_f32_e32 v212, v157, v12
	v_add_f32_e32 v2, v3, v2
	s_delay_alu instid0(VALU_DEP_4)
	v_fma_f32 v6, v152, v8, -v7
	v_mul_f32_e32 v5, v155, v11
	v_add_f32_e32 v3, v4, v209
	v_dual_mul_f32 v4, v157, v13 :: v_dual_fmac_f32 v213, v159, v14
	v_fmac_f32_e32 v214, v161, v16
	v_add_f32_e32 v2, v2, v6
	v_fma_f32 v5, v154, v10, -v5
	v_mul_f32_e32 v6, v159, v15
	v_add_f32_e32 v3, v3, v210
	v_fma_f32 v4, v156, v12, -v4
	v_dual_mul_f32 v216, v164, v21 :: v_dual_mul_f32 v217, v166, v111
	s_delay_alu instid0(VALU_DEP_3) | instskip(SKIP_3) | instid1(VALU_DEP_4)
	v_dual_add_f32 v2, v2, v5 :: v_dual_add_f32 v3, v3, v211
	v_mul_f32_e32 v5, v161, v17
	v_fma_f32 v6, v158, v14, -v6
	v_dual_mul_f32 v218, v168, v113 :: v_dual_mul_f32 v219, v170, v115
	v_add_f32_e32 v2, v2, v4
	v_add_f32_e32 v3, v3, v212
	v_mul_f32_e32 v4, v163, v19
	v_fma_f32 v5, v160, v16, -v5
	v_fmac_f32_e32 v215, v163, v18
	s_delay_alu instid0(VALU_DEP_4) | instskip(SKIP_3) | instid1(VALU_DEP_4)
	v_dual_add_f32 v2, v2, v6 :: v_dual_add_f32 v3, v3, v213
	v_fmac_f32_e32 v216, v165, v20
	v_mul_f32_e32 v6, v165, v21
	v_fma_f32 v4, v162, v18, -v4
	v_dual_add_f32 v2, v2, v5 :: v_dual_add_f32 v3, v3, v214
	v_mul_f32_e32 v5, v167, v111
	s_delay_alu instid0(VALU_DEP_4) | instskip(SKIP_1) | instid1(VALU_DEP_4)
	v_fma_f32 v6, v164, v20, -v6
	v_dual_fmac_f32 v217, v167, v110 :: v_dual_fmac_f32 v218, v169, v112
	v_dual_add_f32 v2, v2, v4 :: v_dual_add_f32 v3, v3, v215
	v_mul_f32_e32 v4, v169, v113
	v_fma_f32 v5, v166, v110, -v5
	v_fmac_f32_e32 v219, v171, v114
	s_delay_alu instid0(VALU_DEP_4) | instskip(SKIP_3) | instid1(VALU_DEP_4)
	v_dual_add_f32 v2, v2, v6 :: v_dual_add_f32 v3, v3, v216
	v_mul_f32_e32 v6, v171, v115
	v_fma_f32 v4, v168, v112, -v4
	v_dual_mul_f32 v220, v172, v117 :: v_dual_mul_f32 v221, v174, v119
	v_add_f32_e32 v2, v2, v5
	v_add_f32_e32 v3, v3, v217
	v_mul_f32_e32 v5, v173, v117
	v_fma_f32 v6, v170, v114, -v6
	v_fmac_f32_e32 v220, v173, v116
	s_delay_alu instid0(VALU_DEP_4) | instskip(SKIP_3) | instid1(VALU_DEP_4)
	v_dual_add_f32 v2, v2, v4 :: v_dual_add_f32 v3, v3, v218
	v_mul_f32_e32 v4, v175, v119
	v_fma_f32 v5, v172, v116, -v5
	v_dual_mul_f32 v222, v176, v121 :: v_dual_mul_f32 v223, v178, v123
	v_dual_add_f32 v2, v2, v6 :: v_dual_add_f32 v3, v3, v219
	v_dual_mul_f32 v6, v177, v121 :: v_dual_fmac_f32 v221, v175, v118
	v_fma_f32 v4, v174, v118, -v4
	s_delay_alu instid0(VALU_DEP_3) | instskip(SKIP_3) | instid1(VALU_DEP_4)
	v_dual_add_f32 v2, v2, v5 :: v_dual_add_f32 v3, v3, v220
	v_dual_mul_f32 v224, v180, v125 :: v_dual_mul_f32 v225, v182, v127
	v_dual_mul_f32 v5, v179, v123 :: v_dual_fmac_f32 v222, v177, v120
	v_fma_f32 v6, v176, v120, -v6
	v_dual_add_f32 v2, v2, v4 :: v_dual_add_f32 v3, v3, v221
	v_dual_mul_f32 v4, v181, v125 :: v_dual_fmac_f32 v223, v179, v122
	s_delay_alu instid0(VALU_DEP_4) | instskip(NEXT) | instid1(VALU_DEP_3)
	v_fma_f32 v5, v178, v122, -v5
	v_dual_fmac_f32 v224, v181, v124 :: v_dual_add_f32 v3, v3, v222
	s_delay_alu instid0(VALU_DEP_4) | instskip(SKIP_3) | instid1(VALU_DEP_4)
	v_add_f32_e32 v2, v2, v6
	v_mul_f32_e32 v6, v183, v127
	v_fma_f32 v4, v180, v124, -v4
	v_dual_mul_f32 v226, v184, v129 :: v_dual_mul_f32 v227, v186, v131
	v_dual_add_f32 v3, v3, v223 :: v_dual_add_f32 v2, v2, v5
	v_fmac_f32_e32 v225, v183, v126
	v_mul_f32_e32 v5, v185, v129
	v_fma_f32 v6, v182, v126, -v6
	s_delay_alu instid0(VALU_DEP_4) | instskip(SKIP_4) | instid1(VALU_DEP_4)
	v_add_f32_e32 v3, v3, v224
	v_add_f32_e32 v2, v2, v4
	v_mul_f32_e32 v4, v187, v131
	v_dual_fmac_f32 v226, v185, v128 :: v_dual_fmac_f32 v227, v187, v130
	v_fma_f32 v5, v184, v128, -v5
	v_dual_add_f32 v3, v3, v225 :: v_dual_add_f32 v2, v2, v6
	v_dual_mul_f32 v228, v188, v133 :: v_dual_mul_f32 v229, v190, v135
	s_delay_alu instid0(VALU_DEP_2) | instskip(SKIP_1) | instid1(VALU_DEP_4)
	v_dual_mul_f32 v6, v189, v133 :: v_dual_add_f32 v3, v3, v226
	v_fma_f32 v4, v186, v130, -v4
	v_dual_add_f32 v2, v2, v5 :: v_dual_mul_f32 v5, v191, v135
	s_delay_alu instid0(VALU_DEP_3) | instskip(NEXT) | instid1(VALU_DEP_4)
	v_dual_fmac_f32 v228, v189, v132 :: v_dual_add_f32 v3, v3, v227
	v_fma_f32 v6, v188, v132, -v6
	s_delay_alu instid0(VALU_DEP_3) | instskip(SKIP_1) | instid1(VALU_DEP_4)
	v_dual_add_f32 v2, v2, v4 :: v_dual_fmac_f32 v229, v191, v134
	v_dual_mul_f32 v230, v192, v137 :: v_dual_mul_f32 v231, v194, v139
	v_dual_mul_f32 v4, v193, v137 :: v_dual_add_f32 v3, v3, v228
	v_fma_f32 v5, v190, v134, -v5
	s_delay_alu instid0(VALU_DEP_4)
	v_add_f32_e32 v2, v2, v6
	v_mul_f32_e32 v6, v195, v139
	v_dual_fmac_f32 v230, v193, v136 :: v_dual_fmac_f32 v231, v195, v138
	v_fma_f32 v4, v192, v136, -v4
	v_add_f32_e32 v3, v3, v229
	v_add_f32_e32 v2, v2, v5
	v_dual_mul_f32 v233, v198, v143 :: v_dual_mul_f32 v234, v200, v145
	v_mul_f32_e32 v5, v197, v141
	v_fma_f32 v6, v194, v138, -v6
	s_delay_alu instid0(VALU_DEP_4) | instskip(SKIP_3) | instid1(VALU_DEP_4)
	v_dual_add_f32 v3, v3, v230 :: v_dual_add_f32 v2, v2, v4
	v_mul_f32_e32 v4, v199, v143
	v_dual_fmac_f32 v232, v197, v140 :: v_dual_fmac_f32 v233, v199, v142
	v_fma_f32 v5, v196, v140, -v5
	v_dual_add_f32 v3, v3, v231 :: v_dual_add_f32 v2, v2, v6
	v_mul_f32_e32 v6, v201, v145
	v_fma_f32 v4, v198, v142, -v4
	v_fmac_f32_e32 v235, v207, v202
	s_delay_alu instid0(VALU_DEP_4) | instskip(SKIP_2) | instid1(VALU_DEP_3)
	v_dual_add_f32 v3, v3, v232 :: v_dual_add_f32 v2, v2, v5
	v_dual_mul_f32 v5, v207, v203 :: v_dual_fmac_f32 v234, v201, v144
	v_fma_f32 v6, v200, v144, -v6
	v_dual_add_f32 v3, v3, v233 :: v_dual_add_f32 v2, v2, v4
	s_delay_alu instid0(VALU_DEP_3) | instskip(NEXT) | instid1(VALU_DEP_2)
	v_fma_f32 v4, v206, v202, -v5
	v_add_f32_e32 v3, v3, v234
	s_delay_alu instid0(VALU_DEP_1) | instskip(SKIP_1) | instid1(VALU_DEP_1)
	v_dual_add_f32 v2, v2, v6 :: v_dual_add_f32 v3, v3, v235
	s_wait_loadcnt 0x0
	v_dual_add_f32 v2, v2, v4 :: v_dual_sub_f32 v3, v205, v3
	s_delay_alu instid0(VALU_DEP_1)
	v_sub_f32_e32 v2, v204, v2
	scratch_store_b64 off, v[2:3], off offset:104
	v_cmpx_lt_u32_e32 12, v0
	s_cbranch_execz .LBB42_247
; %bb.246:
	scratch_load_b64 v[3:4], off, off offset:96
	v_mov_b32_e32 v2, v1
	scratch_store_b64 off, v[1:2], off offset:96
	s_wait_loadcnt 0x0
	ds_store_b64 v23, v[3:4]
.LBB42_247:
	s_wait_alu 0xfffe
	s_or_b32 exec_lo, exec_lo, s0
	s_wait_storecnt_dscnt 0x0
	s_barrier_signal -1
	s_barrier_wait -1
	global_inv scope:SCOPE_SE
	s_clause 0xf
	scratch_load_b128 v[2:5], off, off offset:104
	scratch_load_b128 v[6:9], off, off offset:120
	;; [unrolled: 1-line block ×15, first 2 shown]
	scratch_load_b64 v[210:211], off, off offset:96
	ds_load_2addr_b64 v[150:153], v1 offset0:57 offset1:58
	ds_load_2addr_b64 v[154:157], v1 offset0:59 offset1:60
	;; [unrolled: 1-line block ×15, first 2 shown]
	s_mov_b32 s0, exec_lo
	s_wait_loadcnt_dscnt 0xf0e
	v_dual_mul_f32 v1, v150, v3 :: v_dual_mul_f32 v22, v152, v5
	v_mul_f32_e32 v3, v151, v3
	s_wait_loadcnt_dscnt 0xe0d
	v_dual_mul_f32 v5, v153, v5 :: v_dual_mul_f32 v212, v154, v7
	s_delay_alu instid0(VALU_DEP_3) | instskip(NEXT) | instid1(VALU_DEP_3)
	v_dual_mul_f32 v213, v156, v9 :: v_dual_fmac_f32 v22, v153, v4
	v_fma_f32 v3, v150, v2, -v3
	v_fmac_f32_e32 v1, v151, v2
	v_mul_f32_e32 v2, v155, v7
	v_fma_f32 v4, v152, v4, -v5
	s_delay_alu instid0(VALU_DEP_4)
	v_dual_fmac_f32 v212, v155, v6 :: v_dual_add_f32 v3, 0, v3
	s_wait_loadcnt_dscnt 0xb0a
	v_dual_mul_f32 v218, v166, v19 :: v_dual_mul_f32 v219, v168, v21
	v_fma_f32 v2, v154, v6, -v2
	v_dual_mul_f32 v214, v158, v11 :: v_dual_mul_f32 v215, v160, v13
	v_add_f32_e32 v3, v3, v4
	v_dual_mul_f32 v5, v157, v9 :: v_dual_mul_f32 v216, v162, v15
	v_dual_mul_f32 v217, v164, v17 :: v_dual_mul_f32 v4, v159, v11
	s_delay_alu instid0(VALU_DEP_3) | instskip(NEXT) | instid1(VALU_DEP_3)
	v_add_f32_e32 v2, v3, v2
	v_fma_f32 v5, v156, v8, -v5
	v_dual_mul_f32 v3, v161, v13 :: v_dual_fmac_f32 v218, v167, v18
	s_delay_alu instid0(VALU_DEP_4) | instskip(SKIP_1) | instid1(VALU_DEP_4)
	v_fma_f32 v4, v158, v10, -v4
	v_dual_fmac_f32 v213, v157, v8 :: v_dual_fmac_f32 v214, v159, v10
	v_add_f32_e32 v2, v2, v5
	v_add_f32_e32 v1, 0, v1
	v_fma_f32 v3, v160, v12, -v3
	v_fmac_f32_e32 v216, v163, v14
	s_wait_loadcnt_dscnt 0xa09
	v_dual_mul_f32 v220, v170, v111 :: v_dual_mul_f32 v221, v172, v113
	v_dual_add_f32 v1, v1, v22 :: v_dual_add_f32 v2, v2, v4
	v_mul_f32_e32 v4, v165, v17
	s_wait_loadcnt_dscnt 0x807
	v_dual_mul_f32 v224, v178, v119 :: v_dual_mul_f32 v225, v180, v121
	s_delay_alu instid0(VALU_DEP_3) | instskip(NEXT) | instid1(VALU_DEP_3)
	v_dual_add_f32 v1, v1, v212 :: v_dual_add_f32 v2, v2, v3
	v_fma_f32 v4, v164, v16, -v4
	v_mul_f32_e32 v5, v163, v15
	v_dual_mul_f32 v222, v174, v115 :: v_dual_mul_f32 v223, v176, v117
	s_wait_loadcnt_dscnt 0x504
	v_dual_add_f32 v1, v1, v213 :: v_dual_mul_f32 v230, v190, v131
	v_mul_f32_e32 v231, v192, v133
	v_fma_f32 v5, v162, v14, -v5
	v_fmac_f32_e32 v215, v161, v12
	s_delay_alu instid0(VALU_DEP_4)
	v_add_f32_e32 v1, v1, v214
	v_fmac_f32_e32 v220, v171, v110
	v_dual_mul_f32 v226, v182, v123 :: v_dual_mul_f32 v227, v184, v125
	v_add_f32_e32 v2, v2, v5
	v_dual_fmac_f32 v222, v175, v114 :: v_dual_fmac_f32 v221, v173, v112
	v_dual_mul_f32 v228, v186, v127 :: v_dual_mul_f32 v229, v188, v129
	s_delay_alu instid0(VALU_DEP_3) | instskip(SKIP_2) | instid1(VALU_DEP_4)
	v_add_f32_e32 v2, v2, v4
	v_mul_f32_e32 v4, v171, v111
	v_add_f32_e32 v1, v1, v215
	v_dual_fmac_f32 v223, v177, v116 :: v_dual_fmac_f32 v228, v187, v126
	s_wait_loadcnt_dscnt 0x201
	v_dual_mul_f32 v236, v202, v143 :: v_dual_mul_f32 v237, v204, v145
	v_fma_f32 v4, v170, v110, -v4
	v_mul_f32_e32 v5, v169, v21
	v_dual_add_f32 v1, v1, v216 :: v_dual_fmac_f32 v224, v179, v118
	v_dual_fmac_f32 v225, v181, v120 :: v_dual_mul_f32 v232, v194, v135
	v_mul_f32_e32 v233, v196, v137
	s_delay_alu instid0(VALU_DEP_4) | instskip(SKIP_4) | instid1(VALU_DEP_3)
	v_fma_f32 v5, v168, v20, -v5
	v_mul_f32_e32 v3, v167, v19
	s_wait_loadcnt_dscnt 0x100
	v_dual_mul_f32 v238, v206, v147 :: v_dual_mul_f32 v239, v208, v149
	v_dual_mul_f32 v234, v198, v139 :: v_dual_mul_f32 v235, v200, v141
	v_fma_f32 v3, v166, v18, -v3
	v_fmac_f32_e32 v217, v165, v16
	v_fmac_f32_e32 v231, v193, v132
	;; [unrolled: 1-line block ×3, first 2 shown]
	s_delay_alu instid0(VALU_DEP_4) | instskip(SKIP_3) | instid1(VALU_DEP_4)
	v_dual_fmac_f32 v235, v201, v140 :: v_dual_add_f32 v2, v2, v3
	v_mul_f32_e32 v3, v173, v113
	v_dual_fmac_f32 v239, v209, v148 :: v_dual_fmac_f32 v230, v191, v130
	v_fmac_f32_e32 v226, v183, v122
	v_dual_add_f32 v2, v2, v5 :: v_dual_mul_f32 v5, v175, v115
	s_delay_alu instid0(VALU_DEP_4) | instskip(SKIP_2) | instid1(VALU_DEP_4)
	v_fma_f32 v3, v172, v112, -v3
	v_fmac_f32_e32 v236, v203, v142
	v_fmac_f32_e32 v232, v195, v134
	v_dual_add_f32 v2, v2, v4 :: v_dual_add_f32 v1, v1, v217
	v_mul_f32_e32 v4, v177, v117
	v_fma_f32 v5, v174, v114, -v5
	v_fmac_f32_e32 v238, v207, v146
	s_delay_alu instid0(VALU_DEP_4) | instskip(NEXT) | instid1(VALU_DEP_4)
	v_dual_add_f32 v2, v2, v3 :: v_dual_fmac_f32 v219, v169, v20
	v_fma_f32 v4, v176, v116, -v4
	v_fmac_f32_e32 v234, v199, v138
	s_delay_alu instid0(VALU_DEP_3) | instskip(SKIP_1) | instid1(VALU_DEP_2)
	v_add_f32_e32 v2, v2, v5
	v_mul_f32_e32 v5, v181, v121
	v_dual_add_f32 v1, v1, v218 :: v_dual_add_f32 v2, v2, v4
	s_delay_alu instid0(VALU_DEP_2) | instskip(SKIP_1) | instid1(VALU_DEP_3)
	v_fma_f32 v5, v180, v120, -v5
	v_mul_f32_e32 v3, v179, v119
	v_add_f32_e32 v1, v1, v219
	v_mul_f32_e32 v4, v183, v123
	s_delay_alu instid0(VALU_DEP_3) | instskip(NEXT) | instid1(VALU_DEP_3)
	v_fma_f32 v3, v178, v118, -v3
	v_add_f32_e32 v1, v1, v220
	s_delay_alu instid0(VALU_DEP_3) | instskip(NEXT) | instid1(VALU_DEP_3)
	v_fma_f32 v4, v182, v122, -v4
	v_add_f32_e32 v2, v2, v3
	s_delay_alu instid0(VALU_DEP_1) | instskip(NEXT) | instid1(VALU_DEP_4)
	v_add_f32_e32 v2, v2, v5
	v_add_f32_e32 v1, v1, v221
	s_delay_alu instid0(VALU_DEP_2) | instskip(SKIP_1) | instid1(VALU_DEP_2)
	v_dual_mul_f32 v5, v187, v127 :: v_dual_add_f32 v2, v2, v4
	v_mul_f32_e32 v4, v189, v129
	v_fma_f32 v5, v186, v126, -v5
	s_delay_alu instid0(VALU_DEP_2) | instskip(SKIP_1) | instid1(VALU_DEP_1)
	v_fma_f32 v4, v188, v128, -v4
	v_mul_f32_e32 v3, v185, v125
	v_fma_f32 v3, v184, v124, -v3
	s_delay_alu instid0(VALU_DEP_1) | instskip(NEXT) | instid1(VALU_DEP_1)
	v_dual_add_f32 v1, v1, v222 :: v_dual_add_f32 v2, v2, v3
	v_add_f32_e32 v1, v1, v223
	s_delay_alu instid0(VALU_DEP_2) | instskip(SKIP_1) | instid1(VALU_DEP_2)
	v_dual_mul_f32 v3, v191, v131 :: v_dual_add_f32 v2, v2, v5
	v_mul_f32_e32 v5, v193, v133
	v_fma_f32 v3, v190, v130, -v3
	s_delay_alu instid0(VALU_DEP_3) | instskip(SKIP_1) | instid1(VALU_DEP_4)
	v_add_f32_e32 v2, v2, v4
	v_dual_add_f32 v1, v1, v224 :: v_dual_mul_f32 v4, v195, v135
	v_fma_f32 v5, v192, v132, -v5
	s_delay_alu instid0(VALU_DEP_2) | instskip(SKIP_3) | instid1(VALU_DEP_4)
	v_dual_add_f32 v2, v2, v3 :: v_dual_add_f32 v1, v1, v225
	v_fmac_f32_e32 v227, v185, v124
	v_mul_f32_e32 v3, v197, v137
	v_fma_f32 v4, v194, v134, -v4
	v_dual_add_f32 v2, v2, v5 :: v_dual_add_f32 v1, v1, v226
	v_mul_f32_e32 v5, v199, v139
	s_delay_alu instid0(VALU_DEP_4) | instskip(NEXT) | instid1(VALU_DEP_3)
	v_fma_f32 v3, v196, v136, -v3
	v_dual_add_f32 v2, v2, v4 :: v_dual_add_f32 v1, v1, v227
	v_fmac_f32_e32 v229, v189, v128
	v_mul_f32_e32 v4, v201, v141
	v_fma_f32 v5, v198, v138, -v5
	s_delay_alu instid0(VALU_DEP_4) | instskip(SKIP_1) | instid1(VALU_DEP_4)
	v_dual_add_f32 v2, v2, v3 :: v_dual_add_f32 v1, v1, v228
	v_mul_f32_e32 v3, v203, v143
	v_fma_f32 v4, v200, v140, -v4
	s_delay_alu instid0(VALU_DEP_3) | instskip(NEXT) | instid1(VALU_DEP_4)
	v_add_f32_e32 v2, v2, v5
	v_add_f32_e32 v1, v1, v229
	v_mul_f32_e32 v5, v205, v145
	v_fma_f32 v3, v202, v142, -v3
	s_delay_alu instid0(VALU_DEP_3) | instskip(SKIP_1) | instid1(VALU_DEP_4)
	v_dual_add_f32 v2, v2, v4 :: v_dual_add_f32 v1, v1, v230
	v_mul_f32_e32 v4, v207, v147
	v_fma_f32 v5, v204, v144, -v5
	s_delay_alu instid0(VALU_DEP_3) | instskip(NEXT) | instid1(VALU_DEP_4)
	v_add_f32_e32 v2, v2, v3
	v_add_f32_e32 v1, v1, v231
	v_mul_f32_e32 v3, v209, v149
	v_fma_f32 v4, v206, v146, -v4
	s_delay_alu instid0(VALU_DEP_3) | instskip(NEXT) | instid1(VALU_DEP_3)
	v_dual_add_f32 v2, v2, v5 :: v_dual_add_f32 v1, v1, v232
	v_fma_f32 v3, v208, v148, -v3
	s_delay_alu instid0(VALU_DEP_2) | instskip(NEXT) | instid1(VALU_DEP_1)
	v_add_f32_e32 v2, v2, v4
	v_dual_fmac_f32 v233, v197, v136 :: v_dual_add_f32 v2, v2, v3
	s_delay_alu instid0(VALU_DEP_1) | instskip(NEXT) | instid1(VALU_DEP_1)
	v_add_f32_e32 v1, v1, v233
	v_add_f32_e32 v1, v1, v234
	s_delay_alu instid0(VALU_DEP_1) | instskip(NEXT) | instid1(VALU_DEP_1)
	v_add_f32_e32 v1, v1, v235
	v_add_f32_e32 v1, v1, v236
	;; [unrolled: 3-line block ×3, first 2 shown]
	s_delay_alu instid0(VALU_DEP_1) | instskip(SKIP_1) | instid1(VALU_DEP_1)
	v_add_f32_e32 v3, v1, v239
	s_wait_loadcnt 0x0
	v_dual_sub_f32 v1, v210, v2 :: v_dual_sub_f32 v2, v211, v3
	scratch_store_b64 off, v[1:2], off offset:96
	v_cmpx_lt_u32_e32 11, v0
	s_cbranch_execz .LBB42_249
; %bb.248:
	scratch_load_b64 v[1:2], off, off offset:88
	v_mov_b32_e32 v3, 0
	s_delay_alu instid0(VALU_DEP_1)
	v_mov_b32_e32 v4, v3
	scratch_store_b64 off, v[3:4], off offset:88
	s_wait_loadcnt 0x0
	ds_store_b64 v23, v[1:2]
.LBB42_249:
	s_wait_alu 0xfffe
	s_or_b32 exec_lo, exec_lo, s0
	s_wait_storecnt_dscnt 0x0
	s_barrier_signal -1
	s_barrier_wait -1
	global_inv scope:SCOPE_SE
	s_clause 0x10
	scratch_load_b128 v[2:5], off, off offset:96
	scratch_load_b128 v[6:9], off, off offset:112
	;; [unrolled: 1-line block ×15, first 2 shown]
	scratch_load_b64 v[210:211], off, off offset:336
	scratch_load_b64 v[212:213], off, off offset:88
	v_mov_b32_e32 v1, 0
	ds_load_b128 v[150:153], v1 offset:448
	ds_load_b128 v[154:157], v1 offset:464
	;; [unrolled: 1-line block ×15, first 2 shown]
	ds_load_b64 v[214:215], v1 offset:688
	s_mov_b32 s0, exec_lo
	s_wait_loadcnt_dscnt 0x100f
	v_mul_f32_e32 v22, v150, v3
	s_wait_loadcnt_dscnt 0xf0e
	v_dual_mul_f32 v216, v152, v5 :: v_dual_mul_f32 v217, v154, v7
	v_mul_f32_e32 v5, v153, v5
	s_wait_loadcnt_dscnt 0xe0d
	v_dual_mul_f32 v218, v156, v9 :: v_dual_mul_f32 v219, v158, v11
	s_wait_loadcnt_dscnt 0xd0c
	v_dual_mul_f32 v220, v160, v13 :: v_dual_mul_f32 v221, v162, v15
	;; [unrolled: 2-line block ×3, first 2 shown]
	v_mul_f32_e32 v3, v151, v3
	v_fmac_f32_e32 v22, v151, v2
	v_dual_fmac_f32 v219, v159, v10 :: v_dual_fmac_f32 v220, v161, v12
	s_wait_loadcnt_dscnt 0x100
	v_dual_mul_f32 v242, v204, v145 :: v_dual_mul_f32 v245, v214, v211
	v_fma_f32 v3, v150, v2, -v3
	v_mul_f32_e32 v2, v155, v7
	v_fmac_f32_e32 v216, v153, v4
	v_fma_f32 v4, v152, v4, -v5
	v_dual_add_f32 v5, 0, v22 :: v_dual_fmac_f32 v218, v157, v8
	v_add_f32_e32 v3, 0, v3
	v_fmac_f32_e32 v217, v155, v6
	v_fma_f32 v2, v154, v6, -v2
	v_dual_fmac_f32 v221, v163, v14 :: v_dual_fmac_f32 v222, v165, v16
	s_delay_alu instid0(VALU_DEP_4) | instskip(SKIP_3) | instid1(VALU_DEP_4)
	v_add_f32_e32 v3, v3, v4
	v_mul_f32_e32 v7, v157, v9
	v_add_f32_e32 v4, v5, v216
	v_dual_mul_f32 v224, v168, v21 :: v_dual_mul_f32 v225, v170, v111
	v_add_f32_e32 v2, v3, v2
	s_delay_alu instid0(VALU_DEP_4)
	v_fma_f32 v6, v156, v8, -v7
	v_mul_f32_e32 v5, v159, v11
	v_add_f32_e32 v3, v4, v217
	v_mul_f32_e32 v4, v161, v13
	v_dual_mul_f32 v226, v172, v113 :: v_dual_mul_f32 v227, v174, v115
	v_add_f32_e32 v2, v2, v6
	v_fma_f32 v5, v158, v10, -v5
	v_mul_f32_e32 v6, v163, v15
	v_add_f32_e32 v3, v3, v218
	v_fma_f32 v4, v160, v12, -v4
	v_dual_fmac_f32 v225, v171, v110 :: v_dual_fmac_f32 v226, v173, v112
	s_delay_alu instid0(VALU_DEP_3) | instskip(SKIP_2) | instid1(VALU_DEP_3)
	v_dual_add_f32 v2, v2, v5 :: v_dual_add_f32 v3, v3, v219
	v_mul_f32_e32 v5, v165, v17
	v_fma_f32 v6, v162, v14, -v6
	v_dual_fmac_f32 v223, v167, v18 :: v_dual_add_f32 v2, v2, v4
	s_delay_alu instid0(VALU_DEP_4) | instskip(SKIP_3) | instid1(VALU_DEP_4)
	v_add_f32_e32 v3, v3, v220
	v_mul_f32_e32 v4, v167, v19
	v_fma_f32 v5, v164, v16, -v5
	v_fmac_f32_e32 v224, v169, v20
	v_dual_add_f32 v2, v2, v6 :: v_dual_add_f32 v3, v3, v221
	v_mul_f32_e32 v6, v169, v21
	v_fma_f32 v4, v166, v18, -v4
	v_dual_mul_f32 v228, v176, v117 :: v_dual_mul_f32 v229, v178, v119
	s_delay_alu instid0(VALU_DEP_4) | instskip(SKIP_3) | instid1(VALU_DEP_4)
	v_dual_add_f32 v2, v2, v5 :: v_dual_add_f32 v3, v3, v222
	v_mul_f32_e32 v5, v171, v111
	v_fma_f32 v6, v168, v20, -v6
	v_dual_mul_f32 v230, v180, v121 :: v_dual_mul_f32 v231, v182, v123
	v_dual_add_f32 v2, v2, v4 :: v_dual_add_f32 v3, v3, v223
	v_mul_f32_e32 v4, v173, v113
	v_fma_f32 v5, v170, v110, -v5
	v_fmac_f32_e32 v227, v175, v114
	s_delay_alu instid0(VALU_DEP_4) | instskip(SKIP_3) | instid1(VALU_DEP_4)
	v_dual_add_f32 v2, v2, v6 :: v_dual_add_f32 v3, v3, v224
	v_mul_f32_e32 v6, v175, v115
	v_fma_f32 v4, v172, v112, -v4
	v_fmac_f32_e32 v228, v177, v116
	v_add_f32_e32 v2, v2, v5
	v_add_f32_e32 v3, v3, v225
	v_mul_f32_e32 v5, v177, v117
	v_fma_f32 v6, v174, v114, -v6
	s_delay_alu instid0(VALU_DEP_4) | instskip(NEXT) | instid1(VALU_DEP_4)
	v_dual_fmac_f32 v229, v179, v118 :: v_dual_add_f32 v2, v2, v4
	v_add_f32_e32 v3, v3, v226
	v_mul_f32_e32 v4, v179, v119
	v_fma_f32 v5, v176, v116, -v5
	v_fmac_f32_e32 v230, v181, v120
	s_delay_alu instid0(VALU_DEP_4) | instskip(SKIP_3) | instid1(VALU_DEP_4)
	v_dual_add_f32 v2, v2, v6 :: v_dual_add_f32 v3, v3, v227
	v_mul_f32_e32 v6, v181, v121
	v_fma_f32 v4, v178, v118, -v4
	v_dual_mul_f32 v232, v184, v125 :: v_dual_mul_f32 v233, v186, v127
	v_dual_add_f32 v2, v2, v5 :: v_dual_add_f32 v3, v3, v228
	v_mul_f32_e32 v5, v183, v123
	v_fma_f32 v6, v180, v120, -v6
	s_delay_alu instid0(VALU_DEP_3) | instskip(NEXT) | instid1(VALU_DEP_4)
	v_dual_fmac_f32 v231, v183, v122 :: v_dual_add_f32 v2, v2, v4
	v_add_f32_e32 v3, v3, v229
	v_mul_f32_e32 v4, v185, v125
	v_fma_f32 v5, v182, v122, -v5
	v_fmac_f32_e32 v232, v185, v124
	v_dual_mul_f32 v234, v188, v129 :: v_dual_mul_f32 v235, v190, v131
	v_add_f32_e32 v3, v3, v230
	v_add_f32_e32 v2, v2, v6
	v_mul_f32_e32 v6, v187, v127
	v_fma_f32 v4, v184, v124, -v4
	v_fmac_f32_e32 v233, v187, v126
	s_delay_alu instid0(VALU_DEP_4) | instskip(NEXT) | instid1(VALU_DEP_4)
	v_dual_add_f32 v3, v3, v231 :: v_dual_add_f32 v2, v2, v5
	v_fma_f32 v6, v186, v126, -v6
	v_mul_f32_e32 v5, v189, v129
	v_dual_fmac_f32 v234, v189, v128 :: v_dual_fmac_f32 v235, v191, v130
	s_delay_alu instid0(VALU_DEP_4) | instskip(SKIP_3) | instid1(VALU_DEP_4)
	v_add_f32_e32 v3, v3, v232
	v_add_f32_e32 v2, v2, v4
	v_dual_mul_f32 v236, v192, v133 :: v_dual_mul_f32 v237, v194, v135
	v_mul_f32_e32 v4, v191, v131
	v_add_f32_e32 v3, v3, v233
	v_fma_f32 v5, v188, v128, -v5
	v_add_f32_e32 v2, v2, v6
	v_mul_f32_e32 v6, v193, v133
	v_fma_f32 v4, v190, v130, -v4
	v_dual_add_f32 v3, v3, v234 :: v_dual_fmac_f32 v236, v193, v132
	s_delay_alu instid0(VALU_DEP_4) | instskip(SKIP_1) | instid1(VALU_DEP_3)
	v_dual_add_f32 v2, v2, v5 :: v_dual_mul_f32 v5, v195, v135
	v_dual_mul_f32 v238, v196, v137 :: v_dual_mul_f32 v239, v198, v139
	v_add_f32_e32 v3, v3, v235
	v_fma_f32 v6, v192, v132, -v6
	s_delay_alu instid0(VALU_DEP_4) | instskip(NEXT) | instid1(VALU_DEP_3)
	v_dual_add_f32 v2, v2, v4 :: v_dual_fmac_f32 v237, v195, v134
	v_dual_mul_f32 v4, v197, v137 :: v_dual_add_f32 v3, v3, v236
	v_fma_f32 v5, v194, v134, -v5
	s_delay_alu instid0(VALU_DEP_3) | instskip(SKIP_1) | instid1(VALU_DEP_4)
	v_add_f32_e32 v2, v2, v6
	v_dual_fmac_f32 v238, v197, v136 :: v_dual_fmac_f32 v239, v199, v138
	v_add_f32_e32 v3, v3, v237
	v_dual_mul_f32 v240, v200, v141 :: v_dual_mul_f32 v241, v202, v143
	v_mul_f32_e32 v6, v199, v139
	v_fma_f32 v4, v196, v136, -v4
	s_delay_alu instid0(VALU_DEP_4) | instskip(SKIP_1) | instid1(VALU_DEP_4)
	v_dual_add_f32 v2, v2, v5 :: v_dual_add_f32 v3, v3, v238
	v_mul_f32_e32 v5, v201, v141
	v_fma_f32 v6, v198, v138, -v6
	v_dual_fmac_f32 v240, v201, v140 :: v_dual_fmac_f32 v241, v203, v142
	s_delay_alu instid0(VALU_DEP_4) | instskip(SKIP_3) | instid1(VALU_DEP_4)
	v_dual_add_f32 v2, v2, v4 :: v_dual_add_f32 v3, v3, v239
	v_mul_f32_e32 v4, v203, v143
	v_fma_f32 v5, v200, v140, -v5
	v_dual_mul_f32 v243, v206, v147 :: v_dual_mul_f32 v244, v208, v149
	v_dual_add_f32 v2, v2, v6 :: v_dual_add_f32 v3, v3, v240
	s_delay_alu instid0(VALU_DEP_4) | instskip(SKIP_2) | instid1(VALU_DEP_4)
	v_fma_f32 v4, v202, v142, -v4
	v_fmac_f32_e32 v242, v205, v144
	v_mul_f32_e32 v6, v205, v145
	v_dual_add_f32 v2, v2, v5 :: v_dual_fmac_f32 v243, v207, v146
	v_add_f32_e32 v3, v3, v241
	v_mul_f32_e32 v5, v207, v147
	s_delay_alu instid0(VALU_DEP_4) | instskip(NEXT) | instid1(VALU_DEP_4)
	v_fma_f32 v6, v204, v144, -v6
	v_add_f32_e32 v2, v2, v4
	v_dual_fmac_f32 v244, v209, v148 :: v_dual_fmac_f32 v245, v215, v210
	v_dual_add_f32 v3, v3, v242 :: v_dual_mul_f32 v4, v209, v149
	v_fma_f32 v5, v206, v146, -v5
	s_delay_alu instid0(VALU_DEP_2) | instskip(SKIP_1) | instid1(VALU_DEP_4)
	v_dual_add_f32 v3, v3, v243 :: v_dual_add_f32 v2, v2, v6
	v_mul_f32_e32 v6, v215, v211
	v_fma_f32 v4, v208, v148, -v4
	s_delay_alu instid0(VALU_DEP_3) | instskip(NEXT) | instid1(VALU_DEP_1)
	v_add_f32_e32 v3, v3, v244
	v_add_f32_e32 v3, v3, v245
	;; [unrolled: 1-line block ×3, first 2 shown]
	v_fma_f32 v5, v214, v210, -v6
	s_wait_loadcnt 0x0
	s_delay_alu instid0(VALU_DEP_2) | instskip(NEXT) | instid1(VALU_DEP_1)
	v_dual_sub_f32 v3, v213, v3 :: v_dual_add_f32 v2, v2, v4
	v_add_f32_e32 v2, v2, v5
	s_delay_alu instid0(VALU_DEP_1)
	v_sub_f32_e32 v2, v212, v2
	scratch_store_b64 off, v[2:3], off offset:88
	v_cmpx_lt_u32_e32 10, v0
	s_cbranch_execz .LBB42_251
; %bb.250:
	scratch_load_b64 v[3:4], off, off offset:80
	v_mov_b32_e32 v2, v1
	scratch_store_b64 off, v[1:2], off offset:80
	s_wait_loadcnt 0x0
	ds_store_b64 v23, v[3:4]
.LBB42_251:
	s_wait_alu 0xfffe
	s_or_b32 exec_lo, exec_lo, s0
	s_wait_storecnt_dscnt 0x0
	s_barrier_signal -1
	s_barrier_wait -1
	global_inv scope:SCOPE_SE
	s_clause 0x10
	scratch_load_b128 v[2:5], off, off offset:88
	scratch_load_b128 v[6:9], off, off offset:104
	;; [unrolled: 1-line block ×16, first 2 shown]
	scratch_load_b64 v[218:219], off, off offset:80
	ds_load_2addr_b64 v[154:157], v1 offset0:55 offset1:56
	ds_load_2addr_b64 v[158:161], v1 offset0:57 offset1:58
	;; [unrolled: 1-line block ×16, first 2 shown]
	s_mov_b32 s0, exec_lo
	s_wait_loadcnt_dscnt 0x100f
	v_dual_mul_f32 v1, v154, v3 :: v_dual_mul_f32 v22, v156, v5
	v_mul_f32_e32 v3, v155, v3
	s_wait_loadcnt_dscnt 0xf0e
	v_dual_mul_f32 v5, v157, v5 :: v_dual_mul_f32 v220, v158, v7
	s_delay_alu instid0(VALU_DEP_3) | instskip(NEXT) | instid1(VALU_DEP_3)
	v_dual_mul_f32 v221, v160, v9 :: v_dual_fmac_f32 v22, v157, v4
	v_fma_f32 v3, v154, v2, -v3
	v_fmac_f32_e32 v1, v155, v2
	v_mul_f32_e32 v2, v159, v7
	v_fma_f32 v4, v156, v4, -v5
	s_delay_alu instid0(VALU_DEP_4)
	v_dual_fmac_f32 v220, v159, v6 :: v_dual_add_f32 v3, 0, v3
	s_wait_loadcnt_dscnt 0xc0b
	v_dual_mul_f32 v226, v170, v19 :: v_dual_mul_f32 v227, v172, v21
	v_fma_f32 v2, v158, v6, -v2
	v_dual_mul_f32 v222, v162, v11 :: v_dual_mul_f32 v223, v164, v13
	v_add_f32_e32 v3, v3, v4
	v_dual_mul_f32 v5, v161, v9 :: v_dual_mul_f32 v224, v166, v15
	v_dual_mul_f32 v225, v168, v17 :: v_dual_mul_f32 v4, v163, v11
	s_delay_alu instid0(VALU_DEP_3) | instskip(NEXT) | instid1(VALU_DEP_3)
	v_add_f32_e32 v2, v3, v2
	v_fma_f32 v5, v160, v8, -v5
	v_dual_mul_f32 v3, v165, v13 :: v_dual_fmac_f32 v226, v171, v18
	s_delay_alu instid0(VALU_DEP_4) | instskip(SKIP_1) | instid1(VALU_DEP_4)
	v_fma_f32 v4, v162, v10, -v4
	v_dual_fmac_f32 v221, v161, v8 :: v_dual_fmac_f32 v222, v163, v10
	v_add_f32_e32 v2, v2, v5
	v_add_f32_e32 v1, 0, v1
	v_fma_f32 v3, v164, v12, -v3
	v_fmac_f32_e32 v224, v167, v14
	s_wait_loadcnt_dscnt 0xb0a
	v_dual_mul_f32 v228, v174, v111 :: v_dual_mul_f32 v229, v176, v113
	v_dual_add_f32 v1, v1, v22 :: v_dual_add_f32 v2, v2, v4
	v_mul_f32_e32 v4, v169, v17
	s_wait_loadcnt_dscnt 0x908
	v_dual_mul_f32 v232, v182, v119 :: v_dual_mul_f32 v233, v184, v121
	s_delay_alu instid0(VALU_DEP_3) | instskip(NEXT) | instid1(VALU_DEP_3)
	v_dual_add_f32 v1, v1, v220 :: v_dual_add_f32 v2, v2, v3
	v_fma_f32 v4, v168, v16, -v4
	v_mul_f32_e32 v5, v167, v15
	v_dual_mul_f32 v230, v178, v115 :: v_dual_mul_f32 v231, v180, v117
	s_wait_loadcnt_dscnt 0x605
	v_dual_add_f32 v1, v1, v221 :: v_dual_mul_f32 v238, v194, v131
	v_mul_f32_e32 v239, v196, v133
	v_fma_f32 v5, v166, v14, -v5
	v_fmac_f32_e32 v223, v165, v12
	s_delay_alu instid0(VALU_DEP_4)
	v_add_f32_e32 v1, v1, v222
	v_fmac_f32_e32 v228, v175, v110
	v_dual_mul_f32 v234, v186, v123 :: v_dual_mul_f32 v235, v188, v125
	v_add_f32_e32 v2, v2, v5
	v_dual_fmac_f32 v230, v179, v114 :: v_dual_fmac_f32 v229, v177, v112
	v_dual_mul_f32 v236, v190, v127 :: v_dual_mul_f32 v237, v192, v129
	s_delay_alu instid0(VALU_DEP_3) | instskip(SKIP_2) | instid1(VALU_DEP_4)
	v_add_f32_e32 v2, v2, v4
	v_mul_f32_e32 v4, v175, v111
	v_add_f32_e32 v1, v1, v223
	v_dual_fmac_f32 v231, v181, v116 :: v_dual_fmac_f32 v236, v191, v126
	s_wait_loadcnt_dscnt 0x302
	v_dual_mul_f32 v244, v206, v143 :: v_dual_mul_f32 v245, v208, v145
	v_fma_f32 v4, v174, v110, -v4
	v_mul_f32_e32 v5, v173, v21
	v_dual_add_f32 v1, v1, v224 :: v_dual_fmac_f32 v232, v183, v118
	v_dual_fmac_f32 v233, v185, v120 :: v_dual_mul_f32 v240, v198, v135
	v_mul_f32_e32 v241, v200, v137
	s_delay_alu instid0(VALU_DEP_4) | instskip(SKIP_4) | instid1(VALU_DEP_3)
	v_fma_f32 v5, v172, v20, -v5
	v_mul_f32_e32 v3, v171, v19
	s_wait_loadcnt_dscnt 0x201
	v_dual_mul_f32 v246, v210, v147 :: v_dual_mul_f32 v247, v212, v149
	v_dual_mul_f32 v242, v202, v139 :: v_dual_mul_f32 v243, v204, v141
	v_fma_f32 v3, v170, v18, -v3
	v_fmac_f32_e32 v225, v169, v16
	s_wait_loadcnt_dscnt 0x100
	v_dual_fmac_f32 v239, v197, v132 :: v_dual_mul_f32 v248, v214, v151
	s_delay_alu instid0(VALU_DEP_3) | instskip(SKIP_1) | instid1(VALU_DEP_3)
	v_dual_mul_f32 v249, v216, v153 :: v_dual_add_f32 v2, v2, v3
	v_mul_f32_e32 v3, v177, v113
	v_dual_fmac_f32 v241, v201, v136 :: v_dual_fmac_f32 v248, v215, v150
	s_delay_alu instid0(VALU_DEP_3) | instskip(SKIP_1) | instid1(VALU_DEP_4)
	v_dual_fmac_f32 v245, v209, v144 :: v_dual_add_f32 v2, v2, v5
	v_mul_f32_e32 v5, v179, v115
	v_fma_f32 v3, v176, v112, -v3
	v_dual_fmac_f32 v238, v195, v130 :: v_dual_fmac_f32 v247, v213, v148
	s_delay_alu instid0(VALU_DEP_4) | instskip(SKIP_3) | instid1(VALU_DEP_4)
	v_dual_add_f32 v2, v2, v4 :: v_dual_add_f32 v1, v1, v225
	v_mul_f32_e32 v4, v181, v117
	v_fma_f32 v5, v178, v114, -v5
	v_fmac_f32_e32 v234, v187, v122
	v_dual_add_f32 v2, v2, v3 :: v_dual_fmac_f32 v227, v173, v20
	s_delay_alu instid0(VALU_DEP_4) | instskip(SKIP_1) | instid1(VALU_DEP_3)
	v_fma_f32 v4, v180, v116, -v4
	v_dual_fmac_f32 v249, v217, v152 :: v_dual_fmac_f32 v244, v207, v142
	v_add_f32_e32 v2, v2, v5
	v_mul_f32_e32 v5, v185, v121
	v_add_f32_e32 v1, v1, v226
	v_fmac_f32_e32 v240, v199, v134
	v_fmac_f32_e32 v246, v211, v146
	v_add_f32_e32 v2, v2, v4
	v_fma_f32 v5, v184, v120, -v5
	v_mul_f32_e32 v3, v183, v119
	v_add_f32_e32 v1, v1, v227
	v_mul_f32_e32 v4, v187, v123
	v_fmac_f32_e32 v242, v203, v138
	s_delay_alu instid0(VALU_DEP_4) | instskip(NEXT) | instid1(VALU_DEP_4)
	v_fma_f32 v3, v182, v118, -v3
	v_add_f32_e32 v1, v1, v228
	s_delay_alu instid0(VALU_DEP_4) | instskip(NEXT) | instid1(VALU_DEP_3)
	v_fma_f32 v4, v186, v122, -v4
	v_add_f32_e32 v2, v2, v3
	s_delay_alu instid0(VALU_DEP_1) | instskip(NEXT) | instid1(VALU_DEP_4)
	v_add_f32_e32 v2, v2, v5
	v_add_f32_e32 v1, v1, v229
	s_delay_alu instid0(VALU_DEP_2) | instskip(SKIP_1) | instid1(VALU_DEP_2)
	v_dual_mul_f32 v5, v191, v127 :: v_dual_add_f32 v2, v2, v4
	v_mul_f32_e32 v4, v193, v129
	v_fma_f32 v5, v190, v126, -v5
	s_delay_alu instid0(VALU_DEP_2) | instskip(SKIP_1) | instid1(VALU_DEP_1)
	v_fma_f32 v4, v192, v128, -v4
	v_mul_f32_e32 v3, v189, v125
	v_fma_f32 v3, v188, v124, -v3
	s_delay_alu instid0(VALU_DEP_1) | instskip(NEXT) | instid1(VALU_DEP_1)
	v_dual_add_f32 v1, v1, v230 :: v_dual_add_f32 v2, v2, v3
	v_add_f32_e32 v1, v1, v231
	s_delay_alu instid0(VALU_DEP_2) | instskip(SKIP_1) | instid1(VALU_DEP_2)
	v_dual_mul_f32 v3, v195, v131 :: v_dual_add_f32 v2, v2, v5
	v_mul_f32_e32 v5, v197, v133
	v_fma_f32 v3, v194, v130, -v3
	s_delay_alu instid0(VALU_DEP_3) | instskip(SKIP_1) | instid1(VALU_DEP_4)
	v_add_f32_e32 v2, v2, v4
	v_dual_add_f32 v1, v1, v232 :: v_dual_mul_f32 v4, v199, v135
	v_fma_f32 v5, v196, v132, -v5
	s_delay_alu instid0(VALU_DEP_2) | instskip(SKIP_3) | instid1(VALU_DEP_4)
	v_dual_add_f32 v2, v2, v3 :: v_dual_add_f32 v1, v1, v233
	v_fmac_f32_e32 v235, v189, v124
	v_mul_f32_e32 v3, v201, v137
	v_fma_f32 v4, v198, v134, -v4
	v_dual_add_f32 v2, v2, v5 :: v_dual_add_f32 v1, v1, v234
	v_mul_f32_e32 v5, v203, v139
	s_delay_alu instid0(VALU_DEP_4) | instskip(NEXT) | instid1(VALU_DEP_3)
	v_fma_f32 v3, v200, v136, -v3
	v_dual_add_f32 v2, v2, v4 :: v_dual_add_f32 v1, v1, v235
	v_fmac_f32_e32 v237, v193, v128
	v_mul_f32_e32 v4, v205, v141
	v_fma_f32 v5, v202, v138, -v5
	s_delay_alu instid0(VALU_DEP_4) | instskip(SKIP_1) | instid1(VALU_DEP_4)
	v_dual_add_f32 v2, v2, v3 :: v_dual_add_f32 v1, v1, v236
	v_mul_f32_e32 v3, v207, v143
	v_fma_f32 v4, v204, v140, -v4
	s_delay_alu instid0(VALU_DEP_3) | instskip(NEXT) | instid1(VALU_DEP_4)
	v_add_f32_e32 v2, v2, v5
	v_add_f32_e32 v1, v1, v237
	v_mul_f32_e32 v5, v209, v145
	v_fma_f32 v3, v206, v142, -v3
	s_delay_alu instid0(VALU_DEP_3) | instskip(SKIP_1) | instid1(VALU_DEP_4)
	v_dual_add_f32 v2, v2, v4 :: v_dual_add_f32 v1, v1, v238
	v_mul_f32_e32 v4, v211, v147
	v_fma_f32 v5, v208, v144, -v5
	s_delay_alu instid0(VALU_DEP_3) | instskip(NEXT) | instid1(VALU_DEP_4)
	v_add_f32_e32 v2, v2, v3
	v_add_f32_e32 v1, v1, v239
	v_mul_f32_e32 v3, v213, v149
	v_fma_f32 v4, v210, v146, -v4
	s_delay_alu instid0(VALU_DEP_4) | instskip(NEXT) | instid1(VALU_DEP_3)
	v_dual_add_f32 v2, v2, v5 :: v_dual_mul_f32 v5, v215, v151
	v_fma_f32 v3, v212, v148, -v3
	s_delay_alu instid0(VALU_DEP_2) | instskip(SKIP_3) | instid1(VALU_DEP_4)
	v_add_f32_e32 v2, v2, v4
	v_add_f32_e32 v1, v1, v240
	v_mul_f32_e32 v4, v217, v153
	v_fma_f32 v5, v214, v150, -v5
	v_dual_add_f32 v2, v2, v3 :: v_dual_fmac_f32 v243, v205, v140
	s_delay_alu instid0(VALU_DEP_3) | instskip(NEXT) | instid1(VALU_DEP_2)
	v_fma_f32 v3, v216, v152, -v4
	v_add_f32_e32 v2, v2, v5
	s_delay_alu instid0(VALU_DEP_1) | instskip(NEXT) | instid1(VALU_DEP_1)
	v_dual_add_f32 v1, v1, v241 :: v_dual_add_f32 v2, v2, v3
	v_add_f32_e32 v1, v1, v242
	s_delay_alu instid0(VALU_DEP_1) | instskip(NEXT) | instid1(VALU_DEP_1)
	v_add_f32_e32 v1, v1, v243
	v_add_f32_e32 v1, v1, v244
	s_delay_alu instid0(VALU_DEP_1) | instskip(NEXT) | instid1(VALU_DEP_1)
	v_add_f32_e32 v1, v1, v245
	;; [unrolled: 3-line block ×3, first 2 shown]
	v_add_f32_e32 v1, v1, v248
	s_delay_alu instid0(VALU_DEP_1) | instskip(SKIP_1) | instid1(VALU_DEP_1)
	v_add_f32_e32 v3, v1, v249
	s_wait_loadcnt 0x0
	v_dual_sub_f32 v1, v218, v2 :: v_dual_sub_f32 v2, v219, v3
	scratch_store_b64 off, v[1:2], off offset:80
	v_cmpx_lt_u32_e32 9, v0
	s_cbranch_execz .LBB42_253
; %bb.252:
	scratch_load_b64 v[1:2], off, off offset:72
	v_mov_b32_e32 v3, 0
	s_delay_alu instid0(VALU_DEP_1)
	v_mov_b32_e32 v4, v3
	scratch_store_b64 off, v[3:4], off offset:72
	s_wait_loadcnt 0x0
	ds_store_b64 v23, v[1:2]
.LBB42_253:
	s_wait_alu 0xfffe
	s_or_b32 exec_lo, exec_lo, s0
	s_wait_storecnt_dscnt 0x0
	s_barrier_signal -1
	s_barrier_wait -1
	global_inv scope:SCOPE_SE
	s_clause 0x4
	scratch_load_b128 v[5:8], off, off offset:80
	scratch_load_b128 v[1:4], off, off offset:96
	;; [unrolled: 1-line block ×5, first 2 shown]
	v_mov_b32_e32 v21, 0
	ds_load_b128 v[110:113], v21 offset:432
	ds_load_b128 v[114:117], v21 offset:448
	;; [unrolled: 1-line block ×3, first 2 shown]
	scratch_load_b64 v[122:123], off, off offset:72
	s_mov_b32 s0, exec_lo
	s_wait_loadcnt_dscnt 0x502
	v_mul_f32_e32 v22, v111, v6
	v_dual_mul_f32 v124, v110, v6 :: v_dual_mul_f32 v125, v112, v8
	v_mul_f32_e32 v6, v113, v8
	s_delay_alu instid0(VALU_DEP_3) | instskip(NEXT) | instid1(VALU_DEP_3)
	v_fma_f32 v22, v110, v5, -v22
	v_dual_fmac_f32 v124, v111, v5 :: v_dual_fmac_f32 v125, v113, v7
	s_wait_loadcnt_dscnt 0x401
	v_mul_f32_e32 v111, v114, v2
	v_fma_f32 v110, v112, v7, -v6
	ds_load_b128 v[5:8], v21 offset:480
	s_wait_loadcnt_dscnt 0x301
	v_dual_mul_f32 v112, v116, v4 :: v_dual_mul_f32 v113, v118, v10
	v_dual_mul_f32 v4, v117, v4 :: v_dual_fmac_f32 v111, v115, v1
	v_mul_f32_e32 v10, v119, v10
	s_delay_alu instid0(VALU_DEP_3)
	v_dual_mul_f32 v126, v120, v12 :: v_dual_fmac_f32 v113, v119, v9
	v_mul_f32_e32 v12, v121, v12
	v_mul_f32_e32 v2, v115, v2
	v_fmac_f32_e32 v112, v117, v3
	v_fma_f32 v115, v116, v3, -v4
	v_fma_f32 v116, v118, v9, -v10
	v_fmac_f32_e32 v126, v121, v11
	v_fma_f32 v117, v120, v11, -v12
	ds_load_b128 v[9:12], v21 offset:496
	s_wait_loadcnt_dscnt 0x201
	v_dual_mul_f32 v119, v7, v16 :: v_dual_mul_f32 v118, v5, v14
	v_mul_f32_e32 v14, v6, v14
	v_mul_f32_e32 v16, v8, v16
	s_delay_alu instid0(VALU_DEP_3)
	v_fmac_f32_e32 v119, v8, v15
	v_fma_f32 v114, v114, v1, -v2
	scratch_load_b128 v[1:4], off, off offset:160
	v_fmac_f32_e32 v118, v6, v13
	v_fma_f32 v13, v5, v13, -v14
	v_fma_f32 v14, v7, v15, -v16
	ds_load_b128 v[5:8], v21 offset:512
	s_wait_loadcnt_dscnt 0x201
	v_mul_f32_e32 v15, v9, v18
	v_mul_f32_e32 v16, v10, v18
	;; [unrolled: 1-line block ×3, first 2 shown]
	s_delay_alu instid0(VALU_DEP_3) | instskip(NEXT) | instid1(VALU_DEP_3)
	v_dual_mul_f32 v20, v12, v20 :: v_dual_fmac_f32 v15, v10, v17
	v_fma_f32 v16, v9, v17, -v16
	s_delay_alu instid0(VALU_DEP_3) | instskip(NEXT) | instid1(VALU_DEP_3)
	v_fmac_f32_e32 v18, v12, v19
	v_fma_f32 v17, v11, v19, -v20
	scratch_load_b128 v[9:12], off, off offset:176
	s_wait_loadcnt_dscnt 0x100
	v_mul_f32_e32 v19, v5, v2
	v_mul_f32_e32 v2, v6, v2
	v_mul_f32_e32 v20, v7, v4
	s_delay_alu instid0(VALU_DEP_3) | instskip(NEXT) | instid1(VALU_DEP_3)
	v_dual_mul_f32 v4, v8, v4 :: v_dual_fmac_f32 v19, v6, v1
	v_fma_f32 v120, v5, v1, -v2
	s_delay_alu instid0(VALU_DEP_3) | instskip(NEXT) | instid1(VALU_DEP_3)
	v_fmac_f32_e32 v20, v8, v3
	v_fma_f32 v121, v7, v3, -v4
	ds_load_b128 v[1:4], v21 offset:528
	ds_load_b128 v[5:8], v21 offset:544
	s_wait_loadcnt_dscnt 0x1
	v_mul_f32_e32 v127, v1, v10
	v_mul_f32_e32 v10, v2, v10
	s_delay_alu instid0(VALU_DEP_2) | instskip(NEXT) | instid1(VALU_DEP_2)
	v_dual_mul_f32 v128, v3, v12 :: v_dual_fmac_f32 v127, v2, v9
	v_fma_f32 v129, v1, v9, -v10
	v_mul_f32_e32 v1, v4, v12
	s_delay_alu instid0(VALU_DEP_3) | instskip(NEXT) | instid1(VALU_DEP_2)
	v_fmac_f32_e32 v128, v4, v11
	v_fma_f32 v130, v3, v11, -v1
	s_clause 0x1
	scratch_load_b128 v[1:4], off, off offset:192
	scratch_load_b128 v[9:12], off, off offset:208
	s_wait_loadcnt_dscnt 0x100
	v_mul_f32_e32 v131, v5, v2
	v_dual_mul_f32 v2, v6, v2 :: v_dual_mul_f32 v133, v7, v4
	s_delay_alu instid0(VALU_DEP_2) | instskip(NEXT) | instid1(VALU_DEP_2)
	v_fmac_f32_e32 v131, v6, v1
	v_fma_f32 v132, v5, v1, -v2
	v_mul_f32_e32 v1, v8, v4
	s_delay_alu instid0(VALU_DEP_4) | instskip(NEXT) | instid1(VALU_DEP_2)
	v_fmac_f32_e32 v133, v8, v3
	v_fma_f32 v134, v7, v3, -v1
	ds_load_b128 v[1:4], v21 offset:560
	ds_load_b128 v[5:8], v21 offset:576
	s_wait_loadcnt_dscnt 0x1
	v_mul_f32_e32 v135, v1, v10
	v_mul_f32_e32 v137, v3, v12
	s_delay_alu instid0(VALU_DEP_2) | instskip(NEXT) | instid1(VALU_DEP_2)
	v_fmac_f32_e32 v135, v2, v9
	v_dual_mul_f32 v2, v2, v10 :: v_dual_fmac_f32 v137, v4, v11
	s_delay_alu instid0(VALU_DEP_1) | instskip(SKIP_1) | instid1(VALU_DEP_1)
	v_fma_f32 v136, v1, v9, -v2
	v_mul_f32_e32 v1, v4, v12
	v_fma_f32 v138, v3, v11, -v1
	s_clause 0x1
	scratch_load_b128 v[1:4], off, off offset:224
	scratch_load_b128 v[9:12], off, off offset:240
	s_wait_loadcnt_dscnt 0x100
	v_mul_f32_e32 v139, v5, v2
	v_dual_mul_f32 v141, v7, v4 :: v_dual_mul_f32 v2, v6, v2
	s_delay_alu instid0(VALU_DEP_2) | instskip(NEXT) | instid1(VALU_DEP_2)
	v_fmac_f32_e32 v139, v6, v1
	v_fmac_f32_e32 v141, v8, v3
	s_delay_alu instid0(VALU_DEP_3) | instskip(SKIP_1) | instid1(VALU_DEP_1)
	v_fma_f32 v140, v5, v1, -v2
	v_mul_f32_e32 v1, v8, v4
	v_fma_f32 v142, v7, v3, -v1
	ds_load_b128 v[1:4], v21 offset:592
	ds_load_b128 v[5:8], v21 offset:608
	s_wait_loadcnt_dscnt 0x1
	v_mul_f32_e32 v143, v1, v10
	v_mul_f32_e32 v145, v3, v12
	s_delay_alu instid0(VALU_DEP_2) | instskip(NEXT) | instid1(VALU_DEP_2)
	v_fmac_f32_e32 v143, v2, v9
	v_dual_mul_f32 v2, v2, v10 :: v_dual_fmac_f32 v145, v4, v11
	s_delay_alu instid0(VALU_DEP_1) | instskip(SKIP_1) | instid1(VALU_DEP_1)
	v_fma_f32 v144, v1, v9, -v2
	v_mul_f32_e32 v1, v4, v12
	v_fma_f32 v146, v3, v11, -v1
	s_clause 0x1
	scratch_load_b128 v[1:4], off, off offset:256
	scratch_load_b128 v[9:12], off, off offset:272
	s_wait_loadcnt_dscnt 0x100
	v_mul_f32_e32 v147, v5, v2
	v_mul_f32_e32 v2, v6, v2
	s_delay_alu instid0(VALU_DEP_1) | instskip(SKIP_1) | instid1(VALU_DEP_1)
	v_fma_f32 v148, v5, v1, -v2
	v_add_f32_e32 v2, 0, v124
	v_add_f32_e32 v2, v2, v125
	s_delay_alu instid0(VALU_DEP_1) | instskip(NEXT) | instid1(VALU_DEP_1)
	v_add_f32_e32 v2, v2, v111
	v_add_f32_e32 v2, v2, v112
	v_mul_f32_e32 v149, v7, v4
	v_fmac_f32_e32 v147, v6, v1
	s_delay_alu instid0(VALU_DEP_2) | instskip(NEXT) | instid1(VALU_DEP_1)
	v_dual_add_f32 v2, v2, v113 :: v_dual_fmac_f32 v149, v8, v3
	v_dual_add_f32 v2, v2, v126 :: v_dual_mul_f32 v1, v8, v4
	s_delay_alu instid0(VALU_DEP_1) | instskip(NEXT) | instid1(VALU_DEP_2)
	v_add_f32_e32 v2, v2, v118
	v_fma_f32 v150, v7, v3, -v1
	s_delay_alu instid0(VALU_DEP_2) | instskip(NEXT) | instid1(VALU_DEP_1)
	v_dual_add_f32 v1, 0, v22 :: v_dual_add_f32 v2, v2, v119
	v_add_f32_e32 v1, v1, v110
	s_delay_alu instid0(VALU_DEP_1) | instskip(NEXT) | instid1(VALU_DEP_1)
	v_add_f32_e32 v1, v1, v114
	v_add_f32_e32 v1, v1, v115
	scratch_load_b64 v[114:115], off, off offset:336
	v_add_f32_e32 v1, v1, v116
	s_delay_alu instid0(VALU_DEP_1) | instskip(NEXT) | instid1(VALU_DEP_1)
	v_add_f32_e32 v1, v1, v117
	v_add_f32_e32 v1, v1, v13
	s_delay_alu instid0(VALU_DEP_1) | instskip(NEXT) | instid1(VALU_DEP_1)
	v_add_f32_e32 v1, v1, v14
	v_add_f32_e32 v1, v1, v16
	s_delay_alu instid0(VALU_DEP_1) | instskip(SKIP_2) | instid1(VALU_DEP_1)
	v_dual_add_f32 v5, v2, v15 :: v_dual_add_f32 v6, v1, v17
	ds_load_b128 v[1:4], v21 offset:624
	v_dual_add_f32 v5, v5, v18 :: v_dual_add_f32 v6, v6, v120
	v_add_f32_e32 v13, v6, v121
	s_delay_alu instid0(VALU_DEP_1) | instskip(NEXT) | instid1(VALU_DEP_1)
	v_add_f32_e32 v13, v13, v129
	v_add_f32_e32 v13, v13, v130
	s_delay_alu instid0(VALU_DEP_1) | instskip(NEXT) | instid1(VALU_DEP_1)
	v_add_f32_e32 v13, v13, v132
	v_add_f32_e32 v18, v13, v134
	s_delay_alu instid0(VALU_DEP_1) | instskip(NEXT) | instid1(VALU_DEP_1)
	v_dual_add_f32 v5, v5, v19 :: v_dual_add_f32 v18, v18, v136
	v_add_f32_e32 v14, v5, v20
	ds_load_b128 v[5:8], v21 offset:640
	s_wait_loadcnt_dscnt 0x101
	v_mul_f32_e32 v22, v1, v10
	v_mul_f32_e32 v10, v2, v10
	;; [unrolled: 1-line block ×4, first 2 shown]
	v_add_f32_e32 v14, v14, v127
	v_fmac_f32_e32 v22, v2, v9
	v_fma_f32 v119, v1, v9, -v10
	v_fmac_f32_e32 v118, v4, v11
	v_fma_f32 v120, v3, v11, -v12
	s_clause 0x1
	scratch_load_b128 v[1:4], off, off offset:288
	scratch_load_b128 v[9:12], off, off offset:304
	v_add_f32_e32 v14, v14, v128
	v_add_f32_e32 v18, v18, v138
	s_delay_alu instid0(VALU_DEP_2) | instskip(SKIP_2) | instid1(VALU_DEP_1)
	v_add_f32_e32 v17, v14, v131
	scratch_load_b128 v[13:16], off, off offset:320
	v_dual_add_f32 v18, v18, v140 :: v_dual_add_f32 v17, v17, v133
	v_add_f32_e32 v18, v18, v142
	s_delay_alu instid0(VALU_DEP_1) | instskip(NEXT) | instid1(VALU_DEP_1)
	v_add_f32_e32 v116, v18, v144
	v_add_f32_e32 v121, v116, v146
	s_wait_loadcnt_dscnt 0x200
	v_mul_f32_e32 v125, v5, v2
	v_dual_mul_f32 v2, v6, v2 :: v_dual_add_f32 v17, v17, v135
	v_mul_f32_e32 v126, v7, v4
	v_mul_f32_e32 v4, v8, v4
	s_delay_alu instid0(VALU_DEP_3) | instskip(NEXT) | instid1(VALU_DEP_3)
	v_fma_f32 v2, v5, v1, -v2
	v_dual_add_f32 v17, v17, v137 :: v_dual_fmac_f32 v126, v8, v3
	s_delay_alu instid0(VALU_DEP_1) | instskip(NEXT) | instid1(VALU_DEP_1)
	v_add_f32_e32 v17, v17, v139
	v_add_f32_e32 v110, v17, v141
	ds_load_b128 v[17:20], v21 offset:656
	v_add_f32_e32 v117, v110, v143
	ds_load_b128 v[110:113], v21 offset:672
	v_add_f32_e32 v124, v117, v145
	ds_load_b64 v[116:117], v21 offset:688
	v_add_f32_e32 v124, v124, v147
	s_delay_alu instid0(VALU_DEP_1) | instskip(SKIP_2) | instid1(VALU_DEP_2)
	v_dual_add_f32 v124, v124, v149 :: v_dual_add_f32 v121, v121, v148
	s_wait_loadcnt_dscnt 0x102
	v_mul_f32_e32 v5, v20, v12
	v_add_f32_e32 v22, v124, v22
	s_delay_alu instid0(VALU_DEP_3) | instskip(SKIP_3) | instid1(VALU_DEP_3)
	v_dual_add_f32 v121, v121, v150 :: v_dual_mul_f32 v124, v19, v12
	v_fmac_f32_e32 v125, v6, v1
	s_wait_loadcnt_dscnt 0x1
	v_mul_f32_e32 v127, v110, v14
	v_dual_add_f32 v22, v22, v118 :: v_dual_add_f32 v119, v121, v119
	s_wait_dscnt 0x0
	v_dual_mul_f32 v121, v17, v10 :: v_dual_mul_f32 v118, v116, v115
	v_fma_f32 v1, v7, v3, -v4
	v_dual_mul_f32 v3, v18, v10 :: v_dual_fmac_f32 v124, v20, v11
	v_dual_add_f32 v119, v119, v120 :: v_dual_add_f32 v4, v22, v125
	s_delay_alu instid0(VALU_DEP_4) | instskip(NEXT) | instid1(VALU_DEP_3)
	v_dual_mul_f32 v120, v112, v16 :: v_dual_fmac_f32 v121, v18, v9
	v_fma_f32 v3, v17, v9, -v3
	s_delay_alu instid0(VALU_DEP_3) | instskip(SKIP_1) | instid1(VALU_DEP_2)
	v_add_f32_e32 v2, v119, v2
	v_fmac_f32_e32 v118, v117, v114
	v_dual_fmac_f32 v120, v113, v15 :: v_dual_add_f32 v1, v2, v1
	v_add_f32_e32 v2, v4, v126
	v_mul_f32_e32 v4, v111, v14
	v_fma_f32 v5, v19, v11, -v5
	s_delay_alu instid0(VALU_DEP_3) | instskip(SKIP_1) | instid1(VALU_DEP_4)
	v_dual_add_f32 v1, v1, v3 :: v_dual_add_f32 v2, v2, v121
	v_fmac_f32_e32 v127, v111, v13
	v_fma_f32 v4, v110, v13, -v4
	s_delay_alu instid0(VALU_DEP_3) | instskip(NEXT) | instid1(VALU_DEP_1)
	v_add_f32_e32 v2, v2, v124
	v_dual_mul_f32 v3, v113, v16 :: v_dual_add_f32 v2, v2, v127
	v_add_f32_e32 v1, v1, v5
	s_delay_alu instid0(VALU_DEP_2) | instskip(NEXT) | instid1(VALU_DEP_3)
	v_fma_f32 v3, v112, v15, -v3
	v_dual_add_f32 v2, v2, v120 :: v_dual_mul_f32 v5, v117, v115
	s_delay_alu instid0(VALU_DEP_1) | instskip(NEXT) | instid1(VALU_DEP_2)
	v_dual_add_f32 v2, v2, v118 :: v_dual_add_f32 v1, v1, v4
	v_fma_f32 v4, v116, v114, -v5
	s_delay_alu instid0(VALU_DEP_2) | instskip(NEXT) | instid1(VALU_DEP_1)
	v_dual_sub_f32 v2, v123, v2 :: v_dual_add_f32 v1, v1, v3
	v_add_f32_e32 v1, v1, v4
	s_delay_alu instid0(VALU_DEP_1)
	v_sub_f32_e32 v1, v122, v1
	scratch_store_b64 off, v[1:2], off offset:72
	v_cmpx_lt_u32_e32 8, v0
	s_cbranch_execz .LBB42_255
; %bb.254:
	scratch_load_b64 v[1:2], off, off offset:64
	v_mov_b32_e32 v22, v21
	scratch_store_b64 off, v[21:22], off offset:64
	s_wait_loadcnt 0x0
	ds_store_b64 v23, v[1:2]
.LBB42_255:
	s_wait_alu 0xfffe
	s_or_b32 exec_lo, exec_lo, s0
	s_wait_storecnt_dscnt 0x0
	s_barrier_signal -1
	s_barrier_wait -1
	global_inv scope:SCOPE_SE
	s_clause 0x4
	scratch_load_b128 v[5:8], off, off offset:72
	scratch_load_b128 v[1:4], off, off offset:88
	;; [unrolled: 1-line block ×5, first 2 shown]
	ds_load_2addr_b64 v[110:113], v21 offset0:53 offset1:54
	ds_load_2addr_b64 v[114:117], v21 offset0:55 offset1:56
	ds_load_2addr_b64 v[118:121], v21 offset0:57 offset1:58
	scratch_load_b64 v[122:123], off, off offset:64
	s_mov_b32 s0, exec_lo
	s_wait_loadcnt_dscnt 0x502
	v_dual_mul_f32 v22, v111, v6 :: v_dual_mul_f32 v125, v112, v8
	v_mul_f32_e32 v124, v110, v6
	v_mul_f32_e32 v6, v113, v8
	s_wait_loadcnt_dscnt 0x300
	v_mul_f32_e32 v126, v120, v12
	v_fma_f32 v22, v110, v5, -v22
	v_dual_fmac_f32 v125, v113, v7 :: v_dual_fmac_f32 v124, v111, v5
	v_mul_f32_e32 v113, v118, v10
	v_mul_f32_e32 v111, v114, v2
	v_fma_f32 v110, v112, v7, -v6
	ds_load_2addr_b64 v[5:8], v21 offset0:59 offset1:60
	v_mul_f32_e32 v112, v116, v4
	v_dual_mul_f32 v4, v117, v4 :: v_dual_fmac_f32 v113, v119, v9
	v_mul_f32_e32 v10, v119, v10
	v_mul_f32_e32 v12, v121, v12
	;; [unrolled: 1-line block ×3, first 2 shown]
	v_dual_fmac_f32 v111, v115, v1 :: v_dual_fmac_f32 v112, v117, v3
	v_fma_f32 v115, v116, v3, -v4
	v_fma_f32 v116, v118, v9, -v10
	v_fmac_f32_e32 v126, v121, v11
	v_fma_f32 v117, v120, v11, -v12
	ds_load_2addr_b64 v[9:12], v21 offset0:61 offset1:62
	s_wait_loadcnt_dscnt 0x201
	v_dual_mul_f32 v119, v7, v16 :: v_dual_mul_f32 v118, v5, v14
	s_delay_alu instid0(VALU_DEP_1)
	v_dual_mul_f32 v14, v6, v14 :: v_dual_fmac_f32 v119, v8, v15
	v_fma_f32 v114, v114, v1, -v2
	scratch_load_b128 v[1:4], off, off offset:152
	v_mul_f32_e32 v16, v8, v16
	v_fmac_f32_e32 v118, v6, v13
	v_fma_f32 v13, v5, v13, -v14
	s_delay_alu instid0(VALU_DEP_3)
	v_fma_f32 v14, v7, v15, -v16
	s_wait_loadcnt_dscnt 0x200
	v_mul_f32_e32 v15, v9, v18
	v_mul_f32_e32 v16, v10, v18
	;; [unrolled: 1-line block ×4, first 2 shown]
	ds_load_2addr_b64 v[5:8], v21 offset0:63 offset1:64
	v_fmac_f32_e32 v15, v10, v17
	v_fma_f32 v16, v9, v17, -v16
	v_fmac_f32_e32 v18, v12, v19
	v_fma_f32 v17, v11, v19, -v20
	scratch_load_b128 v[9:12], off, off offset:168
	s_wait_loadcnt_dscnt 0x100
	v_mul_f32_e32 v19, v5, v2
	v_mul_f32_e32 v2, v6, v2
	;; [unrolled: 1-line block ×3, first 2 shown]
	s_delay_alu instid0(VALU_DEP_3) | instskip(NEXT) | instid1(VALU_DEP_3)
	v_dual_mul_f32 v4, v8, v4 :: v_dual_fmac_f32 v19, v6, v1
	v_fma_f32 v120, v5, v1, -v2
	s_delay_alu instid0(VALU_DEP_3) | instskip(NEXT) | instid1(VALU_DEP_3)
	v_fmac_f32_e32 v20, v8, v3
	v_fma_f32 v121, v7, v3, -v4
	ds_load_2addr_b64 v[1:4], v21 offset0:65 offset1:66
	ds_load_2addr_b64 v[5:8], v21 offset0:67 offset1:68
	s_wait_loadcnt_dscnt 0x1
	v_mul_f32_e32 v127, v1, v10
	v_mul_f32_e32 v10, v2, v10
	s_delay_alu instid0(VALU_DEP_2) | instskip(NEXT) | instid1(VALU_DEP_2)
	v_dual_mul_f32 v128, v3, v12 :: v_dual_fmac_f32 v127, v2, v9
	v_fma_f32 v129, v1, v9, -v10
	v_mul_f32_e32 v1, v4, v12
	s_delay_alu instid0(VALU_DEP_3) | instskip(NEXT) | instid1(VALU_DEP_2)
	v_fmac_f32_e32 v128, v4, v11
	v_fma_f32 v130, v3, v11, -v1
	s_clause 0x1
	scratch_load_b128 v[1:4], off, off offset:184
	scratch_load_b128 v[9:12], off, off offset:200
	s_wait_loadcnt_dscnt 0x100
	v_mul_f32_e32 v131, v5, v2
	v_dual_mul_f32 v2, v6, v2 :: v_dual_mul_f32 v133, v7, v4
	s_delay_alu instid0(VALU_DEP_2) | instskip(NEXT) | instid1(VALU_DEP_2)
	v_fmac_f32_e32 v131, v6, v1
	v_fma_f32 v132, v5, v1, -v2
	v_mul_f32_e32 v1, v8, v4
	s_delay_alu instid0(VALU_DEP_4) | instskip(NEXT) | instid1(VALU_DEP_2)
	v_fmac_f32_e32 v133, v8, v3
	v_fma_f32 v134, v7, v3, -v1
	ds_load_2addr_b64 v[1:4], v21 offset0:69 offset1:70
	ds_load_2addr_b64 v[5:8], v21 offset0:71 offset1:72
	s_wait_loadcnt_dscnt 0x1
	v_mul_f32_e32 v135, v1, v10
	v_mul_f32_e32 v137, v3, v12
	s_delay_alu instid0(VALU_DEP_2) | instskip(NEXT) | instid1(VALU_DEP_2)
	v_fmac_f32_e32 v135, v2, v9
	v_dual_mul_f32 v2, v2, v10 :: v_dual_fmac_f32 v137, v4, v11
	s_delay_alu instid0(VALU_DEP_1) | instskip(SKIP_1) | instid1(VALU_DEP_1)
	v_fma_f32 v136, v1, v9, -v2
	v_mul_f32_e32 v1, v4, v12
	v_fma_f32 v138, v3, v11, -v1
	s_clause 0x1
	scratch_load_b128 v[1:4], off, off offset:216
	scratch_load_b128 v[9:12], off, off offset:232
	s_wait_loadcnt_dscnt 0x100
	v_mul_f32_e32 v139, v5, v2
	v_dual_mul_f32 v2, v6, v2 :: v_dual_mul_f32 v141, v7, v4
	s_delay_alu instid0(VALU_DEP_2) | instskip(NEXT) | instid1(VALU_DEP_2)
	v_fmac_f32_e32 v139, v6, v1
	v_fma_f32 v140, v5, v1, -v2
	v_mul_f32_e32 v1, v8, v4
	s_delay_alu instid0(VALU_DEP_4) | instskip(NEXT) | instid1(VALU_DEP_2)
	v_fmac_f32_e32 v141, v8, v3
	v_fma_f32 v142, v7, v3, -v1
	ds_load_2addr_b64 v[1:4], v21 offset0:73 offset1:74
	ds_load_2addr_b64 v[5:8], v21 offset0:75 offset1:76
	s_wait_loadcnt_dscnt 0x1
	v_mul_f32_e32 v143, v1, v10
	v_mul_f32_e32 v145, v3, v12
	s_delay_alu instid0(VALU_DEP_2) | instskip(NEXT) | instid1(VALU_DEP_2)
	v_fmac_f32_e32 v143, v2, v9
	v_dual_mul_f32 v2, v2, v10 :: v_dual_fmac_f32 v145, v4, v11
	s_delay_alu instid0(VALU_DEP_1) | instskip(SKIP_1) | instid1(VALU_DEP_1)
	v_fma_f32 v144, v1, v9, -v2
	v_mul_f32_e32 v1, v4, v12
	v_fma_f32 v146, v3, v11, -v1
	s_clause 0x1
	scratch_load_b128 v[1:4], off, off offset:248
	scratch_load_b128 v[9:12], off, off offset:264
	s_wait_loadcnt_dscnt 0x100
	v_mul_f32_e32 v147, v5, v2
	v_mul_f32_e32 v2, v6, v2
	s_delay_alu instid0(VALU_DEP_1) | instskip(SKIP_1) | instid1(VALU_DEP_1)
	v_fma_f32 v148, v5, v1, -v2
	v_add_f32_e32 v2, 0, v124
	v_add_f32_e32 v2, v2, v125
	s_delay_alu instid0(VALU_DEP_1) | instskip(SKIP_1) | instid1(VALU_DEP_2)
	v_add_f32_e32 v2, v2, v111
	v_fmac_f32_e32 v147, v6, v1
	v_add_f32_e32 v2, v2, v112
	s_delay_alu instid0(VALU_DEP_1) | instskip(NEXT) | instid1(VALU_DEP_1)
	v_dual_mul_f32 v149, v7, v4 :: v_dual_add_f32 v2, v2, v113
	v_dual_fmac_f32 v149, v8, v3 :: v_dual_add_f32 v2, v2, v126
	s_delay_alu instid0(VALU_DEP_1) | instskip(NEXT) | instid1(VALU_DEP_1)
	v_dual_mul_f32 v1, v8, v4 :: v_dual_add_f32 v2, v2, v118
	v_fma_f32 v150, v7, v3, -v1
	s_delay_alu instid0(VALU_DEP_2) | instskip(NEXT) | instid1(VALU_DEP_1)
	v_dual_add_f32 v1, 0, v22 :: v_dual_add_f32 v2, v2, v119
	v_dual_add_f32 v1, v1, v110 :: v_dual_add_f32 v2, v2, v15
	s_delay_alu instid0(VALU_DEP_1) | instskip(NEXT) | instid1(VALU_DEP_2)
	v_add_f32_e32 v1, v1, v114
	v_add_f32_e32 v5, v2, v18
	s_delay_alu instid0(VALU_DEP_2) | instskip(NEXT) | instid1(VALU_DEP_1)
	v_add_f32_e32 v1, v1, v115
	v_add_f32_e32 v1, v1, v116
	s_delay_alu instid0(VALU_DEP_1) | instskip(NEXT) | instid1(VALU_DEP_1)
	v_add_f32_e32 v1, v1, v117
	v_add_f32_e32 v1, v1, v13
	;; [unrolled: 1-line block ×3, first 2 shown]
	s_delay_alu instid0(VALU_DEP_1) | instskip(NEXT) | instid1(VALU_DEP_1)
	v_add_f32_e32 v13, v13, v20
	v_add_f32_e32 v13, v13, v127
	s_delay_alu instid0(VALU_DEP_1) | instskip(NEXT) | instid1(VALU_DEP_1)
	v_add_f32_e32 v18, v13, v128
	v_dual_add_f32 v18, v18, v131 :: v_dual_add_f32 v1, v1, v14
	s_delay_alu instid0(VALU_DEP_1) | instskip(NEXT) | instid1(VALU_DEP_1)
	v_dual_add_f32 v18, v18, v133 :: v_dual_add_f32 v1, v1, v16
	v_dual_add_f32 v110, v18, v135 :: v_dual_add_f32 v1, v1, v17
	s_delay_alu instid0(VALU_DEP_1) | instskip(NEXT) | instid1(VALU_DEP_2)
	v_add_f32_e32 v110, v110, v137
	v_add_f32_e32 v6, v1, v120
	ds_load_2addr_b64 v[1:4], v21 offset0:77 offset1:78
	v_add_f32_e32 v110, v110, v139
	v_add_f32_e32 v14, v6, v121
	scratch_load_b128 v[5:8], off, off offset:280
	v_add_f32_e32 v14, v14, v129
	s_delay_alu instid0(VALU_DEP_1)
	v_add_f32_e32 v17, v14, v130
	ds_load_2addr_b64 v[13:16], v21 offset0:79 offset1:80
	s_wait_loadcnt_dscnt 0x101
	v_mul_f32_e32 v22, v1, v10
	v_mul_f32_e32 v10, v2, v10
	v_mul_f32_e32 v114, v3, v12
	v_mul_f32_e32 v12, v4, v12
	s_delay_alu instid0(VALU_DEP_4) | instskip(NEXT) | instid1(VALU_DEP_4)
	v_fmac_f32_e32 v22, v2, v9
	v_fma_f32 v115, v1, v9, -v10
	s_delay_alu instid0(VALU_DEP_4) | instskip(NEXT) | instid1(VALU_DEP_4)
	v_fmac_f32_e32 v114, v4, v11
	v_fma_f32 v116, v3, v11, -v12
	s_clause 0x1
	scratch_load_b128 v[1:4], off, off offset:296
	scratch_load_b128 v[9:12], off, off offset:312
	s_wait_loadcnt_dscnt 0x200
	v_mul_f32_e32 v118, v15, v8
	v_add_f32_e32 v17, v17, v132
	v_mul_f32_e32 v117, v13, v6
	v_mul_f32_e32 v6, v14, v6
	;; [unrolled: 1-line block ×3, first 2 shown]
	s_delay_alu instid0(VALU_DEP_4) | instskip(NEXT) | instid1(VALU_DEP_3)
	v_dual_fmac_f32 v118, v16, v7 :: v_dual_add_f32 v17, v17, v134
	v_fma_f32 v119, v13, v5, -v6
	v_add_f32_e32 v13, v110, v141
	s_delay_alu instid0(VALU_DEP_4) | instskip(NEXT) | instid1(VALU_DEP_4)
	v_fma_f32 v120, v15, v7, -v8
	v_add_f32_e32 v17, v17, v136
	s_delay_alu instid0(VALU_DEP_1) | instskip(SKIP_2) | instid1(VALU_DEP_1)
	v_add_f32_e32 v111, v17, v138
	scratch_load_b128 v[17:20], off, off offset:328
	v_add_f32_e32 v111, v111, v140
	v_add_f32_e32 v111, v111, v142
	s_delay_alu instid0(VALU_DEP_1)
	v_dual_add_f32 v110, v111, v144 :: v_dual_fmac_f32 v117, v14, v5
	ds_load_2addr_b64 v[5:8], v21 offset0:81 offset1:82
	v_add_f32_e32 v111, v13, v143
	ds_load_2addr_b64 v[13:16], v21 offset0:83 offset1:84
	v_dual_add_f32 v121, v110, v146 :: v_dual_add_f32 v124, v111, v145
	ds_load_2addr_b64 v[110:113], v21 offset0:85 offset1:86
	v_add_f32_e32 v21, v121, v148
	s_wait_loadcnt_dscnt 0x202
	v_dual_add_f32 v121, v124, v147 :: v_dual_mul_f32 v124, v5, v2
	s_delay_alu instid0(VALU_DEP_1) | instskip(NEXT) | instid1(VALU_DEP_2)
	v_dual_mul_f32 v2, v6, v2 :: v_dual_add_f32 v121, v121, v149
	v_fmac_f32_e32 v124, v6, v1
	s_wait_loadcnt_dscnt 0x101
	v_mul_f32_e32 v6, v14, v10
	s_delay_alu instid0(VALU_DEP_3) | instskip(SKIP_2) | instid1(VALU_DEP_3)
	v_add_f32_e32 v22, v121, v22
	v_mul_f32_e32 v121, v13, v10
	v_fma_f32 v2, v5, v1, -v2
	v_add_f32_e32 v22, v22, v114
	s_delay_alu instid0(VALU_DEP_1) | instskip(SKIP_2) | instid1(VALU_DEP_1)
	v_add_f32_e32 v22, v22, v117
	s_wait_loadcnt_dscnt 0x0
	v_mul_f32_e32 v114, v110, v18
	v_dual_add_f32 v21, v21, v150 :: v_dual_fmac_f32 v114, v111, v17
	s_delay_alu instid0(VALU_DEP_1) | instskip(SKIP_2) | instid1(VALU_DEP_2)
	v_add_f32_e32 v21, v21, v115
	v_mul_f32_e32 v115, v7, v4
	v_mul_f32_e32 v4, v8, v4
	v_fmac_f32_e32 v115, v8, v3
	s_delay_alu instid0(VALU_DEP_2) | instskip(SKIP_3) | instid1(VALU_DEP_3)
	v_fma_f32 v3, v7, v3, -v4
	v_dual_mul_f32 v4, v16, v12 :: v_dual_fmac_f32 v121, v14, v9
	v_add_f32_e32 v21, v21, v116
	v_dual_mul_f32 v116, v112, v20 :: v_dual_add_f32 v5, v22, v118
	v_fma_f32 v4, v15, v11, -v4
	s_delay_alu instid0(VALU_DEP_3) | instskip(NEXT) | instid1(VALU_DEP_3)
	v_add_f32_e32 v21, v21, v119
	v_fmac_f32_e32 v116, v113, v19
	s_delay_alu instid0(VALU_DEP_2) | instskip(NEXT) | instid1(VALU_DEP_1)
	v_add_f32_e32 v1, v21, v120
	v_add_f32_e32 v1, v1, v2
	v_add_f32_e32 v2, v5, v124
	v_mul_f32_e32 v125, v15, v12
	v_fma_f32 v5, v13, v9, -v6
	s_delay_alu instid0(VALU_DEP_3) | instskip(NEXT) | instid1(VALU_DEP_1)
	v_add_f32_e32 v2, v2, v115
	v_dual_fmac_f32 v125, v16, v11 :: v_dual_add_f32 v2, v2, v121
	s_delay_alu instid0(VALU_DEP_1) | instskip(NEXT) | instid1(VALU_DEP_1)
	v_add_f32_e32 v2, v2, v125
	v_add_f32_e32 v2, v2, v114
	s_delay_alu instid0(VALU_DEP_1) | instskip(SKIP_1) | instid1(VALU_DEP_2)
	v_dual_add_f32 v2, v2, v116 :: v_dual_add_f32 v1, v1, v3
	v_mul_f32_e32 v3, v111, v18
	v_dual_sub_f32 v2, v123, v2 :: v_dual_add_f32 v1, v1, v5
	v_mul_f32_e32 v5, v113, v20
	s_delay_alu instid0(VALU_DEP_3) | instskip(NEXT) | instid1(VALU_DEP_3)
	v_fma_f32 v3, v110, v17, -v3
	v_add_f32_e32 v1, v1, v4
	s_delay_alu instid0(VALU_DEP_3) | instskip(NEXT) | instid1(VALU_DEP_2)
	v_fma_f32 v4, v112, v19, -v5
	v_add_f32_e32 v1, v1, v3
	s_delay_alu instid0(VALU_DEP_1) | instskip(NEXT) | instid1(VALU_DEP_1)
	v_add_f32_e32 v1, v1, v4
	v_sub_f32_e32 v1, v122, v1
	scratch_store_b64 off, v[1:2], off offset:64
	v_cmpx_lt_u32_e32 7, v0
	s_cbranch_execz .LBB42_257
; %bb.256:
	scratch_load_b64 v[1:2], off, off offset:56
	v_mov_b32_e32 v3, 0
	s_delay_alu instid0(VALU_DEP_1)
	v_mov_b32_e32 v4, v3
	scratch_store_b64 off, v[3:4], off offset:56
	s_wait_loadcnt 0x0
	ds_store_b64 v23, v[1:2]
.LBB42_257:
	s_wait_alu 0xfffe
	s_or_b32 exec_lo, exec_lo, s0
	s_wait_storecnt_dscnt 0x0
	s_barrier_signal -1
	s_barrier_wait -1
	global_inv scope:SCOPE_SE
	s_clause 0x4
	scratch_load_b128 v[5:8], off, off offset:64
	scratch_load_b128 v[1:4], off, off offset:80
	;; [unrolled: 1-line block ×5, first 2 shown]
	v_mov_b32_e32 v21, 0
	ds_load_b128 v[110:113], v21 offset:416
	ds_load_b128 v[114:117], v21 offset:432
	;; [unrolled: 1-line block ×3, first 2 shown]
	scratch_load_b64 v[122:123], off, off offset:56
	s_mov_b32 s0, exec_lo
	s_wait_loadcnt_dscnt 0x502
	v_mul_f32_e32 v22, v111, v6
	v_dual_mul_f32 v124, v110, v6 :: v_dual_mul_f32 v125, v112, v8
	v_mul_f32_e32 v6, v113, v8
	s_delay_alu instid0(VALU_DEP_3) | instskip(NEXT) | instid1(VALU_DEP_3)
	v_fma_f32 v22, v110, v5, -v22
	v_dual_fmac_f32 v124, v111, v5 :: v_dual_fmac_f32 v125, v113, v7
	s_wait_loadcnt_dscnt 0x401
	v_mul_f32_e32 v111, v114, v2
	v_fma_f32 v110, v112, v7, -v6
	ds_load_b128 v[5:8], v21 offset:464
	s_wait_loadcnt_dscnt 0x301
	v_dual_mul_f32 v112, v116, v4 :: v_dual_mul_f32 v113, v118, v10
	v_dual_mul_f32 v4, v117, v4 :: v_dual_fmac_f32 v111, v115, v1
	v_mul_f32_e32 v10, v119, v10
	s_delay_alu instid0(VALU_DEP_3)
	v_dual_mul_f32 v126, v120, v12 :: v_dual_fmac_f32 v113, v119, v9
	v_mul_f32_e32 v12, v121, v12
	v_mul_f32_e32 v2, v115, v2
	v_fmac_f32_e32 v112, v117, v3
	v_fma_f32 v115, v116, v3, -v4
	v_fma_f32 v116, v118, v9, -v10
	v_fmac_f32_e32 v126, v121, v11
	v_fma_f32 v117, v120, v11, -v12
	ds_load_b128 v[9:12], v21 offset:480
	s_wait_loadcnt_dscnt 0x201
	v_dual_mul_f32 v119, v7, v16 :: v_dual_mul_f32 v118, v5, v14
	v_mul_f32_e32 v14, v6, v14
	v_mul_f32_e32 v16, v8, v16
	s_delay_alu instid0(VALU_DEP_3)
	v_fmac_f32_e32 v119, v8, v15
	v_fma_f32 v114, v114, v1, -v2
	scratch_load_b128 v[1:4], off, off offset:144
	v_fmac_f32_e32 v118, v6, v13
	v_fma_f32 v13, v5, v13, -v14
	v_fma_f32 v14, v7, v15, -v16
	ds_load_b128 v[5:8], v21 offset:496
	s_wait_loadcnt_dscnt 0x201
	v_mul_f32_e32 v15, v9, v18
	v_mul_f32_e32 v16, v10, v18
	v_mul_f32_e32 v18, v11, v20
	s_delay_alu instid0(VALU_DEP_3) | instskip(NEXT) | instid1(VALU_DEP_3)
	v_dual_mul_f32 v20, v12, v20 :: v_dual_fmac_f32 v15, v10, v17
	v_fma_f32 v16, v9, v17, -v16
	s_delay_alu instid0(VALU_DEP_3) | instskip(NEXT) | instid1(VALU_DEP_3)
	v_fmac_f32_e32 v18, v12, v19
	v_fma_f32 v17, v11, v19, -v20
	scratch_load_b128 v[9:12], off, off offset:160
	s_wait_loadcnt_dscnt 0x100
	v_mul_f32_e32 v19, v5, v2
	v_mul_f32_e32 v2, v6, v2
	;; [unrolled: 1-line block ×3, first 2 shown]
	s_delay_alu instid0(VALU_DEP_3) | instskip(NEXT) | instid1(VALU_DEP_3)
	v_dual_mul_f32 v4, v8, v4 :: v_dual_fmac_f32 v19, v6, v1
	v_fma_f32 v120, v5, v1, -v2
	s_delay_alu instid0(VALU_DEP_3) | instskip(NEXT) | instid1(VALU_DEP_3)
	v_fmac_f32_e32 v20, v8, v3
	v_fma_f32 v121, v7, v3, -v4
	ds_load_b128 v[1:4], v21 offset:512
	ds_load_b128 v[5:8], v21 offset:528
	s_wait_loadcnt_dscnt 0x1
	v_mul_f32_e32 v127, v1, v10
	v_mul_f32_e32 v10, v2, v10
	s_delay_alu instid0(VALU_DEP_2) | instskip(NEXT) | instid1(VALU_DEP_2)
	v_dual_mul_f32 v128, v3, v12 :: v_dual_fmac_f32 v127, v2, v9
	v_fma_f32 v129, v1, v9, -v10
	v_mul_f32_e32 v1, v4, v12
	s_delay_alu instid0(VALU_DEP_3) | instskip(NEXT) | instid1(VALU_DEP_2)
	v_fmac_f32_e32 v128, v4, v11
	v_fma_f32 v130, v3, v11, -v1
	s_clause 0x1
	scratch_load_b128 v[1:4], off, off offset:176
	scratch_load_b128 v[9:12], off, off offset:192
	s_wait_loadcnt_dscnt 0x100
	v_mul_f32_e32 v131, v5, v2
	v_dual_mul_f32 v2, v6, v2 :: v_dual_mul_f32 v133, v7, v4
	s_delay_alu instid0(VALU_DEP_2) | instskip(NEXT) | instid1(VALU_DEP_2)
	v_fmac_f32_e32 v131, v6, v1
	v_fma_f32 v132, v5, v1, -v2
	v_mul_f32_e32 v1, v8, v4
	s_delay_alu instid0(VALU_DEP_4) | instskip(NEXT) | instid1(VALU_DEP_2)
	v_fmac_f32_e32 v133, v8, v3
	v_fma_f32 v134, v7, v3, -v1
	ds_load_b128 v[1:4], v21 offset:544
	ds_load_b128 v[5:8], v21 offset:560
	s_wait_loadcnt_dscnt 0x1
	v_mul_f32_e32 v135, v1, v10
	v_mul_f32_e32 v137, v3, v12
	s_delay_alu instid0(VALU_DEP_2) | instskip(NEXT) | instid1(VALU_DEP_2)
	v_fmac_f32_e32 v135, v2, v9
	v_dual_mul_f32 v2, v2, v10 :: v_dual_fmac_f32 v137, v4, v11
	s_delay_alu instid0(VALU_DEP_1) | instskip(SKIP_1) | instid1(VALU_DEP_1)
	v_fma_f32 v136, v1, v9, -v2
	v_mul_f32_e32 v1, v4, v12
	v_fma_f32 v138, v3, v11, -v1
	s_clause 0x1
	scratch_load_b128 v[1:4], off, off offset:208
	scratch_load_b128 v[9:12], off, off offset:224
	s_wait_loadcnt_dscnt 0x100
	v_mul_f32_e32 v139, v5, v2
	v_dual_mul_f32 v141, v7, v4 :: v_dual_mul_f32 v2, v6, v2
	s_delay_alu instid0(VALU_DEP_2) | instskip(NEXT) | instid1(VALU_DEP_2)
	v_fmac_f32_e32 v139, v6, v1
	v_fmac_f32_e32 v141, v8, v3
	s_delay_alu instid0(VALU_DEP_3) | instskip(SKIP_1) | instid1(VALU_DEP_1)
	v_fma_f32 v140, v5, v1, -v2
	v_mul_f32_e32 v1, v8, v4
	v_fma_f32 v142, v7, v3, -v1
	ds_load_b128 v[1:4], v21 offset:576
	ds_load_b128 v[5:8], v21 offset:592
	s_wait_loadcnt_dscnt 0x1
	v_mul_f32_e32 v143, v1, v10
	v_mul_f32_e32 v145, v3, v12
	s_delay_alu instid0(VALU_DEP_2) | instskip(NEXT) | instid1(VALU_DEP_2)
	v_fmac_f32_e32 v143, v2, v9
	v_dual_mul_f32 v2, v2, v10 :: v_dual_fmac_f32 v145, v4, v11
	s_delay_alu instid0(VALU_DEP_1) | instskip(SKIP_1) | instid1(VALU_DEP_1)
	v_fma_f32 v144, v1, v9, -v2
	v_mul_f32_e32 v1, v4, v12
	v_fma_f32 v146, v3, v11, -v1
	s_clause 0x1
	scratch_load_b128 v[1:4], off, off offset:240
	scratch_load_b128 v[9:12], off, off offset:256
	s_wait_loadcnt_dscnt 0x100
	v_mul_f32_e32 v147, v5, v2
	v_mul_f32_e32 v2, v6, v2
	s_delay_alu instid0(VALU_DEP_1) | instskip(SKIP_1) | instid1(VALU_DEP_1)
	v_fma_f32 v148, v5, v1, -v2
	v_add_f32_e32 v2, 0, v124
	v_add_f32_e32 v2, v2, v125
	s_delay_alu instid0(VALU_DEP_1) | instskip(NEXT) | instid1(VALU_DEP_1)
	v_add_f32_e32 v2, v2, v111
	v_add_f32_e32 v2, v2, v112
	v_mul_f32_e32 v149, v7, v4
	v_fmac_f32_e32 v147, v6, v1
	s_delay_alu instid0(VALU_DEP_2) | instskip(NEXT) | instid1(VALU_DEP_1)
	v_dual_add_f32 v2, v2, v113 :: v_dual_fmac_f32 v149, v8, v3
	v_dual_add_f32 v2, v2, v126 :: v_dual_mul_f32 v1, v8, v4
	s_delay_alu instid0(VALU_DEP_1) | instskip(NEXT) | instid1(VALU_DEP_2)
	v_add_f32_e32 v2, v2, v118
	v_fma_f32 v150, v7, v3, -v1
	s_delay_alu instid0(VALU_DEP_2) | instskip(NEXT) | instid1(VALU_DEP_1)
	v_dual_add_f32 v1, 0, v22 :: v_dual_add_f32 v2, v2, v119
	v_dual_add_f32 v1, v1, v110 :: v_dual_add_f32 v2, v2, v15
	s_delay_alu instid0(VALU_DEP_1) | instskip(NEXT) | instid1(VALU_DEP_2)
	v_add_f32_e32 v1, v1, v114
	v_add_f32_e32 v5, v2, v18
	s_delay_alu instid0(VALU_DEP_2) | instskip(SKIP_2) | instid1(VALU_DEP_1)
	v_add_f32_e32 v1, v1, v115
	scratch_load_b64 v[114:115], off, off offset:336
	v_add_f32_e32 v1, v1, v116
	v_add_f32_e32 v1, v1, v117
	s_delay_alu instid0(VALU_DEP_1) | instskip(SKIP_1) | instid1(VALU_DEP_2)
	v_add_f32_e32 v1, v1, v13
	v_add_f32_e32 v13, v5, v19
	;; [unrolled: 1-line block ×3, first 2 shown]
	s_delay_alu instid0(VALU_DEP_2) | instskip(NEXT) | instid1(VALU_DEP_2)
	v_add_f32_e32 v13, v13, v20
	v_add_f32_e32 v1, v1, v16
	s_delay_alu instid0(VALU_DEP_2) | instskip(NEXT) | instid1(VALU_DEP_2)
	v_add_f32_e32 v13, v13, v127
	v_add_f32_e32 v1, v1, v17
	;; [unrolled: 3-line block ×3, first 2 shown]
	scratch_load_b128 v[1:4], off, off offset:272
	v_add_f32_e32 v18, v18, v131
	v_add_f32_e32 v14, v6, v121
	ds_load_b128 v[5:8], v21 offset:608
	v_add_f32_e32 v18, v18, v133
	v_add_f32_e32 v14, v14, v129
	s_delay_alu instid0(VALU_DEP_2) | instskip(NEXT) | instid1(VALU_DEP_2)
	v_add_f32_e32 v110, v18, v135
	v_add_f32_e32 v17, v14, v130
	ds_load_b128 v[13:16], v21 offset:624
	v_add_f32_e32 v110, v110, v137
	s_delay_alu instid0(VALU_DEP_1)
	v_add_f32_e32 v110, v110, v139
	s_wait_loadcnt_dscnt 0x201
	v_mul_f32_e32 v22, v5, v10
	v_mul_f32_e32 v10, v6, v10
	;; [unrolled: 1-line block ×4, first 2 shown]
	v_add_f32_e32 v110, v110, v141
	v_fmac_f32_e32 v22, v6, v9
	v_fma_f32 v119, v5, v9, -v10
	v_fmac_f32_e32 v118, v8, v11
	v_fma_f32 v120, v7, v11, -v12
	s_clause 0x1
	scratch_load_b128 v[5:8], off, off offset:288
	scratch_load_b128 v[9:12], off, off offset:304
	s_wait_loadcnt_dscnt 0x200
	v_mul_f32_e32 v124, v15, v4
	v_mul_f32_e32 v4, v16, v4
	v_add_f32_e32 v17, v17, v132
	v_mul_f32_e32 v121, v13, v2
	v_mul_f32_e32 v2, v14, v2
	v_fmac_f32_e32 v124, v16, v3
	v_fma_f32 v126, v15, v3, -v4
	v_add_f32_e32 v17, v17, v134
	s_delay_alu instid0(VALU_DEP_4) | instskip(SKIP_1) | instid1(VALU_DEP_3)
	v_fma_f32 v125, v13, v1, -v2
	v_add_f32_e32 v13, v110, v143
	v_add_f32_e32 v17, v17, v136
	s_delay_alu instid0(VALU_DEP_2) | instskip(NEXT) | instid1(VALU_DEP_2)
	v_add_f32_e32 v110, v13, v145
	v_add_f32_e32 v111, v17, v138
	scratch_load_b128 v[17:20], off, off offset:320
	v_add_f32_e32 v117, v110, v147
	s_delay_alu instid0(VALU_DEP_1) | instskip(NEXT) | instid1(VALU_DEP_1)
	v_dual_add_f32 v111, v111, v140 :: v_dual_add_f32 v128, v117, v149
	v_add_f32_e32 v111, v111, v142
	s_delay_alu instid0(VALU_DEP_1)
	v_dual_add_f32 v22, v128, v22 :: v_dual_add_f32 v111, v111, v144
	v_fmac_f32_e32 v121, v14, v1
	ds_load_b128 v[1:4], v21 offset:640
	v_add_f32_e32 v22, v22, v118
	v_add_f32_e32 v14, v111, v146
	ds_load_b128 v[110:113], v21 offset:672
	v_add_f32_e32 v22, v22, v121
	v_add_f32_e32 v116, v14, v148
	ds_load_b128 v[13:16], v21 offset:656
	v_dual_add_f32 v22, v22, v124 :: v_dual_add_f32 v127, v116, v150
	ds_load_b64 v[116:117], v21 offset:688
	v_add_f32_e32 v119, v127, v119
	s_wait_loadcnt_dscnt 0x203
	v_mul_f32_e32 v127, v1, v6
	v_mul_f32_e32 v6, v2, v6
	;; [unrolled: 1-line block ×3, first 2 shown]
	v_add_f32_e32 v119, v119, v120
	s_delay_alu instid0(VALU_DEP_4) | instskip(NEXT) | instid1(VALU_DEP_4)
	v_dual_mul_f32 v8, v4, v8 :: v_dual_fmac_f32 v127, v2, v5
	v_fma_f32 v1, v1, v5, -v6
	s_delay_alu instid0(VALU_DEP_4)
	v_fmac_f32_e32 v118, v4, v7
	s_wait_loadcnt_dscnt 0x101
	v_dual_mul_f32 v120, v13, v10 :: v_dual_add_f32 v119, v119, v125
	v_fma_f32 v2, v3, v7, -v8
	v_dual_add_f32 v4, v22, v127 :: v_dual_mul_f32 v121, v15, v12
	s_wait_dscnt 0x0
	s_delay_alu instid0(VALU_DEP_3) | instskip(SKIP_1) | instid1(VALU_DEP_2)
	v_dual_mul_f32 v124, v116, v115 :: v_dual_add_f32 v119, v119, v126
	v_dual_mul_f32 v5, v16, v12 :: v_dual_fmac_f32 v120, v14, v9
	v_dual_fmac_f32 v121, v16, v11 :: v_dual_fmac_f32 v124, v117, v114
	s_delay_alu instid0(VALU_DEP_3) | instskip(NEXT) | instid1(VALU_DEP_3)
	v_add_f32_e32 v1, v119, v1
	v_fma_f32 v5, v15, v11, -v5
	s_delay_alu instid0(VALU_DEP_2) | instskip(SKIP_3) | instid1(VALU_DEP_2)
	v_add_f32_e32 v1, v1, v2
	s_wait_loadcnt 0x0
	v_dual_mul_f32 v125, v110, v18 :: v_dual_mul_f32 v126, v112, v20
	v_mul_f32_e32 v3, v14, v10
	v_dual_fmac_f32 v125, v111, v17 :: v_dual_fmac_f32 v126, v113, v19
	s_delay_alu instid0(VALU_DEP_2) | instskip(SKIP_2) | instid1(VALU_DEP_2)
	v_fma_f32 v3, v13, v9, -v3
	v_add_f32_e32 v2, v4, v118
	v_mul_f32_e32 v4, v111, v18
	v_dual_add_f32 v2, v2, v120 :: v_dual_add_f32 v1, v1, v3
	v_mul_f32_e32 v3, v113, v20
	s_delay_alu instid0(VALU_DEP_3) | instskip(NEXT) | instid1(VALU_DEP_3)
	v_fma_f32 v4, v110, v17, -v4
	v_add_f32_e32 v2, v2, v121
	s_delay_alu instid0(VALU_DEP_3) | instskip(NEXT) | instid1(VALU_DEP_2)
	v_fma_f32 v3, v112, v19, -v3
	v_add_f32_e32 v2, v2, v125
	s_delay_alu instid0(VALU_DEP_1) | instskip(NEXT) | instid1(VALU_DEP_1)
	v_dual_add_f32 v1, v1, v5 :: v_dual_add_f32 v2, v2, v126
	v_dual_mul_f32 v5, v117, v115 :: v_dual_add_f32 v2, v2, v124
	s_delay_alu instid0(VALU_DEP_2) | instskip(NEXT) | instid1(VALU_DEP_2)
	v_add_f32_e32 v1, v1, v4
	v_fma_f32 v4, v116, v114, -v5
	s_delay_alu instid0(VALU_DEP_2) | instskip(NEXT) | instid1(VALU_DEP_1)
	v_dual_sub_f32 v2, v123, v2 :: v_dual_add_f32 v1, v1, v3
	v_add_f32_e32 v1, v1, v4
	s_delay_alu instid0(VALU_DEP_1)
	v_sub_f32_e32 v1, v122, v1
	scratch_store_b64 off, v[1:2], off offset:56
	v_cmpx_lt_u32_e32 6, v0
	s_cbranch_execz .LBB42_259
; %bb.258:
	scratch_load_b64 v[1:2], off, off offset:48
	v_mov_b32_e32 v22, v21
	scratch_store_b64 off, v[21:22], off offset:48
	s_wait_loadcnt 0x0
	ds_store_b64 v23, v[1:2]
.LBB42_259:
	s_wait_alu 0xfffe
	s_or_b32 exec_lo, exec_lo, s0
	s_wait_storecnt_dscnt 0x0
	s_barrier_signal -1
	s_barrier_wait -1
	global_inv scope:SCOPE_SE
	s_clause 0x4
	scratch_load_b128 v[5:8], off, off offset:56
	scratch_load_b128 v[1:4], off, off offset:72
	;; [unrolled: 1-line block ×5, first 2 shown]
	ds_load_2addr_b64 v[110:113], v21 offset0:51 offset1:52
	ds_load_2addr_b64 v[114:117], v21 offset0:53 offset1:54
	;; [unrolled: 1-line block ×3, first 2 shown]
	scratch_load_b64 v[122:123], off, off offset:48
	s_mov_b32 s0, exec_lo
	s_wait_loadcnt_dscnt 0x502
	v_dual_mul_f32 v22, v111, v6 :: v_dual_mul_f32 v125, v112, v8
	v_mul_f32_e32 v124, v110, v6
	v_mul_f32_e32 v6, v113, v8
	s_wait_loadcnt_dscnt 0x300
	v_mul_f32_e32 v126, v120, v12
	v_fma_f32 v22, v110, v5, -v22
	v_dual_fmac_f32 v125, v113, v7 :: v_dual_fmac_f32 v124, v111, v5
	v_mul_f32_e32 v113, v118, v10
	v_mul_f32_e32 v111, v114, v2
	v_fma_f32 v110, v112, v7, -v6
	ds_load_2addr_b64 v[5:8], v21 offset0:57 offset1:58
	v_mul_f32_e32 v112, v116, v4
	v_dual_mul_f32 v4, v117, v4 :: v_dual_fmac_f32 v113, v119, v9
	v_mul_f32_e32 v10, v119, v10
	v_mul_f32_e32 v12, v121, v12
	;; [unrolled: 1-line block ×3, first 2 shown]
	v_dual_fmac_f32 v111, v115, v1 :: v_dual_fmac_f32 v112, v117, v3
	v_fma_f32 v115, v116, v3, -v4
	v_fma_f32 v116, v118, v9, -v10
	v_fmac_f32_e32 v126, v121, v11
	v_fma_f32 v117, v120, v11, -v12
	ds_load_2addr_b64 v[9:12], v21 offset0:59 offset1:60
	s_wait_loadcnt_dscnt 0x201
	v_dual_mul_f32 v119, v7, v16 :: v_dual_mul_f32 v118, v5, v14
	s_delay_alu instid0(VALU_DEP_1)
	v_dual_mul_f32 v14, v6, v14 :: v_dual_fmac_f32 v119, v8, v15
	v_fma_f32 v114, v114, v1, -v2
	scratch_load_b128 v[1:4], off, off offset:136
	v_mul_f32_e32 v16, v8, v16
	v_fmac_f32_e32 v118, v6, v13
	v_fma_f32 v13, v5, v13, -v14
	s_delay_alu instid0(VALU_DEP_3)
	v_fma_f32 v14, v7, v15, -v16
	s_wait_loadcnt_dscnt 0x200
	v_mul_f32_e32 v15, v9, v18
	v_mul_f32_e32 v16, v10, v18
	;; [unrolled: 1-line block ×4, first 2 shown]
	ds_load_2addr_b64 v[5:8], v21 offset0:61 offset1:62
	v_fmac_f32_e32 v15, v10, v17
	v_fma_f32 v16, v9, v17, -v16
	v_fmac_f32_e32 v18, v12, v19
	v_fma_f32 v17, v11, v19, -v20
	scratch_load_b128 v[9:12], off, off offset:152
	s_wait_loadcnt_dscnt 0x100
	v_mul_f32_e32 v19, v5, v2
	v_mul_f32_e32 v2, v6, v2
	;; [unrolled: 1-line block ×3, first 2 shown]
	s_delay_alu instid0(VALU_DEP_3) | instskip(NEXT) | instid1(VALU_DEP_3)
	v_dual_mul_f32 v4, v8, v4 :: v_dual_fmac_f32 v19, v6, v1
	v_fma_f32 v120, v5, v1, -v2
	s_delay_alu instid0(VALU_DEP_3) | instskip(NEXT) | instid1(VALU_DEP_3)
	v_fmac_f32_e32 v20, v8, v3
	v_fma_f32 v121, v7, v3, -v4
	ds_load_2addr_b64 v[1:4], v21 offset0:63 offset1:64
	ds_load_2addr_b64 v[5:8], v21 offset0:65 offset1:66
	s_wait_loadcnt_dscnt 0x1
	v_mul_f32_e32 v127, v1, v10
	v_mul_f32_e32 v10, v2, v10
	s_delay_alu instid0(VALU_DEP_2) | instskip(NEXT) | instid1(VALU_DEP_2)
	v_dual_mul_f32 v128, v3, v12 :: v_dual_fmac_f32 v127, v2, v9
	v_fma_f32 v129, v1, v9, -v10
	v_mul_f32_e32 v1, v4, v12
	s_delay_alu instid0(VALU_DEP_3) | instskip(NEXT) | instid1(VALU_DEP_2)
	v_fmac_f32_e32 v128, v4, v11
	v_fma_f32 v130, v3, v11, -v1
	s_clause 0x1
	scratch_load_b128 v[1:4], off, off offset:168
	scratch_load_b128 v[9:12], off, off offset:184
	s_wait_loadcnt_dscnt 0x100
	v_mul_f32_e32 v131, v5, v2
	v_dual_mul_f32 v2, v6, v2 :: v_dual_mul_f32 v133, v7, v4
	s_delay_alu instid0(VALU_DEP_2) | instskip(NEXT) | instid1(VALU_DEP_2)
	v_fmac_f32_e32 v131, v6, v1
	v_fma_f32 v132, v5, v1, -v2
	v_mul_f32_e32 v1, v8, v4
	s_delay_alu instid0(VALU_DEP_4) | instskip(NEXT) | instid1(VALU_DEP_2)
	v_fmac_f32_e32 v133, v8, v3
	v_fma_f32 v134, v7, v3, -v1
	ds_load_2addr_b64 v[1:4], v21 offset0:67 offset1:68
	ds_load_2addr_b64 v[5:8], v21 offset0:69 offset1:70
	s_wait_loadcnt_dscnt 0x1
	v_mul_f32_e32 v135, v1, v10
	v_mul_f32_e32 v137, v3, v12
	s_delay_alu instid0(VALU_DEP_2) | instskip(NEXT) | instid1(VALU_DEP_2)
	v_fmac_f32_e32 v135, v2, v9
	v_dual_mul_f32 v2, v2, v10 :: v_dual_fmac_f32 v137, v4, v11
	s_delay_alu instid0(VALU_DEP_1) | instskip(SKIP_1) | instid1(VALU_DEP_1)
	v_fma_f32 v136, v1, v9, -v2
	v_mul_f32_e32 v1, v4, v12
	v_fma_f32 v138, v3, v11, -v1
	s_clause 0x1
	scratch_load_b128 v[1:4], off, off offset:200
	scratch_load_b128 v[9:12], off, off offset:216
	s_wait_loadcnt_dscnt 0x100
	v_mul_f32_e32 v139, v5, v2
	v_dual_mul_f32 v2, v6, v2 :: v_dual_mul_f32 v141, v7, v4
	s_delay_alu instid0(VALU_DEP_2) | instskip(NEXT) | instid1(VALU_DEP_2)
	v_fmac_f32_e32 v139, v6, v1
	v_fma_f32 v140, v5, v1, -v2
	v_mul_f32_e32 v1, v8, v4
	s_delay_alu instid0(VALU_DEP_4) | instskip(NEXT) | instid1(VALU_DEP_2)
	v_fmac_f32_e32 v141, v8, v3
	v_fma_f32 v142, v7, v3, -v1
	ds_load_2addr_b64 v[1:4], v21 offset0:71 offset1:72
	ds_load_2addr_b64 v[5:8], v21 offset0:73 offset1:74
	s_wait_loadcnt_dscnt 0x1
	v_mul_f32_e32 v143, v1, v10
	v_mul_f32_e32 v145, v3, v12
	s_delay_alu instid0(VALU_DEP_2) | instskip(NEXT) | instid1(VALU_DEP_2)
	v_fmac_f32_e32 v143, v2, v9
	v_dual_mul_f32 v2, v2, v10 :: v_dual_fmac_f32 v145, v4, v11
	s_delay_alu instid0(VALU_DEP_1) | instskip(SKIP_1) | instid1(VALU_DEP_1)
	v_fma_f32 v144, v1, v9, -v2
	v_mul_f32_e32 v1, v4, v12
	;; [unrolled: 25-line block ×3, first 2 shown]
	v_fma_f32 v154, v3, v11, -v1
	s_clause 0x1
	scratch_load_b128 v[1:4], off, off offset:264
	scratch_load_b128 v[9:12], off, off offset:280
	s_wait_loadcnt_dscnt 0x100
	v_mul_f32_e32 v155, v5, v2
	v_mul_f32_e32 v2, v6, v2
	s_delay_alu instid0(VALU_DEP_1) | instskip(SKIP_1) | instid1(VALU_DEP_1)
	v_fma_f32 v156, v5, v1, -v2
	v_add_f32_e32 v2, 0, v124
	v_add_f32_e32 v2, v2, v125
	s_delay_alu instid0(VALU_DEP_1) | instskip(NEXT) | instid1(VALU_DEP_1)
	v_add_f32_e32 v2, v2, v111
	v_add_f32_e32 v2, v2, v112
	s_delay_alu instid0(VALU_DEP_1) | instskip(NEXT) | instid1(VALU_DEP_1)
	;; [unrolled: 3-line block ×3, first 2 shown]
	v_add_f32_e32 v2, v2, v118
	v_add_f32_e32 v2, v2, v119
	s_delay_alu instid0(VALU_DEP_1) | instskip(SKIP_1) | instid1(VALU_DEP_2)
	v_add_f32_e32 v2, v2, v15
	v_fmac_f32_e32 v155, v6, v1
	v_dual_mul_f32 v157, v7, v4 :: v_dual_add_f32 v2, v2, v18
	s_delay_alu instid0(VALU_DEP_1) | instskip(NEXT) | instid1(VALU_DEP_1)
	v_dual_mul_f32 v1, v8, v4 :: v_dual_add_f32 v2, v2, v19
	v_fma_f32 v158, v7, v3, -v1
	v_add_f32_e32 v1, 0, v22
	s_delay_alu instid0(VALU_DEP_3) | instskip(NEXT) | instid1(VALU_DEP_2)
	v_dual_fmac_f32 v157, v8, v3 :: v_dual_add_f32 v2, v2, v20
	v_add_f32_e32 v1, v1, v110
	s_delay_alu instid0(VALU_DEP_2) | instskip(NEXT) | instid1(VALU_DEP_2)
	v_add_f32_e32 v5, v2, v127
	v_add_f32_e32 v1, v1, v114
	s_delay_alu instid0(VALU_DEP_2) | instskip(NEXT) | instid1(VALU_DEP_2)
	v_add_f32_e32 v5, v5, v128
	v_add_f32_e32 v1, v1, v115
	s_delay_alu instid0(VALU_DEP_2) | instskip(NEXT) | instid1(VALU_DEP_2)
	v_add_f32_e32 v5, v5, v131
	v_add_f32_e32 v1, v1, v116
	s_delay_alu instid0(VALU_DEP_1) | instskip(NEXT) | instid1(VALU_DEP_1)
	v_add_f32_e32 v1, v1, v117
	v_add_f32_e32 v1, v1, v13
	s_delay_alu instid0(VALU_DEP_1) | instskip(SKIP_1) | instid1(VALU_DEP_1)
	v_add_f32_e32 v1, v1, v14
	v_add_f32_e32 v14, v5, v133
	;; [unrolled: 1-line block ×3, first 2 shown]
	s_delay_alu instid0(VALU_DEP_1) | instskip(NEXT) | instid1(VALU_DEP_1)
	v_dual_add_f32 v14, v14, v137 :: v_dual_add_f32 v1, v1, v16
	v_add_f32_e32 v1, v1, v17
	s_delay_alu instid0(VALU_DEP_1) | instskip(NEXT) | instid1(VALU_DEP_1)
	v_add_f32_e32 v1, v1, v120
	v_add_f32_e32 v1, v1, v121
	s_delay_alu instid0(VALU_DEP_1) | instskip(NEXT) | instid1(VALU_DEP_1)
	v_add_f32_e32 v1, v1, v129
	v_add_f32_e32 v6, v1, v130
	ds_load_2addr_b64 v[1:4], v21 offset0:79 offset1:80
	v_add_f32_e32 v6, v6, v132
	s_delay_alu instid0(VALU_DEP_1)
	v_add_f32_e32 v13, v6, v134
	ds_load_2addr_b64 v[5:8], v21 offset0:81 offset1:82
	s_wait_loadcnt_dscnt 0x1
	v_mul_f32_e32 v22, v1, v10
	v_mul_f32_e32 v114, v3, v12
	;; [unrolled: 1-line block ×4, first 2 shown]
	s_delay_alu instid0(VALU_DEP_4) | instskip(NEXT) | instid1(VALU_DEP_4)
	v_fmac_f32_e32 v22, v2, v9
	v_fmac_f32_e32 v114, v4, v11
	s_delay_alu instid0(VALU_DEP_4) | instskip(NEXT) | instid1(VALU_DEP_4)
	v_fma_f32 v115, v1, v9, -v10
	v_fma_f32 v116, v3, v11, -v12
	s_clause 0x1
	scratch_load_b128 v[1:4], off, off offset:296
	scratch_load_b128 v[9:12], off, off offset:312
	v_add_f32_e32 v13, v13, v136
	v_add_f32_e32 v17, v14, v139
	s_delay_alu instid0(VALU_DEP_1) | instskip(SKIP_3) | instid1(VALU_DEP_2)
	v_add_f32_e32 v17, v17, v141
	s_wait_loadcnt_dscnt 0x100
	v_mul_f32_e32 v119, v7, v4
	v_mul_f32_e32 v4, v8, v4
	v_fmac_f32_e32 v119, v8, v3
	v_add_f32_e32 v13, v13, v138
	s_delay_alu instid0(VALU_DEP_3) | instskip(NEXT) | instid1(VALU_DEP_2)
	v_fma_f32 v3, v7, v3, -v4
	v_add_f32_e32 v13, v13, v140
	s_delay_alu instid0(VALU_DEP_1) | instskip(SKIP_2) | instid1(VALU_DEP_1)
	v_add_f32_e32 v18, v13, v142
	scratch_load_b128 v[13:16], off, off offset:328
	v_dual_add_f32 v17, v17, v143 :: v_dual_add_f32 v18, v18, v144
	v_dual_add_f32 v17, v17, v145 :: v_dual_add_f32 v18, v18, v146
	s_delay_alu instid0(VALU_DEP_1)
	v_dual_add_f32 v111, v17, v147 :: v_dual_add_f32 v110, v18, v148
	ds_load_2addr_b64 v[17:20], v21 offset0:83 offset1:84
	v_dual_add_f32 v118, v111, v149 :: v_dual_add_f32 v117, v110, v150
	ds_load_2addr_b64 v[110:113], v21 offset0:85 offset1:86
	v_add_f32_e32 v21, v117, v152
	v_dual_add_f32 v117, v118, v151 :: v_dual_mul_f32 v118, v5, v2
	v_mul_f32_e32 v2, v6, v2
	s_delay_alu instid0(VALU_DEP_2) | instskip(NEXT) | instid1(VALU_DEP_2)
	v_dual_add_f32 v21, v21, v154 :: v_dual_fmac_f32 v118, v6, v1
	v_fma_f32 v2, v5, v1, -v2
	s_delay_alu instid0(VALU_DEP_2) | instskip(SKIP_3) | instid1(VALU_DEP_3)
	v_add_f32_e32 v21, v21, v156
	s_wait_loadcnt_dscnt 0x101
	v_mul_f32_e32 v120, v17, v10
	v_dual_add_f32 v117, v117, v153 :: v_dual_mul_f32 v6, v18, v10
	v_dual_mul_f32 v4, v20, v12 :: v_dual_add_f32 v21, v21, v158
	s_delay_alu instid0(VALU_DEP_2) | instskip(NEXT) | instid1(VALU_DEP_2)
	v_dual_fmac_f32 v120, v18, v9 :: v_dual_add_f32 v117, v117, v155
	v_fma_f32 v4, v19, v11, -v4
	s_delay_alu instid0(VALU_DEP_3) | instskip(NEXT) | instid1(VALU_DEP_3)
	v_add_f32_e32 v21, v21, v115
	v_add_f32_e32 v117, v117, v157
	s_delay_alu instid0(VALU_DEP_2) | instskip(NEXT) | instid1(VALU_DEP_2)
	v_add_f32_e32 v1, v21, v116
	v_add_f32_e32 v22, v117, v22
	s_delay_alu instid0(VALU_DEP_2) | instskip(NEXT) | instid1(VALU_DEP_2)
	v_add_f32_e32 v1, v1, v2
	v_add_f32_e32 v5, v22, v114
	v_mul_f32_e32 v121, v19, v12
	s_delay_alu instid0(VALU_DEP_3) | instskip(NEXT) | instid1(VALU_DEP_3)
	v_add_f32_e32 v1, v1, v3
	v_add_f32_e32 v2, v5, v118
	v_fma_f32 v5, v17, v9, -v6
	s_delay_alu instid0(VALU_DEP_4) | instskip(NEXT) | instid1(VALU_DEP_2)
	v_fmac_f32_e32 v121, v20, v11
	v_dual_add_f32 v2, v2, v119 :: v_dual_add_f32 v1, v1, v5
	s_delay_alu instid0(VALU_DEP_1) | instskip(NEXT) | instid1(VALU_DEP_1)
	v_add_f32_e32 v2, v2, v120
	v_dual_add_f32 v1, v1, v4 :: v_dual_add_f32 v2, v2, v121
	s_wait_loadcnt_dscnt 0x0
	v_mul_f32_e32 v124, v110, v14
	v_mul_f32_e32 v3, v111, v14
	;; [unrolled: 1-line block ×3, first 2 shown]
	s_delay_alu instid0(VALU_DEP_3) | instskip(NEXT) | instid1(VALU_DEP_3)
	v_dual_mul_f32 v5, v113, v16 :: v_dual_fmac_f32 v124, v111, v13
	v_fma_f32 v3, v110, v13, -v3
	s_delay_alu instid0(VALU_DEP_3) | instskip(NEXT) | instid1(VALU_DEP_3)
	v_fmac_f32_e32 v115, v113, v15
	v_fma_f32 v4, v112, v15, -v5
	s_delay_alu instid0(VALU_DEP_3) | instskip(NEXT) | instid1(VALU_DEP_1)
	v_dual_add_f32 v2, v2, v124 :: v_dual_add_f32 v1, v1, v3
	v_dual_add_f32 v2, v2, v115 :: v_dual_add_f32 v1, v1, v4
	s_delay_alu instid0(VALU_DEP_1)
	v_dual_sub_f32 v2, v123, v2 :: v_dual_sub_f32 v1, v122, v1
	scratch_store_b64 off, v[1:2], off offset:48
	v_cmpx_lt_u32_e32 5, v0
	s_cbranch_execz .LBB42_261
; %bb.260:
	scratch_load_b64 v[1:2], off, off offset:40
	v_mov_b32_e32 v3, 0
	s_delay_alu instid0(VALU_DEP_1)
	v_mov_b32_e32 v4, v3
	scratch_store_b64 off, v[3:4], off offset:40
	s_wait_loadcnt 0x0
	ds_store_b64 v23, v[1:2]
.LBB42_261:
	s_wait_alu 0xfffe
	s_or_b32 exec_lo, exec_lo, s0
	s_wait_storecnt_dscnt 0x0
	s_barrier_signal -1
	s_barrier_wait -1
	global_inv scope:SCOPE_SE
	s_clause 0x4
	scratch_load_b128 v[5:8], off, off offset:48
	scratch_load_b128 v[1:4], off, off offset:64
	scratch_load_b128 v[9:12], off, off offset:80
	scratch_load_b128 v[13:16], off, off offset:96
	scratch_load_b128 v[17:20], off, off offset:112
	v_mov_b32_e32 v21, 0
	ds_load_b128 v[110:113], v21 offset:400
	ds_load_b128 v[114:117], v21 offset:416
	;; [unrolled: 1-line block ×3, first 2 shown]
	scratch_load_b64 v[122:123], off, off offset:40
	s_mov_b32 s0, exec_lo
	s_wait_loadcnt_dscnt 0x502
	v_mul_f32_e32 v22, v111, v6
	v_dual_mul_f32 v124, v110, v6 :: v_dual_mul_f32 v125, v112, v8
	v_mul_f32_e32 v6, v113, v8
	s_delay_alu instid0(VALU_DEP_3) | instskip(NEXT) | instid1(VALU_DEP_3)
	v_fma_f32 v22, v110, v5, -v22
	v_dual_fmac_f32 v124, v111, v5 :: v_dual_fmac_f32 v125, v113, v7
	s_wait_loadcnt_dscnt 0x401
	v_mul_f32_e32 v111, v114, v2
	v_fma_f32 v110, v112, v7, -v6
	ds_load_b128 v[5:8], v21 offset:448
	s_wait_loadcnt_dscnt 0x301
	v_dual_mul_f32 v112, v116, v4 :: v_dual_mul_f32 v113, v118, v10
	v_dual_mul_f32 v4, v117, v4 :: v_dual_fmac_f32 v111, v115, v1
	v_mul_f32_e32 v10, v119, v10
	s_delay_alu instid0(VALU_DEP_3)
	v_dual_mul_f32 v126, v120, v12 :: v_dual_fmac_f32 v113, v119, v9
	v_mul_f32_e32 v12, v121, v12
	v_mul_f32_e32 v2, v115, v2
	v_fmac_f32_e32 v112, v117, v3
	v_fma_f32 v115, v116, v3, -v4
	v_fma_f32 v116, v118, v9, -v10
	v_fmac_f32_e32 v126, v121, v11
	v_fma_f32 v117, v120, v11, -v12
	ds_load_b128 v[9:12], v21 offset:464
	s_wait_loadcnt_dscnt 0x201
	v_dual_mul_f32 v119, v7, v16 :: v_dual_mul_f32 v118, v5, v14
	v_mul_f32_e32 v14, v6, v14
	v_mul_f32_e32 v16, v8, v16
	s_delay_alu instid0(VALU_DEP_3)
	v_fmac_f32_e32 v119, v8, v15
	v_fma_f32 v114, v114, v1, -v2
	scratch_load_b128 v[1:4], off, off offset:128
	v_fmac_f32_e32 v118, v6, v13
	v_fma_f32 v13, v5, v13, -v14
	v_fma_f32 v14, v7, v15, -v16
	ds_load_b128 v[5:8], v21 offset:480
	s_wait_loadcnt_dscnt 0x201
	v_mul_f32_e32 v15, v9, v18
	v_mul_f32_e32 v16, v10, v18
	;; [unrolled: 1-line block ×3, first 2 shown]
	s_delay_alu instid0(VALU_DEP_3) | instskip(NEXT) | instid1(VALU_DEP_3)
	v_dual_mul_f32 v20, v12, v20 :: v_dual_fmac_f32 v15, v10, v17
	v_fma_f32 v16, v9, v17, -v16
	s_delay_alu instid0(VALU_DEP_3) | instskip(NEXT) | instid1(VALU_DEP_3)
	v_fmac_f32_e32 v18, v12, v19
	v_fma_f32 v17, v11, v19, -v20
	scratch_load_b128 v[9:12], off, off offset:144
	s_wait_loadcnt_dscnt 0x100
	v_mul_f32_e32 v19, v5, v2
	v_mul_f32_e32 v2, v6, v2
	;; [unrolled: 1-line block ×3, first 2 shown]
	s_delay_alu instid0(VALU_DEP_3) | instskip(NEXT) | instid1(VALU_DEP_3)
	v_dual_mul_f32 v4, v8, v4 :: v_dual_fmac_f32 v19, v6, v1
	v_fma_f32 v120, v5, v1, -v2
	s_delay_alu instid0(VALU_DEP_3) | instskip(NEXT) | instid1(VALU_DEP_3)
	v_fmac_f32_e32 v20, v8, v3
	v_fma_f32 v121, v7, v3, -v4
	ds_load_b128 v[1:4], v21 offset:496
	ds_load_b128 v[5:8], v21 offset:512
	s_wait_loadcnt_dscnt 0x1
	v_mul_f32_e32 v127, v1, v10
	v_mul_f32_e32 v10, v2, v10
	s_delay_alu instid0(VALU_DEP_2) | instskip(NEXT) | instid1(VALU_DEP_2)
	v_dual_mul_f32 v128, v3, v12 :: v_dual_fmac_f32 v127, v2, v9
	v_fma_f32 v129, v1, v9, -v10
	v_mul_f32_e32 v1, v4, v12
	s_delay_alu instid0(VALU_DEP_3) | instskip(NEXT) | instid1(VALU_DEP_2)
	v_fmac_f32_e32 v128, v4, v11
	v_fma_f32 v130, v3, v11, -v1
	s_clause 0x1
	scratch_load_b128 v[1:4], off, off offset:160
	scratch_load_b128 v[9:12], off, off offset:176
	s_wait_loadcnt_dscnt 0x100
	v_mul_f32_e32 v131, v5, v2
	v_dual_mul_f32 v2, v6, v2 :: v_dual_mul_f32 v133, v7, v4
	s_delay_alu instid0(VALU_DEP_2) | instskip(NEXT) | instid1(VALU_DEP_2)
	v_fmac_f32_e32 v131, v6, v1
	v_fma_f32 v132, v5, v1, -v2
	v_mul_f32_e32 v1, v8, v4
	s_delay_alu instid0(VALU_DEP_4) | instskip(NEXT) | instid1(VALU_DEP_2)
	v_fmac_f32_e32 v133, v8, v3
	v_fma_f32 v134, v7, v3, -v1
	ds_load_b128 v[1:4], v21 offset:528
	ds_load_b128 v[5:8], v21 offset:544
	s_wait_loadcnt_dscnt 0x1
	v_mul_f32_e32 v135, v1, v10
	v_mul_f32_e32 v137, v3, v12
	s_delay_alu instid0(VALU_DEP_2) | instskip(NEXT) | instid1(VALU_DEP_2)
	v_fmac_f32_e32 v135, v2, v9
	v_dual_mul_f32 v2, v2, v10 :: v_dual_fmac_f32 v137, v4, v11
	s_delay_alu instid0(VALU_DEP_1) | instskip(SKIP_1) | instid1(VALU_DEP_1)
	v_fma_f32 v136, v1, v9, -v2
	v_mul_f32_e32 v1, v4, v12
	v_fma_f32 v138, v3, v11, -v1
	s_clause 0x1
	scratch_load_b128 v[1:4], off, off offset:192
	scratch_load_b128 v[9:12], off, off offset:208
	s_wait_loadcnt_dscnt 0x100
	v_mul_f32_e32 v139, v5, v2
	v_dual_mul_f32 v141, v7, v4 :: v_dual_mul_f32 v2, v6, v2
	s_delay_alu instid0(VALU_DEP_2) | instskip(NEXT) | instid1(VALU_DEP_2)
	v_fmac_f32_e32 v139, v6, v1
	v_fmac_f32_e32 v141, v8, v3
	s_delay_alu instid0(VALU_DEP_3) | instskip(SKIP_1) | instid1(VALU_DEP_1)
	v_fma_f32 v140, v5, v1, -v2
	v_mul_f32_e32 v1, v8, v4
	v_fma_f32 v142, v7, v3, -v1
	ds_load_b128 v[1:4], v21 offset:560
	ds_load_b128 v[5:8], v21 offset:576
	s_wait_loadcnt_dscnt 0x1
	v_mul_f32_e32 v143, v1, v10
	v_mul_f32_e32 v145, v3, v12
	s_delay_alu instid0(VALU_DEP_2) | instskip(NEXT) | instid1(VALU_DEP_2)
	v_fmac_f32_e32 v143, v2, v9
	v_dual_mul_f32 v2, v2, v10 :: v_dual_fmac_f32 v145, v4, v11
	s_delay_alu instid0(VALU_DEP_1) | instskip(SKIP_1) | instid1(VALU_DEP_1)
	v_fma_f32 v144, v1, v9, -v2
	v_mul_f32_e32 v1, v4, v12
	v_fma_f32 v146, v3, v11, -v1
	s_clause 0x1
	scratch_load_b128 v[1:4], off, off offset:224
	scratch_load_b128 v[9:12], off, off offset:240
	s_wait_loadcnt_dscnt 0x100
	v_mul_f32_e32 v147, v5, v2
	v_dual_mul_f32 v2, v6, v2 :: v_dual_mul_f32 v149, v7, v4
	s_delay_alu instid0(VALU_DEP_2) | instskip(NEXT) | instid1(VALU_DEP_2)
	v_fmac_f32_e32 v147, v6, v1
	v_fma_f32 v148, v5, v1, -v2
	v_mul_f32_e32 v1, v8, v4
	s_delay_alu instid0(VALU_DEP_4) | instskip(NEXT) | instid1(VALU_DEP_2)
	v_fmac_f32_e32 v149, v8, v3
	v_fma_f32 v150, v7, v3, -v1
	ds_load_b128 v[1:4], v21 offset:592
	ds_load_b128 v[5:8], v21 offset:608
	s_wait_loadcnt_dscnt 0x1
	v_mul_f32_e32 v151, v1, v10
	v_mul_f32_e32 v153, v3, v12
	s_delay_alu instid0(VALU_DEP_2) | instskip(NEXT) | instid1(VALU_DEP_2)
	v_fmac_f32_e32 v151, v2, v9
	v_dual_mul_f32 v2, v2, v10 :: v_dual_fmac_f32 v153, v4, v11
	s_delay_alu instid0(VALU_DEP_1) | instskip(SKIP_1) | instid1(VALU_DEP_1)
	v_fma_f32 v152, v1, v9, -v2
	v_mul_f32_e32 v1, v4, v12
	v_fma_f32 v154, v3, v11, -v1
	s_clause 0x1
	scratch_load_b128 v[1:4], off, off offset:256
	scratch_load_b128 v[9:12], off, off offset:272
	s_wait_loadcnt_dscnt 0x100
	v_mul_f32_e32 v155, v5, v2
	v_mul_f32_e32 v2, v6, v2
	s_delay_alu instid0(VALU_DEP_1) | instskip(SKIP_1) | instid1(VALU_DEP_1)
	v_fma_f32 v156, v5, v1, -v2
	v_add_f32_e32 v2, 0, v124
	v_add_f32_e32 v2, v2, v125
	s_delay_alu instid0(VALU_DEP_1) | instskip(NEXT) | instid1(VALU_DEP_1)
	v_add_f32_e32 v2, v2, v111
	v_add_f32_e32 v2, v2, v112
	s_delay_alu instid0(VALU_DEP_1) | instskip(NEXT) | instid1(VALU_DEP_1)
	;; [unrolled: 3-line block ×4, first 2 shown]
	v_dual_add_f32 v2, v2, v15 :: v_dual_mul_f32 v157, v7, v4
	v_add_f32_e32 v2, v2, v18
	s_delay_alu instid0(VALU_DEP_1) | instskip(NEXT) | instid1(VALU_DEP_3)
	v_add_f32_e32 v2, v2, v19
	v_fmac_f32_e32 v157, v8, v3
	v_fmac_f32_e32 v155, v6, v1
	s_delay_alu instid0(VALU_DEP_3) | instskip(NEXT) | instid1(VALU_DEP_1)
	v_add_f32_e32 v2, v2, v20
	v_add_f32_e32 v5, v2, v127
	s_delay_alu instid0(VALU_DEP_1) | instskip(NEXT) | instid1(VALU_DEP_1)
	v_add_f32_e32 v5, v5, v128
	v_add_f32_e32 v5, v5, v131
	v_mul_f32_e32 v1, v8, v4
	s_delay_alu instid0(VALU_DEP_1) | instskip(SKIP_1) | instid1(VALU_DEP_1)
	v_fma_f32 v158, v7, v3, -v1
	v_add_f32_e32 v1, 0, v22
	v_add_f32_e32 v1, v1, v110
	s_delay_alu instid0(VALU_DEP_1) | instskip(NEXT) | instid1(VALU_DEP_1)
	v_add_f32_e32 v1, v1, v114
	v_add_f32_e32 v1, v1, v115
	scratch_load_b64 v[114:115], off, off offset:336
	v_add_f32_e32 v1, v1, v116
	s_delay_alu instid0(VALU_DEP_1) | instskip(NEXT) | instid1(VALU_DEP_1)
	v_add_f32_e32 v1, v1, v117
	v_add_f32_e32 v1, v1, v13
	s_delay_alu instid0(VALU_DEP_1) | instskip(SKIP_1) | instid1(VALU_DEP_1)
	v_add_f32_e32 v1, v1, v14
	v_add_f32_e32 v14, v5, v133
	;; [unrolled: 1-line block ×3, first 2 shown]
	s_delay_alu instid0(VALU_DEP_1) | instskip(NEXT) | instid1(VALU_DEP_1)
	v_dual_add_f32 v14, v14, v137 :: v_dual_add_f32 v1, v1, v16
	v_add_f32_e32 v1, v1, v17
	s_delay_alu instid0(VALU_DEP_2) | instskip(NEXT) | instid1(VALU_DEP_2)
	v_add_f32_e32 v17, v14, v139
	v_add_f32_e32 v1, v1, v120
	s_delay_alu instid0(VALU_DEP_1) | instskip(NEXT) | instid1(VALU_DEP_1)
	v_add_f32_e32 v1, v1, v121
	v_add_f32_e32 v1, v1, v129
	s_delay_alu instid0(VALU_DEP_1) | instskip(SKIP_2) | instid1(VALU_DEP_1)
	v_add_f32_e32 v6, v1, v130
	ds_load_b128 v[1:4], v21 offset:624
	v_add_f32_e32 v6, v6, v132
	v_add_f32_e32 v13, v6, v134
	ds_load_b128 v[5:8], v21 offset:640
	s_wait_loadcnt_dscnt 0x101
	v_mul_f32_e32 v22, v1, v10
	v_mul_f32_e32 v10, v2, v10
	;; [unrolled: 1-line block ×4, first 2 shown]
	s_delay_alu instid0(VALU_DEP_4) | instskip(NEXT) | instid1(VALU_DEP_4)
	v_fmac_f32_e32 v22, v2, v9
	v_fma_f32 v119, v1, v9, -v10
	s_delay_alu instid0(VALU_DEP_4) | instskip(NEXT) | instid1(VALU_DEP_4)
	v_fmac_f32_e32 v118, v4, v11
	v_fma_f32 v120, v3, v11, -v12
	s_clause 0x1
	scratch_load_b128 v[1:4], off, off offset:288
	scratch_load_b128 v[9:12], off, off offset:304
	v_add_f32_e32 v17, v17, v141
	s_delay_alu instid0(VALU_DEP_1) | instskip(SKIP_1) | instid1(VALU_DEP_1)
	v_add_f32_e32 v17, v17, v143
	s_wait_loadcnt_dscnt 0x100
	v_dual_add_f32 v17, v17, v145 :: v_dual_mul_f32 v126, v7, v4
	v_mul_f32_e32 v125, v5, v2
	v_mul_f32_e32 v2, v6, v2
	;; [unrolled: 1-line block ×3, first 2 shown]
	s_delay_alu instid0(VALU_DEP_3) | instskip(NEXT) | instid1(VALU_DEP_3)
	v_dual_fmac_f32 v126, v8, v3 :: v_dual_fmac_f32 v125, v6, v1
	v_fma_f32 v2, v5, v1, -v2
	v_add_f32_e32 v17, v17, v147
	s_delay_alu instid0(VALU_DEP_4) | instskip(NEXT) | instid1(VALU_DEP_2)
	v_fma_f32 v1, v7, v3, -v4
	v_add_f32_e32 v110, v17, v149
	s_delay_alu instid0(VALU_DEP_1) | instskip(SKIP_2) | instid1(VALU_DEP_1)
	v_add_f32_e32 v117, v110, v151
	ds_load_b128 v[110:113], v21 offset:672
	v_add_f32_e32 v124, v117, v153
	v_add_f32_e32 v124, v124, v155
	s_delay_alu instid0(VALU_DEP_1) | instskip(NEXT) | instid1(VALU_DEP_1)
	v_dual_add_f32 v124, v124, v157 :: v_dual_add_f32 v13, v13, v136
	v_add_f32_e32 v22, v124, v22
	s_delay_alu instid0(VALU_DEP_2) | instskip(NEXT) | instid1(VALU_DEP_1)
	v_add_f32_e32 v13, v13, v138
	v_dual_add_f32 v22, v22, v118 :: v_dual_add_f32 v13, v13, v140
	s_delay_alu instid0(VALU_DEP_1) | instskip(SKIP_2) | instid1(VALU_DEP_1)
	v_add_f32_e32 v18, v13, v142
	scratch_load_b128 v[13:16], off, off offset:320
	v_add_f32_e32 v18, v18, v144
	v_add_f32_e32 v18, v18, v146
	s_delay_alu instid0(VALU_DEP_1) | instskip(NEXT) | instid1(VALU_DEP_1)
	v_add_f32_e32 v18, v18, v148
	v_add_f32_e32 v18, v18, v150
	s_delay_alu instid0(VALU_DEP_1)
	v_add_f32_e32 v116, v18, v152
	ds_load_b128 v[17:20], v21 offset:656
	v_add_f32_e32 v121, v116, v154
	ds_load_b64 v[116:117], v21 offset:688
	s_wait_loadcnt_dscnt 0x101
	v_dual_mul_f32 v124, v19, v12 :: v_dual_mul_f32 v3, v18, v10
	s_wait_dscnt 0x0
	v_mul_f32_e32 v118, v116, v115
	s_delay_alu instid0(VALU_DEP_2) | instskip(NEXT) | instid1(VALU_DEP_3)
	v_fma_f32 v3, v17, v9, -v3
	v_fmac_f32_e32 v124, v20, v11
	s_delay_alu instid0(VALU_DEP_3) | instskip(SKIP_1) | instid1(VALU_DEP_1)
	v_fmac_f32_e32 v118, v117, v114
	v_dual_add_f32 v4, v22, v125 :: v_dual_add_f32 v121, v121, v156
	v_add_f32_e32 v121, v121, v158
	s_delay_alu instid0(VALU_DEP_1) | instskip(SKIP_1) | instid1(VALU_DEP_2)
	v_add_f32_e32 v119, v121, v119
	v_mul_f32_e32 v121, v17, v10
	v_add_f32_e32 v119, v119, v120
	s_delay_alu instid0(VALU_DEP_1) | instskip(NEXT) | instid1(VALU_DEP_1)
	v_dual_fmac_f32 v121, v18, v9 :: v_dual_add_f32 v2, v119, v2
	v_dual_add_f32 v1, v2, v1 :: v_dual_add_f32 v2, v4, v126
	s_delay_alu instid0(VALU_DEP_1) | instskip(NEXT) | instid1(VALU_DEP_1)
	v_add_f32_e32 v2, v2, v121
	v_add_f32_e32 v2, v2, v124
	s_wait_loadcnt 0x0
	v_dual_mul_f32 v120, v112, v16 :: v_dual_mul_f32 v127, v110, v14
	v_mul_f32_e32 v4, v111, v14
	s_delay_alu instid0(VALU_DEP_2) | instskip(NEXT) | instid1(VALU_DEP_2)
	v_dual_fmac_f32 v120, v113, v15 :: v_dual_fmac_f32 v127, v111, v13
	v_fma_f32 v4, v110, v13, -v4
	s_delay_alu instid0(VALU_DEP_2) | instskip(SKIP_2) | instid1(VALU_DEP_3)
	v_add_f32_e32 v2, v2, v127
	v_add_f32_e32 v1, v1, v3
	v_mul_f32_e32 v3, v113, v16
	v_add_f32_e32 v2, v2, v120
	v_mul_f32_e32 v5, v20, v12
	s_delay_alu instid0(VALU_DEP_3) | instskip(NEXT) | instid1(VALU_DEP_3)
	v_fma_f32 v3, v112, v15, -v3
	v_add_f32_e32 v2, v2, v118
	s_delay_alu instid0(VALU_DEP_3) | instskip(NEXT) | instid1(VALU_DEP_1)
	v_fma_f32 v5, v19, v11, -v5
	v_dual_sub_f32 v2, v123, v2 :: v_dual_add_f32 v1, v1, v5
	v_mul_f32_e32 v5, v117, v115
	s_delay_alu instid0(VALU_DEP_2) | instskip(NEXT) | instid1(VALU_DEP_2)
	v_add_f32_e32 v1, v1, v4
	v_fma_f32 v4, v116, v114, -v5
	s_delay_alu instid0(VALU_DEP_2) | instskip(NEXT) | instid1(VALU_DEP_1)
	v_add_f32_e32 v1, v1, v3
	v_add_f32_e32 v1, v1, v4
	s_delay_alu instid0(VALU_DEP_1)
	v_sub_f32_e32 v1, v122, v1
	scratch_store_b64 off, v[1:2], off offset:40
	v_cmpx_lt_u32_e32 4, v0
	s_cbranch_execz .LBB42_263
; %bb.262:
	scratch_load_b64 v[1:2], off, off offset:32
	v_mov_b32_e32 v22, v21
	scratch_store_b64 off, v[21:22], off offset:32
	s_wait_loadcnt 0x0
	ds_store_b64 v23, v[1:2]
.LBB42_263:
	s_wait_alu 0xfffe
	s_or_b32 exec_lo, exec_lo, s0
	s_wait_storecnt_dscnt 0x0
	s_barrier_signal -1
	s_barrier_wait -1
	global_inv scope:SCOPE_SE
	s_clause 0x4
	scratch_load_b128 v[5:8], off, off offset:40
	scratch_load_b128 v[1:4], off, off offset:56
	;; [unrolled: 1-line block ×5, first 2 shown]
	ds_load_2addr_b64 v[110:113], v21 offset0:49 offset1:50
	ds_load_2addr_b64 v[114:117], v21 offset0:51 offset1:52
	ds_load_2addr_b64 v[118:121], v21 offset0:53 offset1:54
	scratch_load_b64 v[122:123], off, off offset:32
	s_mov_b32 s0, exec_lo
	s_wait_loadcnt_dscnt 0x502
	v_dual_mul_f32 v22, v111, v6 :: v_dual_mul_f32 v125, v112, v8
	v_mul_f32_e32 v124, v110, v6
	v_mul_f32_e32 v6, v113, v8
	s_wait_loadcnt_dscnt 0x300
	v_mul_f32_e32 v126, v120, v12
	v_fma_f32 v22, v110, v5, -v22
	v_dual_fmac_f32 v125, v113, v7 :: v_dual_fmac_f32 v124, v111, v5
	v_mul_f32_e32 v113, v118, v10
	v_mul_f32_e32 v111, v114, v2
	v_fma_f32 v110, v112, v7, -v6
	ds_load_2addr_b64 v[5:8], v21 offset0:55 offset1:56
	v_mul_f32_e32 v112, v116, v4
	v_dual_mul_f32 v4, v117, v4 :: v_dual_fmac_f32 v113, v119, v9
	v_mul_f32_e32 v10, v119, v10
	v_mul_f32_e32 v12, v121, v12
	;; [unrolled: 1-line block ×3, first 2 shown]
	v_dual_fmac_f32 v111, v115, v1 :: v_dual_fmac_f32 v112, v117, v3
	v_fma_f32 v115, v116, v3, -v4
	v_fma_f32 v116, v118, v9, -v10
	v_fmac_f32_e32 v126, v121, v11
	v_fma_f32 v117, v120, v11, -v12
	ds_load_2addr_b64 v[9:12], v21 offset0:57 offset1:58
	s_wait_loadcnt_dscnt 0x201
	v_dual_mul_f32 v119, v7, v16 :: v_dual_mul_f32 v118, v5, v14
	s_delay_alu instid0(VALU_DEP_1)
	v_dual_mul_f32 v14, v6, v14 :: v_dual_fmac_f32 v119, v8, v15
	v_fma_f32 v114, v114, v1, -v2
	scratch_load_b128 v[1:4], off, off offset:120
	v_mul_f32_e32 v16, v8, v16
	v_fmac_f32_e32 v118, v6, v13
	v_fma_f32 v13, v5, v13, -v14
	s_delay_alu instid0(VALU_DEP_3)
	v_fma_f32 v14, v7, v15, -v16
	s_wait_loadcnt_dscnt 0x200
	v_mul_f32_e32 v15, v9, v18
	v_mul_f32_e32 v16, v10, v18
	;; [unrolled: 1-line block ×4, first 2 shown]
	ds_load_2addr_b64 v[5:8], v21 offset0:59 offset1:60
	v_fmac_f32_e32 v15, v10, v17
	v_fma_f32 v16, v9, v17, -v16
	v_fmac_f32_e32 v18, v12, v19
	v_fma_f32 v17, v11, v19, -v20
	scratch_load_b128 v[9:12], off, off offset:136
	s_wait_loadcnt_dscnt 0x100
	v_mul_f32_e32 v19, v5, v2
	v_mul_f32_e32 v2, v6, v2
	;; [unrolled: 1-line block ×3, first 2 shown]
	s_delay_alu instid0(VALU_DEP_3) | instskip(NEXT) | instid1(VALU_DEP_3)
	v_dual_mul_f32 v4, v8, v4 :: v_dual_fmac_f32 v19, v6, v1
	v_fma_f32 v120, v5, v1, -v2
	s_delay_alu instid0(VALU_DEP_3) | instskip(NEXT) | instid1(VALU_DEP_3)
	v_fmac_f32_e32 v20, v8, v3
	v_fma_f32 v121, v7, v3, -v4
	ds_load_2addr_b64 v[1:4], v21 offset0:61 offset1:62
	ds_load_2addr_b64 v[5:8], v21 offset0:63 offset1:64
	s_wait_loadcnt_dscnt 0x1
	v_mul_f32_e32 v127, v1, v10
	v_mul_f32_e32 v10, v2, v10
	s_delay_alu instid0(VALU_DEP_2) | instskip(NEXT) | instid1(VALU_DEP_2)
	v_dual_mul_f32 v128, v3, v12 :: v_dual_fmac_f32 v127, v2, v9
	v_fma_f32 v129, v1, v9, -v10
	v_mul_f32_e32 v1, v4, v12
	s_delay_alu instid0(VALU_DEP_3) | instskip(NEXT) | instid1(VALU_DEP_2)
	v_fmac_f32_e32 v128, v4, v11
	v_fma_f32 v130, v3, v11, -v1
	s_clause 0x1
	scratch_load_b128 v[1:4], off, off offset:152
	scratch_load_b128 v[9:12], off, off offset:168
	s_wait_loadcnt_dscnt 0x100
	v_mul_f32_e32 v131, v5, v2
	v_dual_mul_f32 v2, v6, v2 :: v_dual_mul_f32 v133, v7, v4
	s_delay_alu instid0(VALU_DEP_2) | instskip(NEXT) | instid1(VALU_DEP_2)
	v_fmac_f32_e32 v131, v6, v1
	v_fma_f32 v132, v5, v1, -v2
	v_mul_f32_e32 v1, v8, v4
	s_delay_alu instid0(VALU_DEP_4) | instskip(NEXT) | instid1(VALU_DEP_2)
	v_fmac_f32_e32 v133, v8, v3
	v_fma_f32 v134, v7, v3, -v1
	ds_load_2addr_b64 v[1:4], v21 offset0:65 offset1:66
	ds_load_2addr_b64 v[5:8], v21 offset0:67 offset1:68
	s_wait_loadcnt_dscnt 0x1
	v_mul_f32_e32 v135, v1, v10
	v_mul_f32_e32 v137, v3, v12
	s_delay_alu instid0(VALU_DEP_2) | instskip(NEXT) | instid1(VALU_DEP_2)
	v_fmac_f32_e32 v135, v2, v9
	v_dual_mul_f32 v2, v2, v10 :: v_dual_fmac_f32 v137, v4, v11
	s_delay_alu instid0(VALU_DEP_1) | instskip(SKIP_1) | instid1(VALU_DEP_1)
	v_fma_f32 v136, v1, v9, -v2
	v_mul_f32_e32 v1, v4, v12
	v_fma_f32 v138, v3, v11, -v1
	s_clause 0x1
	scratch_load_b128 v[1:4], off, off offset:184
	scratch_load_b128 v[9:12], off, off offset:200
	s_wait_loadcnt_dscnt 0x100
	v_mul_f32_e32 v139, v5, v2
	v_dual_mul_f32 v2, v6, v2 :: v_dual_mul_f32 v141, v7, v4
	s_delay_alu instid0(VALU_DEP_2) | instskip(NEXT) | instid1(VALU_DEP_2)
	v_fmac_f32_e32 v139, v6, v1
	v_fma_f32 v140, v5, v1, -v2
	v_mul_f32_e32 v1, v8, v4
	s_delay_alu instid0(VALU_DEP_4) | instskip(NEXT) | instid1(VALU_DEP_2)
	v_fmac_f32_e32 v141, v8, v3
	v_fma_f32 v142, v7, v3, -v1
	ds_load_2addr_b64 v[1:4], v21 offset0:69 offset1:70
	ds_load_2addr_b64 v[5:8], v21 offset0:71 offset1:72
	s_wait_loadcnt_dscnt 0x1
	v_mul_f32_e32 v143, v1, v10
	v_mul_f32_e32 v145, v3, v12
	s_delay_alu instid0(VALU_DEP_2) | instskip(NEXT) | instid1(VALU_DEP_2)
	v_fmac_f32_e32 v143, v2, v9
	v_dual_mul_f32 v2, v2, v10 :: v_dual_fmac_f32 v145, v4, v11
	s_delay_alu instid0(VALU_DEP_1) | instskip(SKIP_1) | instid1(VALU_DEP_1)
	v_fma_f32 v144, v1, v9, -v2
	v_mul_f32_e32 v1, v4, v12
	;; [unrolled: 25-line block ×3, first 2 shown]
	v_fma_f32 v154, v3, v11, -v1
	s_clause 0x1
	scratch_load_b128 v[1:4], off, off offset:248
	scratch_load_b128 v[9:12], off, off offset:264
	s_wait_loadcnt_dscnt 0x100
	v_mul_f32_e32 v155, v5, v2
	v_mul_f32_e32 v2, v6, v2
	s_delay_alu instid0(VALU_DEP_1) | instskip(SKIP_1) | instid1(VALU_DEP_1)
	v_fma_f32 v156, v5, v1, -v2
	v_add_f32_e32 v2, 0, v124
	v_add_f32_e32 v2, v2, v125
	s_delay_alu instid0(VALU_DEP_1) | instskip(NEXT) | instid1(VALU_DEP_1)
	v_add_f32_e32 v2, v2, v111
	v_add_f32_e32 v2, v2, v112
	s_delay_alu instid0(VALU_DEP_1) | instskip(NEXT) | instid1(VALU_DEP_1)
	;; [unrolled: 3-line block ×3, first 2 shown]
	v_add_f32_e32 v2, v2, v118
	v_add_f32_e32 v2, v2, v119
	s_delay_alu instid0(VALU_DEP_1) | instskip(SKIP_1) | instid1(VALU_DEP_2)
	v_dual_add_f32 v2, v2, v15 :: v_dual_mul_f32 v157, v7, v4
	v_fmac_f32_e32 v155, v6, v1
	v_dual_add_f32 v2, v2, v18 :: v_dual_mul_f32 v1, v8, v4
	s_delay_alu instid0(VALU_DEP_1) | instskip(NEXT) | instid1(VALU_DEP_4)
	v_add_f32_e32 v2, v2, v19
	v_fmac_f32_e32 v157, v8, v3
	s_delay_alu instid0(VALU_DEP_3) | instskip(NEXT) | instid1(VALU_DEP_3)
	v_fma_f32 v158, v7, v3, -v1
	v_dual_add_f32 v2, v2, v20 :: v_dual_add_f32 v1, 0, v22
	s_delay_alu instid0(VALU_DEP_1) | instskip(NEXT) | instid1(VALU_DEP_1)
	v_dual_add_f32 v2, v2, v127 :: v_dual_add_f32 v1, v1, v110
	v_add_f32_e32 v5, v2, v128
	s_delay_alu instid0(VALU_DEP_2) | instskip(NEXT) | instid1(VALU_DEP_1)
	v_add_f32_e32 v1, v1, v114
	v_add_f32_e32 v1, v1, v115
	s_delay_alu instid0(VALU_DEP_1) | instskip(NEXT) | instid1(VALU_DEP_1)
	v_add_f32_e32 v1, v1, v116
	v_add_f32_e32 v1, v1, v117
	s_delay_alu instid0(VALU_DEP_1) | instskip(SKIP_1) | instid1(VALU_DEP_2)
	v_add_f32_e32 v1, v1, v13
	v_add_f32_e32 v13, v5, v131
	;; [unrolled: 1-line block ×3, first 2 shown]
	s_delay_alu instid0(VALU_DEP_2) | instskip(NEXT) | instid1(VALU_DEP_1)
	v_add_f32_e32 v13, v13, v133
	v_add_f32_e32 v13, v13, v135
	s_delay_alu instid0(VALU_DEP_1) | instskip(NEXT) | instid1(VALU_DEP_1)
	v_add_f32_e32 v18, v13, v137
	v_dual_add_f32 v18, v18, v139 :: v_dual_add_f32 v1, v1, v16
	s_delay_alu instid0(VALU_DEP_1) | instskip(NEXT) | instid1(VALU_DEP_2)
	v_add_f32_e32 v18, v18, v141
	v_add_f32_e32 v1, v1, v17
	s_delay_alu instid0(VALU_DEP_1) | instskip(NEXT) | instid1(VALU_DEP_1)
	v_add_f32_e32 v1, v1, v120
	v_add_f32_e32 v1, v1, v121
	s_delay_alu instid0(VALU_DEP_1) | instskip(NEXT) | instid1(VALU_DEP_1)
	v_add_f32_e32 v1, v1, v129
	v_add_f32_e32 v1, v1, v130
	s_delay_alu instid0(VALU_DEP_1)
	v_add_f32_e32 v6, v1, v132
	ds_load_2addr_b64 v[1:4], v21 offset0:77 offset1:78
	v_add_f32_e32 v110, v18, v143
	v_add_f32_e32 v14, v6, v134
	scratch_load_b128 v[5:8], off, off offset:280
	v_add_f32_e32 v110, v110, v145
	v_add_f32_e32 v14, v14, v136
	s_delay_alu instid0(VALU_DEP_1)
	v_add_f32_e32 v17, v14, v138
	ds_load_2addr_b64 v[13:16], v21 offset0:79 offset1:80
	s_wait_loadcnt_dscnt 0x101
	v_mul_f32_e32 v22, v1, v10
	v_mul_f32_e32 v10, v2, v10
	;; [unrolled: 1-line block ×4, first 2 shown]
	v_add_f32_e32 v110, v110, v147
	v_fmac_f32_e32 v22, v2, v9
	v_fma_f32 v115, v1, v9, -v10
	v_fmac_f32_e32 v114, v4, v11
	v_fma_f32 v116, v3, v11, -v12
	s_clause 0x1
	scratch_load_b128 v[9:12], off, off offset:312
	scratch_load_b128 v[1:4], off, off offset:296
	v_add_f32_e32 v17, v17, v140
	s_wait_loadcnt_dscnt 0x200
	v_mul_f32_e32 v117, v13, v6
	v_mul_f32_e32 v6, v14, v6
	;; [unrolled: 1-line block ×3, first 2 shown]
	s_delay_alu instid0(VALU_DEP_3) | instskip(SKIP_1) | instid1(VALU_DEP_4)
	v_dual_mul_f32 v8, v16, v8 :: v_dual_fmac_f32 v117, v14, v5
	v_add_f32_e32 v17, v17, v142
	v_fma_f32 v119, v13, v5, -v6
	s_delay_alu instid0(VALU_DEP_4) | instskip(NEXT) | instid1(VALU_DEP_4)
	v_fmac_f32_e32 v118, v16, v7
	v_fma_f32 v120, v15, v7, -v8
	ds_load_2addr_b64 v[5:8], v21 offset0:81 offset1:82
	v_add_f32_e32 v17, v17, v144
	s_delay_alu instid0(VALU_DEP_1) | instskip(SKIP_3) | instid1(VALU_DEP_1)
	v_add_f32_e32 v111, v17, v146
	scratch_load_b128 v[17:20], off, off offset:328
	v_add_f32_e32 v13, v110, v149
	v_add_f32_e32 v111, v111, v148
	;; [unrolled: 1-line block ×3, first 2 shown]
	s_delay_alu instid0(VALU_DEP_1)
	v_dual_add_f32 v110, v111, v152 :: v_dual_add_f32 v111, v13, v151
	ds_load_2addr_b64 v[13:16], v21 offset0:83 offset1:84
	v_dual_add_f32 v121, v110, v154 :: v_dual_add_f32 v124, v111, v153
	ds_load_2addr_b64 v[110:113], v21 offset0:85 offset1:86
	v_add_f32_e32 v21, v121, v156
	s_wait_loadcnt_dscnt 0x201
	v_mul_f32_e32 v125, v15, v12
	s_delay_alu instid0(VALU_DEP_1) | instskip(SKIP_2) | instid1(VALU_DEP_1)
	v_fmac_f32_e32 v125, v16, v11
	s_wait_loadcnt 0x1
	v_dual_add_f32 v121, v124, v155 :: v_dual_mul_f32 v124, v5, v2
	v_dual_mul_f32 v2, v6, v2 :: v_dual_add_f32 v121, v121, v157
	s_delay_alu instid0(VALU_DEP_2) | instskip(SKIP_2) | instid1(VALU_DEP_4)
	v_fmac_f32_e32 v124, v6, v1
	v_mul_f32_e32 v6, v14, v10
	v_add_f32_e32 v21, v21, v158
	v_fma_f32 v2, v5, v1, -v2
	v_add_f32_e32 v22, v121, v22
	v_mul_f32_e32 v121, v13, v10
	s_delay_alu instid0(VALU_DEP_2) | instskip(NEXT) | instid1(VALU_DEP_2)
	v_add_f32_e32 v22, v22, v114
	v_fmac_f32_e32 v121, v14, v9
	s_delay_alu instid0(VALU_DEP_2) | instskip(NEXT) | instid1(VALU_DEP_1)
	v_dual_add_f32 v21, v21, v115 :: v_dual_add_f32 v22, v22, v117
	v_add_f32_e32 v21, v21, v116
	s_delay_alu instid0(VALU_DEP_2) | instskip(NEXT) | instid1(VALU_DEP_2)
	v_add_f32_e32 v5, v22, v118
	v_add_f32_e32 v21, v21, v119
	s_delay_alu instid0(VALU_DEP_1) | instskip(NEXT) | instid1(VALU_DEP_1)
	v_add_f32_e32 v1, v21, v120
	v_add_f32_e32 v1, v1, v2
	s_delay_alu instid0(VALU_DEP_4)
	v_add_f32_e32 v2, v5, v124
	v_fma_f32 v5, v13, v9, -v6
	s_wait_loadcnt_dscnt 0x0
	v_mul_f32_e32 v116, v112, v20
	v_mul_f32_e32 v115, v7, v4
	;; [unrolled: 1-line block ×4, first 2 shown]
	s_delay_alu instid0(VALU_DEP_4) | instskip(NEXT) | instid1(VALU_DEP_4)
	v_fmac_f32_e32 v116, v113, v19
	v_fmac_f32_e32 v115, v8, v3
	s_delay_alu instid0(VALU_DEP_4) | instskip(SKIP_2) | instid1(VALU_DEP_4)
	v_fma_f32 v3, v7, v3, -v4
	v_mul_f32_e32 v4, v16, v12
	v_fmac_f32_e32 v114, v111, v17
	v_add_f32_e32 v2, v2, v115
	s_delay_alu instid0(VALU_DEP_4) | instskip(SKIP_2) | instid1(VALU_DEP_4)
	v_add_f32_e32 v1, v1, v3
	v_mul_f32_e32 v3, v111, v18
	v_fma_f32 v4, v15, v11, -v4
	v_add_f32_e32 v2, v2, v121
	s_delay_alu instid0(VALU_DEP_4) | instskip(SKIP_2) | instid1(VALU_DEP_3)
	v_add_f32_e32 v1, v1, v5
	v_mul_f32_e32 v5, v113, v20
	v_fma_f32 v3, v110, v17, -v3
	v_dual_add_f32 v2, v2, v125 :: v_dual_add_f32 v1, v1, v4
	s_delay_alu instid0(VALU_DEP_3) | instskip(NEXT) | instid1(VALU_DEP_2)
	v_fma_f32 v4, v112, v19, -v5
	v_dual_add_f32 v2, v2, v114 :: v_dual_add_f32 v1, v1, v3
	s_delay_alu instid0(VALU_DEP_1) | instskip(NEXT) | instid1(VALU_DEP_1)
	v_add_f32_e32 v2, v2, v116
	v_dual_add_f32 v1, v1, v4 :: v_dual_sub_f32 v2, v123, v2
	s_delay_alu instid0(VALU_DEP_1)
	v_sub_f32_e32 v1, v122, v1
	scratch_store_b64 off, v[1:2], off offset:32
	v_cmpx_lt_u32_e32 3, v0
	s_cbranch_execz .LBB42_265
; %bb.264:
	scratch_load_b64 v[1:2], off, off offset:24
	v_mov_b32_e32 v3, 0
	s_delay_alu instid0(VALU_DEP_1)
	v_mov_b32_e32 v4, v3
	scratch_store_b64 off, v[3:4], off offset:24
	s_wait_loadcnt 0x0
	ds_store_b64 v23, v[1:2]
.LBB42_265:
	s_wait_alu 0xfffe
	s_or_b32 exec_lo, exec_lo, s0
	s_wait_storecnt_dscnt 0x0
	s_barrier_signal -1
	s_barrier_wait -1
	global_inv scope:SCOPE_SE
	s_clause 0x4
	scratch_load_b128 v[5:8], off, off offset:32
	scratch_load_b128 v[1:4], off, off offset:48
	;; [unrolled: 1-line block ×5, first 2 shown]
	v_mov_b32_e32 v21, 0
	ds_load_b128 v[110:113], v21 offset:384
	ds_load_b128 v[114:117], v21 offset:400
	;; [unrolled: 1-line block ×3, first 2 shown]
	scratch_load_b64 v[122:123], off, off offset:24
	s_mov_b32 s0, exec_lo
	s_wait_loadcnt_dscnt 0x502
	v_mul_f32_e32 v22, v111, v6
	v_dual_mul_f32 v124, v110, v6 :: v_dual_mul_f32 v125, v112, v8
	v_mul_f32_e32 v6, v113, v8
	s_delay_alu instid0(VALU_DEP_3) | instskip(NEXT) | instid1(VALU_DEP_3)
	v_fma_f32 v22, v110, v5, -v22
	v_dual_fmac_f32 v124, v111, v5 :: v_dual_fmac_f32 v125, v113, v7
	s_wait_loadcnt_dscnt 0x401
	v_mul_f32_e32 v111, v114, v2
	v_fma_f32 v110, v112, v7, -v6
	ds_load_b128 v[5:8], v21 offset:432
	s_wait_loadcnt_dscnt 0x301
	v_dual_mul_f32 v112, v116, v4 :: v_dual_mul_f32 v113, v118, v10
	v_dual_mul_f32 v4, v117, v4 :: v_dual_fmac_f32 v111, v115, v1
	v_mul_f32_e32 v10, v119, v10
	s_delay_alu instid0(VALU_DEP_3)
	v_dual_mul_f32 v126, v120, v12 :: v_dual_fmac_f32 v113, v119, v9
	v_mul_f32_e32 v12, v121, v12
	v_mul_f32_e32 v2, v115, v2
	v_fmac_f32_e32 v112, v117, v3
	v_fma_f32 v115, v116, v3, -v4
	v_fma_f32 v116, v118, v9, -v10
	v_fmac_f32_e32 v126, v121, v11
	v_fma_f32 v117, v120, v11, -v12
	ds_load_b128 v[9:12], v21 offset:448
	s_wait_loadcnt_dscnt 0x201
	v_dual_mul_f32 v119, v7, v16 :: v_dual_mul_f32 v118, v5, v14
	v_mul_f32_e32 v14, v6, v14
	v_mul_f32_e32 v16, v8, v16
	s_delay_alu instid0(VALU_DEP_3)
	v_fmac_f32_e32 v119, v8, v15
	v_fma_f32 v114, v114, v1, -v2
	scratch_load_b128 v[1:4], off, off offset:112
	v_fmac_f32_e32 v118, v6, v13
	v_fma_f32 v13, v5, v13, -v14
	v_fma_f32 v14, v7, v15, -v16
	ds_load_b128 v[5:8], v21 offset:464
	s_wait_loadcnt_dscnt 0x201
	v_mul_f32_e32 v15, v9, v18
	v_mul_f32_e32 v16, v10, v18
	v_mul_f32_e32 v18, v11, v20
	s_delay_alu instid0(VALU_DEP_3) | instskip(NEXT) | instid1(VALU_DEP_3)
	v_dual_mul_f32 v20, v12, v20 :: v_dual_fmac_f32 v15, v10, v17
	v_fma_f32 v16, v9, v17, -v16
	s_delay_alu instid0(VALU_DEP_3) | instskip(NEXT) | instid1(VALU_DEP_3)
	v_fmac_f32_e32 v18, v12, v19
	v_fma_f32 v17, v11, v19, -v20
	scratch_load_b128 v[9:12], off, off offset:128
	s_wait_loadcnt_dscnt 0x100
	v_mul_f32_e32 v19, v5, v2
	v_mul_f32_e32 v2, v6, v2
	;; [unrolled: 1-line block ×3, first 2 shown]
	s_delay_alu instid0(VALU_DEP_3) | instskip(NEXT) | instid1(VALU_DEP_3)
	v_dual_mul_f32 v4, v8, v4 :: v_dual_fmac_f32 v19, v6, v1
	v_fma_f32 v120, v5, v1, -v2
	s_delay_alu instid0(VALU_DEP_3) | instskip(NEXT) | instid1(VALU_DEP_3)
	v_fmac_f32_e32 v20, v8, v3
	v_fma_f32 v121, v7, v3, -v4
	ds_load_b128 v[1:4], v21 offset:480
	ds_load_b128 v[5:8], v21 offset:496
	s_wait_loadcnt_dscnt 0x1
	v_mul_f32_e32 v127, v1, v10
	v_mul_f32_e32 v10, v2, v10
	s_delay_alu instid0(VALU_DEP_2) | instskip(NEXT) | instid1(VALU_DEP_2)
	v_dual_mul_f32 v128, v3, v12 :: v_dual_fmac_f32 v127, v2, v9
	v_fma_f32 v129, v1, v9, -v10
	v_mul_f32_e32 v1, v4, v12
	s_delay_alu instid0(VALU_DEP_3) | instskip(NEXT) | instid1(VALU_DEP_2)
	v_fmac_f32_e32 v128, v4, v11
	v_fma_f32 v130, v3, v11, -v1
	s_clause 0x1
	scratch_load_b128 v[1:4], off, off offset:144
	scratch_load_b128 v[9:12], off, off offset:160
	s_wait_loadcnt_dscnt 0x100
	v_mul_f32_e32 v131, v5, v2
	v_dual_mul_f32 v2, v6, v2 :: v_dual_mul_f32 v133, v7, v4
	s_delay_alu instid0(VALU_DEP_2) | instskip(NEXT) | instid1(VALU_DEP_2)
	v_fmac_f32_e32 v131, v6, v1
	v_fma_f32 v132, v5, v1, -v2
	v_mul_f32_e32 v1, v8, v4
	s_delay_alu instid0(VALU_DEP_4) | instskip(NEXT) | instid1(VALU_DEP_2)
	v_fmac_f32_e32 v133, v8, v3
	v_fma_f32 v134, v7, v3, -v1
	ds_load_b128 v[1:4], v21 offset:512
	ds_load_b128 v[5:8], v21 offset:528
	s_wait_loadcnt_dscnt 0x1
	v_mul_f32_e32 v135, v1, v10
	v_mul_f32_e32 v137, v3, v12
	s_delay_alu instid0(VALU_DEP_2) | instskip(NEXT) | instid1(VALU_DEP_2)
	v_fmac_f32_e32 v135, v2, v9
	v_dual_mul_f32 v2, v2, v10 :: v_dual_fmac_f32 v137, v4, v11
	s_delay_alu instid0(VALU_DEP_1) | instskip(SKIP_1) | instid1(VALU_DEP_1)
	v_fma_f32 v136, v1, v9, -v2
	v_mul_f32_e32 v1, v4, v12
	v_fma_f32 v138, v3, v11, -v1
	s_clause 0x1
	scratch_load_b128 v[1:4], off, off offset:176
	scratch_load_b128 v[9:12], off, off offset:192
	s_wait_loadcnt_dscnt 0x100
	v_mul_f32_e32 v139, v5, v2
	v_dual_mul_f32 v141, v7, v4 :: v_dual_mul_f32 v2, v6, v2
	s_delay_alu instid0(VALU_DEP_2) | instskip(NEXT) | instid1(VALU_DEP_2)
	v_fmac_f32_e32 v139, v6, v1
	v_fmac_f32_e32 v141, v8, v3
	s_delay_alu instid0(VALU_DEP_3) | instskip(SKIP_1) | instid1(VALU_DEP_1)
	v_fma_f32 v140, v5, v1, -v2
	v_mul_f32_e32 v1, v8, v4
	v_fma_f32 v142, v7, v3, -v1
	ds_load_b128 v[1:4], v21 offset:544
	ds_load_b128 v[5:8], v21 offset:560
	s_wait_loadcnt_dscnt 0x1
	v_mul_f32_e32 v143, v1, v10
	v_mul_f32_e32 v145, v3, v12
	s_delay_alu instid0(VALU_DEP_2) | instskip(NEXT) | instid1(VALU_DEP_2)
	v_fmac_f32_e32 v143, v2, v9
	v_dual_mul_f32 v2, v2, v10 :: v_dual_fmac_f32 v145, v4, v11
	s_delay_alu instid0(VALU_DEP_1) | instskip(SKIP_1) | instid1(VALU_DEP_1)
	v_fma_f32 v144, v1, v9, -v2
	v_mul_f32_e32 v1, v4, v12
	v_fma_f32 v146, v3, v11, -v1
	s_clause 0x1
	scratch_load_b128 v[1:4], off, off offset:208
	scratch_load_b128 v[9:12], off, off offset:224
	s_wait_loadcnt_dscnt 0x100
	v_mul_f32_e32 v147, v5, v2
	v_dual_mul_f32 v2, v6, v2 :: v_dual_mul_f32 v149, v7, v4
	s_delay_alu instid0(VALU_DEP_2) | instskip(NEXT) | instid1(VALU_DEP_2)
	v_fmac_f32_e32 v147, v6, v1
	v_fma_f32 v148, v5, v1, -v2
	v_mul_f32_e32 v1, v8, v4
	s_delay_alu instid0(VALU_DEP_4) | instskip(NEXT) | instid1(VALU_DEP_2)
	v_fmac_f32_e32 v149, v8, v3
	v_fma_f32 v150, v7, v3, -v1
	ds_load_b128 v[1:4], v21 offset:576
	ds_load_b128 v[5:8], v21 offset:592
	s_wait_loadcnt_dscnt 0x1
	v_mul_f32_e32 v151, v1, v10
	v_mul_f32_e32 v153, v3, v12
	s_delay_alu instid0(VALU_DEP_2) | instskip(NEXT) | instid1(VALU_DEP_2)
	v_fmac_f32_e32 v151, v2, v9
	v_dual_mul_f32 v2, v2, v10 :: v_dual_fmac_f32 v153, v4, v11
	s_delay_alu instid0(VALU_DEP_1) | instskip(SKIP_1) | instid1(VALU_DEP_1)
	v_fma_f32 v152, v1, v9, -v2
	v_mul_f32_e32 v1, v4, v12
	v_fma_f32 v154, v3, v11, -v1
	s_clause 0x1
	scratch_load_b128 v[1:4], off, off offset:240
	scratch_load_b128 v[9:12], off, off offset:256
	s_wait_loadcnt_dscnt 0x100
	v_mul_f32_e32 v155, v5, v2
	v_mul_f32_e32 v2, v6, v2
	s_delay_alu instid0(VALU_DEP_1) | instskip(SKIP_1) | instid1(VALU_DEP_1)
	v_fma_f32 v156, v5, v1, -v2
	v_add_f32_e32 v2, 0, v124
	v_add_f32_e32 v2, v2, v125
	s_delay_alu instid0(VALU_DEP_1) | instskip(NEXT) | instid1(VALU_DEP_1)
	v_add_f32_e32 v2, v2, v111
	v_add_f32_e32 v2, v2, v112
	s_delay_alu instid0(VALU_DEP_1) | instskip(NEXT) | instid1(VALU_DEP_1)
	;; [unrolled: 3-line block ×4, first 2 shown]
	v_dual_add_f32 v2, v2, v15 :: v_dual_mul_f32 v157, v7, v4
	v_add_f32_e32 v2, v2, v18
	s_delay_alu instid0(VALU_DEP_1) | instskip(SKIP_1) | instid1(VALU_DEP_2)
	v_add_f32_e32 v2, v2, v19
	v_fmac_f32_e32 v155, v6, v1
	v_dual_fmac_f32 v157, v8, v3 :: v_dual_add_f32 v2, v2, v20
	s_delay_alu instid0(VALU_DEP_1) | instskip(NEXT) | instid1(VALU_DEP_1)
	v_dual_mul_f32 v1, v8, v4 :: v_dual_add_f32 v2, v2, v127
	v_fma_f32 v158, v7, v3, -v1
	v_add_f32_e32 v1, 0, v22
	s_delay_alu instid0(VALU_DEP_3) | instskip(NEXT) | instid1(VALU_DEP_2)
	v_add_f32_e32 v5, v2, v128
	v_add_f32_e32 v1, v1, v110
	s_delay_alu instid0(VALU_DEP_1) | instskip(NEXT) | instid1(VALU_DEP_1)
	v_add_f32_e32 v1, v1, v114
	v_add_f32_e32 v1, v1, v115
	scratch_load_b64 v[114:115], off, off offset:336
	v_add_f32_e32 v1, v1, v116
	s_delay_alu instid0(VALU_DEP_1) | instskip(NEXT) | instid1(VALU_DEP_1)
	v_add_f32_e32 v1, v1, v117
	v_add_f32_e32 v1, v1, v13
	;; [unrolled: 1-line block ×3, first 2 shown]
	s_delay_alu instid0(VALU_DEP_1) | instskip(NEXT) | instid1(VALU_DEP_1)
	v_add_f32_e32 v13, v13, v133
	v_add_f32_e32 v13, v13, v135
	s_delay_alu instid0(VALU_DEP_1) | instskip(NEXT) | instid1(VALU_DEP_1)
	v_add_f32_e32 v18, v13, v137
	v_dual_add_f32 v18, v18, v139 :: v_dual_add_f32 v1, v1, v14
	s_delay_alu instid0(VALU_DEP_1) | instskip(NEXT) | instid1(VALU_DEP_1)
	v_dual_add_f32 v18, v18, v141 :: v_dual_add_f32 v1, v1, v16
	v_add_f32_e32 v1, v1, v17
	s_delay_alu instid0(VALU_DEP_1) | instskip(NEXT) | instid1(VALU_DEP_1)
	v_add_f32_e32 v1, v1, v120
	v_add_f32_e32 v1, v1, v121
	s_delay_alu instid0(VALU_DEP_1) | instskip(NEXT) | instid1(VALU_DEP_1)
	v_add_f32_e32 v1, v1, v129
	v_add_f32_e32 v1, v1, v130
	s_delay_alu instid0(VALU_DEP_1)
	v_add_f32_e32 v6, v1, v132
	scratch_load_b128 v[1:4], off, off offset:272
	v_add_f32_e32 v110, v18, v143
	v_add_f32_e32 v14, v6, v134
	ds_load_b128 v[5:8], v21 offset:608
	v_add_f32_e32 v110, v110, v145
	v_add_f32_e32 v14, v14, v136
	s_delay_alu instid0(VALU_DEP_1)
	v_add_f32_e32 v17, v14, v138
	ds_load_b128 v[13:16], v21 offset:624
	s_wait_loadcnt_dscnt 0x201
	v_mul_f32_e32 v22, v5, v10
	v_mul_f32_e32 v10, v6, v10
	;; [unrolled: 1-line block ×4, first 2 shown]
	v_add_f32_e32 v110, v110, v147
	v_fmac_f32_e32 v22, v6, v9
	v_fma_f32 v119, v5, v9, -v10
	v_fmac_f32_e32 v118, v8, v11
	v_fma_f32 v120, v7, v11, -v12
	scratch_load_b128 v[5:8], off, off offset:288
	v_add_f32_e32 v110, v110, v149
	scratch_load_b128 v[9:12], off, off offset:304
	s_wait_loadcnt_dscnt 0x200
	v_mul_f32_e32 v121, v13, v2
	v_mul_f32_e32 v2, v14, v2
	;; [unrolled: 1-line block ×3, first 2 shown]
	s_delay_alu instid0(VALU_DEP_3) | instskip(NEXT) | instid1(VALU_DEP_3)
	v_dual_mul_f32 v4, v16, v4 :: v_dual_fmac_f32 v121, v14, v1
	v_fma_f32 v125, v13, v1, -v2
	v_add_f32_e32 v13, v110, v151
	s_delay_alu instid0(VALU_DEP_4) | instskip(NEXT) | instid1(VALU_DEP_4)
	v_fmac_f32_e32 v124, v16, v3
	v_fma_f32 v126, v15, v3, -v4
	ds_load_b128 v[1:4], v21 offset:640
	v_add_f32_e32 v110, v13, v153
	s_delay_alu instid0(VALU_DEP_1) | instskip(NEXT) | instid1(VALU_DEP_1)
	v_add_f32_e32 v117, v110, v155
	v_add_f32_e32 v128, v117, v157
	s_delay_alu instid0(VALU_DEP_1) | instskip(NEXT) | instid1(VALU_DEP_1)
	v_dual_add_f32 v17, v17, v140 :: v_dual_add_f32 v22, v128, v22
	v_add_f32_e32 v17, v17, v142
	s_delay_alu instid0(VALU_DEP_1) | instskip(NEXT) | instid1(VALU_DEP_1)
	v_dual_add_f32 v22, v22, v118 :: v_dual_add_f32 v17, v17, v144
	v_dual_add_f32 v22, v22, v121 :: v_dual_add_f32 v111, v17, v146
	scratch_load_b128 v[17:20], off, off offset:320
	v_add_f32_e32 v22, v22, v124
	v_add_f32_e32 v111, v111, v148
	s_delay_alu instid0(VALU_DEP_1) | instskip(NEXT) | instid1(VALU_DEP_1)
	v_add_f32_e32 v111, v111, v150
	v_add_f32_e32 v111, v111, v152
	s_delay_alu instid0(VALU_DEP_1)
	v_add_f32_e32 v14, v111, v154
	ds_load_b128 v[110:113], v21 offset:672
	v_add_f32_e32 v116, v14, v156
	ds_load_b128 v[13:16], v21 offset:656
	s_wait_loadcnt_dscnt 0x202
	v_mul_f32_e32 v118, v3, v8
	v_mul_f32_e32 v8, v4, v8
	v_add_f32_e32 v127, v116, v158
	ds_load_b64 v[116:117], v21 offset:688
	v_fmac_f32_e32 v118, v4, v7
	v_add_f32_e32 v119, v127, v119
	v_mul_f32_e32 v127, v1, v6
	v_mul_f32_e32 v6, v2, v6
	s_delay_alu instid0(VALU_DEP_2) | instskip(NEXT) | instid1(VALU_DEP_4)
	v_fmac_f32_e32 v127, v2, v5
	v_add_f32_e32 v119, v119, v120
	s_delay_alu instid0(VALU_DEP_3)
	v_fma_f32 v1, v1, v5, -v6
	v_fma_f32 v2, v3, v7, -v8
	s_wait_loadcnt_dscnt 0x101
	v_mul_f32_e32 v120, v13, v10
	v_add_f32_e32 v4, v22, v127
	v_mul_f32_e32 v3, v14, v10
	s_delay_alu instid0(VALU_DEP_3) | instskip(SKIP_2) | instid1(VALU_DEP_3)
	v_fmac_f32_e32 v120, v14, v9
	s_wait_dscnt 0x0
	v_dual_add_f32 v119, v119, v125 :: v_dual_mul_f32 v124, v116, v115
	v_fma_f32 v3, v13, v9, -v3
	s_delay_alu instid0(VALU_DEP_2) | instskip(NEXT) | instid1(VALU_DEP_1)
	v_add_f32_e32 v119, v119, v126
	v_dual_fmac_f32 v124, v117, v114 :: v_dual_add_f32 v1, v119, v1
	s_delay_alu instid0(VALU_DEP_1) | instskip(SKIP_1) | instid1(VALU_DEP_1)
	v_add_f32_e32 v1, v1, v2
	v_add_f32_e32 v2, v4, v118
	;; [unrolled: 1-line block ×3, first 2 shown]
	s_wait_loadcnt 0x0
	v_mul_f32_e32 v126, v112, v20
	v_mul_f32_e32 v121, v15, v12
	;; [unrolled: 1-line block ×4, first 2 shown]
	s_delay_alu instid0(VALU_DEP_4) | instskip(NEXT) | instid1(VALU_DEP_4)
	v_fmac_f32_e32 v126, v113, v19
	v_fmac_f32_e32 v121, v16, v11
	s_delay_alu instid0(VALU_DEP_4) | instskip(NEXT) | instid1(VALU_DEP_4)
	v_fmac_f32_e32 v125, v111, v17
	v_fma_f32 v4, v110, v17, -v4
	s_delay_alu instid0(VALU_DEP_3) | instskip(NEXT) | instid1(VALU_DEP_1)
	v_dual_add_f32 v2, v2, v121 :: v_dual_mul_f32 v5, v16, v12
	v_add_f32_e32 v2, v2, v125
	s_delay_alu instid0(VALU_DEP_2) | instskip(NEXT) | instid1(VALU_DEP_2)
	v_fma_f32 v5, v15, v11, -v5
	v_add_f32_e32 v2, v2, v126
	s_delay_alu instid0(VALU_DEP_1) | instskip(NEXT) | instid1(VALU_DEP_1)
	v_dual_add_f32 v2, v2, v124 :: v_dual_add_f32 v1, v1, v3
	v_dual_mul_f32 v3, v113, v20 :: v_dual_sub_f32 v2, v123, v2
	s_delay_alu instid0(VALU_DEP_2) | instskip(SKIP_1) | instid1(VALU_DEP_3)
	v_add_f32_e32 v1, v1, v5
	v_mul_f32_e32 v5, v117, v115
	v_fma_f32 v3, v112, v19, -v3
	s_delay_alu instid0(VALU_DEP_3) | instskip(NEXT) | instid1(VALU_DEP_3)
	v_add_f32_e32 v1, v1, v4
	v_fma_f32 v4, v116, v114, -v5
	s_delay_alu instid0(VALU_DEP_2) | instskip(NEXT) | instid1(VALU_DEP_1)
	v_add_f32_e32 v1, v1, v3
	v_add_f32_e32 v1, v1, v4
	s_delay_alu instid0(VALU_DEP_1)
	v_sub_f32_e32 v1, v122, v1
	scratch_store_b64 off, v[1:2], off offset:24
	v_cmpx_lt_u32_e32 2, v0
	s_cbranch_execz .LBB42_267
; %bb.266:
	scratch_load_b64 v[1:2], off, off offset:16
	v_mov_b32_e32 v22, v21
	scratch_store_b64 off, v[21:22], off offset:16
	s_wait_loadcnt 0x0
	ds_store_b64 v23, v[1:2]
.LBB42_267:
	s_wait_alu 0xfffe
	s_or_b32 exec_lo, exec_lo, s0
	s_wait_storecnt_dscnt 0x0
	s_barrier_signal -1
	s_barrier_wait -1
	global_inv scope:SCOPE_SE
	s_clause 0x4
	scratch_load_b128 v[5:8], off, off offset:24
	scratch_load_b128 v[1:4], off, off offset:40
	;; [unrolled: 1-line block ×5, first 2 shown]
	ds_load_2addr_b64 v[110:113], v21 offset0:47 offset1:48
	ds_load_2addr_b64 v[114:117], v21 offset0:49 offset1:50
	;; [unrolled: 1-line block ×3, first 2 shown]
	scratch_load_b64 v[122:123], off, off offset:16
	s_mov_b32 s0, exec_lo
	s_wait_loadcnt_dscnt 0x502
	v_dual_mul_f32 v22, v111, v6 :: v_dual_mul_f32 v125, v112, v8
	v_mul_f32_e32 v124, v110, v6
	v_mul_f32_e32 v6, v113, v8
	s_wait_loadcnt_dscnt 0x300
	v_mul_f32_e32 v126, v120, v12
	v_fma_f32 v22, v110, v5, -v22
	v_dual_fmac_f32 v125, v113, v7 :: v_dual_fmac_f32 v124, v111, v5
	v_mul_f32_e32 v113, v118, v10
	v_mul_f32_e32 v111, v114, v2
	v_fma_f32 v110, v112, v7, -v6
	ds_load_2addr_b64 v[5:8], v21 offset0:53 offset1:54
	v_mul_f32_e32 v112, v116, v4
	v_dual_mul_f32 v4, v117, v4 :: v_dual_fmac_f32 v113, v119, v9
	v_mul_f32_e32 v10, v119, v10
	v_mul_f32_e32 v12, v121, v12
	;; [unrolled: 1-line block ×3, first 2 shown]
	v_dual_fmac_f32 v111, v115, v1 :: v_dual_fmac_f32 v112, v117, v3
	v_fma_f32 v115, v116, v3, -v4
	v_fma_f32 v116, v118, v9, -v10
	v_fmac_f32_e32 v126, v121, v11
	v_fma_f32 v117, v120, v11, -v12
	ds_load_2addr_b64 v[9:12], v21 offset0:55 offset1:56
	s_wait_loadcnt_dscnt 0x201
	v_dual_mul_f32 v119, v7, v16 :: v_dual_mul_f32 v118, v5, v14
	s_delay_alu instid0(VALU_DEP_1)
	v_dual_mul_f32 v14, v6, v14 :: v_dual_fmac_f32 v119, v8, v15
	v_fma_f32 v114, v114, v1, -v2
	scratch_load_b128 v[1:4], off, off offset:104
	v_mul_f32_e32 v16, v8, v16
	v_fmac_f32_e32 v118, v6, v13
	v_fma_f32 v13, v5, v13, -v14
	s_delay_alu instid0(VALU_DEP_3)
	v_fma_f32 v14, v7, v15, -v16
	s_wait_loadcnt_dscnt 0x200
	v_mul_f32_e32 v15, v9, v18
	v_mul_f32_e32 v16, v10, v18
	v_mul_f32_e32 v18, v11, v20
	v_mul_f32_e32 v20, v12, v20
	ds_load_2addr_b64 v[5:8], v21 offset0:57 offset1:58
	v_fmac_f32_e32 v15, v10, v17
	v_fma_f32 v16, v9, v17, -v16
	v_fmac_f32_e32 v18, v12, v19
	v_fma_f32 v17, v11, v19, -v20
	scratch_load_b128 v[9:12], off, off offset:120
	s_wait_loadcnt_dscnt 0x100
	v_mul_f32_e32 v19, v5, v2
	v_mul_f32_e32 v2, v6, v2
	;; [unrolled: 1-line block ×3, first 2 shown]
	s_delay_alu instid0(VALU_DEP_3) | instskip(NEXT) | instid1(VALU_DEP_3)
	v_dual_mul_f32 v4, v8, v4 :: v_dual_fmac_f32 v19, v6, v1
	v_fma_f32 v120, v5, v1, -v2
	s_delay_alu instid0(VALU_DEP_3) | instskip(NEXT) | instid1(VALU_DEP_3)
	v_fmac_f32_e32 v20, v8, v3
	v_fma_f32 v121, v7, v3, -v4
	ds_load_2addr_b64 v[1:4], v21 offset0:59 offset1:60
	ds_load_2addr_b64 v[5:8], v21 offset0:61 offset1:62
	s_wait_loadcnt_dscnt 0x1
	v_mul_f32_e32 v127, v1, v10
	v_mul_f32_e32 v10, v2, v10
	s_delay_alu instid0(VALU_DEP_2) | instskip(NEXT) | instid1(VALU_DEP_2)
	v_dual_mul_f32 v128, v3, v12 :: v_dual_fmac_f32 v127, v2, v9
	v_fma_f32 v129, v1, v9, -v10
	v_mul_f32_e32 v1, v4, v12
	s_delay_alu instid0(VALU_DEP_3) | instskip(NEXT) | instid1(VALU_DEP_2)
	v_fmac_f32_e32 v128, v4, v11
	v_fma_f32 v130, v3, v11, -v1
	s_clause 0x1
	scratch_load_b128 v[1:4], off, off offset:136
	scratch_load_b128 v[9:12], off, off offset:152
	s_wait_loadcnt_dscnt 0x100
	v_mul_f32_e32 v131, v5, v2
	v_dual_mul_f32 v2, v6, v2 :: v_dual_mul_f32 v133, v7, v4
	s_delay_alu instid0(VALU_DEP_2) | instskip(NEXT) | instid1(VALU_DEP_2)
	v_fmac_f32_e32 v131, v6, v1
	v_fma_f32 v132, v5, v1, -v2
	v_mul_f32_e32 v1, v8, v4
	s_delay_alu instid0(VALU_DEP_4) | instskip(NEXT) | instid1(VALU_DEP_2)
	v_fmac_f32_e32 v133, v8, v3
	v_fma_f32 v134, v7, v3, -v1
	ds_load_2addr_b64 v[1:4], v21 offset0:63 offset1:64
	ds_load_2addr_b64 v[5:8], v21 offset0:65 offset1:66
	s_wait_loadcnt_dscnt 0x1
	v_mul_f32_e32 v135, v1, v10
	v_mul_f32_e32 v137, v3, v12
	s_delay_alu instid0(VALU_DEP_2) | instskip(NEXT) | instid1(VALU_DEP_2)
	v_fmac_f32_e32 v135, v2, v9
	v_dual_mul_f32 v2, v2, v10 :: v_dual_fmac_f32 v137, v4, v11
	s_delay_alu instid0(VALU_DEP_1) | instskip(SKIP_1) | instid1(VALU_DEP_1)
	v_fma_f32 v136, v1, v9, -v2
	v_mul_f32_e32 v1, v4, v12
	v_fma_f32 v138, v3, v11, -v1
	s_clause 0x1
	scratch_load_b128 v[1:4], off, off offset:168
	scratch_load_b128 v[9:12], off, off offset:184
	s_wait_loadcnt_dscnt 0x100
	v_mul_f32_e32 v139, v5, v2
	v_dual_mul_f32 v2, v6, v2 :: v_dual_mul_f32 v141, v7, v4
	s_delay_alu instid0(VALU_DEP_2) | instskip(NEXT) | instid1(VALU_DEP_2)
	v_fmac_f32_e32 v139, v6, v1
	v_fma_f32 v140, v5, v1, -v2
	v_mul_f32_e32 v1, v8, v4
	s_delay_alu instid0(VALU_DEP_4) | instskip(NEXT) | instid1(VALU_DEP_2)
	v_fmac_f32_e32 v141, v8, v3
	v_fma_f32 v142, v7, v3, -v1
	ds_load_2addr_b64 v[1:4], v21 offset0:67 offset1:68
	ds_load_2addr_b64 v[5:8], v21 offset0:69 offset1:70
	s_wait_loadcnt_dscnt 0x1
	v_mul_f32_e32 v143, v1, v10
	v_mul_f32_e32 v145, v3, v12
	s_delay_alu instid0(VALU_DEP_2) | instskip(NEXT) | instid1(VALU_DEP_2)
	v_fmac_f32_e32 v143, v2, v9
	v_dual_mul_f32 v2, v2, v10 :: v_dual_fmac_f32 v145, v4, v11
	s_delay_alu instid0(VALU_DEP_1) | instskip(SKIP_1) | instid1(VALU_DEP_1)
	v_fma_f32 v144, v1, v9, -v2
	v_mul_f32_e32 v1, v4, v12
	;; [unrolled: 25-line block ×4, first 2 shown]
	v_fma_f32 v162, v3, v11, -v1
	s_clause 0x1
	scratch_load_b128 v[1:4], off, off offset:264
	scratch_load_b128 v[9:12], off, off offset:280
	s_wait_loadcnt_dscnt 0x100
	v_mul_f32_e32 v163, v5, v2
	v_mul_f32_e32 v2, v6, v2
	s_delay_alu instid0(VALU_DEP_1) | instskip(SKIP_1) | instid1(VALU_DEP_1)
	v_fma_f32 v164, v5, v1, -v2
	v_add_f32_e32 v2, 0, v124
	v_add_f32_e32 v2, v2, v125
	s_delay_alu instid0(VALU_DEP_1) | instskip(NEXT) | instid1(VALU_DEP_1)
	v_add_f32_e32 v2, v2, v111
	v_add_f32_e32 v2, v2, v112
	s_delay_alu instid0(VALU_DEP_1) | instskip(NEXT) | instid1(VALU_DEP_1)
	;; [unrolled: 3-line block ×6, first 2 shown]
	v_add_f32_e32 v2, v2, v127
	v_add_f32_e32 v2, v2, v128
	v_fmac_f32_e32 v163, v6, v1
	s_delay_alu instid0(VALU_DEP_2) | instskip(NEXT) | instid1(VALU_DEP_1)
	v_dual_add_f32 v2, v2, v131 :: v_dual_mul_f32 v165, v7, v4
	v_add_f32_e32 v2, v2, v133
	s_delay_alu instid0(VALU_DEP_1) | instskip(NEXT) | instid1(VALU_DEP_1)
	v_add_f32_e32 v5, v2, v135
	v_add_f32_e32 v5, v5, v137
	s_delay_alu instid0(VALU_DEP_1) | instskip(SKIP_1) | instid1(VALU_DEP_1)
	v_add_f32_e32 v5, v5, v139
	v_mul_f32_e32 v1, v8, v4
	v_fma_f32 v166, v7, v3, -v1
	v_add_f32_e32 v1, 0, v22
	s_delay_alu instid0(VALU_DEP_1) | instskip(NEXT) | instid1(VALU_DEP_1)
	v_add_f32_e32 v1, v1, v110
	v_add_f32_e32 v1, v1, v114
	s_delay_alu instid0(VALU_DEP_1) | instskip(NEXT) | instid1(VALU_DEP_1)
	v_add_f32_e32 v1, v1, v115
	;; [unrolled: 3-line block ×3, first 2 shown]
	v_add_f32_e32 v1, v1, v13
	s_delay_alu instid0(VALU_DEP_1) | instskip(SKIP_1) | instid1(VALU_DEP_2)
	v_add_f32_e32 v1, v1, v14
	v_add_f32_e32 v14, v5, v141
	v_add_f32_e32 v1, v1, v16
	s_delay_alu instid0(VALU_DEP_1) | instskip(NEXT) | instid1(VALU_DEP_1)
	v_add_f32_e32 v1, v1, v17
	v_add_f32_e32 v1, v1, v120
	s_delay_alu instid0(VALU_DEP_1) | instskip(NEXT) | instid1(VALU_DEP_1)
	v_add_f32_e32 v1, v1, v121
	v_add_f32_e32 v1, v1, v129
	;; [unrolled: 3-line block ×4, first 2 shown]
	s_delay_alu instid0(VALU_DEP_1) | instskip(SKIP_3) | instid1(VALU_DEP_2)
	v_dual_add_f32 v6, v1, v138 :: v_dual_fmac_f32 v165, v8, v3
	ds_load_2addr_b64 v[1:4], v21 offset0:79 offset1:80
	v_add_f32_e32 v14, v14, v143
	v_add_f32_e32 v6, v6, v140
	;; [unrolled: 1-line block ×3, first 2 shown]
	s_delay_alu instid0(VALU_DEP_2) | instskip(SKIP_2) | instid1(VALU_DEP_1)
	v_add_f32_e32 v13, v6, v142
	ds_load_2addr_b64 v[5:8], v21 offset0:81 offset1:82
	v_add_f32_e32 v13, v13, v144
	v_add_f32_e32 v13, v13, v146
	s_wait_loadcnt_dscnt 0x1
	v_mul_f32_e32 v22, v1, v10
	v_mul_f32_e32 v114, v3, v12
	;; [unrolled: 1-line block ×4, first 2 shown]
	s_delay_alu instid0(VALU_DEP_4) | instskip(NEXT) | instid1(VALU_DEP_4)
	v_dual_add_f32 v13, v13, v148 :: v_dual_fmac_f32 v22, v2, v9
	v_fmac_f32_e32 v114, v4, v11
	s_delay_alu instid0(VALU_DEP_4) | instskip(NEXT) | instid1(VALU_DEP_4)
	v_fma_f32 v115, v1, v9, -v10
	v_fma_f32 v116, v3, v11, -v12
	s_clause 0x1
	scratch_load_b128 v[1:4], off, off offset:296
	scratch_load_b128 v[9:12], off, off offset:312
	v_dual_add_f32 v17, v14, v147 :: v_dual_add_f32 v18, v13, v150
	scratch_load_b128 v[13:16], off, off offset:328
	v_dual_add_f32 v17, v17, v149 :: v_dual_add_f32 v18, v18, v152
	s_delay_alu instid0(VALU_DEP_1) | instskip(NEXT) | instid1(VALU_DEP_1)
	v_dual_add_f32 v17, v17, v151 :: v_dual_add_f32 v18, v18, v154
	v_dual_add_f32 v17, v17, v153 :: v_dual_add_f32 v110, v18, v156
	s_delay_alu instid0(VALU_DEP_1) | instskip(NEXT) | instid1(VALU_DEP_2)
	v_add_f32_e32 v111, v17, v155
	v_add_f32_e32 v117, v110, v158
	ds_load_2addr_b64 v[17:20], v21 offset0:83 offset1:84
	v_add_f32_e32 v118, v111, v157
	ds_load_2addr_b64 v[110:113], v21 offset0:85 offset1:86
	v_add_f32_e32 v21, v117, v160
	v_add_f32_e32 v117, v118, v159
	s_delay_alu instid0(VALU_DEP_2) | instskip(NEXT) | instid1(VALU_DEP_2)
	v_add_f32_e32 v21, v21, v162
	v_add_f32_e32 v117, v117, v161
	s_delay_alu instid0(VALU_DEP_2) | instskip(NEXT) | instid1(VALU_DEP_2)
	;; [unrolled: 3-line block ×3, first 2 shown]
	v_add_f32_e32 v21, v21, v166
	v_add_f32_e32 v117, v117, v165
	s_delay_alu instid0(VALU_DEP_2) | instskip(SKIP_1) | instid1(VALU_DEP_2)
	v_add_f32_e32 v21, v21, v115
	s_wait_loadcnt_dscnt 0x202
	v_dual_add_f32 v22, v117, v22 :: v_dual_mul_f32 v119, v7, v4
	v_mul_f32_e32 v118, v5, v2
	v_mul_f32_e32 v2, v6, v2
	;; [unrolled: 1-line block ×3, first 2 shown]
	s_wait_loadcnt_dscnt 0x101
	v_dual_mul_f32 v120, v17, v10 :: v_dual_fmac_f32 v119, v8, v3
	v_fmac_f32_e32 v118, v6, v1
	v_fma_f32 v2, v5, v1, -v2
	v_add_f32_e32 v1, v21, v116
	v_add_f32_e32 v5, v22, v114
	v_mul_f32_e32 v6, v18, v10
	v_fma_f32 v3, v7, v3, -v4
	v_mul_f32_e32 v121, v19, v12
	v_add_f32_e32 v1, v1, v2
	v_add_f32_e32 v2, v5, v118
	v_mul_f32_e32 v4, v20, v12
	v_fmac_f32_e32 v120, v18, v9
	v_fma_f32 v5, v17, v9, -v6
	v_add_f32_e32 v1, v1, v3
	v_add_f32_e32 v2, v2, v119
	s_wait_loadcnt_dscnt 0x0
	v_mul_f32_e32 v124, v110, v14
	v_mul_f32_e32 v3, v111, v14
	v_fmac_f32_e32 v121, v20, v11
	v_fma_f32 v4, v19, v11, -v4
	v_dual_add_f32 v1, v1, v5 :: v_dual_add_f32 v2, v2, v120
	v_mul_f32_e32 v115, v112, v16
	v_dual_mul_f32 v5, v113, v16 :: v_dual_fmac_f32 v124, v111, v13
	v_fma_f32 v3, v110, v13, -v3
	s_delay_alu instid0(VALU_DEP_4) | instskip(NEXT) | instid1(VALU_DEP_4)
	v_dual_add_f32 v1, v1, v4 :: v_dual_add_f32 v2, v2, v121
	v_fmac_f32_e32 v115, v113, v15
	s_delay_alu instid0(VALU_DEP_4) | instskip(NEXT) | instid1(VALU_DEP_3)
	v_fma_f32 v4, v112, v15, -v5
	v_dual_add_f32 v1, v1, v3 :: v_dual_add_f32 v2, v2, v124
	s_delay_alu instid0(VALU_DEP_1) | instskip(NEXT) | instid1(VALU_DEP_1)
	v_dual_add_f32 v1, v1, v4 :: v_dual_add_f32 v2, v2, v115
	v_dual_sub_f32 v1, v122, v1 :: v_dual_sub_f32 v2, v123, v2
	scratch_store_b64 off, v[1:2], off offset:16
	v_cmpx_lt_u32_e32 1, v0
	s_cbranch_execz .LBB42_269
; %bb.268:
	scratch_load_b64 v[1:2], off, off offset:8
	v_mov_b32_e32 v3, 0
	s_delay_alu instid0(VALU_DEP_1)
	v_mov_b32_e32 v4, v3
	scratch_store_b64 off, v[3:4], off offset:8
	s_wait_loadcnt 0x0
	ds_store_b64 v23, v[1:2]
.LBB42_269:
	s_wait_alu 0xfffe
	s_or_b32 exec_lo, exec_lo, s0
	s_wait_storecnt_dscnt 0x0
	s_barrier_signal -1
	s_barrier_wait -1
	global_inv scope:SCOPE_SE
	s_clause 0x4
	scratch_load_b128 v[5:8], off, off offset:16
	scratch_load_b128 v[1:4], off, off offset:32
	;; [unrolled: 1-line block ×5, first 2 shown]
	v_mov_b32_e32 v110, 0
	ds_load_b128 v[111:114], v110 offset:368
	ds_load_b128 v[115:118], v110 offset:384
	;; [unrolled: 1-line block ×3, first 2 shown]
	scratch_load_b64 v[21:22], off, off offset:8
	s_mov_b32 s0, exec_lo
	s_wait_loadcnt_dscnt 0x502
	v_mul_f32_e32 v123, v112, v6
	v_dual_mul_f32 v124, v111, v6 :: v_dual_mul_f32 v125, v113, v8
	v_mul_f32_e32 v6, v114, v8
	s_delay_alu instid0(VALU_DEP_3) | instskip(NEXT) | instid1(VALU_DEP_3)
	v_fma_f32 v111, v111, v5, -v123
	v_dual_fmac_f32 v124, v112, v5 :: v_dual_fmac_f32 v125, v114, v7
	s_delay_alu instid0(VALU_DEP_3)
	v_fma_f32 v112, v113, v7, -v6
	ds_load_b128 v[5:8], v110 offset:416
	s_wait_loadcnt_dscnt 0x402
	v_dual_mul_f32 v113, v115, v2 :: v_dual_mul_f32 v114, v117, v4
	s_wait_loadcnt_dscnt 0x301
	v_dual_mul_f32 v123, v119, v10 :: v_dual_mul_f32 v4, v118, v4
	v_mul_f32_e32 v10, v120, v10
	v_mul_f32_e32 v126, v121, v12
	;; [unrolled: 1-line block ×4, first 2 shown]
	v_dual_fmac_f32 v113, v116, v1 :: v_dual_fmac_f32 v114, v118, v3
	v_fma_f32 v116, v117, v3, -v4
	v_fmac_f32_e32 v123, v120, v9
	v_fma_f32 v117, v119, v9, -v10
	v_fmac_f32_e32 v126, v122, v11
	v_fma_f32 v118, v121, v11, -v12
	ds_load_b128 v[9:12], v110 offset:432
	s_wait_loadcnt_dscnt 0x201
	v_mul_f32_e32 v119, v5, v14
	v_mul_f32_e32 v14, v6, v14
	;; [unrolled: 1-line block ×3, first 2 shown]
	s_delay_alu instid0(VALU_DEP_3)
	v_dual_mul_f32 v16, v8, v16 :: v_dual_fmac_f32 v119, v6, v13
	v_fma_f32 v115, v115, v1, -v2
	scratch_load_b128 v[1:4], off, off offset:96
	v_fma_f32 v13, v5, v13, -v14
	v_fmac_f32_e32 v120, v8, v15
	v_fma_f32 v14, v7, v15, -v16
	ds_load_b128 v[5:8], v110 offset:448
	s_wait_loadcnt_dscnt 0x201
	v_mul_f32_e32 v15, v9, v18
	v_mul_f32_e32 v16, v10, v18
	;; [unrolled: 1-line block ×3, first 2 shown]
	s_delay_alu instid0(VALU_DEP_3) | instskip(NEXT) | instid1(VALU_DEP_3)
	v_dual_mul_f32 v20, v12, v20 :: v_dual_fmac_f32 v15, v10, v17
	v_fma_f32 v16, v9, v17, -v16
	s_delay_alu instid0(VALU_DEP_3) | instskip(NEXT) | instid1(VALU_DEP_3)
	v_fmac_f32_e32 v18, v12, v19
	v_fma_f32 v17, v11, v19, -v20
	scratch_load_b128 v[9:12], off, off offset:112
	s_wait_loadcnt_dscnt 0x100
	v_mul_f32_e32 v19, v5, v2
	v_mul_f32_e32 v2, v6, v2
	;; [unrolled: 1-line block ×3, first 2 shown]
	s_delay_alu instid0(VALU_DEP_3) | instskip(NEXT) | instid1(VALU_DEP_3)
	v_dual_mul_f32 v4, v8, v4 :: v_dual_fmac_f32 v19, v6, v1
	v_fma_f32 v121, v5, v1, -v2
	s_delay_alu instid0(VALU_DEP_3) | instskip(NEXT) | instid1(VALU_DEP_3)
	v_fmac_f32_e32 v20, v8, v3
	v_fma_f32 v122, v7, v3, -v4
	ds_load_b128 v[1:4], v110 offset:464
	ds_load_b128 v[5:8], v110 offset:480
	s_wait_loadcnt_dscnt 0x1
	v_mul_f32_e32 v127, v1, v10
	v_mul_f32_e32 v10, v2, v10
	s_delay_alu instid0(VALU_DEP_2) | instskip(NEXT) | instid1(VALU_DEP_2)
	v_dual_mul_f32 v128, v3, v12 :: v_dual_fmac_f32 v127, v2, v9
	v_fma_f32 v129, v1, v9, -v10
	v_mul_f32_e32 v1, v4, v12
	s_delay_alu instid0(VALU_DEP_3) | instskip(NEXT) | instid1(VALU_DEP_2)
	v_fmac_f32_e32 v128, v4, v11
	v_fma_f32 v130, v3, v11, -v1
	s_clause 0x1
	scratch_load_b128 v[1:4], off, off offset:128
	scratch_load_b128 v[9:12], off, off offset:144
	s_wait_loadcnt_dscnt 0x100
	v_mul_f32_e32 v131, v5, v2
	v_dual_mul_f32 v2, v6, v2 :: v_dual_mul_f32 v133, v7, v4
	s_delay_alu instid0(VALU_DEP_2) | instskip(NEXT) | instid1(VALU_DEP_2)
	v_fmac_f32_e32 v131, v6, v1
	v_fma_f32 v132, v5, v1, -v2
	v_mul_f32_e32 v1, v8, v4
	s_delay_alu instid0(VALU_DEP_4) | instskip(NEXT) | instid1(VALU_DEP_2)
	v_fmac_f32_e32 v133, v8, v3
	v_fma_f32 v134, v7, v3, -v1
	ds_load_b128 v[1:4], v110 offset:496
	ds_load_b128 v[5:8], v110 offset:512
	s_wait_loadcnt_dscnt 0x1
	v_mul_f32_e32 v135, v1, v10
	v_mul_f32_e32 v137, v3, v12
	s_delay_alu instid0(VALU_DEP_2) | instskip(NEXT) | instid1(VALU_DEP_2)
	v_fmac_f32_e32 v135, v2, v9
	v_dual_mul_f32 v2, v2, v10 :: v_dual_fmac_f32 v137, v4, v11
	s_delay_alu instid0(VALU_DEP_1) | instskip(SKIP_1) | instid1(VALU_DEP_1)
	v_fma_f32 v136, v1, v9, -v2
	v_mul_f32_e32 v1, v4, v12
	v_fma_f32 v138, v3, v11, -v1
	s_clause 0x1
	scratch_load_b128 v[1:4], off, off offset:160
	scratch_load_b128 v[9:12], off, off offset:176
	s_wait_loadcnt_dscnt 0x100
	v_mul_f32_e32 v139, v5, v2
	v_dual_mul_f32 v141, v7, v4 :: v_dual_mul_f32 v2, v6, v2
	s_delay_alu instid0(VALU_DEP_2) | instskip(NEXT) | instid1(VALU_DEP_2)
	v_fmac_f32_e32 v139, v6, v1
	v_fmac_f32_e32 v141, v8, v3
	s_delay_alu instid0(VALU_DEP_3) | instskip(SKIP_1) | instid1(VALU_DEP_1)
	v_fma_f32 v140, v5, v1, -v2
	v_mul_f32_e32 v1, v8, v4
	v_fma_f32 v142, v7, v3, -v1
	ds_load_b128 v[1:4], v110 offset:528
	ds_load_b128 v[5:8], v110 offset:544
	s_wait_loadcnt_dscnt 0x1
	v_mul_f32_e32 v143, v1, v10
	v_mul_f32_e32 v145, v3, v12
	s_delay_alu instid0(VALU_DEP_2) | instskip(NEXT) | instid1(VALU_DEP_2)
	v_fmac_f32_e32 v143, v2, v9
	v_dual_mul_f32 v2, v2, v10 :: v_dual_fmac_f32 v145, v4, v11
	s_delay_alu instid0(VALU_DEP_1) | instskip(SKIP_1) | instid1(VALU_DEP_1)
	v_fma_f32 v144, v1, v9, -v2
	v_mul_f32_e32 v1, v4, v12
	v_fma_f32 v146, v3, v11, -v1
	s_clause 0x1
	scratch_load_b128 v[1:4], off, off offset:192
	scratch_load_b128 v[9:12], off, off offset:208
	s_wait_loadcnt_dscnt 0x100
	v_mul_f32_e32 v147, v5, v2
	v_dual_mul_f32 v2, v6, v2 :: v_dual_mul_f32 v149, v7, v4
	s_delay_alu instid0(VALU_DEP_2) | instskip(NEXT) | instid1(VALU_DEP_2)
	v_fmac_f32_e32 v147, v6, v1
	v_fma_f32 v148, v5, v1, -v2
	v_mul_f32_e32 v1, v8, v4
	s_delay_alu instid0(VALU_DEP_4) | instskip(NEXT) | instid1(VALU_DEP_2)
	v_fmac_f32_e32 v149, v8, v3
	v_fma_f32 v150, v7, v3, -v1
	ds_load_b128 v[1:4], v110 offset:560
	ds_load_b128 v[5:8], v110 offset:576
	s_wait_loadcnt_dscnt 0x1
	v_mul_f32_e32 v151, v1, v10
	v_mul_f32_e32 v153, v3, v12
	s_delay_alu instid0(VALU_DEP_2) | instskip(NEXT) | instid1(VALU_DEP_2)
	v_fmac_f32_e32 v151, v2, v9
	v_dual_mul_f32 v2, v2, v10 :: v_dual_fmac_f32 v153, v4, v11
	s_delay_alu instid0(VALU_DEP_1) | instskip(SKIP_1) | instid1(VALU_DEP_1)
	v_fma_f32 v152, v1, v9, -v2
	v_mul_f32_e32 v1, v4, v12
	v_fma_f32 v154, v3, v11, -v1
	s_clause 0x1
	scratch_load_b128 v[1:4], off, off offset:224
	scratch_load_b128 v[9:12], off, off offset:240
	s_wait_loadcnt_dscnt 0x100
	v_mul_f32_e32 v155, v5, v2
	v_dual_mul_f32 v2, v6, v2 :: v_dual_mul_f32 v157, v7, v4
	s_delay_alu instid0(VALU_DEP_2) | instskip(NEXT) | instid1(VALU_DEP_2)
	v_fmac_f32_e32 v155, v6, v1
	v_fma_f32 v156, v5, v1, -v2
	v_mul_f32_e32 v1, v8, v4
	s_delay_alu instid0(VALU_DEP_4) | instskip(NEXT) | instid1(VALU_DEP_2)
	v_fmac_f32_e32 v157, v8, v3
	v_fma_f32 v158, v7, v3, -v1
	ds_load_b128 v[1:4], v110 offset:592
	ds_load_b128 v[5:8], v110 offset:608
	s_wait_loadcnt_dscnt 0x1
	v_mul_f32_e32 v159, v1, v10
	v_mul_f32_e32 v161, v3, v12
	s_delay_alu instid0(VALU_DEP_2) | instskip(NEXT) | instid1(VALU_DEP_2)
	v_fmac_f32_e32 v159, v2, v9
	v_dual_mul_f32 v2, v2, v10 :: v_dual_fmac_f32 v161, v4, v11
	s_delay_alu instid0(VALU_DEP_1) | instskip(SKIP_1) | instid1(VALU_DEP_1)
	v_fma_f32 v160, v1, v9, -v2
	v_mul_f32_e32 v1, v4, v12
	v_fma_f32 v162, v3, v11, -v1
	s_clause 0x1
	scratch_load_b128 v[1:4], off, off offset:256
	scratch_load_b128 v[9:12], off, off offset:272
	s_wait_loadcnt_dscnt 0x100
	v_mul_f32_e32 v163, v5, v2
	v_mul_f32_e32 v2, v6, v2
	s_delay_alu instid0(VALU_DEP_1) | instskip(SKIP_1) | instid1(VALU_DEP_1)
	v_fma_f32 v164, v5, v1, -v2
	v_add_f32_e32 v2, 0, v124
	v_add_f32_e32 v2, v2, v125
	s_delay_alu instid0(VALU_DEP_1) | instskip(NEXT) | instid1(VALU_DEP_1)
	v_add_f32_e32 v2, v2, v113
	v_add_f32_e32 v2, v2, v114
	s_delay_alu instid0(VALU_DEP_1) | instskip(NEXT) | instid1(VALU_DEP_1)
	v_add_f32_e32 v2, v2, v123
	v_add_f32_e32 v2, v2, v126
	s_delay_alu instid0(VALU_DEP_1) | instskip(NEXT) | instid1(VALU_DEP_1)
	v_add_f32_e32 v2, v2, v119
	v_add_f32_e32 v2, v2, v120
	s_delay_alu instid0(VALU_DEP_1) | instskip(NEXT) | instid1(VALU_DEP_1)
	v_add_f32_e32 v2, v2, v15
	v_add_f32_e32 v2, v2, v18
	s_delay_alu instid0(VALU_DEP_1) | instskip(NEXT) | instid1(VALU_DEP_1)
	v_add_f32_e32 v2, v2, v19
	v_add_f32_e32 v2, v2, v20
	s_delay_alu instid0(VALU_DEP_1) | instskip(NEXT) | instid1(VALU_DEP_1)
	v_add_f32_e32 v2, v2, v127
	v_add_f32_e32 v2, v2, v128
	s_delay_alu instid0(VALU_DEP_1) | instskip(NEXT) | instid1(VALU_DEP_1)
	v_add_f32_e32 v2, v2, v131
	v_add_f32_e32 v2, v2, v133
	v_fmac_f32_e32 v163, v6, v1
	v_mul_f32_e32 v1, v8, v4
	s_delay_alu instid0(VALU_DEP_3) | instskip(NEXT) | instid1(VALU_DEP_2)
	v_add_f32_e32 v5, v2, v135
	v_fma_f32 v166, v7, v3, -v1
	v_add_f32_e32 v1, 0, v111
	s_delay_alu instid0(VALU_DEP_3) | instskip(NEXT) | instid1(VALU_DEP_2)
	v_add_f32_e32 v5, v5, v137
	v_add_f32_e32 v1, v1, v112
	s_delay_alu instid0(VALU_DEP_2) | instskip(SKIP_1) | instid1(VALU_DEP_3)
	v_add_f32_e32 v5, v5, v139
	v_mul_f32_e32 v165, v7, v4
	v_add_f32_e32 v1, v1, v115
	s_delay_alu instid0(VALU_DEP_1) | instskip(SKIP_2) | instid1(VALU_DEP_1)
	v_add_f32_e32 v1, v1, v116
	scratch_load_b64 v[115:116], off, off offset:336
	v_add_f32_e32 v1, v1, v117
	v_add_f32_e32 v1, v1, v118
	s_delay_alu instid0(VALU_DEP_1) | instskip(NEXT) | instid1(VALU_DEP_1)
	v_add_f32_e32 v1, v1, v13
	v_add_f32_e32 v1, v1, v14
	;; [unrolled: 1-line block ×3, first 2 shown]
	s_delay_alu instid0(VALU_DEP_2) | instskip(NEXT) | instid1(VALU_DEP_1)
	v_add_f32_e32 v1, v1, v16
	v_add_f32_e32 v1, v1, v17
	s_delay_alu instid0(VALU_DEP_1) | instskip(NEXT) | instid1(VALU_DEP_1)
	v_add_f32_e32 v1, v1, v121
	v_add_f32_e32 v1, v1, v122
	s_delay_alu instid0(VALU_DEP_1) | instskip(NEXT) | instid1(VALU_DEP_1)
	;; [unrolled: 3-line block ×4, first 2 shown]
	v_add_f32_e32 v1, v1, v136
	v_dual_add_f32 v6, v1, v138 :: v_dual_fmac_f32 v165, v8, v3
	ds_load_b128 v[1:4], v110 offset:624
	v_add_f32_e32 v14, v14, v143
	v_add_f32_e32 v6, v6, v140
	s_delay_alu instid0(VALU_DEP_2) | instskip(NEXT) | instid1(VALU_DEP_2)
	v_add_f32_e32 v14, v14, v145
	v_add_f32_e32 v13, v6, v142
	ds_load_b128 v[5:8], v110 offset:640
	v_add_f32_e32 v13, v13, v144
	s_wait_loadcnt_dscnt 0x101
	s_delay_alu instid0(VALU_DEP_1) | instskip(SKIP_1) | instid1(VALU_DEP_2)
	v_dual_add_f32 v13, v13, v146 :: v_dual_mul_f32 v120, v3, v12
	v_dual_add_f32 v17, v14, v147 :: v_dual_mul_f32 v12, v4, v12
	v_dual_add_f32 v13, v13, v148 :: v_dual_fmac_f32 v120, v4, v11
	s_delay_alu instid0(VALU_DEP_2) | instskip(NEXT) | instid1(VALU_DEP_3)
	v_add_f32_e32 v17, v17, v149
	v_fma_f32 v122, v3, v11, -v12
	s_delay_alu instid0(VALU_DEP_3) | instskip(SKIP_2) | instid1(VALU_DEP_1)
	v_add_f32_e32 v18, v13, v150
	scratch_load_b128 v[13:16], off, off offset:320
	v_dual_add_f32 v17, v17, v151 :: v_dual_add_f32 v18, v18, v152
	v_dual_add_f32 v17, v17, v153 :: v_dual_add_f32 v18, v18, v154
	s_delay_alu instid0(VALU_DEP_1) | instskip(NEXT) | instid1(VALU_DEP_1)
	v_dual_add_f32 v17, v17, v155 :: v_dual_add_f32 v18, v18, v156
	v_dual_add_f32 v111, v17, v157 :: v_dual_add_f32 v18, v18, v158
	s_delay_alu instid0(VALU_DEP_1)
	v_add_f32_e32 v118, v111, v159
	ds_load_b128 v[111:114], v110 offset:672
	v_add_f32_e32 v117, v18, v160
	ds_load_b128 v[17:20], v110 offset:656
	v_mul_f32_e32 v119, v1, v10
	v_mul_f32_e32 v10, v2, v10
	v_dual_add_f32 v124, v118, v161 :: v_dual_add_f32 v123, v117, v162
	ds_load_b64 v[117:118], v110 offset:688
	v_fma_f32 v121, v1, v9, -v10
	v_dual_add_f32 v124, v124, v163 :: v_dual_add_f32 v123, v123, v164
	s_delay_alu instid0(VALU_DEP_1) | instskip(NEXT) | instid1(VALU_DEP_1)
	v_dual_add_f32 v124, v124, v165 :: v_dual_add_f32 v123, v123, v166
	v_add_f32_e32 v121, v123, v121
	s_delay_alu instid0(VALU_DEP_1) | instskip(SKIP_2) | instid1(VALU_DEP_1)
	v_add_f32_e32 v121, v121, v122
	s_wait_loadcnt_dscnt 0x2
	v_dual_mul_f32 v122, v113, v16 :: v_dual_mul_f32 v127, v111, v14
	v_fmac_f32_e32 v122, v114, v15
	v_fmac_f32_e32 v119, v2, v9
	s_clause 0x1
	scratch_load_b128 v[1:4], off, off offset:288
	scratch_load_b128 v[9:12], off, off offset:304
	v_fmac_f32_e32 v127, v112, v13
	s_wait_loadcnt 0x1
	v_mul_f32_e32 v125, v5, v2
	v_mul_f32_e32 v2, v6, v2
	;; [unrolled: 1-line block ×3, first 2 shown]
	s_wait_loadcnt_dscnt 0x1
	v_dual_mul_f32 v4, v8, v4 :: v_dual_mul_f32 v123, v17, v10
	v_fmac_f32_e32 v125, v6, v1
	v_fma_f32 v2, v5, v1, -v2
	v_fmac_f32_e32 v126, v8, v3
	s_delay_alu instid0(VALU_DEP_4) | instskip(SKIP_1) | instid1(VALU_DEP_4)
	v_fma_f32 v1, v7, v3, -v4
	v_mul_f32_e32 v3, v18, v10
	v_dual_mul_f32 v5, v20, v12 :: v_dual_add_f32 v2, v121, v2
	v_dual_add_f32 v119, v124, v119 :: v_dual_mul_f32 v124, v19, v12
	v_fmac_f32_e32 v123, v18, v9
	s_delay_alu instid0(VALU_DEP_4) | instskip(NEXT) | instid1(VALU_DEP_4)
	v_fma_f32 v3, v17, v9, -v3
	v_add_f32_e32 v1, v2, v1
	s_delay_alu instid0(VALU_DEP_4) | instskip(SKIP_3) | instid1(VALU_DEP_3)
	v_dual_add_f32 v119, v119, v120 :: v_dual_fmac_f32 v124, v20, v11
	v_fma_f32 v5, v19, v11, -v5
	s_wait_dscnt 0x0
	v_mul_f32_e32 v120, v117, v116
	v_dual_add_f32 v1, v1, v3 :: v_dual_add_f32 v4, v119, v125
	v_mul_f32_e32 v3, v114, v16
	s_delay_alu instid0(VALU_DEP_2) | instskip(NEXT) | instid1(VALU_DEP_3)
	v_dual_fmac_f32 v120, v118, v115 :: v_dual_add_f32 v1, v1, v5
	v_add_f32_e32 v2, v4, v126
	v_dual_mul_f32 v4, v112, v14 :: v_dual_mul_f32 v5, v118, v116
	s_delay_alu instid0(VALU_DEP_4) | instskip(NEXT) | instid1(VALU_DEP_3)
	v_fma_f32 v3, v113, v15, -v3
	v_add_f32_e32 v2, v2, v123
	s_delay_alu instid0(VALU_DEP_3) | instskip(NEXT) | instid1(VALU_DEP_2)
	v_fma_f32 v4, v111, v13, -v4
	v_add_f32_e32 v2, v2, v124
	s_delay_alu instid0(VALU_DEP_2) | instskip(SKIP_1) | instid1(VALU_DEP_3)
	v_add_f32_e32 v1, v1, v4
	v_fma_f32 v4, v117, v115, -v5
	v_add_f32_e32 v2, v2, v127
	s_delay_alu instid0(VALU_DEP_1) | instskip(NEXT) | instid1(VALU_DEP_1)
	v_dual_add_f32 v1, v1, v3 :: v_dual_add_f32 v2, v2, v122
	v_add_f32_e32 v1, v1, v4
	s_delay_alu instid0(VALU_DEP_1) | instskip(NEXT) | instid1(VALU_DEP_1)
	v_dual_add_f32 v2, v2, v120 :: v_dual_sub_f32 v1, v21, v1
	v_sub_f32_e32 v2, v22, v2
	scratch_store_b64 off, v[1:2], off offset:8
	v_cmpx_ne_u32_e32 0, v0
	s_cbranch_execz .LBB42_271
; %bb.270:
	scratch_load_b64 v[0:1], off, off
	v_mov_b32_e32 v111, v110
	scratch_store_b64 off, v[110:111], off
	s_wait_loadcnt 0x0
	ds_store_b64 v23, v[0:1]
.LBB42_271:
	s_wait_alu 0xfffe
	s_or_b32 exec_lo, exec_lo, s0
	s_wait_storecnt_dscnt 0x0
	s_barrier_signal -1
	s_barrier_wait -1
	global_inv scope:SCOPE_SE
	s_clause 0x6
	scratch_load_b128 v[0:3], off, off offset:8
	scratch_load_b128 v[4:7], off, off offset:24
	scratch_load_b128 v[8:11], off, off offset:40
	scratch_load_b128 v[12:15], off, off offset:56
	scratch_load_b128 v[16:19], off, off offset:72
	scratch_load_b128 v[20:23], off, off offset:88
	scratch_load_b128 v[111:114], off, off offset:104
	ds_load_2addr_b64 v[115:118], v110 offset0:45 offset1:46
	ds_load_2addr_b64 v[119:122], v110 offset0:47 offset1:48
	scratch_load_b64 v[123:124], off, off
	s_and_b32 vcc_lo, exec_lo, s18
	s_wait_loadcnt_dscnt 0x701
	v_mul_f32_e32 v125, v116, v1
	v_dual_mul_f32 v126, v115, v1 :: v_dual_mul_f32 v127, v117, v3
	s_delay_alu instid0(VALU_DEP_1) | instskip(NEXT) | instid1(VALU_DEP_2)
	v_dual_mul_f32 v1, v118, v3 :: v_dual_fmac_f32 v126, v116, v0
	v_fmac_f32_e32 v127, v118, v2
	s_delay_alu instid0(VALU_DEP_2)
	v_fma_f32 v116, v117, v2, -v1
	s_wait_loadcnt_dscnt 0x600
	v_mul_f32_e32 v118, v121, v7
	v_fma_f32 v115, v115, v0, -v125
	ds_load_2addr_b64 v[0:3], v110 offset0:49 offset1:50
	v_mul_f32_e32 v117, v119, v5
	v_mul_f32_e32 v5, v120, v5
	;; [unrolled: 1-line block ×3, first 2 shown]
	s_delay_alu instid0(VALU_DEP_3) | instskip(NEXT) | instid1(VALU_DEP_3)
	v_dual_fmac_f32 v118, v122, v6 :: v_dual_fmac_f32 v117, v120, v4
	v_fma_f32 v119, v119, v4, -v5
	s_delay_alu instid0(VALU_DEP_3)
	v_fma_f32 v120, v121, v6, -v7
	ds_load_2addr_b64 v[4:7], v110 offset0:51 offset1:52
	s_wait_loadcnt_dscnt 0x501
	v_mul_f32_e32 v121, v0, v9
	v_dual_mul_f32 v9, v1, v9 :: v_dual_mul_f32 v122, v2, v11
	v_mul_f32_e32 v11, v3, v11
	s_delay_alu instid0(VALU_DEP_3) | instskip(NEXT) | instid1(VALU_DEP_3)
	v_fmac_f32_e32 v121, v1, v8
	v_fma_f32 v125, v0, v8, -v9
	s_delay_alu instid0(VALU_DEP_4) | instskip(NEXT) | instid1(VALU_DEP_4)
	v_fmac_f32_e32 v122, v3, v10
	v_fma_f32 v128, v2, v10, -v11
	ds_load_2addr_b64 v[0:3], v110 offset0:53 offset1:54
	s_wait_loadcnt_dscnt 0x401
	v_mul_f32_e32 v129, v4, v13
	v_dual_mul_f32 v8, v5, v13 :: v_dual_mul_f32 v13, v6, v15
	v_mul_f32_e32 v9, v7, v15
	s_delay_alu instid0(VALU_DEP_3) | instskip(NEXT) | instid1(VALU_DEP_3)
	v_fmac_f32_e32 v129, v5, v12
	v_fma_f32 v12, v4, v12, -v8
	s_delay_alu instid0(VALU_DEP_4) | instskip(NEXT) | instid1(VALU_DEP_4)
	v_fmac_f32_e32 v13, v7, v14
	;; [unrolled: 11-line block ×4, first 2 shown]
	v_fma_f32 v22, v6, v22, -v9
	ds_load_2addr_b64 v[4:7], v110 offset0:59 offset1:60
	s_wait_loadcnt_dscnt 0x101
	v_mul_f32_e32 v23, v0, v112
	v_mul_f32_e32 v8, v1, v112
	;; [unrolled: 1-line block ×4, first 2 shown]
	s_delay_alu instid0(VALU_DEP_4) | instskip(NEXT) | instid1(VALU_DEP_4)
	v_fmac_f32_e32 v23, v1, v111
	v_fma_f32 v111, v0, v111, -v8
	s_delay_alu instid0(VALU_DEP_4) | instskip(NEXT) | instid1(VALU_DEP_4)
	v_fmac_f32_e32 v112, v3, v113
	v_fma_f32 v113, v2, v113, -v9
	s_clause 0x1
	scratch_load_b128 v[0:3], off, off offset:120
	scratch_load_b128 v[8:11], off, off offset:136
	s_wait_loadcnt_dscnt 0x100
	v_mul_f32_e32 v114, v4, v1
	v_mul_f32_e32 v1, v5, v1
	s_delay_alu instid0(VALU_DEP_2) | instskip(NEXT) | instid1(VALU_DEP_2)
	v_dual_mul_f32 v131, v6, v3 :: v_dual_fmac_f32 v114, v5, v0
	v_fma_f32 v130, v4, v0, -v1
	v_mul_f32_e32 v0, v7, v3
	s_delay_alu instid0(VALU_DEP_3) | instskip(NEXT) | instid1(VALU_DEP_2)
	v_fmac_f32_e32 v131, v7, v2
	v_fma_f32 v132, v6, v2, -v0
	ds_load_2addr_b64 v[0:3], v110 offset0:61 offset1:62
	ds_load_2addr_b64 v[4:7], v110 offset0:63 offset1:64
	s_wait_loadcnt_dscnt 0x1
	v_mul_f32_e32 v133, v0, v9
	v_mul_f32_e32 v135, v2, v11
	s_delay_alu instid0(VALU_DEP_2) | instskip(SKIP_1) | instid1(VALU_DEP_3)
	v_fmac_f32_e32 v133, v1, v8
	v_mul_f32_e32 v1, v1, v9
	v_fmac_f32_e32 v135, v3, v10
	s_delay_alu instid0(VALU_DEP_2) | instskip(SKIP_1) | instid1(VALU_DEP_1)
	v_fma_f32 v134, v0, v8, -v1
	v_mul_f32_e32 v0, v3, v11
	v_fma_f32 v136, v2, v10, -v0
	s_clause 0x1
	scratch_load_b128 v[0:3], off, off offset:152
	scratch_load_b128 v[8:11], off, off offset:168
	s_wait_loadcnt_dscnt 0x100
	v_mul_f32_e32 v137, v4, v1
	v_mul_f32_e32 v1, v5, v1
	v_mul_f32_e32 v139, v6, v3
	s_delay_alu instid0(VALU_DEP_3) | instskip(NEXT) | instid1(VALU_DEP_3)
	v_fmac_f32_e32 v137, v5, v0
	v_fma_f32 v138, v4, v0, -v1
	v_mul_f32_e32 v0, v7, v3
	s_delay_alu instid0(VALU_DEP_4) | instskip(NEXT) | instid1(VALU_DEP_2)
	v_fmac_f32_e32 v139, v7, v2
	v_fma_f32 v140, v6, v2, -v0
	ds_load_2addr_b64 v[0:3], v110 offset0:65 offset1:66
	ds_load_2addr_b64 v[4:7], v110 offset0:67 offset1:68
	s_wait_loadcnt_dscnt 0x1
	v_mul_f32_e32 v141, v0, v9
	s_delay_alu instid0(VALU_DEP_1) | instskip(SKIP_2) | instid1(VALU_DEP_2)
	v_fmac_f32_e32 v141, v1, v8
	v_mul_f32_e32 v1, v1, v9
	v_mul_f32_e32 v143, v2, v11
	v_fma_f32 v142, v0, v8, -v1
	v_mul_f32_e32 v0, v3, v11
	s_delay_alu instid0(VALU_DEP_3) | instskip(NEXT) | instid1(VALU_DEP_2)
	v_fmac_f32_e32 v143, v3, v10
	v_fma_f32 v144, v2, v10, -v0
	s_clause 0x1
	scratch_load_b128 v[0:3], off, off offset:184
	scratch_load_b128 v[8:11], off, off offset:200
	s_wait_loadcnt_dscnt 0x100
	v_mul_f32_e32 v145, v4, v1
	v_mul_f32_e32 v1, v5, v1
	;; [unrolled: 1-line block ×3, first 2 shown]
	s_delay_alu instid0(VALU_DEP_3) | instskip(NEXT) | instid1(VALU_DEP_3)
	v_fmac_f32_e32 v145, v5, v0
	v_fma_f32 v146, v4, v0, -v1
	v_mul_f32_e32 v0, v7, v3
	s_delay_alu instid0(VALU_DEP_4) | instskip(NEXT) | instid1(VALU_DEP_2)
	v_fmac_f32_e32 v147, v7, v2
	v_fma_f32 v148, v6, v2, -v0
	ds_load_2addr_b64 v[0:3], v110 offset0:69 offset1:70
	ds_load_2addr_b64 v[4:7], v110 offset0:71 offset1:72
	s_wait_loadcnt_dscnt 0x1
	v_mul_f32_e32 v149, v0, v9
	v_mul_f32_e32 v151, v2, v11
	s_delay_alu instid0(VALU_DEP_2) | instskip(SKIP_1) | instid1(VALU_DEP_3)
	v_fmac_f32_e32 v149, v1, v8
	v_mul_f32_e32 v1, v1, v9
	v_fmac_f32_e32 v151, v3, v10
	s_delay_alu instid0(VALU_DEP_2) | instskip(SKIP_1) | instid1(VALU_DEP_1)
	v_fma_f32 v150, v0, v8, -v1
	v_mul_f32_e32 v0, v3, v11
	v_fma_f32 v152, v2, v10, -v0
	s_clause 0x1
	scratch_load_b128 v[0:3], off, off offset:216
	scratch_load_b128 v[8:11], off, off offset:232
	s_wait_loadcnt_dscnt 0x100
	v_mul_f32_e32 v153, v4, v1
	v_mul_f32_e32 v1, v5, v1
	;; [unrolled: 1-line block ×3, first 2 shown]
	s_delay_alu instid0(VALU_DEP_3) | instskip(NEXT) | instid1(VALU_DEP_3)
	v_fmac_f32_e32 v153, v5, v0
	v_fma_f32 v154, v4, v0, -v1
	v_mul_f32_e32 v0, v7, v3
	s_delay_alu instid0(VALU_DEP_4) | instskip(NEXT) | instid1(VALU_DEP_2)
	v_fmac_f32_e32 v155, v7, v2
	v_fma_f32 v156, v6, v2, -v0
	ds_load_2addr_b64 v[0:3], v110 offset0:73 offset1:74
	ds_load_2addr_b64 v[4:7], v110 offset0:75 offset1:76
	s_wait_loadcnt_dscnt 0x1
	v_mul_f32_e32 v157, v0, v9
	v_mul_f32_e32 v159, v2, v11
	s_delay_alu instid0(VALU_DEP_2) | instskip(SKIP_1) | instid1(VALU_DEP_3)
	v_fmac_f32_e32 v157, v1, v8
	v_mul_f32_e32 v1, v1, v9
	v_fmac_f32_e32 v159, v3, v10
	s_delay_alu instid0(VALU_DEP_2) | instskip(SKIP_1) | instid1(VALU_DEP_1)
	v_fma_f32 v158, v0, v8, -v1
	v_mul_f32_e32 v0, v3, v11
	v_fma_f32 v160, v2, v10, -v0
	s_clause 0x1
	scratch_load_b128 v[0:3], off, off offset:248
	scratch_load_b128 v[8:11], off, off offset:264
	s_wait_loadcnt_dscnt 0x100
	v_mul_f32_e32 v161, v4, v1
	v_mul_f32_e32 v1, v5, v1
	s_delay_alu instid0(VALU_DEP_2) | instskip(NEXT) | instid1(VALU_DEP_2)
	v_fmac_f32_e32 v161, v5, v0
	v_fma_f32 v162, v4, v0, -v1
	v_dual_mul_f32 v0, v7, v3 :: v_dual_add_f32 v1, 0, v126
	s_delay_alu instid0(VALU_DEP_1) | instskip(SKIP_1) | instid1(VALU_DEP_1)
	v_fma_f32 v164, v6, v2, -v0
	v_add_f32_e32 v0, 0, v115
	v_dual_add_f32 v1, v1, v127 :: v_dual_add_f32 v0, v0, v116
	s_delay_alu instid0(VALU_DEP_1) | instskip(NEXT) | instid1(VALU_DEP_1)
	v_dual_add_f32 v1, v1, v117 :: v_dual_add_f32 v0, v0, v119
	v_dual_add_f32 v1, v1, v118 :: v_dual_add_f32 v0, v0, v120
	s_delay_alu instid0(VALU_DEP_1) | instskip(NEXT) | instid1(VALU_DEP_1)
	v_add_f32_e32 v1, v1, v121
	v_dual_add_f32 v0, v0, v125 :: v_dual_add_f32 v1, v1, v122
	s_delay_alu instid0(VALU_DEP_1) | instskip(NEXT) | instid1(VALU_DEP_1)
	v_dual_add_f32 v0, v0, v128 :: v_dual_add_f32 v1, v1, v129
	v_dual_add_f32 v0, v0, v12 :: v_dual_add_f32 v1, v1, v13
	s_delay_alu instid0(VALU_DEP_1) | instskip(NEXT) | instid1(VALU_DEP_1)
	v_dual_add_f32 v0, v0, v14 :: v_dual_add_f32 v1, v1, v15
	;; [unrolled: 3-line block ×6, first 2 shown]
	v_dual_add_f32 v4, v0, v134 :: v_dual_add_f32 v5, v5, v135
	s_delay_alu instid0(VALU_DEP_1) | instskip(NEXT) | instid1(VALU_DEP_2)
	v_add_f32_e32 v4, v4, v136
	v_add_f32_e32 v12, v5, v137
	s_delay_alu instid0(VALU_DEP_2) | instskip(NEXT) | instid1(VALU_DEP_2)
	v_add_f32_e32 v4, v4, v138
	v_add_f32_e32 v12, v12, v139
	s_delay_alu instid0(VALU_DEP_2) | instskip(NEXT) | instid1(VALU_DEP_1)
	v_add_f32_e32 v13, v4, v140
	v_dual_add_f32 v12, v12, v141 :: v_dual_add_f32 v13, v13, v142
	s_delay_alu instid0(VALU_DEP_1) | instskip(NEXT) | instid1(VALU_DEP_1)
	v_dual_add_f32 v12, v12, v143 :: v_dual_add_f32 v13, v13, v144
	v_dual_add_f32 v12, v12, v145 :: v_dual_add_f32 v13, v13, v146
	s_delay_alu instid0(VALU_DEP_1) | instskip(NEXT) | instid1(VALU_DEP_1)
	v_add_f32_e32 v16, v13, v148
	v_add_f32_e32 v20, v16, v150
	s_delay_alu instid0(VALU_DEP_1) | instskip(NEXT) | instid1(VALU_DEP_1)
	v_add_f32_e32 v20, v20, v152
	v_add_f32_e32 v20, v20, v154
	s_delay_alu instid0(VALU_DEP_1)
	v_add_f32_e32 v20, v20, v156
	v_add_f32_e32 v17, v12, v147
	scratch_load_b128 v[12:15], off, off offset:312
	v_dual_add_f32 v112, v20, v158 :: v_dual_add_f32 v21, v17, v149
	scratch_load_b128 v[16:19], off, off offset:328
	v_add_f32_e32 v115, v112, v160
	s_delay_alu instid0(VALU_DEP_1) | instskip(SKIP_2) | instid1(VALU_DEP_1)
	v_add_f32_e32 v126, v115, v162
	ds_load_2addr_b64 v[115:118], v110 offset0:85 offset1:86
	v_dual_add_f32 v126, v126, v164 :: v_dual_add_f32 v21, v21, v151
	v_add_f32_e32 v21, v21, v153
	s_delay_alu instid0(VALU_DEP_1) | instskip(SKIP_2) | instid1(VALU_DEP_1)
	v_add_f32_e32 v111, v21, v155
	ds_load_2addr_b64 v[20:23], v110 offset0:81 offset1:82
	v_add_f32_e32 v111, v111, v157
	v_add_f32_e32 v125, v111, v159
	ds_load_2addr_b64 v[111:114], v110 offset0:83 offset1:84
	v_mul_f32_e32 v163, v6, v3
	s_delay_alu instid0(VALU_DEP_1) | instskip(SKIP_4) | instid1(VALU_DEP_1)
	v_fmac_f32_e32 v163, v7, v2
	ds_load_2addr_b64 v[0:3], v110 offset0:77 offset1:78
	ds_load_2addr_b64 v[4:7], v110 offset0:79 offset1:80
	v_add_f32_e32 v110, v125, v161
	s_wait_loadcnt_dscnt 0x201
	v_dual_add_f32 v110, v110, v163 :: v_dual_mul_f32 v119, v0, v9
	v_dual_mul_f32 v9, v1, v9 :: v_dual_mul_f32 v120, v2, v11
	v_mul_f32_e32 v11, v3, v11
	s_delay_alu instid0(VALU_DEP_3) | instskip(NEXT) | instid1(VALU_DEP_3)
	v_fmac_f32_e32 v119, v1, v8
	v_fma_f32 v121, v0, v8, -v9
	s_delay_alu instid0(VALU_DEP_4) | instskip(NEXT) | instid1(VALU_DEP_4)
	v_fmac_f32_e32 v120, v3, v10
	v_fma_f32 v122, v2, v10, -v11
	s_clause 0x1
	scratch_load_b128 v[0:3], off, off offset:280
	scratch_load_b128 v[8:11], off, off offset:296
	v_add_f32_e32 v121, v126, v121
	s_wait_loadcnt_dscnt 0x100
	v_dual_add_f32 v110, v110, v119 :: v_dual_mul_f32 v125, v4, v1
	v_mul_f32_e32 v1, v5, v1
	v_mul_f32_e32 v127, v6, v3
	s_wait_loadcnt 0x0
	v_dual_mul_f32 v3, v7, v3 :: v_dual_mul_f32 v126, v20, v9
	v_fmac_f32_e32 v125, v5, v0
	v_fma_f32 v0, v4, v0, -v1
	v_dual_add_f32 v4, v121, v122 :: v_dual_add_f32 v5, v110, v120
	v_fmac_f32_e32 v127, v7, v2
	v_fma_f32 v1, v6, v2, -v3
	s_delay_alu instid0(VALU_DEP_3) | instskip(NEXT) | instid1(VALU_DEP_4)
	v_dual_mul_f32 v7, v21, v9 :: v_dual_add_f32 v0, v4, v0
	v_dual_add_f32 v4, v5, v125 :: v_dual_mul_f32 v119, v22, v11
	v_dual_mul_f32 v5, v23, v11 :: v_dual_fmac_f32 v126, v21, v8
	s_delay_alu instid0(VALU_DEP_3) | instskip(NEXT) | instid1(VALU_DEP_4)
	v_fma_f32 v7, v20, v8, -v7
	v_add_f32_e32 v0, v0, v1
	s_delay_alu instid0(VALU_DEP_4) | instskip(SKIP_2) | instid1(VALU_DEP_3)
	v_dual_add_f32 v1, v4, v127 :: v_dual_mul_f32 v2, v111, v13
	v_dual_mul_f32 v4, v112, v13 :: v_dual_fmac_f32 v119, v23, v10
	v_fma_f32 v5, v22, v10, -v5
	v_dual_add_f32 v0, v0, v7 :: v_dual_add_f32 v1, v1, v126
	v_mul_f32_e32 v3, v113, v15
	v_dual_mul_f32 v7, v114, v15 :: v_dual_fmac_f32 v2, v112, v12
	v_fma_f32 v4, v111, v12, -v4
	s_delay_alu instid0(VALU_DEP_4)
	v_dual_add_f32 v0, v0, v5 :: v_dual_add_f32 v1, v1, v119
	v_mul_f32_e32 v6, v115, v17
	v_mul_f32_e32 v5, v116, v17
	v_fmac_f32_e32 v3, v114, v14
	v_fma_f32 v7, v113, v14, -v7
	v_dual_add_f32 v0, v0, v4 :: v_dual_add_f32 v1, v1, v2
	v_mul_f32_e32 v9, v117, v19
	v_mul_f32_e32 v2, v118, v19
	v_fmac_f32_e32 v6, v116, v16
	v_fma_f32 v4, v115, v16, -v5
	v_add_f32_e32 v0, v0, v7
	v_add_f32_e32 v1, v1, v3
	v_fmac_f32_e32 v9, v118, v18
	v_fma_f32 v2, v117, v18, -v2
	s_delay_alu instid0(VALU_DEP_3) | instskip(NEXT) | instid1(VALU_DEP_1)
	v_dual_add_f32 v0, v0, v4 :: v_dual_add_f32 v1, v1, v6
	v_dual_add_f32 v0, v0, v2 :: v_dual_add_f32 v1, v1, v9
	s_delay_alu instid0(VALU_DEP_1)
	v_dual_sub_f32 v0, v123, v0 :: v_dual_sub_f32 v1, v124, v1
	scratch_store_b64 off, v[0:1], off
	s_wait_alu 0xfffe
	s_cbranch_vccz .LBB42_356
; %bb.272:
	v_mov_b32_e32 v0, 0
	global_load_b32 v1, v0, s[2:3] offset:164
	s_wait_loadcnt 0x0
	v_cmp_ne_u32_e32 vcc_lo, 42, v1
	s_cbranch_vccz .LBB42_274
; %bb.273:
	v_lshlrev_b32_e32 v1, 3, v1
	s_delay_alu instid0(VALU_DEP_1)
	v_mov_b32_e32 v5, v1
	scratch_load_b64 v[1:2], v5, off offset:-8
	scratch_load_b64 v[3:4], off, off offset:328
	s_wait_loadcnt 0x1
	scratch_store_b64 off, v[1:2], off offset:328
	s_wait_loadcnt 0x0
	scratch_store_b64 v5, v[3:4], off offset:-8
.LBB42_274:
	global_load_b32 v0, v0, s[2:3] offset:160
	s_wait_loadcnt 0x0
	v_cmp_eq_u32_e32 vcc_lo, 41, v0
	s_cbranch_vccnz .LBB42_276
; %bb.275:
	v_lshlrev_b32_e32 v0, 3, v0
	s_delay_alu instid0(VALU_DEP_1)
	v_mov_b32_e32 v4, v0
	scratch_load_b64 v[0:1], v4, off offset:-8
	scratch_load_b64 v[2:3], off, off offset:320
	s_wait_loadcnt 0x1
	scratch_store_b64 off, v[0:1], off offset:320
	s_wait_loadcnt 0x0
	scratch_store_b64 v4, v[2:3], off offset:-8
.LBB42_276:
	v_mov_b32_e32 v0, 0
	global_load_b32 v1, v0, s[2:3] offset:156
	s_wait_loadcnt 0x0
	v_cmp_eq_u32_e32 vcc_lo, 40, v1
	s_cbranch_vccnz .LBB42_278
; %bb.277:
	v_lshlrev_b32_e32 v1, 3, v1
	s_delay_alu instid0(VALU_DEP_1)
	v_mov_b32_e32 v5, v1
	scratch_load_b64 v[1:2], v5, off offset:-8
	scratch_load_b64 v[3:4], off, off offset:312
	s_wait_loadcnt 0x1
	scratch_store_b64 off, v[1:2], off offset:312
	s_wait_loadcnt 0x0
	scratch_store_b64 v5, v[3:4], off offset:-8
.LBB42_278:
	global_load_b32 v0, v0, s[2:3] offset:152
	s_wait_loadcnt 0x0
	v_cmp_eq_u32_e32 vcc_lo, 39, v0
	s_cbranch_vccnz .LBB42_280
; %bb.279:
	v_lshlrev_b32_e32 v0, 3, v0
	s_delay_alu instid0(VALU_DEP_1)
	v_mov_b32_e32 v4, v0
	scratch_load_b64 v[0:1], v4, off offset:-8
	scratch_load_b64 v[2:3], off, off offset:304
	s_wait_loadcnt 0x1
	scratch_store_b64 off, v[0:1], off offset:304
	s_wait_loadcnt 0x0
	scratch_store_b64 v4, v[2:3], off offset:-8
.LBB42_280:
	v_mov_b32_e32 v0, 0
	global_load_b32 v1, v0, s[2:3] offset:148
	s_wait_loadcnt 0x0
	v_cmp_eq_u32_e32 vcc_lo, 38, v1
	s_cbranch_vccnz .LBB42_282
; %bb.281:
	v_lshlrev_b32_e32 v1, 3, v1
	s_delay_alu instid0(VALU_DEP_1)
	v_mov_b32_e32 v5, v1
	scratch_load_b64 v[1:2], v5, off offset:-8
	scratch_load_b64 v[3:4], off, off offset:296
	s_wait_loadcnt 0x1
	scratch_store_b64 off, v[1:2], off offset:296
	s_wait_loadcnt 0x0
	scratch_store_b64 v5, v[3:4], off offset:-8
.LBB42_282:
	;; [unrolled: 31-line block ×20, first 2 shown]
	global_load_b32 v0, v0, s[2:3]
	s_wait_loadcnt 0x0
	v_cmp_eq_u32_e32 vcc_lo, 1, v0
	s_cbranch_vccnz .LBB42_356
; %bb.355:
	v_lshlrev_b32_e32 v0, 3, v0
	s_delay_alu instid0(VALU_DEP_1)
	v_mov_b32_e32 v4, v0
	scratch_load_b64 v[0:1], v4, off offset:-8
	scratch_load_b64 v[2:3], off, off
	s_wait_loadcnt 0x1
	scratch_store_b64 off, v[0:1], off
	s_wait_loadcnt 0x0
	scratch_store_b64 v4, v[2:3], off offset:-8
.LBB42_356:
	s_clause 0x15
	scratch_load_b128 v[0:3], off, off
	scratch_load_b128 v[4:7], off, off offset:16
	scratch_load_b128 v[8:11], off, off offset:32
	;; [unrolled: 1-line block ×20, first 2 shown]
	scratch_load_b64 v[170:171], off, off offset:336
	s_wait_loadcnt 0x15
	s_clause 0x1
	global_store_b64 v[24:25], v[0:1], off
	global_store_b64 v[26:27], v[2:3], off
	s_wait_loadcnt 0x14
	s_clause 0x1
	global_store_b64 v[28:29], v[4:5], off
	global_store_b64 v[30:31], v[6:7], off
	s_wait_loadcnt 0x13
	s_clause 0x1
	global_store_b64 v[32:33], v[8:9], off
	global_store_b64 v[34:35], v[10:11], off
	s_wait_loadcnt 0x12
	s_clause 0x1
	global_store_b64 v[36:37], v[12:13], off
	global_store_b64 v[38:39], v[14:15], off
	s_wait_loadcnt 0x11
	s_clause 0x1
	global_store_b64 v[40:41], v[16:17], off
	global_store_b64 v[42:43], v[18:19], off
	s_wait_loadcnt 0x10
	s_clause 0x1
	global_store_b64 v[44:45], v[20:21], off
	global_store_b64 v[46:47], v[22:23], off
	s_wait_loadcnt 0xf
	s_clause 0x1
	global_store_b64 v[48:49], v[110:111], off
	global_store_b64 v[50:51], v[112:113], off
	s_wait_loadcnt 0xe
	s_clause 0x1
	global_store_b64 v[52:53], v[114:115], off
	global_store_b64 v[54:55], v[116:117], off
	s_wait_loadcnt 0xd
	s_clause 0x1
	global_store_b64 v[56:57], v[118:119], off
	global_store_b64 v[58:59], v[120:121], off
	s_wait_loadcnt 0xc
	s_clause 0x1
	global_store_b64 v[60:61], v[122:123], off
	global_store_b64 v[62:63], v[124:125], off
	s_wait_loadcnt 0xb
	s_clause 0x1
	global_store_b64 v[64:65], v[126:127], off
	global_store_b64 v[66:67], v[128:129], off
	s_wait_loadcnt 0xa
	s_clause 0x1
	global_store_b64 v[68:69], v[130:131], off
	global_store_b64 v[70:71], v[132:133], off
	s_wait_loadcnt 0x9
	s_clause 0x1
	global_store_b64 v[72:73], v[134:135], off
	global_store_b64 v[74:75], v[136:137], off
	s_wait_loadcnt 0x8
	s_clause 0x1
	global_store_b64 v[76:77], v[138:139], off
	global_store_b64 v[78:79], v[140:141], off
	s_wait_loadcnt 0x7
	s_clause 0x1
	global_store_b64 v[80:81], v[142:143], off
	global_store_b64 v[82:83], v[144:145], off
	s_wait_loadcnt 0x6
	s_clause 0x1
	global_store_b64 v[84:85], v[146:147], off
	global_store_b64 v[86:87], v[148:149], off
	s_wait_loadcnt 0x5
	s_clause 0x1
	global_store_b64 v[88:89], v[150:151], off
	global_store_b64 v[90:91], v[152:153], off
	s_wait_loadcnt 0x4
	s_clause 0x1
	global_store_b64 v[92:93], v[154:155], off
	global_store_b64 v[94:95], v[156:157], off
	s_wait_loadcnt 0x3
	s_clause 0x1
	global_store_b64 v[96:97], v[158:159], off
	global_store_b64 v[98:99], v[160:161], off
	s_wait_loadcnt 0x2
	s_clause 0x1
	global_store_b64 v[100:101], v[162:163], off
	global_store_b64 v[102:103], v[164:165], off
	s_wait_loadcnt 0x1
	s_clause 0x1
	global_store_b64 v[104:105], v[166:167], off
	global_store_b64 v[106:107], v[168:169], off
	s_wait_loadcnt 0x0
	global_store_b64 v[108:109], v[170:171], off
	s_nop 0
	s_sendmsg sendmsg(MSG_DEALLOC_VGPRS)
	s_endpgm
	.section	.rodata,"a",@progbits
	.p2align	6, 0x0
	.amdhsa_kernel _ZN9rocsolver6v33100L18getri_kernel_smallILi43E19rocblas_complex_numIfEPS3_EEvT1_iilPiilS6_bb
		.amdhsa_group_segment_fixed_size 696
		.amdhsa_private_segment_fixed_size 352
		.amdhsa_kernarg_size 60
		.amdhsa_user_sgpr_count 2
		.amdhsa_user_sgpr_dispatch_ptr 0
		.amdhsa_user_sgpr_queue_ptr 0
		.amdhsa_user_sgpr_kernarg_segment_ptr 1
		.amdhsa_user_sgpr_dispatch_id 0
		.amdhsa_user_sgpr_private_segment_size 0
		.amdhsa_wavefront_size32 1
		.amdhsa_uses_dynamic_stack 0
		.amdhsa_enable_private_segment 1
		.amdhsa_system_sgpr_workgroup_id_x 1
		.amdhsa_system_sgpr_workgroup_id_y 0
		.amdhsa_system_sgpr_workgroup_id_z 0
		.amdhsa_system_sgpr_workgroup_info 0
		.amdhsa_system_vgpr_workitem_id 0
		.amdhsa_next_free_vgpr 250
		.amdhsa_next_free_sgpr 19
		.amdhsa_reserve_vcc 1
		.amdhsa_float_round_mode_32 0
		.amdhsa_float_round_mode_16_64 0
		.amdhsa_float_denorm_mode_32 3
		.amdhsa_float_denorm_mode_16_64 3
		.amdhsa_fp16_overflow 0
		.amdhsa_workgroup_processor_mode 1
		.amdhsa_memory_ordered 1
		.amdhsa_forward_progress 1
		.amdhsa_inst_pref_size 255
		.amdhsa_round_robin_scheduling 0
		.amdhsa_exception_fp_ieee_invalid_op 0
		.amdhsa_exception_fp_denorm_src 0
		.amdhsa_exception_fp_ieee_div_zero 0
		.amdhsa_exception_fp_ieee_overflow 0
		.amdhsa_exception_fp_ieee_underflow 0
		.amdhsa_exception_fp_ieee_inexact 0
		.amdhsa_exception_int_div_zero 0
	.end_amdhsa_kernel
	.section	.text._ZN9rocsolver6v33100L18getri_kernel_smallILi43E19rocblas_complex_numIfEPS3_EEvT1_iilPiilS6_bb,"axG",@progbits,_ZN9rocsolver6v33100L18getri_kernel_smallILi43E19rocblas_complex_numIfEPS3_EEvT1_iilPiilS6_bb,comdat
.Lfunc_end42:
	.size	_ZN9rocsolver6v33100L18getri_kernel_smallILi43E19rocblas_complex_numIfEPS3_EEvT1_iilPiilS6_bb, .Lfunc_end42-_ZN9rocsolver6v33100L18getri_kernel_smallILi43E19rocblas_complex_numIfEPS3_EEvT1_iilPiilS6_bb
                                        ; -- End function
	.set _ZN9rocsolver6v33100L18getri_kernel_smallILi43E19rocblas_complex_numIfEPS3_EEvT1_iilPiilS6_bb.num_vgpr, 250
	.set _ZN9rocsolver6v33100L18getri_kernel_smallILi43E19rocblas_complex_numIfEPS3_EEvT1_iilPiilS6_bb.num_agpr, 0
	.set _ZN9rocsolver6v33100L18getri_kernel_smallILi43E19rocblas_complex_numIfEPS3_EEvT1_iilPiilS6_bb.numbered_sgpr, 19
	.set _ZN9rocsolver6v33100L18getri_kernel_smallILi43E19rocblas_complex_numIfEPS3_EEvT1_iilPiilS6_bb.num_named_barrier, 0
	.set _ZN9rocsolver6v33100L18getri_kernel_smallILi43E19rocblas_complex_numIfEPS3_EEvT1_iilPiilS6_bb.private_seg_size, 352
	.set _ZN9rocsolver6v33100L18getri_kernel_smallILi43E19rocblas_complex_numIfEPS3_EEvT1_iilPiilS6_bb.uses_vcc, 1
	.set _ZN9rocsolver6v33100L18getri_kernel_smallILi43E19rocblas_complex_numIfEPS3_EEvT1_iilPiilS6_bb.uses_flat_scratch, 1
	.set _ZN9rocsolver6v33100L18getri_kernel_smallILi43E19rocblas_complex_numIfEPS3_EEvT1_iilPiilS6_bb.has_dyn_sized_stack, 0
	.set _ZN9rocsolver6v33100L18getri_kernel_smallILi43E19rocblas_complex_numIfEPS3_EEvT1_iilPiilS6_bb.has_recursion, 0
	.set _ZN9rocsolver6v33100L18getri_kernel_smallILi43E19rocblas_complex_numIfEPS3_EEvT1_iilPiilS6_bb.has_indirect_call, 0
	.section	.AMDGPU.csdata,"",@progbits
; Kernel info:
; codeLenInByte = 65556
; TotalNumSgprs: 21
; NumVgprs: 250
; ScratchSize: 352
; MemoryBound: 0
; FloatMode: 240
; IeeeMode: 1
; LDSByteSize: 696 bytes/workgroup (compile time only)
; SGPRBlocks: 0
; VGPRBlocks: 31
; NumSGPRsForWavesPerEU: 21
; NumVGPRsForWavesPerEU: 250
; Occupancy: 5
; WaveLimiterHint : 1
; COMPUTE_PGM_RSRC2:SCRATCH_EN: 1
; COMPUTE_PGM_RSRC2:USER_SGPR: 2
; COMPUTE_PGM_RSRC2:TRAP_HANDLER: 0
; COMPUTE_PGM_RSRC2:TGID_X_EN: 1
; COMPUTE_PGM_RSRC2:TGID_Y_EN: 0
; COMPUTE_PGM_RSRC2:TGID_Z_EN: 0
; COMPUTE_PGM_RSRC2:TIDIG_COMP_CNT: 0
	.section	.text._ZN9rocsolver6v33100L18getri_kernel_smallILi44E19rocblas_complex_numIfEPS3_EEvT1_iilPiilS6_bb,"axG",@progbits,_ZN9rocsolver6v33100L18getri_kernel_smallILi44E19rocblas_complex_numIfEPS3_EEvT1_iilPiilS6_bb,comdat
	.globl	_ZN9rocsolver6v33100L18getri_kernel_smallILi44E19rocblas_complex_numIfEPS3_EEvT1_iilPiilS6_bb ; -- Begin function _ZN9rocsolver6v33100L18getri_kernel_smallILi44E19rocblas_complex_numIfEPS3_EEvT1_iilPiilS6_bb
	.p2align	8
	.type	_ZN9rocsolver6v33100L18getri_kernel_smallILi44E19rocblas_complex_numIfEPS3_EEvT1_iilPiilS6_bb,@function
_ZN9rocsolver6v33100L18getri_kernel_smallILi44E19rocblas_complex_numIfEPS3_EEvT1_iilPiilS6_bb: ; @_ZN9rocsolver6v33100L18getri_kernel_smallILi44E19rocblas_complex_numIfEPS3_EEvT1_iilPiilS6_bb
; %bb.0:
	s_mov_b32 s2, exec_lo
	v_cmpx_gt_u32_e32 44, v0
	s_cbranch_execz .LBB43_190
; %bb.1:
	s_clause 0x2
	s_load_b32 s2, s[0:1], 0x38
	s_load_b128 s[12:15], s[0:1], 0x10
	s_load_b128 s[4:7], s[0:1], 0x28
	s_mov_b32 s16, ttmp9
	s_wait_kmcnt 0x0
	s_bitcmp1_b32 s2, 8
	s_cselect_b32 s18, -1, 0
	s_bfe_u32 s2, s2, 0x10008
	s_ashr_i32 s17, ttmp9, 31
	s_cmp_eq_u32 s2, 0
                                        ; implicit-def: $sgpr2_sgpr3
	s_cbranch_scc1 .LBB43_3
; %bb.2:
	s_load_b32 s2, s[0:1], 0x20
	s_mul_u64 s[4:5], s[4:5], s[16:17]
	s_delay_alu instid0(SALU_CYCLE_1) | instskip(NEXT) | instid1(SALU_CYCLE_1)
	s_lshl_b64 s[4:5], s[4:5], 2
	s_add_nc_u64 s[4:5], s[14:15], s[4:5]
	s_wait_kmcnt 0x0
	s_ashr_i32 s3, s2, 31
	s_delay_alu instid0(SALU_CYCLE_1) | instskip(NEXT) | instid1(SALU_CYCLE_1)
	s_lshl_b64 s[2:3], s[2:3], 2
	s_add_nc_u64 s[2:3], s[4:5], s[2:3]
.LBB43_3:
	s_clause 0x1
	s_load_b128 s[8:11], s[0:1], 0x0
	s_load_b32 s4, s[0:1], 0x38
	s_mul_u64 s[0:1], s[12:13], s[16:17]
	v_lshlrev_b32_e32 v13, 3, v0
	s_lshl_b64 s[0:1], s[0:1], 3
	s_wait_kmcnt 0x0
	v_add3_u32 v3, s11, s11, v0
	s_ashr_i32 s13, s10, 31
	s_mov_b32 s12, s10
	s_add_nc_u64 s[0:1], s[8:9], s[0:1]
	s_lshl_b64 s[12:13], s[12:13], 3
	v_add_nc_u32_e32 v5, s11, v3
	v_ashrrev_i32_e32 v4, 31, v3
	s_add_nc_u64 s[0:1], s[0:1], s[12:13]
	s_ashr_i32 s9, s11, 31
	v_add_co_u32 v28, s5, s0, v13
	v_add_nc_u32_e32 v7, s11, v5
	s_mov_b32 s8, s11
	v_lshlrev_b64_e32 v[3:4], 3, v[3:4]
	v_add_co_ci_u32_e64 v29, null, s1, 0, s5
	s_delay_alu instid0(VALU_DEP_3) | instskip(SKIP_3) | instid1(VALU_DEP_1)
	v_add_nc_u32_e32 v9, s11, v7
	s_lshl_b64 s[8:9], s[8:9], 3
	v_ashrrev_i32_e32 v6, 31, v5
	v_add_co_u32 v30, vcc_lo, v28, s8
	v_add_co_ci_u32_e64 v31, null, s9, v29, vcc_lo
	v_add_co_u32 v32, vcc_lo, s0, v3
	v_add_nc_u32_e32 v3, s11, v9
	v_lshlrev_b64_e32 v[5:6], 3, v[5:6]
	v_ashrrev_i32_e32 v8, 31, v7
	v_ashrrev_i32_e32 v10, 31, v9
	s_wait_alu 0xfffd
	v_add_co_ci_u32_e64 v33, null, s1, v4, vcc_lo
	v_add_nc_u32_e32 v11, s11, v3
	v_ashrrev_i32_e32 v4, 31, v3
	v_lshlrev_b64_e32 v[7:8], 3, v[7:8]
	v_add_co_u32 v34, vcc_lo, s0, v5
	s_wait_alu 0xfffd
	v_add_co_ci_u32_e64 v35, null, s1, v6, vcc_lo
	v_lshlrev_b64_e32 v[5:6], 3, v[9:10]
	v_add_nc_u32_e32 v16, s11, v11
	v_lshlrev_b64_e32 v[14:15], 3, v[3:4]
	v_ashrrev_i32_e32 v12, 31, v11
	v_add_co_u32 v36, vcc_lo, s0, v7
	s_delay_alu instid0(VALU_DEP_4)
	v_ashrrev_i32_e32 v17, 31, v16
	v_add_nc_u32_e32 v18, s11, v16
	s_wait_alu 0xfffd
	v_add_co_ci_u32_e64 v37, null, s1, v8, vcc_lo
	v_add_co_u32 v38, vcc_lo, s0, v5
	v_lshlrev_b64_e32 v[11:12], 3, v[11:12]
	s_wait_alu 0xfffd
	v_add_co_ci_u32_e64 v39, null, s1, v6, vcc_lo
	v_add_co_u32 v40, vcc_lo, s0, v14
	s_wait_alu 0xfffd
	v_add_co_ci_u32_e64 v41, null, s1, v15, vcc_lo
	v_lshlrev_b64_e32 v[14:15], 3, v[16:17]
	v_ashrrev_i32_e32 v19, 31, v18
	v_add_nc_u32_e32 v16, s11, v18
	v_add_co_u32 v42, vcc_lo, s0, v11
	s_wait_alu 0xfffd
	v_add_co_ci_u32_e64 v43, null, s1, v12, vcc_lo
	v_lshlrev_b64_e32 v[11:12], 3, v[18:19]
	v_ashrrev_i32_e32 v17, 31, v16
	v_add_nc_u32_e32 v18, s11, v16
	;; [unrolled: 6-line block ×24, first 2 shown]
	v_add_co_u32 v88, vcc_lo, s0, v14
	s_wait_alu 0xfffd
	v_add_co_ci_u32_e64 v89, null, s1, v15, vcc_lo
	v_lshlrev_b64_e32 v[14:15], 3, v[16:17]
	v_add_nc_u32_e32 v16, s11, v18
	v_ashrrev_i32_e32 v19, 31, v18
	v_add_co_u32 v90, vcc_lo, s0, v11
	s_wait_alu 0xfffd
	v_add_co_ci_u32_e64 v91, null, s1, v12, vcc_lo
	v_add_nc_u32_e32 v26, s11, v16
	v_lshlrev_b64_e32 v[11:12], 3, v[18:19]
	v_add_co_u32 v92, vcc_lo, s0, v14
	s_wait_alu 0xfffd
	v_add_co_ci_u32_e64 v93, null, s1, v15, vcc_lo
	v_ashrrev_i32_e32 v27, 31, v26
	s_delay_alu instid0(VALU_DEP_4) | instskip(SKIP_2) | instid1(VALU_DEP_3)
	v_add_co_u32 v94, vcc_lo, s0, v11
	s_wait_alu 0xfffd
	v_add_co_ci_u32_e64 v95, null, s1, v12, vcc_lo
	v_lshlrev_b64_e32 v[11:12], 3, v[26:27]
	v_add_nc_u32_e32 v26, s11, v26
	v_ashrrev_i32_e32 v17, 31, v16
	s_clause 0x4
	global_load_b64 v[1:2], v13, s[0:1]
	global_load_b64 v[3:4], v[30:31], off
	global_load_b64 v[5:6], v[32:33], off
	;; [unrolled: 1-line block ×4, first 2 shown]
	s_bitcmp0_b32 s4, 0
	v_add_nc_u32_e32 v102, s11, v26
	v_ashrrev_i32_e32 v27, 31, v26
	v_lshlrev_b64_e32 v[14:15], 3, v[16:17]
	s_delay_alu instid0(VALU_DEP_3) | instskip(NEXT) | instid1(VALU_DEP_3)
	v_add_nc_u32_e32 v104, s11, v102
	v_lshlrev_b64_e32 v[26:27], 3, v[26:27]
	v_ashrrev_i32_e32 v103, 31, v102
	s_delay_alu instid0(VALU_DEP_4) | instskip(NEXT) | instid1(VALU_DEP_4)
	v_add_co_u32 v96, vcc_lo, s0, v14
	v_add_nc_u32_e32 v106, s11, v104
	s_wait_alu 0xfffd
	v_add_co_ci_u32_e64 v97, null, s1, v15, vcc_lo
	v_add_co_u32 v98, vcc_lo, s0, v11
	s_wait_alu 0xfffd
	v_add_co_ci_u32_e64 v99, null, s1, v12, vcc_lo
	v_add_co_u32 v100, vcc_lo, s0, v26
	v_add_nc_u32_e32 v108, s11, v106
	s_wait_alu 0xfffd
	v_add_co_ci_u32_e64 v101, null, s1, v27, vcc_lo
	v_lshlrev_b64_e32 v[26:27], 3, v[102:103]
	v_ashrrev_i32_e32 v105, 31, v104
	v_ashrrev_i32_e32 v107, 31, v106
	v_add_nc_u32_e32 v110, s11, v108
	v_ashrrev_i32_e32 v109, 31, v108
	s_clause 0xf
	global_load_b64 v[11:12], v[38:39], off
	global_load_b64 v[14:15], v[40:41], off
	;; [unrolled: 1-line block ×16, first 2 shown]
	v_lshlrev_b64_e32 v[104:105], 3, v[104:105]
	v_add_co_u32 v102, vcc_lo, s0, v26
	s_wait_alu 0xfffd
	v_add_co_ci_u32_e64 v103, null, s1, v27, vcc_lo
	v_lshlrev_b64_e32 v[26:27], 3, v[106:107]
	v_add_nc_u32_e32 v112, s11, v110
	v_ashrrev_i32_e32 v111, 31, v110
	v_add_co_u32 v104, vcc_lo, s0, v104
	s_wait_alu 0xfffd
	v_add_co_ci_u32_e64 v105, null, s1, v105, vcc_lo
	v_lshlrev_b64_e32 v[108:109], 3, v[108:109]
	v_add_co_u32 v106, vcc_lo, s0, v26
	v_add_nc_u32_e32 v114, s11, v112
	s_wait_alu 0xfffd
	v_add_co_ci_u32_e64 v107, null, s1, v27, vcc_lo
	v_lshlrev_b64_e32 v[26:27], 3, v[110:111]
	v_ashrrev_i32_e32 v113, 31, v112
	v_ashrrev_i32_e32 v115, 31, v114
	v_add_co_u32 v108, vcc_lo, s0, v108
	s_wait_alu 0xfffd
	v_add_co_ci_u32_e64 v109, null, s1, v109, vcc_lo
	v_lshlrev_b64_e32 v[112:113], 3, v[112:113]
	v_add_co_u32 v110, vcc_lo, s0, v26
	s_wait_alu 0xfffd
	v_add_co_ci_u32_e64 v111, null, s1, v27, vcc_lo
	v_lshlrev_b64_e32 v[26:27], 3, v[114:115]
	s_delay_alu instid0(VALU_DEP_4)
	v_add_co_u32 v112, vcc_lo, s0, v112
	s_wait_alu 0xfffd
	v_add_co_ci_u32_e64 v113, null, s1, v113, vcc_lo
	s_clause 0x3
	global_load_b64 v[134:135], v[70:71], off
	global_load_b64 v[136:137], v[72:73], off
	;; [unrolled: 1-line block ×4, first 2 shown]
	v_add_co_u32 v114, vcc_lo, s0, v26
	s_clause 0xb
	global_load_b64 v[142:143], v[78:79], off
	global_load_b64 v[144:145], v[80:81], off
	;; [unrolled: 1-line block ×12, first 2 shown]
	s_wait_alu 0xfffd
	v_add_co_ci_u32_e64 v115, null, s1, v27, vcc_lo
	s_clause 0x6
	global_load_b64 v[166:167], v[102:103], off
	global_load_b64 v[168:169], v[104:105], off
	;; [unrolled: 1-line block ×7, first 2 shown]
	s_mov_b32 s1, -1
	s_wait_loadcnt 0x2a
	scratch_store_b128 off, v[1:4], off
	s_wait_loadcnt 0x28
	scratch_store_b128 off, v[5:8], off offset:16
	s_wait_loadcnt 0x26
	scratch_store_b128 off, v[9:12], off offset:32
	;; [unrolled: 2-line block ×21, first 2 shown]
	s_cbranch_scc1 .LBB43_188
; %bb.4:
	v_cmp_eq_u32_e64 s0, 0, v0
	s_and_saveexec_b32 s1, s0
; %bb.5:
	v_mov_b32_e32 v1, 0
	ds_store_b32 v1, v1 offset:704
; %bb.6:
	s_wait_alu 0xfffe
	s_or_b32 exec_lo, exec_lo, s1
	s_wait_storecnt_dscnt 0x0
	s_barrier_signal -1
	s_barrier_wait -1
	global_inv scope:SCOPE_SE
	scratch_load_b64 v[1:2], v13, off
	s_wait_loadcnt 0x0
	v_cmp_eq_f32_e32 vcc_lo, 0, v1
	v_cmp_eq_f32_e64 s1, 0, v2
	s_and_b32 s1, vcc_lo, s1
	s_wait_alu 0xfffe
	s_and_saveexec_b32 s4, s1
	s_cbranch_execz .LBB43_10
; %bb.7:
	v_mov_b32_e32 v1, 0
	s_mov_b32 s5, 0
	ds_load_b32 v2, v1 offset:704
	s_wait_dscnt 0x0
	v_readfirstlane_b32 s1, v2
	v_add_nc_u32_e32 v2, 1, v0
	s_cmp_eq_u32 s1, 0
	s_delay_alu instid0(VALU_DEP_1)
	v_cmp_gt_i32_e32 vcc_lo, s1, v2
	s_cselect_b32 s8, -1, 0
	s_wait_alu 0xfffe
	s_or_b32 s8, s8, vcc_lo
	s_wait_alu 0xfffe
	s_and_b32 exec_lo, exec_lo, s8
	s_cbranch_execz .LBB43_10
; %bb.8:
	v_mov_b32_e32 v3, s1
.LBB43_9:                               ; =>This Inner Loop Header: Depth=1
	ds_cmpstore_rtn_b32 v3, v1, v2, v3 offset:704
	s_wait_dscnt 0x0
	v_cmp_ne_u32_e32 vcc_lo, 0, v3
	v_cmp_le_i32_e64 s1, v3, v2
	s_and_b32 s1, vcc_lo, s1
	s_wait_alu 0xfffe
	s_and_b32 s1, exec_lo, s1
	s_wait_alu 0xfffe
	s_or_b32 s5, s1, s5
	s_wait_alu 0xfffe
	s_and_not1_b32 exec_lo, exec_lo, s5
	s_cbranch_execnz .LBB43_9
.LBB43_10:
	s_wait_alu 0xfffe
	s_or_b32 exec_lo, exec_lo, s4
	v_mov_b32_e32 v1, 0
	s_barrier_signal -1
	s_barrier_wait -1
	global_inv scope:SCOPE_SE
	ds_load_b32 v2, v1 offset:704
	s_and_saveexec_b32 s1, s0
	s_cbranch_execz .LBB43_12
; %bb.11:
	s_lshl_b64 s[4:5], s[16:17], 2
	s_wait_alu 0xfffe
	s_add_nc_u64 s[4:5], s[6:7], s[4:5]
	s_wait_dscnt 0x0
	global_store_b32 v1, v2, s[4:5]
.LBB43_12:
	s_wait_alu 0xfffe
	s_or_b32 exec_lo, exec_lo, s1
	s_wait_dscnt 0x0
	v_cmp_ne_u32_e32 vcc_lo, 0, v2
	s_mov_b32 s1, 0
	s_cbranch_vccnz .LBB43_188
; %bb.13:
	v_mov_b32_e32 v7, v13
                                        ; implicit-def: $vgpr3
                                        ; implicit-def: $vgpr5
	scratch_load_b64 v[1:2], v7, off
	s_wait_loadcnt 0x0
	v_cmp_ngt_f32_e64 s1, |v1|, |v2|
	s_wait_alu 0xfffe
	s_and_saveexec_b32 s4, s1
	s_wait_alu 0xfffe
	s_xor_b32 s1, exec_lo, s4
	s_cbranch_execz .LBB43_15
; %bb.14:
	v_div_scale_f32 v3, null, v2, v2, v1
	v_div_scale_f32 v6, vcc_lo, v1, v2, v1
	s_delay_alu instid0(VALU_DEP_2) | instskip(NEXT) | instid1(TRANS32_DEP_1)
	v_rcp_f32_e32 v4, v3
	v_fma_f32 v5, -v3, v4, 1.0
	s_delay_alu instid0(VALU_DEP_1) | instskip(NEXT) | instid1(VALU_DEP_1)
	v_fmac_f32_e32 v4, v5, v4
	v_mul_f32_e32 v5, v6, v4
	s_delay_alu instid0(VALU_DEP_1) | instskip(NEXT) | instid1(VALU_DEP_1)
	v_fma_f32 v8, -v3, v5, v6
	v_fmac_f32_e32 v5, v8, v4
	s_delay_alu instid0(VALU_DEP_1) | instskip(SKIP_1) | instid1(VALU_DEP_1)
	v_fma_f32 v3, -v3, v5, v6
	s_wait_alu 0xfffd
	v_div_fmas_f32 v3, v3, v4, v5
	s_delay_alu instid0(VALU_DEP_1) | instskip(NEXT) | instid1(VALU_DEP_1)
	v_div_fixup_f32 v3, v3, v2, v1
	v_fmac_f32_e32 v2, v1, v3
	s_delay_alu instid0(VALU_DEP_1) | instskip(NEXT) | instid1(VALU_DEP_1)
	v_div_scale_f32 v1, null, v2, v2, 1.0
	v_rcp_f32_e32 v4, v1
	s_delay_alu instid0(TRANS32_DEP_1) | instskip(NEXT) | instid1(VALU_DEP_1)
	v_fma_f32 v5, -v1, v4, 1.0
	v_fmac_f32_e32 v4, v5, v4
	v_div_scale_f32 v5, vcc_lo, 1.0, v2, 1.0
	s_delay_alu instid0(VALU_DEP_1) | instskip(NEXT) | instid1(VALU_DEP_1)
	v_mul_f32_e32 v6, v5, v4
	v_fma_f32 v8, -v1, v6, v5
	s_delay_alu instid0(VALU_DEP_1) | instskip(NEXT) | instid1(VALU_DEP_1)
	v_fmac_f32_e32 v6, v8, v4
	v_fma_f32 v1, -v1, v6, v5
	s_wait_alu 0xfffd
	s_delay_alu instid0(VALU_DEP_1) | instskip(NEXT) | instid1(VALU_DEP_1)
	v_div_fmas_f32 v1, v1, v4, v6
	v_div_fixup_f32 v1, v1, v2, 1.0
	s_delay_alu instid0(VALU_DEP_1) | instskip(SKIP_1) | instid1(VALU_DEP_2)
	v_mul_f32_e32 v3, v3, v1
	v_xor_b32_e32 v4, 0x80000000, v1
                                        ; implicit-def: $vgpr1_vgpr2
	v_xor_b32_e32 v5, 0x80000000, v3
.LBB43_15:
	s_wait_alu 0xfffe
	s_and_not1_saveexec_b32 s1, s1
	s_cbranch_execz .LBB43_17
; %bb.16:
	v_div_scale_f32 v3, null, v1, v1, v2
	v_div_scale_f32 v6, vcc_lo, v2, v1, v2
	s_delay_alu instid0(VALU_DEP_2) | instskip(NEXT) | instid1(TRANS32_DEP_1)
	v_rcp_f32_e32 v4, v3
	v_fma_f32 v5, -v3, v4, 1.0
	s_delay_alu instid0(VALU_DEP_1) | instskip(NEXT) | instid1(VALU_DEP_1)
	v_fmac_f32_e32 v4, v5, v4
	v_mul_f32_e32 v5, v6, v4
	s_delay_alu instid0(VALU_DEP_1) | instskip(NEXT) | instid1(VALU_DEP_1)
	v_fma_f32 v8, -v3, v5, v6
	v_fmac_f32_e32 v5, v8, v4
	s_delay_alu instid0(VALU_DEP_1) | instskip(SKIP_1) | instid1(VALU_DEP_1)
	v_fma_f32 v3, -v3, v5, v6
	s_wait_alu 0xfffd
	v_div_fmas_f32 v3, v3, v4, v5
	s_delay_alu instid0(VALU_DEP_1) | instskip(NEXT) | instid1(VALU_DEP_1)
	v_div_fixup_f32 v4, v3, v1, v2
	v_fmac_f32_e32 v1, v2, v4
	s_delay_alu instid0(VALU_DEP_1) | instskip(SKIP_1) | instid1(VALU_DEP_2)
	v_div_scale_f32 v2, null, v1, v1, 1.0
	v_div_scale_f32 v6, vcc_lo, 1.0, v1, 1.0
	v_rcp_f32_e32 v3, v2
	s_delay_alu instid0(TRANS32_DEP_1) | instskip(NEXT) | instid1(VALU_DEP_1)
	v_fma_f32 v5, -v2, v3, 1.0
	v_fmac_f32_e32 v3, v5, v3
	s_delay_alu instid0(VALU_DEP_1) | instskip(NEXT) | instid1(VALU_DEP_1)
	v_mul_f32_e32 v5, v6, v3
	v_fma_f32 v8, -v2, v5, v6
	s_delay_alu instid0(VALU_DEP_1) | instskip(NEXT) | instid1(VALU_DEP_1)
	v_fmac_f32_e32 v5, v8, v3
	v_fma_f32 v2, -v2, v5, v6
	s_wait_alu 0xfffd
	s_delay_alu instid0(VALU_DEP_1) | instskip(NEXT) | instid1(VALU_DEP_1)
	v_div_fmas_f32 v2, v2, v3, v5
	v_div_fixup_f32 v3, v2, v1, 1.0
	s_delay_alu instid0(VALU_DEP_1)
	v_xor_b32_e32 v5, 0x80000000, v3
	v_mul_f32_e64 v4, v4, -v3
.LBB43_17:
	s_wait_alu 0xfffe
	s_or_b32 exec_lo, exec_lo, s1
	scratch_store_b64 v7, v[3:4], off
	scratch_load_b64 v[2:3], off, off offset:8
	v_xor_b32_e32 v6, 0x80000000, v4
	v_add_nc_u32_e32 v1, 0x160, v13
	s_wait_loadcnt 0x0
	ds_store_2addr_b64 v13, v[5:6], v[2:3] offset1:44
	s_wait_storecnt_dscnt 0x0
	s_barrier_signal -1
	s_barrier_wait -1
	global_inv scope:SCOPE_SE
	s_and_saveexec_b32 s1, s0
	s_cbranch_execz .LBB43_19
; %bb.18:
	scratch_load_b64 v[2:3], v7, off
	ds_load_b64 v[4:5], v1
	v_mov_b32_e32 v6, 0
	ds_load_b64 v[8:9], v6 offset:8
	s_wait_loadcnt_dscnt 0x1
	v_mul_f32_e32 v6, v4, v3
	v_mul_f32_e32 v3, v5, v3
	s_delay_alu instid0(VALU_DEP_2) | instskip(NEXT) | instid1(VALU_DEP_2)
	v_fmac_f32_e32 v6, v5, v2
	v_fma_f32 v2, v4, v2, -v3
	s_delay_alu instid0(VALU_DEP_2) | instskip(SKIP_1) | instid1(VALU_DEP_1)
	v_add_f32_e32 v4, 0, v6
	s_wait_dscnt 0x0
	v_dual_add_f32 v2, 0, v2 :: v_dual_mul_f32 v5, v4, v9
	s_delay_alu instid0(VALU_DEP_1) | instskip(NEXT) | instid1(VALU_DEP_1)
	v_mul_f32_e32 v3, v2, v9
	v_fmac_f32_e32 v3, v4, v8
	s_delay_alu instid0(VALU_DEP_3)
	v_fma_f32 v2, v2, v8, -v5
	scratch_store_b64 off, v[2:3], off offset:8
.LBB43_19:
	s_wait_alu 0xfffe
	s_or_b32 exec_lo, exec_lo, s1
	s_wait_loadcnt 0x0
	s_wait_storecnt 0x0
	s_barrier_signal -1
	s_barrier_wait -1
	global_inv scope:SCOPE_SE
	scratch_load_b64 v[2:3], off, off offset:16
	s_mov_b32 s1, exec_lo
	s_wait_loadcnt 0x0
	ds_store_b64 v1, v[2:3]
	s_wait_dscnt 0x0
	s_barrier_signal -1
	s_barrier_wait -1
	global_inv scope:SCOPE_SE
	v_cmpx_gt_u32_e32 2, v0
	s_cbranch_execz .LBB43_23
; %bb.20:
	scratch_load_b64 v[2:3], v7, off
	ds_load_b64 v[4:5], v1
	s_wait_loadcnt_dscnt 0x0
	v_mul_f32_e32 v6, v5, v3
	v_mul_f32_e32 v8, v4, v3
	s_delay_alu instid0(VALU_DEP_2) | instskip(NEXT) | instid1(VALU_DEP_1)
	v_fma_f32 v3, v4, v2, -v6
	v_dual_fmac_f32 v8, v5, v2 :: v_dual_add_f32 v3, 0, v3
	s_delay_alu instid0(VALU_DEP_1)
	v_add_f32_e32 v2, 0, v8
	s_and_saveexec_b32 s4, s0
	s_cbranch_execz .LBB43_22
; %bb.21:
	scratch_load_b64 v[4:5], off, off offset:8
	v_mov_b32_e32 v6, 0
	ds_load_b64 v[8:9], v6 offset:360
	s_wait_loadcnt_dscnt 0x0
	v_mul_f32_e32 v6, v8, v5
	v_mul_f32_e32 v5, v9, v5
	s_delay_alu instid0(VALU_DEP_2) | instskip(NEXT) | instid1(VALU_DEP_2)
	v_fmac_f32_e32 v6, v9, v4
	v_fma_f32 v4, v8, v4, -v5
	s_delay_alu instid0(VALU_DEP_1)
	v_dual_add_f32 v2, v2, v6 :: v_dual_add_f32 v3, v3, v4
.LBB43_22:
	s_wait_alu 0xfffe
	s_or_b32 exec_lo, exec_lo, s4
	v_mov_b32_e32 v4, 0
	ds_load_b64 v[4:5], v4 offset:16
	s_wait_dscnt 0x0
	v_mul_f32_e32 v8, v2, v5
	v_mul_f32_e32 v6, v3, v5
	s_delay_alu instid0(VALU_DEP_2) | instskip(NEXT) | instid1(VALU_DEP_2)
	v_fma_f32 v5, v3, v4, -v8
	v_fmac_f32_e32 v6, v2, v4
	scratch_store_b64 off, v[5:6], off offset:16
.LBB43_23:
	s_wait_alu 0xfffe
	s_or_b32 exec_lo, exec_lo, s1
	s_wait_loadcnt 0x0
	s_wait_storecnt 0x0
	s_barrier_signal -1
	s_barrier_wait -1
	global_inv scope:SCOPE_SE
	scratch_load_b64 v[3:4], off, off offset:24
	v_add_nc_u32_e32 v2, -1, v0
	s_mov_b32 s0, exec_lo
	s_wait_loadcnt 0x0
	ds_store_b64 v1, v[3:4]
	s_wait_dscnt 0x0
	s_barrier_signal -1
	s_barrier_wait -1
	global_inv scope:SCOPE_SE
	v_cmpx_gt_u32_e32 3, v0
	s_cbranch_execz .LBB43_27
; %bb.24:
	v_dual_mov_b32 v3, 0 :: v_dual_add_nc_u32 v4, -1, v0
	v_dual_mov_b32 v6, v13 :: v_dual_add_nc_u32 v5, 0x160, v13
	v_mov_b32_e32 v8, 0
	s_mov_b32 s1, 0
.LBB43_25:                              ; =>This Inner Loop Header: Depth=1
	scratch_load_b64 v[9:10], v6, off
	ds_load_b64 v[11:12], v5
	v_add_nc_u32_e32 v6, 8, v6
	s_wait_loadcnt_dscnt 0x0
	v_dual_mul_f32 v14, v12, v10 :: v_dual_add_nc_u32 v5, 8, v5
	v_mul_f32_e32 v10, v11, v10
	s_delay_alu instid0(VALU_DEP_2) | instskip(NEXT) | instid1(VALU_DEP_2)
	v_fma_f32 v11, v11, v9, -v14
	v_fmac_f32_e32 v10, v12, v9
	v_add_nc_u32_e32 v4, 1, v4
	s_delay_alu instid0(VALU_DEP_2) | instskip(NEXT) | instid1(VALU_DEP_2)
	v_dual_add_f32 v8, v8, v11 :: v_dual_add_f32 v3, v3, v10
	v_cmp_lt_u32_e32 vcc_lo, 1, v4
	s_wait_alu 0xfffe
	s_or_b32 s1, vcc_lo, s1
	s_wait_alu 0xfffe
	s_and_not1_b32 exec_lo, exec_lo, s1
	s_cbranch_execnz .LBB43_25
; %bb.26:
	s_or_b32 exec_lo, exec_lo, s1
	v_mov_b32_e32 v4, 0
	ds_load_b64 v[4:5], v4 offset:24
	s_wait_dscnt 0x0
	v_mul_f32_e32 v9, v3, v5
	v_mul_f32_e32 v6, v8, v5
	s_delay_alu instid0(VALU_DEP_2) | instskip(NEXT) | instid1(VALU_DEP_2)
	v_fma_f32 v5, v8, v4, -v9
	v_fmac_f32_e32 v6, v3, v4
	scratch_store_b64 off, v[5:6], off offset:24
.LBB43_27:
	s_wait_alu 0xfffe
	s_or_b32 exec_lo, exec_lo, s0
	s_wait_loadcnt 0x0
	s_wait_storecnt 0x0
	s_barrier_signal -1
	s_barrier_wait -1
	global_inv scope:SCOPE_SE
	scratch_load_b64 v[3:4], off, off offset:32
	s_mov_b32 s0, exec_lo
	s_wait_loadcnt 0x0
	ds_store_b64 v1, v[3:4]
	s_wait_dscnt 0x0
	s_barrier_signal -1
	s_barrier_wait -1
	global_inv scope:SCOPE_SE
	v_cmpx_gt_u32_e32 4, v0
	s_cbranch_execz .LBB43_31
; %bb.28:
	v_dual_mov_b32 v3, 0 :: v_dual_add_nc_u32 v4, -1, v0
	v_dual_mov_b32 v6, v13 :: v_dual_add_nc_u32 v5, 0x160, v13
	v_mov_b32_e32 v8, 0
	s_mov_b32 s1, 0
.LBB43_29:                              ; =>This Inner Loop Header: Depth=1
	scratch_load_b64 v[9:10], v6, off
	ds_load_b64 v[11:12], v5
	v_add_nc_u32_e32 v6, 8, v6
	s_wait_loadcnt_dscnt 0x0
	v_dual_mul_f32 v14, v12, v10 :: v_dual_add_nc_u32 v5, 8, v5
	v_mul_f32_e32 v10, v11, v10
	s_delay_alu instid0(VALU_DEP_2) | instskip(NEXT) | instid1(VALU_DEP_2)
	v_fma_f32 v11, v11, v9, -v14
	v_fmac_f32_e32 v10, v12, v9
	v_add_nc_u32_e32 v4, 1, v4
	s_delay_alu instid0(VALU_DEP_2) | instskip(NEXT) | instid1(VALU_DEP_2)
	v_dual_add_f32 v8, v8, v11 :: v_dual_add_f32 v3, v3, v10
	v_cmp_lt_u32_e32 vcc_lo, 2, v4
	s_wait_alu 0xfffe
	s_or_b32 s1, vcc_lo, s1
	s_wait_alu 0xfffe
	s_and_not1_b32 exec_lo, exec_lo, s1
	s_cbranch_execnz .LBB43_29
; %bb.30:
	s_or_b32 exec_lo, exec_lo, s1
	v_mov_b32_e32 v4, 0
	ds_load_b64 v[4:5], v4 offset:32
	s_wait_dscnt 0x0
	v_mul_f32_e32 v9, v3, v5
	v_mul_f32_e32 v6, v8, v5
	s_delay_alu instid0(VALU_DEP_2) | instskip(NEXT) | instid1(VALU_DEP_2)
	v_fma_f32 v5, v8, v4, -v9
	v_fmac_f32_e32 v6, v3, v4
	scratch_store_b64 off, v[5:6], off offset:32
.LBB43_31:
	s_wait_alu 0xfffe
	s_or_b32 exec_lo, exec_lo, s0
	s_wait_loadcnt 0x0
	s_wait_storecnt 0x0
	s_barrier_signal -1
	s_barrier_wait -1
	global_inv scope:SCOPE_SE
	scratch_load_b64 v[3:4], off, off offset:40
	;; [unrolled: 53-line block ×19, first 2 shown]
	s_mov_b32 s0, exec_lo
	s_wait_loadcnt 0x0
	ds_store_b64 v1, v[3:4]
	s_wait_dscnt 0x0
	s_barrier_signal -1
	s_barrier_wait -1
	global_inv scope:SCOPE_SE
	v_cmpx_gt_u32_e32 22, v0
	s_cbranch_execz .LBB43_103
; %bb.100:
	v_dual_mov_b32 v3, 0 :: v_dual_add_nc_u32 v4, -1, v0
	v_dual_mov_b32 v6, v13 :: v_dual_add_nc_u32 v5, 0x160, v13
	v_mov_b32_e32 v8, 0
	s_mov_b32 s1, 0
.LBB43_101:                             ; =>This Inner Loop Header: Depth=1
	scratch_load_b64 v[9:10], v6, off
	ds_load_b64 v[11:12], v5
	v_add_nc_u32_e32 v6, 8, v6
	s_wait_loadcnt_dscnt 0x0
	v_dual_mul_f32 v14, v12, v10 :: v_dual_add_nc_u32 v5, 8, v5
	v_mul_f32_e32 v10, v11, v10
	s_delay_alu instid0(VALU_DEP_2) | instskip(NEXT) | instid1(VALU_DEP_2)
	v_fma_f32 v11, v11, v9, -v14
	v_fmac_f32_e32 v10, v12, v9
	v_add_nc_u32_e32 v4, 1, v4
	s_delay_alu instid0(VALU_DEP_2) | instskip(NEXT) | instid1(VALU_DEP_2)
	v_dual_add_f32 v8, v8, v11 :: v_dual_add_f32 v3, v3, v10
	v_cmp_lt_u32_e32 vcc_lo, 20, v4
	s_wait_alu 0xfffe
	s_or_b32 s1, vcc_lo, s1
	s_wait_alu 0xfffe
	s_and_not1_b32 exec_lo, exec_lo, s1
	s_cbranch_execnz .LBB43_101
; %bb.102:
	s_or_b32 exec_lo, exec_lo, s1
	v_mov_b32_e32 v4, 0
	ds_load_b64 v[4:5], v4 offset:176
	s_wait_dscnt 0x0
	v_mul_f32_e32 v9, v3, v5
	v_mul_f32_e32 v6, v8, v5
	s_delay_alu instid0(VALU_DEP_2) | instskip(NEXT) | instid1(VALU_DEP_2)
	v_fma_f32 v5, v8, v4, -v9
	v_fmac_f32_e32 v6, v3, v4
	scratch_store_b64 off, v[5:6], off offset:176
.LBB43_103:
	s_wait_alu 0xfffe
	s_or_b32 exec_lo, exec_lo, s0
	s_wait_loadcnt 0x0
	s_wait_storecnt 0x0
	s_barrier_signal -1
	s_barrier_wait -1
	global_inv scope:SCOPE_SE
	scratch_load_b64 v[3:4], off, off offset:184
	s_mov_b32 s0, exec_lo
	s_wait_loadcnt 0x0
	ds_store_b64 v1, v[3:4]
	s_wait_dscnt 0x0
	s_barrier_signal -1
	s_barrier_wait -1
	global_inv scope:SCOPE_SE
	v_cmpx_gt_u32_e32 23, v0
	s_cbranch_execz .LBB43_107
; %bb.104:
	v_dual_mov_b32 v3, 0 :: v_dual_add_nc_u32 v4, -1, v0
	v_dual_mov_b32 v6, v13 :: v_dual_add_nc_u32 v5, 0x160, v13
	v_mov_b32_e32 v8, 0
	s_mov_b32 s1, 0
.LBB43_105:                             ; =>This Inner Loop Header: Depth=1
	scratch_load_b64 v[9:10], v6, off
	ds_load_b64 v[11:12], v5
	v_add_nc_u32_e32 v6, 8, v6
	s_wait_loadcnt_dscnt 0x0
	v_dual_mul_f32 v14, v12, v10 :: v_dual_add_nc_u32 v5, 8, v5
	v_mul_f32_e32 v10, v11, v10
	s_delay_alu instid0(VALU_DEP_2) | instskip(NEXT) | instid1(VALU_DEP_2)
	v_fma_f32 v11, v11, v9, -v14
	v_fmac_f32_e32 v10, v12, v9
	v_add_nc_u32_e32 v4, 1, v4
	s_delay_alu instid0(VALU_DEP_2) | instskip(NEXT) | instid1(VALU_DEP_2)
	v_dual_add_f32 v8, v8, v11 :: v_dual_add_f32 v3, v3, v10
	v_cmp_lt_u32_e32 vcc_lo, 21, v4
	s_wait_alu 0xfffe
	s_or_b32 s1, vcc_lo, s1
	s_wait_alu 0xfffe
	s_and_not1_b32 exec_lo, exec_lo, s1
	s_cbranch_execnz .LBB43_105
; %bb.106:
	s_or_b32 exec_lo, exec_lo, s1
	v_mov_b32_e32 v4, 0
	ds_load_b64 v[4:5], v4 offset:184
	s_wait_dscnt 0x0
	v_mul_f32_e32 v9, v3, v5
	v_mul_f32_e32 v6, v8, v5
	s_delay_alu instid0(VALU_DEP_2) | instskip(NEXT) | instid1(VALU_DEP_2)
	v_fma_f32 v5, v8, v4, -v9
	v_fmac_f32_e32 v6, v3, v4
	scratch_store_b64 off, v[5:6], off offset:184
.LBB43_107:
	s_wait_alu 0xfffe
	s_or_b32 exec_lo, exec_lo, s0
	s_wait_loadcnt 0x0
	s_wait_storecnt 0x0
	s_barrier_signal -1
	s_barrier_wait -1
	global_inv scope:SCOPE_SE
	scratch_load_b64 v[3:4], off, off offset:192
	;; [unrolled: 53-line block ×20, first 2 shown]
	s_mov_b32 s0, exec_lo
	s_wait_loadcnt 0x0
	ds_store_b64 v1, v[3:4]
	s_wait_dscnt 0x0
	s_barrier_signal -1
	s_barrier_wait -1
	global_inv scope:SCOPE_SE
	v_cmpx_gt_u32_e32 42, v0
	s_cbranch_execz .LBB43_183
; %bb.180:
	v_dual_mov_b32 v3, 0 :: v_dual_add_nc_u32 v4, -1, v0
	v_dual_mov_b32 v6, v13 :: v_dual_add_nc_u32 v5, 0x160, v13
	v_mov_b32_e32 v8, 0
	s_mov_b32 s1, 0
.LBB43_181:                             ; =>This Inner Loop Header: Depth=1
	scratch_load_b64 v[9:10], v6, off
	ds_load_b64 v[11:12], v5
	v_add_nc_u32_e32 v6, 8, v6
	v_add_nc_u32_e32 v4, 1, v4
	;; [unrolled: 1-line block ×3, first 2 shown]
	s_delay_alu instid0(VALU_DEP_2)
	v_cmp_lt_u32_e32 vcc_lo, 40, v4
	s_wait_alu 0xfffe
	s_or_b32 s1, vcc_lo, s1
	s_wait_loadcnt_dscnt 0x0
	v_mul_f32_e32 v13, v12, v10
	v_mul_f32_e32 v10, v11, v10
	s_delay_alu instid0(VALU_DEP_2) | instskip(NEXT) | instid1(VALU_DEP_2)
	v_fma_f32 v11, v11, v9, -v13
	v_fmac_f32_e32 v10, v12, v9
	s_delay_alu instid0(VALU_DEP_1)
	v_dual_add_f32 v8, v8, v11 :: v_dual_add_f32 v3, v3, v10
	s_wait_alu 0xfffe
	s_and_not1_b32 exec_lo, exec_lo, s1
	s_cbranch_execnz .LBB43_181
; %bb.182:
	s_or_b32 exec_lo, exec_lo, s1
	v_mov_b32_e32 v4, 0
	ds_load_b64 v[4:5], v4 offset:336
	s_wait_dscnt 0x0
	v_mul_f32_e32 v9, v3, v5
	v_mul_f32_e32 v6, v8, v5
	s_delay_alu instid0(VALU_DEP_2) | instskip(NEXT) | instid1(VALU_DEP_2)
	v_fma_f32 v5, v8, v4, -v9
	v_fmac_f32_e32 v6, v3, v4
	scratch_store_b64 off, v[5:6], off offset:336
.LBB43_183:
	s_wait_alu 0xfffe
	s_or_b32 exec_lo, exec_lo, s0
	s_wait_loadcnt 0x0
	s_wait_storecnt 0x0
	s_barrier_signal -1
	s_barrier_wait -1
	global_inv scope:SCOPE_SE
	scratch_load_b64 v[3:4], off, off offset:344
	s_mov_b32 s0, exec_lo
	s_wait_loadcnt 0x0
	ds_store_b64 v1, v[3:4]
	s_wait_dscnt 0x0
	s_barrier_signal -1
	s_barrier_wait -1
	global_inv scope:SCOPE_SE
	v_cmpx_ne_u32_e32 43, v0
	s_cbranch_execz .LBB43_187
; %bb.184:
	v_dual_mov_b32 v3, 0 :: v_dual_mov_b32 v4, 0
	s_mov_b32 s1, 0
.LBB43_185:                             ; =>This Inner Loop Header: Depth=1
	scratch_load_b64 v[5:6], v7, off
	ds_load_b64 v[8:9], v1
	v_add_nc_u32_e32 v2, 1, v2
	v_add_nc_u32_e32 v1, 8, v1
	;; [unrolled: 1-line block ×3, first 2 shown]
	s_delay_alu instid0(VALU_DEP_3)
	v_cmp_lt_u32_e32 vcc_lo, 41, v2
	s_wait_alu 0xfffe
	s_or_b32 s1, vcc_lo, s1
	s_wait_loadcnt_dscnt 0x0
	v_mul_f32_e32 v10, v9, v6
	v_mul_f32_e32 v6, v8, v6
	s_delay_alu instid0(VALU_DEP_2) | instskip(NEXT) | instid1(VALU_DEP_2)
	v_fma_f32 v8, v8, v5, -v10
	v_fmac_f32_e32 v6, v9, v5
	s_delay_alu instid0(VALU_DEP_1)
	v_dual_add_f32 v4, v4, v8 :: v_dual_add_f32 v3, v3, v6
	s_wait_alu 0xfffe
	s_and_not1_b32 exec_lo, exec_lo, s1
	s_cbranch_execnz .LBB43_185
; %bb.186:
	s_or_b32 exec_lo, exec_lo, s1
	v_mov_b32_e32 v1, 0
	ds_load_b64 v[1:2], v1 offset:344
	s_wait_dscnt 0x0
	v_mul_f32_e32 v6, v3, v2
	v_mul_f32_e32 v5, v4, v2
	s_delay_alu instid0(VALU_DEP_2) | instskip(NEXT) | instid1(VALU_DEP_2)
	v_fma_f32 v4, v4, v1, -v6
	v_fmac_f32_e32 v5, v3, v1
	scratch_store_b64 off, v[4:5], off offset:344
.LBB43_187:
	s_wait_alu 0xfffe
	s_or_b32 exec_lo, exec_lo, s0
	s_mov_b32 s1, -1
	s_wait_loadcnt 0x0
	s_wait_storecnt 0x0
	s_barrier_signal -1
	s_barrier_wait -1
	global_inv scope:SCOPE_SE
.LBB43_188:
	s_wait_alu 0xfffe
	s_and_b32 vcc_lo, exec_lo, s1
	s_wait_alu 0xfffe
	s_cbranch_vccz .LBB43_190
; %bb.189:
	v_mov_b32_e32 v1, 0
	s_lshl_b64 s[0:1], s[16:17], 2
	s_wait_alu 0xfffe
	s_add_nc_u64 s[0:1], s[6:7], s[0:1]
	global_load_b32 v1, v1, s[0:1]
	s_wait_loadcnt 0x0
	v_cmp_ne_u32_e32 vcc_lo, 0, v1
	s_cbranch_vccz .LBB43_191
.LBB43_190:
	s_nop 0
	s_sendmsg sendmsg(MSG_DEALLOC_VGPRS)
	s_endpgm
.LBB43_191:
	v_lshl_add_u32 v23, v0, 3, 0x160
	s_mov_b32 s0, exec_lo
	v_cmpx_eq_u32_e32 43, v0
	s_cbranch_execz .LBB43_193
; %bb.192:
	scratch_load_b64 v[1:2], off, off offset:336
	v_mov_b32_e32 v3, 0
	s_delay_alu instid0(VALU_DEP_1)
	v_mov_b32_e32 v4, v3
	scratch_store_b64 off, v[3:4], off offset:336
	s_wait_loadcnt 0x0
	ds_store_b64 v23, v[1:2]
.LBB43_193:
	s_wait_alu 0xfffe
	s_or_b32 exec_lo, exec_lo, s0
	s_wait_storecnt_dscnt 0x0
	s_barrier_signal -1
	s_barrier_wait -1
	global_inv scope:SCOPE_SE
	s_clause 0x1
	scratch_load_b64 v[2:3], off, off offset:344
	scratch_load_b64 v[4:5], off, off offset:336
	v_mov_b32_e32 v1, 0
	s_mov_b32 s0, exec_lo
	ds_load_b64 v[6:7], v1 offset:696
	s_wait_loadcnt_dscnt 0x100
	v_mul_f32_e32 v8, v7, v3
	v_mul_f32_e32 v3, v6, v3
	s_delay_alu instid0(VALU_DEP_2) | instskip(NEXT) | instid1(VALU_DEP_2)
	v_fma_f32 v6, v6, v2, -v8
	v_fmac_f32_e32 v3, v7, v2
	s_delay_alu instid0(VALU_DEP_1) | instskip(SKIP_1) | instid1(VALU_DEP_1)
	v_dual_add_f32 v2, 0, v6 :: v_dual_add_f32 v3, 0, v3
	s_wait_loadcnt 0x0
	v_dual_sub_f32 v2, v4, v2 :: v_dual_sub_f32 v3, v5, v3
	scratch_store_b64 off, v[2:3], off offset:336
	v_cmpx_lt_u32_e32 41, v0
	s_cbranch_execz .LBB43_195
; %bb.194:
	scratch_load_b64 v[3:4], off, off offset:328
	v_mov_b32_e32 v2, v1
	scratch_store_b64 off, v[1:2], off offset:328
	s_wait_loadcnt 0x0
	ds_store_b64 v23, v[3:4]
.LBB43_195:
	s_wait_alu 0xfffe
	s_or_b32 exec_lo, exec_lo, s0
	s_wait_storecnt_dscnt 0x0
	s_barrier_signal -1
	s_barrier_wait -1
	global_inv scope:SCOPE_SE
	s_clause 0x1
	scratch_load_b128 v[2:5], off, off offset:336
	scratch_load_b64 v[10:11], off, off offset:328
	ds_load_b128 v[6:9], v1 offset:688
	s_mov_b32 s0, exec_lo
	s_wait_loadcnt_dscnt 0x100
	v_dual_mul_f32 v1, v7, v3 :: v_dual_mul_f32 v12, v8, v5
	v_mul_f32_e32 v3, v6, v3
	s_delay_alu instid0(VALU_DEP_2) | instskip(NEXT) | instid1(VALU_DEP_2)
	v_fma_f32 v1, v6, v2, -v1
	v_dual_fmac_f32 v12, v9, v4 :: v_dual_fmac_f32 v3, v7, v2
	s_delay_alu instid0(VALU_DEP_2) | instskip(NEXT) | instid1(VALU_DEP_2)
	v_add_f32_e32 v1, 0, v1
	v_add_f32_e32 v3, 0, v3
	v_mul_f32_e32 v5, v9, v5
	s_delay_alu instid0(VALU_DEP_1) | instskip(NEXT) | instid1(VALU_DEP_1)
	v_fma_f32 v2, v8, v4, -v5
	v_dual_add_f32 v1, v1, v2 :: v_dual_add_f32 v2, v3, v12
	s_wait_loadcnt 0x0
	s_delay_alu instid0(VALU_DEP_1)
	v_dual_sub_f32 v1, v10, v1 :: v_dual_sub_f32 v2, v11, v2
	scratch_store_b64 off, v[1:2], off offset:328
	v_cmpx_lt_u32_e32 40, v0
	s_cbranch_execz .LBB43_197
; %bb.196:
	scratch_load_b64 v[1:2], off, off offset:320
	v_mov_b32_e32 v3, 0
	s_delay_alu instid0(VALU_DEP_1)
	v_mov_b32_e32 v4, v3
	scratch_store_b64 off, v[3:4], off offset:320
	s_wait_loadcnt 0x0
	ds_store_b64 v23, v[1:2]
.LBB43_197:
	s_wait_alu 0xfffe
	s_or_b32 exec_lo, exec_lo, s0
	s_wait_storecnt_dscnt 0x0
	s_barrier_signal -1
	s_barrier_wait -1
	global_inv scope:SCOPE_SE
	s_clause 0x2
	scratch_load_b128 v[2:5], off, off offset:328
	scratch_load_b64 v[10:11], off, off offset:344
	scratch_load_b64 v[12:13], off, off offset:320
	v_mov_b32_e32 v1, 0
	ds_load_2addr_b64 v[6:9], v1 offset0:85 offset1:86
	ds_load_b64 v[14:15], v1 offset:696
	s_mov_b32 s0, exec_lo
	s_wait_loadcnt_dscnt 0x201
	v_dual_mul_f32 v16, v7, v3 :: v_dual_mul_f32 v17, v8, v5
	s_wait_loadcnt_dscnt 0x100
	v_mul_f32_e32 v18, v14, v11
	v_mul_f32_e32 v3, v6, v3
	;; [unrolled: 1-line block ×3, first 2 shown]
	v_fma_f32 v6, v6, v2, -v16
	s_delay_alu instid0(VALU_DEP_4) | instskip(NEXT) | instid1(VALU_DEP_4)
	v_fmac_f32_e32 v18, v15, v10
	v_fmac_f32_e32 v3, v7, v2
	v_mul_f32_e32 v2, v15, v11
	s_delay_alu instid0(VALU_DEP_1) | instskip(SKIP_3) | instid1(VALU_DEP_1)
	v_fma_f32 v2, v14, v10, -v2
	v_fmac_f32_e32 v17, v9, v4
	v_fma_f32 v4, v8, v4, -v5
	v_add_f32_e32 v5, 0, v6
	v_add_f32_e32 v4, v5, v4
	s_delay_alu instid0(VALU_DEP_1) | instskip(SKIP_1) | instid1(VALU_DEP_1)
	v_dual_add_f32 v2, v4, v2 :: v_dual_add_f32 v3, 0, v3
	s_wait_loadcnt 0x0
	v_dual_sub_f32 v2, v12, v2 :: v_dual_add_f32 v3, v3, v17
	s_delay_alu instid0(VALU_DEP_1) | instskip(NEXT) | instid1(VALU_DEP_1)
	v_add_f32_e32 v3, v3, v18
	v_sub_f32_e32 v3, v13, v3
	scratch_store_b64 off, v[2:3], off offset:320
	v_cmpx_lt_u32_e32 39, v0
	s_cbranch_execz .LBB43_199
; %bb.198:
	scratch_load_b64 v[3:4], off, off offset:312
	v_mov_b32_e32 v2, v1
	scratch_store_b64 off, v[1:2], off offset:312
	s_wait_loadcnt 0x0
	ds_store_b64 v23, v[3:4]
.LBB43_199:
	s_wait_alu 0xfffe
	s_or_b32 exec_lo, exec_lo, s0
	s_wait_storecnt_dscnt 0x0
	s_barrier_signal -1
	s_barrier_wait -1
	global_inv scope:SCOPE_SE
	s_clause 0x2
	scratch_load_b128 v[2:5], off, off offset:320
	scratch_load_b128 v[6:9], off, off offset:336
	scratch_load_b64 v[18:19], off, off offset:312
	ds_load_b128 v[10:13], v1 offset:672
	ds_load_b128 v[14:17], v1 offset:688
	s_mov_b32 s0, exec_lo
	s_wait_loadcnt_dscnt 0x201
	v_dual_mul_f32 v1, v10, v3 :: v_dual_mul_f32 v20, v12, v5
	s_wait_loadcnt_dscnt 0x100
	v_dual_mul_f32 v3, v11, v3 :: v_dual_mul_f32 v22, v16, v9
	v_mul_f32_e32 v5, v13, v5
	s_delay_alu instid0(VALU_DEP_3) | instskip(NEXT) | instid1(VALU_DEP_3)
	v_dual_mul_f32 v21, v14, v7 :: v_dual_fmac_f32 v20, v13, v4
	v_fma_f32 v3, v10, v2, -v3
	s_delay_alu instid0(VALU_DEP_4) | instskip(SKIP_2) | instid1(VALU_DEP_4)
	v_dual_fmac_f32 v1, v11, v2 :: v_dual_fmac_f32 v22, v17, v8
	v_mul_f32_e32 v2, v15, v7
	v_fma_f32 v4, v12, v4, -v5
	v_add_f32_e32 v3, 0, v3
	v_fmac_f32_e32 v21, v15, v6
	s_delay_alu instid0(VALU_DEP_4) | instskip(NEXT) | instid1(VALU_DEP_3)
	v_fma_f32 v2, v14, v6, -v2
	v_add_f32_e32 v3, v3, v4
	s_delay_alu instid0(VALU_DEP_1) | instskip(NEXT) | instid1(VALU_DEP_1)
	v_dual_add_f32 v1, 0, v1 :: v_dual_add_f32 v2, v3, v2
	v_add_f32_e32 v1, v1, v20
	s_delay_alu instid0(VALU_DEP_1) | instskip(NEXT) | instid1(VALU_DEP_1)
	v_add_f32_e32 v1, v1, v21
	v_add_f32_e32 v3, v1, v22
	v_mul_f32_e32 v5, v17, v9
	s_delay_alu instid0(VALU_DEP_1) | instskip(NEXT) | instid1(VALU_DEP_1)
	v_fma_f32 v4, v16, v8, -v5
	v_add_f32_e32 v2, v2, v4
	s_wait_loadcnt 0x0
	s_delay_alu instid0(VALU_DEP_1)
	v_dual_sub_f32 v1, v18, v2 :: v_dual_sub_f32 v2, v19, v3
	scratch_store_b64 off, v[1:2], off offset:312
	v_cmpx_lt_u32_e32 38, v0
	s_cbranch_execz .LBB43_201
; %bb.200:
	scratch_load_b64 v[1:2], off, off offset:304
	v_mov_b32_e32 v3, 0
	s_delay_alu instid0(VALU_DEP_1)
	v_mov_b32_e32 v4, v3
	scratch_store_b64 off, v[3:4], off offset:304
	s_wait_loadcnt 0x0
	ds_store_b64 v23, v[1:2]
.LBB43_201:
	s_wait_alu 0xfffe
	s_or_b32 exec_lo, exec_lo, s0
	s_wait_storecnt_dscnt 0x0
	s_barrier_signal -1
	s_barrier_wait -1
	global_inv scope:SCOPE_SE
	s_clause 0x3
	scratch_load_b128 v[2:5], off, off offset:312
	scratch_load_b128 v[6:9], off, off offset:328
	scratch_load_b64 v[18:19], off, off offset:344
	scratch_load_b64 v[20:21], off, off offset:304
	v_mov_b32_e32 v1, 0
	ds_load_2addr_b64 v[10:13], v1 offset0:83 offset1:84
	ds_load_2addr_b64 v[14:17], v1 offset0:85 offset1:86
	ds_load_b64 v[24:25], v1 offset:696
	s_mov_b32 s0, exec_lo
	s_wait_loadcnt_dscnt 0x302
	v_mul_f32_e32 v22, v10, v3
	v_dual_mul_f32 v26, v12, v5 :: v_dual_mul_f32 v3, v11, v3
	s_wait_loadcnt_dscnt 0x100
	v_mul_f32_e32 v117, v24, v19
	s_delay_alu instid0(VALU_DEP_3)
	v_dual_mul_f32 v5, v13, v5 :: v_dual_fmac_f32 v22, v11, v2
	v_dual_mul_f32 v27, v14, v7 :: v_dual_mul_f32 v116, v16, v9
	v_fma_f32 v3, v10, v2, -v3
	v_mul_f32_e32 v2, v15, v7
	v_fmac_f32_e32 v26, v13, v4
	v_fma_f32 v4, v12, v4, -v5
	v_dual_add_f32 v5, 0, v22 :: v_dual_fmac_f32 v116, v17, v8
	v_add_f32_e32 v3, 0, v3
	v_fma_f32 v2, v14, v6, -v2
	v_fmac_f32_e32 v27, v15, v6
	v_fmac_f32_e32 v117, v25, v18
	s_delay_alu instid0(VALU_DEP_4) | instskip(NEXT) | instid1(VALU_DEP_1)
	v_dual_add_f32 v3, v3, v4 :: v_dual_add_f32 v4, v5, v26
	v_dual_mul_f32 v7, v17, v9 :: v_dual_add_f32 v2, v3, v2
	s_delay_alu instid0(VALU_DEP_2) | instskip(NEXT) | instid1(VALU_DEP_2)
	v_add_f32_e32 v3, v4, v27
	v_fma_f32 v6, v16, v8, -v7
	s_delay_alu instid0(VALU_DEP_1) | instskip(NEXT) | instid1(VALU_DEP_1)
	v_dual_mul_f32 v5, v25, v19 :: v_dual_add_f32 v2, v2, v6
	v_fma_f32 v4, v24, v18, -v5
	s_delay_alu instid0(VALU_DEP_1) | instskip(SKIP_1) | instid1(VALU_DEP_1)
	v_add_f32_e32 v2, v2, v4
	s_wait_loadcnt 0x0
	v_dual_add_f32 v3, v3, v116 :: v_dual_sub_f32 v2, v20, v2
	s_delay_alu instid0(VALU_DEP_1) | instskip(NEXT) | instid1(VALU_DEP_1)
	v_add_f32_e32 v3, v3, v117
	v_sub_f32_e32 v3, v21, v3
	scratch_store_b64 off, v[2:3], off offset:304
	v_cmpx_lt_u32_e32 37, v0
	s_cbranch_execz .LBB43_203
; %bb.202:
	scratch_load_b64 v[3:4], off, off offset:296
	v_mov_b32_e32 v2, v1
	scratch_store_b64 off, v[1:2], off offset:296
	s_wait_loadcnt 0x0
	ds_store_b64 v23, v[3:4]
.LBB43_203:
	s_wait_alu 0xfffe
	s_or_b32 exec_lo, exec_lo, s0
	s_wait_storecnt_dscnt 0x0
	s_barrier_signal -1
	s_barrier_wait -1
	global_inv scope:SCOPE_SE
	s_clause 0x3
	scratch_load_b128 v[2:5], off, off offset:304
	scratch_load_b128 v[6:9], off, off offset:320
	;; [unrolled: 1-line block ×3, first 2 shown]
	scratch_load_b64 v[116:117], off, off offset:296
	ds_load_b128 v[14:17], v1 offset:656
	ds_load_b128 v[18:21], v1 offset:672
	;; [unrolled: 1-line block ×3, first 2 shown]
	s_mov_b32 s0, exec_lo
	s_wait_loadcnt_dscnt 0x302
	v_dual_mul_f32 v1, v14, v3 :: v_dual_mul_f32 v22, v16, v5
	v_mul_f32_e32 v3, v15, v3
	s_wait_loadcnt_dscnt 0x201
	v_dual_mul_f32 v5, v17, v5 :: v_dual_mul_f32 v118, v18, v7
	s_delay_alu instid0(VALU_DEP_3) | instskip(NEXT) | instid1(VALU_DEP_3)
	v_dual_mul_f32 v119, v20, v9 :: v_dual_fmac_f32 v22, v17, v4
	v_fma_f32 v3, v14, v2, -v3
	v_fmac_f32_e32 v1, v15, v2
	v_mul_f32_e32 v2, v19, v7
	v_fma_f32 v4, v16, v4, -v5
	s_wait_loadcnt_dscnt 0x100
	v_dual_mul_f32 v120, v24, v11 :: v_dual_mul_f32 v121, v26, v13
	v_dual_add_f32 v3, 0, v3 :: v_dual_fmac_f32 v118, v19, v6
	v_fma_f32 v2, v18, v6, -v2
	s_delay_alu instid0(VALU_DEP_3) | instskip(NEXT) | instid1(VALU_DEP_3)
	v_dual_fmac_f32 v120, v25, v10 :: v_dual_fmac_f32 v121, v27, v12
	v_dual_add_f32 v3, v3, v4 :: v_dual_mul_f32 v4, v25, v11
	s_delay_alu instid0(VALU_DEP_1) | instskip(NEXT) | instid1(VALU_DEP_2)
	v_dual_add_f32 v1, 0, v1 :: v_dual_add_f32 v2, v3, v2
	v_fma_f32 v4, v24, v10, -v4
	v_mul_f32_e32 v5, v21, v9
	v_mul_f32_e32 v3, v27, v13
	s_delay_alu instid0(VALU_DEP_2) | instskip(SKIP_1) | instid1(VALU_DEP_3)
	v_fma_f32 v5, v20, v8, -v5
	v_add_f32_e32 v1, v1, v22
	v_fma_f32 v3, v26, v12, -v3
	s_delay_alu instid0(VALU_DEP_2) | instskip(NEXT) | instid1(VALU_DEP_1)
	v_dual_add_f32 v2, v2, v5 :: v_dual_add_f32 v1, v1, v118
	v_add_f32_e32 v2, v2, v4
	s_delay_alu instid0(VALU_DEP_1) | instskip(NEXT) | instid1(VALU_DEP_1)
	v_dual_fmac_f32 v119, v21, v8 :: v_dual_add_f32 v2, v2, v3
	v_add_f32_e32 v1, v1, v119
	s_delay_alu instid0(VALU_DEP_1) | instskip(NEXT) | instid1(VALU_DEP_1)
	v_add_f32_e32 v1, v1, v120
	v_add_f32_e32 v3, v1, v121
	s_wait_loadcnt 0x0
	s_delay_alu instid0(VALU_DEP_1)
	v_dual_sub_f32 v1, v116, v2 :: v_dual_sub_f32 v2, v117, v3
	scratch_store_b64 off, v[1:2], off offset:296
	v_cmpx_lt_u32_e32 36, v0
	s_cbranch_execz .LBB43_205
; %bb.204:
	scratch_load_b64 v[1:2], off, off offset:288
	v_mov_b32_e32 v3, 0
	s_delay_alu instid0(VALU_DEP_1)
	v_mov_b32_e32 v4, v3
	scratch_store_b64 off, v[3:4], off offset:288
	s_wait_loadcnt 0x0
	ds_store_b64 v23, v[1:2]
.LBB43_205:
	s_wait_alu 0xfffe
	s_or_b32 exec_lo, exec_lo, s0
	s_wait_storecnt_dscnt 0x0
	s_barrier_signal -1
	s_barrier_wait -1
	global_inv scope:SCOPE_SE
	s_clause 0x4
	scratch_load_b128 v[2:5], off, off offset:296
	scratch_load_b128 v[6:9], off, off offset:312
	;; [unrolled: 1-line block ×3, first 2 shown]
	scratch_load_b64 v[116:117], off, off offset:344
	scratch_load_b64 v[118:119], off, off offset:288
	v_mov_b32_e32 v1, 0
	ds_load_2addr_b64 v[14:17], v1 offset0:81 offset1:82
	ds_load_2addr_b64 v[18:21], v1 offset0:83 offset1:84
	;; [unrolled: 1-line block ×3, first 2 shown]
	ds_load_b64 v[120:121], v1 offset:696
	s_mov_b32 s0, exec_lo
	s_wait_loadcnt_dscnt 0x403
	v_mul_f32_e32 v22, v14, v3
	s_wait_loadcnt_dscnt 0x302
	v_dual_mul_f32 v124, v20, v9 :: v_dual_mul_f32 v3, v15, v3
	v_dual_mul_f32 v122, v16, v5 :: v_dual_mul_f32 v123, v18, v7
	s_wait_loadcnt_dscnt 0x100
	v_dual_mul_f32 v127, v120, v117 :: v_dual_fmac_f32 v22, v15, v2
	v_mul_f32_e32 v5, v17, v5
	v_fma_f32 v3, v14, v2, -v3
	v_mul_f32_e32 v2, v19, v7
	v_fmac_f32_e32 v122, v17, v4
	v_fmac_f32_e32 v124, v21, v8
	v_fma_f32 v4, v16, v4, -v5
	v_add_f32_e32 v3, 0, v3
	v_add_f32_e32 v5, 0, v22
	v_fma_f32 v2, v18, v6, -v2
	v_fmac_f32_e32 v123, v19, v6
	v_dual_mul_f32 v125, v24, v11 :: v_dual_mul_f32 v126, v26, v13
	s_delay_alu instid0(VALU_DEP_4) | instskip(SKIP_1) | instid1(VALU_DEP_3)
	v_dual_add_f32 v3, v3, v4 :: v_dual_add_f32 v4, v5, v122
	v_mul_f32_e32 v7, v21, v9
	v_dual_mul_f32 v5, v25, v11 :: v_dual_fmac_f32 v126, v27, v12
	s_delay_alu instid0(VALU_DEP_3) | instskip(NEXT) | instid1(VALU_DEP_3)
	v_add_f32_e32 v2, v3, v2
	v_fma_f32 v6, v20, v8, -v7
	s_delay_alu instid0(VALU_DEP_1) | instskip(SKIP_3) | instid1(VALU_DEP_3)
	v_add_f32_e32 v2, v2, v6
	v_dual_mul_f32 v6, v121, v117 :: v_dual_add_f32 v3, v4, v123
	v_mul_f32_e32 v4, v27, v13
	v_fma_f32 v5, v24, v10, -v5
	v_add_f32_e32 v3, v3, v124
	s_delay_alu instid0(VALU_DEP_2) | instskip(NEXT) | instid1(VALU_DEP_4)
	v_dual_fmac_f32 v125, v25, v10 :: v_dual_add_f32 v2, v2, v5
	v_fma_f32 v4, v26, v12, -v4
	v_fma_f32 v5, v120, v116, -v6
	s_delay_alu instid0(VALU_DEP_2) | instskip(SKIP_1) | instid1(VALU_DEP_2)
	v_dual_add_f32 v3, v3, v125 :: v_dual_add_f32 v2, v2, v4
	v_fmac_f32_e32 v127, v121, v116
	v_dual_add_f32 v3, v3, v126 :: v_dual_add_f32 v2, v2, v5
	s_wait_loadcnt 0x0
	s_delay_alu instid0(VALU_DEP_1) | instskip(NEXT) | instid1(VALU_DEP_1)
	v_dual_add_f32 v3, v3, v127 :: v_dual_sub_f32 v2, v118, v2
	v_sub_f32_e32 v3, v119, v3
	scratch_store_b64 off, v[2:3], off offset:288
	v_cmpx_lt_u32_e32 35, v0
	s_cbranch_execz .LBB43_207
; %bb.206:
	scratch_load_b64 v[3:4], off, off offset:280
	v_mov_b32_e32 v2, v1
	scratch_store_b64 off, v[1:2], off offset:280
	s_wait_loadcnt 0x0
	ds_store_b64 v23, v[3:4]
.LBB43_207:
	s_wait_alu 0xfffe
	s_or_b32 exec_lo, exec_lo, s0
	s_wait_storecnt_dscnt 0x0
	s_barrier_signal -1
	s_barrier_wait -1
	global_inv scope:SCOPE_SE
	s_clause 0x4
	scratch_load_b128 v[2:5], off, off offset:288
	scratch_load_b128 v[6:9], off, off offset:304
	;; [unrolled: 1-line block ×4, first 2 shown]
	scratch_load_b64 v[124:125], off, off offset:280
	ds_load_b128 v[18:21], v1 offset:640
	ds_load_b128 v[24:27], v1 offset:656
	;; [unrolled: 1-line block ×4, first 2 shown]
	s_mov_b32 s0, exec_lo
	s_wait_loadcnt_dscnt 0x403
	v_dual_mul_f32 v1, v18, v3 :: v_dual_mul_f32 v22, v20, v5
	v_mul_f32_e32 v3, v19, v3
	s_wait_loadcnt_dscnt 0x302
	v_dual_mul_f32 v126, v24, v7 :: v_dual_mul_f32 v127, v26, v9
	s_delay_alu instid0(VALU_DEP_3) | instskip(NEXT) | instid1(VALU_DEP_3)
	v_dual_fmac_f32 v1, v19, v2 :: v_dual_fmac_f32 v22, v21, v4
	v_fma_f32 v3, v18, v2, -v3
	v_mul_f32_e32 v2, v25, v7
	s_wait_loadcnt_dscnt 0x201
	v_dual_mul_f32 v128, v116, v11 :: v_dual_mul_f32 v129, v118, v13
	s_delay_alu instid0(VALU_DEP_3) | instskip(NEXT) | instid1(VALU_DEP_3)
	v_dual_fmac_f32 v126, v25, v6 :: v_dual_add_f32 v3, 0, v3
	v_fma_f32 v2, v24, v6, -v2
	v_mul_f32_e32 v5, v21, v5
	s_delay_alu instid0(VALU_DEP_4) | instskip(SKIP_2) | instid1(VALU_DEP_3)
	v_dual_fmac_f32 v128, v117, v10 :: v_dual_add_f32 v1, 0, v1
	s_wait_loadcnt_dscnt 0x100
	v_dual_mul_f32 v130, v120, v15 :: v_dual_mul_f32 v131, v122, v17
	v_fma_f32 v4, v20, v4, -v5
	v_mul_f32_e32 v5, v27, v9
	s_delay_alu instid0(VALU_DEP_3) | instskip(NEXT) | instid1(VALU_DEP_4)
	v_dual_fmac_f32 v127, v27, v8 :: v_dual_fmac_f32 v130, v121, v14
	v_fmac_f32_e32 v131, v123, v16
	s_delay_alu instid0(VALU_DEP_3) | instskip(SKIP_1) | instid1(VALU_DEP_1)
	v_fma_f32 v5, v26, v8, -v5
	v_dual_add_f32 v3, v3, v4 :: v_dual_mul_f32 v4, v117, v11
	v_add_f32_e32 v2, v3, v2
	v_mul_f32_e32 v3, v119, v13
	s_delay_alu instid0(VALU_DEP_3) | instskip(NEXT) | instid1(VALU_DEP_3)
	v_fma_f32 v4, v116, v10, -v4
	v_dual_add_f32 v2, v2, v5 :: v_dual_add_f32 v1, v1, v22
	v_mul_f32_e32 v5, v121, v15
	s_delay_alu instid0(VALU_DEP_4) | instskip(NEXT) | instid1(VALU_DEP_3)
	v_fma_f32 v3, v118, v12, -v3
	v_dual_add_f32 v2, v2, v4 :: v_dual_add_f32 v1, v1, v126
	v_mul_f32_e32 v4, v123, v17
	v_fmac_f32_e32 v129, v119, v12
	v_fma_f32 v5, v120, v14, -v5
	s_delay_alu instid0(VALU_DEP_4) | instskip(SKIP_2) | instid1(VALU_DEP_2)
	v_add_f32_e32 v2, v2, v3
	v_add_f32_e32 v1, v1, v127
	v_fma_f32 v3, v122, v16, -v4
	v_dual_add_f32 v2, v2, v5 :: v_dual_add_f32 v1, v1, v128
	s_delay_alu instid0(VALU_DEP_1) | instskip(NEXT) | instid1(VALU_DEP_1)
	v_dual_add_f32 v2, v2, v3 :: v_dual_add_f32 v1, v1, v129
	v_add_f32_e32 v1, v1, v130
	s_delay_alu instid0(VALU_DEP_1) | instskip(SKIP_1) | instid1(VALU_DEP_1)
	v_add_f32_e32 v3, v1, v131
	s_wait_loadcnt 0x0
	v_dual_sub_f32 v1, v124, v2 :: v_dual_sub_f32 v2, v125, v3
	scratch_store_b64 off, v[1:2], off offset:280
	v_cmpx_lt_u32_e32 34, v0
	s_cbranch_execz .LBB43_209
; %bb.208:
	scratch_load_b64 v[1:2], off, off offset:272
	v_mov_b32_e32 v3, 0
	s_delay_alu instid0(VALU_DEP_1)
	v_mov_b32_e32 v4, v3
	scratch_store_b64 off, v[3:4], off offset:272
	s_wait_loadcnt 0x0
	ds_store_b64 v23, v[1:2]
.LBB43_209:
	s_wait_alu 0xfffe
	s_or_b32 exec_lo, exec_lo, s0
	s_wait_storecnt_dscnt 0x0
	s_barrier_signal -1
	s_barrier_wait -1
	global_inv scope:SCOPE_SE
	s_clause 0x5
	scratch_load_b128 v[2:5], off, off offset:280
	scratch_load_b128 v[6:9], off, off offset:296
	;; [unrolled: 1-line block ×4, first 2 shown]
	scratch_load_b64 v[124:125], off, off offset:344
	scratch_load_b64 v[126:127], off, off offset:272
	v_mov_b32_e32 v1, 0
	ds_load_2addr_b64 v[18:21], v1 offset0:79 offset1:80
	ds_load_2addr_b64 v[24:27], v1 offset0:81 offset1:82
	ds_load_2addr_b64 v[116:119], v1 offset0:83 offset1:84
	ds_load_2addr_b64 v[120:123], v1 offset0:85 offset1:86
	ds_load_b64 v[128:129], v1 offset:696
	s_mov_b32 s0, exec_lo
	s_wait_loadcnt_dscnt 0x504
	v_mul_f32_e32 v22, v18, v3
	v_dual_mul_f32 v130, v20, v5 :: v_dual_mul_f32 v3, v19, v3
	s_wait_loadcnt_dscnt 0x403
	v_dual_mul_f32 v131, v24, v7 :: v_dual_mul_f32 v132, v26, v9
	v_mul_f32_e32 v5, v21, v5
	s_wait_loadcnt_dscnt 0x100
	v_dual_mul_f32 v137, v128, v125 :: v_dual_fmac_f32 v22, v19, v2
	v_fma_f32 v3, v18, v2, -v3
	v_mul_f32_e32 v2, v25, v7
	v_fmac_f32_e32 v130, v21, v4
	v_fmac_f32_e32 v132, v27, v8
	v_fma_f32 v4, v20, v4, -v5
	v_add_f32_e32 v3, 0, v3
	v_add_f32_e32 v5, 0, v22
	v_mul_f32_e32 v7, v27, v9
	v_fma_f32 v2, v24, v6, -v2
	v_fmac_f32_e32 v131, v25, v6
	s_delay_alu instid0(VALU_DEP_4) | instskip(SKIP_3) | instid1(VALU_DEP_4)
	v_dual_add_f32 v3, v3, v4 :: v_dual_add_f32 v4, v5, v130
	v_mul_f32_e32 v5, v117, v11
	v_fma_f32 v6, v26, v8, -v7
	v_dual_mul_f32 v133, v116, v11 :: v_dual_mul_f32 v134, v118, v13
	v_dual_add_f32 v2, v3, v2 :: v_dual_add_f32 v3, v4, v131
	v_mul_f32_e32 v4, v119, v13
	v_fma_f32 v5, v116, v10, -v5
	s_delay_alu instid0(VALU_DEP_4) | instskip(NEXT) | instid1(VALU_DEP_4)
	v_fmac_f32_e32 v134, v119, v12
	v_add_f32_e32 v2, v2, v6
	v_fmac_f32_e32 v133, v117, v10
	v_dual_add_f32 v3, v3, v132 :: v_dual_mul_f32 v6, v121, v15
	v_fma_f32 v4, v118, v12, -v4
	s_delay_alu instid0(VALU_DEP_4) | instskip(SKIP_1) | instid1(VALU_DEP_4)
	v_dual_add_f32 v2, v2, v5 :: v_dual_mul_f32 v135, v120, v15
	v_mul_f32_e32 v136, v122, v17
	v_add_f32_e32 v3, v3, v133
	v_fma_f32 v6, v120, v14, -v6
	s_delay_alu instid0(VALU_DEP_4) | instskip(NEXT) | instid1(VALU_DEP_4)
	v_dual_add_f32 v2, v2, v4 :: v_dual_mul_f32 v5, v123, v17
	v_dual_fmac_f32 v135, v121, v14 :: v_dual_fmac_f32 v136, v123, v16
	s_delay_alu instid0(VALU_DEP_4) | instskip(NEXT) | instid1(VALU_DEP_3)
	v_dual_add_f32 v3, v3, v134 :: v_dual_mul_f32 v4, v129, v125
	v_add_f32_e32 v2, v2, v6
	s_delay_alu instid0(VALU_DEP_4) | instskip(NEXT) | instid1(VALU_DEP_3)
	v_fma_f32 v5, v122, v16, -v5
	v_add_f32_e32 v3, v3, v135
	s_delay_alu instid0(VALU_DEP_4) | instskip(NEXT) | instid1(VALU_DEP_2)
	v_fma_f32 v4, v128, v124, -v4
	v_dual_add_f32 v2, v2, v5 :: v_dual_add_f32 v3, v3, v136
	s_delay_alu instid0(VALU_DEP_1) | instskip(SKIP_1) | instid1(VALU_DEP_1)
	v_add_f32_e32 v2, v2, v4
	s_wait_loadcnt 0x0
	v_dual_fmac_f32 v137, v129, v124 :: v_dual_sub_f32 v2, v126, v2
	s_delay_alu instid0(VALU_DEP_1) | instskip(NEXT) | instid1(VALU_DEP_1)
	v_add_f32_e32 v3, v3, v137
	v_sub_f32_e32 v3, v127, v3
	scratch_store_b64 off, v[2:3], off offset:272
	v_cmpx_lt_u32_e32 33, v0
	s_cbranch_execz .LBB43_211
; %bb.210:
	scratch_load_b64 v[3:4], off, off offset:264
	v_mov_b32_e32 v2, v1
	scratch_store_b64 off, v[1:2], off offset:264
	s_wait_loadcnt 0x0
	ds_store_b64 v23, v[3:4]
.LBB43_211:
	s_wait_alu 0xfffe
	s_or_b32 exec_lo, exec_lo, s0
	s_wait_storecnt_dscnt 0x0
	s_barrier_signal -1
	s_barrier_wait -1
	global_inv scope:SCOPE_SE
	s_clause 0x5
	scratch_load_b128 v[2:5], off, off offset:272
	scratch_load_b128 v[6:9], off, off offset:288
	;; [unrolled: 1-line block ×5, first 2 shown]
	scratch_load_b64 v[132:133], off, off offset:264
	ds_load_b128 v[24:27], v1 offset:624
	ds_load_b128 v[116:119], v1 offset:640
	;; [unrolled: 1-line block ×5, first 2 shown]
	s_mov_b32 s0, exec_lo
	s_wait_loadcnt_dscnt 0x504
	v_dual_mul_f32 v1, v24, v3 :: v_dual_mul_f32 v22, v26, v5
	v_mul_f32_e32 v3, v25, v3
	s_wait_loadcnt_dscnt 0x403
	v_dual_mul_f32 v5, v27, v5 :: v_dual_mul_f32 v134, v116, v7
	s_delay_alu instid0(VALU_DEP_3) | instskip(NEXT) | instid1(VALU_DEP_3)
	v_dual_mul_f32 v135, v118, v9 :: v_dual_fmac_f32 v22, v27, v4
	v_fma_f32 v3, v24, v2, -v3
	v_fmac_f32_e32 v1, v25, v2
	v_mul_f32_e32 v2, v117, v7
	v_fma_f32 v4, v26, v4, -v5
	s_wait_loadcnt_dscnt 0x302
	v_dual_mul_f32 v136, v120, v11 :: v_dual_mul_f32 v137, v122, v13
	v_dual_add_f32 v3, 0, v3 :: v_dual_fmac_f32 v134, v117, v6
	s_wait_loadcnt_dscnt 0x201
	v_dual_mul_f32 v138, v124, v15 :: v_dual_mul_f32 v139, v126, v17
	s_delay_alu instid0(VALU_DEP_3) | instskip(SKIP_1) | instid1(VALU_DEP_3)
	v_dual_mul_f32 v5, v119, v9 :: v_dual_fmac_f32 v136, v121, v10
	v_fma_f32 v2, v116, v6, -v2
	v_dual_add_f32 v3, v3, v4 :: v_dual_fmac_f32 v138, v125, v14
	s_delay_alu instid0(VALU_DEP_3)
	v_fma_f32 v5, v118, v8, -v5
	v_mul_f32_e32 v4, v121, v11
	s_wait_loadcnt_dscnt 0x100
	v_dual_mul_f32 v140, v128, v19 :: v_dual_mul_f32 v141, v130, v21
	v_add_f32_e32 v2, v3, v2
	v_mul_f32_e32 v3, v123, v13
	v_fma_f32 v4, v120, v10, -v4
	s_delay_alu instid0(VALU_DEP_4) | instskip(NEXT) | instid1(VALU_DEP_4)
	v_dual_fmac_f32 v140, v129, v18 :: v_dual_fmac_f32 v139, v127, v16
	v_add_f32_e32 v2, v2, v5
	v_add_f32_e32 v1, 0, v1
	v_fma_f32 v3, v122, v12, -v3
	v_fmac_f32_e32 v141, v131, v20
	s_delay_alu instid0(VALU_DEP_3) | instskip(SKIP_1) | instid1(VALU_DEP_2)
	v_dual_add_f32 v2, v2, v4 :: v_dual_add_f32 v1, v1, v22
	v_mul_f32_e32 v4, v127, v17
	v_dual_fmac_f32 v135, v119, v8 :: v_dual_add_f32 v2, v2, v3
	s_delay_alu instid0(VALU_DEP_3) | instskip(NEXT) | instid1(VALU_DEP_3)
	v_add_f32_e32 v1, v1, v134
	v_fma_f32 v4, v126, v16, -v4
	v_mul_f32_e32 v5, v125, v15
	v_mul_f32_e32 v3, v129, v19
	s_delay_alu instid0(VALU_DEP_4) | instskip(NEXT) | instid1(VALU_DEP_3)
	v_add_f32_e32 v1, v1, v135
	v_fma_f32 v5, v124, v14, -v5
	v_fmac_f32_e32 v137, v123, v12
	s_delay_alu instid0(VALU_DEP_4) | instskip(NEXT) | instid1(VALU_DEP_3)
	v_fma_f32 v3, v128, v18, -v3
	v_add_f32_e32 v2, v2, v5
	s_delay_alu instid0(VALU_DEP_1) | instskip(SKIP_1) | instid1(VALU_DEP_2)
	v_dual_mul_f32 v5, v131, v21 :: v_dual_add_f32 v2, v2, v4
	v_add_f32_e32 v1, v1, v136
	v_fma_f32 v4, v130, v20, -v5
	s_delay_alu instid0(VALU_DEP_2) | instskip(NEXT) | instid1(VALU_DEP_1)
	v_dual_add_f32 v2, v2, v3 :: v_dual_add_f32 v1, v1, v137
	v_dual_add_f32 v2, v2, v4 :: v_dual_add_f32 v1, v1, v138
	s_delay_alu instid0(VALU_DEP_1) | instskip(NEXT) | instid1(VALU_DEP_1)
	v_add_f32_e32 v1, v1, v139
	v_add_f32_e32 v1, v1, v140
	s_delay_alu instid0(VALU_DEP_1) | instskip(SKIP_1) | instid1(VALU_DEP_1)
	v_add_f32_e32 v3, v1, v141
	s_wait_loadcnt 0x0
	v_dual_sub_f32 v1, v132, v2 :: v_dual_sub_f32 v2, v133, v3
	scratch_store_b64 off, v[1:2], off offset:264
	v_cmpx_lt_u32_e32 32, v0
	s_cbranch_execz .LBB43_213
; %bb.212:
	scratch_load_b64 v[1:2], off, off offset:256
	v_mov_b32_e32 v3, 0
	s_delay_alu instid0(VALU_DEP_1)
	v_mov_b32_e32 v4, v3
	scratch_store_b64 off, v[3:4], off offset:256
	s_wait_loadcnt 0x0
	ds_store_b64 v23, v[1:2]
.LBB43_213:
	s_wait_alu 0xfffe
	s_or_b32 exec_lo, exec_lo, s0
	s_wait_storecnt_dscnt 0x0
	s_barrier_signal -1
	s_barrier_wait -1
	global_inv scope:SCOPE_SE
	s_clause 0x6
	scratch_load_b128 v[2:5], off, off offset:264
	scratch_load_b128 v[6:9], off, off offset:280
	;; [unrolled: 1-line block ×5, first 2 shown]
	scratch_load_b64 v[132:133], off, off offset:344
	scratch_load_b64 v[134:135], off, off offset:256
	v_mov_b32_e32 v1, 0
	ds_load_2addr_b64 v[24:27], v1 offset0:77 offset1:78
	ds_load_2addr_b64 v[116:119], v1 offset0:79 offset1:80
	;; [unrolled: 1-line block ×5, first 2 shown]
	ds_load_b64 v[136:137], v1 offset:696
	s_mov_b32 s0, exec_lo
	s_wait_loadcnt_dscnt 0x605
	v_mul_f32_e32 v22, v24, v3
	v_dual_mul_f32 v3, v25, v3 :: v_dual_mul_f32 v138, v26, v5
	s_wait_loadcnt_dscnt 0x302
	v_dual_mul_f32 v139, v116, v7 :: v_dual_mul_f32 v144, v126, v17
	v_mul_f32_e32 v5, v27, v5
	s_delay_alu instid0(VALU_DEP_3)
	v_fma_f32 v3, v24, v2, -v3
	v_dual_mul_f32 v140, v118, v9 :: v_dual_mul_f32 v141, v120, v11
	s_wait_loadcnt_dscnt 0x100
	v_dual_mul_f32 v147, v136, v133 :: v_dual_fmac_f32 v22, v25, v2
	v_mul_f32_e32 v2, v117, v7
	v_dual_fmac_f32 v138, v27, v4 :: v_dual_add_f32 v3, 0, v3
	v_fma_f32 v4, v26, v4, -v5
	s_delay_alu instid0(VALU_DEP_4) | instskip(SKIP_2) | instid1(VALU_DEP_4)
	v_dual_add_f32 v5, 0, v22 :: v_dual_fmac_f32 v140, v119, v8
	v_mul_f32_e32 v7, v119, v9
	v_fma_f32 v2, v116, v6, -v2
	v_add_f32_e32 v3, v3, v4
	v_fmac_f32_e32 v139, v117, v6
	v_add_f32_e32 v4, v5, v138
	v_mul_f32_e32 v5, v121, v11
	v_fma_f32 v6, v118, v8, -v7
	v_add_f32_e32 v2, v3, v2
	v_dual_mul_f32 v142, v122, v13 :: v_dual_mul_f32 v143, v124, v15
	v_dual_add_f32 v3, v4, v139 :: v_dual_mul_f32 v4, v123, v13
	v_fma_f32 v5, v120, v10, -v5
	s_delay_alu instid0(VALU_DEP_4)
	v_add_f32_e32 v2, v2, v6
	v_fmac_f32_e32 v141, v121, v10
	v_mul_f32_e32 v6, v125, v15
	v_fmac_f32_e32 v142, v123, v12
	v_add_f32_e32 v3, v3, v140
	v_fma_f32 v4, v122, v12, -v4
	v_add_f32_e32 v2, v2, v5
	v_mul_f32_e32 v5, v127, v17
	v_fma_f32 v6, v124, v14, -v6
	v_add_f32_e32 v3, v3, v141
	v_dual_fmac_f32 v143, v125, v14 :: v_dual_fmac_f32 v144, v127, v16
	v_add_f32_e32 v2, v2, v4
	v_mul_f32_e32 v4, v129, v19
	v_fma_f32 v5, v126, v16, -v5
	v_dual_mul_f32 v145, v128, v19 :: v_dual_mul_f32 v146, v130, v21
	s_delay_alu instid0(VALU_DEP_4) | instskip(SKIP_1) | instid1(VALU_DEP_3)
	v_add_f32_e32 v2, v2, v6
	v_add_f32_e32 v3, v3, v142
	v_dual_mul_f32 v6, v131, v21 :: v_dual_fmac_f32 v145, v129, v18
	v_fma_f32 v4, v128, v18, -v4
	s_delay_alu instid0(VALU_DEP_3) | instskip(SKIP_1) | instid1(VALU_DEP_4)
	v_dual_add_f32 v2, v2, v5 :: v_dual_add_f32 v3, v3, v143
	v_dual_mul_f32 v5, v137, v133 :: v_dual_fmac_f32 v146, v131, v20
	v_fma_f32 v6, v130, v20, -v6
	s_delay_alu instid0(VALU_DEP_3) | instskip(NEXT) | instid1(VALU_DEP_4)
	v_add_f32_e32 v2, v2, v4
	v_add_f32_e32 v3, v3, v144
	s_delay_alu instid0(VALU_DEP_4) | instskip(NEXT) | instid1(VALU_DEP_2)
	v_fma_f32 v4, v136, v132, -v5
	v_dual_add_f32 v2, v2, v6 :: v_dual_add_f32 v3, v3, v145
	s_delay_alu instid0(VALU_DEP_1) | instskip(SKIP_1) | instid1(VALU_DEP_1)
	v_dual_add_f32 v2, v2, v4 :: v_dual_add_f32 v3, v3, v146
	s_wait_loadcnt 0x0
	v_dual_fmac_f32 v147, v137, v132 :: v_dual_sub_f32 v2, v134, v2
	s_delay_alu instid0(VALU_DEP_1) | instskip(NEXT) | instid1(VALU_DEP_1)
	v_add_f32_e32 v3, v3, v147
	v_sub_f32_e32 v3, v135, v3
	scratch_store_b64 off, v[2:3], off offset:256
	v_cmpx_lt_u32_e32 31, v0
	s_cbranch_execz .LBB43_215
; %bb.214:
	scratch_load_b64 v[3:4], off, off offset:248
	v_mov_b32_e32 v2, v1
	scratch_store_b64 off, v[1:2], off offset:248
	s_wait_loadcnt 0x0
	ds_store_b64 v23, v[3:4]
.LBB43_215:
	s_wait_alu 0xfffe
	s_or_b32 exec_lo, exec_lo, s0
	s_wait_storecnt_dscnt 0x0
	s_barrier_signal -1
	s_barrier_wait -1
	global_inv scope:SCOPE_SE
	s_clause 0x6
	scratch_load_b128 v[2:5], off, off offset:256
	scratch_load_b128 v[6:9], off, off offset:272
	;; [unrolled: 1-line block ×6, first 2 shown]
	scratch_load_b64 v[140:141], off, off offset:248
	ds_load_b128 v[116:119], v1 offset:608
	ds_load_b128 v[120:123], v1 offset:624
	;; [unrolled: 1-line block ×6, first 2 shown]
	s_mov_b32 s0, exec_lo
	s_wait_loadcnt_dscnt 0x605
	v_dual_mul_f32 v1, v116, v3 :: v_dual_mul_f32 v22, v118, v5
	v_mul_f32_e32 v3, v117, v3
	s_wait_loadcnt_dscnt 0x504
	v_dual_mul_f32 v5, v119, v5 :: v_dual_mul_f32 v142, v120, v7
	v_mul_f32_e32 v143, v122, v9
	s_wait_loadcnt_dscnt 0x100
	v_mul_f32_e32 v150, v136, v25
	v_fma_f32 v3, v116, v2, -v3
	v_dual_mul_f32 v151, v138, v27 :: v_dual_fmac_f32 v22, v119, v4
	v_fmac_f32_e32 v1, v117, v2
	v_mul_f32_e32 v2, v121, v7
	v_fma_f32 v4, v118, v4, -v5
	v_dual_add_f32 v3, 0, v3 :: v_dual_fmac_f32 v142, v121, v6
	v_dual_mul_f32 v144, v124, v11 :: v_dual_mul_f32 v145, v126, v13
	v_dual_mul_f32 v146, v128, v15 :: v_dual_mul_f32 v147, v130, v17
	s_delay_alu instid0(VALU_DEP_2) | instskip(SKIP_1) | instid1(VALU_DEP_3)
	v_dual_mul_f32 v5, v123, v9 :: v_dual_fmac_f32 v144, v125, v10
	v_fma_f32 v2, v120, v6, -v2
	v_dual_add_f32 v3, v3, v4 :: v_dual_fmac_f32 v146, v129, v14
	s_delay_alu instid0(VALU_DEP_3) | instskip(SKIP_2) | instid1(VALU_DEP_4)
	v_fma_f32 v5, v122, v8, -v5
	v_mul_f32_e32 v4, v125, v11
	v_dual_mul_f32 v148, v132, v19 :: v_dual_mul_f32 v149, v134, v21
	v_add_f32_e32 v2, v3, v2
	v_mul_f32_e32 v3, v127, v13
	s_delay_alu instid0(VALU_DEP_4) | instskip(NEXT) | instid1(VALU_DEP_4)
	v_fma_f32 v4, v124, v10, -v4
	v_dual_fmac_f32 v148, v133, v18 :: v_dual_fmac_f32 v147, v131, v16
	s_delay_alu instid0(VALU_DEP_4) | instskip(SKIP_3) | instid1(VALU_DEP_4)
	v_add_f32_e32 v2, v2, v5
	v_add_f32_e32 v1, 0, v1
	v_fma_f32 v3, v126, v12, -v3
	v_fmac_f32_e32 v149, v135, v20
	v_dual_fmac_f32 v151, v139, v26 :: v_dual_add_f32 v2, v2, v4
	s_delay_alu instid0(VALU_DEP_4) | instskip(SKIP_2) | instid1(VALU_DEP_3)
	v_dual_add_f32 v1, v1, v22 :: v_dual_mul_f32 v4, v131, v17
	v_fmac_f32_e32 v143, v123, v8
	v_fmac_f32_e32 v150, v137, v24
	v_dual_add_f32 v2, v2, v3 :: v_dual_add_f32 v1, v1, v142
	s_delay_alu instid0(VALU_DEP_4) | instskip(SKIP_1) | instid1(VALU_DEP_3)
	v_fma_f32 v4, v130, v16, -v4
	v_mul_f32_e32 v5, v129, v15
	v_add_f32_e32 v1, v1, v143
	s_delay_alu instid0(VALU_DEP_2) | instskip(NEXT) | instid1(VALU_DEP_1)
	v_fma_f32 v5, v128, v14, -v5
	v_dual_fmac_f32 v145, v127, v12 :: v_dual_add_f32 v2, v2, v5
	s_delay_alu instid0(VALU_DEP_1) | instskip(NEXT) | instid1(VALU_DEP_1)
	v_dual_mul_f32 v5, v135, v21 :: v_dual_add_f32 v2, v2, v4
	v_fma_f32 v5, v134, v20, -v5
	v_mul_f32_e32 v3, v133, v19
	v_mul_f32_e32 v4, v137, v25
	s_delay_alu instid0(VALU_DEP_2) | instskip(SKIP_1) | instid1(VALU_DEP_3)
	v_fma_f32 v3, v132, v18, -v3
	v_add_f32_e32 v1, v1, v144
	v_fma_f32 v4, v136, v24, -v4
	s_delay_alu instid0(VALU_DEP_3) | instskip(NEXT) | instid1(VALU_DEP_1)
	v_add_f32_e32 v2, v2, v3
	v_dual_mul_f32 v3, v139, v27 :: v_dual_add_f32 v2, v2, v5
	s_delay_alu instid0(VALU_DEP_4) | instskip(NEXT) | instid1(VALU_DEP_2)
	v_add_f32_e32 v1, v1, v145
	v_fma_f32 v3, v138, v26, -v3
	s_delay_alu instid0(VALU_DEP_2) | instskip(NEXT) | instid1(VALU_DEP_1)
	v_dual_add_f32 v2, v2, v4 :: v_dual_add_f32 v1, v1, v146
	v_add_f32_e32 v2, v2, v3
	s_delay_alu instid0(VALU_DEP_2) | instskip(NEXT) | instid1(VALU_DEP_1)
	v_add_f32_e32 v1, v1, v147
	v_add_f32_e32 v1, v1, v148
	s_delay_alu instid0(VALU_DEP_1) | instskip(NEXT) | instid1(VALU_DEP_1)
	v_add_f32_e32 v1, v1, v149
	v_add_f32_e32 v1, v1, v150
	s_delay_alu instid0(VALU_DEP_1) | instskip(SKIP_1) | instid1(VALU_DEP_1)
	v_add_f32_e32 v3, v1, v151
	s_wait_loadcnt 0x0
	v_dual_sub_f32 v1, v140, v2 :: v_dual_sub_f32 v2, v141, v3
	scratch_store_b64 off, v[1:2], off offset:248
	v_cmpx_lt_u32_e32 30, v0
	s_cbranch_execz .LBB43_217
; %bb.216:
	scratch_load_b64 v[1:2], off, off offset:240
	v_mov_b32_e32 v3, 0
	s_delay_alu instid0(VALU_DEP_1)
	v_mov_b32_e32 v4, v3
	scratch_store_b64 off, v[3:4], off offset:240
	s_wait_loadcnt 0x0
	ds_store_b64 v23, v[1:2]
.LBB43_217:
	s_wait_alu 0xfffe
	s_or_b32 exec_lo, exec_lo, s0
	s_wait_storecnt_dscnt 0x0
	s_barrier_signal -1
	s_barrier_wait -1
	global_inv scope:SCOPE_SE
	s_clause 0x7
	scratch_load_b128 v[2:5], off, off offset:248
	scratch_load_b128 v[6:9], off, off offset:264
	;; [unrolled: 1-line block ×6, first 2 shown]
	scratch_load_b64 v[140:141], off, off offset:344
	scratch_load_b64 v[142:143], off, off offset:240
	v_mov_b32_e32 v1, 0
	ds_load_2addr_b64 v[116:119], v1 offset0:75 offset1:76
	ds_load_2addr_b64 v[120:123], v1 offset0:77 offset1:78
	;; [unrolled: 1-line block ×6, first 2 shown]
	ds_load_b64 v[144:145], v1 offset:696
	s_mov_b32 s0, exec_lo
	s_wait_loadcnt_dscnt 0x706
	v_mul_f32_e32 v22, v116, v3
	v_dual_mul_f32 v3, v117, v3 :: v_dual_mul_f32 v146, v118, v5
	s_wait_loadcnt_dscnt 0x302
	v_dual_mul_f32 v147, v120, v7 :: v_dual_mul_f32 v154, v134, v21
	v_mul_f32_e32 v5, v119, v5
	s_delay_alu instid0(VALU_DEP_3)
	v_fma_f32 v3, v116, v2, -v3
	v_dual_mul_f32 v148, v122, v9 :: v_dual_mul_f32 v149, v124, v11
	s_wait_loadcnt_dscnt 0x100
	v_dual_mul_f32 v157, v144, v141 :: v_dual_fmac_f32 v22, v117, v2
	v_mul_f32_e32 v2, v121, v7
	v_dual_fmac_f32 v146, v119, v4 :: v_dual_add_f32 v3, 0, v3
	v_fma_f32 v4, v118, v4, -v5
	s_delay_alu instid0(VALU_DEP_4) | instskip(SKIP_2) | instid1(VALU_DEP_4)
	v_dual_add_f32 v5, 0, v22 :: v_dual_fmac_f32 v148, v123, v8
	v_mul_f32_e32 v7, v123, v9
	v_fma_f32 v2, v120, v6, -v2
	v_add_f32_e32 v3, v3, v4
	v_fmac_f32_e32 v147, v121, v6
	v_add_f32_e32 v4, v5, v146
	v_mul_f32_e32 v5, v125, v11
	v_fma_f32 v6, v122, v8, -v7
	v_add_f32_e32 v2, v3, v2
	v_dual_mul_f32 v150, v126, v13 :: v_dual_mul_f32 v151, v128, v15
	v_dual_add_f32 v3, v4, v147 :: v_dual_mul_f32 v4, v127, v13
	v_fma_f32 v5, v124, v10, -v5
	s_delay_alu instid0(VALU_DEP_4)
	v_add_f32_e32 v2, v2, v6
	v_fmac_f32_e32 v149, v125, v10
	v_mul_f32_e32 v6, v129, v15
	v_fmac_f32_e32 v150, v127, v12
	v_add_f32_e32 v3, v3, v148
	v_fma_f32 v4, v126, v12, -v4
	v_add_f32_e32 v2, v2, v5
	v_dual_mul_f32 v152, v130, v17 :: v_dual_mul_f32 v153, v132, v19
	s_delay_alu instid0(VALU_DEP_4)
	v_add_f32_e32 v3, v3, v149
	v_mul_f32_e32 v5, v131, v17
	v_fma_f32 v6, v128, v14, -v6
	v_dual_add_f32 v2, v2, v4 :: v_dual_fmac_f32 v151, v129, v14
	v_fmac_f32_e32 v152, v131, v16
	v_mul_f32_e32 v4, v133, v19
	v_fma_f32 v5, v130, v16, -v5
	s_delay_alu instid0(VALU_DEP_4) | instskip(SKIP_3) | instid1(VALU_DEP_3)
	v_add_f32_e32 v2, v2, v6
	v_add_f32_e32 v3, v3, v150
	v_dual_mul_f32 v6, v135, v21 :: v_dual_fmac_f32 v153, v133, v18
	v_fma_f32 v4, v132, v18, -v4
	v_dual_add_f32 v2, v2, v5 :: v_dual_add_f32 v3, v3, v151
	s_delay_alu instid0(VALU_DEP_3) | instskip(SKIP_1) | instid1(VALU_DEP_3)
	v_fma_f32 v6, v134, v20, -v6
	v_dual_mul_f32 v155, v136, v25 :: v_dual_mul_f32 v156, v138, v27
	v_add_f32_e32 v2, v2, v4
	s_delay_alu instid0(VALU_DEP_4) | instskip(SKIP_1) | instid1(VALU_DEP_4)
	v_add_f32_e32 v3, v3, v152
	v_dual_mul_f32 v5, v137, v25 :: v_dual_fmac_f32 v154, v135, v20
	v_dual_mul_f32 v4, v139, v27 :: v_dual_fmac_f32 v155, v137, v24
	s_delay_alu instid0(VALU_DEP_3) | instskip(NEXT) | instid1(VALU_DEP_3)
	v_dual_add_f32 v2, v2, v6 :: v_dual_add_f32 v3, v3, v153
	v_fma_f32 v5, v136, v24, -v5
	v_mul_f32_e32 v6, v145, v141
	v_dual_fmac_f32 v156, v139, v26 :: v_dual_fmac_f32 v157, v145, v140
	s_delay_alu instid0(VALU_DEP_4) | instskip(SKIP_3) | instid1(VALU_DEP_4)
	v_add_f32_e32 v3, v3, v154
	v_fma_f32 v4, v138, v26, -v4
	v_add_f32_e32 v2, v2, v5
	v_fma_f32 v5, v144, v140, -v6
	v_add_f32_e32 v3, v3, v155
	s_delay_alu instid0(VALU_DEP_1) | instskip(NEXT) | instid1(VALU_DEP_1)
	v_add_f32_e32 v3, v3, v156
	v_dual_add_f32 v2, v2, v4 :: v_dual_add_f32 v3, v3, v157
	s_wait_loadcnt 0x0
	s_delay_alu instid0(VALU_DEP_1) | instskip(NEXT) | instid1(VALU_DEP_1)
	v_dual_add_f32 v2, v2, v5 :: v_dual_sub_f32 v3, v143, v3
	v_sub_f32_e32 v2, v142, v2
	scratch_store_b64 off, v[2:3], off offset:240
	v_cmpx_lt_u32_e32 29, v0
	s_cbranch_execz .LBB43_219
; %bb.218:
	scratch_load_b64 v[3:4], off, off offset:232
	v_mov_b32_e32 v2, v1
	scratch_store_b64 off, v[1:2], off offset:232
	s_wait_loadcnt 0x0
	ds_store_b64 v23, v[3:4]
.LBB43_219:
	s_wait_alu 0xfffe
	s_or_b32 exec_lo, exec_lo, s0
	s_wait_storecnt_dscnt 0x0
	s_barrier_signal -1
	s_barrier_wait -1
	global_inv scope:SCOPE_SE
	s_clause 0x7
	scratch_load_b128 v[2:5], off, off offset:240
	scratch_load_b128 v[6:9], off, off offset:256
	;; [unrolled: 1-line block ×7, first 2 shown]
	scratch_load_b64 v[148:149], off, off offset:232
	ds_load_b128 v[120:123], v1 offset:592
	ds_load_b128 v[124:127], v1 offset:608
	;; [unrolled: 1-line block ×7, first 2 shown]
	s_mov_b32 s0, exec_lo
	s_wait_loadcnt_dscnt 0x706
	v_dual_mul_f32 v1, v120, v3 :: v_dual_mul_f32 v22, v122, v5
	v_mul_f32_e32 v3, v121, v3
	s_wait_loadcnt_dscnt 0x605
	v_dual_mul_f32 v5, v123, v5 :: v_dual_mul_f32 v150, v124, v7
	v_mul_f32_e32 v151, v126, v9
	s_wait_loadcnt_dscnt 0x201
	v_mul_f32_e32 v158, v140, v25
	v_fma_f32 v3, v120, v2, -v3
	s_wait_loadcnt_dscnt 0x100
	v_dual_mul_f32 v161, v146, v119 :: v_dual_fmac_f32 v22, v123, v4
	v_fmac_f32_e32 v1, v121, v2
	v_mul_f32_e32 v2, v125, v7
	v_fma_f32 v4, v122, v4, -v5
	v_dual_add_f32 v3, 0, v3 :: v_dual_fmac_f32 v150, v125, v6
	v_dual_mul_f32 v152, v128, v11 :: v_dual_mul_f32 v153, v130, v13
	v_dual_mul_f32 v154, v132, v15 :: v_dual_mul_f32 v155, v134, v17
	s_delay_alu instid0(VALU_DEP_2) | instskip(SKIP_1) | instid1(VALU_DEP_3)
	v_dual_mul_f32 v5, v127, v9 :: v_dual_fmac_f32 v152, v129, v10
	v_fma_f32 v2, v124, v6, -v2
	v_dual_add_f32 v3, v3, v4 :: v_dual_fmac_f32 v154, v133, v14
	s_delay_alu instid0(VALU_DEP_3) | instskip(SKIP_1) | instid1(VALU_DEP_3)
	v_fma_f32 v5, v126, v8, -v5
	v_dual_mul_f32 v156, v136, v19 :: v_dual_mul_f32 v157, v138, v21
	v_add_f32_e32 v2, v3, v2
	v_dual_mul_f32 v4, v129, v11 :: v_dual_mul_f32 v3, v131, v13
	s_delay_alu instid0(VALU_DEP_3) | instskip(NEXT) | instid1(VALU_DEP_3)
	v_dual_fmac_f32 v156, v137, v18 :: v_dual_fmac_f32 v155, v135, v16
	v_add_f32_e32 v2, v2, v5
	v_add_f32_e32 v1, 0, v1
	s_delay_alu instid0(VALU_DEP_4) | instskip(SKIP_2) | instid1(VALU_DEP_3)
	v_fma_f32 v4, v128, v10, -v4
	v_fma_f32 v3, v130, v12, -v3
	v_dual_mul_f32 v159, v142, v27 :: v_dual_mul_f32 v160, v144, v117
	v_dual_add_f32 v1, v1, v22 :: v_dual_add_f32 v2, v2, v4
	v_mul_f32_e32 v4, v135, v17
	v_fmac_f32_e32 v151, v127, v8
	s_delay_alu instid0(VALU_DEP_4) | instskip(NEXT) | instid1(VALU_DEP_4)
	v_fmac_f32_e32 v159, v143, v26
	v_dual_add_f32 v1, v1, v150 :: v_dual_add_f32 v2, v2, v3
	s_delay_alu instid0(VALU_DEP_4) | instskip(SKIP_2) | instid1(VALU_DEP_4)
	v_fma_f32 v4, v134, v16, -v4
	v_mul_f32_e32 v5, v133, v15
	v_fmac_f32_e32 v161, v147, v118
	v_add_f32_e32 v1, v1, v151
	v_fmac_f32_e32 v158, v141, v24
	v_fmac_f32_e32 v160, v145, v116
	v_fma_f32 v5, v132, v14, -v5
	s_delay_alu instid0(VALU_DEP_1) | instskip(NEXT) | instid1(VALU_DEP_1)
	v_dual_fmac_f32 v153, v131, v12 :: v_dual_add_f32 v2, v2, v5
	v_dual_mul_f32 v5, v139, v21 :: v_dual_add_f32 v2, v2, v4
	s_delay_alu instid0(VALU_DEP_1) | instskip(SKIP_2) | instid1(VALU_DEP_2)
	v_fma_f32 v5, v138, v20, -v5
	v_mul_f32_e32 v3, v137, v19
	v_mul_f32_e32 v4, v141, v25
	v_fma_f32 v3, v136, v18, -v3
	v_add_f32_e32 v1, v1, v152
	s_delay_alu instid0(VALU_DEP_3) | instskip(NEXT) | instid1(VALU_DEP_3)
	v_fma_f32 v4, v140, v24, -v4
	v_add_f32_e32 v2, v2, v3
	s_delay_alu instid0(VALU_DEP_1) | instskip(NEXT) | instid1(VALU_DEP_4)
	v_dual_mul_f32 v3, v143, v27 :: v_dual_add_f32 v2, v2, v5
	v_add_f32_e32 v1, v1, v153
	v_mul_f32_e32 v5, v145, v117
	s_delay_alu instid0(VALU_DEP_3) | instskip(NEXT) | instid1(VALU_DEP_3)
	v_fma_f32 v3, v142, v26, -v3
	v_dual_add_f32 v2, v2, v4 :: v_dual_add_f32 v1, v1, v154
	v_mul_f32_e32 v4, v147, v119
	v_fmac_f32_e32 v157, v139, v20
	v_fma_f32 v5, v144, v116, -v5
	s_delay_alu instid0(VALU_DEP_4) | instskip(SKIP_2) | instid1(VALU_DEP_2)
	v_add_f32_e32 v2, v2, v3
	v_add_f32_e32 v1, v1, v155
	v_fma_f32 v3, v146, v118, -v4
	v_dual_add_f32 v2, v2, v5 :: v_dual_add_f32 v1, v1, v156
	s_delay_alu instid0(VALU_DEP_1) | instskip(NEXT) | instid1(VALU_DEP_1)
	v_dual_add_f32 v2, v2, v3 :: v_dual_add_f32 v1, v1, v157
	v_add_f32_e32 v1, v1, v158
	s_delay_alu instid0(VALU_DEP_1) | instskip(NEXT) | instid1(VALU_DEP_1)
	v_add_f32_e32 v1, v1, v159
	v_add_f32_e32 v1, v1, v160
	s_delay_alu instid0(VALU_DEP_1) | instskip(SKIP_1) | instid1(VALU_DEP_1)
	v_add_f32_e32 v3, v1, v161
	s_wait_loadcnt 0x0
	v_dual_sub_f32 v1, v148, v2 :: v_dual_sub_f32 v2, v149, v3
	scratch_store_b64 off, v[1:2], off offset:232
	v_cmpx_lt_u32_e32 28, v0
	s_cbranch_execz .LBB43_221
; %bb.220:
	scratch_load_b64 v[1:2], off, off offset:224
	v_mov_b32_e32 v3, 0
	s_delay_alu instid0(VALU_DEP_1)
	v_mov_b32_e32 v4, v3
	scratch_store_b64 off, v[3:4], off offset:224
	s_wait_loadcnt 0x0
	ds_store_b64 v23, v[1:2]
.LBB43_221:
	s_wait_alu 0xfffe
	s_or_b32 exec_lo, exec_lo, s0
	s_wait_storecnt_dscnt 0x0
	s_barrier_signal -1
	s_barrier_wait -1
	global_inv scope:SCOPE_SE
	s_clause 0x8
	scratch_load_b128 v[2:5], off, off offset:232
	scratch_load_b128 v[6:9], off, off offset:248
	;; [unrolled: 1-line block ×7, first 2 shown]
	scratch_load_b64 v[148:149], off, off offset:344
	scratch_load_b64 v[150:151], off, off offset:224
	v_mov_b32_e32 v1, 0
	ds_load_2addr_b64 v[120:123], v1 offset0:73 offset1:74
	ds_load_2addr_b64 v[124:127], v1 offset0:75 offset1:76
	ds_load_2addr_b64 v[128:131], v1 offset0:77 offset1:78
	ds_load_2addr_b64 v[132:135], v1 offset0:79 offset1:80
	ds_load_2addr_b64 v[136:139], v1 offset0:81 offset1:82
	ds_load_2addr_b64 v[140:143], v1 offset0:83 offset1:84
	ds_load_2addr_b64 v[144:147], v1 offset0:85 offset1:86
	ds_load_b64 v[152:153], v1 offset:696
	s_mov_b32 s0, exec_lo
	s_wait_loadcnt_dscnt 0x807
	v_mul_f32_e32 v22, v120, v3
	v_dual_mul_f32 v3, v121, v3 :: v_dual_mul_f32 v154, v122, v5
	s_wait_loadcnt_dscnt 0x403
	v_dual_mul_f32 v155, v124, v7 :: v_dual_mul_f32 v162, v138, v21
	v_mul_f32_e32 v5, v123, v5
	s_delay_alu instid0(VALU_DEP_3)
	v_fma_f32 v3, v120, v2, -v3
	v_dual_mul_f32 v156, v126, v9 :: v_dual_mul_f32 v157, v128, v11
	s_wait_loadcnt_dscnt 0x100
	v_dual_mul_f32 v167, v152, v149 :: v_dual_fmac_f32 v22, v121, v2
	v_mul_f32_e32 v2, v125, v7
	v_dual_fmac_f32 v154, v123, v4 :: v_dual_add_f32 v3, 0, v3
	v_fma_f32 v4, v122, v4, -v5
	s_delay_alu instid0(VALU_DEP_4) | instskip(SKIP_2) | instid1(VALU_DEP_4)
	v_dual_add_f32 v5, 0, v22 :: v_dual_fmac_f32 v156, v127, v8
	v_mul_f32_e32 v7, v127, v9
	v_fma_f32 v2, v124, v6, -v2
	v_add_f32_e32 v3, v3, v4
	v_fmac_f32_e32 v155, v125, v6
	v_add_f32_e32 v4, v5, v154
	v_mul_f32_e32 v5, v129, v11
	v_fma_f32 v6, v126, v8, -v7
	v_add_f32_e32 v2, v3, v2
	v_dual_mul_f32 v158, v130, v13 :: v_dual_mul_f32 v159, v132, v15
	v_dual_add_f32 v3, v4, v155 :: v_dual_mul_f32 v4, v131, v13
	v_fma_f32 v5, v128, v10, -v5
	s_delay_alu instid0(VALU_DEP_4)
	v_add_f32_e32 v2, v2, v6
	v_fmac_f32_e32 v157, v129, v10
	v_mul_f32_e32 v6, v133, v15
	v_fmac_f32_e32 v158, v131, v12
	v_add_f32_e32 v3, v3, v156
	v_fma_f32 v4, v130, v12, -v4
	v_add_f32_e32 v2, v2, v5
	v_dual_mul_f32 v160, v134, v17 :: v_dual_mul_f32 v161, v136, v19
	s_delay_alu instid0(VALU_DEP_4)
	v_add_f32_e32 v3, v3, v157
	v_mul_f32_e32 v5, v135, v17
	v_fma_f32 v6, v132, v14, -v6
	v_dual_add_f32 v2, v2, v4 :: v_dual_fmac_f32 v159, v133, v14
	v_fmac_f32_e32 v160, v135, v16
	v_mul_f32_e32 v4, v137, v19
	v_fma_f32 v5, v134, v16, -v5
	s_delay_alu instid0(VALU_DEP_4) | instskip(SKIP_3) | instid1(VALU_DEP_3)
	v_add_f32_e32 v2, v2, v6
	v_add_f32_e32 v3, v3, v158
	v_dual_mul_f32 v6, v139, v21 :: v_dual_fmac_f32 v161, v137, v18
	v_fma_f32 v4, v136, v18, -v4
	v_dual_add_f32 v2, v2, v5 :: v_dual_add_f32 v3, v3, v159
	s_delay_alu instid0(VALU_DEP_3) | instskip(SKIP_1) | instid1(VALU_DEP_3)
	v_fma_f32 v6, v138, v20, -v6
	v_dual_mul_f32 v163, v140, v25 :: v_dual_mul_f32 v164, v142, v27
	v_add_f32_e32 v2, v2, v4
	s_delay_alu instid0(VALU_DEP_4) | instskip(SKIP_1) | instid1(VALU_DEP_4)
	v_add_f32_e32 v3, v3, v160
	v_dual_mul_f32 v5, v141, v25 :: v_dual_fmac_f32 v162, v139, v20
	v_dual_mul_f32 v4, v143, v27 :: v_dual_fmac_f32 v163, v141, v24
	s_delay_alu instid0(VALU_DEP_3) | instskip(NEXT) | instid1(VALU_DEP_3)
	v_dual_add_f32 v2, v2, v6 :: v_dual_add_f32 v3, v3, v161
	v_fma_f32 v5, v140, v24, -v5
	v_dual_mul_f32 v165, v144, v117 :: v_dual_mul_f32 v166, v146, v119
	s_delay_alu instid0(VALU_DEP_3) | instskip(NEXT) | instid1(VALU_DEP_2)
	v_dual_mul_f32 v6, v145, v117 :: v_dual_add_f32 v3, v3, v162
	v_dual_fmac_f32 v164, v143, v26 :: v_dual_fmac_f32 v165, v145, v116
	v_fma_f32 v4, v142, v26, -v4
	s_delay_alu instid0(VALU_DEP_3) | instskip(SKIP_3) | instid1(VALU_DEP_4)
	v_dual_add_f32 v2, v2, v5 :: v_dual_add_f32 v3, v3, v163
	v_mul_f32_e32 v5, v147, v119
	v_fma_f32 v6, v144, v116, -v6
	v_dual_fmac_f32 v166, v147, v118 :: v_dual_fmac_f32 v167, v153, v148
	v_add_f32_e32 v2, v2, v4
	v_dual_add_f32 v3, v3, v164 :: v_dual_mul_f32 v4, v153, v149
	v_fma_f32 v5, v146, v118, -v5
	s_delay_alu instid0(VALU_DEP_2) | instskip(NEXT) | instid1(VALU_DEP_3)
	v_dual_add_f32 v2, v2, v6 :: v_dual_add_f32 v3, v3, v165
	v_fma_f32 v4, v152, v148, -v4
	s_delay_alu instid0(VALU_DEP_2) | instskip(NEXT) | instid1(VALU_DEP_1)
	v_dual_add_f32 v2, v2, v5 :: v_dual_add_f32 v3, v3, v166
	v_dual_add_f32 v2, v2, v4 :: v_dual_add_f32 v3, v3, v167
	s_wait_loadcnt 0x0
	s_delay_alu instid0(VALU_DEP_1)
	v_dual_sub_f32 v2, v150, v2 :: v_dual_sub_f32 v3, v151, v3
	scratch_store_b64 off, v[2:3], off offset:224
	v_cmpx_lt_u32_e32 27, v0
	s_cbranch_execz .LBB43_223
; %bb.222:
	scratch_load_b64 v[3:4], off, off offset:216
	v_mov_b32_e32 v2, v1
	scratch_store_b64 off, v[1:2], off offset:216
	s_wait_loadcnt 0x0
	ds_store_b64 v23, v[3:4]
.LBB43_223:
	s_wait_alu 0xfffe
	s_or_b32 exec_lo, exec_lo, s0
	s_wait_storecnt_dscnt 0x0
	s_barrier_signal -1
	s_barrier_wait -1
	global_inv scope:SCOPE_SE
	s_clause 0x8
	scratch_load_b128 v[2:5], off, off offset:224
	scratch_load_b128 v[6:9], off, off offset:240
	;; [unrolled: 1-line block ×8, first 2 shown]
	scratch_load_b64 v[156:157], off, off offset:216
	ds_load_b128 v[124:127], v1 offset:576
	ds_load_b128 v[128:131], v1 offset:592
	ds_load_b128 v[132:135], v1 offset:608
	ds_load_b128 v[136:139], v1 offset:624
	ds_load_b128 v[140:143], v1 offset:640
	ds_load_b128 v[144:147], v1 offset:656
	ds_load_b128 v[148:151], v1 offset:672
	ds_load_b128 v[152:155], v1 offset:688
	s_mov_b32 s0, exec_lo
	s_wait_loadcnt_dscnt 0x807
	v_dual_mul_f32 v1, v124, v3 :: v_dual_mul_f32 v22, v126, v5
	v_mul_f32_e32 v3, v125, v3
	s_wait_loadcnt_dscnt 0x706
	v_dual_mul_f32 v5, v127, v5 :: v_dual_mul_f32 v158, v128, v7
	v_mul_f32_e32 v159, v130, v9
	s_wait_loadcnt_dscnt 0x201
	v_mul_f32_e32 v168, v148, v117
	v_fma_f32 v3, v124, v2, -v3
	s_wait_loadcnt_dscnt 0x100
	v_dual_mul_f32 v171, v154, v123 :: v_dual_fmac_f32 v22, v127, v4
	v_fmac_f32_e32 v1, v125, v2
	v_mul_f32_e32 v2, v129, v7
	v_fma_f32 v4, v126, v4, -v5
	v_dual_add_f32 v3, 0, v3 :: v_dual_fmac_f32 v158, v129, v6
	v_dual_mul_f32 v160, v132, v11 :: v_dual_mul_f32 v161, v134, v13
	v_dual_mul_f32 v162, v136, v15 :: v_dual_mul_f32 v163, v138, v17
	s_delay_alu instid0(VALU_DEP_2) | instskip(SKIP_1) | instid1(VALU_DEP_3)
	v_dual_mul_f32 v5, v131, v9 :: v_dual_fmac_f32 v160, v133, v10
	v_fma_f32 v2, v128, v6, -v2
	v_dual_add_f32 v3, v3, v4 :: v_dual_fmac_f32 v162, v137, v14
	s_delay_alu instid0(VALU_DEP_3) | instskip(SKIP_1) | instid1(VALU_DEP_3)
	v_fma_f32 v5, v130, v8, -v5
	v_dual_mul_f32 v164, v140, v19 :: v_dual_mul_f32 v165, v142, v21
	v_add_f32_e32 v2, v3, v2
	v_dual_mul_f32 v4, v133, v11 :: v_dual_mul_f32 v3, v135, v13
	s_delay_alu instid0(VALU_DEP_3) | instskip(SKIP_1) | instid1(VALU_DEP_4)
	v_fmac_f32_e32 v164, v141, v18
	v_dual_mul_f32 v166, v144, v25 :: v_dual_mul_f32 v167, v146, v27
	v_add_f32_e32 v2, v2, v5
	v_add_f32_e32 v1, 0, v1
	v_fma_f32 v4, v132, v10, -v4
	v_fma_f32 v3, v134, v12, -v3
	v_fmac_f32_e32 v163, v139, v16
	v_dual_mul_f32 v169, v150, v119 :: v_dual_mul_f32 v170, v152, v121
	s_delay_alu instid0(VALU_DEP_4) | instskip(SKIP_2) | instid1(VALU_DEP_4)
	v_dual_add_f32 v1, v1, v22 :: v_dual_add_f32 v2, v2, v4
	v_mul_f32_e32 v4, v139, v17
	v_fmac_f32_e32 v159, v131, v8
	v_dual_fmac_f32 v167, v147, v26 :: v_dual_fmac_f32 v170, v153, v120
	s_delay_alu instid0(VALU_DEP_4) | instskip(NEXT) | instid1(VALU_DEP_4)
	v_add_f32_e32 v1, v1, v158
	v_fma_f32 v4, v138, v16, -v4
	v_mul_f32_e32 v5, v137, v15
	v_dual_add_f32 v2, v2, v3 :: v_dual_fmac_f32 v169, v151, v118
	s_delay_alu instid0(VALU_DEP_4) | instskip(SKIP_1) | instid1(VALU_DEP_4)
	v_add_f32_e32 v1, v1, v159
	v_fmac_f32_e32 v166, v145, v24
	v_fma_f32 v5, v136, v14, -v5
	v_fmac_f32_e32 v161, v135, v12
	v_dual_fmac_f32 v171, v155, v122 :: v_dual_fmac_f32 v168, v149, v116
	s_delay_alu instid0(VALU_DEP_3) | instskip(NEXT) | instid1(VALU_DEP_1)
	v_add_f32_e32 v2, v2, v5
	v_dual_mul_f32 v5, v143, v21 :: v_dual_add_f32 v2, v2, v4
	s_delay_alu instid0(VALU_DEP_1) | instskip(SKIP_2) | instid1(VALU_DEP_2)
	v_fma_f32 v5, v142, v20, -v5
	v_mul_f32_e32 v3, v141, v19
	v_mul_f32_e32 v4, v145, v25
	v_fma_f32 v3, v140, v18, -v3
	v_add_f32_e32 v1, v1, v160
	s_delay_alu instid0(VALU_DEP_3) | instskip(NEXT) | instid1(VALU_DEP_3)
	v_fma_f32 v4, v144, v24, -v4
	v_add_f32_e32 v2, v2, v3
	s_delay_alu instid0(VALU_DEP_1) | instskip(NEXT) | instid1(VALU_DEP_4)
	v_dual_mul_f32 v3, v147, v27 :: v_dual_add_f32 v2, v2, v5
	v_add_f32_e32 v1, v1, v161
	s_delay_alu instid0(VALU_DEP_2) | instskip(NEXT) | instid1(VALU_DEP_2)
	v_fma_f32 v3, v146, v26, -v3
	v_dual_add_f32 v2, v2, v4 :: v_dual_add_f32 v1, v1, v162
	v_mul_f32_e32 v4, v151, v119
	s_delay_alu instid0(VALU_DEP_2) | instskip(SKIP_1) | instid1(VALU_DEP_3)
	v_dual_fmac_f32 v165, v143, v20 :: v_dual_add_f32 v2, v2, v3
	v_mul_f32_e32 v3, v153, v121
	v_fma_f32 v4, v150, v118, -v4
	v_mul_f32_e32 v5, v149, v117
	s_delay_alu instid0(VALU_DEP_3) | instskip(NEXT) | instid1(VALU_DEP_2)
	v_fma_f32 v3, v152, v120, -v3
	v_fma_f32 v5, v148, v116, -v5
	s_delay_alu instid0(VALU_DEP_1) | instskip(NEXT) | instid1(VALU_DEP_1)
	v_dual_add_f32 v1, v1, v163 :: v_dual_add_f32 v2, v2, v5
	v_dual_mul_f32 v5, v155, v123 :: v_dual_add_f32 v2, v2, v4
	s_delay_alu instid0(VALU_DEP_2) | instskip(NEXT) | instid1(VALU_DEP_2)
	v_add_f32_e32 v1, v1, v164
	v_fma_f32 v4, v154, v122, -v5
	s_delay_alu instid0(VALU_DEP_2) | instskip(NEXT) | instid1(VALU_DEP_1)
	v_dual_add_f32 v2, v2, v3 :: v_dual_add_f32 v1, v1, v165
	v_dual_add_f32 v2, v2, v4 :: v_dual_add_f32 v1, v1, v166
	s_delay_alu instid0(VALU_DEP_1) | instskip(NEXT) | instid1(VALU_DEP_1)
	v_add_f32_e32 v1, v1, v167
	v_add_f32_e32 v1, v1, v168
	s_delay_alu instid0(VALU_DEP_1) | instskip(NEXT) | instid1(VALU_DEP_1)
	v_add_f32_e32 v1, v1, v169
	v_add_f32_e32 v1, v1, v170
	s_delay_alu instid0(VALU_DEP_1) | instskip(SKIP_1) | instid1(VALU_DEP_1)
	v_add_f32_e32 v3, v1, v171
	s_wait_loadcnt 0x0
	v_dual_sub_f32 v1, v156, v2 :: v_dual_sub_f32 v2, v157, v3
	scratch_store_b64 off, v[1:2], off offset:216
	v_cmpx_lt_u32_e32 26, v0
	s_cbranch_execz .LBB43_225
; %bb.224:
	scratch_load_b64 v[1:2], off, off offset:208
	v_mov_b32_e32 v3, 0
	s_delay_alu instid0(VALU_DEP_1)
	v_mov_b32_e32 v4, v3
	scratch_store_b64 off, v[3:4], off offset:208
	s_wait_loadcnt 0x0
	ds_store_b64 v23, v[1:2]
.LBB43_225:
	s_wait_alu 0xfffe
	s_or_b32 exec_lo, exec_lo, s0
	s_wait_storecnt_dscnt 0x0
	s_barrier_signal -1
	s_barrier_wait -1
	global_inv scope:SCOPE_SE
	s_clause 0x9
	scratch_load_b128 v[2:5], off, off offset:216
	scratch_load_b128 v[6:9], off, off offset:232
	;; [unrolled: 1-line block ×8, first 2 shown]
	scratch_load_b64 v[156:157], off, off offset:344
	scratch_load_b64 v[158:159], off, off offset:208
	v_mov_b32_e32 v1, 0
	ds_load_2addr_b64 v[124:127], v1 offset0:71 offset1:72
	ds_load_2addr_b64 v[128:131], v1 offset0:73 offset1:74
	;; [unrolled: 1-line block ×8, first 2 shown]
	ds_load_b64 v[160:161], v1 offset:696
	s_mov_b32 s0, exec_lo
	s_wait_loadcnt_dscnt 0x908
	v_mul_f32_e32 v22, v124, v3
	v_dual_mul_f32 v3, v125, v3 :: v_dual_mul_f32 v162, v126, v5
	s_wait_loadcnt_dscnt 0x504
	v_dual_mul_f32 v163, v128, v7 :: v_dual_mul_f32 v170, v142, v21
	v_mul_f32_e32 v5, v127, v5
	s_delay_alu instid0(VALU_DEP_3)
	v_fma_f32 v3, v124, v2, -v3
	v_dual_mul_f32 v164, v130, v9 :: v_dual_mul_f32 v165, v132, v11
	s_wait_loadcnt_dscnt 0x100
	v_dual_mul_f32 v177, v160, v157 :: v_dual_fmac_f32 v22, v125, v2
	v_mul_f32_e32 v2, v129, v7
	v_dual_fmac_f32 v162, v127, v4 :: v_dual_add_f32 v3, 0, v3
	v_fma_f32 v4, v126, v4, -v5
	s_delay_alu instid0(VALU_DEP_4) | instskip(SKIP_2) | instid1(VALU_DEP_4)
	v_dual_add_f32 v5, 0, v22 :: v_dual_fmac_f32 v164, v131, v8
	v_mul_f32_e32 v7, v131, v9
	v_fma_f32 v2, v128, v6, -v2
	v_add_f32_e32 v3, v3, v4
	v_fmac_f32_e32 v163, v129, v6
	v_add_f32_e32 v4, v5, v162
	v_mul_f32_e32 v5, v133, v11
	v_fma_f32 v6, v130, v8, -v7
	v_add_f32_e32 v2, v3, v2
	v_dual_mul_f32 v166, v134, v13 :: v_dual_mul_f32 v167, v136, v15
	v_dual_add_f32 v3, v4, v163 :: v_dual_mul_f32 v4, v135, v13
	v_fma_f32 v5, v132, v10, -v5
	s_delay_alu instid0(VALU_DEP_4)
	v_add_f32_e32 v2, v2, v6
	v_fmac_f32_e32 v165, v133, v10
	v_mul_f32_e32 v6, v137, v15
	v_fmac_f32_e32 v166, v135, v12
	v_add_f32_e32 v3, v3, v164
	v_fma_f32 v4, v134, v12, -v4
	v_add_f32_e32 v2, v2, v5
	v_dual_mul_f32 v168, v138, v17 :: v_dual_mul_f32 v169, v140, v19
	s_delay_alu instid0(VALU_DEP_4)
	v_add_f32_e32 v3, v3, v165
	v_mul_f32_e32 v5, v139, v17
	v_fma_f32 v6, v136, v14, -v6
	v_dual_add_f32 v2, v2, v4 :: v_dual_fmac_f32 v167, v137, v14
	v_fmac_f32_e32 v168, v139, v16
	v_mul_f32_e32 v4, v141, v19
	v_fma_f32 v5, v138, v16, -v5
	s_delay_alu instid0(VALU_DEP_4) | instskip(SKIP_3) | instid1(VALU_DEP_3)
	v_add_f32_e32 v2, v2, v6
	v_add_f32_e32 v3, v3, v166
	v_dual_mul_f32 v6, v143, v21 :: v_dual_fmac_f32 v169, v141, v18
	v_fma_f32 v4, v140, v18, -v4
	v_dual_add_f32 v2, v2, v5 :: v_dual_add_f32 v3, v3, v167
	s_delay_alu instid0(VALU_DEP_3) | instskip(SKIP_1) | instid1(VALU_DEP_3)
	v_fma_f32 v6, v142, v20, -v6
	v_dual_mul_f32 v171, v144, v25 :: v_dual_mul_f32 v172, v146, v27
	v_add_f32_e32 v2, v2, v4
	s_delay_alu instid0(VALU_DEP_4) | instskip(SKIP_1) | instid1(VALU_DEP_4)
	v_add_f32_e32 v3, v3, v168
	v_dual_mul_f32 v5, v145, v25 :: v_dual_fmac_f32 v170, v143, v20
	v_dual_mul_f32 v4, v147, v27 :: v_dual_fmac_f32 v171, v145, v24
	s_delay_alu instid0(VALU_DEP_3) | instskip(NEXT) | instid1(VALU_DEP_3)
	v_dual_add_f32 v2, v2, v6 :: v_dual_add_f32 v3, v3, v169
	v_fma_f32 v5, v144, v24, -v5
	v_dual_mul_f32 v173, v148, v117 :: v_dual_mul_f32 v174, v150, v119
	s_delay_alu instid0(VALU_DEP_3) | instskip(NEXT) | instid1(VALU_DEP_2)
	v_dual_mul_f32 v6, v149, v117 :: v_dual_add_f32 v3, v3, v170
	v_dual_fmac_f32 v172, v147, v26 :: v_dual_fmac_f32 v173, v149, v116
	v_fma_f32 v4, v146, v26, -v4
	s_delay_alu instid0(VALU_DEP_3) | instskip(SKIP_3) | instid1(VALU_DEP_4)
	v_dual_add_f32 v2, v2, v5 :: v_dual_add_f32 v3, v3, v171
	v_mul_f32_e32 v5, v151, v119
	v_fma_f32 v6, v148, v116, -v6
	v_dual_mul_f32 v175, v152, v121 :: v_dual_mul_f32 v176, v154, v123
	v_add_f32_e32 v2, v2, v4
	v_dual_add_f32 v3, v3, v172 :: v_dual_mul_f32 v4, v153, v121
	s_delay_alu instid0(VALU_DEP_3) | instskip(SKIP_1) | instid1(VALU_DEP_3)
	v_dual_fmac_f32 v174, v151, v118 :: v_dual_fmac_f32 v175, v153, v120
	v_fma_f32 v5, v150, v118, -v5
	v_dual_add_f32 v2, v2, v6 :: v_dual_add_f32 v3, v3, v173
	v_mul_f32_e32 v6, v155, v123
	v_fma_f32 v4, v152, v120, -v4
	v_dual_fmac_f32 v176, v155, v122 :: v_dual_fmac_f32 v177, v161, v156
	s_delay_alu instid0(VALU_DEP_4) | instskip(SKIP_2) | instid1(VALU_DEP_3)
	v_dual_add_f32 v2, v2, v5 :: v_dual_add_f32 v3, v3, v174
	v_mul_f32_e32 v5, v161, v157
	v_fma_f32 v6, v154, v122, -v6
	v_dual_add_f32 v2, v2, v4 :: v_dual_add_f32 v3, v3, v175
	s_delay_alu instid0(VALU_DEP_3) | instskip(NEXT) | instid1(VALU_DEP_2)
	v_fma_f32 v4, v160, v156, -v5
	v_dual_add_f32 v2, v2, v6 :: v_dual_add_f32 v3, v3, v176
	s_delay_alu instid0(VALU_DEP_1) | instskip(SKIP_1) | instid1(VALU_DEP_1)
	v_dual_add_f32 v2, v2, v4 :: v_dual_add_f32 v3, v3, v177
	s_wait_loadcnt 0x0
	v_dual_sub_f32 v2, v158, v2 :: v_dual_sub_f32 v3, v159, v3
	scratch_store_b64 off, v[2:3], off offset:208
	v_cmpx_lt_u32_e32 25, v0
	s_cbranch_execz .LBB43_227
; %bb.226:
	scratch_load_b64 v[3:4], off, off offset:200
	v_mov_b32_e32 v2, v1
	scratch_store_b64 off, v[1:2], off offset:200
	s_wait_loadcnt 0x0
	ds_store_b64 v23, v[3:4]
.LBB43_227:
	s_wait_alu 0xfffe
	s_or_b32 exec_lo, exec_lo, s0
	s_wait_storecnt_dscnt 0x0
	s_barrier_signal -1
	s_barrier_wait -1
	global_inv scope:SCOPE_SE
	s_clause 0x9
	scratch_load_b128 v[2:5], off, off offset:208
	scratch_load_b128 v[6:9], off, off offset:224
	;; [unrolled: 1-line block ×9, first 2 shown]
	scratch_load_b64 v[164:165], off, off offset:200
	ds_load_b128 v[128:131], v1 offset:560
	ds_load_b128 v[132:135], v1 offset:576
	;; [unrolled: 1-line block ×9, first 2 shown]
	s_mov_b32 s0, exec_lo
	s_wait_loadcnt_dscnt 0x908
	v_dual_mul_f32 v1, v128, v3 :: v_dual_mul_f32 v22, v130, v5
	v_mul_f32_e32 v5, v131, v5
	v_mul_f32_e32 v3, v129, v3
	s_wait_loadcnt_dscnt 0x807
	v_dual_mul_f32 v166, v132, v7 :: v_dual_mul_f32 v167, v134, v9
	s_wait_loadcnt_dscnt 0x201
	v_dual_fmac_f32 v1, v129, v2 :: v_dual_mul_f32 v178, v156, v121
	v_fma_f32 v3, v128, v2, -v3
	s_wait_loadcnt_dscnt 0x100
	v_dual_mul_f32 v181, v162, v127 :: v_dual_fmac_f32 v22, v131, v4
	v_mul_f32_e32 v2, v133, v7
	v_fma_f32 v4, v130, v4, -v5
	v_dual_add_f32 v3, 0, v3 :: v_dual_fmac_f32 v166, v133, v6
	v_dual_mul_f32 v168, v136, v11 :: v_dual_mul_f32 v169, v138, v13
	v_dual_mul_f32 v170, v140, v15 :: v_dual_mul_f32 v171, v142, v17
	s_delay_alu instid0(VALU_DEP_2) | instskip(SKIP_1) | instid1(VALU_DEP_3)
	v_dual_mul_f32 v5, v135, v9 :: v_dual_fmac_f32 v168, v137, v10
	v_fma_f32 v2, v132, v6, -v2
	v_dual_add_f32 v3, v3, v4 :: v_dual_fmac_f32 v170, v141, v14
	s_delay_alu instid0(VALU_DEP_3) | instskip(SKIP_1) | instid1(VALU_DEP_3)
	v_fma_f32 v5, v134, v8, -v5
	v_dual_mul_f32 v172, v144, v19 :: v_dual_mul_f32 v173, v146, v21
	v_add_f32_e32 v2, v3, v2
	v_dual_mul_f32 v4, v137, v11 :: v_dual_mul_f32 v3, v139, v13
	s_delay_alu instid0(VALU_DEP_3) | instskip(SKIP_1) | instid1(VALU_DEP_4)
	v_fmac_f32_e32 v172, v145, v18
	v_dual_mul_f32 v174, v148, v25 :: v_dual_mul_f32 v175, v150, v27
	v_add_f32_e32 v2, v2, v5
	v_add_f32_e32 v1, 0, v1
	v_fma_f32 v4, v136, v10, -v4
	v_fma_f32 v3, v138, v12, -v3
	v_dual_fmac_f32 v171, v143, v16 :: v_dual_mul_f32 v176, v152, v117
	v_mul_f32_e32 v177, v154, v119
	s_delay_alu instid0(VALU_DEP_4) | instskip(SKIP_3) | instid1(VALU_DEP_4)
	v_dual_add_f32 v1, v1, v22 :: v_dual_add_f32 v2, v2, v4
	v_mul_f32_e32 v4, v143, v17
	v_fmac_f32_e32 v167, v135, v8
	v_dual_mul_f32 v179, v158, v123 :: v_dual_mul_f32 v180, v160, v125
	v_add_f32_e32 v1, v1, v166
	s_delay_alu instid0(VALU_DEP_4) | instskip(SKIP_2) | instid1(VALU_DEP_4)
	v_fma_f32 v4, v142, v16, -v4
	v_mul_f32_e32 v5, v141, v15
	v_dual_add_f32 v2, v2, v3 :: v_dual_fmac_f32 v177, v155, v118
	v_add_f32_e32 v1, v1, v167
	v_dual_fmac_f32 v175, v151, v26 :: v_dual_fmac_f32 v178, v157, v120
	s_delay_alu instid0(VALU_DEP_4) | instskip(SKIP_3) | instid1(VALU_DEP_4)
	v_fma_f32 v5, v140, v14, -v5
	v_fmac_f32_e32 v169, v139, v12
	v_dual_fmac_f32 v174, v149, v24 :: v_dual_fmac_f32 v181, v163, v126
	v_fmac_f32_e32 v176, v153, v116
	v_add_f32_e32 v2, v2, v5
	v_dual_mul_f32 v5, v147, v21 :: v_dual_fmac_f32 v180, v161, v124
	s_delay_alu instid0(VALU_DEP_2) | instskip(NEXT) | instid1(VALU_DEP_2)
	v_add_f32_e32 v2, v2, v4
	v_fma_f32 v5, v146, v20, -v5
	v_mul_f32_e32 v3, v145, v19
	v_mul_f32_e32 v4, v149, v25
	s_delay_alu instid0(VALU_DEP_2) | instskip(SKIP_1) | instid1(VALU_DEP_3)
	v_fma_f32 v3, v144, v18, -v3
	v_add_f32_e32 v1, v1, v168
	v_fma_f32 v4, v148, v24, -v4
	s_delay_alu instid0(VALU_DEP_3) | instskip(NEXT) | instid1(VALU_DEP_1)
	v_add_f32_e32 v2, v2, v3
	v_dual_mul_f32 v3, v151, v27 :: v_dual_add_f32 v2, v2, v5
	s_delay_alu instid0(VALU_DEP_4) | instskip(NEXT) | instid1(VALU_DEP_2)
	v_add_f32_e32 v1, v1, v169
	v_fma_f32 v3, v150, v26, -v3
	s_delay_alu instid0(VALU_DEP_2) | instskip(SKIP_1) | instid1(VALU_DEP_2)
	v_dual_add_f32 v2, v2, v4 :: v_dual_add_f32 v1, v1, v170
	v_mul_f32_e32 v4, v155, v119
	v_dual_fmac_f32 v173, v147, v20 :: v_dual_add_f32 v2, v2, v3
	v_mul_f32_e32 v3, v157, v121
	s_delay_alu instid0(VALU_DEP_3) | instskip(SKIP_1) | instid1(VALU_DEP_3)
	v_fma_f32 v4, v154, v118, -v4
	v_mul_f32_e32 v5, v153, v117
	v_fma_f32 v3, v156, v120, -v3
	s_delay_alu instid0(VALU_DEP_2) | instskip(NEXT) | instid1(VALU_DEP_1)
	v_fma_f32 v5, v152, v116, -v5
	v_dual_add_f32 v1, v1, v171 :: v_dual_add_f32 v2, v2, v5
	s_delay_alu instid0(VALU_DEP_1) | instskip(NEXT) | instid1(VALU_DEP_2)
	v_dual_mul_f32 v5, v159, v123 :: v_dual_add_f32 v2, v2, v4
	v_add_f32_e32 v1, v1, v172
	v_mul_f32_e32 v4, v161, v125
	s_delay_alu instid0(VALU_DEP_3) | instskip(NEXT) | instid1(VALU_DEP_4)
	v_fma_f32 v5, v158, v122, -v5
	v_dual_add_f32 v2, v2, v3 :: v_dual_fmac_f32 v179, v159, v122
	v_mul_f32_e32 v3, v163, v127
	s_delay_alu instid0(VALU_DEP_4) | instskip(NEXT) | instid1(VALU_DEP_3)
	v_fma_f32 v4, v160, v124, -v4
	v_add_f32_e32 v2, v2, v5
	v_add_f32_e32 v1, v1, v173
	s_delay_alu instid0(VALU_DEP_4) | instskip(NEXT) | instid1(VALU_DEP_2)
	v_fma_f32 v3, v162, v126, -v3
	v_dual_add_f32 v2, v2, v4 :: v_dual_add_f32 v1, v1, v174
	s_delay_alu instid0(VALU_DEP_1) | instskip(NEXT) | instid1(VALU_DEP_2)
	v_add_f32_e32 v2, v2, v3
	v_add_f32_e32 v1, v1, v175
	s_delay_alu instid0(VALU_DEP_1) | instskip(NEXT) | instid1(VALU_DEP_1)
	v_add_f32_e32 v1, v1, v176
	v_add_f32_e32 v1, v1, v177
	s_delay_alu instid0(VALU_DEP_1) | instskip(NEXT) | instid1(VALU_DEP_1)
	;; [unrolled: 3-line block ×3, first 2 shown]
	v_add_f32_e32 v1, v1, v180
	v_add_f32_e32 v3, v1, v181
	s_wait_loadcnt 0x0
	s_delay_alu instid0(VALU_DEP_1)
	v_dual_sub_f32 v1, v164, v2 :: v_dual_sub_f32 v2, v165, v3
	scratch_store_b64 off, v[1:2], off offset:200
	v_cmpx_lt_u32_e32 24, v0
	s_cbranch_execz .LBB43_229
; %bb.228:
	scratch_load_b64 v[1:2], off, off offset:192
	v_mov_b32_e32 v3, 0
	s_delay_alu instid0(VALU_DEP_1)
	v_mov_b32_e32 v4, v3
	scratch_store_b64 off, v[3:4], off offset:192
	s_wait_loadcnt 0x0
	ds_store_b64 v23, v[1:2]
.LBB43_229:
	s_wait_alu 0xfffe
	s_or_b32 exec_lo, exec_lo, s0
	s_wait_storecnt_dscnt 0x0
	s_barrier_signal -1
	s_barrier_wait -1
	global_inv scope:SCOPE_SE
	s_clause 0xa
	scratch_load_b128 v[2:5], off, off offset:200
	scratch_load_b128 v[6:9], off, off offset:216
	scratch_load_b128 v[10:13], off, off offset:232
	scratch_load_b128 v[14:17], off, off offset:248
	scratch_load_b128 v[18:21], off, off offset:264
	scratch_load_b128 v[24:27], off, off offset:280
	scratch_load_b128 v[116:119], off, off offset:296
	scratch_load_b128 v[120:123], off, off offset:312
	scratch_load_b128 v[124:127], off, off offset:328
	scratch_load_b64 v[164:165], off, off offset:344
	scratch_load_b64 v[166:167], off, off offset:192
	v_mov_b32_e32 v1, 0
	ds_load_2addr_b64 v[128:131], v1 offset0:69 offset1:70
	ds_load_2addr_b64 v[132:135], v1 offset0:71 offset1:72
	;; [unrolled: 1-line block ×9, first 2 shown]
	ds_load_b64 v[168:169], v1 offset:696
	s_mov_b32 s0, exec_lo
	s_wait_loadcnt_dscnt 0xa09
	v_mul_f32_e32 v22, v128, v3
	v_dual_mul_f32 v3, v129, v3 :: v_dual_mul_f32 v170, v130, v5
	s_wait_loadcnt_dscnt 0x605
	v_dual_mul_f32 v171, v132, v7 :: v_dual_mul_f32 v178, v146, v21
	v_mul_f32_e32 v5, v131, v5
	s_delay_alu instid0(VALU_DEP_3)
	v_fma_f32 v3, v128, v2, -v3
	v_dual_mul_f32 v172, v134, v9 :: v_dual_mul_f32 v173, v136, v11
	s_wait_loadcnt_dscnt 0x100
	v_dual_mul_f32 v187, v168, v165 :: v_dual_fmac_f32 v22, v129, v2
	v_mul_f32_e32 v2, v133, v7
	v_dual_fmac_f32 v170, v131, v4 :: v_dual_add_f32 v3, 0, v3
	v_fma_f32 v4, v130, v4, -v5
	s_delay_alu instid0(VALU_DEP_4) | instskip(SKIP_2) | instid1(VALU_DEP_4)
	v_dual_add_f32 v5, 0, v22 :: v_dual_fmac_f32 v172, v135, v8
	v_mul_f32_e32 v7, v135, v9
	v_fma_f32 v2, v132, v6, -v2
	v_add_f32_e32 v3, v3, v4
	v_fmac_f32_e32 v171, v133, v6
	v_add_f32_e32 v4, v5, v170
	v_mul_f32_e32 v5, v137, v11
	v_fma_f32 v6, v134, v8, -v7
	v_add_f32_e32 v2, v3, v2
	v_dual_mul_f32 v174, v138, v13 :: v_dual_mul_f32 v175, v140, v15
	v_dual_add_f32 v3, v4, v171 :: v_dual_mul_f32 v4, v139, v13
	v_fma_f32 v5, v136, v10, -v5
	s_delay_alu instid0(VALU_DEP_4)
	v_add_f32_e32 v2, v2, v6
	v_fmac_f32_e32 v173, v137, v10
	v_mul_f32_e32 v6, v141, v15
	v_fmac_f32_e32 v174, v139, v12
	v_add_f32_e32 v3, v3, v172
	v_fma_f32 v4, v138, v12, -v4
	v_add_f32_e32 v2, v2, v5
	v_dual_mul_f32 v176, v142, v17 :: v_dual_mul_f32 v177, v144, v19
	s_delay_alu instid0(VALU_DEP_4)
	v_add_f32_e32 v3, v3, v173
	v_mul_f32_e32 v5, v143, v17
	v_fma_f32 v6, v140, v14, -v6
	v_dual_add_f32 v2, v2, v4 :: v_dual_fmac_f32 v175, v141, v14
	v_fmac_f32_e32 v176, v143, v16
	v_mul_f32_e32 v4, v145, v19
	v_fma_f32 v5, v142, v16, -v5
	s_delay_alu instid0(VALU_DEP_4) | instskip(SKIP_3) | instid1(VALU_DEP_3)
	v_add_f32_e32 v2, v2, v6
	v_add_f32_e32 v3, v3, v174
	v_dual_mul_f32 v6, v147, v21 :: v_dual_fmac_f32 v177, v145, v18
	v_fma_f32 v4, v144, v18, -v4
	v_dual_add_f32 v2, v2, v5 :: v_dual_add_f32 v3, v3, v175
	s_delay_alu instid0(VALU_DEP_3) | instskip(SKIP_1) | instid1(VALU_DEP_3)
	v_fma_f32 v6, v146, v20, -v6
	v_dual_mul_f32 v179, v148, v25 :: v_dual_mul_f32 v180, v150, v27
	v_add_f32_e32 v2, v2, v4
	s_delay_alu instid0(VALU_DEP_4) | instskip(SKIP_1) | instid1(VALU_DEP_4)
	v_add_f32_e32 v3, v3, v176
	v_dual_mul_f32 v5, v149, v25 :: v_dual_fmac_f32 v178, v147, v20
	v_dual_mul_f32 v4, v151, v27 :: v_dual_fmac_f32 v179, v149, v24
	s_delay_alu instid0(VALU_DEP_3) | instskip(NEXT) | instid1(VALU_DEP_3)
	v_dual_add_f32 v2, v2, v6 :: v_dual_add_f32 v3, v3, v177
	v_fma_f32 v5, v148, v24, -v5
	v_dual_mul_f32 v181, v152, v117 :: v_dual_mul_f32 v182, v154, v119
	s_delay_alu instid0(VALU_DEP_3) | instskip(NEXT) | instid1(VALU_DEP_2)
	v_dual_mul_f32 v6, v153, v117 :: v_dual_add_f32 v3, v3, v178
	v_dual_fmac_f32 v180, v151, v26 :: v_dual_fmac_f32 v181, v153, v116
	v_fma_f32 v4, v150, v26, -v4
	s_delay_alu instid0(VALU_DEP_3) | instskip(SKIP_3) | instid1(VALU_DEP_4)
	v_dual_add_f32 v2, v2, v5 :: v_dual_add_f32 v3, v3, v179
	v_mul_f32_e32 v5, v155, v119
	v_fma_f32 v6, v152, v116, -v6
	v_dual_mul_f32 v183, v156, v121 :: v_dual_mul_f32 v184, v158, v123
	v_add_f32_e32 v2, v2, v4
	v_dual_add_f32 v3, v3, v180 :: v_dual_mul_f32 v4, v157, v121
	s_delay_alu instid0(VALU_DEP_3) | instskip(SKIP_1) | instid1(VALU_DEP_3)
	v_dual_fmac_f32 v182, v155, v118 :: v_dual_fmac_f32 v183, v157, v120
	v_fma_f32 v5, v154, v118, -v5
	v_dual_add_f32 v2, v2, v6 :: v_dual_add_f32 v3, v3, v181
	v_mul_f32_e32 v6, v159, v123
	v_fma_f32 v4, v156, v120, -v4
	v_dual_mul_f32 v185, v160, v125 :: v_dual_mul_f32 v186, v162, v127
	s_delay_alu instid0(VALU_DEP_4) | instskip(SKIP_1) | instid1(VALU_DEP_3)
	v_dual_add_f32 v2, v2, v5 :: v_dual_add_f32 v3, v3, v182
	v_dual_mul_f32 v5, v161, v125 :: v_dual_fmac_f32 v184, v159, v122
	v_fmac_f32_e32 v185, v161, v124
	v_fma_f32 v6, v158, v122, -v6
	s_delay_alu instid0(VALU_DEP_4) | instskip(SKIP_2) | instid1(VALU_DEP_3)
	v_dual_add_f32 v2, v2, v4 :: v_dual_add_f32 v3, v3, v183
	v_dual_mul_f32 v4, v163, v127 :: v_dual_fmac_f32 v187, v169, v164
	v_fma_f32 v5, v160, v124, -v5
	v_dual_add_f32 v2, v2, v6 :: v_dual_add_f32 v3, v3, v184
	v_fmac_f32_e32 v186, v163, v126
	s_delay_alu instid0(VALU_DEP_4) | instskip(NEXT) | instid1(VALU_DEP_3)
	v_fma_f32 v4, v162, v126, -v4
	v_add_f32_e32 v3, v3, v185
	s_delay_alu instid0(VALU_DEP_1) | instskip(SKIP_1) | instid1(VALU_DEP_2)
	v_dual_mul_f32 v6, v169, v165 :: v_dual_add_f32 v3, v3, v186
	v_add_f32_e32 v2, v2, v5
	v_fma_f32 v5, v168, v164, -v6
	s_delay_alu instid0(VALU_DEP_2) | instskip(SKIP_1) | instid1(VALU_DEP_1)
	v_dual_add_f32 v3, v3, v187 :: v_dual_add_f32 v2, v2, v4
	s_wait_loadcnt 0x0
	v_dual_sub_f32 v3, v167, v3 :: v_dual_add_f32 v2, v2, v5
	s_delay_alu instid0(VALU_DEP_1)
	v_sub_f32_e32 v2, v166, v2
	scratch_store_b64 off, v[2:3], off offset:192
	v_cmpx_lt_u32_e32 23, v0
	s_cbranch_execz .LBB43_231
; %bb.230:
	scratch_load_b64 v[3:4], off, off offset:184
	v_mov_b32_e32 v2, v1
	scratch_store_b64 off, v[1:2], off offset:184
	s_wait_loadcnt 0x0
	ds_store_b64 v23, v[3:4]
.LBB43_231:
	s_wait_alu 0xfffe
	s_or_b32 exec_lo, exec_lo, s0
	s_wait_storecnt_dscnt 0x0
	s_barrier_signal -1
	s_barrier_wait -1
	global_inv scope:SCOPE_SE
	s_clause 0xa
	scratch_load_b128 v[2:5], off, off offset:192
	scratch_load_b128 v[6:9], off, off offset:208
	;; [unrolled: 1-line block ×10, first 2 shown]
	scratch_load_b64 v[172:173], off, off offset:184
	ds_load_b128 v[132:135], v1 offset:544
	ds_load_b128 v[136:139], v1 offset:560
	;; [unrolled: 1-line block ×10, first 2 shown]
	s_mov_b32 s0, exec_lo
	s_wait_loadcnt_dscnt 0xa09
	v_dual_mul_f32 v1, v132, v3 :: v_dual_mul_f32 v22, v134, v5
	s_wait_loadcnt_dscnt 0x908
	v_dual_mul_f32 v5, v135, v5 :: v_dual_mul_f32 v174, v136, v7
	v_mul_f32_e32 v175, v138, v9
	v_mul_f32_e32 v3, v133, v3
	v_dual_fmac_f32 v1, v133, v2 :: v_dual_fmac_f32 v22, v135, v4
	s_wait_loadcnt_dscnt 0x100
	v_dual_mul_f32 v188, v164, v125 :: v_dual_mul_f32 v191, v170, v131
	s_delay_alu instid0(VALU_DEP_3) | instskip(SKIP_3) | instid1(VALU_DEP_4)
	v_fma_f32 v3, v132, v2, -v3
	v_mul_f32_e32 v2, v137, v7
	v_fma_f32 v4, v134, v4, -v5
	v_dual_mul_f32 v176, v140, v11 :: v_dual_mul_f32 v177, v142, v13
	v_dual_add_f32 v3, 0, v3 :: v_dual_fmac_f32 v174, v137, v6
	v_dual_mul_f32 v178, v144, v15 :: v_dual_mul_f32 v179, v146, v17
	s_delay_alu instid0(VALU_DEP_3) | instskip(SKIP_1) | instid1(VALU_DEP_3)
	v_dual_mul_f32 v5, v139, v9 :: v_dual_fmac_f32 v176, v141, v10
	v_fma_f32 v2, v136, v6, -v2
	v_dual_add_f32 v3, v3, v4 :: v_dual_fmac_f32 v178, v145, v14
	s_delay_alu instid0(VALU_DEP_3) | instskip(SKIP_1) | instid1(VALU_DEP_3)
	v_fma_f32 v5, v138, v8, -v5
	v_dual_mul_f32 v180, v148, v19 :: v_dual_mul_f32 v181, v150, v21
	v_add_f32_e32 v2, v3, v2
	v_dual_mul_f32 v3, v143, v13 :: v_dual_mul_f32 v4, v141, v11
	s_delay_alu instid0(VALU_DEP_3) | instskip(SKIP_1) | instid1(VALU_DEP_4)
	v_fmac_f32_e32 v180, v149, v18
	v_dual_mul_f32 v182, v152, v25 :: v_dual_mul_f32 v183, v154, v27
	v_add_f32_e32 v2, v2, v5
	v_add_f32_e32 v1, 0, v1
	v_fma_f32 v4, v140, v10, -v4
	v_fma_f32 v3, v142, v12, -v3
	v_dual_fmac_f32 v179, v147, v16 :: v_dual_mul_f32 v184, v156, v117
	v_mul_f32_e32 v185, v158, v119
	s_delay_alu instid0(VALU_DEP_4) | instskip(SKIP_3) | instid1(VALU_DEP_4)
	v_dual_add_f32 v1, v1, v22 :: v_dual_add_f32 v2, v2, v4
	v_mul_f32_e32 v4, v147, v17
	v_dual_fmac_f32 v175, v139, v8 :: v_dual_mul_f32 v186, v160, v121
	v_mul_f32_e32 v187, v162, v123
	v_add_f32_e32 v1, v1, v174
	s_delay_alu instid0(VALU_DEP_4) | instskip(SKIP_2) | instid1(VALU_DEP_4)
	v_fma_f32 v4, v146, v16, -v4
	v_mul_f32_e32 v5, v145, v15
	v_dual_add_f32 v2, v2, v3 :: v_dual_fmac_f32 v185, v159, v118
	v_add_f32_e32 v1, v1, v175
	v_dual_mul_f32 v189, v166, v127 :: v_dual_mul_f32 v190, v168, v129
	s_delay_alu instid0(VALU_DEP_4) | instskip(SKIP_3) | instid1(VALU_DEP_4)
	v_fma_f32 v5, v144, v14, -v5
	v_fmac_f32_e32 v177, v143, v12
	v_dual_fmac_f32 v182, v153, v24 :: v_dual_fmac_f32 v183, v155, v26
	v_fmac_f32_e32 v186, v161, v120
	v_add_f32_e32 v2, v2, v5
	v_mul_f32_e32 v5, v151, v21
	v_fmac_f32_e32 v189, v167, v126
	v_dual_fmac_f32 v191, v171, v130 :: v_dual_fmac_f32 v184, v157, v116
	s_delay_alu instid0(VALU_DEP_4) | instskip(NEXT) | instid1(VALU_DEP_4)
	v_add_f32_e32 v2, v2, v4
	v_fma_f32 v5, v150, v20, -v5
	v_mul_f32_e32 v3, v149, v19
	v_mul_f32_e32 v4, v153, v25
	v_fmac_f32_e32 v188, v165, v124
	v_fmac_f32_e32 v190, v169, v128
	s_delay_alu instid0(VALU_DEP_4) | instskip(SKIP_2) | instid1(VALU_DEP_3)
	v_fma_f32 v3, v148, v18, -v3
	v_add_f32_e32 v1, v1, v176
	v_fma_f32 v4, v152, v24, -v4
	v_add_f32_e32 v2, v2, v3
	s_delay_alu instid0(VALU_DEP_1) | instskip(NEXT) | instid1(VALU_DEP_4)
	v_dual_mul_f32 v3, v155, v27 :: v_dual_add_f32 v2, v2, v5
	v_add_f32_e32 v1, v1, v177
	s_delay_alu instid0(VALU_DEP_2) | instskip(NEXT) | instid1(VALU_DEP_2)
	v_fma_f32 v3, v154, v26, -v3
	v_dual_add_f32 v2, v2, v4 :: v_dual_add_f32 v1, v1, v178
	v_mul_f32_e32 v4, v159, v119
	s_delay_alu instid0(VALU_DEP_2) | instskip(SKIP_1) | instid1(VALU_DEP_3)
	v_dual_fmac_f32 v181, v151, v20 :: v_dual_add_f32 v2, v2, v3
	v_mul_f32_e32 v3, v161, v121
	v_fma_f32 v4, v158, v118, -v4
	v_mul_f32_e32 v5, v157, v117
	s_delay_alu instid0(VALU_DEP_3) | instskip(NEXT) | instid1(VALU_DEP_2)
	v_fma_f32 v3, v160, v120, -v3
	v_fma_f32 v5, v156, v116, -v5
	s_delay_alu instid0(VALU_DEP_1) | instskip(NEXT) | instid1(VALU_DEP_1)
	v_dual_add_f32 v1, v1, v179 :: v_dual_add_f32 v2, v2, v5
	v_dual_mul_f32 v5, v163, v123 :: v_dual_add_f32 v2, v2, v4
	s_delay_alu instid0(VALU_DEP_2) | instskip(SKIP_1) | instid1(VALU_DEP_3)
	v_add_f32_e32 v1, v1, v180
	v_mul_f32_e32 v4, v165, v125
	v_fma_f32 v5, v162, v122, -v5
	s_delay_alu instid0(VALU_DEP_4) | instskip(SKIP_1) | instid1(VALU_DEP_4)
	v_dual_add_f32 v2, v2, v3 :: v_dual_fmac_f32 v187, v163, v122
	v_mul_f32_e32 v3, v167, v127
	v_fma_f32 v4, v164, v124, -v4
	s_delay_alu instid0(VALU_DEP_3) | instskip(SKIP_1) | instid1(VALU_DEP_4)
	v_add_f32_e32 v2, v2, v5
	v_add_f32_e32 v1, v1, v181
	v_fma_f32 v3, v166, v126, -v3
	s_delay_alu instid0(VALU_DEP_2) | instskip(SKIP_1) | instid1(VALU_DEP_2)
	v_dual_add_f32 v2, v2, v4 :: v_dual_add_f32 v1, v1, v182
	v_dual_mul_f32 v4, v171, v131 :: v_dual_mul_f32 v5, v169, v129
	v_add_f32_e32 v2, v2, v3
	s_delay_alu instid0(VALU_DEP_2) | instskip(NEXT) | instid1(VALU_DEP_3)
	v_fma_f32 v3, v170, v130, -v4
	v_fma_f32 v5, v168, v128, -v5
	s_delay_alu instid0(VALU_DEP_1) | instskip(NEXT) | instid1(VALU_DEP_1)
	v_dual_add_f32 v1, v1, v183 :: v_dual_add_f32 v2, v2, v5
	v_dual_add_f32 v1, v1, v184 :: v_dual_add_f32 v2, v2, v3
	s_delay_alu instid0(VALU_DEP_1) | instskip(NEXT) | instid1(VALU_DEP_1)
	v_add_f32_e32 v1, v1, v185
	v_add_f32_e32 v1, v1, v186
	s_delay_alu instid0(VALU_DEP_1) | instskip(NEXT) | instid1(VALU_DEP_1)
	v_add_f32_e32 v1, v1, v187
	v_add_f32_e32 v1, v1, v188
	;; [unrolled: 3-line block ×3, first 2 shown]
	s_delay_alu instid0(VALU_DEP_1) | instskip(SKIP_1) | instid1(VALU_DEP_1)
	v_add_f32_e32 v3, v1, v191
	s_wait_loadcnt 0x0
	v_dual_sub_f32 v1, v172, v2 :: v_dual_sub_f32 v2, v173, v3
	scratch_store_b64 off, v[1:2], off offset:184
	v_cmpx_lt_u32_e32 22, v0
	s_cbranch_execz .LBB43_233
; %bb.232:
	scratch_load_b64 v[1:2], off, off offset:176
	v_mov_b32_e32 v3, 0
	s_delay_alu instid0(VALU_DEP_1)
	v_mov_b32_e32 v4, v3
	scratch_store_b64 off, v[3:4], off offset:176
	s_wait_loadcnt 0x0
	ds_store_b64 v23, v[1:2]
.LBB43_233:
	s_wait_alu 0xfffe
	s_or_b32 exec_lo, exec_lo, s0
	s_wait_storecnt_dscnt 0x0
	s_barrier_signal -1
	s_barrier_wait -1
	global_inv scope:SCOPE_SE
	s_clause 0xb
	scratch_load_b128 v[2:5], off, off offset:184
	scratch_load_b128 v[6:9], off, off offset:200
	;; [unrolled: 1-line block ×10, first 2 shown]
	scratch_load_b64 v[172:173], off, off offset:344
	scratch_load_b64 v[174:175], off, off offset:176
	v_mov_b32_e32 v1, 0
	ds_load_2addr_b64 v[132:135], v1 offset0:67 offset1:68
	ds_load_2addr_b64 v[136:139], v1 offset0:69 offset1:70
	;; [unrolled: 1-line block ×10, first 2 shown]
	ds_load_b64 v[176:177], v1 offset:696
	s_mov_b32 s0, exec_lo
	s_wait_loadcnt_dscnt 0xb0a
	v_mul_f32_e32 v22, v132, v3
	v_dual_mul_f32 v3, v133, v3 :: v_dual_mul_f32 v178, v134, v5
	s_wait_loadcnt_dscnt 0x706
	v_dual_mul_f32 v179, v136, v7 :: v_dual_mul_f32 v186, v150, v21
	v_mul_f32_e32 v5, v135, v5
	s_delay_alu instid0(VALU_DEP_3)
	v_fma_f32 v3, v132, v2, -v3
	v_dual_mul_f32 v180, v138, v9 :: v_dual_mul_f32 v181, v140, v11
	s_wait_loadcnt_dscnt 0x100
	v_dual_fmac_f32 v22, v133, v2 :: v_dual_mul_f32 v197, v176, v173
	v_mul_f32_e32 v2, v137, v7
	v_dual_fmac_f32 v178, v135, v4 :: v_dual_add_f32 v3, 0, v3
	v_fma_f32 v4, v134, v4, -v5
	s_delay_alu instid0(VALU_DEP_4) | instskip(SKIP_2) | instid1(VALU_DEP_4)
	v_dual_add_f32 v5, 0, v22 :: v_dual_fmac_f32 v180, v139, v8
	v_mul_f32_e32 v7, v139, v9
	v_fma_f32 v2, v136, v6, -v2
	v_add_f32_e32 v3, v3, v4
	v_fmac_f32_e32 v179, v137, v6
	v_add_f32_e32 v4, v5, v178
	v_mul_f32_e32 v5, v141, v11
	v_fma_f32 v6, v138, v8, -v7
	v_add_f32_e32 v2, v3, v2
	v_dual_mul_f32 v182, v142, v13 :: v_dual_mul_f32 v183, v144, v15
	v_dual_add_f32 v3, v4, v179 :: v_dual_mul_f32 v4, v143, v13
	v_fma_f32 v5, v140, v10, -v5
	s_delay_alu instid0(VALU_DEP_4)
	v_add_f32_e32 v2, v2, v6
	v_fmac_f32_e32 v181, v141, v10
	v_mul_f32_e32 v6, v145, v15
	v_fmac_f32_e32 v182, v143, v12
	v_add_f32_e32 v3, v3, v180
	v_fma_f32 v4, v142, v12, -v4
	v_add_f32_e32 v2, v2, v5
	v_dual_mul_f32 v184, v146, v17 :: v_dual_mul_f32 v185, v148, v19
	s_delay_alu instid0(VALU_DEP_4)
	v_add_f32_e32 v3, v3, v181
	v_mul_f32_e32 v5, v147, v17
	v_fma_f32 v6, v144, v14, -v6
	v_dual_add_f32 v2, v2, v4 :: v_dual_fmac_f32 v183, v145, v14
	v_fmac_f32_e32 v184, v147, v16
	v_mul_f32_e32 v4, v149, v19
	v_fma_f32 v5, v146, v16, -v5
	s_delay_alu instid0(VALU_DEP_4) | instskip(SKIP_3) | instid1(VALU_DEP_3)
	v_add_f32_e32 v2, v2, v6
	v_add_f32_e32 v3, v3, v182
	v_dual_mul_f32 v6, v151, v21 :: v_dual_fmac_f32 v185, v149, v18
	v_fma_f32 v4, v148, v18, -v4
	v_dual_add_f32 v2, v2, v5 :: v_dual_add_f32 v3, v3, v183
	s_delay_alu instid0(VALU_DEP_3) | instskip(SKIP_1) | instid1(VALU_DEP_3)
	v_fma_f32 v6, v150, v20, -v6
	v_dual_mul_f32 v187, v152, v25 :: v_dual_mul_f32 v188, v154, v27
	v_add_f32_e32 v2, v2, v4
	s_delay_alu instid0(VALU_DEP_4) | instskip(SKIP_1) | instid1(VALU_DEP_4)
	v_add_f32_e32 v3, v3, v184
	v_dual_mul_f32 v5, v153, v25 :: v_dual_fmac_f32 v186, v151, v20
	v_dual_mul_f32 v4, v155, v27 :: v_dual_fmac_f32 v187, v153, v24
	s_delay_alu instid0(VALU_DEP_3) | instskip(NEXT) | instid1(VALU_DEP_3)
	v_dual_add_f32 v2, v2, v6 :: v_dual_add_f32 v3, v3, v185
	v_fma_f32 v5, v152, v24, -v5
	v_dual_mul_f32 v189, v156, v117 :: v_dual_mul_f32 v190, v158, v119
	s_delay_alu instid0(VALU_DEP_3) | instskip(NEXT) | instid1(VALU_DEP_2)
	v_dual_mul_f32 v6, v157, v117 :: v_dual_add_f32 v3, v3, v186
	v_dual_fmac_f32 v188, v155, v26 :: v_dual_fmac_f32 v189, v157, v116
	v_fma_f32 v4, v154, v26, -v4
	s_delay_alu instid0(VALU_DEP_3) | instskip(SKIP_3) | instid1(VALU_DEP_4)
	v_dual_add_f32 v2, v2, v5 :: v_dual_add_f32 v3, v3, v187
	v_mul_f32_e32 v5, v159, v119
	v_fma_f32 v6, v156, v116, -v6
	v_dual_mul_f32 v191, v160, v121 :: v_dual_mul_f32 v192, v162, v123
	v_add_f32_e32 v2, v2, v4
	v_dual_add_f32 v3, v3, v188 :: v_dual_mul_f32 v4, v161, v121
	s_delay_alu instid0(VALU_DEP_3) | instskip(SKIP_1) | instid1(VALU_DEP_3)
	v_dual_fmac_f32 v190, v159, v118 :: v_dual_fmac_f32 v191, v161, v120
	v_fma_f32 v5, v158, v118, -v5
	v_dual_add_f32 v2, v2, v6 :: v_dual_add_f32 v3, v3, v189
	v_mul_f32_e32 v6, v163, v123
	v_fma_f32 v4, v160, v120, -v4
	v_dual_mul_f32 v193, v164, v125 :: v_dual_mul_f32 v194, v166, v127
	s_delay_alu instid0(VALU_DEP_4) | instskip(SKIP_1) | instid1(VALU_DEP_3)
	v_dual_add_f32 v2, v2, v5 :: v_dual_add_f32 v3, v3, v190
	v_dual_mul_f32 v5, v165, v125 :: v_dual_fmac_f32 v192, v163, v122
	v_fmac_f32_e32 v193, v165, v124
	v_fma_f32 v6, v162, v122, -v6
	s_delay_alu instid0(VALU_DEP_4) | instskip(SKIP_2) | instid1(VALU_DEP_3)
	v_dual_add_f32 v2, v2, v4 :: v_dual_add_f32 v3, v3, v191
	v_dual_mul_f32 v195, v168, v129 :: v_dual_mul_f32 v196, v170, v131
	v_mul_f32_e32 v4, v167, v127
	v_dual_add_f32 v2, v2, v6 :: v_dual_add_f32 v3, v3, v192
	v_fma_f32 v5, v164, v124, -v5
	v_dual_fmac_f32 v194, v167, v126 :: v_dual_fmac_f32 v197, v177, v172
	v_fmac_f32_e32 v195, v169, v128
	v_fma_f32 v4, v166, v126, -v4
	v_add_f32_e32 v3, v3, v193
	v_mul_f32_e32 v6, v169, v129
	v_dual_add_f32 v2, v2, v5 :: v_dual_mul_f32 v5, v171, v131
	v_fmac_f32_e32 v196, v171, v130
	s_delay_alu instid0(VALU_DEP_4) | instskip(NEXT) | instid1(VALU_DEP_4)
	v_add_f32_e32 v3, v3, v194
	v_fma_f32 v6, v168, v128, -v6
	s_delay_alu instid0(VALU_DEP_4) | instskip(SKIP_2) | instid1(VALU_DEP_3)
	v_add_f32_e32 v2, v2, v4
	v_mul_f32_e32 v4, v177, v173
	v_fma_f32 v5, v170, v130, -v5
	v_dual_add_f32 v3, v3, v195 :: v_dual_add_f32 v2, v2, v6
	s_delay_alu instid0(VALU_DEP_3) | instskip(NEXT) | instid1(VALU_DEP_2)
	v_fma_f32 v4, v176, v172, -v4
	v_add_f32_e32 v3, v3, v196
	s_delay_alu instid0(VALU_DEP_1) | instskip(SKIP_1) | instid1(VALU_DEP_1)
	v_add_f32_e32 v3, v3, v197
	s_wait_loadcnt 0x0
	v_dual_add_f32 v2, v2, v5 :: v_dual_sub_f32 v3, v175, v3
	s_delay_alu instid0(VALU_DEP_1) | instskip(NEXT) | instid1(VALU_DEP_1)
	v_add_f32_e32 v2, v2, v4
	v_sub_f32_e32 v2, v174, v2
	scratch_store_b64 off, v[2:3], off offset:176
	v_cmpx_lt_u32_e32 21, v0
	s_cbranch_execz .LBB43_235
; %bb.234:
	scratch_load_b64 v[3:4], off, off offset:168
	v_mov_b32_e32 v2, v1
	scratch_store_b64 off, v[1:2], off offset:168
	s_wait_loadcnt 0x0
	ds_store_b64 v23, v[3:4]
.LBB43_235:
	s_wait_alu 0xfffe
	s_or_b32 exec_lo, exec_lo, s0
	s_wait_storecnt_dscnt 0x0
	s_barrier_signal -1
	s_barrier_wait -1
	global_inv scope:SCOPE_SE
	s_clause 0xb
	scratch_load_b128 v[2:5], off, off offset:176
	scratch_load_b128 v[6:9], off, off offset:192
	;; [unrolled: 1-line block ×11, first 2 shown]
	scratch_load_b64 v[180:181], off, off offset:168
	ds_load_b128 v[136:139], v1 offset:528
	ds_load_b128 v[140:143], v1 offset:544
	;; [unrolled: 1-line block ×11, first 2 shown]
	s_mov_b32 s0, exec_lo
	s_wait_loadcnt_dscnt 0xb0a
	v_dual_mul_f32 v1, v136, v3 :: v_dual_mul_f32 v22, v138, v5
	s_wait_loadcnt_dscnt 0xa09
	v_dual_mul_f32 v5, v139, v5 :: v_dual_mul_f32 v182, v140, v7
	v_mul_f32_e32 v183, v142, v9
	v_mul_f32_e32 v3, v137, v3
	v_dual_fmac_f32 v1, v137, v2 :: v_dual_fmac_f32 v22, v139, v4
	s_wait_loadcnt_dscnt 0x908
	v_dual_mul_f32 v184, v144, v11 :: v_dual_mul_f32 v185, v146, v13
	s_wait_loadcnt_dscnt 0x201
	v_mul_f32_e32 v198, v172, v129
	v_fma_f32 v3, v136, v2, -v3
	s_wait_loadcnt_dscnt 0x100
	v_mul_f32_e32 v201, v178, v135
	v_mul_f32_e32 v2, v141, v7
	v_fma_f32 v4, v138, v4, -v5
	v_dual_mul_f32 v186, v148, v15 :: v_dual_mul_f32 v187, v150, v17
	v_dual_add_f32 v3, 0, v3 :: v_dual_fmac_f32 v182, v141, v6
	v_dual_mul_f32 v5, v143, v9 :: v_dual_fmac_f32 v184, v145, v10
	v_fma_f32 v2, v140, v6, -v2
	s_delay_alu instid0(VALU_DEP_3) | instskip(NEXT) | instid1(VALU_DEP_3)
	v_dual_add_f32 v3, v3, v4 :: v_dual_fmac_f32 v186, v149, v14
	v_fma_f32 v5, v142, v8, -v5
	v_dual_mul_f32 v188, v152, v19 :: v_dual_mul_f32 v189, v154, v21
	s_delay_alu instid0(VALU_DEP_3) | instskip(SKIP_3) | instid1(VALU_DEP_4)
	v_add_f32_e32 v2, v3, v2
	v_mul_f32_e32 v3, v147, v13
	v_dual_mul_f32 v190, v156, v25 :: v_dual_mul_f32 v191, v158, v27
	v_mul_f32_e32 v4, v145, v11
	v_add_f32_e32 v2, v2, v5
	v_dual_add_f32 v1, 0, v1 :: v_dual_fmac_f32 v188, v153, v18
	v_fma_f32 v3, v146, v12, -v3
	s_delay_alu instid0(VALU_DEP_4) | instskip(SKIP_1) | instid1(VALU_DEP_4)
	v_fma_f32 v4, v144, v10, -v4
	v_fmac_f32_e32 v187, v151, v16
	v_dual_add_f32 v1, v1, v22 :: v_dual_mul_f32 v192, v160, v117
	v_mul_f32_e32 v193, v162, v119
	s_delay_alu instid0(VALU_DEP_4) | instskip(NEXT) | instid1(VALU_DEP_3)
	v_add_f32_e32 v2, v2, v4
	v_dual_mul_f32 v4, v151, v17 :: v_dual_add_f32 v1, v1, v182
	v_dual_fmac_f32 v183, v143, v8 :: v_dual_mul_f32 v196, v168, v125
	v_mul_f32_e32 v197, v170, v127
	s_delay_alu instid0(VALU_DEP_3) | instskip(SKIP_4) | instid1(VALU_DEP_4)
	v_fma_f32 v4, v150, v16, -v4
	v_mul_f32_e32 v5, v149, v15
	v_add_f32_e32 v2, v2, v3
	v_dual_add_f32 v1, v1, v183 :: v_dual_mul_f32 v194, v164, v121
	v_mul_f32_e32 v195, v166, v123
	v_fma_f32 v5, v148, v14, -v5
	v_fmac_f32_e32 v185, v147, v12
	v_dual_fmac_f32 v190, v157, v24 :: v_dual_fmac_f32 v193, v163, v118
	v_dual_fmac_f32 v191, v159, v26 :: v_dual_fmac_f32 v194, v165, v120
	s_delay_alu instid0(VALU_DEP_4) | instskip(SKIP_2) | instid1(VALU_DEP_3)
	v_add_f32_e32 v2, v2, v5
	v_mul_f32_e32 v5, v155, v21
	v_dual_mul_f32 v199, v174, v131 :: v_dual_mul_f32 v200, v176, v133
	v_dual_fmac_f32 v197, v171, v126 :: v_dual_add_f32 v2, v2, v4
	s_delay_alu instid0(VALU_DEP_3) | instskip(SKIP_4) | instid1(VALU_DEP_4)
	v_fma_f32 v5, v154, v20, -v5
	v_mul_f32_e32 v3, v153, v19
	v_mul_f32_e32 v4, v157, v25
	v_dual_fmac_f32 v200, v177, v132 :: v_dual_fmac_f32 v199, v175, v130
	v_fmac_f32_e32 v192, v161, v116
	v_fma_f32 v3, v152, v18, -v3
	v_add_f32_e32 v1, v1, v184
	v_fma_f32 v4, v156, v24, -v4
	v_dual_fmac_f32 v201, v179, v134 :: v_dual_fmac_f32 v196, v169, v124
	s_delay_alu instid0(VALU_DEP_4) | instskip(SKIP_1) | instid1(VALU_DEP_2)
	v_add_f32_e32 v2, v2, v3
	v_dual_mul_f32 v3, v159, v27 :: v_dual_fmac_f32 v198, v173, v128
	v_add_f32_e32 v2, v2, v5
	v_add_f32_e32 v1, v1, v185
	s_delay_alu instid0(VALU_DEP_3) | instskip(NEXT) | instid1(VALU_DEP_2)
	v_fma_f32 v3, v158, v26, -v3
	v_dual_add_f32 v2, v2, v4 :: v_dual_add_f32 v1, v1, v186
	v_mul_f32_e32 v4, v163, v119
	s_delay_alu instid0(VALU_DEP_2) | instskip(SKIP_1) | instid1(VALU_DEP_3)
	v_dual_fmac_f32 v189, v155, v20 :: v_dual_add_f32 v2, v2, v3
	v_mul_f32_e32 v3, v165, v121
	v_fma_f32 v4, v162, v118, -v4
	v_mul_f32_e32 v5, v161, v117
	s_delay_alu instid0(VALU_DEP_3) | instskip(NEXT) | instid1(VALU_DEP_2)
	v_fma_f32 v3, v164, v120, -v3
	v_fma_f32 v5, v160, v116, -v5
	s_delay_alu instid0(VALU_DEP_1) | instskip(NEXT) | instid1(VALU_DEP_1)
	v_dual_add_f32 v1, v1, v187 :: v_dual_add_f32 v2, v2, v5
	v_dual_mul_f32 v5, v167, v123 :: v_dual_add_f32 v2, v2, v4
	s_delay_alu instid0(VALU_DEP_2) | instskip(SKIP_1) | instid1(VALU_DEP_3)
	v_add_f32_e32 v1, v1, v188
	v_mul_f32_e32 v4, v169, v125
	v_fma_f32 v5, v166, v122, -v5
	s_delay_alu instid0(VALU_DEP_4) | instskip(SKIP_1) | instid1(VALU_DEP_4)
	v_dual_add_f32 v2, v2, v3 :: v_dual_fmac_f32 v195, v167, v122
	v_mul_f32_e32 v3, v171, v127
	v_fma_f32 v4, v168, v124, -v4
	s_delay_alu instid0(VALU_DEP_3) | instskip(SKIP_1) | instid1(VALU_DEP_4)
	v_add_f32_e32 v2, v2, v5
	v_add_f32_e32 v1, v1, v189
	v_fma_f32 v3, v170, v126, -v3
	s_delay_alu instid0(VALU_DEP_3) | instskip(NEXT) | instid1(VALU_DEP_3)
	v_dual_add_f32 v2, v2, v4 :: v_dual_mul_f32 v5, v173, v129
	v_dual_add_f32 v1, v1, v190 :: v_dual_mul_f32 v4, v175, v131
	s_delay_alu instid0(VALU_DEP_2) | instskip(NEXT) | instid1(VALU_DEP_3)
	v_add_f32_e32 v2, v2, v3
	v_fma_f32 v5, v172, v128, -v5
	s_delay_alu instid0(VALU_DEP_3) | instskip(SKIP_2) | instid1(VALU_DEP_4)
	v_add_f32_e32 v1, v1, v191
	v_mul_f32_e32 v3, v177, v133
	v_fma_f32 v4, v174, v130, -v4
	v_dual_add_f32 v2, v2, v5 :: v_dual_mul_f32 v5, v179, v135
	s_delay_alu instid0(VALU_DEP_3) | instskip(NEXT) | instid1(VALU_DEP_2)
	v_fma_f32 v3, v176, v132, -v3
	v_add_f32_e32 v2, v2, v4
	v_add_f32_e32 v1, v1, v192
	s_delay_alu instid0(VALU_DEP_4) | instskip(NEXT) | instid1(VALU_DEP_2)
	v_fma_f32 v4, v178, v134, -v5
	v_dual_add_f32 v2, v2, v3 :: v_dual_add_f32 v1, v1, v193
	s_delay_alu instid0(VALU_DEP_1) | instskip(NEXT) | instid1(VALU_DEP_1)
	v_dual_add_f32 v2, v2, v4 :: v_dual_add_f32 v1, v1, v194
	v_add_f32_e32 v1, v1, v195
	s_delay_alu instid0(VALU_DEP_1) | instskip(NEXT) | instid1(VALU_DEP_1)
	v_add_f32_e32 v1, v1, v196
	v_add_f32_e32 v1, v1, v197
	s_delay_alu instid0(VALU_DEP_1) | instskip(NEXT) | instid1(VALU_DEP_1)
	v_add_f32_e32 v1, v1, v198
	;; [unrolled: 3-line block ×3, first 2 shown]
	v_add_f32_e32 v3, v1, v201
	s_wait_loadcnt 0x0
	s_delay_alu instid0(VALU_DEP_1)
	v_dual_sub_f32 v1, v180, v2 :: v_dual_sub_f32 v2, v181, v3
	scratch_store_b64 off, v[1:2], off offset:168
	v_cmpx_lt_u32_e32 20, v0
	s_cbranch_execz .LBB43_237
; %bb.236:
	scratch_load_b64 v[1:2], off, off offset:160
	v_mov_b32_e32 v3, 0
	s_delay_alu instid0(VALU_DEP_1)
	v_mov_b32_e32 v4, v3
	scratch_store_b64 off, v[3:4], off offset:160
	s_wait_loadcnt 0x0
	ds_store_b64 v23, v[1:2]
.LBB43_237:
	s_wait_alu 0xfffe
	s_or_b32 exec_lo, exec_lo, s0
	s_wait_storecnt_dscnt 0x0
	s_barrier_signal -1
	s_barrier_wait -1
	global_inv scope:SCOPE_SE
	s_clause 0xc
	scratch_load_b128 v[2:5], off, off offset:168
	scratch_load_b128 v[6:9], off, off offset:184
	scratch_load_b128 v[10:13], off, off offset:200
	scratch_load_b128 v[14:17], off, off offset:216
	scratch_load_b128 v[18:21], off, off offset:232
	scratch_load_b128 v[24:27], off, off offset:248
	scratch_load_b128 v[116:119], off, off offset:264
	scratch_load_b128 v[120:123], off, off offset:280
	scratch_load_b128 v[124:127], off, off offset:296
	scratch_load_b128 v[128:131], off, off offset:312
	scratch_load_b128 v[132:135], off, off offset:328
	scratch_load_b64 v[180:181], off, off offset:344
	scratch_load_b64 v[182:183], off, off offset:160
	v_mov_b32_e32 v1, 0
	ds_load_2addr_b64 v[136:139], v1 offset0:65 offset1:66
	ds_load_2addr_b64 v[140:143], v1 offset0:67 offset1:68
	;; [unrolled: 1-line block ×11, first 2 shown]
	ds_load_b64 v[184:185], v1 offset:696
	s_mov_b32 s0, exec_lo
	s_wait_loadcnt_dscnt 0xc0b
	v_mul_f32_e32 v22, v136, v3
	v_dual_mul_f32 v3, v137, v3 :: v_dual_mul_f32 v186, v138, v5
	s_wait_loadcnt_dscnt 0x807
	v_dual_mul_f32 v187, v140, v7 :: v_dual_mul_f32 v194, v154, v21
	v_mul_f32_e32 v5, v139, v5
	s_delay_alu instid0(VALU_DEP_3)
	v_fma_f32 v3, v136, v2, -v3
	v_dual_mul_f32 v188, v142, v9 :: v_dual_mul_f32 v189, v144, v11
	v_fmac_f32_e32 v22, v137, v2
	s_wait_loadcnt_dscnt 0x100
	v_dual_mul_f32 v2, v141, v7 :: v_dual_mul_f32 v207, v184, v181
	v_dual_fmac_f32 v186, v139, v4 :: v_dual_add_f32 v3, 0, v3
	v_fma_f32 v4, v138, v4, -v5
	v_dual_add_f32 v5, 0, v22 :: v_dual_fmac_f32 v188, v143, v8
	v_mul_f32_e32 v7, v143, v9
	v_fma_f32 v2, v140, v6, -v2
	s_delay_alu instid0(VALU_DEP_4)
	v_add_f32_e32 v3, v3, v4
	v_fmac_f32_e32 v187, v141, v6
	v_add_f32_e32 v4, v5, v186
	v_mul_f32_e32 v5, v145, v11
	v_fma_f32 v6, v142, v8, -v7
	v_add_f32_e32 v2, v3, v2
	v_dual_mul_f32 v190, v146, v13 :: v_dual_mul_f32 v191, v148, v15
	v_dual_add_f32 v3, v4, v187 :: v_dual_mul_f32 v4, v147, v13
	v_fma_f32 v5, v144, v10, -v5
	s_delay_alu instid0(VALU_DEP_4)
	v_add_f32_e32 v2, v2, v6
	v_fmac_f32_e32 v189, v145, v10
	v_mul_f32_e32 v6, v149, v15
	v_fmac_f32_e32 v190, v147, v12
	v_add_f32_e32 v3, v3, v188
	v_fma_f32 v4, v146, v12, -v4
	v_add_f32_e32 v2, v2, v5
	v_dual_mul_f32 v192, v150, v17 :: v_dual_mul_f32 v193, v152, v19
	s_delay_alu instid0(VALU_DEP_4)
	v_add_f32_e32 v3, v3, v189
	v_mul_f32_e32 v5, v151, v17
	v_fma_f32 v6, v148, v14, -v6
	v_dual_add_f32 v2, v2, v4 :: v_dual_fmac_f32 v191, v149, v14
	v_fmac_f32_e32 v192, v151, v16
	v_mul_f32_e32 v4, v153, v19
	v_fma_f32 v5, v150, v16, -v5
	s_delay_alu instid0(VALU_DEP_4) | instskip(SKIP_3) | instid1(VALU_DEP_3)
	v_add_f32_e32 v2, v2, v6
	v_add_f32_e32 v3, v3, v190
	v_dual_mul_f32 v6, v155, v21 :: v_dual_fmac_f32 v193, v153, v18
	v_fma_f32 v4, v152, v18, -v4
	v_dual_add_f32 v2, v2, v5 :: v_dual_add_f32 v3, v3, v191
	s_delay_alu instid0(VALU_DEP_3) | instskip(SKIP_1) | instid1(VALU_DEP_3)
	v_fma_f32 v6, v154, v20, -v6
	v_dual_mul_f32 v195, v156, v25 :: v_dual_mul_f32 v196, v158, v27
	v_add_f32_e32 v2, v2, v4
	s_delay_alu instid0(VALU_DEP_4) | instskip(SKIP_1) | instid1(VALU_DEP_4)
	v_add_f32_e32 v3, v3, v192
	v_dual_mul_f32 v5, v157, v25 :: v_dual_fmac_f32 v194, v155, v20
	v_dual_mul_f32 v4, v159, v27 :: v_dual_fmac_f32 v195, v157, v24
	s_delay_alu instid0(VALU_DEP_3) | instskip(NEXT) | instid1(VALU_DEP_3)
	v_dual_add_f32 v2, v2, v6 :: v_dual_add_f32 v3, v3, v193
	v_fma_f32 v5, v156, v24, -v5
	v_dual_mul_f32 v197, v160, v117 :: v_dual_mul_f32 v198, v162, v119
	s_delay_alu instid0(VALU_DEP_3) | instskip(NEXT) | instid1(VALU_DEP_2)
	v_dual_mul_f32 v6, v161, v117 :: v_dual_add_f32 v3, v3, v194
	v_dual_fmac_f32 v196, v159, v26 :: v_dual_fmac_f32 v197, v161, v116
	v_fma_f32 v4, v158, v26, -v4
	s_delay_alu instid0(VALU_DEP_3) | instskip(SKIP_3) | instid1(VALU_DEP_4)
	v_dual_add_f32 v2, v2, v5 :: v_dual_add_f32 v3, v3, v195
	v_mul_f32_e32 v5, v163, v119
	v_fma_f32 v6, v160, v116, -v6
	v_dual_mul_f32 v199, v164, v121 :: v_dual_mul_f32 v200, v166, v123
	v_add_f32_e32 v2, v2, v4
	v_dual_add_f32 v3, v3, v196 :: v_dual_mul_f32 v4, v165, v121
	s_delay_alu instid0(VALU_DEP_3) | instskip(SKIP_1) | instid1(VALU_DEP_3)
	v_dual_fmac_f32 v198, v163, v118 :: v_dual_fmac_f32 v199, v165, v120
	v_fma_f32 v5, v162, v118, -v5
	v_dual_add_f32 v2, v2, v6 :: v_dual_add_f32 v3, v3, v197
	v_mul_f32_e32 v6, v167, v123
	v_fma_f32 v4, v164, v120, -v4
	v_dual_mul_f32 v201, v168, v125 :: v_dual_mul_f32 v202, v170, v127
	s_delay_alu instid0(VALU_DEP_4) | instskip(SKIP_1) | instid1(VALU_DEP_3)
	v_dual_add_f32 v2, v2, v5 :: v_dual_add_f32 v3, v3, v198
	v_dual_mul_f32 v5, v169, v125 :: v_dual_fmac_f32 v200, v167, v122
	v_fmac_f32_e32 v201, v169, v124
	v_fma_f32 v6, v166, v122, -v6
	s_delay_alu instid0(VALU_DEP_4) | instskip(SKIP_2) | instid1(VALU_DEP_2)
	v_dual_add_f32 v2, v2, v4 :: v_dual_add_f32 v3, v3, v199
	v_dual_mul_f32 v203, v172, v129 :: v_dual_mul_f32 v204, v174, v131
	v_dual_mul_f32 v205, v176, v133 :: v_dual_mul_f32 v206, v178, v135
	v_dual_mul_f32 v4, v171, v127 :: v_dual_fmac_f32 v203, v173, v128
	v_fma_f32 v5, v168, v124, -v5
	v_dual_add_f32 v2, v2, v6 :: v_dual_add_f32 v3, v3, v200
	v_mul_f32_e32 v6, v173, v129
	v_dual_fmac_f32 v202, v171, v126 :: v_dual_fmac_f32 v205, v177, v132
	v_fma_f32 v4, v170, v126, -v4
	s_delay_alu instid0(VALU_DEP_4) | instskip(SKIP_3) | instid1(VALU_DEP_3)
	v_add_f32_e32 v3, v3, v201
	v_dual_add_f32 v2, v2, v5 :: v_dual_mul_f32 v5, v175, v131
	v_fma_f32 v6, v172, v128, -v6
	v_fmac_f32_e32 v204, v175, v130
	v_dual_add_f32 v3, v3, v202 :: v_dual_add_f32 v2, v2, v4
	v_mul_f32_e32 v4, v177, v133
	v_fma_f32 v5, v174, v130, -v5
	v_fmac_f32_e32 v206, v179, v134
	s_delay_alu instid0(VALU_DEP_4) | instskip(SKIP_2) | instid1(VALU_DEP_3)
	v_dual_add_f32 v3, v3, v203 :: v_dual_add_f32 v2, v2, v6
	v_dual_mul_f32 v6, v179, v135 :: v_dual_fmac_f32 v207, v185, v180
	v_fma_f32 v4, v176, v132, -v4
	v_add_f32_e32 v2, v2, v5
	v_mul_f32_e32 v5, v185, v181
	v_add_f32_e32 v3, v3, v204
	v_fma_f32 v6, v178, v134, -v6
	s_delay_alu instid0(VALU_DEP_2) | instskip(NEXT) | instid1(VALU_DEP_1)
	v_add_f32_e32 v3, v3, v205
	v_dual_add_f32 v3, v3, v206 :: v_dual_add_f32 v2, v2, v4
	v_fma_f32 v4, v184, v180, -v5
	s_delay_alu instid0(VALU_DEP_2) | instskip(SKIP_1) | instid1(VALU_DEP_1)
	v_dual_add_f32 v3, v3, v207 :: v_dual_add_f32 v2, v2, v6
	s_wait_loadcnt 0x0
	v_dual_sub_f32 v3, v183, v3 :: v_dual_add_f32 v2, v2, v4
	s_delay_alu instid0(VALU_DEP_1)
	v_sub_f32_e32 v2, v182, v2
	scratch_store_b64 off, v[2:3], off offset:160
	v_cmpx_lt_u32_e32 19, v0
	s_cbranch_execz .LBB43_239
; %bb.238:
	scratch_load_b64 v[3:4], off, off offset:152
	v_mov_b32_e32 v2, v1
	scratch_store_b64 off, v[1:2], off offset:152
	s_wait_loadcnt 0x0
	ds_store_b64 v23, v[3:4]
.LBB43_239:
	s_wait_alu 0xfffe
	s_or_b32 exec_lo, exec_lo, s0
	s_wait_storecnt_dscnt 0x0
	s_barrier_signal -1
	s_barrier_wait -1
	global_inv scope:SCOPE_SE
	s_clause 0xc
	scratch_load_b128 v[2:5], off, off offset:160
	scratch_load_b128 v[6:9], off, off offset:176
	;; [unrolled: 1-line block ×12, first 2 shown]
	scratch_load_b64 v[188:189], off, off offset:152
	ds_load_b128 v[140:143], v1 offset:512
	ds_load_b128 v[144:147], v1 offset:528
	;; [unrolled: 1-line block ×12, first 2 shown]
	s_mov_b32 s0, exec_lo
	s_wait_loadcnt_dscnt 0xc0b
	v_dual_mul_f32 v1, v140, v3 :: v_dual_mul_f32 v22, v142, v5
	s_wait_loadcnt_dscnt 0xb0a
	v_dual_mul_f32 v5, v143, v5 :: v_dual_mul_f32 v190, v144, v7
	v_mul_f32_e32 v191, v146, v9
	s_delay_alu instid0(VALU_DEP_3)
	v_fmac_f32_e32 v1, v141, v2
	v_dual_mul_f32 v3, v141, v3 :: v_dual_fmac_f32 v22, v143, v4
	s_wait_loadcnt_dscnt 0xa09
	v_dual_mul_f32 v192, v148, v11 :: v_dual_mul_f32 v193, v150, v13
	s_wait_loadcnt_dscnt 0x201
	v_mul_f32_e32 v208, v180, v133
	v_fma_f32 v3, v140, v2, -v3
	s_wait_loadcnt_dscnt 0x100
	v_mul_f32_e32 v211, v186, v139
	v_mul_f32_e32 v2, v145, v7
	v_fma_f32 v4, v142, v4, -v5
	v_dual_mul_f32 v194, v152, v15 :: v_dual_mul_f32 v195, v154, v17
	v_dual_add_f32 v3, 0, v3 :: v_dual_fmac_f32 v190, v145, v6
	v_dual_mul_f32 v5, v147, v9 :: v_dual_fmac_f32 v192, v149, v10
	v_fma_f32 v2, v144, v6, -v2
	s_delay_alu instid0(VALU_DEP_3) | instskip(NEXT) | instid1(VALU_DEP_3)
	v_dual_add_f32 v3, v3, v4 :: v_dual_fmac_f32 v194, v153, v14
	v_fma_f32 v5, v146, v8, -v5
	v_dual_mul_f32 v196, v156, v19 :: v_dual_mul_f32 v197, v158, v21
	s_delay_alu instid0(VALU_DEP_3) | instskip(SKIP_3) | instid1(VALU_DEP_4)
	v_add_f32_e32 v2, v3, v2
	v_mul_f32_e32 v3, v151, v13
	v_dual_mul_f32 v198, v160, v25 :: v_dual_mul_f32 v199, v162, v27
	v_mul_f32_e32 v4, v149, v11
	v_add_f32_e32 v2, v2, v5
	v_dual_add_f32 v1, 0, v1 :: v_dual_fmac_f32 v196, v157, v18
	v_fma_f32 v3, v150, v12, -v3
	s_delay_alu instid0(VALU_DEP_4) | instskip(SKIP_1) | instid1(VALU_DEP_4)
	v_fma_f32 v4, v148, v10, -v4
	v_fmac_f32_e32 v195, v155, v16
	v_dual_add_f32 v1, v1, v22 :: v_dual_mul_f32 v200, v164, v117
	v_mul_f32_e32 v201, v166, v119
	s_delay_alu instid0(VALU_DEP_4) | instskip(NEXT) | instid1(VALU_DEP_3)
	v_add_f32_e32 v2, v2, v4
	v_dual_mul_f32 v4, v155, v17 :: v_dual_add_f32 v1, v1, v190
	v_dual_fmac_f32 v191, v147, v8 :: v_dual_mul_f32 v204, v172, v125
	v_mul_f32_e32 v205, v174, v127
	s_delay_alu instid0(VALU_DEP_3) | instskip(SKIP_4) | instid1(VALU_DEP_4)
	v_fma_f32 v4, v154, v16, -v4
	v_mul_f32_e32 v5, v153, v15
	v_add_f32_e32 v2, v2, v3
	v_dual_add_f32 v1, v1, v191 :: v_dual_mul_f32 v202, v168, v121
	v_mul_f32_e32 v203, v170, v123
	v_fma_f32 v5, v152, v14, -v5
	v_fmac_f32_e32 v193, v151, v12
	v_dual_fmac_f32 v201, v167, v118 :: v_dual_fmac_f32 v198, v161, v24
	v_dual_mul_f32 v206, v176, v129 :: v_dual_mul_f32 v207, v178, v131
	s_delay_alu instid0(VALU_DEP_4) | instskip(SKIP_3) | instid1(VALU_DEP_3)
	v_add_f32_e32 v2, v2, v5
	v_mul_f32_e32 v5, v159, v21
	v_dual_fmac_f32 v199, v163, v26 :: v_dual_fmac_f32 v202, v169, v120
	v_dual_mul_f32 v209, v182, v135 :: v_dual_mul_f32 v210, v184, v137
	v_fma_f32 v5, v158, v20, -v5
	v_dual_mul_f32 v3, v157, v19 :: v_dual_add_f32 v2, v2, v4
	v_dual_mul_f32 v4, v161, v25 :: v_dual_fmac_f32 v207, v179, v130
	v_dual_fmac_f32 v205, v175, v126 :: v_dual_fmac_f32 v208, v181, v132
	s_delay_alu instid0(VALU_DEP_3) | instskip(SKIP_1) | instid1(VALU_DEP_4)
	v_fma_f32 v3, v156, v18, -v3
	v_add_f32_e32 v1, v1, v192
	v_fma_f32 v4, v160, v24, -v4
	v_dual_fmac_f32 v200, v165, v116 :: v_dual_fmac_f32 v211, v187, v138
	s_delay_alu instid0(VALU_DEP_4) | instskip(SKIP_3) | instid1(VALU_DEP_4)
	v_add_f32_e32 v2, v2, v3
	v_dual_mul_f32 v3, v163, v27 :: v_dual_fmac_f32 v204, v173, v124
	v_fmac_f32_e32 v206, v177, v128
	v_fmac_f32_e32 v210, v185, v136
	v_add_f32_e32 v2, v2, v5
	v_add_f32_e32 v1, v1, v193
	v_fma_f32 v3, v162, v26, -v3
	s_delay_alu instid0(VALU_DEP_2) | instskip(SKIP_1) | instid1(VALU_DEP_2)
	v_dual_add_f32 v2, v2, v4 :: v_dual_add_f32 v1, v1, v194
	v_mul_f32_e32 v4, v167, v119
	v_dual_fmac_f32 v197, v159, v20 :: v_dual_add_f32 v2, v2, v3
	v_mul_f32_e32 v3, v169, v121
	s_delay_alu instid0(VALU_DEP_3) | instskip(SKIP_1) | instid1(VALU_DEP_3)
	v_fma_f32 v4, v166, v118, -v4
	v_mul_f32_e32 v5, v165, v117
	v_fma_f32 v3, v168, v120, -v3
	s_delay_alu instid0(VALU_DEP_2) | instskip(NEXT) | instid1(VALU_DEP_1)
	v_fma_f32 v5, v164, v116, -v5
	v_dual_add_f32 v1, v1, v195 :: v_dual_add_f32 v2, v2, v5
	s_delay_alu instid0(VALU_DEP_1) | instskip(NEXT) | instid1(VALU_DEP_2)
	v_dual_mul_f32 v5, v171, v123 :: v_dual_add_f32 v2, v2, v4
	v_add_f32_e32 v1, v1, v196
	v_mul_f32_e32 v4, v173, v125
	s_delay_alu instid0(VALU_DEP_3) | instskip(NEXT) | instid1(VALU_DEP_4)
	v_fma_f32 v5, v170, v122, -v5
	v_dual_add_f32 v2, v2, v3 :: v_dual_fmac_f32 v203, v171, v122
	v_mul_f32_e32 v3, v175, v127
	s_delay_alu instid0(VALU_DEP_4) | instskip(NEXT) | instid1(VALU_DEP_3)
	v_fma_f32 v4, v172, v124, -v4
	v_add_f32_e32 v2, v2, v5
	v_add_f32_e32 v1, v1, v197
	s_delay_alu instid0(VALU_DEP_4) | instskip(NEXT) | instid1(VALU_DEP_3)
	v_fma_f32 v3, v174, v126, -v3
	v_dual_add_f32 v2, v2, v4 :: v_dual_mul_f32 v5, v177, v129
	s_delay_alu instid0(VALU_DEP_3) | instskip(NEXT) | instid1(VALU_DEP_2)
	v_dual_add_f32 v1, v1, v198 :: v_dual_mul_f32 v4, v179, v131
	v_add_f32_e32 v2, v2, v3
	s_delay_alu instid0(VALU_DEP_3) | instskip(NEXT) | instid1(VALU_DEP_3)
	v_fma_f32 v5, v176, v128, -v5
	v_add_f32_e32 v1, v1, v199
	v_mul_f32_e32 v3, v181, v133
	v_fma_f32 v4, v178, v130, -v4
	s_delay_alu instid0(VALU_DEP_4) | instskip(NEXT) | instid1(VALU_DEP_3)
	v_dual_add_f32 v2, v2, v5 :: v_dual_mul_f32 v5, v183, v135
	v_fma_f32 v3, v180, v132, -v3
	s_delay_alu instid0(VALU_DEP_2) | instskip(SKIP_3) | instid1(VALU_DEP_4)
	v_add_f32_e32 v2, v2, v4
	v_add_f32_e32 v1, v1, v200
	v_mul_f32_e32 v4, v185, v137
	v_fma_f32 v5, v182, v134, -v5
	v_dual_add_f32 v2, v2, v3 :: v_dual_fmac_f32 v209, v183, v134
	v_mul_f32_e32 v3, v187, v139
	s_delay_alu instid0(VALU_DEP_4) | instskip(NEXT) | instid1(VALU_DEP_3)
	v_fma_f32 v4, v184, v136, -v4
	v_add_f32_e32 v2, v2, v5
	v_add_f32_e32 v1, v1, v201
	s_delay_alu instid0(VALU_DEP_4) | instskip(NEXT) | instid1(VALU_DEP_2)
	v_fma_f32 v3, v186, v138, -v3
	v_dual_add_f32 v2, v2, v4 :: v_dual_add_f32 v1, v1, v202
	s_delay_alu instid0(VALU_DEP_1) | instskip(NEXT) | instid1(VALU_DEP_2)
	v_add_f32_e32 v2, v2, v3
	v_add_f32_e32 v1, v1, v203
	s_delay_alu instid0(VALU_DEP_1) | instskip(NEXT) | instid1(VALU_DEP_1)
	v_add_f32_e32 v1, v1, v204
	v_add_f32_e32 v1, v1, v205
	s_delay_alu instid0(VALU_DEP_1) | instskip(NEXT) | instid1(VALU_DEP_1)
	;; [unrolled: 3-line block ×4, first 2 shown]
	v_add_f32_e32 v1, v1, v210
	v_add_f32_e32 v3, v1, v211
	s_wait_loadcnt 0x0
	s_delay_alu instid0(VALU_DEP_1)
	v_dual_sub_f32 v1, v188, v2 :: v_dual_sub_f32 v2, v189, v3
	scratch_store_b64 off, v[1:2], off offset:152
	v_cmpx_lt_u32_e32 18, v0
	s_cbranch_execz .LBB43_241
; %bb.240:
	scratch_load_b64 v[1:2], off, off offset:144
	v_mov_b32_e32 v3, 0
	s_delay_alu instid0(VALU_DEP_1)
	v_mov_b32_e32 v4, v3
	scratch_store_b64 off, v[3:4], off offset:144
	s_wait_loadcnt 0x0
	ds_store_b64 v23, v[1:2]
.LBB43_241:
	s_wait_alu 0xfffe
	s_or_b32 exec_lo, exec_lo, s0
	s_wait_storecnt_dscnt 0x0
	s_barrier_signal -1
	s_barrier_wait -1
	global_inv scope:SCOPE_SE
	s_clause 0xd
	scratch_load_b128 v[2:5], off, off offset:152
	scratch_load_b128 v[6:9], off, off offset:168
	;; [unrolled: 1-line block ×12, first 2 shown]
	scratch_load_b64 v[188:189], off, off offset:344
	scratch_load_b64 v[190:191], off, off offset:144
	v_mov_b32_e32 v1, 0
	ds_load_2addr_b64 v[140:143], v1 offset0:63 offset1:64
	ds_load_2addr_b64 v[144:147], v1 offset0:65 offset1:66
	;; [unrolled: 1-line block ×12, first 2 shown]
	ds_load_b64 v[192:193], v1 offset:696
	s_mov_b32 s0, exec_lo
	s_wait_loadcnt_dscnt 0xd0c
	v_mul_f32_e32 v22, v140, v3
	v_dual_mul_f32 v3, v141, v3 :: v_dual_mul_f32 v194, v142, v5
	s_wait_loadcnt_dscnt 0x908
	v_dual_mul_f32 v195, v144, v7 :: v_dual_mul_f32 v202, v158, v21
	v_mul_f32_e32 v5, v143, v5
	s_delay_alu instid0(VALU_DEP_3) | instskip(SKIP_3) | instid1(VALU_DEP_4)
	v_fma_f32 v3, v140, v2, -v3
	v_dual_mul_f32 v196, v146, v9 :: v_dual_mul_f32 v197, v148, v11
	v_fmac_f32_e32 v22, v141, v2
	v_mul_f32_e32 v2, v145, v7
	v_dual_fmac_f32 v194, v143, v4 :: v_dual_add_f32 v3, 0, v3
	s_wait_loadcnt_dscnt 0x100
	v_mul_f32_e32 v217, v192, v189
	v_fma_f32 v4, v142, v4, -v5
	v_dual_add_f32 v5, 0, v22 :: v_dual_fmac_f32 v196, v147, v8
	v_mul_f32_e32 v7, v147, v9
	v_fma_f32 v2, v144, v6, -v2
	s_delay_alu instid0(VALU_DEP_4)
	v_add_f32_e32 v3, v3, v4
	v_fmac_f32_e32 v195, v145, v6
	v_add_f32_e32 v4, v5, v194
	v_mul_f32_e32 v5, v149, v11
	v_fma_f32 v6, v146, v8, -v7
	v_add_f32_e32 v2, v3, v2
	v_dual_mul_f32 v198, v150, v13 :: v_dual_mul_f32 v199, v152, v15
	v_dual_add_f32 v3, v4, v195 :: v_dual_mul_f32 v4, v151, v13
	v_fma_f32 v5, v148, v10, -v5
	s_delay_alu instid0(VALU_DEP_4)
	v_add_f32_e32 v2, v2, v6
	v_fmac_f32_e32 v197, v149, v10
	v_mul_f32_e32 v6, v153, v15
	v_fmac_f32_e32 v198, v151, v12
	v_add_f32_e32 v3, v3, v196
	v_fma_f32 v4, v150, v12, -v4
	v_add_f32_e32 v2, v2, v5
	v_dual_mul_f32 v200, v154, v17 :: v_dual_mul_f32 v201, v156, v19
	s_delay_alu instid0(VALU_DEP_4)
	v_add_f32_e32 v3, v3, v197
	v_mul_f32_e32 v5, v155, v17
	v_fma_f32 v6, v152, v14, -v6
	v_dual_add_f32 v2, v2, v4 :: v_dual_fmac_f32 v199, v153, v14
	v_fmac_f32_e32 v200, v155, v16
	v_mul_f32_e32 v4, v157, v19
	v_fma_f32 v5, v154, v16, -v5
	s_delay_alu instid0(VALU_DEP_4) | instskip(SKIP_3) | instid1(VALU_DEP_3)
	v_add_f32_e32 v2, v2, v6
	v_add_f32_e32 v3, v3, v198
	v_dual_mul_f32 v6, v159, v21 :: v_dual_fmac_f32 v201, v157, v18
	v_fma_f32 v4, v156, v18, -v4
	v_dual_add_f32 v2, v2, v5 :: v_dual_add_f32 v3, v3, v199
	s_delay_alu instid0(VALU_DEP_3) | instskip(SKIP_1) | instid1(VALU_DEP_3)
	v_fma_f32 v6, v158, v20, -v6
	v_dual_mul_f32 v203, v160, v25 :: v_dual_mul_f32 v204, v162, v27
	v_add_f32_e32 v2, v2, v4
	s_delay_alu instid0(VALU_DEP_4) | instskip(SKIP_1) | instid1(VALU_DEP_4)
	v_add_f32_e32 v3, v3, v200
	v_dual_mul_f32 v5, v161, v25 :: v_dual_fmac_f32 v202, v159, v20
	v_dual_mul_f32 v4, v163, v27 :: v_dual_fmac_f32 v203, v161, v24
	s_delay_alu instid0(VALU_DEP_3) | instskip(NEXT) | instid1(VALU_DEP_3)
	v_dual_add_f32 v2, v2, v6 :: v_dual_add_f32 v3, v3, v201
	v_fma_f32 v5, v160, v24, -v5
	v_dual_mul_f32 v205, v164, v117 :: v_dual_mul_f32 v206, v166, v119
	s_delay_alu instid0(VALU_DEP_3) | instskip(NEXT) | instid1(VALU_DEP_2)
	v_dual_mul_f32 v6, v165, v117 :: v_dual_add_f32 v3, v3, v202
	v_dual_fmac_f32 v204, v163, v26 :: v_dual_fmac_f32 v205, v165, v116
	v_fma_f32 v4, v162, v26, -v4
	s_delay_alu instid0(VALU_DEP_3) | instskip(SKIP_3) | instid1(VALU_DEP_4)
	v_dual_add_f32 v2, v2, v5 :: v_dual_add_f32 v3, v3, v203
	v_mul_f32_e32 v5, v167, v119
	v_fma_f32 v6, v164, v116, -v6
	v_dual_mul_f32 v207, v168, v121 :: v_dual_mul_f32 v208, v170, v123
	v_add_f32_e32 v2, v2, v4
	v_dual_add_f32 v3, v3, v204 :: v_dual_mul_f32 v4, v169, v121
	s_delay_alu instid0(VALU_DEP_3) | instskip(SKIP_1) | instid1(VALU_DEP_3)
	v_dual_fmac_f32 v206, v167, v118 :: v_dual_fmac_f32 v207, v169, v120
	v_fma_f32 v5, v166, v118, -v5
	v_dual_add_f32 v2, v2, v6 :: v_dual_add_f32 v3, v3, v205
	v_mul_f32_e32 v6, v171, v123
	v_fma_f32 v4, v168, v120, -v4
	v_dual_mul_f32 v209, v172, v125 :: v_dual_mul_f32 v210, v174, v127
	s_delay_alu instid0(VALU_DEP_4) | instskip(SKIP_1) | instid1(VALU_DEP_3)
	v_dual_add_f32 v2, v2, v5 :: v_dual_add_f32 v3, v3, v206
	v_dual_mul_f32 v5, v173, v125 :: v_dual_fmac_f32 v208, v171, v122
	v_fmac_f32_e32 v209, v173, v124
	v_fma_f32 v6, v170, v122, -v6
	s_delay_alu instid0(VALU_DEP_4) | instskip(SKIP_2) | instid1(VALU_DEP_2)
	v_dual_add_f32 v2, v2, v4 :: v_dual_add_f32 v3, v3, v207
	v_dual_mul_f32 v211, v176, v129 :: v_dual_mul_f32 v212, v178, v131
	v_dual_mul_f32 v213, v180, v133 :: v_dual_mul_f32 v214, v182, v135
	v_dual_mul_f32 v4, v175, v127 :: v_dual_fmac_f32 v211, v177, v128
	v_fma_f32 v5, v172, v124, -v5
	v_dual_add_f32 v2, v2, v6 :: v_dual_add_f32 v3, v3, v208
	v_mul_f32_e32 v6, v177, v129
	v_dual_fmac_f32 v210, v175, v126 :: v_dual_fmac_f32 v213, v181, v132
	v_fma_f32 v4, v174, v126, -v4
	s_delay_alu instid0(VALU_DEP_4) | instskip(SKIP_3) | instid1(VALU_DEP_3)
	v_add_f32_e32 v3, v3, v209
	v_dual_add_f32 v2, v2, v5 :: v_dual_mul_f32 v5, v179, v131
	v_fma_f32 v6, v176, v128, -v6
	v_fmac_f32_e32 v212, v179, v130
	v_dual_add_f32 v3, v3, v210 :: v_dual_add_f32 v2, v2, v4
	v_mul_f32_e32 v4, v181, v133
	v_fma_f32 v5, v178, v130, -v5
	v_dual_mul_f32 v215, v184, v137 :: v_dual_mul_f32 v216, v186, v139
	s_delay_alu instid0(VALU_DEP_4) | instskip(NEXT) | instid1(VALU_DEP_2)
	v_dual_add_f32 v3, v3, v211 :: v_dual_add_f32 v2, v2, v6
	v_dual_mul_f32 v6, v183, v135 :: v_dual_fmac_f32 v215, v185, v136
	v_dual_fmac_f32 v214, v183, v134 :: v_dual_fmac_f32 v217, v193, v188
	s_delay_alu instid0(VALU_DEP_3)
	v_add_f32_e32 v2, v2, v5
	v_mul_f32_e32 v5, v185, v137
	v_add_f32_e32 v3, v3, v212
	v_fma_f32 v6, v182, v134, -v6
	v_fma_f32 v4, v180, v132, -v4
	v_fmac_f32_e32 v216, v187, v138
	v_fma_f32 v5, v184, v136, -v5
	v_add_f32_e32 v3, v3, v213
	s_delay_alu instid0(VALU_DEP_1) | instskip(SKIP_1) | instid1(VALU_DEP_2)
	v_dual_add_f32 v3, v3, v214 :: v_dual_add_f32 v2, v2, v4
	v_mul_f32_e32 v4, v187, v139
	v_dual_add_f32 v3, v3, v215 :: v_dual_add_f32 v2, v2, v6
	v_mul_f32_e32 v6, v193, v189
	s_delay_alu instid0(VALU_DEP_3) | instskip(NEXT) | instid1(VALU_DEP_3)
	v_fma_f32 v4, v186, v138, -v4
	v_add_f32_e32 v3, v3, v216
	s_delay_alu instid0(VALU_DEP_1) | instskip(SKIP_3) | instid1(VALU_DEP_2)
	v_add_f32_e32 v3, v3, v217
	v_add_f32_e32 v2, v2, v5
	v_fma_f32 v5, v192, v188, -v6
	s_wait_loadcnt 0x0
	v_dual_sub_f32 v3, v191, v3 :: v_dual_add_f32 v2, v2, v4
	s_delay_alu instid0(VALU_DEP_1) | instskip(NEXT) | instid1(VALU_DEP_1)
	v_add_f32_e32 v2, v2, v5
	v_sub_f32_e32 v2, v190, v2
	scratch_store_b64 off, v[2:3], off offset:144
	v_cmpx_lt_u32_e32 17, v0
	s_cbranch_execz .LBB43_243
; %bb.242:
	scratch_load_b64 v[3:4], off, off offset:136
	v_mov_b32_e32 v2, v1
	scratch_store_b64 off, v[1:2], off offset:136
	s_wait_loadcnt 0x0
	ds_store_b64 v23, v[3:4]
.LBB43_243:
	s_wait_alu 0xfffe
	s_or_b32 exec_lo, exec_lo, s0
	s_wait_storecnt_dscnt 0x0
	s_barrier_signal -1
	s_barrier_wait -1
	global_inv scope:SCOPE_SE
	s_clause 0xd
	scratch_load_b128 v[2:5], off, off offset:144
	scratch_load_b128 v[6:9], off, off offset:160
	scratch_load_b128 v[10:13], off, off offset:176
	scratch_load_b128 v[14:17], off, off offset:192
	scratch_load_b128 v[18:21], off, off offset:208
	scratch_load_b128 v[24:27], off, off offset:224
	scratch_load_b128 v[116:119], off, off offset:240
	scratch_load_b128 v[120:123], off, off offset:256
	scratch_load_b128 v[124:127], off, off offset:272
	scratch_load_b128 v[128:131], off, off offset:288
	scratch_load_b128 v[132:135], off, off offset:304
	scratch_load_b128 v[136:139], off, off offset:320
	scratch_load_b128 v[140:143], off, off offset:336
	scratch_load_b64 v[196:197], off, off offset:136
	ds_load_b128 v[144:147], v1 offset:496
	ds_load_b128 v[148:151], v1 offset:512
	;; [unrolled: 1-line block ×13, first 2 shown]
	s_mov_b32 s0, exec_lo
	s_wait_loadcnt_dscnt 0xd0c
	v_dual_mul_f32 v1, v144, v3 :: v_dual_mul_f32 v22, v146, v5
	s_wait_loadcnt_dscnt 0xc0b
	v_dual_mul_f32 v5, v147, v5 :: v_dual_mul_f32 v198, v148, v7
	v_mul_f32_e32 v199, v150, v9
	s_wait_loadcnt_dscnt 0xb0a
	v_dual_fmac_f32 v1, v145, v2 :: v_dual_mul_f32 v200, v152, v11
	v_mul_f32_e32 v201, v154, v13
	v_dual_mul_f32 v3, v145, v3 :: v_dual_fmac_f32 v22, v147, v4
	s_wait_loadcnt_dscnt 0xa09
	v_dual_mul_f32 v202, v156, v15 :: v_dual_mul_f32 v203, v158, v17
	s_wait_loadcnt_dscnt 0x201
	v_mul_f32_e32 v218, v188, v137
	v_fma_f32 v3, v144, v2, -v3
	s_wait_loadcnt_dscnt 0x100
	v_mul_f32_e32 v221, v194, v143
	v_mul_f32_e32 v2, v149, v7
	v_fma_f32 v4, v146, v4, -v5
	v_dual_mul_f32 v5, v151, v9 :: v_dual_fmac_f32 v200, v153, v10
	v_dual_add_f32 v3, 0, v3 :: v_dual_fmac_f32 v198, v149, v6
	s_delay_alu instid0(VALU_DEP_4) | instskip(NEXT) | instid1(VALU_DEP_3)
	v_fma_f32 v2, v148, v6, -v2
	v_fma_f32 v5, v150, v8, -v5
	s_delay_alu instid0(VALU_DEP_3) | instskip(SKIP_2) | instid1(VALU_DEP_3)
	v_dual_fmac_f32 v202, v157, v14 :: v_dual_add_f32 v3, v3, v4
	v_dual_mul_f32 v204, v160, v19 :: v_dual_mul_f32 v205, v162, v21
	v_dual_mul_f32 v206, v164, v25 :: v_dual_mul_f32 v207, v166, v27
	v_add_f32_e32 v2, v3, v2
	s_delay_alu instid0(VALU_DEP_3) | instskip(SKIP_1) | instid1(VALU_DEP_3)
	v_dual_mul_f32 v3, v155, v13 :: v_dual_fmac_f32 v204, v161, v18
	v_dual_mul_f32 v4, v153, v11 :: v_dual_fmac_f32 v203, v159, v16
	v_add_f32_e32 v2, v2, v5
	v_add_f32_e32 v1, 0, v1
	s_delay_alu instid0(VALU_DEP_4) | instskip(NEXT) | instid1(VALU_DEP_4)
	v_fma_f32 v3, v154, v12, -v3
	v_fma_f32 v4, v152, v10, -v4
	v_dual_mul_f32 v208, v168, v117 :: v_dual_mul_f32 v209, v170, v119
	s_delay_alu instid0(VALU_DEP_4) | instskip(SKIP_1) | instid1(VALU_DEP_4)
	v_dual_add_f32 v1, v1, v22 :: v_dual_mul_f32 v212, v176, v125
	v_mul_f32_e32 v213, v178, v127
	v_add_f32_e32 v2, v2, v4
	s_delay_alu instid0(VALU_DEP_3) | instskip(SKIP_2) | instid1(VALU_DEP_3)
	v_dual_mul_f32 v4, v159, v17 :: v_dual_add_f32 v1, v1, v198
	v_dual_fmac_f32 v199, v151, v8 :: v_dual_mul_f32 v210, v172, v121
	v_mul_f32_e32 v211, v174, v123
	v_fma_f32 v4, v158, v16, -v4
	v_mul_f32_e32 v5, v157, v15
	v_add_f32_e32 v2, v2, v3
	v_add_f32_e32 v1, v1, v199
	v_dual_fmac_f32 v209, v171, v118 :: v_dual_mul_f32 v214, v180, v129
	v_mul_f32_e32 v215, v182, v131
	v_fma_f32 v5, v156, v14, -v5
	v_fmac_f32_e32 v201, v155, v12
	v_dual_fmac_f32 v206, v165, v24 :: v_dual_fmac_f32 v207, v167, v26
	v_fmac_f32_e32 v210, v173, v120
	s_delay_alu instid0(VALU_DEP_4) | instskip(SKIP_2) | instid1(VALU_DEP_3)
	v_add_f32_e32 v2, v2, v5
	v_mul_f32_e32 v5, v163, v21
	v_dual_mul_f32 v216, v184, v133 :: v_dual_mul_f32 v217, v186, v135
	v_dual_fmac_f32 v215, v183, v130 :: v_dual_add_f32 v2, v2, v4
	s_delay_alu instid0(VALU_DEP_3) | instskip(SKIP_4) | instid1(VALU_DEP_4)
	v_fma_f32 v5, v162, v20, -v5
	v_mul_f32_e32 v3, v161, v19
	v_dual_mul_f32 v4, v165, v25 :: v_dual_mul_f32 v219, v190, v139
	v_mul_f32_e32 v220, v192, v141
	v_fmac_f32_e32 v208, v169, v116
	v_fma_f32 v3, v160, v18, -v3
	v_add_f32_e32 v1, v1, v200
	v_fma_f32 v4, v164, v24, -v4
	v_dual_fmac_f32 v213, v179, v126 :: v_dual_fmac_f32 v216, v185, v132
	s_delay_alu instid0(VALU_DEP_4) | instskip(SKIP_3) | instid1(VALU_DEP_4)
	v_add_f32_e32 v2, v2, v3
	v_mul_f32_e32 v3, v167, v27
	v_fmac_f32_e32 v219, v191, v138
	v_dual_fmac_f32 v221, v195, v142 :: v_dual_fmac_f32 v212, v177, v124
	v_add_f32_e32 v2, v2, v5
	v_add_f32_e32 v1, v1, v201
	v_fma_f32 v3, v166, v26, -v3
	v_fmac_f32_e32 v214, v181, v128
	v_fmac_f32_e32 v218, v189, v136
	s_delay_alu instid0(VALU_DEP_4) | instskip(SKIP_3) | instid1(VALU_DEP_4)
	v_dual_add_f32 v2, v2, v4 :: v_dual_add_f32 v1, v1, v202
	v_mul_f32_e32 v4, v171, v119
	v_fmac_f32_e32 v205, v163, v20
	v_fmac_f32_e32 v220, v193, v140
	v_dual_add_f32 v2, v2, v3 :: v_dual_mul_f32 v3, v173, v121
	s_delay_alu instid0(VALU_DEP_4) | instskip(SKIP_1) | instid1(VALU_DEP_3)
	v_fma_f32 v4, v170, v118, -v4
	v_mul_f32_e32 v5, v169, v117
	v_fma_f32 v3, v172, v120, -v3
	s_delay_alu instid0(VALU_DEP_2) | instskip(NEXT) | instid1(VALU_DEP_1)
	v_fma_f32 v5, v168, v116, -v5
	v_dual_add_f32 v1, v1, v203 :: v_dual_add_f32 v2, v2, v5
	s_delay_alu instid0(VALU_DEP_1) | instskip(NEXT) | instid1(VALU_DEP_2)
	v_dual_mul_f32 v5, v175, v123 :: v_dual_add_f32 v2, v2, v4
	v_add_f32_e32 v1, v1, v204
	v_mul_f32_e32 v4, v177, v125
	s_delay_alu instid0(VALU_DEP_3) | instskip(NEXT) | instid1(VALU_DEP_4)
	v_fma_f32 v5, v174, v122, -v5
	v_dual_add_f32 v2, v2, v3 :: v_dual_fmac_f32 v211, v175, v122
	v_mul_f32_e32 v3, v179, v127
	s_delay_alu instid0(VALU_DEP_4) | instskip(NEXT) | instid1(VALU_DEP_3)
	v_fma_f32 v4, v176, v124, -v4
	v_add_f32_e32 v2, v2, v5
	v_add_f32_e32 v1, v1, v205
	s_delay_alu instid0(VALU_DEP_4) | instskip(NEXT) | instid1(VALU_DEP_3)
	v_fma_f32 v3, v178, v126, -v3
	v_dual_add_f32 v2, v2, v4 :: v_dual_mul_f32 v5, v181, v129
	s_delay_alu instid0(VALU_DEP_3) | instskip(NEXT) | instid1(VALU_DEP_2)
	v_dual_add_f32 v1, v1, v206 :: v_dual_mul_f32 v4, v183, v131
	v_add_f32_e32 v2, v2, v3
	s_delay_alu instid0(VALU_DEP_3) | instskip(NEXT) | instid1(VALU_DEP_3)
	v_fma_f32 v5, v180, v128, -v5
	v_add_f32_e32 v1, v1, v207
	v_mul_f32_e32 v3, v185, v133
	v_fma_f32 v4, v182, v130, -v4
	s_delay_alu instid0(VALU_DEP_4) | instskip(NEXT) | instid1(VALU_DEP_3)
	v_dual_add_f32 v2, v2, v5 :: v_dual_mul_f32 v5, v187, v135
	v_fma_f32 v3, v184, v132, -v3
	s_delay_alu instid0(VALU_DEP_2) | instskip(SKIP_3) | instid1(VALU_DEP_4)
	v_add_f32_e32 v2, v2, v4
	v_add_f32_e32 v1, v1, v208
	v_mul_f32_e32 v4, v189, v137
	v_fma_f32 v5, v186, v134, -v5
	v_dual_add_f32 v2, v2, v3 :: v_dual_fmac_f32 v217, v187, v134
	v_mul_f32_e32 v3, v191, v139
	s_delay_alu instid0(VALU_DEP_4) | instskip(NEXT) | instid1(VALU_DEP_3)
	v_fma_f32 v4, v188, v136, -v4
	v_add_f32_e32 v2, v2, v5
	v_add_f32_e32 v1, v1, v209
	s_delay_alu instid0(VALU_DEP_4) | instskip(NEXT) | instid1(VALU_DEP_2)
	v_fma_f32 v3, v190, v138, -v3
	v_dual_add_f32 v2, v2, v4 :: v_dual_add_f32 v1, v1, v210
	v_dual_mul_f32 v4, v195, v143 :: v_dual_mul_f32 v5, v193, v141
	s_delay_alu instid0(VALU_DEP_2) | instskip(NEXT) | instid1(VALU_DEP_2)
	v_add_f32_e32 v2, v2, v3
	v_fma_f32 v3, v194, v142, -v4
	s_delay_alu instid0(VALU_DEP_3) | instskip(NEXT) | instid1(VALU_DEP_1)
	v_fma_f32 v5, v192, v140, -v5
	v_dual_add_f32 v1, v1, v211 :: v_dual_add_f32 v2, v2, v5
	s_delay_alu instid0(VALU_DEP_1) | instskip(NEXT) | instid1(VALU_DEP_1)
	v_dual_add_f32 v1, v1, v212 :: v_dual_add_f32 v2, v2, v3
	v_add_f32_e32 v1, v1, v213
	s_delay_alu instid0(VALU_DEP_1) | instskip(NEXT) | instid1(VALU_DEP_1)
	v_add_f32_e32 v1, v1, v214
	v_add_f32_e32 v1, v1, v215
	s_delay_alu instid0(VALU_DEP_1) | instskip(NEXT) | instid1(VALU_DEP_1)
	v_add_f32_e32 v1, v1, v216
	;; [unrolled: 3-line block ×4, first 2 shown]
	v_add_f32_e32 v3, v1, v221
	s_wait_loadcnt 0x0
	s_delay_alu instid0(VALU_DEP_1)
	v_dual_sub_f32 v1, v196, v2 :: v_dual_sub_f32 v2, v197, v3
	scratch_store_b64 off, v[1:2], off offset:136
	v_cmpx_lt_u32_e32 16, v0
	s_cbranch_execz .LBB43_245
; %bb.244:
	scratch_load_b64 v[1:2], off, off offset:128
	v_mov_b32_e32 v3, 0
	s_delay_alu instid0(VALU_DEP_1)
	v_mov_b32_e32 v4, v3
	scratch_store_b64 off, v[3:4], off offset:128
	s_wait_loadcnt 0x0
	ds_store_b64 v23, v[1:2]
.LBB43_245:
	s_wait_alu 0xfffe
	s_or_b32 exec_lo, exec_lo, s0
	s_wait_storecnt_dscnt 0x0
	s_barrier_signal -1
	s_barrier_wait -1
	global_inv scope:SCOPE_SE
	s_clause 0xe
	scratch_load_b128 v[2:5], off, off offset:136
	scratch_load_b128 v[6:9], off, off offset:152
	scratch_load_b128 v[10:13], off, off offset:168
	scratch_load_b128 v[14:17], off, off offset:184
	scratch_load_b128 v[18:21], off, off offset:200
	scratch_load_b128 v[24:27], off, off offset:216
	scratch_load_b128 v[116:119], off, off offset:232
	scratch_load_b128 v[120:123], off, off offset:248
	scratch_load_b128 v[124:127], off, off offset:264
	scratch_load_b128 v[128:131], off, off offset:280
	scratch_load_b128 v[132:135], off, off offset:296
	scratch_load_b128 v[136:139], off, off offset:312
	scratch_load_b128 v[140:143], off, off offset:328
	scratch_load_b64 v[196:197], off, off offset:344
	scratch_load_b64 v[198:199], off, off offset:128
	v_mov_b32_e32 v1, 0
	ds_load_2addr_b64 v[144:147], v1 offset0:61 offset1:62
	ds_load_2addr_b64 v[148:151], v1 offset0:63 offset1:64
	;; [unrolled: 1-line block ×13, first 2 shown]
	ds_load_b64 v[200:201], v1 offset:696
	s_mov_b32 s0, exec_lo
	s_wait_loadcnt_dscnt 0xe0d
	v_mul_f32_e32 v22, v144, v3
	v_dual_mul_f32 v3, v145, v3 :: v_dual_mul_f32 v202, v146, v5
	s_wait_loadcnt_dscnt 0xa09
	v_dual_mul_f32 v203, v148, v7 :: v_dual_mul_f32 v210, v162, v21
	v_mul_f32_e32 v5, v147, v5
	s_delay_alu instid0(VALU_DEP_3) | instskip(SKIP_3) | instid1(VALU_DEP_4)
	v_fma_f32 v3, v144, v2, -v3
	v_dual_mul_f32 v204, v150, v9 :: v_dual_mul_f32 v205, v152, v11
	v_fmac_f32_e32 v22, v145, v2
	v_mul_f32_e32 v2, v149, v7
	v_dual_fmac_f32 v202, v147, v4 :: v_dual_add_f32 v3, 0, v3
	s_wait_loadcnt_dscnt 0x100
	v_mul_f32_e32 v227, v200, v197
	v_fma_f32 v4, v146, v4, -v5
	v_dual_add_f32 v5, 0, v22 :: v_dual_fmac_f32 v204, v151, v8
	v_mul_f32_e32 v7, v151, v9
	v_fma_f32 v2, v148, v6, -v2
	s_delay_alu instid0(VALU_DEP_4)
	v_add_f32_e32 v3, v3, v4
	v_fmac_f32_e32 v203, v149, v6
	v_add_f32_e32 v4, v5, v202
	v_mul_f32_e32 v5, v153, v11
	v_fma_f32 v6, v150, v8, -v7
	v_add_f32_e32 v2, v3, v2
	v_dual_mul_f32 v206, v154, v13 :: v_dual_mul_f32 v207, v156, v15
	v_dual_add_f32 v3, v4, v203 :: v_dual_mul_f32 v4, v155, v13
	v_fma_f32 v5, v152, v10, -v5
	s_delay_alu instid0(VALU_DEP_4)
	v_add_f32_e32 v2, v2, v6
	v_fmac_f32_e32 v205, v153, v10
	v_mul_f32_e32 v6, v157, v15
	v_fmac_f32_e32 v206, v155, v12
	v_add_f32_e32 v3, v3, v204
	v_fma_f32 v4, v154, v12, -v4
	v_add_f32_e32 v2, v2, v5
	v_dual_mul_f32 v208, v158, v17 :: v_dual_mul_f32 v209, v160, v19
	s_delay_alu instid0(VALU_DEP_4)
	v_add_f32_e32 v3, v3, v205
	v_mul_f32_e32 v5, v159, v17
	v_fma_f32 v6, v156, v14, -v6
	v_dual_add_f32 v2, v2, v4 :: v_dual_fmac_f32 v207, v157, v14
	v_fmac_f32_e32 v208, v159, v16
	v_mul_f32_e32 v4, v161, v19
	v_fma_f32 v5, v158, v16, -v5
	s_delay_alu instid0(VALU_DEP_4) | instskip(SKIP_3) | instid1(VALU_DEP_3)
	v_add_f32_e32 v2, v2, v6
	v_add_f32_e32 v3, v3, v206
	v_dual_mul_f32 v6, v163, v21 :: v_dual_fmac_f32 v209, v161, v18
	v_fma_f32 v4, v160, v18, -v4
	v_dual_add_f32 v2, v2, v5 :: v_dual_add_f32 v3, v3, v207
	s_delay_alu instid0(VALU_DEP_3) | instskip(SKIP_1) | instid1(VALU_DEP_3)
	v_fma_f32 v6, v162, v20, -v6
	v_dual_mul_f32 v211, v164, v25 :: v_dual_mul_f32 v212, v166, v27
	v_add_f32_e32 v2, v2, v4
	s_delay_alu instid0(VALU_DEP_4) | instskip(SKIP_1) | instid1(VALU_DEP_4)
	v_add_f32_e32 v3, v3, v208
	v_dual_mul_f32 v5, v165, v25 :: v_dual_fmac_f32 v210, v163, v20
	v_dual_mul_f32 v4, v167, v27 :: v_dual_fmac_f32 v211, v165, v24
	s_delay_alu instid0(VALU_DEP_3) | instskip(NEXT) | instid1(VALU_DEP_3)
	v_dual_add_f32 v2, v2, v6 :: v_dual_add_f32 v3, v3, v209
	v_fma_f32 v5, v164, v24, -v5
	v_dual_mul_f32 v213, v168, v117 :: v_dual_mul_f32 v214, v170, v119
	s_delay_alu instid0(VALU_DEP_3) | instskip(NEXT) | instid1(VALU_DEP_2)
	v_dual_mul_f32 v6, v169, v117 :: v_dual_add_f32 v3, v3, v210
	v_dual_fmac_f32 v212, v167, v26 :: v_dual_fmac_f32 v213, v169, v116
	v_fma_f32 v4, v166, v26, -v4
	s_delay_alu instid0(VALU_DEP_3) | instskip(SKIP_3) | instid1(VALU_DEP_4)
	v_dual_add_f32 v2, v2, v5 :: v_dual_add_f32 v3, v3, v211
	v_mul_f32_e32 v5, v171, v119
	v_fma_f32 v6, v168, v116, -v6
	v_dual_mul_f32 v215, v172, v121 :: v_dual_mul_f32 v216, v174, v123
	v_add_f32_e32 v2, v2, v4
	v_dual_add_f32 v3, v3, v212 :: v_dual_mul_f32 v4, v173, v121
	s_delay_alu instid0(VALU_DEP_3) | instskip(SKIP_1) | instid1(VALU_DEP_3)
	v_dual_fmac_f32 v214, v171, v118 :: v_dual_fmac_f32 v215, v173, v120
	v_fma_f32 v5, v170, v118, -v5
	v_dual_add_f32 v2, v2, v6 :: v_dual_add_f32 v3, v3, v213
	v_mul_f32_e32 v6, v175, v123
	v_fma_f32 v4, v172, v120, -v4
	v_dual_mul_f32 v217, v176, v125 :: v_dual_mul_f32 v218, v178, v127
	s_delay_alu instid0(VALU_DEP_4) | instskip(SKIP_1) | instid1(VALU_DEP_3)
	v_dual_add_f32 v2, v2, v5 :: v_dual_add_f32 v3, v3, v214
	v_dual_mul_f32 v5, v177, v125 :: v_dual_fmac_f32 v216, v175, v122
	v_fmac_f32_e32 v217, v177, v124
	v_fma_f32 v6, v174, v122, -v6
	s_delay_alu instid0(VALU_DEP_4) | instskip(SKIP_2) | instid1(VALU_DEP_2)
	v_dual_add_f32 v2, v2, v4 :: v_dual_add_f32 v3, v3, v215
	v_dual_mul_f32 v219, v180, v129 :: v_dual_mul_f32 v220, v182, v131
	v_dual_mul_f32 v221, v184, v133 :: v_dual_mul_f32 v222, v186, v135
	v_dual_mul_f32 v4, v179, v127 :: v_dual_fmac_f32 v219, v181, v128
	v_fma_f32 v5, v176, v124, -v5
	v_dual_add_f32 v2, v2, v6 :: v_dual_add_f32 v3, v3, v216
	v_mul_f32_e32 v6, v181, v129
	v_dual_fmac_f32 v218, v179, v126 :: v_dual_fmac_f32 v221, v185, v132
	v_fma_f32 v4, v178, v126, -v4
	s_delay_alu instid0(VALU_DEP_4) | instskip(SKIP_3) | instid1(VALU_DEP_3)
	v_add_f32_e32 v3, v3, v217
	v_dual_add_f32 v2, v2, v5 :: v_dual_mul_f32 v5, v183, v131
	v_fma_f32 v6, v180, v128, -v6
	v_dual_mul_f32 v225, v192, v141 :: v_dual_mul_f32 v226, v194, v143
	v_dual_add_f32 v3, v3, v218 :: v_dual_add_f32 v2, v2, v4
	v_mul_f32_e32 v4, v185, v133
	v_fmac_f32_e32 v220, v183, v130
	v_fma_f32 v5, v182, v130, -v5
	s_delay_alu instid0(VALU_DEP_4) | instskip(SKIP_3) | instid1(VALU_DEP_4)
	v_dual_add_f32 v3, v3, v219 :: v_dual_add_f32 v2, v2, v6
	v_dual_mul_f32 v223, v188, v137 :: v_dual_mul_f32 v224, v190, v139
	v_mul_f32_e32 v6, v187, v135
	v_dual_fmac_f32 v222, v187, v134 :: v_dual_fmac_f32 v225, v193, v140
	v_add_f32_e32 v2, v2, v5
	v_mul_f32_e32 v5, v189, v137
	v_add_f32_e32 v3, v3, v220
	v_fma_f32 v4, v184, v132, -v4
	v_fmac_f32_e32 v223, v189, v136
	v_fma_f32 v6, v186, v134, -v6
	v_fma_f32 v5, v188, v136, -v5
	v_add_f32_e32 v3, v3, v221
	v_dual_fmac_f32 v224, v191, v138 :: v_dual_fmac_f32 v227, v201, v196
	v_fmac_f32_e32 v226, v195, v142
	s_delay_alu instid0(VALU_DEP_3) | instskip(SKIP_1) | instid1(VALU_DEP_2)
	v_dual_add_f32 v3, v3, v222 :: v_dual_add_f32 v2, v2, v4
	v_mul_f32_e32 v4, v191, v139
	v_dual_add_f32 v3, v3, v223 :: v_dual_add_f32 v2, v2, v6
	v_mul_f32_e32 v6, v193, v141
	s_delay_alu instid0(VALU_DEP_3) | instskip(NEXT) | instid1(VALU_DEP_3)
	v_fma_f32 v4, v190, v138, -v4
	v_dual_add_f32 v3, v3, v224 :: v_dual_add_f32 v2, v2, v5
	v_mul_f32_e32 v5, v195, v143
	s_delay_alu instid0(VALU_DEP_4) | instskip(NEXT) | instid1(VALU_DEP_3)
	v_fma_f32 v6, v192, v140, -v6
	v_dual_add_f32 v3, v3, v225 :: v_dual_add_f32 v2, v2, v4
	v_mul_f32_e32 v4, v201, v197
	s_delay_alu instid0(VALU_DEP_4) | instskip(NEXT) | instid1(VALU_DEP_3)
	v_fma_f32 v5, v194, v142, -v5
	v_add_f32_e32 v3, v3, v226
	s_delay_alu instid0(VALU_DEP_4) | instskip(NEXT) | instid1(VALU_DEP_4)
	v_add_f32_e32 v2, v2, v6
	v_fma_f32 v4, v200, v196, -v4
	s_delay_alu instid0(VALU_DEP_2) | instskip(SKIP_1) | instid1(VALU_DEP_1)
	v_dual_add_f32 v3, v3, v227 :: v_dual_add_f32 v2, v2, v5
	s_wait_loadcnt 0x0
	v_dual_sub_f32 v3, v199, v3 :: v_dual_add_f32 v2, v2, v4
	s_delay_alu instid0(VALU_DEP_1)
	v_sub_f32_e32 v2, v198, v2
	scratch_store_b64 off, v[2:3], off offset:128
	v_cmpx_lt_u32_e32 15, v0
	s_cbranch_execz .LBB43_247
; %bb.246:
	scratch_load_b64 v[3:4], off, off offset:120
	v_mov_b32_e32 v2, v1
	scratch_store_b64 off, v[1:2], off offset:120
	s_wait_loadcnt 0x0
	ds_store_b64 v23, v[3:4]
.LBB43_247:
	s_wait_alu 0xfffe
	s_or_b32 exec_lo, exec_lo, s0
	s_wait_storecnt_dscnt 0x0
	s_barrier_signal -1
	s_barrier_wait -1
	global_inv scope:SCOPE_SE
	s_clause 0xe
	scratch_load_b128 v[2:5], off, off offset:128
	scratch_load_b128 v[6:9], off, off offset:144
	;; [unrolled: 1-line block ×14, first 2 shown]
	scratch_load_b64 v[204:205], off, off offset:120
	ds_load_b128 v[148:151], v1 offset:480
	ds_load_b128 v[152:155], v1 offset:496
	;; [unrolled: 1-line block ×14, first 2 shown]
	s_mov_b32 s0, exec_lo
	s_wait_loadcnt_dscnt 0xe0d
	v_dual_mul_f32 v1, v148, v3 :: v_dual_mul_f32 v22, v150, v5
	s_wait_loadcnt_dscnt 0xd0c
	v_dual_mul_f32 v5, v151, v5 :: v_dual_mul_f32 v206, v152, v7
	v_mul_f32_e32 v207, v154, v9
	s_wait_loadcnt_dscnt 0xc0b
	v_dual_fmac_f32 v1, v149, v2 :: v_dual_mul_f32 v208, v156, v11
	v_mul_f32_e32 v209, v158, v13
	v_dual_mul_f32 v3, v149, v3 :: v_dual_fmac_f32 v22, v151, v4
	s_wait_loadcnt_dscnt 0xb0a
	v_dual_mul_f32 v210, v160, v15 :: v_dual_mul_f32 v211, v162, v17
	s_wait_loadcnt_dscnt 0x201
	v_mul_f32_e32 v228, v196, v141
	v_fma_f32 v3, v148, v2, -v3
	s_wait_loadcnt_dscnt 0x100
	v_mul_f32_e32 v231, v202, v147
	v_mul_f32_e32 v2, v153, v7
	v_fma_f32 v4, v150, v4, -v5
	v_dual_mul_f32 v5, v155, v9 :: v_dual_fmac_f32 v208, v157, v10
	v_dual_add_f32 v3, 0, v3 :: v_dual_fmac_f32 v206, v153, v6
	s_delay_alu instid0(VALU_DEP_4) | instskip(NEXT) | instid1(VALU_DEP_3)
	v_fma_f32 v2, v152, v6, -v2
	v_fma_f32 v5, v154, v8, -v5
	s_delay_alu instid0(VALU_DEP_3) | instskip(SKIP_2) | instid1(VALU_DEP_3)
	v_dual_fmac_f32 v210, v161, v14 :: v_dual_add_f32 v3, v3, v4
	v_dual_mul_f32 v212, v164, v19 :: v_dual_mul_f32 v213, v166, v21
	v_dual_mul_f32 v214, v168, v25 :: v_dual_mul_f32 v215, v170, v27
	v_add_f32_e32 v2, v3, v2
	s_delay_alu instid0(VALU_DEP_3) | instskip(SKIP_1) | instid1(VALU_DEP_3)
	v_dual_mul_f32 v3, v159, v13 :: v_dual_fmac_f32 v212, v165, v18
	v_dual_fmac_f32 v211, v163, v16 :: v_dual_mul_f32 v4, v157, v11
	v_add_f32_e32 v2, v2, v5
	v_add_f32_e32 v1, 0, v1
	s_delay_alu instid0(VALU_DEP_4) | instskip(SKIP_2) | instid1(VALU_DEP_4)
	v_fma_f32 v3, v158, v12, -v3
	v_dual_mul_f32 v216, v172, v117 :: v_dual_mul_f32 v217, v174, v119
	v_fma_f32 v4, v156, v10, -v4
	v_dual_add_f32 v1, v1, v22 :: v_dual_mul_f32 v220, v180, v125
	v_dual_mul_f32 v221, v182, v127 :: v_dual_mul_f32 v218, v176, v121
	v_mul_f32_e32 v219, v178, v123
	s_delay_alu instid0(VALU_DEP_3) | instskip(SKIP_2) | instid1(VALU_DEP_3)
	v_dual_add_f32 v2, v2, v4 :: v_dual_add_f32 v1, v1, v206
	v_mul_f32_e32 v4, v163, v17
	v_fmac_f32_e32 v207, v155, v8
	v_dual_fmac_f32 v217, v175, v118 :: v_dual_add_f32 v2, v2, v3
	v_dual_mul_f32 v222, v184, v129 :: v_dual_mul_f32 v223, v186, v131
	s_delay_alu instid0(VALU_DEP_4) | instskip(SKIP_4) | instid1(VALU_DEP_4)
	v_fma_f32 v4, v162, v16, -v4
	v_mul_f32_e32 v5, v161, v15
	v_add_f32_e32 v1, v1, v207
	v_dual_fmac_f32 v215, v171, v26 :: v_dual_fmac_f32 v218, v177, v120
	v_fmac_f32_e32 v214, v169, v24
	v_fma_f32 v5, v160, v14, -v5
	v_dual_fmac_f32 v209, v159, v12 :: v_dual_mul_f32 v226, v192, v137
	v_dual_mul_f32 v227, v194, v139 :: v_dual_mul_f32 v224, v188, v133
	v_mul_f32_e32 v225, v190, v135
	s_delay_alu instid0(VALU_DEP_4) | instskip(SKIP_3) | instid1(VALU_DEP_4)
	v_add_f32_e32 v2, v2, v5
	v_mul_f32_e32 v5, v167, v21
	v_fmac_f32_e32 v223, v187, v130
	v_dual_fmac_f32 v221, v183, v126 :: v_dual_fmac_f32 v224, v189, v132
	v_add_f32_e32 v2, v2, v4
	s_delay_alu instid0(VALU_DEP_4) | instskip(SKIP_4) | instid1(VALU_DEP_4)
	v_fma_f32 v5, v166, v20, -v5
	v_mul_f32_e32 v3, v165, v19
	v_mul_f32_e32 v4, v169, v25
	v_dual_fmac_f32 v216, v173, v116 :: v_dual_mul_f32 v229, v198, v143
	v_mul_f32_e32 v230, v200, v145
	v_fma_f32 v3, v164, v18, -v3
	v_add_f32_e32 v1, v1, v208
	v_fma_f32 v4, v168, v24, -v4
	s_delay_alu instid0(VALU_DEP_4) | instskip(NEXT) | instid1(VALU_DEP_4)
	v_dual_fmac_f32 v227, v195, v138 :: v_dual_fmac_f32 v230, v201, v144
	v_add_f32_e32 v2, v2, v3
	v_mul_f32_e32 v3, v171, v27
	v_fmac_f32_e32 v229, v199, v142
	v_dual_fmac_f32 v231, v203, v146 :: v_dual_fmac_f32 v220, v181, v124
	s_delay_alu instid0(VALU_DEP_4) | instskip(SKIP_4) | instid1(VALU_DEP_4)
	v_add_f32_e32 v2, v2, v5
	v_add_f32_e32 v1, v1, v209
	v_fma_f32 v3, v170, v26, -v3
	v_fmac_f32_e32 v222, v185, v128
	v_fmac_f32_e32 v226, v193, v136
	v_dual_add_f32 v2, v2, v4 :: v_dual_add_f32 v1, v1, v210
	v_mul_f32_e32 v4, v175, v119
	v_fmac_f32_e32 v213, v167, v20
	v_fmac_f32_e32 v228, v197, v140
	s_delay_alu instid0(VALU_DEP_4) | instskip(NEXT) | instid1(VALU_DEP_4)
	v_dual_add_f32 v2, v2, v3 :: v_dual_mul_f32 v3, v177, v121
	v_fma_f32 v4, v174, v118, -v4
	v_mul_f32_e32 v5, v173, v117
	s_delay_alu instid0(VALU_DEP_3) | instskip(NEXT) | instid1(VALU_DEP_2)
	v_fma_f32 v3, v176, v120, -v3
	v_fma_f32 v5, v172, v116, -v5
	s_delay_alu instid0(VALU_DEP_1) | instskip(NEXT) | instid1(VALU_DEP_1)
	v_dual_add_f32 v1, v1, v211 :: v_dual_add_f32 v2, v2, v5
	v_dual_mul_f32 v5, v179, v123 :: v_dual_add_f32 v2, v2, v4
	s_delay_alu instid0(VALU_DEP_2) | instskip(SKIP_1) | instid1(VALU_DEP_3)
	v_add_f32_e32 v1, v1, v212
	v_mul_f32_e32 v4, v181, v125
	v_fma_f32 v5, v178, v122, -v5
	s_delay_alu instid0(VALU_DEP_4) | instskip(SKIP_1) | instid1(VALU_DEP_4)
	v_dual_add_f32 v2, v2, v3 :: v_dual_fmac_f32 v219, v179, v122
	v_mul_f32_e32 v3, v183, v127
	v_fma_f32 v4, v180, v124, -v4
	s_delay_alu instid0(VALU_DEP_3) | instskip(SKIP_1) | instid1(VALU_DEP_4)
	v_add_f32_e32 v2, v2, v5
	v_add_f32_e32 v1, v1, v213
	v_fma_f32 v3, v182, v126, -v3
	s_delay_alu instid0(VALU_DEP_3) | instskip(NEXT) | instid1(VALU_DEP_3)
	v_dual_add_f32 v2, v2, v4 :: v_dual_mul_f32 v5, v185, v129
	v_dual_add_f32 v1, v1, v214 :: v_dual_mul_f32 v4, v187, v131
	s_delay_alu instid0(VALU_DEP_2) | instskip(NEXT) | instid1(VALU_DEP_3)
	v_add_f32_e32 v2, v2, v3
	v_fma_f32 v5, v184, v128, -v5
	s_delay_alu instid0(VALU_DEP_3) | instskip(SKIP_2) | instid1(VALU_DEP_4)
	v_add_f32_e32 v1, v1, v215
	v_mul_f32_e32 v3, v189, v133
	v_fma_f32 v4, v186, v130, -v4
	v_dual_add_f32 v2, v2, v5 :: v_dual_mul_f32 v5, v191, v135
	s_delay_alu instid0(VALU_DEP_3) | instskip(NEXT) | instid1(VALU_DEP_2)
	v_fma_f32 v3, v188, v132, -v3
	v_add_f32_e32 v2, v2, v4
	v_add_f32_e32 v1, v1, v216
	v_mul_f32_e32 v4, v193, v137
	v_fma_f32 v5, v190, v134, -v5
	s_delay_alu instid0(VALU_DEP_4) | instskip(SKIP_1) | instid1(VALU_DEP_4)
	v_dual_add_f32 v2, v2, v3 :: v_dual_fmac_f32 v225, v191, v134
	v_mul_f32_e32 v3, v195, v139
	v_fma_f32 v4, v192, v136, -v4
	s_delay_alu instid0(VALU_DEP_3) | instskip(SKIP_1) | instid1(VALU_DEP_4)
	v_add_f32_e32 v2, v2, v5
	v_add_f32_e32 v1, v1, v217
	v_fma_f32 v3, v194, v138, -v3
	s_delay_alu instid0(VALU_DEP_3) | instskip(NEXT) | instid1(VALU_DEP_3)
	v_dual_add_f32 v2, v2, v4 :: v_dual_mul_f32 v5, v197, v141
	v_dual_add_f32 v1, v1, v218 :: v_dual_mul_f32 v4, v199, v143
	s_delay_alu instid0(VALU_DEP_2) | instskip(NEXT) | instid1(VALU_DEP_3)
	v_add_f32_e32 v2, v2, v3
	v_fma_f32 v5, v196, v140, -v5
	s_delay_alu instid0(VALU_DEP_3) | instskip(SKIP_2) | instid1(VALU_DEP_4)
	v_add_f32_e32 v1, v1, v219
	v_mul_f32_e32 v3, v201, v145
	v_fma_f32 v4, v198, v142, -v4
	v_dual_add_f32 v2, v2, v5 :: v_dual_mul_f32 v5, v203, v147
	s_delay_alu instid0(VALU_DEP_3) | instskip(NEXT) | instid1(VALU_DEP_2)
	v_fma_f32 v3, v200, v144, -v3
	v_add_f32_e32 v2, v2, v4
	v_add_f32_e32 v1, v1, v220
	s_delay_alu instid0(VALU_DEP_4) | instskip(NEXT) | instid1(VALU_DEP_2)
	v_fma_f32 v4, v202, v146, -v5
	v_dual_add_f32 v2, v2, v3 :: v_dual_add_f32 v1, v1, v221
	s_delay_alu instid0(VALU_DEP_1) | instskip(NEXT) | instid1(VALU_DEP_1)
	v_dual_add_f32 v2, v2, v4 :: v_dual_add_f32 v1, v1, v222
	v_add_f32_e32 v1, v1, v223
	s_delay_alu instid0(VALU_DEP_1) | instskip(NEXT) | instid1(VALU_DEP_1)
	v_add_f32_e32 v1, v1, v224
	v_add_f32_e32 v1, v1, v225
	s_delay_alu instid0(VALU_DEP_1) | instskip(NEXT) | instid1(VALU_DEP_1)
	v_add_f32_e32 v1, v1, v226
	v_add_f32_e32 v1, v1, v227
	s_delay_alu instid0(VALU_DEP_1) | instskip(NEXT) | instid1(VALU_DEP_1)
	v_add_f32_e32 v1, v1, v228
	v_add_f32_e32 v1, v1, v229
	s_delay_alu instid0(VALU_DEP_1) | instskip(NEXT) | instid1(VALU_DEP_1)
	v_add_f32_e32 v1, v1, v230
	v_add_f32_e32 v3, v1, v231
	s_wait_loadcnt 0x0
	s_delay_alu instid0(VALU_DEP_1)
	v_dual_sub_f32 v1, v204, v2 :: v_dual_sub_f32 v2, v205, v3
	scratch_store_b64 off, v[1:2], off offset:120
	v_cmpx_lt_u32_e32 14, v0
	s_cbranch_execz .LBB43_249
; %bb.248:
	scratch_load_b64 v[1:2], off, off offset:112
	v_mov_b32_e32 v3, 0
	s_delay_alu instid0(VALU_DEP_1)
	v_mov_b32_e32 v4, v3
	scratch_store_b64 off, v[3:4], off offset:112
	s_wait_loadcnt 0x0
	ds_store_b64 v23, v[1:2]
.LBB43_249:
	s_wait_alu 0xfffe
	s_or_b32 exec_lo, exec_lo, s0
	s_wait_storecnt_dscnt 0x0
	s_barrier_signal -1
	s_barrier_wait -1
	global_inv scope:SCOPE_SE
	s_clause 0xf
	scratch_load_b128 v[2:5], off, off offset:120
	scratch_load_b128 v[6:9], off, off offset:136
	;; [unrolled: 1-line block ×14, first 2 shown]
	scratch_load_b64 v[204:205], off, off offset:344
	scratch_load_b64 v[206:207], off, off offset:112
	v_mov_b32_e32 v1, 0
	ds_load_2addr_b64 v[148:151], v1 offset0:59 offset1:60
	ds_load_2addr_b64 v[152:155], v1 offset0:61 offset1:62
	;; [unrolled: 1-line block ×14, first 2 shown]
	ds_load_b64 v[208:209], v1 offset:696
	s_mov_b32 s0, exec_lo
	s_wait_loadcnt_dscnt 0xf0e
	v_mul_f32_e32 v22, v148, v3
	v_dual_mul_f32 v3, v149, v3 :: v_dual_mul_f32 v210, v150, v5
	s_wait_loadcnt_dscnt 0xb0a
	v_dual_mul_f32 v211, v152, v7 :: v_dual_mul_f32 v218, v166, v21
	v_mul_f32_e32 v5, v151, v5
	s_delay_alu instid0(VALU_DEP_3)
	v_fma_f32 v3, v148, v2, -v3
	v_dual_mul_f32 v212, v154, v9 :: v_dual_mul_f32 v213, v156, v11
	v_fmac_f32_e32 v210, v151, v4
	v_fmac_f32_e32 v22, v149, v2
	v_mul_f32_e32 v2, v153, v7
	v_fma_f32 v4, v150, v4, -v5
	v_add_f32_e32 v3, 0, v3
	s_wait_loadcnt_dscnt 0x100
	v_mul_f32_e32 v237, v208, v205
	v_dual_add_f32 v5, 0, v22 :: v_dual_fmac_f32 v212, v155, v8
	v_mul_f32_e32 v7, v155, v9
	v_fma_f32 v2, v152, v6, -v2
	v_add_f32_e32 v3, v3, v4
	v_fmac_f32_e32 v211, v153, v6
	v_add_f32_e32 v4, v5, v210
	v_mul_f32_e32 v5, v157, v11
	v_fma_f32 v6, v154, v8, -v7
	v_add_f32_e32 v2, v3, v2
	v_dual_mul_f32 v214, v158, v13 :: v_dual_mul_f32 v215, v160, v15
	v_dual_add_f32 v3, v4, v211 :: v_dual_mul_f32 v4, v159, v13
	v_fma_f32 v5, v156, v10, -v5
	s_delay_alu instid0(VALU_DEP_4)
	v_add_f32_e32 v2, v2, v6
	v_fmac_f32_e32 v213, v157, v10
	v_mul_f32_e32 v6, v161, v15
	v_fmac_f32_e32 v214, v159, v12
	v_add_f32_e32 v3, v3, v212
	v_fma_f32 v4, v158, v12, -v4
	v_add_f32_e32 v2, v2, v5
	v_dual_mul_f32 v216, v162, v17 :: v_dual_mul_f32 v217, v164, v19
	s_delay_alu instid0(VALU_DEP_4)
	v_add_f32_e32 v3, v3, v213
	v_mul_f32_e32 v5, v163, v17
	v_fma_f32 v6, v160, v14, -v6
	v_dual_add_f32 v2, v2, v4 :: v_dual_fmac_f32 v215, v161, v14
	v_fmac_f32_e32 v216, v163, v16
	v_mul_f32_e32 v4, v165, v19
	v_fma_f32 v5, v162, v16, -v5
	s_delay_alu instid0(VALU_DEP_4) | instskip(SKIP_3) | instid1(VALU_DEP_3)
	v_add_f32_e32 v2, v2, v6
	v_add_f32_e32 v3, v3, v214
	v_dual_mul_f32 v6, v167, v21 :: v_dual_fmac_f32 v217, v165, v18
	v_fma_f32 v4, v164, v18, -v4
	v_dual_add_f32 v2, v2, v5 :: v_dual_add_f32 v3, v3, v215
	s_delay_alu instid0(VALU_DEP_3) | instskip(SKIP_1) | instid1(VALU_DEP_3)
	v_fma_f32 v6, v166, v20, -v6
	v_dual_mul_f32 v219, v168, v25 :: v_dual_mul_f32 v220, v170, v27
	v_add_f32_e32 v2, v2, v4
	s_delay_alu instid0(VALU_DEP_4) | instskip(SKIP_1) | instid1(VALU_DEP_4)
	v_add_f32_e32 v3, v3, v216
	v_dual_mul_f32 v5, v169, v25 :: v_dual_fmac_f32 v218, v167, v20
	v_dual_mul_f32 v4, v171, v27 :: v_dual_fmac_f32 v219, v169, v24
	s_delay_alu instid0(VALU_DEP_3) | instskip(NEXT) | instid1(VALU_DEP_3)
	v_dual_add_f32 v2, v2, v6 :: v_dual_add_f32 v3, v3, v217
	v_fma_f32 v5, v168, v24, -v5
	v_dual_mul_f32 v221, v172, v117 :: v_dual_mul_f32 v222, v174, v119
	s_delay_alu instid0(VALU_DEP_3) | instskip(NEXT) | instid1(VALU_DEP_2)
	v_dual_mul_f32 v6, v173, v117 :: v_dual_add_f32 v3, v3, v218
	v_dual_fmac_f32 v220, v171, v26 :: v_dual_fmac_f32 v221, v173, v116
	v_fma_f32 v4, v170, v26, -v4
	s_delay_alu instid0(VALU_DEP_3) | instskip(SKIP_3) | instid1(VALU_DEP_4)
	v_dual_add_f32 v2, v2, v5 :: v_dual_add_f32 v3, v3, v219
	v_mul_f32_e32 v5, v175, v119
	v_fma_f32 v6, v172, v116, -v6
	v_dual_mul_f32 v223, v176, v121 :: v_dual_mul_f32 v224, v178, v123
	v_add_f32_e32 v2, v2, v4
	v_dual_add_f32 v3, v3, v220 :: v_dual_mul_f32 v4, v177, v121
	s_delay_alu instid0(VALU_DEP_3) | instskip(SKIP_1) | instid1(VALU_DEP_3)
	v_dual_fmac_f32 v222, v175, v118 :: v_dual_fmac_f32 v223, v177, v120
	v_fma_f32 v5, v174, v118, -v5
	v_dual_add_f32 v2, v2, v6 :: v_dual_add_f32 v3, v3, v221
	v_mul_f32_e32 v6, v179, v123
	v_fma_f32 v4, v176, v120, -v4
	v_dual_mul_f32 v225, v180, v125 :: v_dual_mul_f32 v226, v182, v127
	s_delay_alu instid0(VALU_DEP_4) | instskip(SKIP_1) | instid1(VALU_DEP_3)
	v_dual_add_f32 v2, v2, v5 :: v_dual_add_f32 v3, v3, v222
	v_dual_mul_f32 v5, v181, v125 :: v_dual_fmac_f32 v224, v179, v122
	v_fmac_f32_e32 v225, v181, v124
	v_fma_f32 v6, v178, v122, -v6
	s_delay_alu instid0(VALU_DEP_4) | instskip(SKIP_2) | instid1(VALU_DEP_2)
	v_dual_add_f32 v2, v2, v4 :: v_dual_add_f32 v3, v3, v223
	v_dual_mul_f32 v227, v184, v129 :: v_dual_mul_f32 v228, v186, v131
	v_dual_mul_f32 v229, v188, v133 :: v_dual_mul_f32 v230, v190, v135
	v_dual_mul_f32 v4, v183, v127 :: v_dual_fmac_f32 v227, v185, v128
	v_fma_f32 v5, v180, v124, -v5
	v_dual_add_f32 v2, v2, v6 :: v_dual_add_f32 v3, v3, v224
	v_mul_f32_e32 v6, v185, v129
	v_dual_fmac_f32 v226, v183, v126 :: v_dual_fmac_f32 v229, v189, v132
	v_fma_f32 v4, v182, v126, -v4
	s_delay_alu instid0(VALU_DEP_4) | instskip(SKIP_3) | instid1(VALU_DEP_3)
	v_add_f32_e32 v3, v3, v225
	v_dual_add_f32 v2, v2, v5 :: v_dual_mul_f32 v5, v187, v131
	v_fma_f32 v6, v184, v128, -v6
	v_dual_mul_f32 v233, v196, v141 :: v_dual_mul_f32 v234, v198, v143
	v_dual_add_f32 v3, v3, v226 :: v_dual_add_f32 v2, v2, v4
	v_mul_f32_e32 v4, v189, v133
	v_fmac_f32_e32 v228, v187, v130
	v_fma_f32 v5, v186, v130, -v5
	s_delay_alu instid0(VALU_DEP_4) | instskip(SKIP_3) | instid1(VALU_DEP_4)
	v_dual_add_f32 v3, v3, v227 :: v_dual_add_f32 v2, v2, v6
	v_dual_mul_f32 v231, v192, v137 :: v_dual_mul_f32 v232, v194, v139
	v_mul_f32_e32 v6, v191, v135
	v_dual_fmac_f32 v230, v191, v134 :: v_dual_fmac_f32 v233, v197, v140
	v_add_f32_e32 v2, v2, v5
	v_mul_f32_e32 v5, v193, v137
	v_add_f32_e32 v3, v3, v228
	v_fma_f32 v4, v188, v132, -v4
	v_fmac_f32_e32 v231, v193, v136
	v_fma_f32 v6, v190, v134, -v6
	v_dual_mul_f32 v235, v200, v145 :: v_dual_mul_f32 v236, v202, v147
	v_add_f32_e32 v3, v3, v229
	v_fma_f32 v5, v192, v136, -v5
	s_delay_alu instid0(VALU_DEP_3) | instskip(NEXT) | instid1(VALU_DEP_4)
	v_dual_fmac_f32 v232, v195, v138 :: v_dual_fmac_f32 v235, v201, v144
	v_fmac_f32_e32 v236, v203, v146
	s_delay_alu instid0(VALU_DEP_4) | instskip(SKIP_2) | instid1(VALU_DEP_3)
	v_dual_add_f32 v3, v3, v230 :: v_dual_add_f32 v2, v2, v4
	v_mul_f32_e32 v4, v195, v139
	v_dual_fmac_f32 v234, v199, v142 :: v_dual_fmac_f32 v237, v209, v204
	v_dual_add_f32 v3, v3, v231 :: v_dual_add_f32 v2, v2, v6
	v_mul_f32_e32 v6, v197, v141
	s_delay_alu instid0(VALU_DEP_4) | instskip(NEXT) | instid1(VALU_DEP_3)
	v_fma_f32 v4, v194, v138, -v4
	v_dual_add_f32 v2, v2, v5 :: v_dual_mul_f32 v5, v199, v143
	s_delay_alu instid0(VALU_DEP_3) | instskip(NEXT) | instid1(VALU_DEP_2)
	v_fma_f32 v6, v196, v140, -v6
	v_add_f32_e32 v2, v2, v4
	s_delay_alu instid0(VALU_DEP_3) | instskip(NEXT) | instid1(VALU_DEP_2)
	v_fma_f32 v5, v198, v142, -v5
	v_add_f32_e32 v2, v2, v6
	v_mul_f32_e32 v6, v203, v147
	s_delay_alu instid0(VALU_DEP_2) | instskip(SKIP_2) | instid1(VALU_DEP_4)
	v_add_f32_e32 v2, v2, v5
	v_mul_f32_e32 v5, v209, v205
	v_add_f32_e32 v3, v3, v232
	v_fma_f32 v6, v202, v146, -v6
	s_delay_alu instid0(VALU_DEP_2) | instskip(NEXT) | instid1(VALU_DEP_1)
	v_add_f32_e32 v3, v3, v233
	v_dual_mul_f32 v4, v201, v145 :: v_dual_add_f32 v3, v3, v234
	s_delay_alu instid0(VALU_DEP_1) | instskip(NEXT) | instid1(VALU_DEP_2)
	v_fma_f32 v4, v200, v144, -v4
	v_add_f32_e32 v3, v3, v235
	s_delay_alu instid0(VALU_DEP_1) | instskip(NEXT) | instid1(VALU_DEP_3)
	v_add_f32_e32 v3, v3, v236
	v_add_f32_e32 v2, v2, v4
	v_fma_f32 v4, v208, v204, -v5
	s_delay_alu instid0(VALU_DEP_2) | instskip(SKIP_1) | instid1(VALU_DEP_1)
	v_dual_add_f32 v3, v3, v237 :: v_dual_add_f32 v2, v2, v6
	s_wait_loadcnt 0x0
	v_dual_sub_f32 v3, v207, v3 :: v_dual_add_f32 v2, v2, v4
	s_delay_alu instid0(VALU_DEP_1)
	v_sub_f32_e32 v2, v206, v2
	scratch_store_b64 off, v[2:3], off offset:112
	v_cmpx_lt_u32_e32 13, v0
	s_cbranch_execz .LBB43_251
; %bb.250:
	scratch_load_b64 v[3:4], off, off offset:104
	v_mov_b32_e32 v2, v1
	scratch_store_b64 off, v[1:2], off offset:104
	s_wait_loadcnt 0x0
	ds_store_b64 v23, v[3:4]
.LBB43_251:
	s_wait_alu 0xfffe
	s_or_b32 exec_lo, exec_lo, s0
	s_wait_storecnt_dscnt 0x0
	s_barrier_signal -1
	s_barrier_wait -1
	global_inv scope:SCOPE_SE
	s_clause 0xf
	scratch_load_b128 v[2:5], off, off offset:112
	scratch_load_b128 v[6:9], off, off offset:128
	;; [unrolled: 1-line block ×15, first 2 shown]
	scratch_load_b64 v[212:213], off, off offset:104
	ds_load_b128 v[152:155], v1 offset:464
	ds_load_b128 v[156:159], v1 offset:480
	;; [unrolled: 1-line block ×15, first 2 shown]
	s_mov_b32 s0, exec_lo
	s_wait_loadcnt_dscnt 0xf0e
	v_dual_mul_f32 v1, v152, v3 :: v_dual_mul_f32 v22, v154, v5
	s_wait_loadcnt_dscnt 0xe0d
	v_dual_mul_f32 v5, v155, v5 :: v_dual_mul_f32 v214, v156, v7
	v_mul_f32_e32 v215, v158, v9
	s_wait_loadcnt_dscnt 0xd0c
	v_dual_fmac_f32 v1, v153, v2 :: v_dual_mul_f32 v216, v160, v11
	s_wait_loadcnt_dscnt 0xc0b
	v_dual_mul_f32 v217, v162, v13 :: v_dual_mul_f32 v218, v164, v15
	v_mul_f32_e32 v219, v166, v17
	v_dual_mul_f32 v3, v153, v3 :: v_dual_fmac_f32 v22, v155, v4
	s_wait_loadcnt_dscnt 0xb0a
	v_dual_mul_f32 v220, v168, v19 :: v_dual_mul_f32 v221, v170, v21
	s_wait_loadcnt_dscnt 0x201
	v_mul_f32_e32 v238, v204, v145
	v_fma_f32 v3, v152, v2, -v3
	s_wait_loadcnt_dscnt 0x100
	v_mul_f32_e32 v241, v210, v151
	v_mul_f32_e32 v2, v157, v7
	v_fma_f32 v4, v154, v4, -v5
	v_dual_mul_f32 v5, v159, v9 :: v_dual_fmac_f32 v216, v161, v10
	v_dual_add_f32 v3, 0, v3 :: v_dual_fmac_f32 v214, v157, v6
	s_delay_alu instid0(VALU_DEP_4) | instskip(NEXT) | instid1(VALU_DEP_3)
	v_fma_f32 v2, v156, v6, -v2
	v_fma_f32 v5, v158, v8, -v5
	s_delay_alu instid0(VALU_DEP_3) | instskip(SKIP_2) | instid1(VALU_DEP_3)
	v_dual_fmac_f32 v218, v165, v14 :: v_dual_add_f32 v3, v3, v4
	v_dual_mul_f32 v222, v172, v25 :: v_dual_mul_f32 v223, v174, v27
	v_dual_fmac_f32 v220, v169, v18 :: v_dual_fmac_f32 v219, v167, v16
	v_add_f32_e32 v2, v3, v2
	v_mul_f32_e32 v3, v163, v13
	v_dual_mul_f32 v224, v176, v117 :: v_dual_mul_f32 v225, v178, v119
	v_mul_f32_e32 v4, v161, v11
	s_delay_alu instid0(VALU_DEP_4) | instskip(SKIP_4) | instid1(VALU_DEP_4)
	v_add_f32_e32 v2, v2, v5
	v_add_f32_e32 v1, 0, v1
	v_fma_f32 v3, v162, v12, -v3
	v_dual_mul_f32 v228, v184, v125 :: v_dual_mul_f32 v229, v186, v127
	v_fma_f32 v4, v160, v10, -v4
	v_dual_add_f32 v1, v1, v22 :: v_dual_mul_f32 v226, v180, v121
	v_mul_f32_e32 v227, v182, v123
	s_delay_alu instid0(VALU_DEP_3) | instskip(NEXT) | instid1(VALU_DEP_3)
	v_dual_fmac_f32 v225, v179, v118 :: v_dual_add_f32 v2, v2, v4
	v_dual_add_f32 v1, v1, v214 :: v_dual_mul_f32 v4, v167, v17
	v_dual_fmac_f32 v215, v159, v8 :: v_dual_mul_f32 v230, v188, v129
	v_mul_f32_e32 v231, v190, v131
	s_delay_alu instid0(VALU_DEP_4) | instskip(NEXT) | instid1(VALU_DEP_4)
	v_add_f32_e32 v2, v2, v3
	v_fma_f32 v4, v166, v16, -v4
	v_mul_f32_e32 v5, v165, v15
	v_add_f32_e32 v1, v1, v215
	v_dual_fmac_f32 v223, v175, v26 :: v_dual_fmac_f32 v226, v181, v120
	v_dual_mul_f32 v234, v196, v137 :: v_dual_mul_f32 v235, v198, v139
	s_delay_alu instid0(VALU_DEP_4) | instskip(SKIP_3) | instid1(VALU_DEP_4)
	v_fma_f32 v5, v164, v14, -v5
	v_fmac_f32_e32 v217, v163, v12
	v_fmac_f32_e32 v222, v173, v24
	v_dual_mul_f32 v232, v192, v133 :: v_dual_mul_f32 v233, v194, v135
	v_add_f32_e32 v2, v2, v5
	v_mul_f32_e32 v5, v171, v21
	v_dual_fmac_f32 v231, v191, v130 :: v_dual_mul_f32 v236, v200, v141
	v_mul_f32_e32 v237, v202, v143
	s_delay_alu instid0(VALU_DEP_4) | instskip(NEXT) | instid1(VALU_DEP_4)
	v_add_f32_e32 v2, v2, v4
	v_fma_f32 v5, v170, v20, -v5
	v_mul_f32_e32 v3, v169, v19
	v_mul_f32_e32 v4, v173, v25
	v_dual_fmac_f32 v224, v177, v116 :: v_dual_mul_f32 v239, v206, v147
	v_mul_f32_e32 v240, v208, v149
	s_delay_alu instid0(VALU_DEP_4) | instskip(SKIP_3) | instid1(VALU_DEP_4)
	v_fma_f32 v3, v168, v18, -v3
	v_add_f32_e32 v1, v1, v216
	v_fma_f32 v4, v172, v24, -v4
	v_dual_fmac_f32 v229, v187, v126 :: v_dual_fmac_f32 v232, v193, v132
	v_add_f32_e32 v2, v2, v3
	v_mul_f32_e32 v3, v175, v27
	v_fmac_f32_e32 v237, v203, v142
	v_dual_fmac_f32 v235, v199, v138 :: v_dual_fmac_f32 v238, v205, v144
	s_delay_alu instid0(VALU_DEP_4) | instskip(SKIP_3) | instid1(VALU_DEP_3)
	v_add_f32_e32 v2, v2, v5
	v_add_f32_e32 v1, v1, v217
	v_fma_f32 v3, v174, v26, -v3
	v_dual_fmac_f32 v241, v211, v150 :: v_dual_fmac_f32 v228, v185, v124
	v_dual_add_f32 v2, v2, v4 :: v_dual_add_f32 v1, v1, v218
	v_mul_f32_e32 v4, v179, v119
	v_fmac_f32_e32 v221, v171, v20
	v_fmac_f32_e32 v230, v189, v128
	s_delay_alu instid0(VALU_DEP_4) | instskip(NEXT) | instid1(VALU_DEP_4)
	v_dual_add_f32 v2, v2, v3 :: v_dual_mul_f32 v3, v181, v121
	v_fma_f32 v4, v178, v118, -v4
	v_mul_f32_e32 v5, v177, v117
	v_fmac_f32_e32 v234, v197, v136
	v_fmac_f32_e32 v236, v201, v140
	v_fma_f32 v3, v180, v120, -v3
	v_fmac_f32_e32 v240, v209, v148
	v_fma_f32 v5, v176, v116, -v5
	s_delay_alu instid0(VALU_DEP_1) | instskip(NEXT) | instid1(VALU_DEP_1)
	v_dual_add_f32 v1, v1, v219 :: v_dual_add_f32 v2, v2, v5
	v_dual_mul_f32 v5, v183, v123 :: v_dual_add_f32 v2, v2, v4
	s_delay_alu instid0(VALU_DEP_2) | instskip(SKIP_1) | instid1(VALU_DEP_3)
	v_add_f32_e32 v1, v1, v220
	v_mul_f32_e32 v4, v185, v125
	v_fma_f32 v5, v182, v122, -v5
	s_delay_alu instid0(VALU_DEP_4) | instskip(SKIP_1) | instid1(VALU_DEP_4)
	v_dual_add_f32 v2, v2, v3 :: v_dual_fmac_f32 v227, v183, v122
	v_mul_f32_e32 v3, v187, v127
	v_fma_f32 v4, v184, v124, -v4
	s_delay_alu instid0(VALU_DEP_3) | instskip(SKIP_1) | instid1(VALU_DEP_4)
	v_add_f32_e32 v2, v2, v5
	v_add_f32_e32 v1, v1, v221
	v_fma_f32 v3, v186, v126, -v3
	s_delay_alu instid0(VALU_DEP_3) | instskip(NEXT) | instid1(VALU_DEP_3)
	v_dual_add_f32 v2, v2, v4 :: v_dual_mul_f32 v5, v189, v129
	v_dual_add_f32 v1, v1, v222 :: v_dual_mul_f32 v4, v191, v131
	s_delay_alu instid0(VALU_DEP_2) | instskip(NEXT) | instid1(VALU_DEP_3)
	v_add_f32_e32 v2, v2, v3
	v_fma_f32 v5, v188, v128, -v5
	s_delay_alu instid0(VALU_DEP_3) | instskip(SKIP_2) | instid1(VALU_DEP_4)
	v_add_f32_e32 v1, v1, v223
	v_mul_f32_e32 v3, v193, v133
	v_fma_f32 v4, v190, v130, -v4
	v_dual_add_f32 v2, v2, v5 :: v_dual_mul_f32 v5, v195, v135
	s_delay_alu instid0(VALU_DEP_3) | instskip(NEXT) | instid1(VALU_DEP_2)
	v_fma_f32 v3, v192, v132, -v3
	v_add_f32_e32 v2, v2, v4
	v_add_f32_e32 v1, v1, v224
	v_mul_f32_e32 v4, v197, v137
	v_fma_f32 v5, v194, v134, -v5
	s_delay_alu instid0(VALU_DEP_4) | instskip(SKIP_1) | instid1(VALU_DEP_4)
	v_dual_add_f32 v2, v2, v3 :: v_dual_fmac_f32 v233, v195, v134
	v_mul_f32_e32 v3, v199, v139
	v_fma_f32 v4, v196, v136, -v4
	s_delay_alu instid0(VALU_DEP_3) | instskip(SKIP_1) | instid1(VALU_DEP_4)
	v_add_f32_e32 v2, v2, v5
	v_add_f32_e32 v1, v1, v225
	v_fma_f32 v3, v198, v138, -v3
	s_delay_alu instid0(VALU_DEP_3) | instskip(NEXT) | instid1(VALU_DEP_3)
	v_dual_add_f32 v2, v2, v4 :: v_dual_mul_f32 v5, v201, v141
	v_dual_add_f32 v1, v1, v226 :: v_dual_mul_f32 v4, v203, v143
	s_delay_alu instid0(VALU_DEP_2) | instskip(NEXT) | instid1(VALU_DEP_3)
	v_add_f32_e32 v2, v2, v3
	v_fma_f32 v5, v200, v140, -v5
	s_delay_alu instid0(VALU_DEP_3) | instskip(SKIP_2) | instid1(VALU_DEP_4)
	v_add_f32_e32 v1, v1, v227
	v_mul_f32_e32 v3, v205, v145
	v_fma_f32 v4, v202, v142, -v4
	v_dual_add_f32 v2, v2, v5 :: v_dual_mul_f32 v5, v207, v147
	s_delay_alu instid0(VALU_DEP_3) | instskip(NEXT) | instid1(VALU_DEP_2)
	v_fma_f32 v3, v204, v144, -v3
	v_add_f32_e32 v2, v2, v4
	v_add_f32_e32 v1, v1, v228
	v_mul_f32_e32 v4, v209, v149
	v_fma_f32 v5, v206, v146, -v5
	s_delay_alu instid0(VALU_DEP_4) | instskip(SKIP_1) | instid1(VALU_DEP_4)
	v_dual_add_f32 v2, v2, v3 :: v_dual_fmac_f32 v239, v207, v146
	v_mul_f32_e32 v3, v211, v151
	v_fma_f32 v4, v208, v148, -v4
	s_delay_alu instid0(VALU_DEP_3) | instskip(SKIP_1) | instid1(VALU_DEP_4)
	v_add_f32_e32 v2, v2, v5
	v_add_f32_e32 v1, v1, v229
	v_fma_f32 v3, v210, v150, -v3
	s_delay_alu instid0(VALU_DEP_2) | instskip(NEXT) | instid1(VALU_DEP_1)
	v_dual_add_f32 v2, v2, v4 :: v_dual_add_f32 v1, v1, v230
	v_add_f32_e32 v2, v2, v3
	s_delay_alu instid0(VALU_DEP_2) | instskip(NEXT) | instid1(VALU_DEP_1)
	v_add_f32_e32 v1, v1, v231
	v_add_f32_e32 v1, v1, v232
	s_delay_alu instid0(VALU_DEP_1) | instskip(NEXT) | instid1(VALU_DEP_1)
	v_add_f32_e32 v1, v1, v233
	v_add_f32_e32 v1, v1, v234
	s_delay_alu instid0(VALU_DEP_1) | instskip(NEXT) | instid1(VALU_DEP_1)
	;; [unrolled: 3-line block ×4, first 2 shown]
	v_add_f32_e32 v1, v1, v239
	v_add_f32_e32 v1, v1, v240
	s_delay_alu instid0(VALU_DEP_1) | instskip(SKIP_1) | instid1(VALU_DEP_1)
	v_add_f32_e32 v3, v1, v241
	s_wait_loadcnt 0x0
	v_dual_sub_f32 v1, v212, v2 :: v_dual_sub_f32 v2, v213, v3
	scratch_store_b64 off, v[1:2], off offset:104
	v_cmpx_lt_u32_e32 12, v0
	s_cbranch_execz .LBB43_253
; %bb.252:
	scratch_load_b64 v[1:2], off, off offset:96
	v_mov_b32_e32 v3, 0
	s_delay_alu instid0(VALU_DEP_1)
	v_mov_b32_e32 v4, v3
	scratch_store_b64 off, v[3:4], off offset:96
	s_wait_loadcnt 0x0
	ds_store_b64 v23, v[1:2]
.LBB43_253:
	s_wait_alu 0xfffe
	s_or_b32 exec_lo, exec_lo, s0
	s_wait_storecnt_dscnt 0x0
	s_barrier_signal -1
	s_barrier_wait -1
	global_inv scope:SCOPE_SE
	s_clause 0x10
	scratch_load_b128 v[2:5], off, off offset:104
	scratch_load_b128 v[6:9], off, off offset:120
	;; [unrolled: 1-line block ×15, first 2 shown]
	scratch_load_b64 v[212:213], off, off offset:344
	scratch_load_b64 v[214:215], off, off offset:96
	v_mov_b32_e32 v1, 0
	ds_load_2addr_b64 v[152:155], v1 offset0:57 offset1:58
	ds_load_2addr_b64 v[156:159], v1 offset0:59 offset1:60
	;; [unrolled: 1-line block ×15, first 2 shown]
	ds_load_b64 v[216:217], v1 offset:696
	s_mov_b32 s0, exec_lo
	s_wait_loadcnt_dscnt 0x100f
	v_mul_f32_e32 v22, v152, v3
	v_dual_mul_f32 v3, v153, v3 :: v_dual_mul_f32 v218, v154, v5
	s_wait_loadcnt_dscnt 0xc0b
	v_dual_mul_f32 v219, v156, v7 :: v_dual_mul_f32 v226, v170, v21
	v_mul_f32_e32 v5, v155, v5
	s_delay_alu instid0(VALU_DEP_3) | instskip(SKIP_1) | instid1(VALU_DEP_4)
	v_fma_f32 v3, v152, v2, -v3
	v_dual_mul_f32 v220, v158, v9 :: v_dual_mul_f32 v221, v160, v11
	v_dual_fmac_f32 v218, v155, v4 :: v_dual_fmac_f32 v219, v157, v6
	v_fmac_f32_e32 v22, v153, v2
	v_mul_f32_e32 v2, v157, v7
	v_fma_f32 v4, v154, v4, -v5
	v_add_f32_e32 v3, 0, v3
	s_wait_loadcnt_dscnt 0x100
	v_mul_f32_e32 v247, v216, v213
	v_dual_add_f32 v5, 0, v22 :: v_dual_fmac_f32 v220, v159, v8
	v_mul_f32_e32 v7, v159, v9
	v_fma_f32 v2, v156, v6, -v2
	s_delay_alu instid0(VALU_DEP_3) | instskip(SKIP_1) | instid1(VALU_DEP_4)
	v_dual_add_f32 v3, v3, v4 :: v_dual_add_f32 v4, v5, v218
	v_mul_f32_e32 v5, v161, v11
	v_fma_f32 v6, v158, v8, -v7
	v_dual_mul_f32 v222, v162, v13 :: v_dual_mul_f32 v223, v164, v15
	s_delay_alu instid0(VALU_DEP_4) | instskip(SKIP_2) | instid1(VALU_DEP_4)
	v_dual_add_f32 v2, v3, v2 :: v_dual_add_f32 v3, v4, v219
	v_mul_f32_e32 v4, v163, v13
	v_fma_f32 v5, v160, v10, -v5
	v_fmac_f32_e32 v222, v163, v12
	s_delay_alu instid0(VALU_DEP_4) | instskip(SKIP_3) | instid1(VALU_DEP_4)
	v_add_f32_e32 v2, v2, v6
	v_fmac_f32_e32 v221, v161, v10
	v_dual_add_f32 v3, v3, v220 :: v_dual_mul_f32 v6, v165, v15
	v_fma_f32 v4, v162, v12, -v4
	v_add_f32_e32 v2, v2, v5
	v_dual_mul_f32 v224, v166, v17 :: v_dual_mul_f32 v225, v168, v19
	s_delay_alu instid0(VALU_DEP_4)
	v_add_f32_e32 v3, v3, v221
	v_mul_f32_e32 v5, v167, v17
	v_fma_f32 v6, v164, v14, -v6
	v_dual_add_f32 v2, v2, v4 :: v_dual_fmac_f32 v223, v165, v14
	v_fmac_f32_e32 v224, v167, v16
	v_mul_f32_e32 v4, v169, v19
	v_fma_f32 v5, v166, v16, -v5
	s_delay_alu instid0(VALU_DEP_4) | instskip(SKIP_3) | instid1(VALU_DEP_3)
	v_add_f32_e32 v2, v2, v6
	v_add_f32_e32 v3, v3, v222
	v_dual_mul_f32 v6, v171, v21 :: v_dual_fmac_f32 v225, v169, v18
	v_fma_f32 v4, v168, v18, -v4
	v_dual_add_f32 v2, v2, v5 :: v_dual_add_f32 v3, v3, v223
	s_delay_alu instid0(VALU_DEP_3) | instskip(SKIP_1) | instid1(VALU_DEP_3)
	v_fma_f32 v6, v170, v20, -v6
	v_dual_mul_f32 v227, v172, v25 :: v_dual_mul_f32 v228, v174, v27
	v_add_f32_e32 v2, v2, v4
	s_delay_alu instid0(VALU_DEP_4) | instskip(SKIP_1) | instid1(VALU_DEP_4)
	v_add_f32_e32 v3, v3, v224
	v_dual_mul_f32 v5, v173, v25 :: v_dual_fmac_f32 v226, v171, v20
	v_dual_mul_f32 v4, v175, v27 :: v_dual_fmac_f32 v227, v173, v24
	s_delay_alu instid0(VALU_DEP_3) | instskip(NEXT) | instid1(VALU_DEP_3)
	v_dual_add_f32 v2, v2, v6 :: v_dual_add_f32 v3, v3, v225
	v_fma_f32 v5, v172, v24, -v5
	v_dual_mul_f32 v229, v176, v117 :: v_dual_mul_f32 v230, v178, v119
	s_delay_alu instid0(VALU_DEP_3) | instskip(NEXT) | instid1(VALU_DEP_2)
	v_dual_mul_f32 v6, v177, v117 :: v_dual_add_f32 v3, v3, v226
	v_dual_fmac_f32 v228, v175, v26 :: v_dual_fmac_f32 v229, v177, v116
	v_fma_f32 v4, v174, v26, -v4
	s_delay_alu instid0(VALU_DEP_3) | instskip(SKIP_3) | instid1(VALU_DEP_4)
	v_dual_add_f32 v2, v2, v5 :: v_dual_add_f32 v3, v3, v227
	v_mul_f32_e32 v5, v179, v119
	v_fma_f32 v6, v176, v116, -v6
	v_dual_mul_f32 v231, v180, v121 :: v_dual_mul_f32 v232, v182, v123
	v_add_f32_e32 v2, v2, v4
	v_dual_add_f32 v3, v3, v228 :: v_dual_mul_f32 v4, v181, v121
	s_delay_alu instid0(VALU_DEP_3) | instskip(SKIP_1) | instid1(VALU_DEP_3)
	v_dual_fmac_f32 v230, v179, v118 :: v_dual_fmac_f32 v231, v181, v120
	v_fma_f32 v5, v178, v118, -v5
	v_dual_add_f32 v2, v2, v6 :: v_dual_add_f32 v3, v3, v229
	v_mul_f32_e32 v6, v183, v123
	v_fma_f32 v4, v180, v120, -v4
	v_dual_mul_f32 v233, v184, v125 :: v_dual_mul_f32 v234, v186, v127
	s_delay_alu instid0(VALU_DEP_4) | instskip(SKIP_1) | instid1(VALU_DEP_3)
	v_dual_add_f32 v2, v2, v5 :: v_dual_add_f32 v3, v3, v230
	v_dual_mul_f32 v5, v185, v125 :: v_dual_fmac_f32 v232, v183, v122
	v_fmac_f32_e32 v233, v185, v124
	v_fma_f32 v6, v182, v122, -v6
	s_delay_alu instid0(VALU_DEP_4) | instskip(SKIP_2) | instid1(VALU_DEP_2)
	v_dual_add_f32 v2, v2, v4 :: v_dual_add_f32 v3, v3, v231
	v_dual_mul_f32 v235, v188, v129 :: v_dual_mul_f32 v236, v190, v131
	v_dual_mul_f32 v237, v192, v133 :: v_dual_mul_f32 v238, v194, v135
	v_dual_mul_f32 v4, v187, v127 :: v_dual_fmac_f32 v235, v189, v128
	v_fma_f32 v5, v184, v124, -v5
	v_dual_add_f32 v2, v2, v6 :: v_dual_add_f32 v3, v3, v232
	v_mul_f32_e32 v6, v189, v129
	v_dual_fmac_f32 v234, v187, v126 :: v_dual_fmac_f32 v237, v193, v132
	v_fma_f32 v4, v186, v126, -v4
	s_delay_alu instid0(VALU_DEP_4) | instskip(SKIP_3) | instid1(VALU_DEP_3)
	v_add_f32_e32 v3, v3, v233
	v_dual_add_f32 v2, v2, v5 :: v_dual_mul_f32 v5, v191, v131
	v_fma_f32 v6, v188, v128, -v6
	v_dual_mul_f32 v241, v200, v141 :: v_dual_mul_f32 v242, v202, v143
	v_dual_add_f32 v3, v3, v234 :: v_dual_add_f32 v2, v2, v4
	v_mul_f32_e32 v4, v193, v133
	v_fmac_f32_e32 v236, v191, v130
	v_fma_f32 v5, v190, v130, -v5
	s_delay_alu instid0(VALU_DEP_4) | instskip(SKIP_3) | instid1(VALU_DEP_4)
	v_dual_add_f32 v3, v3, v235 :: v_dual_add_f32 v2, v2, v6
	v_dual_mul_f32 v239, v196, v137 :: v_dual_mul_f32 v240, v198, v139
	v_mul_f32_e32 v6, v195, v135
	v_dual_fmac_f32 v238, v195, v134 :: v_dual_fmac_f32 v241, v201, v140
	v_add_f32_e32 v2, v2, v5
	v_mul_f32_e32 v5, v197, v137
	v_add_f32_e32 v3, v3, v236
	v_fma_f32 v4, v192, v132, -v4
	v_fmac_f32_e32 v239, v197, v136
	v_fma_f32 v6, v194, v134, -v6
	v_dual_mul_f32 v243, v204, v145 :: v_dual_mul_f32 v244, v206, v147
	v_add_f32_e32 v3, v3, v237
	v_fma_f32 v5, v196, v136, -v5
	s_delay_alu instid0(VALU_DEP_3) | instskip(NEXT) | instid1(VALU_DEP_4)
	v_dual_fmac_f32 v240, v199, v138 :: v_dual_fmac_f32 v243, v205, v144
	v_fmac_f32_e32 v244, v207, v146
	s_delay_alu instid0(VALU_DEP_4) | instskip(SKIP_2) | instid1(VALU_DEP_3)
	v_dual_add_f32 v3, v3, v238 :: v_dual_add_f32 v2, v2, v4
	v_dual_mul_f32 v4, v199, v139 :: v_dual_mul_f32 v245, v208, v149
	v_mul_f32_e32 v246, v210, v151
	v_dual_add_f32 v3, v3, v239 :: v_dual_add_f32 v2, v2, v6
	v_mul_f32_e32 v6, v201, v141
	s_delay_alu instid0(VALU_DEP_4) | instskip(SKIP_1) | instid1(VALU_DEP_4)
	v_fma_f32 v4, v198, v138, -v4
	v_dual_fmac_f32 v242, v203, v142 :: v_dual_fmac_f32 v245, v209, v148
	v_dual_add_f32 v2, v2, v5 :: v_dual_mul_f32 v5, v203, v143
	s_delay_alu instid0(VALU_DEP_4) | instskip(SKIP_1) | instid1(VALU_DEP_3)
	v_fma_f32 v6, v200, v140, -v6
	v_dual_fmac_f32 v246, v211, v150 :: v_dual_fmac_f32 v247, v217, v212
	v_add_f32_e32 v2, v2, v4
	s_delay_alu instid0(VALU_DEP_4) | instskip(NEXT) | instid1(VALU_DEP_2)
	v_fma_f32 v5, v202, v142, -v5
	v_add_f32_e32 v2, v2, v6
	v_mul_f32_e32 v6, v207, v147
	s_delay_alu instid0(VALU_DEP_2) | instskip(SKIP_2) | instid1(VALU_DEP_4)
	v_add_f32_e32 v2, v2, v5
	v_mul_f32_e32 v5, v209, v149
	v_add_f32_e32 v3, v3, v240
	v_fma_f32 v6, v206, v146, -v6
	s_delay_alu instid0(VALU_DEP_3) | instskip(NEXT) | instid1(VALU_DEP_3)
	v_fma_f32 v5, v208, v148, -v5
	v_add_f32_e32 v3, v3, v241
	s_delay_alu instid0(VALU_DEP_1) | instskip(NEXT) | instid1(VALU_DEP_1)
	v_dual_mul_f32 v4, v205, v145 :: v_dual_add_f32 v3, v3, v242
	v_fma_f32 v4, v204, v144, -v4
	s_delay_alu instid0(VALU_DEP_2) | instskip(NEXT) | instid1(VALU_DEP_1)
	v_add_f32_e32 v3, v3, v243
	v_add_f32_e32 v3, v3, v244
	s_delay_alu instid0(VALU_DEP_3) | instskip(SKIP_1) | instid1(VALU_DEP_3)
	v_add_f32_e32 v2, v2, v4
	v_mul_f32_e32 v4, v211, v151
	v_add_f32_e32 v3, v3, v245
	s_delay_alu instid0(VALU_DEP_2) | instskip(NEXT) | instid1(VALU_DEP_2)
	v_fma_f32 v4, v210, v150, -v4
	v_add_f32_e32 v3, v3, v246
	s_delay_alu instid0(VALU_DEP_1) | instskip(SKIP_2) | instid1(VALU_DEP_2)
	v_dual_add_f32 v2, v2, v6 :: v_dual_add_f32 v3, v3, v247
	v_mul_f32_e32 v6, v217, v213
	s_wait_loadcnt 0x0
	v_dual_add_f32 v2, v2, v5 :: v_dual_sub_f32 v3, v215, v3
	s_delay_alu instid0(VALU_DEP_2) | instskip(NEXT) | instid1(VALU_DEP_2)
	v_fma_f32 v5, v216, v212, -v6
	v_add_f32_e32 v2, v2, v4
	s_delay_alu instid0(VALU_DEP_1) | instskip(NEXT) | instid1(VALU_DEP_1)
	v_add_f32_e32 v2, v2, v5
	v_sub_f32_e32 v2, v214, v2
	scratch_store_b64 off, v[2:3], off offset:96
	v_cmpx_lt_u32_e32 11, v0
	s_cbranch_execz .LBB43_255
; %bb.254:
	scratch_load_b64 v[3:4], off, off offset:88
	v_mov_b32_e32 v2, v1
	scratch_store_b64 off, v[1:2], off offset:88
	s_wait_loadcnt 0x0
	ds_store_b64 v23, v[3:4]
.LBB43_255:
	s_wait_alu 0xfffe
	s_or_b32 exec_lo, exec_lo, s0
	s_wait_storecnt_dscnt 0x0
	s_barrier_signal -1
	s_barrier_wait -1
	global_inv scope:SCOPE_SE
	s_clause 0x10
	scratch_load_b128 v[2:5], off, off offset:96
	scratch_load_b128 v[6:9], off, off offset:112
	;; [unrolled: 1-line block ×16, first 2 shown]
	scratch_load_b64 v[220:221], off, off offset:88
	ds_load_b128 v[156:159], v1 offset:448
	ds_load_b128 v[160:163], v1 offset:464
	;; [unrolled: 1-line block ×16, first 2 shown]
	s_mov_b32 s0, exec_lo
	s_wait_loadcnt_dscnt 0x100f
	v_dual_mul_f32 v1, v156, v3 :: v_dual_mul_f32 v22, v158, v5
	s_wait_loadcnt_dscnt 0xf0e
	v_dual_mul_f32 v5, v159, v5 :: v_dual_mul_f32 v222, v160, v7
	v_mul_f32_e32 v223, v162, v9
	s_wait_loadcnt_dscnt 0xe0d
	v_dual_fmac_f32 v1, v157, v2 :: v_dual_mul_f32 v224, v164, v11
	s_wait_loadcnt_dscnt 0xd0c
	v_dual_mul_f32 v225, v166, v13 :: v_dual_mul_f32 v226, v168, v15
	v_mul_f32_e32 v227, v170, v17
	v_dual_mul_f32 v3, v157, v3 :: v_dual_fmac_f32 v22, v159, v4
	s_wait_loadcnt_dscnt 0xc0b
	v_dual_mul_f32 v228, v172, v19 :: v_dual_mul_f32 v229, v174, v21
	s_wait_loadcnt_dscnt 0x201
	v_mul_f32_e32 v248, v212, v149
	v_fma_f32 v3, v156, v2, -v3
	s_wait_loadcnt_dscnt 0x100
	v_mul_f32_e32 v251, v218, v155
	v_mul_f32_e32 v2, v161, v7
	v_fma_f32 v4, v158, v4, -v5
	v_dual_mul_f32 v5, v163, v9 :: v_dual_fmac_f32 v224, v165, v10
	v_dual_add_f32 v3, 0, v3 :: v_dual_fmac_f32 v222, v161, v6
	s_delay_alu instid0(VALU_DEP_4) | instskip(NEXT) | instid1(VALU_DEP_3)
	v_fma_f32 v2, v160, v6, -v2
	v_fma_f32 v5, v162, v8, -v5
	s_delay_alu instid0(VALU_DEP_3) | instskip(SKIP_2) | instid1(VALU_DEP_3)
	v_dual_fmac_f32 v226, v169, v14 :: v_dual_add_f32 v3, v3, v4
	v_dual_mul_f32 v230, v176, v25 :: v_dual_mul_f32 v231, v178, v27
	v_dual_fmac_f32 v227, v171, v16 :: v_dual_fmac_f32 v228, v173, v18
	v_add_f32_e32 v2, v3, v2
	v_mul_f32_e32 v3, v167, v13
	v_dual_mul_f32 v232, v180, v117 :: v_dual_mul_f32 v233, v182, v119
	v_mul_f32_e32 v4, v165, v11
	s_delay_alu instid0(VALU_DEP_4) | instskip(SKIP_4) | instid1(VALU_DEP_4)
	v_add_f32_e32 v2, v2, v5
	v_add_f32_e32 v1, 0, v1
	v_fma_f32 v3, v166, v12, -v3
	v_dual_mul_f32 v236, v188, v125 :: v_dual_mul_f32 v237, v190, v127
	v_fma_f32 v4, v164, v10, -v4
	v_dual_add_f32 v1, v1, v22 :: v_dual_mul_f32 v234, v184, v121
	v_mul_f32_e32 v235, v186, v123
	s_delay_alu instid0(VALU_DEP_3) | instskip(NEXT) | instid1(VALU_DEP_3)
	v_dual_fmac_f32 v233, v183, v118 :: v_dual_add_f32 v2, v2, v4
	v_dual_add_f32 v1, v1, v222 :: v_dual_mul_f32 v4, v171, v17
	v_dual_fmac_f32 v223, v163, v8 :: v_dual_mul_f32 v238, v192, v129
	v_mul_f32_e32 v239, v194, v131
	s_delay_alu instid0(VALU_DEP_4) | instskip(NEXT) | instid1(VALU_DEP_4)
	v_add_f32_e32 v2, v2, v3
	v_fma_f32 v4, v170, v16, -v4
	v_mul_f32_e32 v5, v169, v15
	v_add_f32_e32 v1, v1, v223
	v_dual_fmac_f32 v231, v179, v26 :: v_dual_fmac_f32 v234, v185, v120
	v_dual_mul_f32 v242, v200, v137 :: v_dual_mul_f32 v243, v202, v139
	s_delay_alu instid0(VALU_DEP_4) | instskip(SKIP_3) | instid1(VALU_DEP_4)
	v_fma_f32 v5, v168, v14, -v5
	v_fmac_f32_e32 v225, v167, v12
	v_fmac_f32_e32 v230, v177, v24
	v_dual_mul_f32 v240, v196, v133 :: v_dual_mul_f32 v241, v198, v135
	v_add_f32_e32 v2, v2, v5
	v_mul_f32_e32 v5, v175, v21
	v_dual_fmac_f32 v239, v195, v130 :: v_dual_mul_f32 v244, v204, v141
	v_mul_f32_e32 v245, v206, v143
	s_delay_alu instid0(VALU_DEP_4) | instskip(NEXT) | instid1(VALU_DEP_4)
	v_add_f32_e32 v2, v2, v4
	v_fma_f32 v5, v174, v20, -v5
	v_mul_f32_e32 v3, v173, v19
	v_mul_f32_e32 v4, v177, v25
	v_dual_mul_f32 v246, v208, v145 :: v_dual_mul_f32 v247, v210, v147
	v_fmac_f32_e32 v232, v181, v116
	s_delay_alu instid0(VALU_DEP_4) | instskip(SKIP_3) | instid1(VALU_DEP_4)
	v_fma_f32 v3, v172, v18, -v3
	v_add_f32_e32 v1, v1, v224
	v_fma_f32 v4, v176, v24, -v4
	v_dual_fmac_f32 v237, v191, v126 :: v_dual_fmac_f32 v240, v197, v132
	v_add_f32_e32 v2, v2, v3
	v_mul_f32_e32 v3, v179, v27
	v_fmac_f32_e32 v245, v207, v142
	v_dual_mul_f32 v249, v214, v151 :: v_dual_mul_f32 v250, v216, v153
	s_delay_alu instid0(VALU_DEP_4) | instskip(SKIP_3) | instid1(VALU_DEP_3)
	v_add_f32_e32 v2, v2, v5
	v_add_f32_e32 v1, v1, v225
	v_fma_f32 v3, v178, v26, -v3
	v_dual_fmac_f32 v243, v203, v138 :: v_dual_fmac_f32 v246, v209, v144
	v_dual_add_f32 v2, v2, v4 :: v_dual_add_f32 v1, v1, v226
	v_mul_f32_e32 v4, v183, v119
	v_fmac_f32_e32 v229, v175, v20
	s_delay_alu instid0(VALU_DEP_3) | instskip(SKIP_1) | instid1(VALU_DEP_4)
	v_dual_fmac_f32 v249, v215, v150 :: v_dual_add_f32 v2, v2, v3
	v_mul_f32_e32 v3, v185, v121
	v_fma_f32 v4, v182, v118, -v4
	v_mul_f32_e32 v5, v181, v117
	v_dual_fmac_f32 v236, v189, v124 :: v_dual_fmac_f32 v251, v219, v154
	s_delay_alu instid0(VALU_DEP_4) | instskip(SKIP_1) | instid1(VALU_DEP_4)
	v_fma_f32 v3, v184, v120, -v3
	v_fmac_f32_e32 v238, v193, v128
	v_fma_f32 v5, v180, v116, -v5
	v_add_f32_e32 v1, v1, v227
	v_fmac_f32_e32 v242, v201, v136
	v_fmac_f32_e32 v244, v205, v140
	;; [unrolled: 1-line block ×3, first 2 shown]
	v_dual_add_f32 v2, v2, v5 :: v_dual_mul_f32 v5, v187, v123
	v_fmac_f32_e32 v250, v217, v152
	s_delay_alu instid0(VALU_DEP_2) | instskip(SKIP_3) | instid1(VALU_DEP_4)
	v_add_f32_e32 v2, v2, v4
	v_add_f32_e32 v1, v1, v228
	v_mul_f32_e32 v4, v189, v125
	v_fma_f32 v5, v186, v122, -v5
	v_dual_add_f32 v2, v2, v3 :: v_dual_fmac_f32 v235, v187, v122
	v_mul_f32_e32 v3, v191, v127
	s_delay_alu instid0(VALU_DEP_4) | instskip(NEXT) | instid1(VALU_DEP_3)
	v_fma_f32 v4, v188, v124, -v4
	v_add_f32_e32 v2, v2, v5
	v_add_f32_e32 v1, v1, v229
	s_delay_alu instid0(VALU_DEP_4) | instskip(NEXT) | instid1(VALU_DEP_3)
	v_fma_f32 v3, v190, v126, -v3
	v_dual_add_f32 v2, v2, v4 :: v_dual_mul_f32 v5, v193, v129
	s_delay_alu instid0(VALU_DEP_3) | instskip(NEXT) | instid1(VALU_DEP_2)
	v_dual_add_f32 v1, v1, v230 :: v_dual_mul_f32 v4, v195, v131
	v_add_f32_e32 v2, v2, v3
	s_delay_alu instid0(VALU_DEP_3) | instskip(NEXT) | instid1(VALU_DEP_3)
	v_fma_f32 v5, v192, v128, -v5
	v_add_f32_e32 v1, v1, v231
	v_mul_f32_e32 v3, v197, v133
	v_fma_f32 v4, v194, v130, -v4
	s_delay_alu instid0(VALU_DEP_4) | instskip(NEXT) | instid1(VALU_DEP_3)
	v_dual_add_f32 v2, v2, v5 :: v_dual_mul_f32 v5, v199, v135
	v_fma_f32 v3, v196, v132, -v3
	s_delay_alu instid0(VALU_DEP_2) | instskip(SKIP_3) | instid1(VALU_DEP_4)
	v_add_f32_e32 v2, v2, v4
	v_add_f32_e32 v1, v1, v232
	v_mul_f32_e32 v4, v201, v137
	v_fma_f32 v5, v198, v134, -v5
	v_dual_add_f32 v2, v2, v3 :: v_dual_fmac_f32 v241, v199, v134
	v_mul_f32_e32 v3, v203, v139
	s_delay_alu instid0(VALU_DEP_4) | instskip(NEXT) | instid1(VALU_DEP_3)
	v_fma_f32 v4, v200, v136, -v4
	v_add_f32_e32 v2, v2, v5
	v_add_f32_e32 v1, v1, v233
	s_delay_alu instid0(VALU_DEP_4) | instskip(NEXT) | instid1(VALU_DEP_3)
	v_fma_f32 v3, v202, v138, -v3
	v_dual_add_f32 v2, v2, v4 :: v_dual_mul_f32 v5, v205, v141
	s_delay_alu instid0(VALU_DEP_3) | instskip(NEXT) | instid1(VALU_DEP_2)
	v_dual_add_f32 v1, v1, v234 :: v_dual_mul_f32 v4, v207, v143
	v_add_f32_e32 v2, v2, v3
	s_delay_alu instid0(VALU_DEP_3) | instskip(NEXT) | instid1(VALU_DEP_3)
	v_fma_f32 v5, v204, v140, -v5
	v_add_f32_e32 v1, v1, v235
	v_mul_f32_e32 v3, v209, v145
	v_fma_f32 v4, v206, v142, -v4
	s_delay_alu instid0(VALU_DEP_4) | instskip(NEXT) | instid1(VALU_DEP_3)
	v_dual_add_f32 v2, v2, v5 :: v_dual_mul_f32 v5, v211, v147
	v_fma_f32 v3, v208, v144, -v3
	s_delay_alu instid0(VALU_DEP_2) | instskip(SKIP_3) | instid1(VALU_DEP_4)
	v_add_f32_e32 v2, v2, v4
	v_add_f32_e32 v1, v1, v236
	v_mul_f32_e32 v4, v213, v149
	v_fma_f32 v5, v210, v146, -v5
	v_dual_add_f32 v2, v2, v3 :: v_dual_fmac_f32 v247, v211, v146
	v_mul_f32_e32 v3, v215, v151
	s_delay_alu instid0(VALU_DEP_4) | instskip(NEXT) | instid1(VALU_DEP_3)
	v_fma_f32 v4, v212, v148, -v4
	v_add_f32_e32 v2, v2, v5
	v_add_f32_e32 v1, v1, v237
	s_delay_alu instid0(VALU_DEP_4) | instskip(NEXT) | instid1(VALU_DEP_2)
	v_fma_f32 v3, v214, v150, -v3
	v_dual_add_f32 v2, v2, v4 :: v_dual_add_f32 v1, v1, v238
	v_dual_mul_f32 v4, v219, v155 :: v_dual_mul_f32 v5, v217, v153
	s_delay_alu instid0(VALU_DEP_2) | instskip(NEXT) | instid1(VALU_DEP_2)
	v_add_f32_e32 v2, v2, v3
	v_fma_f32 v3, v218, v154, -v4
	s_delay_alu instid0(VALU_DEP_3) | instskip(NEXT) | instid1(VALU_DEP_1)
	v_fma_f32 v5, v216, v152, -v5
	v_dual_add_f32 v1, v1, v239 :: v_dual_add_f32 v2, v2, v5
	s_delay_alu instid0(VALU_DEP_1) | instskip(NEXT) | instid1(VALU_DEP_1)
	v_dual_add_f32 v1, v1, v240 :: v_dual_add_f32 v2, v2, v3
	v_add_f32_e32 v1, v1, v241
	s_delay_alu instid0(VALU_DEP_1) | instskip(NEXT) | instid1(VALU_DEP_1)
	v_add_f32_e32 v1, v1, v242
	v_add_f32_e32 v1, v1, v243
	s_delay_alu instid0(VALU_DEP_1) | instskip(NEXT) | instid1(VALU_DEP_1)
	v_add_f32_e32 v1, v1, v244
	;; [unrolled: 3-line block ×5, first 2 shown]
	v_add_f32_e32 v3, v1, v251
	s_wait_loadcnt 0x0
	s_delay_alu instid0(VALU_DEP_1)
	v_dual_sub_f32 v1, v220, v2 :: v_dual_sub_f32 v2, v221, v3
	scratch_store_b64 off, v[1:2], off offset:88
	v_cmpx_lt_u32_e32 10, v0
	s_cbranch_execz .LBB43_257
; %bb.256:
	scratch_load_b64 v[1:2], off, off offset:80
	v_mov_b32_e32 v3, 0
	s_delay_alu instid0(VALU_DEP_1)
	v_mov_b32_e32 v4, v3
	scratch_store_b64 off, v[3:4], off offset:80
	s_wait_loadcnt 0x0
	ds_store_b64 v23, v[1:2]
.LBB43_257:
	s_wait_alu 0xfffe
	s_or_b32 exec_lo, exec_lo, s0
	s_wait_storecnt_dscnt 0x0
	s_barrier_signal -1
	s_barrier_wait -1
	global_inv scope:SCOPE_SE
	s_clause 0x4
	scratch_load_b128 v[5:8], off, off offset:88
	scratch_load_b128 v[1:4], off, off offset:104
	;; [unrolled: 1-line block ×5, first 2 shown]
	v_mov_b32_e32 v21, 0
	ds_load_2addr_b64 v[24:27], v21 offset0:55 offset1:56
	ds_load_2addr_b64 v[116:119], v21 offset0:57 offset1:58
	ds_load_2addr_b64 v[120:123], v21 offset0:59 offset1:60
	scratch_load_b64 v[124:125], off, off offset:80
	s_mov_b32 s0, exec_lo
	s_wait_loadcnt_dscnt 0x502
	v_mul_f32_e32 v22, v25, v6
	v_dual_mul_f32 v126, v24, v6 :: v_dual_mul_f32 v127, v26, v8
	v_mul_f32_e32 v6, v27, v8
	s_delay_alu instid0(VALU_DEP_3) | instskip(NEXT) | instid1(VALU_DEP_3)
	v_fma_f32 v22, v24, v5, -v22
	v_dual_fmac_f32 v126, v25, v5 :: v_dual_fmac_f32 v127, v27, v7
	s_wait_loadcnt_dscnt 0x401
	v_mul_f32_e32 v25, v116, v2
	v_fma_f32 v24, v26, v7, -v6
	ds_load_2addr_b64 v[5:8], v21 offset0:61 offset1:62
	s_wait_loadcnt_dscnt 0x301
	v_dual_mul_f32 v26, v118, v4 :: v_dual_mul_f32 v27, v120, v10
	v_dual_mul_f32 v4, v119, v4 :: v_dual_fmac_f32 v25, v117, v1
	v_mul_f32_e32 v10, v121, v10
	s_delay_alu instid0(VALU_DEP_3)
	v_dual_mul_f32 v128, v122, v12 :: v_dual_fmac_f32 v27, v121, v9
	v_mul_f32_e32 v12, v123, v12
	v_mul_f32_e32 v2, v117, v2
	v_fmac_f32_e32 v26, v119, v3
	v_fma_f32 v117, v118, v3, -v4
	v_fma_f32 v118, v120, v9, -v10
	v_fmac_f32_e32 v128, v123, v11
	v_fma_f32 v119, v122, v11, -v12
	ds_load_2addr_b64 v[9:12], v21 offset0:63 offset1:64
	s_wait_loadcnt_dscnt 0x201
	v_mul_f32_e32 v121, v7, v16
	v_fma_f32 v116, v116, v1, -v2
	scratch_load_b128 v[1:4], off, off offset:168
	v_mul_f32_e32 v120, v5, v14
	v_mul_f32_e32 v14, v6, v14
	;; [unrolled: 1-line block ×3, first 2 shown]
	s_delay_alu instid0(VALU_DEP_3) | instskip(NEXT) | instid1(VALU_DEP_3)
	v_dual_fmac_f32 v121, v8, v15 :: v_dual_fmac_f32 v120, v6, v13
	v_fma_f32 v13, v5, v13, -v14
	s_delay_alu instid0(VALU_DEP_3)
	v_fma_f32 v14, v7, v15, -v16
	ds_load_2addr_b64 v[5:8], v21 offset0:65 offset1:66
	s_wait_loadcnt_dscnt 0x201
	v_mul_f32_e32 v15, v9, v18
	v_mul_f32_e32 v16, v10, v18
	;; [unrolled: 1-line block ×3, first 2 shown]
	s_delay_alu instid0(VALU_DEP_3) | instskip(NEXT) | instid1(VALU_DEP_3)
	v_dual_mul_f32 v20, v12, v20 :: v_dual_fmac_f32 v15, v10, v17
	v_fma_f32 v16, v9, v17, -v16
	s_delay_alu instid0(VALU_DEP_3) | instskip(NEXT) | instid1(VALU_DEP_3)
	v_fmac_f32_e32 v18, v12, v19
	v_fma_f32 v17, v11, v19, -v20
	scratch_load_b128 v[9:12], off, off offset:184
	s_wait_loadcnt_dscnt 0x100
	v_mul_f32_e32 v19, v5, v2
	v_mul_f32_e32 v2, v6, v2
	v_mul_f32_e32 v20, v7, v4
	s_delay_alu instid0(VALU_DEP_3) | instskip(NEXT) | instid1(VALU_DEP_3)
	v_dual_mul_f32 v4, v8, v4 :: v_dual_fmac_f32 v19, v6, v1
	v_fma_f32 v122, v5, v1, -v2
	s_delay_alu instid0(VALU_DEP_3) | instskip(NEXT) | instid1(VALU_DEP_3)
	v_fmac_f32_e32 v20, v8, v3
	v_fma_f32 v123, v7, v3, -v4
	ds_load_2addr_b64 v[1:4], v21 offset0:67 offset1:68
	ds_load_2addr_b64 v[5:8], v21 offset0:69 offset1:70
	s_wait_loadcnt_dscnt 0x1
	v_mul_f32_e32 v129, v1, v10
	v_mul_f32_e32 v10, v2, v10
	s_delay_alu instid0(VALU_DEP_2) | instskip(NEXT) | instid1(VALU_DEP_2)
	v_dual_mul_f32 v130, v3, v12 :: v_dual_fmac_f32 v129, v2, v9
	v_fma_f32 v131, v1, v9, -v10
	v_mul_f32_e32 v1, v4, v12
	s_delay_alu instid0(VALU_DEP_3) | instskip(NEXT) | instid1(VALU_DEP_2)
	v_fmac_f32_e32 v130, v4, v11
	v_fma_f32 v132, v3, v11, -v1
	s_clause 0x1
	scratch_load_b128 v[1:4], off, off offset:200
	scratch_load_b128 v[9:12], off, off offset:216
	s_wait_loadcnt_dscnt 0x100
	v_mul_f32_e32 v133, v5, v2
	v_dual_mul_f32 v2, v6, v2 :: v_dual_mul_f32 v135, v7, v4
	s_delay_alu instid0(VALU_DEP_2) | instskip(NEXT) | instid1(VALU_DEP_2)
	v_fmac_f32_e32 v133, v6, v1
	v_fma_f32 v134, v5, v1, -v2
	v_mul_f32_e32 v1, v8, v4
	s_delay_alu instid0(VALU_DEP_4) | instskip(NEXT) | instid1(VALU_DEP_2)
	v_fmac_f32_e32 v135, v8, v3
	v_fma_f32 v136, v7, v3, -v1
	ds_load_2addr_b64 v[1:4], v21 offset0:71 offset1:72
	ds_load_2addr_b64 v[5:8], v21 offset0:73 offset1:74
	s_wait_loadcnt_dscnt 0x1
	v_mul_f32_e32 v137, v1, v10
	v_mul_f32_e32 v139, v3, v12
	s_delay_alu instid0(VALU_DEP_2) | instskip(NEXT) | instid1(VALU_DEP_2)
	v_fmac_f32_e32 v137, v2, v9
	v_dual_mul_f32 v2, v2, v10 :: v_dual_fmac_f32 v139, v4, v11
	s_delay_alu instid0(VALU_DEP_1) | instskip(SKIP_1) | instid1(VALU_DEP_1)
	v_fma_f32 v138, v1, v9, -v2
	v_mul_f32_e32 v1, v4, v12
	v_fma_f32 v140, v3, v11, -v1
	s_clause 0x1
	scratch_load_b128 v[1:4], off, off offset:232
	scratch_load_b128 v[9:12], off, off offset:248
	s_wait_loadcnt_dscnt 0x100
	v_mul_f32_e32 v141, v5, v2
	v_dual_mul_f32 v143, v7, v4 :: v_dual_mul_f32 v2, v6, v2
	s_delay_alu instid0(VALU_DEP_2) | instskip(NEXT) | instid1(VALU_DEP_2)
	v_fmac_f32_e32 v141, v6, v1
	v_fmac_f32_e32 v143, v8, v3
	s_delay_alu instid0(VALU_DEP_3) | instskip(SKIP_1) | instid1(VALU_DEP_1)
	v_fma_f32 v142, v5, v1, -v2
	v_mul_f32_e32 v1, v8, v4
	v_fma_f32 v144, v7, v3, -v1
	ds_load_2addr_b64 v[1:4], v21 offset0:75 offset1:76
	ds_load_2addr_b64 v[5:8], v21 offset0:77 offset1:78
	s_wait_loadcnt_dscnt 0x1
	v_mul_f32_e32 v145, v1, v10
	v_mul_f32_e32 v147, v3, v12
	s_delay_alu instid0(VALU_DEP_2) | instskip(NEXT) | instid1(VALU_DEP_2)
	v_fmac_f32_e32 v145, v2, v9
	v_dual_mul_f32 v2, v2, v10 :: v_dual_fmac_f32 v147, v4, v11
	s_delay_alu instid0(VALU_DEP_1) | instskip(SKIP_1) | instid1(VALU_DEP_1)
	v_fma_f32 v146, v1, v9, -v2
	v_mul_f32_e32 v1, v4, v12
	v_fma_f32 v148, v3, v11, -v1
	s_clause 0x1
	scratch_load_b128 v[1:4], off, off offset:264
	scratch_load_b128 v[9:12], off, off offset:280
	s_wait_loadcnt_dscnt 0x100
	v_mul_f32_e32 v149, v5, v2
	v_mul_f32_e32 v2, v6, v2
	s_delay_alu instid0(VALU_DEP_1) | instskip(SKIP_1) | instid1(VALU_DEP_1)
	v_fma_f32 v150, v5, v1, -v2
	v_add_f32_e32 v2, 0, v126
	v_add_f32_e32 v2, v2, v127
	s_delay_alu instid0(VALU_DEP_1) | instskip(NEXT) | instid1(VALU_DEP_1)
	v_add_f32_e32 v2, v2, v25
	v_add_f32_e32 v2, v2, v26
	s_delay_alu instid0(VALU_DEP_1) | instskip(NEXT) | instid1(VALU_DEP_1)
	;; [unrolled: 3-line block ×3, first 2 shown]
	v_add_f32_e32 v2, v2, v120
	v_dual_mul_f32 v151, v7, v4 :: v_dual_add_f32 v2, v2, v121
	s_delay_alu instid0(VALU_DEP_1) | instskip(NEXT) | instid1(VALU_DEP_1)
	v_add_f32_e32 v5, v2, v15
	v_add_f32_e32 v5, v5, v18
	s_delay_alu instid0(VALU_DEP_1) | instskip(SKIP_2) | instid1(VALU_DEP_1)
	v_add_f32_e32 v5, v5, v19
	v_fmac_f32_e32 v149, v6, v1
	v_mul_f32_e32 v1, v8, v4
	v_fma_f32 v152, v7, v3, -v1
	v_add_f32_e32 v1, 0, v22
	s_delay_alu instid0(VALU_DEP_1) | instskip(NEXT) | instid1(VALU_DEP_1)
	v_add_f32_e32 v1, v1, v24
	v_add_f32_e32 v1, v1, v116
	s_delay_alu instid0(VALU_DEP_1) | instskip(SKIP_2) | instid1(VALU_DEP_1)
	v_add_f32_e32 v1, v1, v117
	scratch_load_b64 v[116:117], off, off offset:344
	v_add_f32_e32 v1, v1, v118
	v_add_f32_e32 v1, v1, v119
	s_delay_alu instid0(VALU_DEP_1) | instskip(NEXT) | instid1(VALU_DEP_1)
	v_add_f32_e32 v1, v1, v13
	v_add_f32_e32 v1, v1, v14
	s_delay_alu instid0(VALU_DEP_1) | instskip(NEXT) | instid1(VALU_DEP_1)
	v_add_f32_e32 v1, v1, v16
	v_dual_fmac_f32 v151, v8, v3 :: v_dual_add_f32 v6, v1, v17
	ds_load_2addr_b64 v[1:4], v21 offset0:79 offset1:80
	v_add_f32_e32 v6, v6, v122
	s_delay_alu instid0(VALU_DEP_1) | instskip(NEXT) | instid1(VALU_DEP_1)
	v_add_f32_e32 v13, v6, v123
	v_add_f32_e32 v13, v13, v131
	s_delay_alu instid0(VALU_DEP_1) | instskip(NEXT) | instid1(VALU_DEP_1)
	v_add_f32_e32 v13, v13, v132
	;; [unrolled: 3-line block ×3, first 2 shown]
	v_add_f32_e32 v18, v18, v138
	v_add_f32_e32 v14, v5, v20
	ds_load_2addr_b64 v[5:8], v21 offset0:81 offset1:82
	s_wait_loadcnt_dscnt 0x101
	v_mul_f32_e32 v22, v1, v10
	v_mul_f32_e32 v10, v2, v10
	v_mul_f32_e32 v120, v3, v12
	v_mul_f32_e32 v12, v4, v12
	v_add_f32_e32 v14, v14, v129
	v_fmac_f32_e32 v22, v2, v9
	v_fma_f32 v121, v1, v9, -v10
	v_fmac_f32_e32 v120, v4, v11
	v_fma_f32 v122, v3, v11, -v12
	s_clause 0x1
	scratch_load_b128 v[1:4], off, off offset:296
	scratch_load_b128 v[9:12], off, off offset:312
	v_add_f32_e32 v14, v14, v130
	v_add_f32_e32 v18, v18, v140
	s_delay_alu instid0(VALU_DEP_2) | instskip(SKIP_2) | instid1(VALU_DEP_1)
	v_add_f32_e32 v17, v14, v133
	scratch_load_b128 v[13:16], off, off offset:328
	v_dual_add_f32 v18, v18, v142 :: v_dual_add_f32 v17, v17, v135
	v_dual_add_f32 v18, v18, v144 :: v_dual_add_f32 v17, v17, v137
	s_delay_alu instid0(VALU_DEP_1) | instskip(NEXT) | instid1(VALU_DEP_1)
	v_add_f32_e32 v118, v18, v146
	v_add_f32_e32 v123, v118, v148
	s_wait_loadcnt_dscnt 0x200
	v_mul_f32_e32 v127, v5, v2
	v_dual_mul_f32 v2, v6, v2 :: v_dual_add_f32 v17, v17, v139
	v_mul_f32_e32 v128, v7, v4
	v_mul_f32_e32 v4, v8, v4
	s_delay_alu instid0(VALU_DEP_3) | instskip(NEXT) | instid1(VALU_DEP_3)
	v_fma_f32 v2, v5, v1, -v2
	v_dual_add_f32 v17, v17, v141 :: v_dual_fmac_f32 v128, v8, v3
	s_delay_alu instid0(VALU_DEP_1)
	v_add_f32_e32 v24, v17, v143
	ds_load_2addr_b64 v[17:20], v21 offset0:83 offset1:84
	v_add_f32_e32 v119, v24, v145
	ds_load_2addr_b64 v[24:27], v21 offset0:85 offset1:86
	v_add_f32_e32 v123, v123, v150
	v_add_f32_e32 v126, v119, v147
	ds_load_b64 v[118:119], v21 offset:696
	v_add_f32_e32 v126, v126, v149
	s_delay_alu instid0(VALU_DEP_1) | instskip(SKIP_1) | instid1(VALU_DEP_1)
	v_dual_add_f32 v126, v126, v151 :: v_dual_add_f32 v123, v123, v152
	s_wait_loadcnt_dscnt 0x102
	v_dual_mul_f32 v5, v20, v12 :: v_dual_add_f32 v22, v126, v22
	s_delay_alu instid0(VALU_DEP_2) | instskip(SKIP_1) | instid1(VALU_DEP_2)
	v_add_f32_e32 v121, v123, v121
	v_dual_mul_f32 v126, v19, v12 :: v_dual_mul_f32 v123, v17, v10
	v_dual_add_f32 v22, v22, v120 :: v_dual_add_f32 v121, v121, v122
	v_fmac_f32_e32 v127, v6, v1
	v_fma_f32 v1, v7, v3, -v4
	s_wait_loadcnt_dscnt 0x1
	v_mul_f32_e32 v122, v26, v16
	s_wait_dscnt 0x0
	v_mul_f32_e32 v120, v118, v117
	v_add_f32_e32 v2, v121, v2
	v_dual_mul_f32 v129, v24, v14 :: v_dual_add_f32 v4, v22, v127
	v_mul_f32_e32 v3, v18, v10
	v_dual_fmac_f32 v123, v18, v9 :: v_dual_fmac_f32 v126, v20, v11
	s_delay_alu instid0(VALU_DEP_4) | instskip(NEXT) | instid1(VALU_DEP_4)
	v_dual_add_f32 v1, v2, v1 :: v_dual_fmac_f32 v122, v27, v15
	v_add_f32_e32 v2, v4, v128
	s_delay_alu instid0(VALU_DEP_4)
	v_fma_f32 v3, v17, v9, -v3
	v_mul_f32_e32 v4, v25, v14
	v_fma_f32 v5, v19, v11, -v5
	v_dual_fmac_f32 v129, v25, v13 :: v_dual_fmac_f32 v120, v119, v116
	v_add_f32_e32 v2, v2, v123
	v_add_f32_e32 v1, v1, v3
	v_mul_f32_e32 v3, v27, v16
	v_fma_f32 v4, v24, v13, -v4
	s_delay_alu instid0(VALU_DEP_4) | instskip(NEXT) | instid1(VALU_DEP_3)
	v_add_f32_e32 v2, v2, v126
	v_fma_f32 v3, v26, v15, -v3
	s_delay_alu instid0(VALU_DEP_2) | instskip(NEXT) | instid1(VALU_DEP_1)
	v_add_f32_e32 v2, v2, v129
	v_dual_add_f32 v1, v1, v5 :: v_dual_add_f32 v2, v2, v122
	v_mul_f32_e32 v5, v119, v117
	s_delay_alu instid0(VALU_DEP_2) | instskip(NEXT) | instid1(VALU_DEP_3)
	v_add_f32_e32 v1, v1, v4
	v_add_f32_e32 v2, v2, v120
	s_delay_alu instid0(VALU_DEP_3) | instskip(NEXT) | instid1(VALU_DEP_3)
	v_fma_f32 v4, v118, v116, -v5
	v_add_f32_e32 v1, v1, v3
	s_delay_alu instid0(VALU_DEP_3) | instskip(NEXT) | instid1(VALU_DEP_2)
	v_sub_f32_e32 v2, v125, v2
	v_add_f32_e32 v1, v1, v4
	s_delay_alu instid0(VALU_DEP_1)
	v_sub_f32_e32 v1, v124, v1
	scratch_store_b64 off, v[1:2], off offset:80
	v_cmpx_lt_u32_e32 9, v0
	s_cbranch_execz .LBB43_259
; %bb.258:
	scratch_load_b64 v[1:2], off, off offset:72
	v_mov_b32_e32 v22, v21
	scratch_store_b64 off, v[21:22], off offset:72
	s_wait_loadcnt 0x0
	ds_store_b64 v23, v[1:2]
.LBB43_259:
	s_wait_alu 0xfffe
	s_or_b32 exec_lo, exec_lo, s0
	s_wait_storecnt_dscnt 0x0
	s_barrier_signal -1
	s_barrier_wait -1
	global_inv scope:SCOPE_SE
	s_clause 0x4
	scratch_load_b128 v[5:8], off, off offset:80
	scratch_load_b128 v[1:4], off, off offset:96
	;; [unrolled: 1-line block ×5, first 2 shown]
	ds_load_b128 v[24:27], v21 offset:432
	ds_load_b128 v[116:119], v21 offset:448
	;; [unrolled: 1-line block ×3, first 2 shown]
	scratch_load_b64 v[124:125], off, off offset:72
	s_mov_b32 s0, exec_lo
	s_wait_loadcnt_dscnt 0x502
	v_dual_mul_f32 v22, v25, v6 :: v_dual_mul_f32 v127, v26, v8
	v_mul_f32_e32 v126, v24, v6
	v_mul_f32_e32 v6, v27, v8
	s_wait_loadcnt_dscnt 0x300
	v_mul_f32_e32 v128, v122, v12
	v_fma_f32 v22, v24, v5, -v22
	v_dual_fmac_f32 v127, v27, v7 :: v_dual_fmac_f32 v126, v25, v5
	v_mul_f32_e32 v27, v120, v10
	v_mul_f32_e32 v25, v116, v2
	v_fma_f32 v24, v26, v7, -v6
	ds_load_b128 v[5:8], v21 offset:480
	v_mul_f32_e32 v26, v118, v4
	v_dual_mul_f32 v4, v119, v4 :: v_dual_fmac_f32 v27, v121, v9
	v_mul_f32_e32 v10, v121, v10
	v_mul_f32_e32 v12, v123, v12
	;; [unrolled: 1-line block ×3, first 2 shown]
	v_dual_fmac_f32 v25, v117, v1 :: v_dual_fmac_f32 v26, v119, v3
	v_fma_f32 v117, v118, v3, -v4
	v_fma_f32 v118, v120, v9, -v10
	v_fmac_f32_e32 v128, v123, v11
	v_fma_f32 v119, v122, v11, -v12
	ds_load_b128 v[9:12], v21 offset:496
	s_wait_loadcnt_dscnt 0x201
	v_mul_f32_e32 v121, v7, v16
	v_fma_f32 v116, v116, v1, -v2
	scratch_load_b128 v[1:4], off, off offset:160
	v_mul_f32_e32 v120, v5, v14
	v_mul_f32_e32 v14, v6, v14
	;; [unrolled: 1-line block ×3, first 2 shown]
	s_delay_alu instid0(VALU_DEP_3) | instskip(NEXT) | instid1(VALU_DEP_3)
	v_dual_fmac_f32 v121, v8, v15 :: v_dual_fmac_f32 v120, v6, v13
	v_fma_f32 v13, v5, v13, -v14
	s_delay_alu instid0(VALU_DEP_3)
	v_fma_f32 v14, v7, v15, -v16
	ds_load_b128 v[5:8], v21 offset:512
	s_wait_loadcnt_dscnt 0x201
	v_mul_f32_e32 v15, v9, v18
	v_mul_f32_e32 v16, v10, v18
	;; [unrolled: 1-line block ×3, first 2 shown]
	s_delay_alu instid0(VALU_DEP_3) | instskip(NEXT) | instid1(VALU_DEP_3)
	v_dual_mul_f32 v20, v12, v20 :: v_dual_fmac_f32 v15, v10, v17
	v_fma_f32 v16, v9, v17, -v16
	s_delay_alu instid0(VALU_DEP_3) | instskip(NEXT) | instid1(VALU_DEP_3)
	v_fmac_f32_e32 v18, v12, v19
	v_fma_f32 v17, v11, v19, -v20
	scratch_load_b128 v[9:12], off, off offset:176
	s_wait_loadcnt_dscnt 0x100
	v_mul_f32_e32 v19, v5, v2
	v_mul_f32_e32 v2, v6, v2
	;; [unrolled: 1-line block ×3, first 2 shown]
	s_delay_alu instid0(VALU_DEP_3) | instskip(NEXT) | instid1(VALU_DEP_3)
	v_dual_mul_f32 v4, v8, v4 :: v_dual_fmac_f32 v19, v6, v1
	v_fma_f32 v122, v5, v1, -v2
	s_delay_alu instid0(VALU_DEP_3) | instskip(NEXT) | instid1(VALU_DEP_3)
	v_fmac_f32_e32 v20, v8, v3
	v_fma_f32 v123, v7, v3, -v4
	ds_load_b128 v[1:4], v21 offset:528
	ds_load_b128 v[5:8], v21 offset:544
	s_wait_loadcnt_dscnt 0x1
	v_mul_f32_e32 v129, v1, v10
	v_mul_f32_e32 v10, v2, v10
	s_delay_alu instid0(VALU_DEP_2) | instskip(NEXT) | instid1(VALU_DEP_2)
	v_dual_mul_f32 v130, v3, v12 :: v_dual_fmac_f32 v129, v2, v9
	v_fma_f32 v131, v1, v9, -v10
	v_mul_f32_e32 v1, v4, v12
	s_delay_alu instid0(VALU_DEP_3) | instskip(NEXT) | instid1(VALU_DEP_2)
	v_fmac_f32_e32 v130, v4, v11
	v_fma_f32 v132, v3, v11, -v1
	s_clause 0x1
	scratch_load_b128 v[1:4], off, off offset:192
	scratch_load_b128 v[9:12], off, off offset:208
	s_wait_loadcnt_dscnt 0x100
	v_mul_f32_e32 v133, v5, v2
	v_dual_mul_f32 v2, v6, v2 :: v_dual_mul_f32 v135, v7, v4
	s_delay_alu instid0(VALU_DEP_2) | instskip(NEXT) | instid1(VALU_DEP_2)
	v_fmac_f32_e32 v133, v6, v1
	v_fma_f32 v134, v5, v1, -v2
	v_mul_f32_e32 v1, v8, v4
	s_delay_alu instid0(VALU_DEP_4) | instskip(NEXT) | instid1(VALU_DEP_2)
	v_fmac_f32_e32 v135, v8, v3
	v_fma_f32 v136, v7, v3, -v1
	ds_load_b128 v[1:4], v21 offset:560
	ds_load_b128 v[5:8], v21 offset:576
	s_wait_loadcnt_dscnt 0x1
	v_mul_f32_e32 v137, v1, v10
	v_mul_f32_e32 v139, v3, v12
	s_delay_alu instid0(VALU_DEP_2) | instskip(NEXT) | instid1(VALU_DEP_2)
	v_fmac_f32_e32 v137, v2, v9
	v_dual_mul_f32 v2, v2, v10 :: v_dual_fmac_f32 v139, v4, v11
	s_delay_alu instid0(VALU_DEP_1) | instskip(SKIP_1) | instid1(VALU_DEP_1)
	v_fma_f32 v138, v1, v9, -v2
	v_mul_f32_e32 v1, v4, v12
	v_fma_f32 v140, v3, v11, -v1
	s_clause 0x1
	scratch_load_b128 v[1:4], off, off offset:224
	scratch_load_b128 v[9:12], off, off offset:240
	s_wait_loadcnt_dscnt 0x100
	v_mul_f32_e32 v141, v5, v2
	v_dual_mul_f32 v2, v6, v2 :: v_dual_mul_f32 v143, v7, v4
	s_delay_alu instid0(VALU_DEP_2) | instskip(NEXT) | instid1(VALU_DEP_2)
	v_fmac_f32_e32 v141, v6, v1
	v_fma_f32 v142, v5, v1, -v2
	v_mul_f32_e32 v1, v8, v4
	s_delay_alu instid0(VALU_DEP_4) | instskip(NEXT) | instid1(VALU_DEP_2)
	v_fmac_f32_e32 v143, v8, v3
	v_fma_f32 v144, v7, v3, -v1
	ds_load_b128 v[1:4], v21 offset:592
	ds_load_b128 v[5:8], v21 offset:608
	s_wait_loadcnt_dscnt 0x1
	v_mul_f32_e32 v145, v1, v10
	v_mul_f32_e32 v147, v3, v12
	s_delay_alu instid0(VALU_DEP_2) | instskip(NEXT) | instid1(VALU_DEP_2)
	v_fmac_f32_e32 v145, v2, v9
	v_dual_mul_f32 v2, v2, v10 :: v_dual_fmac_f32 v147, v4, v11
	s_delay_alu instid0(VALU_DEP_1) | instskip(SKIP_1) | instid1(VALU_DEP_1)
	v_fma_f32 v146, v1, v9, -v2
	v_mul_f32_e32 v1, v4, v12
	v_fma_f32 v148, v3, v11, -v1
	s_clause 0x1
	scratch_load_b128 v[1:4], off, off offset:256
	scratch_load_b128 v[9:12], off, off offset:272
	s_wait_loadcnt_dscnt 0x100
	v_mul_f32_e32 v149, v5, v2
	v_mul_f32_e32 v2, v6, v2
	s_delay_alu instid0(VALU_DEP_1) | instskip(SKIP_1) | instid1(VALU_DEP_1)
	v_fma_f32 v150, v5, v1, -v2
	v_add_f32_e32 v2, 0, v126
	v_add_f32_e32 v2, v2, v127
	s_delay_alu instid0(VALU_DEP_1) | instskip(NEXT) | instid1(VALU_DEP_1)
	v_dual_add_f32 v2, v2, v25 :: v_dual_mul_f32 v151, v7, v4
	v_add_f32_e32 v2, v2, v26
	s_delay_alu instid0(VALU_DEP_1) | instskip(NEXT) | instid1(VALU_DEP_3)
	v_add_f32_e32 v2, v2, v27
	v_fmac_f32_e32 v151, v8, v3
	v_fmac_f32_e32 v149, v6, v1
	s_delay_alu instid0(VALU_DEP_3) | instskip(NEXT) | instid1(VALU_DEP_1)
	v_add_f32_e32 v2, v2, v128
	v_add_f32_e32 v2, v2, v120
	s_delay_alu instid0(VALU_DEP_1) | instskip(NEXT) | instid1(VALU_DEP_1)
	v_dual_mul_f32 v1, v8, v4 :: v_dual_add_f32 v2, v2, v121
	v_fma_f32 v152, v7, v3, -v1
	s_delay_alu instid0(VALU_DEP_2) | instskip(NEXT) | instid1(VALU_DEP_1)
	v_dual_add_f32 v1, 0, v22 :: v_dual_add_f32 v2, v2, v15
	v_add_f32_e32 v1, v1, v24
	s_delay_alu instid0(VALU_DEP_2) | instskip(NEXT) | instid1(VALU_DEP_2)
	v_add_f32_e32 v5, v2, v18
	v_add_f32_e32 v1, v1, v116
	s_delay_alu instid0(VALU_DEP_1) | instskip(NEXT) | instid1(VALU_DEP_1)
	v_add_f32_e32 v1, v1, v117
	v_add_f32_e32 v1, v1, v118
	s_delay_alu instid0(VALU_DEP_1) | instskip(NEXT) | instid1(VALU_DEP_1)
	v_add_f32_e32 v1, v1, v119
	v_add_f32_e32 v1, v1, v13
	;; [unrolled: 1-line block ×3, first 2 shown]
	s_delay_alu instid0(VALU_DEP_2) | instskip(NEXT) | instid1(VALU_DEP_2)
	v_add_f32_e32 v1, v1, v14
	v_add_f32_e32 v13, v13, v20
	s_delay_alu instid0(VALU_DEP_2) | instskip(NEXT) | instid1(VALU_DEP_1)
	v_add_f32_e32 v1, v1, v16
	v_add_f32_e32 v1, v1, v17
	s_delay_alu instid0(VALU_DEP_1) | instskip(SKIP_4) | instid1(VALU_DEP_1)
	v_add_f32_e32 v6, v1, v122
	ds_load_b128 v[1:4], v21 offset:624
	v_add_f32_e32 v14, v6, v123
	scratch_load_b128 v[5:8], off, off offset:288
	v_dual_add_f32 v13, v13, v129 :: v_dual_add_f32 v14, v14, v131
	v_dual_add_f32 v18, v13, v130 :: v_dual_add_f32 v17, v14, v132
	ds_load_b128 v[13:16], v21 offset:640
	v_add_f32_e32 v18, v18, v133
	s_wait_loadcnt_dscnt 0x101
	v_mul_f32_e32 v22, v1, v10
	s_delay_alu instid0(VALU_DEP_2)
	v_add_f32_e32 v18, v18, v135
	v_mul_f32_e32 v10, v2, v10
	v_mul_f32_e32 v116, v3, v12
	;; [unrolled: 1-line block ×3, first 2 shown]
	v_fmac_f32_e32 v22, v2, v9
	v_add_f32_e32 v24, v18, v137
	v_fma_f32 v117, v1, v9, -v10
	v_fmac_f32_e32 v116, v4, v11
	v_fma_f32 v118, v3, v11, -v12
	scratch_load_b128 v[1:4], off, off offset:304
	v_dual_add_f32 v24, v24, v139 :: v_dual_add_f32 v17, v17, v134
	scratch_load_b128 v[9:12], off, off offset:320
	s_wait_loadcnt_dscnt 0x200
	v_dual_add_f32 v24, v24, v141 :: v_dual_mul_f32 v119, v13, v6
	v_mul_f32_e32 v120, v15, v8
	v_add_f32_e32 v17, v17, v136
	v_mul_f32_e32 v8, v16, v8
	v_mul_f32_e32 v6, v14, v6
	s_delay_alu instid0(VALU_DEP_4) | instskip(NEXT) | instid1(VALU_DEP_4)
	v_dual_fmac_f32 v119, v14, v5 :: v_dual_fmac_f32 v120, v16, v7
	v_add_f32_e32 v17, v17, v138
	s_delay_alu instid0(VALU_DEP_4) | instskip(NEXT) | instid1(VALU_DEP_4)
	v_fma_f32 v122, v15, v7, -v8
	v_fma_f32 v121, v13, v5, -v6
	ds_load_b128 v[5:8], v21 offset:656
	v_add_f32_e32 v25, v17, v140
	scratch_load_b128 v[17:20], off, off offset:336
	v_add_f32_e32 v25, v25, v142
	s_delay_alu instid0(VALU_DEP_1) | instskip(NEXT) | instid1(VALU_DEP_1)
	v_add_f32_e32 v25, v25, v144
	v_dual_add_f32 v13, v24, v143 :: v_dual_add_f32 v24, v25, v146
	s_delay_alu instid0(VALU_DEP_1)
	v_add_f32_e32 v25, v13, v145
	ds_load_b128 v[13:16], v21 offset:672
	v_dual_add_f32 v123, v24, v148 :: v_dual_add_f32 v126, v25, v147
	ds_load_b128 v[24:27], v21 offset:688
	v_add_f32_e32 v21, v123, v150
	s_wait_loadcnt_dscnt 0x202
	v_dual_add_f32 v123, v126, v149 :: v_dual_mul_f32 v126, v5, v2
	s_delay_alu instid0(VALU_DEP_1) | instskip(NEXT) | instid1(VALU_DEP_2)
	v_dual_mul_f32 v2, v6, v2 :: v_dual_add_f32 v123, v123, v151
	v_fmac_f32_e32 v126, v6, v1
	s_delay_alu instid0(VALU_DEP_2) | instskip(NEXT) | instid1(VALU_DEP_3)
	v_fma_f32 v2, v5, v1, -v2
	v_add_f32_e32 v22, v123, v22
	s_wait_loadcnt_dscnt 0x101
	v_mul_f32_e32 v123, v13, v10
	v_mul_f32_e32 v6, v14, v10
	s_delay_alu instid0(VALU_DEP_3) | instskip(NEXT) | instid1(VALU_DEP_1)
	v_add_f32_e32 v22, v22, v116
	v_dual_add_f32 v21, v21, v152 :: v_dual_add_f32 v22, v22, v119
	s_delay_alu instid0(VALU_DEP_1) | instskip(SKIP_4) | instid1(VALU_DEP_1)
	v_add_f32_e32 v21, v21, v117
	v_mul_f32_e32 v117, v7, v4
	v_mul_f32_e32 v4, v8, v4
	s_wait_loadcnt_dscnt 0x0
	v_dual_mul_f32 v116, v24, v18 :: v_dual_add_f32 v5, v22, v120
	v_dual_fmac_f32 v116, v25, v17 :: v_dual_fmac_f32 v117, v8, v3
	v_add_f32_e32 v21, v21, v118
	v_fma_f32 v3, v7, v3, -v4
	v_dual_mul_f32 v4, v16, v12 :: v_dual_fmac_f32 v123, v14, v9
	v_mul_f32_e32 v127, v15, v12
	s_delay_alu instid0(VALU_DEP_4) | instskip(NEXT) | instid1(VALU_DEP_3)
	v_dual_add_f32 v21, v21, v121 :: v_dual_mul_f32 v118, v26, v20
	v_fma_f32 v4, v15, v11, -v4
	s_delay_alu instid0(VALU_DEP_2) | instskip(NEXT) | instid1(VALU_DEP_1)
	v_dual_add_f32 v1, v21, v122 :: v_dual_fmac_f32 v118, v27, v19
	v_add_f32_e32 v1, v1, v2
	v_dual_add_f32 v2, v5, v126 :: v_dual_fmac_f32 v127, v16, v11
	v_fma_f32 v5, v13, v9, -v6
	s_delay_alu instid0(VALU_DEP_2) | instskip(NEXT) | instid1(VALU_DEP_1)
	v_add_f32_e32 v2, v2, v117
	v_add_f32_e32 v2, v2, v123
	s_delay_alu instid0(VALU_DEP_1) | instskip(NEXT) | instid1(VALU_DEP_1)
	v_add_f32_e32 v2, v2, v127
	v_dual_add_f32 v2, v2, v116 :: v_dual_add_f32 v1, v1, v3
	v_mul_f32_e32 v3, v25, v18
	s_delay_alu instid0(VALU_DEP_2) | instskip(SKIP_1) | instid1(VALU_DEP_3)
	v_dual_add_f32 v2, v2, v118 :: v_dual_add_f32 v1, v1, v5
	v_mul_f32_e32 v5, v27, v20
	v_fma_f32 v3, v24, v17, -v3
	s_delay_alu instid0(VALU_DEP_3) | instskip(NEXT) | instid1(VALU_DEP_4)
	v_sub_f32_e32 v2, v125, v2
	v_add_f32_e32 v1, v1, v4
	s_delay_alu instid0(VALU_DEP_4) | instskip(NEXT) | instid1(VALU_DEP_2)
	v_fma_f32 v4, v26, v19, -v5
	v_add_f32_e32 v1, v1, v3
	s_delay_alu instid0(VALU_DEP_1) | instskip(NEXT) | instid1(VALU_DEP_1)
	v_add_f32_e32 v1, v1, v4
	v_sub_f32_e32 v1, v124, v1
	scratch_store_b64 off, v[1:2], off offset:72
	v_cmpx_lt_u32_e32 8, v0
	s_cbranch_execz .LBB43_261
; %bb.260:
	scratch_load_b64 v[1:2], off, off offset:64
	v_mov_b32_e32 v3, 0
	s_delay_alu instid0(VALU_DEP_1)
	v_mov_b32_e32 v4, v3
	scratch_store_b64 off, v[3:4], off offset:64
	s_wait_loadcnt 0x0
	ds_store_b64 v23, v[1:2]
.LBB43_261:
	s_wait_alu 0xfffe
	s_or_b32 exec_lo, exec_lo, s0
	s_wait_storecnt_dscnt 0x0
	s_barrier_signal -1
	s_barrier_wait -1
	global_inv scope:SCOPE_SE
	s_clause 0x4
	scratch_load_b128 v[5:8], off, off offset:72
	scratch_load_b128 v[1:4], off, off offset:88
	;; [unrolled: 1-line block ×5, first 2 shown]
	v_mov_b32_e32 v21, 0
	ds_load_2addr_b64 v[24:27], v21 offset0:53 offset1:54
	ds_load_2addr_b64 v[116:119], v21 offset0:55 offset1:56
	;; [unrolled: 1-line block ×3, first 2 shown]
	scratch_load_b64 v[124:125], off, off offset:64
	s_mov_b32 s0, exec_lo
	s_wait_loadcnt_dscnt 0x502
	v_mul_f32_e32 v22, v25, v6
	v_dual_mul_f32 v126, v24, v6 :: v_dual_mul_f32 v127, v26, v8
	v_mul_f32_e32 v6, v27, v8
	s_delay_alu instid0(VALU_DEP_3) | instskip(NEXT) | instid1(VALU_DEP_3)
	v_fma_f32 v22, v24, v5, -v22
	v_dual_fmac_f32 v126, v25, v5 :: v_dual_fmac_f32 v127, v27, v7
	s_wait_loadcnt_dscnt 0x401
	v_mul_f32_e32 v25, v116, v2
	v_fma_f32 v24, v26, v7, -v6
	ds_load_2addr_b64 v[5:8], v21 offset0:59 offset1:60
	s_wait_loadcnt_dscnt 0x301
	v_dual_mul_f32 v26, v118, v4 :: v_dual_mul_f32 v27, v120, v10
	v_dual_mul_f32 v4, v119, v4 :: v_dual_fmac_f32 v25, v117, v1
	v_mul_f32_e32 v10, v121, v10
	s_delay_alu instid0(VALU_DEP_3)
	v_dual_mul_f32 v128, v122, v12 :: v_dual_fmac_f32 v27, v121, v9
	v_mul_f32_e32 v12, v123, v12
	v_mul_f32_e32 v2, v117, v2
	v_fmac_f32_e32 v26, v119, v3
	v_fma_f32 v117, v118, v3, -v4
	v_fma_f32 v118, v120, v9, -v10
	v_fmac_f32_e32 v128, v123, v11
	v_fma_f32 v119, v122, v11, -v12
	ds_load_2addr_b64 v[9:12], v21 offset0:61 offset1:62
	s_wait_loadcnt_dscnt 0x201
	v_mul_f32_e32 v121, v7, v16
	v_fma_f32 v116, v116, v1, -v2
	scratch_load_b128 v[1:4], off, off offset:152
	v_mul_f32_e32 v120, v5, v14
	v_mul_f32_e32 v14, v6, v14
	;; [unrolled: 1-line block ×3, first 2 shown]
	s_delay_alu instid0(VALU_DEP_3) | instskip(NEXT) | instid1(VALU_DEP_3)
	v_dual_fmac_f32 v121, v8, v15 :: v_dual_fmac_f32 v120, v6, v13
	v_fma_f32 v13, v5, v13, -v14
	s_delay_alu instid0(VALU_DEP_3)
	v_fma_f32 v14, v7, v15, -v16
	ds_load_2addr_b64 v[5:8], v21 offset0:63 offset1:64
	s_wait_loadcnt_dscnt 0x201
	v_mul_f32_e32 v15, v9, v18
	v_mul_f32_e32 v16, v10, v18
	;; [unrolled: 1-line block ×3, first 2 shown]
	s_delay_alu instid0(VALU_DEP_3) | instskip(NEXT) | instid1(VALU_DEP_3)
	v_dual_mul_f32 v20, v12, v20 :: v_dual_fmac_f32 v15, v10, v17
	v_fma_f32 v16, v9, v17, -v16
	s_delay_alu instid0(VALU_DEP_3) | instskip(NEXT) | instid1(VALU_DEP_3)
	v_fmac_f32_e32 v18, v12, v19
	v_fma_f32 v17, v11, v19, -v20
	scratch_load_b128 v[9:12], off, off offset:168
	s_wait_loadcnt_dscnt 0x100
	v_mul_f32_e32 v19, v5, v2
	v_mul_f32_e32 v2, v6, v2
	;; [unrolled: 1-line block ×3, first 2 shown]
	s_delay_alu instid0(VALU_DEP_3) | instskip(NEXT) | instid1(VALU_DEP_3)
	v_dual_mul_f32 v4, v8, v4 :: v_dual_fmac_f32 v19, v6, v1
	v_fma_f32 v122, v5, v1, -v2
	s_delay_alu instid0(VALU_DEP_3) | instskip(NEXT) | instid1(VALU_DEP_3)
	v_fmac_f32_e32 v20, v8, v3
	v_fma_f32 v123, v7, v3, -v4
	ds_load_2addr_b64 v[1:4], v21 offset0:65 offset1:66
	ds_load_2addr_b64 v[5:8], v21 offset0:67 offset1:68
	s_wait_loadcnt_dscnt 0x1
	v_mul_f32_e32 v129, v1, v10
	v_mul_f32_e32 v10, v2, v10
	s_delay_alu instid0(VALU_DEP_2) | instskip(NEXT) | instid1(VALU_DEP_2)
	v_dual_mul_f32 v130, v3, v12 :: v_dual_fmac_f32 v129, v2, v9
	v_fma_f32 v131, v1, v9, -v10
	v_mul_f32_e32 v1, v4, v12
	s_delay_alu instid0(VALU_DEP_3) | instskip(NEXT) | instid1(VALU_DEP_2)
	v_fmac_f32_e32 v130, v4, v11
	v_fma_f32 v132, v3, v11, -v1
	s_clause 0x1
	scratch_load_b128 v[1:4], off, off offset:184
	scratch_load_b128 v[9:12], off, off offset:200
	s_wait_loadcnt_dscnt 0x100
	v_mul_f32_e32 v133, v5, v2
	v_dual_mul_f32 v2, v6, v2 :: v_dual_mul_f32 v135, v7, v4
	s_delay_alu instid0(VALU_DEP_2) | instskip(NEXT) | instid1(VALU_DEP_2)
	v_fmac_f32_e32 v133, v6, v1
	v_fma_f32 v134, v5, v1, -v2
	v_mul_f32_e32 v1, v8, v4
	s_delay_alu instid0(VALU_DEP_4) | instskip(NEXT) | instid1(VALU_DEP_2)
	v_fmac_f32_e32 v135, v8, v3
	v_fma_f32 v136, v7, v3, -v1
	ds_load_2addr_b64 v[1:4], v21 offset0:69 offset1:70
	ds_load_2addr_b64 v[5:8], v21 offset0:71 offset1:72
	s_wait_loadcnt_dscnt 0x1
	v_mul_f32_e32 v137, v1, v10
	v_mul_f32_e32 v139, v3, v12
	s_delay_alu instid0(VALU_DEP_2) | instskip(NEXT) | instid1(VALU_DEP_2)
	v_fmac_f32_e32 v137, v2, v9
	v_dual_mul_f32 v2, v2, v10 :: v_dual_fmac_f32 v139, v4, v11
	s_delay_alu instid0(VALU_DEP_1) | instskip(SKIP_1) | instid1(VALU_DEP_1)
	v_fma_f32 v138, v1, v9, -v2
	v_mul_f32_e32 v1, v4, v12
	v_fma_f32 v140, v3, v11, -v1
	s_clause 0x1
	scratch_load_b128 v[1:4], off, off offset:216
	scratch_load_b128 v[9:12], off, off offset:232
	s_wait_loadcnt_dscnt 0x100
	v_mul_f32_e32 v141, v5, v2
	v_dual_mul_f32 v143, v7, v4 :: v_dual_mul_f32 v2, v6, v2
	s_delay_alu instid0(VALU_DEP_2) | instskip(NEXT) | instid1(VALU_DEP_2)
	v_fmac_f32_e32 v141, v6, v1
	v_fmac_f32_e32 v143, v8, v3
	s_delay_alu instid0(VALU_DEP_3) | instskip(SKIP_1) | instid1(VALU_DEP_1)
	v_fma_f32 v142, v5, v1, -v2
	v_mul_f32_e32 v1, v8, v4
	v_fma_f32 v144, v7, v3, -v1
	ds_load_2addr_b64 v[1:4], v21 offset0:73 offset1:74
	ds_load_2addr_b64 v[5:8], v21 offset0:75 offset1:76
	s_wait_loadcnt_dscnt 0x1
	v_mul_f32_e32 v145, v1, v10
	v_mul_f32_e32 v147, v3, v12
	s_delay_alu instid0(VALU_DEP_2) | instskip(NEXT) | instid1(VALU_DEP_2)
	v_fmac_f32_e32 v145, v2, v9
	v_dual_mul_f32 v2, v2, v10 :: v_dual_fmac_f32 v147, v4, v11
	s_delay_alu instid0(VALU_DEP_1) | instskip(SKIP_1) | instid1(VALU_DEP_1)
	v_fma_f32 v146, v1, v9, -v2
	v_mul_f32_e32 v1, v4, v12
	v_fma_f32 v148, v3, v11, -v1
	s_clause 0x1
	scratch_load_b128 v[1:4], off, off offset:248
	scratch_load_b128 v[9:12], off, off offset:264
	s_wait_loadcnt_dscnt 0x100
	v_mul_f32_e32 v149, v5, v2
	v_mul_f32_e32 v2, v6, v2
	s_delay_alu instid0(VALU_DEP_1) | instskip(SKIP_1) | instid1(VALU_DEP_1)
	v_fma_f32 v150, v5, v1, -v2
	v_add_f32_e32 v2, 0, v126
	v_add_f32_e32 v2, v2, v127
	s_delay_alu instid0(VALU_DEP_1) | instskip(NEXT) | instid1(VALU_DEP_1)
	v_add_f32_e32 v2, v2, v25
	v_add_f32_e32 v2, v2, v26
	s_delay_alu instid0(VALU_DEP_1) | instskip(SKIP_1) | instid1(VALU_DEP_2)
	v_add_f32_e32 v2, v2, v27
	v_fmac_f32_e32 v149, v6, v1
	v_add_f32_e32 v2, v2, v128
	s_delay_alu instid0(VALU_DEP_1) | instskip(NEXT) | instid1(VALU_DEP_1)
	v_add_f32_e32 v2, v2, v120
	v_dual_mul_f32 v151, v7, v4 :: v_dual_add_f32 v2, v2, v121
	s_delay_alu instid0(VALU_DEP_1) | instskip(NEXT) | instid1(VALU_DEP_1)
	v_dual_mul_f32 v1, v8, v4 :: v_dual_add_f32 v2, v2, v15
	v_fma_f32 v152, v7, v3, -v1
	v_add_f32_e32 v1, 0, v22
	s_delay_alu instid0(VALU_DEP_3) | instskip(NEXT) | instid1(VALU_DEP_2)
	v_add_f32_e32 v5, v2, v18
	v_add_f32_e32 v1, v1, v24
	s_delay_alu instid0(VALU_DEP_1) | instskip(NEXT) | instid1(VALU_DEP_1)
	v_add_f32_e32 v1, v1, v116
	v_add_f32_e32 v1, v1, v117
	scratch_load_b64 v[116:117], off, off offset:344
	v_add_f32_e32 v1, v1, v118
	s_delay_alu instid0(VALU_DEP_1) | instskip(NEXT) | instid1(VALU_DEP_1)
	v_add_f32_e32 v1, v1, v119
	v_add_f32_e32 v1, v1, v13
	;; [unrolled: 1-line block ×3, first 2 shown]
	s_delay_alu instid0(VALU_DEP_2) | instskip(NEXT) | instid1(VALU_DEP_2)
	v_add_f32_e32 v1, v1, v14
	v_add_f32_e32 v13, v13, v20
	s_delay_alu instid0(VALU_DEP_2) | instskip(NEXT) | instid1(VALU_DEP_2)
	v_add_f32_e32 v1, v1, v16
	v_add_f32_e32 v13, v13, v129
	v_fmac_f32_e32 v151, v8, v3
	s_delay_alu instid0(VALU_DEP_3) | instskip(NEXT) | instid1(VALU_DEP_3)
	v_add_f32_e32 v1, v1, v17
	v_add_f32_e32 v18, v13, v130
	s_delay_alu instid0(VALU_DEP_2)
	v_add_f32_e32 v6, v1, v122
	scratch_load_b128 v[1:4], off, off offset:280
	v_add_f32_e32 v18, v18, v133
	v_add_f32_e32 v14, v6, v123
	ds_load_2addr_b64 v[5:8], v21 offset0:77 offset1:78
	v_add_f32_e32 v18, v18, v135
	v_add_f32_e32 v14, v14, v131
	s_delay_alu instid0(VALU_DEP_2) | instskip(NEXT) | instid1(VALU_DEP_2)
	v_add_f32_e32 v24, v18, v137
	v_add_f32_e32 v17, v14, v132
	ds_load_2addr_b64 v[13:16], v21 offset0:79 offset1:80
	v_add_f32_e32 v24, v24, v139
	s_delay_alu instid0(VALU_DEP_1)
	v_add_f32_e32 v24, v24, v141
	s_wait_loadcnt_dscnt 0x201
	v_mul_f32_e32 v22, v5, v10
	v_mul_f32_e32 v10, v6, v10
	;; [unrolled: 1-line block ×3, first 2 shown]
	v_dual_mul_f32 v12, v8, v12 :: v_dual_add_f32 v17, v17, v134
	s_delay_alu instid0(VALU_DEP_4) | instskip(NEXT) | instid1(VALU_DEP_4)
	v_fmac_f32_e32 v22, v6, v9
	v_fma_f32 v121, v5, v9, -v10
	s_delay_alu instid0(VALU_DEP_4) | instskip(NEXT) | instid1(VALU_DEP_4)
	v_fmac_f32_e32 v120, v8, v11
	v_fma_f32 v122, v7, v11, -v12
	s_clause 0x1
	scratch_load_b128 v[5:8], off, off offset:296
	scratch_load_b128 v[9:12], off, off offset:312
	v_dual_add_f32 v17, v17, v136 :: v_dual_add_f32 v24, v24, v143
	s_wait_loadcnt_dscnt 0x200
	s_delay_alu instid0(VALU_DEP_1) | instskip(NEXT) | instid1(VALU_DEP_1)
	v_dual_add_f32 v17, v17, v138 :: v_dual_mul_f32 v126, v15, v4
	v_add_f32_e32 v25, v17, v140
	scratch_load_b128 v[17:20], off, off offset:328
	v_mul_f32_e32 v123, v13, v2
	v_mul_f32_e32 v2, v14, v2
	v_dual_fmac_f32 v126, v16, v3 :: v_dual_add_f32 v25, v25, v142
	v_mul_f32_e32 v4, v16, v4
	s_delay_alu instid0(VALU_DEP_3) | instskip(SKIP_1) | instid1(VALU_DEP_4)
	v_fma_f32 v127, v13, v1, -v2
	v_add_f32_e32 v13, v24, v145
	v_add_f32_e32 v25, v25, v144
	s_delay_alu instid0(VALU_DEP_4) | instskip(NEXT) | instid1(VALU_DEP_3)
	v_fma_f32 v128, v15, v3, -v4
	v_add_f32_e32 v24, v13, v147
	s_delay_alu instid0(VALU_DEP_1) | instskip(NEXT) | instid1(VALU_DEP_1)
	v_add_f32_e32 v119, v24, v149
	v_add_f32_e32 v130, v119, v151
	s_delay_alu instid0(VALU_DEP_1) | instskip(NEXT) | instid1(VALU_DEP_1)
	v_add_f32_e32 v22, v130, v22
	v_dual_add_f32 v25, v25, v146 :: v_dual_add_f32 v22, v22, v120
	s_delay_alu instid0(VALU_DEP_1)
	v_dual_fmac_f32 v123, v14, v1 :: v_dual_add_f32 v14, v25, v148
	ds_load_2addr_b64 v[1:4], v21 offset0:81 offset1:82
	ds_load_2addr_b64 v[24:27], v21 offset0:85 offset1:86
	v_add_f32_e32 v22, v22, v123
	v_add_f32_e32 v118, v14, v150
	ds_load_2addr_b64 v[13:16], v21 offset0:83 offset1:84
	v_add_f32_e32 v22, v22, v126
	v_add_f32_e32 v129, v118, v152
	ds_load_b64 v[118:119], v21 offset:696
	s_wait_loadcnt_dscnt 0x203
	v_dual_add_f32 v121, v129, v121 :: v_dual_mul_f32 v120, v3, v8
	s_delay_alu instid0(VALU_DEP_1)
	v_add_f32_e32 v121, v121, v122
	v_dual_mul_f32 v129, v1, v6 :: v_dual_mul_f32 v8, v4, v8
	v_mul_f32_e32 v6, v2, v6
	s_wait_loadcnt_dscnt 0x101
	v_dual_mul_f32 v122, v13, v10 :: v_dual_mul_f32 v123, v15, v12
	v_add_f32_e32 v121, v121, v127
	v_dual_fmac_f32 v129, v2, v5 :: v_dual_fmac_f32 v120, v4, v7
	v_fma_f32 v1, v1, v5, -v6
	v_fma_f32 v2, v3, v7, -v8
	s_delay_alu instid0(VALU_DEP_3) | instskip(SKIP_2) | instid1(VALU_DEP_3)
	v_dual_add_f32 v121, v121, v128 :: v_dual_add_f32 v4, v22, v129
	v_dual_mul_f32 v5, v16, v12 :: v_dual_fmac_f32 v122, v14, v9
	v_mul_f32_e32 v3, v14, v10
	v_add_f32_e32 v1, v121, v1
	s_wait_dscnt 0x0
	v_dual_fmac_f32 v123, v16, v11 :: v_dual_mul_f32 v126, v118, v117
	v_fma_f32 v5, v15, v11, -v5
	s_delay_alu instid0(VALU_DEP_3) | instskip(SKIP_1) | instid1(VALU_DEP_4)
	v_dual_add_f32 v1, v1, v2 :: v_dual_add_f32 v2, v4, v120
	v_fma_f32 v3, v13, v9, -v3
	v_fmac_f32_e32 v126, v119, v116
	s_delay_alu instid0(VALU_DEP_2) | instskip(SKIP_1) | instid1(VALU_DEP_1)
	v_dual_add_f32 v2, v2, v122 :: v_dual_add_f32 v1, v1, v3
	s_wait_loadcnt 0x0
	v_dual_add_f32 v2, v2, v123 :: v_dual_mul_f32 v3, v27, v20
	v_mul_f32_e32 v127, v24, v18
	v_mul_f32_e32 v4, v25, v18
	;; [unrolled: 1-line block ×3, first 2 shown]
	s_delay_alu instid0(VALU_DEP_4) | instskip(NEXT) | instid1(VALU_DEP_4)
	v_fma_f32 v3, v26, v19, -v3
	v_fmac_f32_e32 v127, v25, v17
	s_delay_alu instid0(VALU_DEP_4) | instskip(NEXT) | instid1(VALU_DEP_4)
	v_fma_f32 v4, v24, v17, -v4
	v_dual_fmac_f32 v128, v27, v19 :: v_dual_add_f32 v1, v1, v5
	s_delay_alu instid0(VALU_DEP_3) | instskip(NEXT) | instid1(VALU_DEP_1)
	v_dual_add_f32 v2, v2, v127 :: v_dual_mul_f32 v5, v119, v117
	v_add_f32_e32 v2, v2, v128
	s_delay_alu instid0(VALU_DEP_3) | instskip(NEXT) | instid1(VALU_DEP_3)
	v_add_f32_e32 v1, v1, v4
	v_fma_f32 v4, v118, v116, -v5
	s_delay_alu instid0(VALU_DEP_2) | instskip(NEXT) | instid1(VALU_DEP_1)
	v_dual_add_f32 v2, v2, v126 :: v_dual_add_f32 v1, v1, v3
	v_sub_f32_e32 v2, v125, v2
	s_delay_alu instid0(VALU_DEP_2) | instskip(NEXT) | instid1(VALU_DEP_1)
	v_add_f32_e32 v1, v1, v4
	v_sub_f32_e32 v1, v124, v1
	scratch_store_b64 off, v[1:2], off offset:64
	v_cmpx_lt_u32_e32 7, v0
	s_cbranch_execz .LBB43_263
; %bb.262:
	scratch_load_b64 v[1:2], off, off offset:56
	v_mov_b32_e32 v22, v21
	scratch_store_b64 off, v[21:22], off offset:56
	s_wait_loadcnt 0x0
	ds_store_b64 v23, v[1:2]
.LBB43_263:
	s_wait_alu 0xfffe
	s_or_b32 exec_lo, exec_lo, s0
	s_wait_storecnt_dscnt 0x0
	s_barrier_signal -1
	s_barrier_wait -1
	global_inv scope:SCOPE_SE
	s_clause 0x4
	scratch_load_b128 v[5:8], off, off offset:64
	scratch_load_b128 v[1:4], off, off offset:80
	;; [unrolled: 1-line block ×5, first 2 shown]
	ds_load_b128 v[24:27], v21 offset:416
	ds_load_b128 v[116:119], v21 offset:432
	;; [unrolled: 1-line block ×3, first 2 shown]
	scratch_load_b64 v[124:125], off, off offset:56
	s_mov_b32 s0, exec_lo
	s_wait_loadcnt_dscnt 0x502
	v_dual_mul_f32 v22, v25, v6 :: v_dual_mul_f32 v127, v26, v8
	v_mul_f32_e32 v126, v24, v6
	v_mul_f32_e32 v6, v27, v8
	s_wait_loadcnt_dscnt 0x300
	v_mul_f32_e32 v128, v122, v12
	v_fma_f32 v22, v24, v5, -v22
	v_dual_fmac_f32 v127, v27, v7 :: v_dual_fmac_f32 v126, v25, v5
	v_mul_f32_e32 v27, v120, v10
	v_mul_f32_e32 v25, v116, v2
	v_fma_f32 v24, v26, v7, -v6
	ds_load_b128 v[5:8], v21 offset:464
	v_mul_f32_e32 v26, v118, v4
	v_dual_mul_f32 v4, v119, v4 :: v_dual_fmac_f32 v27, v121, v9
	v_mul_f32_e32 v10, v121, v10
	v_mul_f32_e32 v12, v123, v12
	;; [unrolled: 1-line block ×3, first 2 shown]
	v_dual_fmac_f32 v25, v117, v1 :: v_dual_fmac_f32 v26, v119, v3
	v_fma_f32 v117, v118, v3, -v4
	v_fma_f32 v118, v120, v9, -v10
	v_fmac_f32_e32 v128, v123, v11
	v_fma_f32 v119, v122, v11, -v12
	ds_load_b128 v[9:12], v21 offset:480
	s_wait_loadcnt_dscnt 0x201
	v_mul_f32_e32 v121, v7, v16
	v_fma_f32 v116, v116, v1, -v2
	scratch_load_b128 v[1:4], off, off offset:144
	v_mul_f32_e32 v120, v5, v14
	v_mul_f32_e32 v14, v6, v14
	;; [unrolled: 1-line block ×3, first 2 shown]
	s_delay_alu instid0(VALU_DEP_3) | instskip(NEXT) | instid1(VALU_DEP_3)
	v_dual_fmac_f32 v121, v8, v15 :: v_dual_fmac_f32 v120, v6, v13
	v_fma_f32 v13, v5, v13, -v14
	s_delay_alu instid0(VALU_DEP_3)
	v_fma_f32 v14, v7, v15, -v16
	ds_load_b128 v[5:8], v21 offset:496
	s_wait_loadcnt_dscnt 0x201
	v_mul_f32_e32 v15, v9, v18
	v_mul_f32_e32 v16, v10, v18
	;; [unrolled: 1-line block ×3, first 2 shown]
	s_delay_alu instid0(VALU_DEP_3) | instskip(NEXT) | instid1(VALU_DEP_3)
	v_dual_mul_f32 v20, v12, v20 :: v_dual_fmac_f32 v15, v10, v17
	v_fma_f32 v16, v9, v17, -v16
	s_delay_alu instid0(VALU_DEP_3) | instskip(NEXT) | instid1(VALU_DEP_3)
	v_fmac_f32_e32 v18, v12, v19
	v_fma_f32 v17, v11, v19, -v20
	scratch_load_b128 v[9:12], off, off offset:160
	s_wait_loadcnt_dscnt 0x100
	v_mul_f32_e32 v19, v5, v2
	v_mul_f32_e32 v2, v6, v2
	;; [unrolled: 1-line block ×3, first 2 shown]
	s_delay_alu instid0(VALU_DEP_3) | instskip(NEXT) | instid1(VALU_DEP_3)
	v_dual_mul_f32 v4, v8, v4 :: v_dual_fmac_f32 v19, v6, v1
	v_fma_f32 v122, v5, v1, -v2
	s_delay_alu instid0(VALU_DEP_3) | instskip(NEXT) | instid1(VALU_DEP_3)
	v_fmac_f32_e32 v20, v8, v3
	v_fma_f32 v123, v7, v3, -v4
	ds_load_b128 v[1:4], v21 offset:512
	ds_load_b128 v[5:8], v21 offset:528
	s_wait_loadcnt_dscnt 0x1
	v_mul_f32_e32 v129, v1, v10
	v_mul_f32_e32 v10, v2, v10
	s_delay_alu instid0(VALU_DEP_2) | instskip(NEXT) | instid1(VALU_DEP_2)
	v_dual_mul_f32 v130, v3, v12 :: v_dual_fmac_f32 v129, v2, v9
	v_fma_f32 v131, v1, v9, -v10
	v_mul_f32_e32 v1, v4, v12
	s_delay_alu instid0(VALU_DEP_3) | instskip(NEXT) | instid1(VALU_DEP_2)
	v_fmac_f32_e32 v130, v4, v11
	v_fma_f32 v132, v3, v11, -v1
	s_clause 0x1
	scratch_load_b128 v[1:4], off, off offset:176
	scratch_load_b128 v[9:12], off, off offset:192
	s_wait_loadcnt_dscnt 0x100
	v_mul_f32_e32 v133, v5, v2
	v_dual_mul_f32 v2, v6, v2 :: v_dual_mul_f32 v135, v7, v4
	s_delay_alu instid0(VALU_DEP_2) | instskip(NEXT) | instid1(VALU_DEP_2)
	v_fmac_f32_e32 v133, v6, v1
	v_fma_f32 v134, v5, v1, -v2
	v_mul_f32_e32 v1, v8, v4
	s_delay_alu instid0(VALU_DEP_4) | instskip(NEXT) | instid1(VALU_DEP_2)
	v_fmac_f32_e32 v135, v8, v3
	v_fma_f32 v136, v7, v3, -v1
	ds_load_b128 v[1:4], v21 offset:544
	ds_load_b128 v[5:8], v21 offset:560
	s_wait_loadcnt_dscnt 0x1
	v_mul_f32_e32 v137, v1, v10
	v_mul_f32_e32 v139, v3, v12
	s_delay_alu instid0(VALU_DEP_2) | instskip(NEXT) | instid1(VALU_DEP_2)
	v_fmac_f32_e32 v137, v2, v9
	v_dual_mul_f32 v2, v2, v10 :: v_dual_fmac_f32 v139, v4, v11
	s_delay_alu instid0(VALU_DEP_1) | instskip(SKIP_1) | instid1(VALU_DEP_1)
	v_fma_f32 v138, v1, v9, -v2
	v_mul_f32_e32 v1, v4, v12
	v_fma_f32 v140, v3, v11, -v1
	s_clause 0x1
	scratch_load_b128 v[1:4], off, off offset:208
	scratch_load_b128 v[9:12], off, off offset:224
	s_wait_loadcnt_dscnt 0x100
	v_mul_f32_e32 v141, v5, v2
	v_dual_mul_f32 v2, v6, v2 :: v_dual_mul_f32 v143, v7, v4
	s_delay_alu instid0(VALU_DEP_2) | instskip(NEXT) | instid1(VALU_DEP_2)
	v_fmac_f32_e32 v141, v6, v1
	v_fma_f32 v142, v5, v1, -v2
	v_mul_f32_e32 v1, v8, v4
	s_delay_alu instid0(VALU_DEP_4) | instskip(NEXT) | instid1(VALU_DEP_2)
	v_fmac_f32_e32 v143, v8, v3
	v_fma_f32 v144, v7, v3, -v1
	ds_load_b128 v[1:4], v21 offset:576
	ds_load_b128 v[5:8], v21 offset:592
	s_wait_loadcnt_dscnt 0x1
	v_mul_f32_e32 v145, v1, v10
	v_mul_f32_e32 v147, v3, v12
	s_delay_alu instid0(VALU_DEP_2) | instskip(NEXT) | instid1(VALU_DEP_2)
	v_fmac_f32_e32 v145, v2, v9
	v_dual_mul_f32 v2, v2, v10 :: v_dual_fmac_f32 v147, v4, v11
	s_delay_alu instid0(VALU_DEP_1) | instskip(SKIP_1) | instid1(VALU_DEP_1)
	v_fma_f32 v146, v1, v9, -v2
	v_mul_f32_e32 v1, v4, v12
	;; [unrolled: 25-line block ×3, first 2 shown]
	v_fma_f32 v156, v3, v11, -v1
	s_clause 0x1
	scratch_load_b128 v[1:4], off, off offset:272
	scratch_load_b128 v[9:12], off, off offset:288
	s_wait_loadcnt_dscnt 0x100
	v_mul_f32_e32 v157, v5, v2
	v_mul_f32_e32 v2, v6, v2
	s_delay_alu instid0(VALU_DEP_1) | instskip(SKIP_1) | instid1(VALU_DEP_1)
	v_fma_f32 v158, v5, v1, -v2
	v_add_f32_e32 v2, 0, v126
	v_add_f32_e32 v2, v2, v127
	s_delay_alu instid0(VALU_DEP_1) | instskip(NEXT) | instid1(VALU_DEP_1)
	v_add_f32_e32 v2, v2, v25
	v_add_f32_e32 v2, v2, v26
	s_delay_alu instid0(VALU_DEP_1) | instskip(NEXT) | instid1(VALU_DEP_1)
	;; [unrolled: 3-line block ×4, first 2 shown]
	v_dual_add_f32 v2, v2, v15 :: v_dual_mul_f32 v159, v7, v4
	v_add_f32_e32 v2, v2, v18
	s_delay_alu instid0(VALU_DEP_1) | instskip(SKIP_2) | instid1(VALU_DEP_3)
	v_add_f32_e32 v2, v2, v19
	v_fmac_f32_e32 v157, v6, v1
	v_mul_f32_e32 v1, v8, v4
	v_dual_fmac_f32 v159, v8, v3 :: v_dual_add_f32 v2, v2, v20
	s_delay_alu instid0(VALU_DEP_2) | instskip(SKIP_1) | instid1(VALU_DEP_3)
	v_fma_f32 v160, v7, v3, -v1
	v_add_f32_e32 v1, 0, v22
	v_add_f32_e32 v5, v2, v129
	s_delay_alu instid0(VALU_DEP_2) | instskip(NEXT) | instid1(VALU_DEP_2)
	v_add_f32_e32 v1, v1, v24
	v_add_f32_e32 v5, v5, v130
	s_delay_alu instid0(VALU_DEP_2) | instskip(NEXT) | instid1(VALU_DEP_2)
	v_add_f32_e32 v1, v1, v116
	v_add_f32_e32 v5, v5, v133
	s_delay_alu instid0(VALU_DEP_2) | instskip(NEXT) | instid1(VALU_DEP_1)
	v_add_f32_e32 v1, v1, v117
	v_add_f32_e32 v1, v1, v118
	s_delay_alu instid0(VALU_DEP_1) | instskip(NEXT) | instid1(VALU_DEP_1)
	v_add_f32_e32 v1, v1, v119
	v_add_f32_e32 v1, v1, v13
	s_delay_alu instid0(VALU_DEP_1) | instskip(SKIP_1) | instid1(VALU_DEP_1)
	v_add_f32_e32 v1, v1, v14
	v_add_f32_e32 v14, v5, v135
	;; [unrolled: 1-line block ×3, first 2 shown]
	s_delay_alu instid0(VALU_DEP_1) | instskip(NEXT) | instid1(VALU_DEP_1)
	v_dual_add_f32 v14, v14, v139 :: v_dual_add_f32 v1, v1, v16
	v_add_f32_e32 v1, v1, v17
	s_delay_alu instid0(VALU_DEP_2) | instskip(NEXT) | instid1(VALU_DEP_2)
	v_add_f32_e32 v17, v14, v141
	v_add_f32_e32 v1, v1, v122
	s_delay_alu instid0(VALU_DEP_2) | instskip(NEXT) | instid1(VALU_DEP_2)
	v_add_f32_e32 v17, v17, v143
	;; [unrolled: 3-line block ×4, first 2 shown]
	v_add_f32_e32 v6, v1, v132
	ds_load_b128 v[1:4], v21 offset:640
	v_dual_add_f32 v25, v17, v149 :: v_dual_add_f32 v6, v6, v134
	s_delay_alu instid0(VALU_DEP_1)
	v_dual_add_f32 v120, v25, v151 :: v_dual_add_f32 v13, v6, v136
	ds_load_b128 v[5:8], v21 offset:656
	s_wait_loadcnt_dscnt 0x1
	v_mul_f32_e32 v22, v1, v10
	v_mul_f32_e32 v116, v3, v12
	;; [unrolled: 1-line block ×4, first 2 shown]
	s_delay_alu instid0(VALU_DEP_4) | instskip(NEXT) | instid1(VALU_DEP_4)
	v_fmac_f32_e32 v22, v2, v9
	v_fmac_f32_e32 v116, v4, v11
	s_delay_alu instid0(VALU_DEP_4) | instskip(NEXT) | instid1(VALU_DEP_4)
	v_fma_f32 v117, v1, v9, -v10
	v_fma_f32 v118, v3, v11, -v12
	s_clause 0x1
	scratch_load_b128 v[1:4], off, off offset:304
	scratch_load_b128 v[9:12], off, off offset:320
	v_add_f32_e32 v13, v13, v138
	s_delay_alu instid0(VALU_DEP_1) | instskip(NEXT) | instid1(VALU_DEP_1)
	v_add_f32_e32 v13, v13, v140
	v_add_f32_e32 v13, v13, v142
	s_delay_alu instid0(VALU_DEP_1) | instskip(SKIP_2) | instid1(VALU_DEP_1)
	v_add_f32_e32 v18, v13, v144
	scratch_load_b128 v[13:16], off, off offset:336
	v_add_f32_e32 v18, v18, v146
	v_add_f32_e32 v18, v18, v148
	s_delay_alu instid0(VALU_DEP_1)
	v_add_f32_e32 v24, v18, v150
	ds_load_b128 v[17:20], v21 offset:672
	v_add_f32_e32 v119, v24, v152
	ds_load_b128 v[24:27], v21 offset:688
	s_wait_loadcnt_dscnt 0x101
	v_dual_mul_f32 v121, v7, v4 :: v_dual_mul_f32 v122, v17, v10
	v_add_f32_e32 v21, v119, v154
	v_dual_add_f32 v119, v120, v153 :: v_dual_mul_f32 v120, v5, v2
	v_mul_f32_e32 v2, v6, v2
	v_mul_f32_e32 v4, v8, v4
	s_delay_alu instid0(VALU_DEP_4) | instskip(NEXT) | instid1(VALU_DEP_4)
	v_add_f32_e32 v21, v21, v156
	v_dual_fmac_f32 v121, v8, v3 :: v_dual_fmac_f32 v120, v6, v1
	s_delay_alu instid0(VALU_DEP_4) | instskip(SKIP_1) | instid1(VALU_DEP_4)
	v_fma_f32 v2, v5, v1, -v2
	v_mul_f32_e32 v6, v18, v10
	v_add_f32_e32 v21, v21, v158
	v_fma_f32 v3, v7, v3, -v4
	v_mul_f32_e32 v123, v19, v12
	v_mul_f32_e32 v4, v20, v12
	s_delay_alu instid0(VALU_DEP_4)
	v_dual_fmac_f32 v122, v18, v9 :: v_dual_add_f32 v21, v21, v160
	s_wait_loadcnt_dscnt 0x0
	v_dual_mul_f32 v126, v24, v14 :: v_dual_add_f32 v119, v119, v155
	v_fmac_f32_e32 v123, v20, v11
	v_fma_f32 v4, v19, v11, -v4
	v_add_f32_e32 v21, v21, v117
	s_delay_alu instid0(VALU_DEP_4) | instskip(SKIP_2) | instid1(VALU_DEP_4)
	v_fmac_f32_e32 v126, v25, v13
	v_add_f32_e32 v119, v119, v157
	v_mul_f32_e32 v117, v26, v16
	v_add_f32_e32 v1, v21, v118
	s_delay_alu instid0(VALU_DEP_3) | instskip(NEXT) | instid1(VALU_DEP_3)
	v_add_f32_e32 v119, v119, v159
	v_fmac_f32_e32 v117, v27, v15
	s_delay_alu instid0(VALU_DEP_3) | instskip(NEXT) | instid1(VALU_DEP_1)
	v_add_f32_e32 v1, v1, v2
	v_dual_add_f32 v22, v119, v22 :: v_dual_add_f32 v1, v1, v3
	v_mul_f32_e32 v3, v25, v14
	s_delay_alu instid0(VALU_DEP_2) | instskip(NEXT) | instid1(VALU_DEP_2)
	v_add_f32_e32 v5, v22, v116
	v_fma_f32 v3, v24, v13, -v3
	s_delay_alu instid0(VALU_DEP_2) | instskip(SKIP_1) | instid1(VALU_DEP_2)
	v_add_f32_e32 v2, v5, v120
	v_fma_f32 v5, v17, v9, -v6
	v_add_f32_e32 v2, v2, v121
	s_delay_alu instid0(VALU_DEP_2) | instskip(NEXT) | instid1(VALU_DEP_2)
	v_add_f32_e32 v1, v1, v5
	v_dual_mul_f32 v5, v27, v16 :: v_dual_add_f32 v2, v2, v122
	s_delay_alu instid0(VALU_DEP_2) | instskip(NEXT) | instid1(VALU_DEP_2)
	v_add_f32_e32 v1, v1, v4
	v_fma_f32 v4, v26, v15, -v5
	s_delay_alu instid0(VALU_DEP_3) | instskip(NEXT) | instid1(VALU_DEP_1)
	v_add_f32_e32 v2, v2, v123
	v_dual_add_f32 v1, v1, v3 :: v_dual_add_f32 v2, v2, v126
	s_delay_alu instid0(VALU_DEP_1) | instskip(NEXT) | instid1(VALU_DEP_1)
	v_dual_add_f32 v1, v1, v4 :: v_dual_add_f32 v2, v2, v117
	v_dual_sub_f32 v1, v124, v1 :: v_dual_sub_f32 v2, v125, v2
	scratch_store_b64 off, v[1:2], off offset:56
	v_cmpx_lt_u32_e32 6, v0
	s_cbranch_execz .LBB43_265
; %bb.264:
	scratch_load_b64 v[1:2], off, off offset:48
	v_mov_b32_e32 v3, 0
	s_delay_alu instid0(VALU_DEP_1)
	v_mov_b32_e32 v4, v3
	scratch_store_b64 off, v[3:4], off offset:48
	s_wait_loadcnt 0x0
	ds_store_b64 v23, v[1:2]
.LBB43_265:
	s_wait_alu 0xfffe
	s_or_b32 exec_lo, exec_lo, s0
	s_wait_storecnt_dscnt 0x0
	s_barrier_signal -1
	s_barrier_wait -1
	global_inv scope:SCOPE_SE
	s_clause 0x4
	scratch_load_b128 v[5:8], off, off offset:56
	scratch_load_b128 v[1:4], off, off offset:72
	;; [unrolled: 1-line block ×5, first 2 shown]
	v_mov_b32_e32 v21, 0
	ds_load_2addr_b64 v[24:27], v21 offset0:51 offset1:52
	ds_load_2addr_b64 v[116:119], v21 offset0:53 offset1:54
	;; [unrolled: 1-line block ×3, first 2 shown]
	scratch_load_b64 v[124:125], off, off offset:48
	s_mov_b32 s0, exec_lo
	s_wait_loadcnt_dscnt 0x502
	v_mul_f32_e32 v22, v25, v6
	v_dual_mul_f32 v126, v24, v6 :: v_dual_mul_f32 v127, v26, v8
	v_mul_f32_e32 v6, v27, v8
	s_delay_alu instid0(VALU_DEP_3) | instskip(NEXT) | instid1(VALU_DEP_3)
	v_fma_f32 v22, v24, v5, -v22
	v_dual_fmac_f32 v126, v25, v5 :: v_dual_fmac_f32 v127, v27, v7
	s_wait_loadcnt_dscnt 0x401
	v_mul_f32_e32 v25, v116, v2
	v_fma_f32 v24, v26, v7, -v6
	ds_load_2addr_b64 v[5:8], v21 offset0:57 offset1:58
	s_wait_loadcnt_dscnt 0x301
	v_dual_mul_f32 v26, v118, v4 :: v_dual_mul_f32 v27, v120, v10
	v_dual_mul_f32 v4, v119, v4 :: v_dual_fmac_f32 v25, v117, v1
	v_mul_f32_e32 v10, v121, v10
	s_delay_alu instid0(VALU_DEP_3)
	v_dual_mul_f32 v128, v122, v12 :: v_dual_fmac_f32 v27, v121, v9
	v_mul_f32_e32 v12, v123, v12
	v_mul_f32_e32 v2, v117, v2
	v_fmac_f32_e32 v26, v119, v3
	v_fma_f32 v117, v118, v3, -v4
	v_fma_f32 v118, v120, v9, -v10
	v_fmac_f32_e32 v128, v123, v11
	v_fma_f32 v119, v122, v11, -v12
	ds_load_2addr_b64 v[9:12], v21 offset0:59 offset1:60
	s_wait_loadcnt_dscnt 0x201
	v_mul_f32_e32 v121, v7, v16
	v_fma_f32 v116, v116, v1, -v2
	scratch_load_b128 v[1:4], off, off offset:136
	v_mul_f32_e32 v120, v5, v14
	v_mul_f32_e32 v14, v6, v14
	;; [unrolled: 1-line block ×3, first 2 shown]
	s_delay_alu instid0(VALU_DEP_3) | instskip(NEXT) | instid1(VALU_DEP_3)
	v_dual_fmac_f32 v121, v8, v15 :: v_dual_fmac_f32 v120, v6, v13
	v_fma_f32 v13, v5, v13, -v14
	s_delay_alu instid0(VALU_DEP_3)
	v_fma_f32 v14, v7, v15, -v16
	ds_load_2addr_b64 v[5:8], v21 offset0:61 offset1:62
	s_wait_loadcnt_dscnt 0x201
	v_mul_f32_e32 v15, v9, v18
	v_mul_f32_e32 v16, v10, v18
	;; [unrolled: 1-line block ×3, first 2 shown]
	s_delay_alu instid0(VALU_DEP_3) | instskip(NEXT) | instid1(VALU_DEP_3)
	v_dual_mul_f32 v20, v12, v20 :: v_dual_fmac_f32 v15, v10, v17
	v_fma_f32 v16, v9, v17, -v16
	s_delay_alu instid0(VALU_DEP_3) | instskip(NEXT) | instid1(VALU_DEP_3)
	v_fmac_f32_e32 v18, v12, v19
	v_fma_f32 v17, v11, v19, -v20
	scratch_load_b128 v[9:12], off, off offset:152
	s_wait_loadcnt_dscnt 0x100
	v_mul_f32_e32 v19, v5, v2
	v_mul_f32_e32 v2, v6, v2
	;; [unrolled: 1-line block ×3, first 2 shown]
	s_delay_alu instid0(VALU_DEP_3) | instskip(NEXT) | instid1(VALU_DEP_3)
	v_dual_mul_f32 v4, v8, v4 :: v_dual_fmac_f32 v19, v6, v1
	v_fma_f32 v122, v5, v1, -v2
	s_delay_alu instid0(VALU_DEP_3) | instskip(NEXT) | instid1(VALU_DEP_3)
	v_fmac_f32_e32 v20, v8, v3
	v_fma_f32 v123, v7, v3, -v4
	ds_load_2addr_b64 v[1:4], v21 offset0:63 offset1:64
	ds_load_2addr_b64 v[5:8], v21 offset0:65 offset1:66
	s_wait_loadcnt_dscnt 0x1
	v_mul_f32_e32 v129, v1, v10
	v_mul_f32_e32 v10, v2, v10
	s_delay_alu instid0(VALU_DEP_2) | instskip(NEXT) | instid1(VALU_DEP_2)
	v_dual_mul_f32 v130, v3, v12 :: v_dual_fmac_f32 v129, v2, v9
	v_fma_f32 v131, v1, v9, -v10
	v_mul_f32_e32 v1, v4, v12
	s_delay_alu instid0(VALU_DEP_3) | instskip(NEXT) | instid1(VALU_DEP_2)
	v_fmac_f32_e32 v130, v4, v11
	v_fma_f32 v132, v3, v11, -v1
	s_clause 0x1
	scratch_load_b128 v[1:4], off, off offset:168
	scratch_load_b128 v[9:12], off, off offset:184
	s_wait_loadcnt_dscnt 0x100
	v_mul_f32_e32 v133, v5, v2
	v_dual_mul_f32 v2, v6, v2 :: v_dual_mul_f32 v135, v7, v4
	s_delay_alu instid0(VALU_DEP_2) | instskip(NEXT) | instid1(VALU_DEP_2)
	v_fmac_f32_e32 v133, v6, v1
	v_fma_f32 v134, v5, v1, -v2
	v_mul_f32_e32 v1, v8, v4
	s_delay_alu instid0(VALU_DEP_4) | instskip(NEXT) | instid1(VALU_DEP_2)
	v_fmac_f32_e32 v135, v8, v3
	v_fma_f32 v136, v7, v3, -v1
	ds_load_2addr_b64 v[1:4], v21 offset0:67 offset1:68
	ds_load_2addr_b64 v[5:8], v21 offset0:69 offset1:70
	s_wait_loadcnt_dscnt 0x1
	v_mul_f32_e32 v137, v1, v10
	v_mul_f32_e32 v139, v3, v12
	s_delay_alu instid0(VALU_DEP_2) | instskip(NEXT) | instid1(VALU_DEP_2)
	v_fmac_f32_e32 v137, v2, v9
	v_dual_mul_f32 v2, v2, v10 :: v_dual_fmac_f32 v139, v4, v11
	s_delay_alu instid0(VALU_DEP_1) | instskip(SKIP_1) | instid1(VALU_DEP_1)
	v_fma_f32 v138, v1, v9, -v2
	v_mul_f32_e32 v1, v4, v12
	v_fma_f32 v140, v3, v11, -v1
	s_clause 0x1
	scratch_load_b128 v[1:4], off, off offset:200
	scratch_load_b128 v[9:12], off, off offset:216
	s_wait_loadcnt_dscnt 0x100
	v_mul_f32_e32 v141, v5, v2
	v_dual_mul_f32 v143, v7, v4 :: v_dual_mul_f32 v2, v6, v2
	s_delay_alu instid0(VALU_DEP_2) | instskip(NEXT) | instid1(VALU_DEP_2)
	v_fmac_f32_e32 v141, v6, v1
	v_fmac_f32_e32 v143, v8, v3
	s_delay_alu instid0(VALU_DEP_3) | instskip(SKIP_1) | instid1(VALU_DEP_1)
	v_fma_f32 v142, v5, v1, -v2
	v_mul_f32_e32 v1, v8, v4
	v_fma_f32 v144, v7, v3, -v1
	ds_load_2addr_b64 v[1:4], v21 offset0:71 offset1:72
	ds_load_2addr_b64 v[5:8], v21 offset0:73 offset1:74
	s_wait_loadcnt_dscnt 0x1
	v_mul_f32_e32 v145, v1, v10
	v_mul_f32_e32 v147, v3, v12
	s_delay_alu instid0(VALU_DEP_2) | instskip(NEXT) | instid1(VALU_DEP_2)
	v_fmac_f32_e32 v145, v2, v9
	v_dual_mul_f32 v2, v2, v10 :: v_dual_fmac_f32 v147, v4, v11
	s_delay_alu instid0(VALU_DEP_1) | instskip(SKIP_1) | instid1(VALU_DEP_1)
	v_fma_f32 v146, v1, v9, -v2
	v_mul_f32_e32 v1, v4, v12
	v_fma_f32 v148, v3, v11, -v1
	s_clause 0x1
	scratch_load_b128 v[1:4], off, off offset:232
	scratch_load_b128 v[9:12], off, off offset:248
	s_wait_loadcnt_dscnt 0x100
	v_mul_f32_e32 v149, v5, v2
	v_dual_mul_f32 v2, v6, v2 :: v_dual_mul_f32 v151, v7, v4
	s_delay_alu instid0(VALU_DEP_2) | instskip(NEXT) | instid1(VALU_DEP_2)
	v_fmac_f32_e32 v149, v6, v1
	v_fma_f32 v150, v5, v1, -v2
	v_mul_f32_e32 v1, v8, v4
	s_delay_alu instid0(VALU_DEP_4) | instskip(NEXT) | instid1(VALU_DEP_2)
	v_fmac_f32_e32 v151, v8, v3
	v_fma_f32 v152, v7, v3, -v1
	ds_load_2addr_b64 v[1:4], v21 offset0:75 offset1:76
	ds_load_2addr_b64 v[5:8], v21 offset0:77 offset1:78
	s_wait_loadcnt_dscnt 0x1
	v_mul_f32_e32 v153, v1, v10
	v_mul_f32_e32 v155, v3, v12
	s_delay_alu instid0(VALU_DEP_2) | instskip(NEXT) | instid1(VALU_DEP_2)
	v_fmac_f32_e32 v153, v2, v9
	v_dual_mul_f32 v2, v2, v10 :: v_dual_fmac_f32 v155, v4, v11
	s_delay_alu instid0(VALU_DEP_1) | instskip(SKIP_1) | instid1(VALU_DEP_1)
	v_fma_f32 v154, v1, v9, -v2
	v_mul_f32_e32 v1, v4, v12
	v_fma_f32 v156, v3, v11, -v1
	s_clause 0x1
	scratch_load_b128 v[1:4], off, off offset:264
	scratch_load_b128 v[9:12], off, off offset:280
	s_wait_loadcnt_dscnt 0x100
	v_mul_f32_e32 v157, v5, v2
	v_mul_f32_e32 v2, v6, v2
	s_delay_alu instid0(VALU_DEP_1) | instskip(SKIP_1) | instid1(VALU_DEP_1)
	v_fma_f32 v158, v5, v1, -v2
	v_add_f32_e32 v2, 0, v126
	v_add_f32_e32 v2, v2, v127
	s_delay_alu instid0(VALU_DEP_1) | instskip(NEXT) | instid1(VALU_DEP_1)
	v_add_f32_e32 v2, v2, v25
	v_add_f32_e32 v2, v2, v26
	s_delay_alu instid0(VALU_DEP_1) | instskip(NEXT) | instid1(VALU_DEP_1)
	;; [unrolled: 3-line block ×4, first 2 shown]
	v_add_f32_e32 v2, v2, v15
	v_add_f32_e32 v2, v2, v18
	s_delay_alu instid0(VALU_DEP_1) | instskip(SKIP_2) | instid1(VALU_DEP_3)
	v_add_f32_e32 v2, v2, v19
	v_fmac_f32_e32 v157, v6, v1
	v_mul_f32_e32 v1, v8, v4
	v_add_f32_e32 v2, v2, v20
	s_delay_alu instid0(VALU_DEP_2) | instskip(SKIP_1) | instid1(VALU_DEP_1)
	v_fma_f32 v160, v7, v3, -v1
	v_add_f32_e32 v1, 0, v22
	v_add_f32_e32 v1, v1, v24
	s_delay_alu instid0(VALU_DEP_1) | instskip(NEXT) | instid1(VALU_DEP_1)
	v_add_f32_e32 v1, v1, v116
	v_add_f32_e32 v1, v1, v117
	scratch_load_b64 v[116:117], off, off offset:344
	v_add_f32_e32 v1, v1, v118
	s_delay_alu instid0(VALU_DEP_1) | instskip(NEXT) | instid1(VALU_DEP_1)
	v_add_f32_e32 v1, v1, v119
	v_add_f32_e32 v1, v1, v13
	s_delay_alu instid0(VALU_DEP_1) | instskip(NEXT) | instid1(VALU_DEP_1)
	v_add_f32_e32 v1, v1, v14
	;; [unrolled: 3-line block ×5, first 2 shown]
	v_dual_mul_f32 v159, v7, v4 :: v_dual_add_f32 v6, v6, v134
	s_delay_alu instid0(VALU_DEP_1) | instskip(NEXT) | instid1(VALU_DEP_2)
	v_fmac_f32_e32 v159, v8, v3
	v_add_f32_e32 v13, v6, v136
	s_delay_alu instid0(VALU_DEP_1) | instskip(NEXT) | instid1(VALU_DEP_1)
	v_add_f32_e32 v13, v13, v138
	v_add_f32_e32 v13, v13, v140
	s_delay_alu instid0(VALU_DEP_1) | instskip(SKIP_4) | instid1(VALU_DEP_1)
	v_add_f32_e32 v13, v13, v142
	v_add_f32_e32 v5, v2, v129
	ds_load_2addr_b64 v[1:4], v21 offset0:79 offset1:80
	v_add_f32_e32 v18, v13, v144
	v_add_f32_e32 v5, v5, v130
	v_dual_add_f32 v18, v18, v146 :: v_dual_add_f32 v5, v5, v133
	s_delay_alu instid0(VALU_DEP_1) | instskip(NEXT) | instid1(VALU_DEP_2)
	v_add_f32_e32 v18, v18, v148
	v_add_f32_e32 v14, v5, v135
	ds_load_2addr_b64 v[5:8], v21 offset0:81 offset1:82
	v_add_f32_e32 v18, v18, v150
	v_add_f32_e32 v14, v14, v137
	s_wait_loadcnt_dscnt 0x101
	v_mul_f32_e32 v22, v1, v10
	v_mul_f32_e32 v10, v2, v10
	;; [unrolled: 1-line block ×4, first 2 shown]
	v_add_f32_e32 v14, v14, v139
	v_fmac_f32_e32 v22, v2, v9
	v_fma_f32 v121, v1, v9, -v10
	v_fmac_f32_e32 v120, v4, v11
	v_fma_f32 v122, v3, v11, -v12
	s_clause 0x1
	scratch_load_b128 v[1:4], off, off offset:296
	scratch_load_b128 v[9:12], off, off offset:312
	v_add_f32_e32 v17, v14, v141
	scratch_load_b128 v[13:16], off, off offset:328
	v_dual_add_f32 v18, v18, v152 :: v_dual_add_f32 v17, v17, v143
	s_delay_alu instid0(VALU_DEP_1) | instskip(NEXT) | instid1(VALU_DEP_1)
	v_dual_add_f32 v118, v18, v154 :: v_dual_add_f32 v17, v17, v145
	v_add_f32_e32 v123, v118, v156
	s_wait_loadcnt_dscnt 0x200
	s_delay_alu instid0(VALU_DEP_2) | instskip(NEXT) | instid1(VALU_DEP_1)
	v_dual_add_f32 v17, v17, v147 :: v_dual_mul_f32 v128, v7, v4
	v_dual_add_f32 v17, v17, v149 :: v_dual_mul_f32 v4, v8, v4
	s_delay_alu instid0(VALU_DEP_2) | instskip(NEXT) | instid1(VALU_DEP_2)
	v_dual_fmac_f32 v128, v8, v3 :: v_dual_mul_f32 v127, v5, v2
	v_add_f32_e32 v24, v17, v151
	ds_load_2addr_b64 v[17:20], v21 offset0:83 offset1:84
	v_mul_f32_e32 v2, v6, v2
	v_fmac_f32_e32 v127, v6, v1
	v_add_f32_e32 v123, v123, v158
	s_delay_alu instid0(VALU_DEP_3) | instskip(SKIP_1) | instid1(VALU_DEP_3)
	v_fma_f32 v2, v5, v1, -v2
	v_fma_f32 v1, v7, v3, -v4
	v_add_f32_e32 v123, v123, v160
	s_delay_alu instid0(VALU_DEP_1) | instskip(NEXT) | instid1(VALU_DEP_1)
	v_add_f32_e32 v121, v123, v121
	v_add_f32_e32 v121, v121, v122
	;; [unrolled: 1-line block ×3, first 2 shown]
	ds_load_2addr_b64 v[24:27], v21 offset0:85 offset1:86
	s_wait_loadcnt_dscnt 0x101
	v_mul_f32_e32 v3, v18, v10
	v_add_f32_e32 v2, v121, v2
	v_add_f32_e32 v126, v119, v155
	ds_load_b64 v[118:119], v21 offset:696
	v_fma_f32 v3, v17, v9, -v3
	v_add_f32_e32 v1, v2, v1
	v_add_f32_e32 v126, v126, v157
	s_delay_alu instid0(VALU_DEP_1) | instskip(NEXT) | instid1(VALU_DEP_1)
	v_add_f32_e32 v126, v126, v159
	v_add_f32_e32 v22, v126, v22
	s_wait_loadcnt_dscnt 0x1
	v_dual_mul_f32 v122, v26, v16 :: v_dual_mul_f32 v123, v17, v10
	v_mul_f32_e32 v126, v19, v12
	s_delay_alu instid0(VALU_DEP_3) | instskip(NEXT) | instid1(VALU_DEP_3)
	v_add_f32_e32 v22, v22, v120
	v_dual_fmac_f32 v122, v27, v15 :: v_dual_fmac_f32 v123, v18, v9
	s_wait_dscnt 0x0
	v_dual_mul_f32 v120, v118, v117 :: v_dual_mul_f32 v129, v24, v14
	s_delay_alu instid0(VALU_DEP_3) | instskip(SKIP_1) | instid1(VALU_DEP_3)
	v_add_f32_e32 v4, v22, v127
	v_fmac_f32_e32 v126, v20, v11
	v_dual_fmac_f32 v120, v119, v116 :: v_dual_fmac_f32 v129, v25, v13
	s_delay_alu instid0(VALU_DEP_3) | instskip(SKIP_1) | instid1(VALU_DEP_2)
	v_add_f32_e32 v2, v4, v128
	v_mul_f32_e32 v4, v25, v14
	v_dual_add_f32 v2, v2, v123 :: v_dual_mul_f32 v5, v20, v12
	s_delay_alu instid0(VALU_DEP_2) | instskip(NEXT) | instid1(VALU_DEP_2)
	v_fma_f32 v4, v24, v13, -v4
	v_add_f32_e32 v2, v2, v126
	s_delay_alu instid0(VALU_DEP_3) | instskip(NEXT) | instid1(VALU_DEP_2)
	v_fma_f32 v5, v19, v11, -v5
	v_dual_add_f32 v2, v2, v129 :: v_dual_add_f32 v1, v1, v3
	s_delay_alu instid0(VALU_DEP_1) | instskip(NEXT) | instid1(VALU_DEP_2)
	v_dual_mul_f32 v3, v27, v16 :: v_dual_add_f32 v2, v2, v122
	v_add_f32_e32 v1, v1, v5
	v_mul_f32_e32 v5, v119, v117
	s_delay_alu instid0(VALU_DEP_3) | instskip(NEXT) | instid1(VALU_DEP_4)
	v_fma_f32 v3, v26, v15, -v3
	v_add_f32_e32 v2, v2, v120
	s_delay_alu instid0(VALU_DEP_4) | instskip(NEXT) | instid1(VALU_DEP_4)
	v_add_f32_e32 v1, v1, v4
	v_fma_f32 v4, v118, v116, -v5
	s_delay_alu instid0(VALU_DEP_3) | instskip(NEXT) | instid1(VALU_DEP_3)
	v_sub_f32_e32 v2, v125, v2
	v_add_f32_e32 v1, v1, v3
	s_delay_alu instid0(VALU_DEP_1) | instskip(NEXT) | instid1(VALU_DEP_1)
	v_add_f32_e32 v1, v1, v4
	v_sub_f32_e32 v1, v124, v1
	scratch_store_b64 off, v[1:2], off offset:48
	v_cmpx_lt_u32_e32 5, v0
	s_cbranch_execz .LBB43_267
; %bb.266:
	scratch_load_b64 v[1:2], off, off offset:40
	v_mov_b32_e32 v22, v21
	scratch_store_b64 off, v[21:22], off offset:40
	s_wait_loadcnt 0x0
	ds_store_b64 v23, v[1:2]
.LBB43_267:
	s_wait_alu 0xfffe
	s_or_b32 exec_lo, exec_lo, s0
	s_wait_storecnt_dscnt 0x0
	s_barrier_signal -1
	s_barrier_wait -1
	global_inv scope:SCOPE_SE
	s_clause 0x4
	scratch_load_b128 v[5:8], off, off offset:48
	scratch_load_b128 v[1:4], off, off offset:64
	;; [unrolled: 1-line block ×5, first 2 shown]
	ds_load_b128 v[24:27], v21 offset:400
	ds_load_b128 v[116:119], v21 offset:416
	;; [unrolled: 1-line block ×3, first 2 shown]
	scratch_load_b64 v[124:125], off, off offset:40
	s_mov_b32 s0, exec_lo
	s_wait_loadcnt_dscnt 0x502
	v_dual_mul_f32 v22, v25, v6 :: v_dual_mul_f32 v127, v26, v8
	v_mul_f32_e32 v126, v24, v6
	v_mul_f32_e32 v6, v27, v8
	s_wait_loadcnt_dscnt 0x300
	v_mul_f32_e32 v128, v122, v12
	v_fma_f32 v22, v24, v5, -v22
	v_dual_fmac_f32 v127, v27, v7 :: v_dual_fmac_f32 v126, v25, v5
	v_mul_f32_e32 v27, v120, v10
	v_mul_f32_e32 v25, v116, v2
	v_fma_f32 v24, v26, v7, -v6
	ds_load_b128 v[5:8], v21 offset:448
	v_mul_f32_e32 v26, v118, v4
	v_dual_mul_f32 v4, v119, v4 :: v_dual_fmac_f32 v27, v121, v9
	v_mul_f32_e32 v10, v121, v10
	v_mul_f32_e32 v12, v123, v12
	v_mul_f32_e32 v2, v117, v2
	v_dual_fmac_f32 v25, v117, v1 :: v_dual_fmac_f32 v26, v119, v3
	v_fma_f32 v117, v118, v3, -v4
	v_fma_f32 v118, v120, v9, -v10
	v_fmac_f32_e32 v128, v123, v11
	v_fma_f32 v119, v122, v11, -v12
	ds_load_b128 v[9:12], v21 offset:464
	s_wait_loadcnt_dscnt 0x201
	v_mul_f32_e32 v121, v7, v16
	v_fma_f32 v116, v116, v1, -v2
	scratch_load_b128 v[1:4], off, off offset:128
	v_mul_f32_e32 v120, v5, v14
	v_mul_f32_e32 v14, v6, v14
	;; [unrolled: 1-line block ×3, first 2 shown]
	s_delay_alu instid0(VALU_DEP_3) | instskip(NEXT) | instid1(VALU_DEP_3)
	v_dual_fmac_f32 v121, v8, v15 :: v_dual_fmac_f32 v120, v6, v13
	v_fma_f32 v13, v5, v13, -v14
	s_delay_alu instid0(VALU_DEP_3)
	v_fma_f32 v14, v7, v15, -v16
	ds_load_b128 v[5:8], v21 offset:480
	s_wait_loadcnt_dscnt 0x201
	v_mul_f32_e32 v15, v9, v18
	v_mul_f32_e32 v16, v10, v18
	;; [unrolled: 1-line block ×3, first 2 shown]
	s_delay_alu instid0(VALU_DEP_3) | instskip(NEXT) | instid1(VALU_DEP_3)
	v_dual_mul_f32 v20, v12, v20 :: v_dual_fmac_f32 v15, v10, v17
	v_fma_f32 v16, v9, v17, -v16
	s_delay_alu instid0(VALU_DEP_3) | instskip(NEXT) | instid1(VALU_DEP_3)
	v_fmac_f32_e32 v18, v12, v19
	v_fma_f32 v17, v11, v19, -v20
	scratch_load_b128 v[9:12], off, off offset:144
	s_wait_loadcnt_dscnt 0x100
	v_mul_f32_e32 v19, v5, v2
	v_mul_f32_e32 v2, v6, v2
	;; [unrolled: 1-line block ×3, first 2 shown]
	s_delay_alu instid0(VALU_DEP_3) | instskip(NEXT) | instid1(VALU_DEP_3)
	v_dual_mul_f32 v4, v8, v4 :: v_dual_fmac_f32 v19, v6, v1
	v_fma_f32 v122, v5, v1, -v2
	s_delay_alu instid0(VALU_DEP_3) | instskip(NEXT) | instid1(VALU_DEP_3)
	v_fmac_f32_e32 v20, v8, v3
	v_fma_f32 v123, v7, v3, -v4
	ds_load_b128 v[1:4], v21 offset:496
	ds_load_b128 v[5:8], v21 offset:512
	s_wait_loadcnt_dscnt 0x1
	v_mul_f32_e32 v129, v1, v10
	v_mul_f32_e32 v10, v2, v10
	s_delay_alu instid0(VALU_DEP_2) | instskip(NEXT) | instid1(VALU_DEP_2)
	v_dual_mul_f32 v130, v3, v12 :: v_dual_fmac_f32 v129, v2, v9
	v_fma_f32 v131, v1, v9, -v10
	v_mul_f32_e32 v1, v4, v12
	s_delay_alu instid0(VALU_DEP_3) | instskip(NEXT) | instid1(VALU_DEP_2)
	v_fmac_f32_e32 v130, v4, v11
	v_fma_f32 v132, v3, v11, -v1
	s_clause 0x1
	scratch_load_b128 v[1:4], off, off offset:160
	scratch_load_b128 v[9:12], off, off offset:176
	s_wait_loadcnt_dscnt 0x100
	v_mul_f32_e32 v133, v5, v2
	v_dual_mul_f32 v2, v6, v2 :: v_dual_mul_f32 v135, v7, v4
	s_delay_alu instid0(VALU_DEP_2) | instskip(NEXT) | instid1(VALU_DEP_2)
	v_fmac_f32_e32 v133, v6, v1
	v_fma_f32 v134, v5, v1, -v2
	v_mul_f32_e32 v1, v8, v4
	s_delay_alu instid0(VALU_DEP_4) | instskip(NEXT) | instid1(VALU_DEP_2)
	v_fmac_f32_e32 v135, v8, v3
	v_fma_f32 v136, v7, v3, -v1
	ds_load_b128 v[1:4], v21 offset:528
	ds_load_b128 v[5:8], v21 offset:544
	s_wait_loadcnt_dscnt 0x1
	v_mul_f32_e32 v137, v1, v10
	v_mul_f32_e32 v139, v3, v12
	s_delay_alu instid0(VALU_DEP_2) | instskip(NEXT) | instid1(VALU_DEP_2)
	v_fmac_f32_e32 v137, v2, v9
	v_dual_mul_f32 v2, v2, v10 :: v_dual_fmac_f32 v139, v4, v11
	s_delay_alu instid0(VALU_DEP_1) | instskip(SKIP_1) | instid1(VALU_DEP_1)
	v_fma_f32 v138, v1, v9, -v2
	v_mul_f32_e32 v1, v4, v12
	v_fma_f32 v140, v3, v11, -v1
	s_clause 0x1
	scratch_load_b128 v[1:4], off, off offset:192
	scratch_load_b128 v[9:12], off, off offset:208
	s_wait_loadcnt_dscnt 0x100
	v_mul_f32_e32 v141, v5, v2
	v_dual_mul_f32 v2, v6, v2 :: v_dual_mul_f32 v143, v7, v4
	s_delay_alu instid0(VALU_DEP_2) | instskip(NEXT) | instid1(VALU_DEP_2)
	v_fmac_f32_e32 v141, v6, v1
	v_fma_f32 v142, v5, v1, -v2
	v_mul_f32_e32 v1, v8, v4
	s_delay_alu instid0(VALU_DEP_4) | instskip(NEXT) | instid1(VALU_DEP_2)
	v_fmac_f32_e32 v143, v8, v3
	v_fma_f32 v144, v7, v3, -v1
	ds_load_b128 v[1:4], v21 offset:560
	ds_load_b128 v[5:8], v21 offset:576
	s_wait_loadcnt_dscnt 0x1
	v_mul_f32_e32 v145, v1, v10
	v_mul_f32_e32 v147, v3, v12
	s_delay_alu instid0(VALU_DEP_2) | instskip(NEXT) | instid1(VALU_DEP_2)
	v_fmac_f32_e32 v145, v2, v9
	v_dual_mul_f32 v2, v2, v10 :: v_dual_fmac_f32 v147, v4, v11
	s_delay_alu instid0(VALU_DEP_1) | instskip(SKIP_1) | instid1(VALU_DEP_1)
	v_fma_f32 v146, v1, v9, -v2
	v_mul_f32_e32 v1, v4, v12
	;; [unrolled: 25-line block ×3, first 2 shown]
	v_fma_f32 v156, v3, v11, -v1
	s_clause 0x1
	scratch_load_b128 v[1:4], off, off offset:256
	scratch_load_b128 v[9:12], off, off offset:272
	s_wait_loadcnt_dscnt 0x100
	v_mul_f32_e32 v157, v5, v2
	v_mul_f32_e32 v2, v6, v2
	s_delay_alu instid0(VALU_DEP_1) | instskip(SKIP_1) | instid1(VALU_DEP_1)
	v_fma_f32 v158, v5, v1, -v2
	v_add_f32_e32 v2, 0, v126
	v_add_f32_e32 v2, v2, v127
	s_delay_alu instid0(VALU_DEP_1) | instskip(NEXT) | instid1(VALU_DEP_1)
	v_add_f32_e32 v2, v2, v25
	v_add_f32_e32 v2, v2, v26
	s_delay_alu instid0(VALU_DEP_1) | instskip(NEXT) | instid1(VALU_DEP_1)
	;; [unrolled: 3-line block ×4, first 2 shown]
	v_dual_add_f32 v2, v2, v15 :: v_dual_mul_f32 v159, v7, v4
	v_add_f32_e32 v2, v2, v18
	s_delay_alu instid0(VALU_DEP_1) | instskip(SKIP_1) | instid1(VALU_DEP_2)
	v_add_f32_e32 v2, v2, v19
	v_fmac_f32_e32 v157, v6, v1
	v_dual_fmac_f32 v159, v8, v3 :: v_dual_add_f32 v2, v2, v20
	s_delay_alu instid0(VALU_DEP_1) | instskip(NEXT) | instid1(VALU_DEP_1)
	v_dual_mul_f32 v1, v8, v4 :: v_dual_add_f32 v2, v2, v129
	v_fma_f32 v160, v7, v3, -v1
	v_add_f32_e32 v1, 0, v22
	s_delay_alu instid0(VALU_DEP_3) | instskip(NEXT) | instid1(VALU_DEP_2)
	v_add_f32_e32 v5, v2, v130
	v_add_f32_e32 v1, v1, v24
	s_delay_alu instid0(VALU_DEP_1) | instskip(NEXT) | instid1(VALU_DEP_1)
	v_add_f32_e32 v1, v1, v116
	v_add_f32_e32 v1, v1, v117
	s_delay_alu instid0(VALU_DEP_1) | instskip(NEXT) | instid1(VALU_DEP_1)
	v_add_f32_e32 v1, v1, v118
	v_add_f32_e32 v1, v1, v119
	s_delay_alu instid0(VALU_DEP_1) | instskip(SKIP_1) | instid1(VALU_DEP_2)
	v_add_f32_e32 v1, v1, v13
	v_add_f32_e32 v13, v5, v133
	v_add_f32_e32 v1, v1, v14
	s_delay_alu instid0(VALU_DEP_2) | instskip(NEXT) | instid1(VALU_DEP_1)
	v_add_f32_e32 v13, v13, v135
	v_add_f32_e32 v13, v13, v137
	s_delay_alu instid0(VALU_DEP_1) | instskip(NEXT) | instid1(VALU_DEP_1)
	v_add_f32_e32 v18, v13, v139
	v_dual_add_f32 v18, v18, v141 :: v_dual_add_f32 v1, v1, v16
	s_delay_alu instid0(VALU_DEP_1) | instskip(NEXT) | instid1(VALU_DEP_1)
	v_add_f32_e32 v18, v18, v143
	v_add_f32_e32 v24, v18, v145
	s_delay_alu instid0(VALU_DEP_1) | instskip(NEXT) | instid1(VALU_DEP_1)
	v_dual_add_f32 v1, v1, v17 :: v_dual_add_f32 v24, v24, v147
	v_add_f32_e32 v1, v1, v122
	s_delay_alu instid0(VALU_DEP_1) | instskip(NEXT) | instid1(VALU_DEP_1)
	v_add_f32_e32 v1, v1, v123
	v_add_f32_e32 v1, v1, v131
	s_delay_alu instid0(VALU_DEP_1) | instskip(NEXT) | instid1(VALU_DEP_1)
	v_add_f32_e32 v1, v1, v132
	v_add_f32_e32 v6, v1, v134
	ds_load_b128 v[1:4], v21 offset:624
	v_add_f32_e32 v24, v24, v149
	v_add_f32_e32 v14, v6, v136
	scratch_load_b128 v[5:8], off, off offset:288
	v_add_f32_e32 v14, v14, v138
	s_delay_alu instid0(VALU_DEP_1)
	v_add_f32_e32 v17, v14, v140
	ds_load_b128 v[13:16], v21 offset:640
	s_wait_loadcnt_dscnt 0x101
	v_mul_f32_e32 v22, v1, v10
	v_mul_f32_e32 v10, v2, v10
	;; [unrolled: 1-line block ×4, first 2 shown]
	s_delay_alu instid0(VALU_DEP_4) | instskip(NEXT) | instid1(VALU_DEP_4)
	v_fmac_f32_e32 v22, v2, v9
	v_fma_f32 v117, v1, v9, -v10
	s_delay_alu instid0(VALU_DEP_4) | instskip(NEXT) | instid1(VALU_DEP_4)
	v_fmac_f32_e32 v116, v4, v11
	v_fma_f32 v118, v3, v11, -v12
	s_clause 0x1
	scratch_load_b128 v[1:4], off, off offset:304
	scratch_load_b128 v[9:12], off, off offset:320
	s_wait_loadcnt_dscnt 0x200
	v_mul_f32_e32 v119, v13, v6
	v_mul_f32_e32 v6, v14, v6
	;; [unrolled: 1-line block ×3, first 2 shown]
	s_delay_alu instid0(VALU_DEP_3) | instskip(NEXT) | instid1(VALU_DEP_3)
	v_dual_mul_f32 v8, v16, v8 :: v_dual_fmac_f32 v119, v14, v5
	v_fma_f32 v121, v13, v5, -v6
	s_delay_alu instid0(VALU_DEP_3) | instskip(NEXT) | instid1(VALU_DEP_3)
	v_fmac_f32_e32 v120, v16, v7
	v_fma_f32 v122, v15, v7, -v8
	ds_load_b128 v[5:8], v21 offset:656
	v_add_f32_e32 v17, v17, v142
	v_add_f32_e32 v13, v24, v151
	s_delay_alu instid0(VALU_DEP_2) | instskip(NEXT) | instid1(VALU_DEP_1)
	v_add_f32_e32 v17, v17, v144
	v_add_f32_e32 v17, v17, v146
	s_delay_alu instid0(VALU_DEP_1) | instskip(SKIP_2) | instid1(VALU_DEP_1)
	v_add_f32_e32 v25, v17, v148
	scratch_load_b128 v[17:20], off, off offset:336
	v_add_f32_e32 v25, v25, v150
	v_add_f32_e32 v25, v25, v152
	s_delay_alu instid0(VALU_DEP_1)
	v_add_f32_e32 v24, v25, v154
	v_add_f32_e32 v25, v13, v153
	ds_load_b128 v[13:16], v21 offset:672
	v_dual_add_f32 v123, v24, v156 :: v_dual_add_f32 v126, v25, v155
	ds_load_b128 v[24:27], v21 offset:688
	v_add_f32_e32 v21, v123, v158
	s_delay_alu instid0(VALU_DEP_1) | instskip(SKIP_2) | instid1(VALU_DEP_1)
	v_add_f32_e32 v21, v21, v160
	s_wait_loadcnt_dscnt 0x101
	v_mul_f32_e32 v127, v15, v12
	v_fmac_f32_e32 v127, v16, v11
	s_delay_alu instid0(VALU_DEP_3) | instskip(NEXT) | instid1(VALU_DEP_1)
	v_add_f32_e32 v21, v21, v117
	v_add_f32_e32 v21, v21, v118
	s_wait_loadcnt_dscnt 0x0
	s_delay_alu instid0(VALU_DEP_1) | instskip(SKIP_2) | instid1(VALU_DEP_3)
	v_dual_add_f32 v21, v21, v121 :: v_dual_mul_f32 v118, v26, v20
	v_dual_add_f32 v123, v126, v157 :: v_dual_mul_f32 v126, v5, v2
	v_mul_f32_e32 v2, v6, v2
	v_fmac_f32_e32 v118, v27, v19
	s_delay_alu instid0(VALU_DEP_3)
	v_add_f32_e32 v123, v123, v159
	v_mul_f32_e32 v117, v7, v4
	v_mul_f32_e32 v4, v8, v4
	v_fma_f32 v2, v5, v1, -v2
	v_fmac_f32_e32 v126, v6, v1
	v_add_f32_e32 v22, v123, v22
	v_add_f32_e32 v1, v21, v122
	v_dual_mul_f32 v6, v14, v10 :: v_dual_fmac_f32 v117, v8, v3
	v_fma_f32 v3, v7, v3, -v4
	s_delay_alu instid0(VALU_DEP_4) | instskip(SKIP_2) | instid1(VALU_DEP_3)
	v_add_f32_e32 v22, v22, v116
	v_mul_f32_e32 v116, v24, v18
	v_dual_add_f32 v1, v1, v2 :: v_dual_mul_f32 v4, v16, v12
	v_add_f32_e32 v22, v22, v119
	s_delay_alu instid0(VALU_DEP_3) | instskip(SKIP_1) | instid1(VALU_DEP_4)
	v_fmac_f32_e32 v116, v25, v17
	v_mul_f32_e32 v123, v13, v10
	v_add_f32_e32 v1, v1, v3
	v_mul_f32_e32 v3, v25, v18
	v_add_f32_e32 v5, v22, v120
	v_fma_f32 v4, v15, v11, -v4
	v_fmac_f32_e32 v123, v14, v9
	s_delay_alu instid0(VALU_DEP_4) | instskip(NEXT) | instid1(VALU_DEP_4)
	v_fma_f32 v3, v24, v17, -v3
	v_add_f32_e32 v2, v5, v126
	v_fma_f32 v5, v13, v9, -v6
	s_delay_alu instid0(VALU_DEP_2) | instskip(NEXT) | instid1(VALU_DEP_2)
	v_add_f32_e32 v2, v2, v117
	v_add_f32_e32 v1, v1, v5
	s_delay_alu instid0(VALU_DEP_2) | instskip(NEXT) | instid1(VALU_DEP_2)
	v_dual_mul_f32 v5, v27, v20 :: v_dual_add_f32 v2, v2, v123
	v_add_f32_e32 v1, v1, v4
	s_delay_alu instid0(VALU_DEP_2) | instskip(NEXT) | instid1(VALU_DEP_3)
	v_fma_f32 v4, v26, v19, -v5
	v_add_f32_e32 v2, v2, v127
	s_delay_alu instid0(VALU_DEP_1) | instskip(NEXT) | instid1(VALU_DEP_1)
	v_dual_add_f32 v1, v1, v3 :: v_dual_add_f32 v2, v2, v116
	v_dual_add_f32 v1, v1, v4 :: v_dual_add_f32 v2, v2, v118
	s_delay_alu instid0(VALU_DEP_1)
	v_dual_sub_f32 v1, v124, v1 :: v_dual_sub_f32 v2, v125, v2
	scratch_store_b64 off, v[1:2], off offset:40
	v_cmpx_lt_u32_e32 4, v0
	s_cbranch_execz .LBB43_269
; %bb.268:
	scratch_load_b64 v[1:2], off, off offset:32
	v_mov_b32_e32 v3, 0
	s_delay_alu instid0(VALU_DEP_1)
	v_mov_b32_e32 v4, v3
	scratch_store_b64 off, v[3:4], off offset:32
	s_wait_loadcnt 0x0
	ds_store_b64 v23, v[1:2]
.LBB43_269:
	s_wait_alu 0xfffe
	s_or_b32 exec_lo, exec_lo, s0
	s_wait_storecnt_dscnt 0x0
	s_barrier_signal -1
	s_barrier_wait -1
	global_inv scope:SCOPE_SE
	s_clause 0x4
	scratch_load_b128 v[5:8], off, off offset:40
	scratch_load_b128 v[1:4], off, off offset:56
	;; [unrolled: 1-line block ×5, first 2 shown]
	v_mov_b32_e32 v21, 0
	ds_load_2addr_b64 v[24:27], v21 offset0:49 offset1:50
	ds_load_2addr_b64 v[116:119], v21 offset0:51 offset1:52
	;; [unrolled: 1-line block ×3, first 2 shown]
	scratch_load_b64 v[124:125], off, off offset:32
	s_mov_b32 s0, exec_lo
	s_wait_loadcnt_dscnt 0x502
	v_mul_f32_e32 v22, v25, v6
	v_dual_mul_f32 v126, v24, v6 :: v_dual_mul_f32 v127, v26, v8
	v_mul_f32_e32 v6, v27, v8
	s_delay_alu instid0(VALU_DEP_3) | instskip(NEXT) | instid1(VALU_DEP_3)
	v_fma_f32 v22, v24, v5, -v22
	v_dual_fmac_f32 v126, v25, v5 :: v_dual_fmac_f32 v127, v27, v7
	s_wait_loadcnt_dscnt 0x401
	v_mul_f32_e32 v25, v116, v2
	v_fma_f32 v24, v26, v7, -v6
	ds_load_2addr_b64 v[5:8], v21 offset0:55 offset1:56
	s_wait_loadcnt_dscnt 0x301
	v_dual_mul_f32 v26, v118, v4 :: v_dual_mul_f32 v27, v120, v10
	v_dual_mul_f32 v4, v119, v4 :: v_dual_fmac_f32 v25, v117, v1
	v_mul_f32_e32 v10, v121, v10
	s_delay_alu instid0(VALU_DEP_3)
	v_dual_mul_f32 v128, v122, v12 :: v_dual_fmac_f32 v27, v121, v9
	v_mul_f32_e32 v12, v123, v12
	v_mul_f32_e32 v2, v117, v2
	v_fmac_f32_e32 v26, v119, v3
	v_fma_f32 v117, v118, v3, -v4
	v_fma_f32 v118, v120, v9, -v10
	v_fmac_f32_e32 v128, v123, v11
	v_fma_f32 v119, v122, v11, -v12
	ds_load_2addr_b64 v[9:12], v21 offset0:57 offset1:58
	s_wait_loadcnt_dscnt 0x201
	v_mul_f32_e32 v121, v7, v16
	v_fma_f32 v116, v116, v1, -v2
	scratch_load_b128 v[1:4], off, off offset:120
	v_mul_f32_e32 v120, v5, v14
	v_mul_f32_e32 v14, v6, v14
	;; [unrolled: 1-line block ×3, first 2 shown]
	s_delay_alu instid0(VALU_DEP_3) | instskip(NEXT) | instid1(VALU_DEP_3)
	v_dual_fmac_f32 v121, v8, v15 :: v_dual_fmac_f32 v120, v6, v13
	v_fma_f32 v13, v5, v13, -v14
	s_delay_alu instid0(VALU_DEP_3)
	v_fma_f32 v14, v7, v15, -v16
	ds_load_2addr_b64 v[5:8], v21 offset0:59 offset1:60
	s_wait_loadcnt_dscnt 0x201
	v_mul_f32_e32 v15, v9, v18
	v_mul_f32_e32 v16, v10, v18
	;; [unrolled: 1-line block ×3, first 2 shown]
	s_delay_alu instid0(VALU_DEP_3) | instskip(NEXT) | instid1(VALU_DEP_3)
	v_dual_mul_f32 v20, v12, v20 :: v_dual_fmac_f32 v15, v10, v17
	v_fma_f32 v16, v9, v17, -v16
	s_delay_alu instid0(VALU_DEP_3) | instskip(NEXT) | instid1(VALU_DEP_3)
	v_fmac_f32_e32 v18, v12, v19
	v_fma_f32 v17, v11, v19, -v20
	scratch_load_b128 v[9:12], off, off offset:136
	s_wait_loadcnt_dscnt 0x100
	v_mul_f32_e32 v19, v5, v2
	v_mul_f32_e32 v2, v6, v2
	;; [unrolled: 1-line block ×3, first 2 shown]
	s_delay_alu instid0(VALU_DEP_3) | instskip(NEXT) | instid1(VALU_DEP_3)
	v_dual_mul_f32 v4, v8, v4 :: v_dual_fmac_f32 v19, v6, v1
	v_fma_f32 v122, v5, v1, -v2
	s_delay_alu instid0(VALU_DEP_3) | instskip(NEXT) | instid1(VALU_DEP_3)
	v_fmac_f32_e32 v20, v8, v3
	v_fma_f32 v123, v7, v3, -v4
	ds_load_2addr_b64 v[1:4], v21 offset0:61 offset1:62
	ds_load_2addr_b64 v[5:8], v21 offset0:63 offset1:64
	s_wait_loadcnt_dscnt 0x1
	v_mul_f32_e32 v129, v1, v10
	v_mul_f32_e32 v10, v2, v10
	s_delay_alu instid0(VALU_DEP_2) | instskip(NEXT) | instid1(VALU_DEP_2)
	v_dual_mul_f32 v130, v3, v12 :: v_dual_fmac_f32 v129, v2, v9
	v_fma_f32 v131, v1, v9, -v10
	v_mul_f32_e32 v1, v4, v12
	s_delay_alu instid0(VALU_DEP_3) | instskip(NEXT) | instid1(VALU_DEP_2)
	v_fmac_f32_e32 v130, v4, v11
	v_fma_f32 v132, v3, v11, -v1
	s_clause 0x1
	scratch_load_b128 v[1:4], off, off offset:152
	scratch_load_b128 v[9:12], off, off offset:168
	s_wait_loadcnt_dscnt 0x100
	v_mul_f32_e32 v133, v5, v2
	v_dual_mul_f32 v2, v6, v2 :: v_dual_mul_f32 v135, v7, v4
	s_delay_alu instid0(VALU_DEP_2) | instskip(NEXT) | instid1(VALU_DEP_2)
	v_fmac_f32_e32 v133, v6, v1
	v_fma_f32 v134, v5, v1, -v2
	v_mul_f32_e32 v1, v8, v4
	s_delay_alu instid0(VALU_DEP_4) | instskip(NEXT) | instid1(VALU_DEP_2)
	v_fmac_f32_e32 v135, v8, v3
	v_fma_f32 v136, v7, v3, -v1
	ds_load_2addr_b64 v[1:4], v21 offset0:65 offset1:66
	ds_load_2addr_b64 v[5:8], v21 offset0:67 offset1:68
	s_wait_loadcnt_dscnt 0x1
	v_mul_f32_e32 v137, v1, v10
	v_mul_f32_e32 v139, v3, v12
	s_delay_alu instid0(VALU_DEP_2) | instskip(NEXT) | instid1(VALU_DEP_2)
	v_fmac_f32_e32 v137, v2, v9
	v_dual_mul_f32 v2, v2, v10 :: v_dual_fmac_f32 v139, v4, v11
	s_delay_alu instid0(VALU_DEP_1) | instskip(SKIP_1) | instid1(VALU_DEP_1)
	v_fma_f32 v138, v1, v9, -v2
	v_mul_f32_e32 v1, v4, v12
	v_fma_f32 v140, v3, v11, -v1
	s_clause 0x1
	scratch_load_b128 v[1:4], off, off offset:184
	scratch_load_b128 v[9:12], off, off offset:200
	s_wait_loadcnt_dscnt 0x100
	v_mul_f32_e32 v141, v5, v2
	v_dual_mul_f32 v143, v7, v4 :: v_dual_mul_f32 v2, v6, v2
	s_delay_alu instid0(VALU_DEP_2) | instskip(NEXT) | instid1(VALU_DEP_2)
	v_fmac_f32_e32 v141, v6, v1
	v_fmac_f32_e32 v143, v8, v3
	s_delay_alu instid0(VALU_DEP_3) | instskip(SKIP_1) | instid1(VALU_DEP_1)
	v_fma_f32 v142, v5, v1, -v2
	v_mul_f32_e32 v1, v8, v4
	v_fma_f32 v144, v7, v3, -v1
	ds_load_2addr_b64 v[1:4], v21 offset0:69 offset1:70
	ds_load_2addr_b64 v[5:8], v21 offset0:71 offset1:72
	s_wait_loadcnt_dscnt 0x1
	v_mul_f32_e32 v145, v1, v10
	v_mul_f32_e32 v147, v3, v12
	s_delay_alu instid0(VALU_DEP_2) | instskip(NEXT) | instid1(VALU_DEP_2)
	v_fmac_f32_e32 v145, v2, v9
	v_dual_mul_f32 v2, v2, v10 :: v_dual_fmac_f32 v147, v4, v11
	s_delay_alu instid0(VALU_DEP_1) | instskip(SKIP_1) | instid1(VALU_DEP_1)
	v_fma_f32 v146, v1, v9, -v2
	v_mul_f32_e32 v1, v4, v12
	v_fma_f32 v148, v3, v11, -v1
	s_clause 0x1
	scratch_load_b128 v[1:4], off, off offset:216
	scratch_load_b128 v[9:12], off, off offset:232
	s_wait_loadcnt_dscnt 0x100
	v_mul_f32_e32 v149, v5, v2
	v_dual_mul_f32 v2, v6, v2 :: v_dual_mul_f32 v151, v7, v4
	s_delay_alu instid0(VALU_DEP_2) | instskip(NEXT) | instid1(VALU_DEP_2)
	v_fmac_f32_e32 v149, v6, v1
	v_fma_f32 v150, v5, v1, -v2
	v_mul_f32_e32 v1, v8, v4
	s_delay_alu instid0(VALU_DEP_4) | instskip(NEXT) | instid1(VALU_DEP_2)
	v_fmac_f32_e32 v151, v8, v3
	v_fma_f32 v152, v7, v3, -v1
	ds_load_2addr_b64 v[1:4], v21 offset0:73 offset1:74
	ds_load_2addr_b64 v[5:8], v21 offset0:75 offset1:76
	s_wait_loadcnt_dscnt 0x1
	v_mul_f32_e32 v153, v1, v10
	v_mul_f32_e32 v155, v3, v12
	s_delay_alu instid0(VALU_DEP_2) | instskip(NEXT) | instid1(VALU_DEP_2)
	v_fmac_f32_e32 v153, v2, v9
	v_dual_mul_f32 v2, v2, v10 :: v_dual_fmac_f32 v155, v4, v11
	s_delay_alu instid0(VALU_DEP_1) | instskip(SKIP_1) | instid1(VALU_DEP_1)
	v_fma_f32 v154, v1, v9, -v2
	v_mul_f32_e32 v1, v4, v12
	v_fma_f32 v156, v3, v11, -v1
	s_clause 0x1
	scratch_load_b128 v[1:4], off, off offset:248
	scratch_load_b128 v[9:12], off, off offset:264
	s_wait_loadcnt_dscnt 0x100
	v_mul_f32_e32 v157, v5, v2
	v_mul_f32_e32 v2, v6, v2
	s_delay_alu instid0(VALU_DEP_1) | instskip(SKIP_1) | instid1(VALU_DEP_1)
	v_fma_f32 v158, v5, v1, -v2
	v_add_f32_e32 v2, 0, v126
	v_add_f32_e32 v2, v2, v127
	s_delay_alu instid0(VALU_DEP_1) | instskip(NEXT) | instid1(VALU_DEP_1)
	v_add_f32_e32 v2, v2, v25
	v_add_f32_e32 v2, v2, v26
	s_delay_alu instid0(VALU_DEP_1) | instskip(NEXT) | instid1(VALU_DEP_1)
	;; [unrolled: 3-line block ×4, first 2 shown]
	v_add_f32_e32 v2, v2, v15
	v_add_f32_e32 v2, v2, v18
	s_delay_alu instid0(VALU_DEP_1) | instskip(SKIP_2) | instid1(VALU_DEP_3)
	v_add_f32_e32 v2, v2, v19
	v_fmac_f32_e32 v157, v6, v1
	v_mul_f32_e32 v1, v8, v4
	v_add_f32_e32 v2, v2, v20
	v_mul_f32_e32 v159, v7, v4
	s_delay_alu instid0(VALU_DEP_3) | instskip(NEXT) | instid1(VALU_DEP_3)
	v_fma_f32 v160, v7, v3, -v1
	v_dual_add_f32 v1, 0, v22 :: v_dual_add_f32 v2, v2, v129
	s_delay_alu instid0(VALU_DEP_1) | instskip(NEXT) | instid1(VALU_DEP_2)
	v_add_f32_e32 v1, v1, v24
	v_add_f32_e32 v5, v2, v130
	s_delay_alu instid0(VALU_DEP_2) | instskip(NEXT) | instid1(VALU_DEP_1)
	v_add_f32_e32 v1, v1, v116
	v_add_f32_e32 v1, v1, v117
	scratch_load_b64 v[116:117], off, off offset:344
	v_add_f32_e32 v1, v1, v118
	s_delay_alu instid0(VALU_DEP_1) | instskip(NEXT) | instid1(VALU_DEP_1)
	v_add_f32_e32 v1, v1, v119
	v_add_f32_e32 v1, v1, v13
	v_add_f32_e32 v13, v5, v133
	s_delay_alu instid0(VALU_DEP_1) | instskip(NEXT) | instid1(VALU_DEP_1)
	v_add_f32_e32 v13, v13, v135
	v_add_f32_e32 v13, v13, v137
	s_delay_alu instid0(VALU_DEP_1) | instskip(NEXT) | instid1(VALU_DEP_1)
	v_add_f32_e32 v18, v13, v139
	v_dual_add_f32 v18, v18, v141 :: v_dual_add_f32 v1, v1, v14
	s_delay_alu instid0(VALU_DEP_1) | instskip(NEXT) | instid1(VALU_DEP_1)
	v_dual_add_f32 v18, v18, v143 :: v_dual_add_f32 v1, v1, v16
	v_add_f32_e32 v24, v18, v145
	s_delay_alu instid0(VALU_DEP_1) | instskip(NEXT) | instid1(VALU_DEP_1)
	v_dual_add_f32 v1, v1, v17 :: v_dual_add_f32 v24, v24, v147
	v_add_f32_e32 v1, v1, v122
	s_delay_alu instid0(VALU_DEP_1) | instskip(NEXT) | instid1(VALU_DEP_1)
	v_add_f32_e32 v1, v1, v123
	v_add_f32_e32 v1, v1, v131
	s_delay_alu instid0(VALU_DEP_1) | instskip(NEXT) | instid1(VALU_DEP_1)
	v_add_f32_e32 v1, v1, v132
	v_dual_add_f32 v6, v1, v134 :: v_dual_fmac_f32 v159, v8, v3
	scratch_load_b128 v[1:4], off, off offset:280
	v_add_f32_e32 v24, v24, v149
	v_add_f32_e32 v14, v6, v136
	ds_load_2addr_b64 v[5:8], v21 offset0:77 offset1:78
	v_add_f32_e32 v24, v24, v151
	v_add_f32_e32 v14, v14, v138
	s_delay_alu instid0(VALU_DEP_1)
	v_add_f32_e32 v17, v14, v140
	ds_load_2addr_b64 v[13:16], v21 offset0:79 offset1:80
	s_wait_loadcnt_dscnt 0x201
	v_mul_f32_e32 v22, v5, v10
	v_mul_f32_e32 v10, v6, v10
	;; [unrolled: 1-line block ×4, first 2 shown]
	s_delay_alu instid0(VALU_DEP_4) | instskip(NEXT) | instid1(VALU_DEP_4)
	v_fmac_f32_e32 v22, v6, v9
	v_fma_f32 v121, v5, v9, -v10
	s_delay_alu instid0(VALU_DEP_4) | instskip(NEXT) | instid1(VALU_DEP_4)
	v_fmac_f32_e32 v120, v8, v11
	v_fma_f32 v122, v7, v11, -v12
	s_clause 0x1
	scratch_load_b128 v[5:8], off, off offset:296
	scratch_load_b128 v[9:12], off, off offset:312
	s_wait_loadcnt_dscnt 0x200
	v_mul_f32_e32 v123, v13, v2
	v_mul_f32_e32 v2, v14, v2
	v_mul_f32_e32 v126, v15, v4
	s_delay_alu instid0(VALU_DEP_3) | instskip(NEXT) | instid1(VALU_DEP_3)
	v_dual_mul_f32 v4, v16, v4 :: v_dual_fmac_f32 v123, v14, v1
	v_fma_f32 v127, v13, v1, -v2
	v_add_f32_e32 v13, v24, v153
	s_delay_alu instid0(VALU_DEP_4) | instskip(NEXT) | instid1(VALU_DEP_4)
	v_fmac_f32_e32 v126, v16, v3
	v_fma_f32 v128, v15, v3, -v4
	ds_load_2addr_b64 v[1:4], v21 offset0:81 offset1:82
	v_add_f32_e32 v24, v13, v155
	s_delay_alu instid0(VALU_DEP_1) | instskip(NEXT) | instid1(VALU_DEP_1)
	v_add_f32_e32 v119, v24, v157
	v_add_f32_e32 v130, v119, v159
	s_delay_alu instid0(VALU_DEP_1) | instskip(NEXT) | instid1(VALU_DEP_1)
	v_add_f32_e32 v22, v130, v22
	v_dual_add_f32 v17, v17, v142 :: v_dual_add_f32 v22, v22, v120
	s_delay_alu instid0(VALU_DEP_1) | instskip(NEXT) | instid1(VALU_DEP_1)
	v_dual_add_f32 v17, v17, v144 :: v_dual_add_f32 v22, v22, v123
	v_add_f32_e32 v17, v17, v146
	s_delay_alu instid0(VALU_DEP_1) | instskip(SKIP_2) | instid1(VALU_DEP_1)
	v_dual_add_f32 v22, v22, v126 :: v_dual_add_f32 v25, v17, v148
	scratch_load_b128 v[17:20], off, off offset:328
	v_add_f32_e32 v25, v25, v150
	v_add_f32_e32 v25, v25, v152
	s_delay_alu instid0(VALU_DEP_1) | instskip(NEXT) | instid1(VALU_DEP_1)
	v_add_f32_e32 v25, v25, v154
	v_add_f32_e32 v14, v25, v156
	ds_load_2addr_b64 v[24:27], v21 offset0:85 offset1:86
	v_add_f32_e32 v118, v14, v158
	ds_load_2addr_b64 v[13:16], v21 offset0:83 offset1:84
	s_wait_loadcnt_dscnt 0x202
	v_mul_f32_e32 v120, v3, v8
	v_mul_f32_e32 v8, v4, v8
	v_add_f32_e32 v129, v118, v160
	ds_load_b64 v[118:119], v21 offset:696
	v_dual_fmac_f32 v120, v4, v7 :: v_dual_add_f32 v121, v129, v121
	s_delay_alu instid0(VALU_DEP_1)
	v_add_f32_e32 v121, v121, v122
	s_wait_loadcnt_dscnt 0x101
	v_mul_f32_e32 v122, v13, v10
	v_mul_f32_e32 v129, v1, v6
	v_dual_mul_f32 v6, v2, v6 :: v_dual_mul_f32 v123, v15, v12
	s_wait_dscnt 0x0
	v_mul_f32_e32 v126, v118, v117
	v_fmac_f32_e32 v122, v14, v9
	v_fmac_f32_e32 v129, v2, v5
	v_fma_f32 v1, v1, v5, -v6
	v_fma_f32 v2, v3, v7, -v8
	v_dual_fmac_f32 v126, v119, v116 :: v_dual_mul_f32 v3, v14, v10
	s_delay_alu instid0(VALU_DEP_4) | instskip(NEXT) | instid1(VALU_DEP_2)
	v_dual_add_f32 v4, v22, v129 :: v_dual_add_f32 v121, v121, v127
	v_fma_f32 v3, v13, v9, -v3
	s_delay_alu instid0(VALU_DEP_2) | instskip(SKIP_2) | instid1(VALU_DEP_1)
	v_add_f32_e32 v121, v121, v128
	s_wait_loadcnt 0x0
	v_mul_f32_e32 v128, v26, v20
	v_dual_fmac_f32 v128, v27, v19 :: v_dual_add_f32 v1, v121, v1
	s_delay_alu instid0(VALU_DEP_1) | instskip(SKIP_1) | instid1(VALU_DEP_2)
	v_dual_add_f32 v1, v1, v2 :: v_dual_add_f32 v2, v4, v120
	v_dual_mul_f32 v4, v25, v18 :: v_dual_fmac_f32 v123, v16, v11
	v_add_f32_e32 v2, v2, v122
	v_mul_f32_e32 v127, v24, v18
	s_delay_alu instid0(VALU_DEP_3) | instskip(NEXT) | instid1(VALU_DEP_2)
	v_fma_f32 v4, v24, v17, -v4
	v_dual_add_f32 v2, v2, v123 :: v_dual_fmac_f32 v127, v25, v17
	s_delay_alu instid0(VALU_DEP_1) | instskip(NEXT) | instid1(VALU_DEP_1)
	v_add_f32_e32 v2, v2, v127
	v_add_f32_e32 v2, v2, v128
	v_mul_f32_e32 v5, v16, v12
	v_add_f32_e32 v1, v1, v3
	s_delay_alu instid0(VALU_DEP_3) | instskip(NEXT) | instid1(VALU_DEP_3)
	v_dual_mul_f32 v3, v27, v20 :: v_dual_add_f32 v2, v2, v126
	v_fma_f32 v5, v15, v11, -v5
	s_delay_alu instid0(VALU_DEP_2) | instskip(NEXT) | instid1(VALU_DEP_3)
	v_fma_f32 v3, v26, v19, -v3
	v_sub_f32_e32 v2, v125, v2
	s_delay_alu instid0(VALU_DEP_3) | instskip(SKIP_1) | instid1(VALU_DEP_2)
	v_add_f32_e32 v1, v1, v5
	v_mul_f32_e32 v5, v119, v117
	v_add_f32_e32 v1, v1, v4
	s_delay_alu instid0(VALU_DEP_2) | instskip(NEXT) | instid1(VALU_DEP_2)
	v_fma_f32 v4, v118, v116, -v5
	v_add_f32_e32 v1, v1, v3
	s_delay_alu instid0(VALU_DEP_1) | instskip(NEXT) | instid1(VALU_DEP_1)
	v_add_f32_e32 v1, v1, v4
	v_sub_f32_e32 v1, v124, v1
	scratch_store_b64 off, v[1:2], off offset:32
	v_cmpx_lt_u32_e32 3, v0
	s_cbranch_execz .LBB43_271
; %bb.270:
	scratch_load_b64 v[1:2], off, off offset:24
	v_mov_b32_e32 v22, v21
	scratch_store_b64 off, v[21:22], off offset:24
	s_wait_loadcnt 0x0
	ds_store_b64 v23, v[1:2]
.LBB43_271:
	s_wait_alu 0xfffe
	s_or_b32 exec_lo, exec_lo, s0
	s_wait_storecnt_dscnt 0x0
	s_barrier_signal -1
	s_barrier_wait -1
	global_inv scope:SCOPE_SE
	s_clause 0x4
	scratch_load_b128 v[5:8], off, off offset:32
	scratch_load_b128 v[1:4], off, off offset:48
	;; [unrolled: 1-line block ×5, first 2 shown]
	ds_load_b128 v[24:27], v21 offset:384
	ds_load_b128 v[116:119], v21 offset:400
	;; [unrolled: 1-line block ×3, first 2 shown]
	scratch_load_b64 v[124:125], off, off offset:24
	s_mov_b32 s0, exec_lo
	s_wait_loadcnt_dscnt 0x502
	v_dual_mul_f32 v22, v25, v6 :: v_dual_mul_f32 v127, v26, v8
	v_mul_f32_e32 v126, v24, v6
	v_mul_f32_e32 v6, v27, v8
	s_wait_loadcnt_dscnt 0x300
	v_mul_f32_e32 v128, v122, v12
	v_fma_f32 v22, v24, v5, -v22
	v_dual_fmac_f32 v127, v27, v7 :: v_dual_fmac_f32 v126, v25, v5
	v_mul_f32_e32 v27, v120, v10
	v_mul_f32_e32 v25, v116, v2
	v_fma_f32 v24, v26, v7, -v6
	ds_load_b128 v[5:8], v21 offset:432
	v_mul_f32_e32 v26, v118, v4
	v_dual_mul_f32 v4, v119, v4 :: v_dual_fmac_f32 v27, v121, v9
	v_mul_f32_e32 v10, v121, v10
	v_mul_f32_e32 v12, v123, v12
	;; [unrolled: 1-line block ×3, first 2 shown]
	v_dual_fmac_f32 v25, v117, v1 :: v_dual_fmac_f32 v26, v119, v3
	v_fma_f32 v117, v118, v3, -v4
	v_fma_f32 v118, v120, v9, -v10
	v_fmac_f32_e32 v128, v123, v11
	v_fma_f32 v119, v122, v11, -v12
	ds_load_b128 v[9:12], v21 offset:448
	s_wait_loadcnt_dscnt 0x201
	v_mul_f32_e32 v121, v7, v16
	v_fma_f32 v116, v116, v1, -v2
	scratch_load_b128 v[1:4], off, off offset:112
	v_mul_f32_e32 v120, v5, v14
	v_mul_f32_e32 v14, v6, v14
	;; [unrolled: 1-line block ×3, first 2 shown]
	s_delay_alu instid0(VALU_DEP_3) | instskip(NEXT) | instid1(VALU_DEP_3)
	v_dual_fmac_f32 v121, v8, v15 :: v_dual_fmac_f32 v120, v6, v13
	v_fma_f32 v13, v5, v13, -v14
	s_delay_alu instid0(VALU_DEP_3)
	v_fma_f32 v14, v7, v15, -v16
	ds_load_b128 v[5:8], v21 offset:464
	s_wait_loadcnt_dscnt 0x201
	v_mul_f32_e32 v15, v9, v18
	v_mul_f32_e32 v16, v10, v18
	;; [unrolled: 1-line block ×3, first 2 shown]
	s_delay_alu instid0(VALU_DEP_3) | instskip(NEXT) | instid1(VALU_DEP_3)
	v_dual_mul_f32 v20, v12, v20 :: v_dual_fmac_f32 v15, v10, v17
	v_fma_f32 v16, v9, v17, -v16
	s_delay_alu instid0(VALU_DEP_3) | instskip(NEXT) | instid1(VALU_DEP_3)
	v_fmac_f32_e32 v18, v12, v19
	v_fma_f32 v17, v11, v19, -v20
	scratch_load_b128 v[9:12], off, off offset:128
	s_wait_loadcnt_dscnt 0x100
	v_mul_f32_e32 v19, v5, v2
	v_mul_f32_e32 v2, v6, v2
	;; [unrolled: 1-line block ×3, first 2 shown]
	s_delay_alu instid0(VALU_DEP_3) | instskip(NEXT) | instid1(VALU_DEP_3)
	v_dual_mul_f32 v4, v8, v4 :: v_dual_fmac_f32 v19, v6, v1
	v_fma_f32 v122, v5, v1, -v2
	s_delay_alu instid0(VALU_DEP_3) | instskip(NEXT) | instid1(VALU_DEP_3)
	v_fmac_f32_e32 v20, v8, v3
	v_fma_f32 v123, v7, v3, -v4
	ds_load_b128 v[1:4], v21 offset:480
	ds_load_b128 v[5:8], v21 offset:496
	s_wait_loadcnt_dscnt 0x1
	v_mul_f32_e32 v129, v1, v10
	v_mul_f32_e32 v10, v2, v10
	s_delay_alu instid0(VALU_DEP_2) | instskip(NEXT) | instid1(VALU_DEP_2)
	v_dual_mul_f32 v130, v3, v12 :: v_dual_fmac_f32 v129, v2, v9
	v_fma_f32 v131, v1, v9, -v10
	v_mul_f32_e32 v1, v4, v12
	s_delay_alu instid0(VALU_DEP_3) | instskip(NEXT) | instid1(VALU_DEP_2)
	v_fmac_f32_e32 v130, v4, v11
	v_fma_f32 v132, v3, v11, -v1
	s_clause 0x1
	scratch_load_b128 v[1:4], off, off offset:144
	scratch_load_b128 v[9:12], off, off offset:160
	s_wait_loadcnt_dscnt 0x100
	v_mul_f32_e32 v133, v5, v2
	v_dual_mul_f32 v2, v6, v2 :: v_dual_mul_f32 v135, v7, v4
	s_delay_alu instid0(VALU_DEP_2) | instskip(NEXT) | instid1(VALU_DEP_2)
	v_fmac_f32_e32 v133, v6, v1
	v_fma_f32 v134, v5, v1, -v2
	v_mul_f32_e32 v1, v8, v4
	s_delay_alu instid0(VALU_DEP_4) | instskip(NEXT) | instid1(VALU_DEP_2)
	v_fmac_f32_e32 v135, v8, v3
	v_fma_f32 v136, v7, v3, -v1
	ds_load_b128 v[1:4], v21 offset:512
	ds_load_b128 v[5:8], v21 offset:528
	s_wait_loadcnt_dscnt 0x1
	v_mul_f32_e32 v137, v1, v10
	v_mul_f32_e32 v139, v3, v12
	s_delay_alu instid0(VALU_DEP_2) | instskip(NEXT) | instid1(VALU_DEP_2)
	v_fmac_f32_e32 v137, v2, v9
	v_dual_mul_f32 v2, v2, v10 :: v_dual_fmac_f32 v139, v4, v11
	s_delay_alu instid0(VALU_DEP_1) | instskip(SKIP_1) | instid1(VALU_DEP_1)
	v_fma_f32 v138, v1, v9, -v2
	v_mul_f32_e32 v1, v4, v12
	v_fma_f32 v140, v3, v11, -v1
	s_clause 0x1
	scratch_load_b128 v[1:4], off, off offset:176
	scratch_load_b128 v[9:12], off, off offset:192
	s_wait_loadcnt_dscnt 0x100
	v_mul_f32_e32 v141, v5, v2
	v_dual_mul_f32 v2, v6, v2 :: v_dual_mul_f32 v143, v7, v4
	s_delay_alu instid0(VALU_DEP_2) | instskip(NEXT) | instid1(VALU_DEP_2)
	v_fmac_f32_e32 v141, v6, v1
	v_fma_f32 v142, v5, v1, -v2
	v_mul_f32_e32 v1, v8, v4
	s_delay_alu instid0(VALU_DEP_4) | instskip(NEXT) | instid1(VALU_DEP_2)
	v_fmac_f32_e32 v143, v8, v3
	v_fma_f32 v144, v7, v3, -v1
	ds_load_b128 v[1:4], v21 offset:544
	ds_load_b128 v[5:8], v21 offset:560
	s_wait_loadcnt_dscnt 0x1
	v_mul_f32_e32 v145, v1, v10
	v_mul_f32_e32 v147, v3, v12
	s_delay_alu instid0(VALU_DEP_2) | instskip(NEXT) | instid1(VALU_DEP_2)
	v_fmac_f32_e32 v145, v2, v9
	v_dual_mul_f32 v2, v2, v10 :: v_dual_fmac_f32 v147, v4, v11
	s_delay_alu instid0(VALU_DEP_1) | instskip(SKIP_1) | instid1(VALU_DEP_1)
	v_fma_f32 v146, v1, v9, -v2
	v_mul_f32_e32 v1, v4, v12
	;; [unrolled: 25-line block ×4, first 2 shown]
	v_fma_f32 v164, v3, v11, -v1
	s_clause 0x1
	scratch_load_b128 v[1:4], off, off offset:272
	scratch_load_b128 v[9:12], off, off offset:288
	s_wait_loadcnt_dscnt 0x100
	v_mul_f32_e32 v165, v5, v2
	v_mul_f32_e32 v2, v6, v2
	s_delay_alu instid0(VALU_DEP_1) | instskip(SKIP_1) | instid1(VALU_DEP_1)
	v_fma_f32 v166, v5, v1, -v2
	v_add_f32_e32 v2, 0, v126
	v_add_f32_e32 v2, v2, v127
	s_delay_alu instid0(VALU_DEP_1) | instskip(NEXT) | instid1(VALU_DEP_1)
	v_add_f32_e32 v2, v2, v25
	v_add_f32_e32 v2, v2, v26
	s_delay_alu instid0(VALU_DEP_1) | instskip(NEXT) | instid1(VALU_DEP_1)
	;; [unrolled: 3-line block ×7, first 2 shown]
	v_add_f32_e32 v2, v2, v133
	v_add_f32_e32 v2, v2, v135
	v_fmac_f32_e32 v165, v6, v1
	v_mul_f32_e32 v1, v8, v4
	s_delay_alu instid0(VALU_DEP_1) | instskip(SKIP_1) | instid1(VALU_DEP_1)
	v_fma_f32 v168, v7, v3, -v1
	v_add_f32_e32 v1, 0, v22
	v_add_f32_e32 v1, v1, v24
	s_delay_alu instid0(VALU_DEP_1) | instskip(NEXT) | instid1(VALU_DEP_1)
	v_add_f32_e32 v1, v1, v116
	v_add_f32_e32 v1, v1, v117
	s_delay_alu instid0(VALU_DEP_1) | instskip(NEXT) | instid1(VALU_DEP_1)
	;; [unrolled: 3-line block ×9, first 2 shown]
	v_dual_mul_f32 v167, v7, v4 :: v_dual_add_f32 v6, v6, v142
	v_add_f32_e32 v13, v6, v144
	s_delay_alu instid0(VALU_DEP_1) | instskip(NEXT) | instid1(VALU_DEP_1)
	v_add_f32_e32 v13, v13, v146
	v_add_f32_e32 v13, v13, v148
	s_delay_alu instid0(VALU_DEP_1) | instskip(NEXT) | instid1(VALU_DEP_1)
	v_add_f32_e32 v13, v13, v150
	v_dual_add_f32 v5, v2, v137 :: v_dual_add_f32 v18, v13, v152
	s_delay_alu instid0(VALU_DEP_1) | instskip(NEXT) | instid1(VALU_DEP_1)
	v_dual_add_f32 v5, v5, v139 :: v_dual_add_f32 v18, v18, v154
	v_dual_add_f32 v5, v5, v141 :: v_dual_add_f32 v18, v18, v156
	s_delay_alu instid0(VALU_DEP_1)
	v_add_f32_e32 v14, v5, v143
	v_fmac_f32_e32 v167, v8, v3
	ds_load_b128 v[1:4], v21 offset:640
	ds_load_b128 v[5:8], v21 offset:656
	v_add_f32_e32 v24, v18, v158
	v_add_f32_e32 v14, v14, v145
	s_delay_alu instid0(VALU_DEP_1)
	v_add_f32_e32 v14, v14, v147
	s_wait_loadcnt_dscnt 0x1
	v_mul_f32_e32 v22, v1, v10
	v_mul_f32_e32 v116, v3, v12
	;; [unrolled: 1-line block ×4, first 2 shown]
	s_delay_alu instid0(VALU_DEP_4) | instskip(NEXT) | instid1(VALU_DEP_4)
	v_fmac_f32_e32 v22, v2, v9
	v_fmac_f32_e32 v116, v4, v11
	s_delay_alu instid0(VALU_DEP_4) | instskip(NEXT) | instid1(VALU_DEP_4)
	v_fma_f32 v117, v1, v9, -v10
	v_fma_f32 v118, v3, v11, -v12
	s_clause 0x1
	scratch_load_b128 v[1:4], off, off offset:304
	scratch_load_b128 v[9:12], off, off offset:320
	v_add_f32_e32 v17, v14, v149
	scratch_load_b128 v[13:16], off, off offset:336
	v_add_f32_e32 v17, v17, v151
	s_delay_alu instid0(VALU_DEP_1) | instskip(NEXT) | instid1(VALU_DEP_1)
	v_add_f32_e32 v17, v17, v153
	v_add_f32_e32 v17, v17, v155
	s_delay_alu instid0(VALU_DEP_1)
	v_add_f32_e32 v25, v17, v157
	ds_load_b128 v[17:20], v21 offset:672
	v_dual_add_f32 v119, v24, v160 :: v_dual_add_f32 v120, v25, v159
	ds_load_b128 v[24:27], v21 offset:688
	s_wait_loadcnt_dscnt 0x101
	v_dual_mul_f32 v121, v7, v4 :: v_dual_mul_f32 v122, v17, v10
	v_add_f32_e32 v21, v119, v162
	v_add_f32_e32 v119, v120, v161
	s_wait_loadcnt_dscnt 0x0
	v_mul_f32_e32 v126, v24, v14
	v_mul_f32_e32 v120, v5, v2
	v_dual_mul_f32 v2, v6, v2 :: v_dual_add_f32 v21, v21, v164
	s_delay_alu instid0(VALU_DEP_3) | instskip(SKIP_1) | instid1(VALU_DEP_3)
	v_dual_add_f32 v119, v119, v163 :: v_dual_fmac_f32 v126, v25, v13
	v_mul_f32_e32 v4, v8, v4
	v_fma_f32 v2, v5, v1, -v2
	s_delay_alu instid0(VALU_DEP_4) | instskip(NEXT) | instid1(VALU_DEP_4)
	v_add_f32_e32 v21, v21, v166
	v_add_f32_e32 v119, v119, v165
	v_fmac_f32_e32 v120, v6, v1
	v_dual_mul_f32 v6, v18, v10 :: v_dual_fmac_f32 v121, v8, v3
	s_delay_alu instid0(VALU_DEP_4) | instskip(NEXT) | instid1(VALU_DEP_4)
	v_add_f32_e32 v21, v21, v168
	v_add_f32_e32 v119, v119, v167
	v_fma_f32 v3, v7, v3, -v4
	v_mul_f32_e32 v123, v19, v12
	s_delay_alu instid0(VALU_DEP_4) | instskip(NEXT) | instid1(VALU_DEP_4)
	v_dual_mul_f32 v4, v20, v12 :: v_dual_add_f32 v21, v21, v117
	v_add_f32_e32 v22, v119, v22
	s_delay_alu instid0(VALU_DEP_3) | instskip(NEXT) | instid1(VALU_DEP_3)
	v_dual_fmac_f32 v122, v18, v9 :: v_dual_fmac_f32 v123, v20, v11
	v_fma_f32 v4, v19, v11, -v4
	s_delay_alu instid0(VALU_DEP_4) | instskip(NEXT) | instid1(VALU_DEP_4)
	v_add_f32_e32 v1, v21, v118
	v_add_f32_e32 v5, v22, v116
	v_mul_f32_e32 v117, v26, v16
	s_delay_alu instid0(VALU_DEP_3) | instskip(NEXT) | instid1(VALU_DEP_3)
	v_add_f32_e32 v1, v1, v2
	v_add_f32_e32 v2, v5, v120
	v_fma_f32 v5, v17, v9, -v6
	s_delay_alu instid0(VALU_DEP_4) | instskip(NEXT) | instid1(VALU_DEP_3)
	v_fmac_f32_e32 v117, v27, v15
	v_dual_add_f32 v1, v1, v3 :: v_dual_add_f32 v2, v2, v121
	v_mul_f32_e32 v3, v25, v14
	s_delay_alu instid0(VALU_DEP_2) | instskip(SKIP_1) | instid1(VALU_DEP_3)
	v_dual_add_f32 v1, v1, v5 :: v_dual_add_f32 v2, v2, v122
	v_mul_f32_e32 v5, v27, v16
	v_fma_f32 v3, v24, v13, -v3
	s_delay_alu instid0(VALU_DEP_3) | instskip(NEXT) | instid1(VALU_DEP_3)
	v_dual_add_f32 v1, v1, v4 :: v_dual_add_f32 v2, v2, v123
	v_fma_f32 v4, v26, v15, -v5
	s_delay_alu instid0(VALU_DEP_2) | instskip(NEXT) | instid1(VALU_DEP_1)
	v_dual_add_f32 v1, v1, v3 :: v_dual_add_f32 v2, v2, v126
	v_dual_add_f32 v1, v1, v4 :: v_dual_add_f32 v2, v2, v117
	s_delay_alu instid0(VALU_DEP_1)
	v_dual_sub_f32 v1, v124, v1 :: v_dual_sub_f32 v2, v125, v2
	scratch_store_b64 off, v[1:2], off offset:24
	v_cmpx_lt_u32_e32 2, v0
	s_cbranch_execz .LBB43_273
; %bb.272:
	scratch_load_b64 v[1:2], off, off offset:16
	v_mov_b32_e32 v3, 0
	s_delay_alu instid0(VALU_DEP_1)
	v_mov_b32_e32 v4, v3
	scratch_store_b64 off, v[3:4], off offset:16
	s_wait_loadcnt 0x0
	ds_store_b64 v23, v[1:2]
.LBB43_273:
	s_wait_alu 0xfffe
	s_or_b32 exec_lo, exec_lo, s0
	s_wait_storecnt_dscnt 0x0
	s_barrier_signal -1
	s_barrier_wait -1
	global_inv scope:SCOPE_SE
	s_clause 0x4
	scratch_load_b128 v[5:8], off, off offset:24
	scratch_load_b128 v[1:4], off, off offset:40
	scratch_load_b128 v[9:12], off, off offset:56
	scratch_load_b128 v[13:16], off, off offset:72
	scratch_load_b128 v[17:20], off, off offset:88
	v_mov_b32_e32 v21, 0
	ds_load_2addr_b64 v[24:27], v21 offset0:47 offset1:48
	ds_load_2addr_b64 v[116:119], v21 offset0:49 offset1:50
	;; [unrolled: 1-line block ×3, first 2 shown]
	scratch_load_b64 v[124:125], off, off offset:16
	s_mov_b32 s0, exec_lo
	s_wait_loadcnt_dscnt 0x502
	v_mul_f32_e32 v22, v25, v6
	v_dual_mul_f32 v126, v24, v6 :: v_dual_mul_f32 v127, v26, v8
	v_mul_f32_e32 v6, v27, v8
	s_delay_alu instid0(VALU_DEP_3) | instskip(NEXT) | instid1(VALU_DEP_3)
	v_fma_f32 v22, v24, v5, -v22
	v_dual_fmac_f32 v126, v25, v5 :: v_dual_fmac_f32 v127, v27, v7
	s_wait_loadcnt_dscnt 0x401
	v_mul_f32_e32 v25, v116, v2
	v_fma_f32 v24, v26, v7, -v6
	ds_load_2addr_b64 v[5:8], v21 offset0:53 offset1:54
	s_wait_loadcnt_dscnt 0x301
	v_dual_mul_f32 v26, v118, v4 :: v_dual_mul_f32 v27, v120, v10
	v_dual_mul_f32 v4, v119, v4 :: v_dual_fmac_f32 v25, v117, v1
	v_mul_f32_e32 v10, v121, v10
	s_delay_alu instid0(VALU_DEP_3)
	v_dual_mul_f32 v128, v122, v12 :: v_dual_fmac_f32 v27, v121, v9
	v_mul_f32_e32 v12, v123, v12
	v_mul_f32_e32 v2, v117, v2
	v_fmac_f32_e32 v26, v119, v3
	v_fma_f32 v117, v118, v3, -v4
	v_fma_f32 v118, v120, v9, -v10
	v_fmac_f32_e32 v128, v123, v11
	v_fma_f32 v119, v122, v11, -v12
	ds_load_2addr_b64 v[9:12], v21 offset0:55 offset1:56
	s_wait_loadcnt_dscnt 0x201
	v_mul_f32_e32 v121, v7, v16
	v_fma_f32 v116, v116, v1, -v2
	scratch_load_b128 v[1:4], off, off offset:104
	v_mul_f32_e32 v120, v5, v14
	v_mul_f32_e32 v14, v6, v14
	;; [unrolled: 1-line block ×3, first 2 shown]
	s_delay_alu instid0(VALU_DEP_3) | instskip(NEXT) | instid1(VALU_DEP_3)
	v_dual_fmac_f32 v121, v8, v15 :: v_dual_fmac_f32 v120, v6, v13
	v_fma_f32 v13, v5, v13, -v14
	s_delay_alu instid0(VALU_DEP_3)
	v_fma_f32 v14, v7, v15, -v16
	ds_load_2addr_b64 v[5:8], v21 offset0:57 offset1:58
	s_wait_loadcnt_dscnt 0x201
	v_mul_f32_e32 v15, v9, v18
	v_mul_f32_e32 v16, v10, v18
	;; [unrolled: 1-line block ×3, first 2 shown]
	s_delay_alu instid0(VALU_DEP_3) | instskip(NEXT) | instid1(VALU_DEP_3)
	v_dual_mul_f32 v20, v12, v20 :: v_dual_fmac_f32 v15, v10, v17
	v_fma_f32 v16, v9, v17, -v16
	s_delay_alu instid0(VALU_DEP_3) | instskip(NEXT) | instid1(VALU_DEP_3)
	v_fmac_f32_e32 v18, v12, v19
	v_fma_f32 v17, v11, v19, -v20
	scratch_load_b128 v[9:12], off, off offset:120
	s_wait_loadcnt_dscnt 0x100
	v_mul_f32_e32 v19, v5, v2
	v_mul_f32_e32 v2, v6, v2
	;; [unrolled: 1-line block ×3, first 2 shown]
	s_delay_alu instid0(VALU_DEP_3) | instskip(NEXT) | instid1(VALU_DEP_3)
	v_dual_mul_f32 v4, v8, v4 :: v_dual_fmac_f32 v19, v6, v1
	v_fma_f32 v122, v5, v1, -v2
	s_delay_alu instid0(VALU_DEP_3) | instskip(NEXT) | instid1(VALU_DEP_3)
	v_fmac_f32_e32 v20, v8, v3
	v_fma_f32 v123, v7, v3, -v4
	ds_load_2addr_b64 v[1:4], v21 offset0:59 offset1:60
	ds_load_2addr_b64 v[5:8], v21 offset0:61 offset1:62
	s_wait_loadcnt_dscnt 0x1
	v_mul_f32_e32 v129, v1, v10
	v_mul_f32_e32 v10, v2, v10
	s_delay_alu instid0(VALU_DEP_2) | instskip(NEXT) | instid1(VALU_DEP_2)
	v_dual_mul_f32 v130, v3, v12 :: v_dual_fmac_f32 v129, v2, v9
	v_fma_f32 v131, v1, v9, -v10
	v_mul_f32_e32 v1, v4, v12
	s_delay_alu instid0(VALU_DEP_3) | instskip(NEXT) | instid1(VALU_DEP_2)
	v_fmac_f32_e32 v130, v4, v11
	v_fma_f32 v132, v3, v11, -v1
	s_clause 0x1
	scratch_load_b128 v[1:4], off, off offset:136
	scratch_load_b128 v[9:12], off, off offset:152
	s_wait_loadcnt_dscnt 0x100
	v_mul_f32_e32 v133, v5, v2
	v_dual_mul_f32 v2, v6, v2 :: v_dual_mul_f32 v135, v7, v4
	s_delay_alu instid0(VALU_DEP_2) | instskip(NEXT) | instid1(VALU_DEP_2)
	v_fmac_f32_e32 v133, v6, v1
	v_fma_f32 v134, v5, v1, -v2
	v_mul_f32_e32 v1, v8, v4
	s_delay_alu instid0(VALU_DEP_4) | instskip(NEXT) | instid1(VALU_DEP_2)
	v_fmac_f32_e32 v135, v8, v3
	v_fma_f32 v136, v7, v3, -v1
	ds_load_2addr_b64 v[1:4], v21 offset0:63 offset1:64
	ds_load_2addr_b64 v[5:8], v21 offset0:65 offset1:66
	s_wait_loadcnt_dscnt 0x1
	v_mul_f32_e32 v137, v1, v10
	v_mul_f32_e32 v139, v3, v12
	s_delay_alu instid0(VALU_DEP_2) | instskip(NEXT) | instid1(VALU_DEP_2)
	v_fmac_f32_e32 v137, v2, v9
	v_dual_mul_f32 v2, v2, v10 :: v_dual_fmac_f32 v139, v4, v11
	s_delay_alu instid0(VALU_DEP_1) | instskip(SKIP_1) | instid1(VALU_DEP_1)
	v_fma_f32 v138, v1, v9, -v2
	v_mul_f32_e32 v1, v4, v12
	v_fma_f32 v140, v3, v11, -v1
	s_clause 0x1
	scratch_load_b128 v[1:4], off, off offset:168
	scratch_load_b128 v[9:12], off, off offset:184
	s_wait_loadcnt_dscnt 0x100
	v_mul_f32_e32 v141, v5, v2
	v_dual_mul_f32 v143, v7, v4 :: v_dual_mul_f32 v2, v6, v2
	s_delay_alu instid0(VALU_DEP_2) | instskip(NEXT) | instid1(VALU_DEP_2)
	v_fmac_f32_e32 v141, v6, v1
	v_fmac_f32_e32 v143, v8, v3
	s_delay_alu instid0(VALU_DEP_3) | instskip(SKIP_1) | instid1(VALU_DEP_1)
	v_fma_f32 v142, v5, v1, -v2
	v_mul_f32_e32 v1, v8, v4
	v_fma_f32 v144, v7, v3, -v1
	ds_load_2addr_b64 v[1:4], v21 offset0:67 offset1:68
	ds_load_2addr_b64 v[5:8], v21 offset0:69 offset1:70
	s_wait_loadcnt_dscnt 0x1
	v_mul_f32_e32 v145, v1, v10
	v_mul_f32_e32 v147, v3, v12
	s_delay_alu instid0(VALU_DEP_2) | instskip(NEXT) | instid1(VALU_DEP_2)
	v_fmac_f32_e32 v145, v2, v9
	v_dual_mul_f32 v2, v2, v10 :: v_dual_fmac_f32 v147, v4, v11
	s_delay_alu instid0(VALU_DEP_1) | instskip(SKIP_1) | instid1(VALU_DEP_1)
	v_fma_f32 v146, v1, v9, -v2
	v_mul_f32_e32 v1, v4, v12
	v_fma_f32 v148, v3, v11, -v1
	s_clause 0x1
	scratch_load_b128 v[1:4], off, off offset:200
	scratch_load_b128 v[9:12], off, off offset:216
	s_wait_loadcnt_dscnt 0x100
	v_mul_f32_e32 v149, v5, v2
	v_dual_mul_f32 v2, v6, v2 :: v_dual_mul_f32 v151, v7, v4
	s_delay_alu instid0(VALU_DEP_2) | instskip(NEXT) | instid1(VALU_DEP_2)
	v_fmac_f32_e32 v149, v6, v1
	v_fma_f32 v150, v5, v1, -v2
	v_mul_f32_e32 v1, v8, v4
	s_delay_alu instid0(VALU_DEP_4) | instskip(NEXT) | instid1(VALU_DEP_2)
	v_fmac_f32_e32 v151, v8, v3
	v_fma_f32 v152, v7, v3, -v1
	ds_load_2addr_b64 v[1:4], v21 offset0:71 offset1:72
	ds_load_2addr_b64 v[5:8], v21 offset0:73 offset1:74
	s_wait_loadcnt_dscnt 0x1
	v_mul_f32_e32 v153, v1, v10
	v_mul_f32_e32 v155, v3, v12
	s_delay_alu instid0(VALU_DEP_2) | instskip(NEXT) | instid1(VALU_DEP_2)
	v_fmac_f32_e32 v153, v2, v9
	v_dual_mul_f32 v2, v2, v10 :: v_dual_fmac_f32 v155, v4, v11
	s_delay_alu instid0(VALU_DEP_1) | instskip(SKIP_1) | instid1(VALU_DEP_1)
	v_fma_f32 v154, v1, v9, -v2
	v_mul_f32_e32 v1, v4, v12
	v_fma_f32 v156, v3, v11, -v1
	s_clause 0x1
	scratch_load_b128 v[1:4], off, off offset:232
	scratch_load_b128 v[9:12], off, off offset:248
	s_wait_loadcnt_dscnt 0x100
	v_mul_f32_e32 v157, v5, v2
	v_dual_mul_f32 v2, v6, v2 :: v_dual_mul_f32 v159, v7, v4
	s_delay_alu instid0(VALU_DEP_2) | instskip(NEXT) | instid1(VALU_DEP_2)
	v_fmac_f32_e32 v157, v6, v1
	v_fma_f32 v158, v5, v1, -v2
	v_mul_f32_e32 v1, v8, v4
	s_delay_alu instid0(VALU_DEP_4) | instskip(NEXT) | instid1(VALU_DEP_2)
	v_fmac_f32_e32 v159, v8, v3
	v_fma_f32 v160, v7, v3, -v1
	ds_load_2addr_b64 v[1:4], v21 offset0:75 offset1:76
	ds_load_2addr_b64 v[5:8], v21 offset0:77 offset1:78
	s_wait_loadcnt_dscnt 0x1
	v_mul_f32_e32 v161, v1, v10
	v_mul_f32_e32 v163, v3, v12
	s_delay_alu instid0(VALU_DEP_2) | instskip(NEXT) | instid1(VALU_DEP_2)
	v_fmac_f32_e32 v161, v2, v9
	v_dual_mul_f32 v2, v2, v10 :: v_dual_fmac_f32 v163, v4, v11
	s_delay_alu instid0(VALU_DEP_1) | instskip(SKIP_1) | instid1(VALU_DEP_1)
	v_fma_f32 v162, v1, v9, -v2
	v_mul_f32_e32 v1, v4, v12
	v_fma_f32 v164, v3, v11, -v1
	s_clause 0x1
	scratch_load_b128 v[1:4], off, off offset:264
	scratch_load_b128 v[9:12], off, off offset:280
	s_wait_loadcnt_dscnt 0x100
	v_mul_f32_e32 v165, v5, v2
	v_mul_f32_e32 v2, v6, v2
	s_delay_alu instid0(VALU_DEP_2) | instskip(NEXT) | instid1(VALU_DEP_2)
	v_fmac_f32_e32 v165, v6, v1
	v_fma_f32 v166, v5, v1, -v2
	v_dual_add_f32 v2, 0, v126 :: v_dual_mul_f32 v1, v8, v4
	s_delay_alu instid0(VALU_DEP_1) | instskip(NEXT) | instid1(VALU_DEP_2)
	v_add_f32_e32 v2, v2, v127
	v_fma_f32 v168, v7, v3, -v1
	s_delay_alu instid0(VALU_DEP_2) | instskip(NEXT) | instid1(VALU_DEP_1)
	v_dual_add_f32 v1, 0, v22 :: v_dual_add_f32 v2, v2, v25
	v_dual_add_f32 v1, v1, v24 :: v_dual_add_f32 v2, v2, v26
	s_delay_alu instid0(VALU_DEP_1) | instskip(NEXT) | instid1(VALU_DEP_1)
	v_dual_add_f32 v1, v1, v116 :: v_dual_add_f32 v2, v2, v27
	v_add_f32_e32 v1, v1, v117
	scratch_load_b64 v[116:117], off, off offset:344
	v_dual_add_f32 v2, v2, v128 :: v_dual_add_f32 v1, v1, v118
	s_delay_alu instid0(VALU_DEP_1) | instskip(NEXT) | instid1(VALU_DEP_1)
	v_dual_add_f32 v2, v2, v120 :: v_dual_add_f32 v1, v1, v119
	v_add_f32_e32 v2, v2, v121
	s_delay_alu instid0(VALU_DEP_1) | instskip(NEXT) | instid1(VALU_DEP_1)
	v_dual_add_f32 v1, v1, v13 :: v_dual_add_f32 v2, v2, v15
	v_add_f32_e32 v2, v2, v18
	s_delay_alu instid0(VALU_DEP_1) | instskip(NEXT) | instid1(VALU_DEP_1)
	v_add_f32_e32 v2, v2, v19
	v_add_f32_e32 v2, v2, v20
	s_delay_alu instid0(VALU_DEP_1) | instskip(NEXT) | instid1(VALU_DEP_1)
	v_add_f32_e32 v2, v2, v129
	v_add_f32_e32 v2, v2, v130
	s_delay_alu instid0(VALU_DEP_1) | instskip(NEXT) | instid1(VALU_DEP_1)
	v_dual_add_f32 v2, v2, v133 :: v_dual_add_f32 v1, v1, v14
	v_dual_add_f32 v2, v2, v135 :: v_dual_add_f32 v1, v1, v16
	s_delay_alu instid0(VALU_DEP_1) | instskip(NEXT) | instid1(VALU_DEP_1)
	v_add_f32_e32 v1, v1, v17
	v_add_f32_e32 v1, v1, v122
	s_delay_alu instid0(VALU_DEP_1) | instskip(NEXT) | instid1(VALU_DEP_1)
	v_add_f32_e32 v1, v1, v123
	v_add_f32_e32 v1, v1, v131
	;; [unrolled: 3-line block ×4, first 2 shown]
	s_delay_alu instid0(VALU_DEP_1) | instskip(NEXT) | instid1(VALU_DEP_1)
	v_add_f32_e32 v6, v1, v140
	v_dual_mul_f32 v167, v7, v4 :: v_dual_add_f32 v6, v6, v142
	s_delay_alu instid0(VALU_DEP_1) | instskip(NEXT) | instid1(VALU_DEP_2)
	v_fmac_f32_e32 v167, v8, v3
	v_add_f32_e32 v13, v6, v144
	s_delay_alu instid0(VALU_DEP_1) | instskip(NEXT) | instid1(VALU_DEP_1)
	v_add_f32_e32 v13, v13, v146
	v_add_f32_e32 v13, v13, v148
	s_delay_alu instid0(VALU_DEP_1) | instskip(SKIP_3) | instid1(VALU_DEP_1)
	v_add_f32_e32 v13, v13, v150
	v_add_f32_e32 v5, v2, v137
	ds_load_2addr_b64 v[1:4], v21 offset0:79 offset1:80
	v_add_f32_e32 v18, v13, v152
	v_dual_add_f32 v5, v5, v139 :: v_dual_add_f32 v18, v18, v154
	s_delay_alu instid0(VALU_DEP_1) | instskip(NEXT) | instid1(VALU_DEP_1)
	v_dual_add_f32 v5, v5, v141 :: v_dual_add_f32 v18, v18, v156
	v_add_f32_e32 v14, v5, v143
	ds_load_2addr_b64 v[5:8], v21 offset0:81 offset1:82
	v_add_f32_e32 v18, v18, v158
	v_add_f32_e32 v14, v14, v145
	s_wait_loadcnt_dscnt 0x101
	v_mul_f32_e32 v22, v1, v10
	v_mul_f32_e32 v10, v2, v10
	;; [unrolled: 1-line block ×4, first 2 shown]
	v_add_f32_e32 v18, v18, v160
	v_fmac_f32_e32 v22, v2, v9
	v_fma_f32 v121, v1, v9, -v10
	v_fmac_f32_e32 v120, v4, v11
	v_fma_f32 v122, v3, v11, -v12
	s_clause 0x1
	scratch_load_b128 v[1:4], off, off offset:296
	scratch_load_b128 v[9:12], off, off offset:312
	v_add_f32_e32 v118, v18, v162
	v_add_f32_e32 v14, v14, v147
	s_delay_alu instid0(VALU_DEP_2) | instskip(NEXT) | instid1(VALU_DEP_1)
	v_add_f32_e32 v123, v118, v164
	v_add_f32_e32 v123, v123, v166
	s_delay_alu instid0(VALU_DEP_1) | instskip(NEXT) | instid1(VALU_DEP_1)
	v_add_f32_e32 v123, v123, v168
	v_add_f32_e32 v121, v123, v121
	s_delay_alu instid0(VALU_DEP_1)
	v_add_f32_e32 v121, v121, v122
	s_wait_loadcnt_dscnt 0x100
	v_mul_f32_e32 v127, v5, v2
	v_mul_f32_e32 v2, v6, v2
	;; [unrolled: 1-line block ×4, first 2 shown]
	s_delay_alu instid0(VALU_DEP_3)
	v_fma_f32 v2, v5, v1, -v2
	v_add_f32_e32 v17, v14, v149
	scratch_load_b128 v[13:16], off, off offset:328
	v_fmac_f32_e32 v128, v8, v3
	v_add_f32_e32 v2, v121, v2
	v_add_f32_e32 v17, v17, v151
	s_delay_alu instid0(VALU_DEP_1) | instskip(NEXT) | instid1(VALU_DEP_1)
	v_add_f32_e32 v17, v17, v153
	v_add_f32_e32 v17, v17, v155
	s_delay_alu instid0(VALU_DEP_1) | instskip(NEXT) | instid1(VALU_DEP_1)
	v_add_f32_e32 v17, v17, v157
	v_add_f32_e32 v24, v17, v159
	ds_load_2addr_b64 v[17:20], v21 offset0:83 offset1:84
	v_add_f32_e32 v119, v24, v161
	ds_load_2addr_b64 v[24:27], v21 offset0:85 offset1:86
	v_add_f32_e32 v126, v119, v163
	ds_load_b64 v[118:119], v21 offset:696
	v_add_f32_e32 v126, v126, v165
	s_wait_loadcnt_dscnt 0x102
	s_delay_alu instid0(VALU_DEP_1) | instskip(NEXT) | instid1(VALU_DEP_1)
	v_dual_add_f32 v126, v126, v167 :: v_dual_mul_f32 v123, v17, v10
	v_dual_mul_f32 v5, v20, v12 :: v_dual_add_f32 v22, v126, v22
	s_delay_alu instid0(VALU_DEP_2) | instskip(NEXT) | instid1(VALU_DEP_2)
	v_dual_mul_f32 v126, v19, v12 :: v_dual_fmac_f32 v123, v18, v9
	v_fma_f32 v5, v19, v11, -v5
	s_delay_alu instid0(VALU_DEP_3) | instskip(NEXT) | instid1(VALU_DEP_3)
	v_add_f32_e32 v22, v22, v120
	v_fmac_f32_e32 v126, v20, v11
	s_wait_dscnt 0x0
	v_mul_f32_e32 v120, v118, v117
	s_delay_alu instid0(VALU_DEP_1) | instskip(SKIP_2) | instid1(VALU_DEP_3)
	v_dual_fmac_f32 v120, v119, v116 :: v_dual_fmac_f32 v127, v6, v1
	v_fma_f32 v1, v7, v3, -v4
	v_mul_f32_e32 v3, v18, v10
	v_add_f32_e32 v4, v22, v127
	s_delay_alu instid0(VALU_DEP_3) | instskip(NEXT) | instid1(VALU_DEP_3)
	v_add_f32_e32 v1, v2, v1
	v_fma_f32 v3, v17, v9, -v3
	s_delay_alu instid0(VALU_DEP_1) | instskip(NEXT) | instid1(VALU_DEP_1)
	v_dual_add_f32 v2, v4, v128 :: v_dual_add_f32 v1, v1, v3
	v_dual_add_f32 v2, v2, v123 :: v_dual_add_f32 v1, v1, v5
	s_delay_alu instid0(VALU_DEP_1)
	v_dual_mul_f32 v5, v119, v117 :: v_dual_add_f32 v2, v2, v126
	s_wait_loadcnt 0x0
	v_mul_f32_e32 v129, v24, v14
	v_mul_f32_e32 v4, v25, v14
	;; [unrolled: 1-line block ×4, first 2 shown]
	s_delay_alu instid0(VALU_DEP_4) | instskip(NEXT) | instid1(VALU_DEP_4)
	v_fmac_f32_e32 v129, v25, v13
	v_fma_f32 v4, v24, v13, -v4
	s_delay_alu instid0(VALU_DEP_4) | instskip(NEXT) | instid1(VALU_DEP_4)
	v_fmac_f32_e32 v122, v27, v15
	v_fma_f32 v3, v26, v15, -v3
	s_delay_alu instid0(VALU_DEP_3) | instskip(SKIP_1) | instid1(VALU_DEP_2)
	v_dual_add_f32 v2, v2, v129 :: v_dual_add_f32 v1, v1, v4
	v_fma_f32 v4, v118, v116, -v5
	v_dual_add_f32 v2, v2, v122 :: v_dual_add_f32 v1, v1, v3
	s_delay_alu instid0(VALU_DEP_1) | instskip(NEXT) | instid1(VALU_DEP_2)
	v_add_f32_e32 v2, v2, v120
	v_add_f32_e32 v1, v1, v4
	s_delay_alu instid0(VALU_DEP_1)
	v_dual_sub_f32 v2, v125, v2 :: v_dual_sub_f32 v1, v124, v1
	scratch_store_b64 off, v[1:2], off offset:16
	v_cmpx_lt_u32_e32 1, v0
	s_cbranch_execz .LBB43_275
; %bb.274:
	scratch_load_b64 v[1:2], off, off offset:8
	v_mov_b32_e32 v22, v21
	scratch_store_b64 off, v[21:22], off offset:8
	s_wait_loadcnt 0x0
	ds_store_b64 v23, v[1:2]
.LBB43_275:
	s_wait_alu 0xfffe
	s_or_b32 exec_lo, exec_lo, s0
	s_wait_storecnt_dscnt 0x0
	s_barrier_signal -1
	s_barrier_wait -1
	global_inv scope:SCOPE_SE
	s_clause 0x4
	scratch_load_b128 v[5:8], off, off offset:16
	scratch_load_b128 v[1:4], off, off offset:32
	;; [unrolled: 1-line block ×5, first 2 shown]
	ds_load_b128 v[24:27], v21 offset:368
	ds_load_b128 v[116:119], v21 offset:384
	;; [unrolled: 1-line block ×3, first 2 shown]
	scratch_load_b64 v[124:125], off, off offset:8
	s_mov_b32 s0, exec_lo
	s_wait_loadcnt_dscnt 0x502
	v_dual_mul_f32 v22, v25, v6 :: v_dual_mul_f32 v127, v26, v8
	v_mul_f32_e32 v126, v24, v6
	v_mul_f32_e32 v6, v27, v8
	s_wait_loadcnt_dscnt 0x300
	v_mul_f32_e32 v128, v122, v12
	v_fma_f32 v22, v24, v5, -v22
	v_dual_fmac_f32 v127, v27, v7 :: v_dual_fmac_f32 v126, v25, v5
	v_mul_f32_e32 v27, v120, v10
	v_mul_f32_e32 v25, v116, v2
	v_fma_f32 v24, v26, v7, -v6
	ds_load_b128 v[5:8], v21 offset:416
	v_mul_f32_e32 v26, v118, v4
	v_dual_mul_f32 v4, v119, v4 :: v_dual_fmac_f32 v27, v121, v9
	v_mul_f32_e32 v10, v121, v10
	v_mul_f32_e32 v12, v123, v12
	;; [unrolled: 1-line block ×3, first 2 shown]
	v_dual_fmac_f32 v25, v117, v1 :: v_dual_fmac_f32 v26, v119, v3
	v_fma_f32 v117, v118, v3, -v4
	v_fma_f32 v118, v120, v9, -v10
	v_fmac_f32_e32 v128, v123, v11
	v_fma_f32 v119, v122, v11, -v12
	ds_load_b128 v[9:12], v21 offset:432
	s_wait_loadcnt_dscnt 0x201
	v_mul_f32_e32 v121, v7, v16
	v_fma_f32 v116, v116, v1, -v2
	scratch_load_b128 v[1:4], off, off offset:96
	v_mul_f32_e32 v120, v5, v14
	v_mul_f32_e32 v14, v6, v14
	;; [unrolled: 1-line block ×3, first 2 shown]
	s_delay_alu instid0(VALU_DEP_3) | instskip(NEXT) | instid1(VALU_DEP_3)
	v_dual_fmac_f32 v121, v8, v15 :: v_dual_fmac_f32 v120, v6, v13
	v_fma_f32 v13, v5, v13, -v14
	s_delay_alu instid0(VALU_DEP_3)
	v_fma_f32 v14, v7, v15, -v16
	ds_load_b128 v[5:8], v21 offset:448
	s_wait_loadcnt_dscnt 0x201
	v_mul_f32_e32 v15, v9, v18
	v_mul_f32_e32 v16, v10, v18
	;; [unrolled: 1-line block ×3, first 2 shown]
	s_delay_alu instid0(VALU_DEP_3) | instskip(NEXT) | instid1(VALU_DEP_3)
	v_dual_mul_f32 v20, v12, v20 :: v_dual_fmac_f32 v15, v10, v17
	v_fma_f32 v16, v9, v17, -v16
	s_delay_alu instid0(VALU_DEP_3) | instskip(NEXT) | instid1(VALU_DEP_3)
	v_fmac_f32_e32 v18, v12, v19
	v_fma_f32 v17, v11, v19, -v20
	scratch_load_b128 v[9:12], off, off offset:112
	s_wait_loadcnt_dscnt 0x100
	v_mul_f32_e32 v19, v5, v2
	v_mul_f32_e32 v2, v6, v2
	v_mul_f32_e32 v20, v7, v4
	s_delay_alu instid0(VALU_DEP_3) | instskip(NEXT) | instid1(VALU_DEP_3)
	v_dual_mul_f32 v4, v8, v4 :: v_dual_fmac_f32 v19, v6, v1
	v_fma_f32 v122, v5, v1, -v2
	s_delay_alu instid0(VALU_DEP_3) | instskip(NEXT) | instid1(VALU_DEP_3)
	v_fmac_f32_e32 v20, v8, v3
	v_fma_f32 v123, v7, v3, -v4
	ds_load_b128 v[1:4], v21 offset:464
	ds_load_b128 v[5:8], v21 offset:480
	s_wait_loadcnt_dscnt 0x1
	v_mul_f32_e32 v129, v1, v10
	v_mul_f32_e32 v10, v2, v10
	s_delay_alu instid0(VALU_DEP_2) | instskip(NEXT) | instid1(VALU_DEP_2)
	v_dual_mul_f32 v130, v3, v12 :: v_dual_fmac_f32 v129, v2, v9
	v_fma_f32 v131, v1, v9, -v10
	v_mul_f32_e32 v1, v4, v12
	s_delay_alu instid0(VALU_DEP_3) | instskip(NEXT) | instid1(VALU_DEP_2)
	v_fmac_f32_e32 v130, v4, v11
	v_fma_f32 v132, v3, v11, -v1
	s_clause 0x1
	scratch_load_b128 v[1:4], off, off offset:128
	scratch_load_b128 v[9:12], off, off offset:144
	s_wait_loadcnt_dscnt 0x100
	v_mul_f32_e32 v133, v5, v2
	v_dual_mul_f32 v2, v6, v2 :: v_dual_mul_f32 v135, v7, v4
	s_delay_alu instid0(VALU_DEP_2) | instskip(NEXT) | instid1(VALU_DEP_2)
	v_fmac_f32_e32 v133, v6, v1
	v_fma_f32 v134, v5, v1, -v2
	v_mul_f32_e32 v1, v8, v4
	s_delay_alu instid0(VALU_DEP_4) | instskip(NEXT) | instid1(VALU_DEP_2)
	v_fmac_f32_e32 v135, v8, v3
	v_fma_f32 v136, v7, v3, -v1
	ds_load_b128 v[1:4], v21 offset:496
	ds_load_b128 v[5:8], v21 offset:512
	s_wait_loadcnt_dscnt 0x1
	v_mul_f32_e32 v137, v1, v10
	v_mul_f32_e32 v139, v3, v12
	s_delay_alu instid0(VALU_DEP_2) | instskip(NEXT) | instid1(VALU_DEP_2)
	v_fmac_f32_e32 v137, v2, v9
	v_dual_mul_f32 v2, v2, v10 :: v_dual_fmac_f32 v139, v4, v11
	s_delay_alu instid0(VALU_DEP_1) | instskip(SKIP_1) | instid1(VALU_DEP_1)
	v_fma_f32 v138, v1, v9, -v2
	v_mul_f32_e32 v1, v4, v12
	v_fma_f32 v140, v3, v11, -v1
	s_clause 0x1
	scratch_load_b128 v[1:4], off, off offset:160
	scratch_load_b128 v[9:12], off, off offset:176
	s_wait_loadcnt_dscnt 0x100
	v_mul_f32_e32 v141, v5, v2
	v_dual_mul_f32 v2, v6, v2 :: v_dual_mul_f32 v143, v7, v4
	s_delay_alu instid0(VALU_DEP_2) | instskip(NEXT) | instid1(VALU_DEP_2)
	v_fmac_f32_e32 v141, v6, v1
	v_fma_f32 v142, v5, v1, -v2
	v_mul_f32_e32 v1, v8, v4
	s_delay_alu instid0(VALU_DEP_4) | instskip(NEXT) | instid1(VALU_DEP_2)
	v_fmac_f32_e32 v143, v8, v3
	v_fma_f32 v144, v7, v3, -v1
	ds_load_b128 v[1:4], v21 offset:528
	ds_load_b128 v[5:8], v21 offset:544
	s_wait_loadcnt_dscnt 0x1
	v_mul_f32_e32 v145, v1, v10
	v_mul_f32_e32 v147, v3, v12
	s_delay_alu instid0(VALU_DEP_2) | instskip(NEXT) | instid1(VALU_DEP_2)
	v_fmac_f32_e32 v145, v2, v9
	v_dual_mul_f32 v2, v2, v10 :: v_dual_fmac_f32 v147, v4, v11
	s_delay_alu instid0(VALU_DEP_1) | instskip(SKIP_1) | instid1(VALU_DEP_1)
	v_fma_f32 v146, v1, v9, -v2
	v_mul_f32_e32 v1, v4, v12
	;; [unrolled: 25-line block ×4, first 2 shown]
	v_fma_f32 v164, v3, v11, -v1
	s_clause 0x1
	scratch_load_b128 v[1:4], off, off offset:256
	scratch_load_b128 v[9:12], off, off offset:272
	s_wait_loadcnt_dscnt 0x100
	v_mul_f32_e32 v165, v5, v2
	v_mul_f32_e32 v2, v6, v2
	s_delay_alu instid0(VALU_DEP_1) | instskip(SKIP_1) | instid1(VALU_DEP_1)
	v_fma_f32 v166, v5, v1, -v2
	v_add_f32_e32 v2, 0, v126
	v_add_f32_e32 v2, v2, v127
	s_delay_alu instid0(VALU_DEP_1) | instskip(NEXT) | instid1(VALU_DEP_1)
	v_add_f32_e32 v2, v2, v25
	v_add_f32_e32 v2, v2, v26
	s_delay_alu instid0(VALU_DEP_1) | instskip(NEXT) | instid1(VALU_DEP_1)
	;; [unrolled: 3-line block ×7, first 2 shown]
	v_add_f32_e32 v2, v2, v133
	v_add_f32_e32 v2, v2, v135
	v_fmac_f32_e32 v165, v6, v1
	v_mul_f32_e32 v1, v8, v4
	s_delay_alu instid0(VALU_DEP_3) | instskip(NEXT) | instid1(VALU_DEP_2)
	v_dual_mul_f32 v167, v7, v4 :: v_dual_add_f32 v2, v2, v137
	v_fma_f32 v168, v7, v3, -v1
	v_add_f32_e32 v1, 0, v22
	s_delay_alu instid0(VALU_DEP_1) | instskip(NEXT) | instid1(VALU_DEP_1)
	v_add_f32_e32 v1, v1, v24
	v_add_f32_e32 v1, v1, v116
	s_delay_alu instid0(VALU_DEP_1) | instskip(NEXT) | instid1(VALU_DEP_1)
	v_add_f32_e32 v1, v1, v117
	;; [unrolled: 3-line block ×9, first 2 shown]
	v_dual_add_f32 v6, v1, v142 :: v_dual_fmac_f32 v167, v8, v3
	s_delay_alu instid0(VALU_DEP_1) | instskip(NEXT) | instid1(VALU_DEP_1)
	v_add_f32_e32 v14, v6, v144
	v_add_f32_e32 v14, v14, v146
	s_delay_alu instid0(VALU_DEP_1) | instskip(NEXT) | instid1(VALU_DEP_1)
	v_add_f32_e32 v17, v14, v148
	v_add_f32_e32 v17, v17, v150
	;; [unrolled: 3-line block ×4, first 2 shown]
	s_delay_alu instid0(VALU_DEP_1)
	v_add_f32_e32 v25, v25, v160
	v_add_f32_e32 v5, v2, v139
	ds_load_b128 v[1:4], v21 offset:624
	v_add_f32_e32 v13, v5, v141
	scratch_load_b128 v[5:8], off, off offset:288
	v_add_f32_e32 v13, v13, v143
	s_delay_alu instid0(VALU_DEP_1) | instskip(NEXT) | instid1(VALU_DEP_1)
	v_add_f32_e32 v13, v13, v145
	v_add_f32_e32 v18, v13, v147
	ds_load_b128 v[13:16], v21 offset:640
	s_wait_loadcnt_dscnt 0x101
	v_mul_f32_e32 v22, v1, v10
	v_mul_f32_e32 v10, v2, v10
	;; [unrolled: 1-line block ×4, first 2 shown]
	v_add_f32_e32 v18, v18, v149
	v_fmac_f32_e32 v22, v2, v9
	v_fma_f32 v117, v1, v9, -v10
	v_fmac_f32_e32 v116, v4, v11
	v_fma_f32 v118, v3, v11, -v12
	s_clause 0x1
	scratch_load_b128 v[1:4], off, off offset:304
	scratch_load_b128 v[9:12], off, off offset:320
	v_add_f32_e32 v18, v18, v151
	s_delay_alu instid0(VALU_DEP_1) | instskip(SKIP_3) | instid1(VALU_DEP_1)
	v_add_f32_e32 v24, v18, v153
	scratch_load_b128 v[17:20], off, off offset:336
	v_add_f32_e32 v24, v24, v155
	s_wait_loadcnt_dscnt 0x300
	v_dual_add_f32 v24, v24, v157 :: v_dual_mul_f32 v119, v13, v6
	v_mul_f32_e32 v6, v14, v6
	v_mul_f32_e32 v120, v15, v8
	s_delay_alu instid0(VALU_DEP_3) | instskip(NEXT) | instid1(VALU_DEP_3)
	v_dual_mul_f32 v8, v16, v8 :: v_dual_fmac_f32 v119, v14, v5
	v_fma_f32 v121, v13, v5, -v6
	v_dual_add_f32 v13, v24, v159 :: v_dual_add_f32 v24, v25, v162
	s_delay_alu instid0(VALU_DEP_4) | instskip(NEXT) | instid1(VALU_DEP_4)
	v_fmac_f32_e32 v120, v16, v7
	v_fma_f32 v122, v15, v7, -v8
	ds_load_b128 v[5:8], v21 offset:656
	v_add_f32_e32 v25, v13, v161
	v_add_f32_e32 v123, v24, v164
	ds_load_b128 v[13:16], v21 offset:672
	v_add_f32_e32 v126, v25, v163
	ds_load_b128 v[24:27], v21 offset:688
	v_add_f32_e32 v21, v123, v166
	v_add_f32_e32 v123, v126, v165
	s_delay_alu instid0(VALU_DEP_2) | instskip(NEXT) | instid1(VALU_DEP_2)
	v_add_f32_e32 v21, v21, v168
	v_add_f32_e32 v123, v123, v167
	s_delay_alu instid0(VALU_DEP_2) | instskip(SKIP_2) | instid1(VALU_DEP_3)
	v_add_f32_e32 v21, v21, v117
	s_wait_loadcnt_dscnt 0x202
	v_mul_f32_e32 v126, v5, v2
	v_add_f32_e32 v22, v123, v22
	v_mul_f32_e32 v2, v6, v2
	v_add_f32_e32 v21, v21, v118
	v_mul_f32_e32 v117, v7, v4
	v_mul_f32_e32 v4, v8, v4
	v_add_f32_e32 v22, v22, v116
	v_fma_f32 v2, v5, v1, -v2
	v_add_f32_e32 v21, v21, v121
	s_wait_loadcnt_dscnt 0x101
	v_dual_fmac_f32 v126, v6, v1 :: v_dual_mul_f32 v123, v13, v10
	v_add_f32_e32 v22, v22, v119
	v_mul_f32_e32 v6, v14, v10
	v_add_f32_e32 v1, v21, v122
	v_fmac_f32_e32 v117, v8, v3
	v_fma_f32 v3, v7, v3, -v4
	v_add_f32_e32 v5, v22, v120
	v_mul_f32_e32 v127, v15, v12
	v_dual_add_f32 v1, v1, v2 :: v_dual_mul_f32 v4, v16, v12
	s_delay_alu instid0(VALU_DEP_3) | instskip(SKIP_2) | instid1(VALU_DEP_3)
	v_dual_fmac_f32 v123, v14, v9 :: v_dual_add_f32 v2, v5, v126
	v_fma_f32 v5, v13, v9, -v6
	s_wait_loadcnt_dscnt 0x0
	v_dual_add_f32 v1, v1, v3 :: v_dual_mul_f32 v116, v24, v18
	s_delay_alu instid0(VALU_DEP_3) | instskip(SKIP_2) | instid1(VALU_DEP_4)
	v_dual_mul_f32 v3, v25, v18 :: v_dual_add_f32 v2, v2, v117
	v_fmac_f32_e32 v127, v16, v11
	v_fma_f32 v4, v15, v11, -v4
	v_dual_add_f32 v1, v1, v5 :: v_dual_mul_f32 v118, v26, v20
	s_delay_alu instid0(VALU_DEP_4) | instskip(SKIP_2) | instid1(VALU_DEP_3)
	v_dual_add_f32 v2, v2, v123 :: v_dual_mul_f32 v5, v27, v20
	v_fmac_f32_e32 v116, v25, v17
	v_fma_f32 v3, v24, v17, -v3
	v_dual_add_f32 v1, v1, v4 :: v_dual_add_f32 v2, v2, v127
	v_fmac_f32_e32 v118, v27, v19
	v_fma_f32 v4, v26, v19, -v5
	s_delay_alu instid0(VALU_DEP_3) | instskip(NEXT) | instid1(VALU_DEP_1)
	v_dual_add_f32 v1, v1, v3 :: v_dual_add_f32 v2, v2, v116
	v_dual_add_f32 v1, v1, v4 :: v_dual_add_f32 v2, v2, v118
	s_delay_alu instid0(VALU_DEP_1)
	v_dual_sub_f32 v1, v124, v1 :: v_dual_sub_f32 v2, v125, v2
	scratch_store_b64 off, v[1:2], off offset:8
	v_cmpx_ne_u32_e32 0, v0
	s_cbranch_execz .LBB43_277
; %bb.276:
	scratch_load_b64 v[0:1], off, off
	v_mov_b32_e32 v2, 0
	s_delay_alu instid0(VALU_DEP_1)
	v_mov_b32_e32 v3, v2
	scratch_store_b64 off, v[2:3], off
	s_wait_loadcnt 0x0
	ds_store_b64 v23, v[0:1]
.LBB43_277:
	s_wait_alu 0xfffe
	s_or_b32 exec_lo, exec_lo, s0
	s_wait_storecnt_dscnt 0x0
	s_barrier_signal -1
	s_barrier_wait -1
	global_inv scope:SCOPE_SE
	s_clause 0x6
	scratch_load_b128 v[0:3], off, off offset:8
	scratch_load_b128 v[4:7], off, off offset:24
	;; [unrolled: 1-line block ×7, first 2 shown]
	v_mov_b32_e32 v116, 0
	scratch_load_b64 v[125:126], off, off
	s_and_b32 vcc_lo, exec_lo, s18
	ds_load_2addr_b64 v[117:120], v116 offset0:45 offset1:46
	ds_load_2addr_b64 v[121:124], v116 offset0:47 offset1:48
	s_wait_loadcnt_dscnt 0x701
	v_mul_f32_e32 v127, v118, v1
	v_dual_mul_f32 v128, v117, v1 :: v_dual_mul_f32 v129, v119, v3
	v_mul_f32_e32 v1, v120, v3
	s_delay_alu instid0(VALU_DEP_3) | instskip(NEXT) | instid1(VALU_DEP_3)
	v_fma_f32 v117, v117, v0, -v127
	v_dual_fmac_f32 v128, v118, v0 :: v_dual_fmac_f32 v129, v120, v2
	s_wait_loadcnt_dscnt 0x600
	v_mul_f32_e32 v120, v123, v7
	v_fma_f32 v118, v119, v2, -v1
	ds_load_2addr_b64 v[0:3], v116 offset0:49 offset1:50
	v_mul_f32_e32 v119, v121, v5
	v_mul_f32_e32 v5, v122, v5
	v_mul_f32_e32 v7, v124, v7
	s_delay_alu instid0(VALU_DEP_3) | instskip(NEXT) | instid1(VALU_DEP_3)
	v_dual_fmac_f32 v120, v124, v6 :: v_dual_fmac_f32 v119, v122, v4
	v_fma_f32 v121, v121, v4, -v5
	s_delay_alu instid0(VALU_DEP_3)
	v_fma_f32 v122, v123, v6, -v7
	ds_load_2addr_b64 v[4:7], v116 offset0:51 offset1:52
	s_wait_loadcnt_dscnt 0x501
	v_dual_mul_f32 v123, v0, v9 :: v_dual_mul_f32 v124, v2, v11
	v_mul_f32_e32 v9, v1, v9
	v_mul_f32_e32 v11, v3, v11
	s_delay_alu instid0(VALU_DEP_3) | instskip(NEXT) | instid1(VALU_DEP_3)
	v_dual_fmac_f32 v123, v1, v8 :: v_dual_fmac_f32 v124, v3, v10
	v_fma_f32 v127, v0, v8, -v9
	s_delay_alu instid0(VALU_DEP_3)
	v_fma_f32 v130, v2, v10, -v11
	ds_load_2addr_b64 v[0:3], v116 offset0:53 offset1:54
	s_wait_loadcnt_dscnt 0x401
	v_mul_f32_e32 v131, v4, v13
	v_dual_mul_f32 v8, v5, v13 :: v_dual_mul_f32 v13, v6, v15
	v_mul_f32_e32 v9, v7, v15
	s_delay_alu instid0(VALU_DEP_3) | instskip(NEXT) | instid1(VALU_DEP_3)
	v_fmac_f32_e32 v131, v5, v12
	v_fma_f32 v12, v4, v12, -v8
	s_delay_alu instid0(VALU_DEP_4) | instskip(NEXT) | instid1(VALU_DEP_4)
	v_fmac_f32_e32 v13, v7, v14
	v_fma_f32 v14, v6, v14, -v9
	ds_load_2addr_b64 v[4:7], v116 offset0:55 offset1:56
	s_wait_loadcnt_dscnt 0x301
	v_mul_f32_e32 v15, v0, v17
	v_dual_mul_f32 v8, v1, v17 :: v_dual_mul_f32 v17, v2, v19
	v_mul_f32_e32 v9, v3, v19
	s_delay_alu instid0(VALU_DEP_3) | instskip(NEXT) | instid1(VALU_DEP_3)
	v_fmac_f32_e32 v15, v1, v16
	v_fma_f32 v16, v0, v16, -v8
	s_delay_alu instid0(VALU_DEP_4) | instskip(NEXT) | instid1(VALU_DEP_4)
	v_fmac_f32_e32 v17, v3, v18
	;; [unrolled: 11-line block ×4, first 2 shown]
	v_fma_f32 v26, v2, v26, -v9
	s_clause 0x1
	scratch_load_b128 v[0:3], off, off offset:120
	scratch_load_b128 v[8:11], off, off offset:136
	s_wait_loadcnt_dscnt 0x100
	v_mul_f32_e32 v27, v4, v1
	v_mul_f32_e32 v1, v5, v1
	s_delay_alu instid0(VALU_DEP_2) | instskip(NEXT) | instid1(VALU_DEP_2)
	v_fmac_f32_e32 v27, v5, v0
	v_fma_f32 v132, v4, v0, -v1
	v_mul_f32_e32 v133, v6, v3
	v_mul_f32_e32 v0, v7, v3
	s_delay_alu instid0(VALU_DEP_2) | instskip(NEXT) | instid1(VALU_DEP_2)
	v_fmac_f32_e32 v133, v7, v2
	v_fma_f32 v134, v6, v2, -v0
	ds_load_2addr_b64 v[0:3], v116 offset0:61 offset1:62
	ds_load_2addr_b64 v[4:7], v116 offset0:63 offset1:64
	s_wait_loadcnt_dscnt 0x1
	v_mul_f32_e32 v135, v0, v9
	v_mul_f32_e32 v137, v2, v11
	s_delay_alu instid0(VALU_DEP_2) | instskip(SKIP_1) | instid1(VALU_DEP_3)
	v_fmac_f32_e32 v135, v1, v8
	v_mul_f32_e32 v1, v1, v9
	v_fmac_f32_e32 v137, v3, v10
	s_delay_alu instid0(VALU_DEP_2) | instskip(SKIP_1) | instid1(VALU_DEP_1)
	v_fma_f32 v136, v0, v8, -v1
	v_mul_f32_e32 v0, v3, v11
	v_fma_f32 v138, v2, v10, -v0
	s_clause 0x1
	scratch_load_b128 v[0:3], off, off offset:152
	scratch_load_b128 v[8:11], off, off offset:168
	s_wait_loadcnt_dscnt 0x100
	v_mul_f32_e32 v139, v4, v1
	v_mul_f32_e32 v1, v5, v1
	v_mul_f32_e32 v141, v6, v3
	s_delay_alu instid0(VALU_DEP_3) | instskip(NEXT) | instid1(VALU_DEP_3)
	v_fmac_f32_e32 v139, v5, v0
	v_fma_f32 v140, v4, v0, -v1
	v_mul_f32_e32 v0, v7, v3
	s_delay_alu instid0(VALU_DEP_4) | instskip(NEXT) | instid1(VALU_DEP_2)
	v_fmac_f32_e32 v141, v7, v2
	v_fma_f32 v142, v6, v2, -v0
	ds_load_2addr_b64 v[0:3], v116 offset0:65 offset1:66
	ds_load_2addr_b64 v[4:7], v116 offset0:67 offset1:68
	s_wait_loadcnt_dscnt 0x1
	v_mul_f32_e32 v143, v0, v9
	v_mul_f32_e32 v145, v2, v11
	s_delay_alu instid0(VALU_DEP_2) | instskip(SKIP_1) | instid1(VALU_DEP_3)
	v_fmac_f32_e32 v143, v1, v8
	v_mul_f32_e32 v1, v1, v9
	v_fmac_f32_e32 v145, v3, v10
	s_delay_alu instid0(VALU_DEP_2) | instskip(SKIP_1) | instid1(VALU_DEP_1)
	v_fma_f32 v144, v0, v8, -v1
	v_mul_f32_e32 v0, v3, v11
	v_fma_f32 v146, v2, v10, -v0
	s_clause 0x1
	scratch_load_b128 v[0:3], off, off offset:184
	scratch_load_b128 v[8:11], off, off offset:200
	s_wait_loadcnt_dscnt 0x100
	v_mul_f32_e32 v147, v4, v1
	v_mul_f32_e32 v1, v5, v1
	v_mul_f32_e32 v149, v6, v3
	s_delay_alu instid0(VALU_DEP_3) | instskip(NEXT) | instid1(VALU_DEP_3)
	v_fmac_f32_e32 v147, v5, v0
	v_fma_f32 v148, v4, v0, -v1
	v_mul_f32_e32 v0, v7, v3
	s_delay_alu instid0(VALU_DEP_4) | instskip(NEXT) | instid1(VALU_DEP_2)
	;; [unrolled: 27-line block ×3, first 2 shown]
	v_fmac_f32_e32 v157, v7, v2
	v_fma_f32 v158, v6, v2, -v0
	ds_load_2addr_b64 v[0:3], v116 offset0:73 offset1:74
	ds_load_2addr_b64 v[4:7], v116 offset0:75 offset1:76
	s_wait_loadcnt_dscnt 0x1
	v_mul_f32_e32 v159, v0, v9
	v_mul_f32_e32 v161, v2, v11
	s_delay_alu instid0(VALU_DEP_2) | instskip(SKIP_1) | instid1(VALU_DEP_3)
	v_fmac_f32_e32 v159, v1, v8
	v_mul_f32_e32 v1, v1, v9
	v_fmac_f32_e32 v161, v3, v10
	s_delay_alu instid0(VALU_DEP_2) | instskip(SKIP_1) | instid1(VALU_DEP_1)
	v_fma_f32 v160, v0, v8, -v1
	v_mul_f32_e32 v0, v3, v11
	v_fma_f32 v162, v2, v10, -v0
	s_clause 0x1
	scratch_load_b128 v[0:3], off, off offset:248
	scratch_load_b128 v[8:11], off, off offset:264
	s_wait_loadcnt_dscnt 0x100
	v_mul_f32_e32 v163, v4, v1
	v_mul_f32_e32 v1, v5, v1
	;; [unrolled: 1-line block ×3, first 2 shown]
	s_delay_alu instid0(VALU_DEP_3) | instskip(NEXT) | instid1(VALU_DEP_3)
	v_fmac_f32_e32 v163, v5, v0
	v_fma_f32 v164, v4, v0, -v1
	v_dual_mul_f32 v0, v7, v3 :: v_dual_add_f32 v1, 0, v128
	s_delay_alu instid0(VALU_DEP_4) | instskip(NEXT) | instid1(VALU_DEP_2)
	v_fmac_f32_e32 v165, v7, v2
	v_fma_f32 v166, v6, v2, -v0
	v_add_f32_e32 v0, 0, v117
	s_delay_alu instid0(VALU_DEP_1) | instskip(NEXT) | instid1(VALU_DEP_1)
	v_dual_add_f32 v1, v1, v129 :: v_dual_add_f32 v0, v0, v118
	v_dual_add_f32 v1, v1, v119 :: v_dual_add_f32 v0, v0, v121
	s_delay_alu instid0(VALU_DEP_1) | instskip(NEXT) | instid1(VALU_DEP_1)
	v_dual_add_f32 v1, v1, v120 :: v_dual_add_f32 v0, v0, v122
	v_add_f32_e32 v1, v1, v123
	s_delay_alu instid0(VALU_DEP_1) | instskip(NEXT) | instid1(VALU_DEP_1)
	v_dual_add_f32 v0, v0, v127 :: v_dual_add_f32 v1, v1, v124
	v_dual_add_f32 v0, v0, v130 :: v_dual_add_f32 v1, v1, v131
	s_delay_alu instid0(VALU_DEP_1) | instskip(NEXT) | instid1(VALU_DEP_1)
	v_dual_add_f32 v0, v0, v12 :: v_dual_add_f32 v1, v1, v13
	v_dual_add_f32 v0, v0, v14 :: v_dual_add_f32 v1, v1, v15
	s_delay_alu instid0(VALU_DEP_1) | instskip(NEXT) | instid1(VALU_DEP_1)
	v_dual_add_f32 v0, v0, v16 :: v_dual_add_f32 v1, v1, v17
	v_dual_add_f32 v0, v0, v18 :: v_dual_add_f32 v1, v1, v19
	s_delay_alu instid0(VALU_DEP_1) | instskip(NEXT) | instid1(VALU_DEP_1)
	v_dual_add_f32 v0, v0, v20 :: v_dual_add_f32 v1, v1, v21
	v_dual_add_f32 v0, v0, v22 :: v_dual_add_f32 v1, v1, v23
	s_delay_alu instid0(VALU_DEP_1) | instskip(SKIP_2) | instid1(VALU_DEP_1)
	v_dual_add_f32 v0, v0, v24 :: v_dual_add_f32 v1, v1, v25
	scratch_load_b64 v[24:25], off, off offset:344
	v_dual_add_f32 v0, v0, v26 :: v_dual_add_f32 v1, v1, v27
	v_add_f32_e32 v0, v0, v132
	s_delay_alu instid0(VALU_DEP_1) | instskip(NEXT) | instid1(VALU_DEP_1)
	v_add_f32_e32 v0, v0, v134
	v_dual_add_f32 v0, v0, v136 :: v_dual_add_f32 v1, v1, v133
	s_delay_alu instid0(VALU_DEP_1) | instskip(SKIP_4) | instid1(VALU_DEP_1)
	v_dual_add_f32 v5, v0, v138 :: v_dual_add_f32 v4, v1, v135
	scratch_load_b128 v[0:3], off, off offset:280
	v_dual_add_f32 v13, v5, v140 :: v_dual_add_f32 v12, v4, v137
	ds_load_2addr_b64 v[4:7], v116 offset0:77 offset1:78
	v_dual_add_f32 v13, v13, v142 :: v_dual_add_f32 v12, v12, v139
	v_add_f32_e32 v16, v13, v144
	s_delay_alu instid0(VALU_DEP_2) | instskip(NEXT) | instid1(VALU_DEP_2)
	v_add_f32_e32 v12, v12, v141
	v_add_f32_e32 v16, v16, v146
	s_delay_alu instid0(VALU_DEP_1) | instskip(NEXT) | instid1(VALU_DEP_1)
	v_add_f32_e32 v16, v16, v148
	v_add_f32_e32 v16, v16, v150
	s_delay_alu instid0(VALU_DEP_4)
	v_add_f32_e32 v17, v12, v143
	ds_load_2addr_b64 v[12:15], v116 offset0:79 offset1:80
	s_wait_loadcnt_dscnt 0x201
	v_mul_f32_e32 v117, v4, v9
	v_dual_mul_f32 v9, v5, v9 :: v_dual_mul_f32 v118, v6, v11
	v_mul_f32_e32 v11, v7, v11
	v_add_f32_e32 v17, v17, v145
	s_delay_alu instid0(VALU_DEP_4) | instskip(NEXT) | instid1(VALU_DEP_4)
	v_fmac_f32_e32 v117, v5, v8
	v_fma_f32 v119, v4, v8, -v9
	v_fmac_f32_e32 v118, v7, v10
	v_fma_f32 v120, v6, v10, -v11
	s_clause 0x1
	scratch_load_b128 v[4:7], off, off offset:296
	scratch_load_b128 v[8:11], off, off offset:312
	v_add_f32_e32 v17, v17, v147
	s_delay_alu instid0(VALU_DEP_1) | instskip(SKIP_2) | instid1(VALU_DEP_1)
	v_dual_add_f32 v21, v16, v152 :: v_dual_add_f32 v20, v17, v149
	scratch_load_b128 v[16:19], off, off offset:328
	v_dual_add_f32 v21, v21, v154 :: v_dual_add_f32 v20, v20, v151
	v_dual_add_f32 v21, v21, v156 :: v_dual_add_f32 v20, v20, v153
	s_delay_alu instid0(VALU_DEP_1) | instskip(SKIP_4) | instid1(VALU_DEP_3)
	v_dual_add_f32 v21, v21, v158 :: v_dual_add_f32 v20, v20, v155
	s_wait_loadcnt_dscnt 0x300
	v_mul_f32_e32 v121, v12, v1
	v_dual_mul_f32 v1, v13, v1 :: v_dual_mul_f32 v122, v14, v3
	v_mul_f32_e32 v3, v15, v3
	v_fmac_f32_e32 v121, v13, v0
	s_delay_alu instid0(VALU_DEP_3)
	v_fma_f32 v123, v12, v0, -v1
	v_dual_add_f32 v12, v20, v157 :: v_dual_add_f32 v13, v21, v160
	v_fmac_f32_e32 v122, v15, v2
	v_fma_f32 v124, v14, v2, -v3
	ds_load_2addr_b64 v[0:3], v116 offset0:81 offset1:82
	v_add_f32_e32 v20, v12, v159
	v_add_f32_e32 v26, v13, v162
	ds_load_2addr_b64 v[12:15], v116 offset0:83 offset1:84
	v_add_f32_e32 v27, v20, v161
	v_add_f32_e32 v127, v26, v164
	;; [unrolled: 3-line block ×3, first 2 shown]
	ds_load_b64 v[26:27], v116 offset:696
	v_dual_add_f32 v128, v128, v165 :: v_dual_add_f32 v119, v127, v119
	s_delay_alu instid0(VALU_DEP_1) | instskip(NEXT) | instid1(VALU_DEP_2)
	v_add_f32_e32 v117, v128, v117
	v_add_f32_e32 v119, v119, v120
	s_delay_alu instid0(VALU_DEP_2) | instskip(NEXT) | instid1(VALU_DEP_2)
	v_add_f32_e32 v117, v117, v118
	v_add_f32_e32 v119, v119, v123
	s_wait_loadcnt_dscnt 0x203
	v_mul_f32_e32 v129, v0, v5
	v_mul_f32_e32 v5, v1, v5
	v_add_f32_e32 v117, v117, v121
	v_mul_f32_e32 v127, v2, v7
	v_mul_f32_e32 v7, v3, v7
	v_fmac_f32_e32 v129, v1, v4
	v_fma_f32 v0, v0, v4, -v5
	v_dual_add_f32 v1, v119, v124 :: v_dual_add_f32 v4, v117, v122
	s_wait_loadcnt_dscnt 0x102
	v_mul_f32_e32 v120, v12, v9
	v_mul_f32_e32 v5, v13, v9
	v_fmac_f32_e32 v127, v3, v6
	v_fma_f32 v2, v2, v6, -v7
	v_dual_add_f32 v0, v1, v0 :: v_dual_add_f32 v1, v4, v129
	v_mul_f32_e32 v118, v14, v11
	v_dual_mul_f32 v3, v15, v11 :: v_dual_fmac_f32 v120, v13, v8
	v_fma_f32 v4, v12, v8, -v5
	s_delay_alu instid0(VALU_DEP_4)
	v_dual_add_f32 v0, v0, v2 :: v_dual_add_f32 v1, v1, v127
	s_wait_loadcnt_dscnt 0x1
	v_mul_f32_e32 v128, v20, v17
	v_mul_f32_e32 v2, v21, v17
	v_fmac_f32_e32 v118, v15, v10
	v_fma_f32 v3, v14, v10, -v3
	v_add_f32_e32 v0, v0, v4
	v_add_f32_e32 v1, v1, v120
	v_mul_f32_e32 v123, v22, v19
	v_mul_f32_e32 v4, v23, v19
	v_fmac_f32_e32 v128, v21, v16
	v_fma_f32 v2, v20, v16, -v2
	v_dual_add_f32 v0, v0, v3 :: v_dual_add_f32 v1, v1, v118
	s_wait_dscnt 0x0
	v_mul_f32_e32 v121, v26, v25
	v_mul_f32_e32 v3, v27, v25
	v_fmac_f32_e32 v123, v23, v18
	v_fma_f32 v4, v22, v18, -v4
	v_dual_add_f32 v0, v0, v2 :: v_dual_add_f32 v1, v1, v128
	v_fmac_f32_e32 v121, v27, v24
	v_fma_f32 v2, v26, v24, -v3
	s_delay_alu instid0(VALU_DEP_3) | instskip(NEXT) | instid1(VALU_DEP_1)
	v_dual_add_f32 v0, v0, v4 :: v_dual_add_f32 v1, v1, v123
	v_dual_add_f32 v0, v0, v2 :: v_dual_add_f32 v1, v1, v121
	s_delay_alu instid0(VALU_DEP_1)
	v_dual_sub_f32 v0, v125, v0 :: v_dual_sub_f32 v1, v126, v1
	scratch_store_b64 off, v[0:1], off
	s_wait_alu 0xfffe
	s_cbranch_vccz .LBB43_364
; %bb.278:
	global_load_b32 v0, v116, s[2:3] offset:168
	s_wait_loadcnt 0x0
	v_cmp_ne_u32_e32 vcc_lo, 43, v0
	s_cbranch_vccz .LBB43_280
; %bb.279:
	v_lshlrev_b32_e32 v0, 3, v0
	s_delay_alu instid0(VALU_DEP_1)
	v_mov_b32_e32 v4, v0
	scratch_load_b64 v[0:1], v4, off offset:-8
	scratch_load_b64 v[2:3], off, off offset:336
	s_wait_loadcnt 0x1
	scratch_store_b64 off, v[0:1], off offset:336
	s_wait_loadcnt 0x0
	scratch_store_b64 v4, v[2:3], off offset:-8
.LBB43_280:
	v_mov_b32_e32 v0, 0
	global_load_b32 v1, v0, s[2:3] offset:164
	s_wait_loadcnt 0x0
	v_cmp_eq_u32_e32 vcc_lo, 42, v1
	s_cbranch_vccnz .LBB43_282
; %bb.281:
	v_lshlrev_b32_e32 v1, 3, v1
	s_delay_alu instid0(VALU_DEP_1)
	v_mov_b32_e32 v5, v1
	scratch_load_b64 v[1:2], v5, off offset:-8
	scratch_load_b64 v[3:4], off, off offset:328
	s_wait_loadcnt 0x1
	scratch_store_b64 off, v[1:2], off offset:328
	s_wait_loadcnt 0x0
	scratch_store_b64 v5, v[3:4], off offset:-8
.LBB43_282:
	global_load_b32 v0, v0, s[2:3] offset:160
	s_wait_loadcnt 0x0
	v_cmp_eq_u32_e32 vcc_lo, 41, v0
	s_cbranch_vccnz .LBB43_284
; %bb.283:
	v_lshlrev_b32_e32 v0, 3, v0
	s_delay_alu instid0(VALU_DEP_1)
	v_mov_b32_e32 v4, v0
	scratch_load_b64 v[0:1], v4, off offset:-8
	scratch_load_b64 v[2:3], off, off offset:320
	s_wait_loadcnt 0x1
	scratch_store_b64 off, v[0:1], off offset:320
	s_wait_loadcnt 0x0
	scratch_store_b64 v4, v[2:3], off offset:-8
.LBB43_284:
	v_mov_b32_e32 v0, 0
	global_load_b32 v1, v0, s[2:3] offset:156
	s_wait_loadcnt 0x0
	v_cmp_eq_u32_e32 vcc_lo, 40, v1
	s_cbranch_vccnz .LBB43_286
; %bb.285:
	v_lshlrev_b32_e32 v1, 3, v1
	s_delay_alu instid0(VALU_DEP_1)
	v_mov_b32_e32 v5, v1
	scratch_load_b64 v[1:2], v5, off offset:-8
	scratch_load_b64 v[3:4], off, off offset:312
	s_wait_loadcnt 0x1
	scratch_store_b64 off, v[1:2], off offset:312
	s_wait_loadcnt 0x0
	scratch_store_b64 v5, v[3:4], off offset:-8
.LBB43_286:
	global_load_b32 v0, v0, s[2:3] offset:152
	s_wait_loadcnt 0x0
	v_cmp_eq_u32_e32 vcc_lo, 39, v0
	s_cbranch_vccnz .LBB43_288
; %bb.287:
	v_lshlrev_b32_e32 v0, 3, v0
	s_delay_alu instid0(VALU_DEP_1)
	v_mov_b32_e32 v4, v0
	scratch_load_b64 v[0:1], v4, off offset:-8
	scratch_load_b64 v[2:3], off, off offset:304
	s_wait_loadcnt 0x1
	scratch_store_b64 off, v[0:1], off offset:304
	s_wait_loadcnt 0x0
	scratch_store_b64 v4, v[2:3], off offset:-8
.LBB43_288:
	;; [unrolled: 31-line block ×20, first 2 shown]
	v_mov_b32_e32 v0, 0
	global_load_b32 v1, v0, s[2:3] offset:4
	s_wait_loadcnt 0x0
	v_cmp_eq_u32_e32 vcc_lo, 2, v1
	s_cbranch_vccnz .LBB43_362
; %bb.361:
	v_lshlrev_b32_e32 v1, 3, v1
	s_delay_alu instid0(VALU_DEP_1)
	v_mov_b32_e32 v5, v1
	scratch_load_b64 v[1:2], v5, off offset:-8
	scratch_load_b64 v[3:4], off, off offset:8
	s_wait_loadcnt 0x1
	scratch_store_b64 off, v[1:2], off offset:8
	s_wait_loadcnt 0x0
	scratch_store_b64 v5, v[3:4], off offset:-8
.LBB43_362:
	global_load_b32 v0, v0, s[2:3]
	s_wait_loadcnt 0x0
	v_cmp_eq_u32_e32 vcc_lo, 1, v0
	s_cbranch_vccnz .LBB43_364
; %bb.363:
	v_lshlrev_b32_e32 v0, 3, v0
	s_delay_alu instid0(VALU_DEP_1)
	v_mov_b32_e32 v4, v0
	scratch_load_b64 v[0:1], v4, off offset:-8
	scratch_load_b64 v[2:3], off, off
	s_wait_loadcnt 0x1
	scratch_store_b64 off, v[0:1], off
	s_wait_loadcnt 0x0
	scratch_store_b64 v4, v[2:3], off offset:-8
.LBB43_364:
	s_clause 0x15
	scratch_load_b128 v[0:3], off, off
	scratch_load_b128 v[4:7], off, off offset:16
	scratch_load_b128 v[8:11], off, off offset:32
	;; [unrolled: 1-line block ×21, first 2 shown]
	s_wait_loadcnt 0x15
	s_clause 0x1
	global_store_b64 v[28:29], v[0:1], off
	global_store_b64 v[30:31], v[2:3], off
	s_wait_loadcnt 0x14
	s_clause 0x1
	global_store_b64 v[32:33], v[4:5], off
	global_store_b64 v[34:35], v[6:7], off
	;; [unrolled: 4-line block ×22, first 2 shown]
	s_nop 0
	s_sendmsg sendmsg(MSG_DEALLOC_VGPRS)
	s_endpgm
	.section	.rodata,"a",@progbits
	.p2align	6, 0x0
	.amdhsa_kernel _ZN9rocsolver6v33100L18getri_kernel_smallILi44E19rocblas_complex_numIfEPS3_EEvT1_iilPiilS6_bb
		.amdhsa_group_segment_fixed_size 708
		.amdhsa_private_segment_fixed_size 368
		.amdhsa_kernarg_size 60
		.amdhsa_user_sgpr_count 2
		.amdhsa_user_sgpr_dispatch_ptr 0
		.amdhsa_user_sgpr_queue_ptr 0
		.amdhsa_user_sgpr_kernarg_segment_ptr 1
		.amdhsa_user_sgpr_dispatch_id 0
		.amdhsa_user_sgpr_private_segment_size 0
		.amdhsa_wavefront_size32 1
		.amdhsa_uses_dynamic_stack 0
		.amdhsa_enable_private_segment 1
		.amdhsa_system_sgpr_workgroup_id_x 1
		.amdhsa_system_sgpr_workgroup_id_y 0
		.amdhsa_system_sgpr_workgroup_id_z 0
		.amdhsa_system_sgpr_workgroup_info 0
		.amdhsa_system_vgpr_workitem_id 0
		.amdhsa_next_free_vgpr 252
		.amdhsa_next_free_sgpr 19
		.amdhsa_reserve_vcc 1
		.amdhsa_float_round_mode_32 0
		.amdhsa_float_round_mode_16_64 0
		.amdhsa_float_denorm_mode_32 3
		.amdhsa_float_denorm_mode_16_64 3
		.amdhsa_fp16_overflow 0
		.amdhsa_workgroup_processor_mode 1
		.amdhsa_memory_ordered 1
		.amdhsa_forward_progress 1
		.amdhsa_inst_pref_size 255
		.amdhsa_round_robin_scheduling 0
		.amdhsa_exception_fp_ieee_invalid_op 0
		.amdhsa_exception_fp_denorm_src 0
		.amdhsa_exception_fp_ieee_div_zero 0
		.amdhsa_exception_fp_ieee_overflow 0
		.amdhsa_exception_fp_ieee_underflow 0
		.amdhsa_exception_fp_ieee_inexact 0
		.amdhsa_exception_int_div_zero 0
	.end_amdhsa_kernel
	.section	.text._ZN9rocsolver6v33100L18getri_kernel_smallILi44E19rocblas_complex_numIfEPS3_EEvT1_iilPiilS6_bb,"axG",@progbits,_ZN9rocsolver6v33100L18getri_kernel_smallILi44E19rocblas_complex_numIfEPS3_EEvT1_iilPiilS6_bb,comdat
.Lfunc_end43:
	.size	_ZN9rocsolver6v33100L18getri_kernel_smallILi44E19rocblas_complex_numIfEPS3_EEvT1_iilPiilS6_bb, .Lfunc_end43-_ZN9rocsolver6v33100L18getri_kernel_smallILi44E19rocblas_complex_numIfEPS3_EEvT1_iilPiilS6_bb
                                        ; -- End function
	.set _ZN9rocsolver6v33100L18getri_kernel_smallILi44E19rocblas_complex_numIfEPS3_EEvT1_iilPiilS6_bb.num_vgpr, 252
	.set _ZN9rocsolver6v33100L18getri_kernel_smallILi44E19rocblas_complex_numIfEPS3_EEvT1_iilPiilS6_bb.num_agpr, 0
	.set _ZN9rocsolver6v33100L18getri_kernel_smallILi44E19rocblas_complex_numIfEPS3_EEvT1_iilPiilS6_bb.numbered_sgpr, 19
	.set _ZN9rocsolver6v33100L18getri_kernel_smallILi44E19rocblas_complex_numIfEPS3_EEvT1_iilPiilS6_bb.num_named_barrier, 0
	.set _ZN9rocsolver6v33100L18getri_kernel_smallILi44E19rocblas_complex_numIfEPS3_EEvT1_iilPiilS6_bb.private_seg_size, 368
	.set _ZN9rocsolver6v33100L18getri_kernel_smallILi44E19rocblas_complex_numIfEPS3_EEvT1_iilPiilS6_bb.uses_vcc, 1
	.set _ZN9rocsolver6v33100L18getri_kernel_smallILi44E19rocblas_complex_numIfEPS3_EEvT1_iilPiilS6_bb.uses_flat_scratch, 1
	.set _ZN9rocsolver6v33100L18getri_kernel_smallILi44E19rocblas_complex_numIfEPS3_EEvT1_iilPiilS6_bb.has_dyn_sized_stack, 0
	.set _ZN9rocsolver6v33100L18getri_kernel_smallILi44E19rocblas_complex_numIfEPS3_EEvT1_iilPiilS6_bb.has_recursion, 0
	.set _ZN9rocsolver6v33100L18getri_kernel_smallILi44E19rocblas_complex_numIfEPS3_EEvT1_iilPiilS6_bb.has_indirect_call, 0
	.section	.AMDGPU.csdata,"",@progbits
; Kernel info:
; codeLenInByte = 68076
; TotalNumSgprs: 21
; NumVgprs: 252
; ScratchSize: 368
; MemoryBound: 0
; FloatMode: 240
; IeeeMode: 1
; LDSByteSize: 708 bytes/workgroup (compile time only)
; SGPRBlocks: 0
; VGPRBlocks: 31
; NumSGPRsForWavesPerEU: 21
; NumVGPRsForWavesPerEU: 252
; Occupancy: 5
; WaveLimiterHint : 1
; COMPUTE_PGM_RSRC2:SCRATCH_EN: 1
; COMPUTE_PGM_RSRC2:USER_SGPR: 2
; COMPUTE_PGM_RSRC2:TRAP_HANDLER: 0
; COMPUTE_PGM_RSRC2:TGID_X_EN: 1
; COMPUTE_PGM_RSRC2:TGID_Y_EN: 0
; COMPUTE_PGM_RSRC2:TGID_Z_EN: 0
; COMPUTE_PGM_RSRC2:TIDIG_COMP_CNT: 0
	.section	.text._ZN9rocsolver6v33100L18getri_kernel_smallILi45E19rocblas_complex_numIfEPS3_EEvT1_iilPiilS6_bb,"axG",@progbits,_ZN9rocsolver6v33100L18getri_kernel_smallILi45E19rocblas_complex_numIfEPS3_EEvT1_iilPiilS6_bb,comdat
	.globl	_ZN9rocsolver6v33100L18getri_kernel_smallILi45E19rocblas_complex_numIfEPS3_EEvT1_iilPiilS6_bb ; -- Begin function _ZN9rocsolver6v33100L18getri_kernel_smallILi45E19rocblas_complex_numIfEPS3_EEvT1_iilPiilS6_bb
	.p2align	8
	.type	_ZN9rocsolver6v33100L18getri_kernel_smallILi45E19rocblas_complex_numIfEPS3_EEvT1_iilPiilS6_bb,@function
_ZN9rocsolver6v33100L18getri_kernel_smallILi45E19rocblas_complex_numIfEPS3_EEvT1_iilPiilS6_bb: ; @_ZN9rocsolver6v33100L18getri_kernel_smallILi45E19rocblas_complex_numIfEPS3_EEvT1_iilPiilS6_bb
; %bb.0:
	s_mov_b32 s2, exec_lo
	v_cmpx_gt_u32_e32 45, v0
	s_cbranch_execz .LBB44_194
; %bb.1:
	s_clause 0x2
	s_load_b32 s2, s[0:1], 0x38
	s_load_b128 s[12:15], s[0:1], 0x10
	s_load_b128 s[4:7], s[0:1], 0x28
	s_mov_b32 s16, ttmp9
	s_wait_kmcnt 0x0
	s_bitcmp1_b32 s2, 8
	s_cselect_b32 s18, -1, 0
	s_bfe_u32 s2, s2, 0x10008
	s_ashr_i32 s17, ttmp9, 31
	s_cmp_eq_u32 s2, 0
                                        ; implicit-def: $sgpr2_sgpr3
	s_cbranch_scc1 .LBB44_3
; %bb.2:
	s_load_b32 s2, s[0:1], 0x20
	s_mul_u64 s[4:5], s[4:5], s[16:17]
	s_delay_alu instid0(SALU_CYCLE_1) | instskip(NEXT) | instid1(SALU_CYCLE_1)
	s_lshl_b64 s[4:5], s[4:5], 2
	s_add_nc_u64 s[4:5], s[14:15], s[4:5]
	s_wait_kmcnt 0x0
	s_ashr_i32 s3, s2, 31
	s_delay_alu instid0(SALU_CYCLE_1) | instskip(NEXT) | instid1(SALU_CYCLE_1)
	s_lshl_b64 s[2:3], s[2:3], 2
	s_add_nc_u64 s[2:3], s[4:5], s[2:3]
.LBB44_3:
	s_clause 0x1
	s_load_b128 s[8:11], s[0:1], 0x0
	s_load_b32 s4, s[0:1], 0x38
	s_mul_u64 s[0:1], s[12:13], s[16:17]
	v_lshlrev_b32_e32 v13, 3, v0
	s_lshl_b64 s[0:1], s[0:1], 3
	s_wait_kmcnt 0x0
	v_add3_u32 v3, s11, s11, v0
	s_ashr_i32 s13, s10, 31
	s_mov_b32 s12, s10
	s_add_nc_u64 s[0:1], s[8:9], s[0:1]
	s_lshl_b64 s[12:13], s[12:13], 3
	v_add_nc_u32_e32 v5, s11, v3
	v_ashrrev_i32_e32 v4, 31, v3
	s_add_nc_u64 s[0:1], s[0:1], s[12:13]
	s_ashr_i32 s9, s11, 31
	v_add_co_u32 v24, s5, s0, v13
	v_add_nc_u32_e32 v7, s11, v5
	s_mov_b32 s8, s11
	v_lshlrev_b64_e32 v[3:4], 3, v[3:4]
	v_add_co_ci_u32_e64 v25, null, s1, 0, s5
	s_delay_alu instid0(VALU_DEP_3) | instskip(SKIP_3) | instid1(VALU_DEP_1)
	v_add_nc_u32_e32 v9, s11, v7
	s_lshl_b64 s[8:9], s[8:9], 3
	v_ashrrev_i32_e32 v6, 31, v5
	v_add_co_u32 v26, vcc_lo, v24, s8
	v_add_co_ci_u32_e64 v27, null, s9, v25, vcc_lo
	v_add_co_u32 v28, vcc_lo, s0, v3
	v_add_nc_u32_e32 v3, s11, v9
	v_lshlrev_b64_e32 v[5:6], 3, v[5:6]
	v_ashrrev_i32_e32 v8, 31, v7
	v_ashrrev_i32_e32 v10, 31, v9
	s_wait_alu 0xfffd
	v_add_co_ci_u32_e64 v29, null, s1, v4, vcc_lo
	v_add_nc_u32_e32 v11, s11, v3
	v_ashrrev_i32_e32 v4, 31, v3
	v_lshlrev_b64_e32 v[7:8], 3, v[7:8]
	v_add_co_u32 v30, vcc_lo, s0, v5
	s_wait_alu 0xfffd
	v_add_co_ci_u32_e64 v31, null, s1, v6, vcc_lo
	v_lshlrev_b64_e32 v[5:6], 3, v[9:10]
	v_add_nc_u32_e32 v16, s11, v11
	v_lshlrev_b64_e32 v[14:15], 3, v[3:4]
	v_ashrrev_i32_e32 v12, 31, v11
	v_add_co_u32 v32, vcc_lo, s0, v7
	s_delay_alu instid0(VALU_DEP_4)
	v_ashrrev_i32_e32 v17, 31, v16
	v_add_nc_u32_e32 v18, s11, v16
	s_wait_alu 0xfffd
	v_add_co_ci_u32_e64 v33, null, s1, v8, vcc_lo
	v_add_co_u32 v34, vcc_lo, s0, v5
	v_lshlrev_b64_e32 v[11:12], 3, v[11:12]
	s_wait_alu 0xfffd
	v_add_co_ci_u32_e64 v35, null, s1, v6, vcc_lo
	v_add_co_u32 v36, vcc_lo, s0, v14
	s_wait_alu 0xfffd
	v_add_co_ci_u32_e64 v37, null, s1, v15, vcc_lo
	v_lshlrev_b64_e32 v[14:15], 3, v[16:17]
	v_ashrrev_i32_e32 v19, 31, v18
	v_add_nc_u32_e32 v16, s11, v18
	v_add_co_u32 v38, vcc_lo, s0, v11
	s_wait_alu 0xfffd
	v_add_co_ci_u32_e64 v39, null, s1, v12, vcc_lo
	v_lshlrev_b64_e32 v[11:12], 3, v[18:19]
	v_ashrrev_i32_e32 v17, 31, v16
	v_add_nc_u32_e32 v18, s11, v16
	;; [unrolled: 6-line block ×24, first 2 shown]
	v_add_co_u32 v84, vcc_lo, s0, v14
	s_wait_alu 0xfffd
	v_add_co_ci_u32_e64 v85, null, s1, v15, vcc_lo
	v_lshlrev_b64_e32 v[14:15], 3, v[16:17]
	v_add_nc_u32_e32 v16, s11, v18
	v_ashrrev_i32_e32 v19, 31, v18
	v_add_co_u32 v86, vcc_lo, s0, v11
	s_wait_alu 0xfffd
	v_add_co_ci_u32_e64 v87, null, s1, v12, vcc_lo
	v_add_nc_u32_e32 v22, s11, v16
	v_lshlrev_b64_e32 v[11:12], 3, v[18:19]
	v_add_co_u32 v88, vcc_lo, s0, v14
	s_wait_alu 0xfffd
	v_add_co_ci_u32_e64 v89, null, s1, v15, vcc_lo
	v_ashrrev_i32_e32 v23, 31, v22
	s_delay_alu instid0(VALU_DEP_4) | instskip(SKIP_2) | instid1(VALU_DEP_3)
	v_add_co_u32 v90, vcc_lo, s0, v11
	s_wait_alu 0xfffd
	v_add_co_ci_u32_e64 v91, null, s1, v12, vcc_lo
	v_lshlrev_b64_e32 v[11:12], 3, v[22:23]
	v_add_nc_u32_e32 v22, s11, v22
	v_ashrrev_i32_e32 v17, 31, v16
	s_clause 0x4
	global_load_b64 v[1:2], v13, s[0:1]
	global_load_b64 v[3:4], v[26:27], off
	global_load_b64 v[5:6], v[28:29], off
	;; [unrolled: 1-line block ×4, first 2 shown]
	s_bitcmp0_b32 s4, 0
	v_add_nc_u32_e32 v98, s11, v22
	v_ashrrev_i32_e32 v23, 31, v22
	v_lshlrev_b64_e32 v[14:15], 3, v[16:17]
	s_delay_alu instid0(VALU_DEP_3) | instskip(NEXT) | instid1(VALU_DEP_3)
	v_add_nc_u32_e32 v100, s11, v98
	v_lshlrev_b64_e32 v[22:23], 3, v[22:23]
	v_ashrrev_i32_e32 v99, 31, v98
	s_delay_alu instid0(VALU_DEP_4)
	v_add_co_u32 v92, vcc_lo, s0, v14
	s_wait_alu 0xfffd
	v_add_co_ci_u32_e64 v93, null, s1, v15, vcc_lo
	v_add_co_u32 v94, vcc_lo, s0, v11
	v_add_nc_u32_e32 v102, s11, v100
	s_wait_alu 0xfffd
	v_add_co_ci_u32_e64 v95, null, s1, v12, vcc_lo
	v_add_co_u32 v96, vcc_lo, s0, v22
	s_wait_alu 0xfffd
	v_add_co_ci_u32_e64 v97, null, s1, v23, vcc_lo
	v_lshlrev_b64_e32 v[22:23], 3, v[98:99]
	v_ashrrev_i32_e32 v101, 31, v100
	v_add_nc_u32_e32 v104, s11, v102
	v_ashrrev_i32_e32 v103, 31, v102
	s_clause 0x13
	global_load_b64 v[11:12], v[34:35], off
	global_load_b64 v[14:15], v[36:37], off
	;; [unrolled: 1-line block ×20, first 2 shown]
	v_lshlrev_b64_e32 v[100:101], 3, v[100:101]
	v_add_co_u32 v98, vcc_lo, s0, v22
	v_ashrrev_i32_e32 v105, 31, v104
	s_wait_alu 0xfffd
	v_add_co_ci_u32_e64 v99, null, s1, v23, vcc_lo
	v_lshlrev_b64_e32 v[22:23], 3, v[102:103]
	v_add_nc_u32_e32 v107, s11, v104
	v_lshlrev_b64_e32 v[105:106], 3, v[104:105]
	v_add_co_u32 v100, vcc_lo, s0, v100
	s_wait_alu 0xfffd
	v_add_co_ci_u32_e64 v101, null, s1, v101, vcc_lo
	v_add_co_u32 v102, vcc_lo, s0, v22
	v_ashrrev_i32_e32 v108, 31, v107
	v_add_nc_u32_e32 v22, s11, v107
	s_wait_alu 0xfffd
	v_add_co_ci_u32_e64 v103, null, s1, v23, vcc_lo
	v_add_co_u32 v104, vcc_lo, s0, v105
	s_wait_alu 0xfffd
	v_add_co_ci_u32_e64 v105, null, s1, v106, vcc_lo
	v_lshlrev_b64_e32 v[106:107], 3, v[107:108]
	v_add_nc_u32_e32 v108, s11, v22
	v_ashrrev_i32_e32 v23, 31, v22
	s_clause 0xb
	global_load_b64 v[144:145], v[74:75], off
	global_load_b64 v[146:147], v[76:77], off
	;; [unrolled: 1-line block ×12, first 2 shown]
	v_add_nc_u32_e32 v110, s11, v108
	v_lshlrev_b64_e32 v[22:23], 3, v[22:23]
	v_ashrrev_i32_e32 v109, 31, v108
	v_add_co_u32 v106, vcc_lo, s0, v106
	s_delay_alu instid0(VALU_DEP_4)
	v_ashrrev_i32_e32 v111, 31, v110
	s_wait_alu 0xfffd
	v_add_co_ci_u32_e64 v107, null, s1, v107, vcc_lo
	v_lshlrev_b64_e32 v[112:113], 3, v[108:109]
	v_add_co_u32 v108, vcc_lo, s0, v22
	s_wait_alu 0xfffd
	v_add_co_ci_u32_e64 v109, null, s1, v23, vcc_lo
	v_lshlrev_b64_e32 v[22:23], 3, v[110:111]
	s_delay_alu instid0(VALU_DEP_4)
	v_add_co_u32 v110, vcc_lo, s0, v112
	s_wait_alu 0xfffd
	v_add_co_ci_u32_e64 v111, null, s1, v113, vcc_lo
	s_clause 0x3
	global_load_b64 v[168:169], v[98:99], off
	global_load_b64 v[170:171], v[100:101], off
	;; [unrolled: 1-line block ×4, first 2 shown]
	v_add_co_u32 v112, vcc_lo, s0, v22
	s_wait_alu 0xfffd
	v_add_co_ci_u32_e64 v113, null, s1, v23, vcc_lo
	s_clause 0x3
	global_load_b64 v[176:177], v[106:107], off
	global_load_b64 v[178:179], v[108:109], off
	;; [unrolled: 1-line block ×4, first 2 shown]
	s_mov_b32 s1, -1
	s_wait_loadcnt 0x2b
	scratch_store_b128 off, v[1:4], off
	s_wait_loadcnt 0x29
	scratch_store_b128 off, v[5:8], off offset:16
	s_wait_loadcnt 0x27
	scratch_store_b128 off, v[9:12], off offset:32
	;; [unrolled: 2-line block ×21, first 2 shown]
	s_wait_loadcnt 0x0
	scratch_store_b64 off, v[22:23], off offset:352
	s_cbranch_scc1 .LBB44_192
; %bb.4:
	v_cmp_eq_u32_e64 s0, 0, v0
	s_and_saveexec_b32 s1, s0
; %bb.5:
	v_mov_b32_e32 v1, 0
	ds_store_b32 v1, v1 offset:360
; %bb.6:
	s_wait_alu 0xfffe
	s_or_b32 exec_lo, exec_lo, s1
	s_wait_storecnt_dscnt 0x0
	s_barrier_signal -1
	s_barrier_wait -1
	global_inv scope:SCOPE_SE
	scratch_load_b64 v[1:2], v13, off
	s_wait_loadcnt 0x0
	v_cmp_eq_f32_e32 vcc_lo, 0, v1
	v_cmp_eq_f32_e64 s1, 0, v2
	s_and_b32 s1, vcc_lo, s1
	s_wait_alu 0xfffe
	s_and_saveexec_b32 s4, s1
	s_cbranch_execz .LBB44_10
; %bb.7:
	v_mov_b32_e32 v1, 0
	s_mov_b32 s5, 0
	ds_load_b32 v2, v1 offset:360
	s_wait_dscnt 0x0
	v_readfirstlane_b32 s1, v2
	v_add_nc_u32_e32 v2, 1, v0
	s_cmp_eq_u32 s1, 0
	s_delay_alu instid0(VALU_DEP_1)
	v_cmp_gt_i32_e32 vcc_lo, s1, v2
	s_cselect_b32 s8, -1, 0
	s_wait_alu 0xfffe
	s_or_b32 s8, s8, vcc_lo
	s_wait_alu 0xfffe
	s_and_b32 exec_lo, exec_lo, s8
	s_cbranch_execz .LBB44_10
; %bb.8:
	v_mov_b32_e32 v3, s1
.LBB44_9:                               ; =>This Inner Loop Header: Depth=1
	ds_cmpstore_rtn_b32 v3, v1, v2, v3 offset:360
	s_wait_dscnt 0x0
	v_cmp_ne_u32_e32 vcc_lo, 0, v3
	v_cmp_le_i32_e64 s1, v3, v2
	s_and_b32 s1, vcc_lo, s1
	s_wait_alu 0xfffe
	s_and_b32 s1, exec_lo, s1
	s_wait_alu 0xfffe
	s_or_b32 s5, s1, s5
	s_wait_alu 0xfffe
	s_and_not1_b32 exec_lo, exec_lo, s5
	s_cbranch_execnz .LBB44_9
.LBB44_10:
	s_wait_alu 0xfffe
	s_or_b32 exec_lo, exec_lo, s4
	v_mov_b32_e32 v1, 0
	s_barrier_signal -1
	s_barrier_wait -1
	global_inv scope:SCOPE_SE
	ds_load_b32 v2, v1 offset:360
	s_and_saveexec_b32 s1, s0
	s_cbranch_execz .LBB44_12
; %bb.11:
	s_lshl_b64 s[4:5], s[16:17], 2
	s_wait_alu 0xfffe
	s_add_nc_u64 s[4:5], s[6:7], s[4:5]
	s_wait_dscnt 0x0
	global_store_b32 v1, v2, s[4:5]
.LBB44_12:
	s_wait_alu 0xfffe
	s_or_b32 exec_lo, exec_lo, s1
	s_wait_dscnt 0x0
	v_cmp_ne_u32_e32 vcc_lo, 0, v2
	s_mov_b32 s1, 0
	s_cbranch_vccnz .LBB44_192
; %bb.13:
	v_mov_b32_e32 v7, v13
                                        ; implicit-def: $vgpr3
                                        ; implicit-def: $vgpr5
	scratch_load_b64 v[1:2], v7, off
	s_wait_loadcnt 0x0
	v_cmp_ngt_f32_e64 s1, |v1|, |v2|
	s_wait_alu 0xfffe
	s_and_saveexec_b32 s4, s1
	s_wait_alu 0xfffe
	s_xor_b32 s1, exec_lo, s4
	s_cbranch_execz .LBB44_15
; %bb.14:
	v_div_scale_f32 v3, null, v2, v2, v1
	v_div_scale_f32 v6, vcc_lo, v1, v2, v1
	s_delay_alu instid0(VALU_DEP_2) | instskip(NEXT) | instid1(TRANS32_DEP_1)
	v_rcp_f32_e32 v4, v3
	v_fma_f32 v5, -v3, v4, 1.0
	s_delay_alu instid0(VALU_DEP_1) | instskip(NEXT) | instid1(VALU_DEP_1)
	v_fmac_f32_e32 v4, v5, v4
	v_mul_f32_e32 v5, v6, v4
	s_delay_alu instid0(VALU_DEP_1) | instskip(NEXT) | instid1(VALU_DEP_1)
	v_fma_f32 v8, -v3, v5, v6
	v_fmac_f32_e32 v5, v8, v4
	s_delay_alu instid0(VALU_DEP_1) | instskip(SKIP_1) | instid1(VALU_DEP_1)
	v_fma_f32 v3, -v3, v5, v6
	s_wait_alu 0xfffd
	v_div_fmas_f32 v3, v3, v4, v5
	s_delay_alu instid0(VALU_DEP_1) | instskip(NEXT) | instid1(VALU_DEP_1)
	v_div_fixup_f32 v3, v3, v2, v1
	v_fmac_f32_e32 v2, v1, v3
	s_delay_alu instid0(VALU_DEP_1) | instskip(NEXT) | instid1(VALU_DEP_1)
	v_div_scale_f32 v1, null, v2, v2, 1.0
	v_rcp_f32_e32 v4, v1
	s_delay_alu instid0(TRANS32_DEP_1) | instskip(NEXT) | instid1(VALU_DEP_1)
	v_fma_f32 v5, -v1, v4, 1.0
	v_fmac_f32_e32 v4, v5, v4
	v_div_scale_f32 v5, vcc_lo, 1.0, v2, 1.0
	s_delay_alu instid0(VALU_DEP_1) | instskip(NEXT) | instid1(VALU_DEP_1)
	v_mul_f32_e32 v6, v5, v4
	v_fma_f32 v8, -v1, v6, v5
	s_delay_alu instid0(VALU_DEP_1) | instskip(NEXT) | instid1(VALU_DEP_1)
	v_fmac_f32_e32 v6, v8, v4
	v_fma_f32 v1, -v1, v6, v5
	s_wait_alu 0xfffd
	s_delay_alu instid0(VALU_DEP_1) | instskip(NEXT) | instid1(VALU_DEP_1)
	v_div_fmas_f32 v1, v1, v4, v6
	v_div_fixup_f32 v1, v1, v2, 1.0
	s_delay_alu instid0(VALU_DEP_1) | instskip(SKIP_1) | instid1(VALU_DEP_2)
	v_mul_f32_e32 v3, v3, v1
	v_xor_b32_e32 v4, 0x80000000, v1
                                        ; implicit-def: $vgpr1_vgpr2
	v_xor_b32_e32 v5, 0x80000000, v3
.LBB44_15:
	s_wait_alu 0xfffe
	s_and_not1_saveexec_b32 s1, s1
	s_cbranch_execz .LBB44_17
; %bb.16:
	v_div_scale_f32 v3, null, v1, v1, v2
	v_div_scale_f32 v6, vcc_lo, v2, v1, v2
	s_delay_alu instid0(VALU_DEP_2) | instskip(NEXT) | instid1(TRANS32_DEP_1)
	v_rcp_f32_e32 v4, v3
	v_fma_f32 v5, -v3, v4, 1.0
	s_delay_alu instid0(VALU_DEP_1) | instskip(NEXT) | instid1(VALU_DEP_1)
	v_fmac_f32_e32 v4, v5, v4
	v_mul_f32_e32 v5, v6, v4
	s_delay_alu instid0(VALU_DEP_1) | instskip(NEXT) | instid1(VALU_DEP_1)
	v_fma_f32 v8, -v3, v5, v6
	v_fmac_f32_e32 v5, v8, v4
	s_delay_alu instid0(VALU_DEP_1) | instskip(SKIP_1) | instid1(VALU_DEP_1)
	v_fma_f32 v3, -v3, v5, v6
	s_wait_alu 0xfffd
	v_div_fmas_f32 v3, v3, v4, v5
	s_delay_alu instid0(VALU_DEP_1) | instskip(NEXT) | instid1(VALU_DEP_1)
	v_div_fixup_f32 v4, v3, v1, v2
	v_fmac_f32_e32 v1, v2, v4
	s_delay_alu instid0(VALU_DEP_1) | instskip(SKIP_1) | instid1(VALU_DEP_2)
	v_div_scale_f32 v2, null, v1, v1, 1.0
	v_div_scale_f32 v6, vcc_lo, 1.0, v1, 1.0
	v_rcp_f32_e32 v3, v2
	s_delay_alu instid0(TRANS32_DEP_1) | instskip(NEXT) | instid1(VALU_DEP_1)
	v_fma_f32 v5, -v2, v3, 1.0
	v_fmac_f32_e32 v3, v5, v3
	s_delay_alu instid0(VALU_DEP_1) | instskip(NEXT) | instid1(VALU_DEP_1)
	v_mul_f32_e32 v5, v6, v3
	v_fma_f32 v8, -v2, v5, v6
	s_delay_alu instid0(VALU_DEP_1) | instskip(NEXT) | instid1(VALU_DEP_1)
	v_fmac_f32_e32 v5, v8, v3
	v_fma_f32 v2, -v2, v5, v6
	s_wait_alu 0xfffd
	s_delay_alu instid0(VALU_DEP_1) | instskip(NEXT) | instid1(VALU_DEP_1)
	v_div_fmas_f32 v2, v2, v3, v5
	v_div_fixup_f32 v3, v2, v1, 1.0
	s_delay_alu instid0(VALU_DEP_1)
	v_xor_b32_e32 v5, 0x80000000, v3
	v_mul_f32_e64 v4, v4, -v3
.LBB44_17:
	s_wait_alu 0xfffe
	s_or_b32 exec_lo, exec_lo, s1
	scratch_store_b64 v7, v[3:4], off
	scratch_load_b64 v[2:3], off, off offset:8
	v_xor_b32_e32 v6, 0x80000000, v4
	v_add_nc_u32_e32 v1, 0x170, v13
	s_wait_loadcnt 0x0
	ds_store_2addr_b64 v13, v[5:6], v[2:3] offset1:46
	s_wait_storecnt_dscnt 0x0
	s_barrier_signal -1
	s_barrier_wait -1
	global_inv scope:SCOPE_SE
	s_and_saveexec_b32 s1, s0
	s_cbranch_execz .LBB44_19
; %bb.18:
	scratch_load_b64 v[2:3], v7, off
	ds_load_b64 v[4:5], v1
	v_mov_b32_e32 v6, 0
	ds_load_b64 v[8:9], v6 offset:8
	s_wait_loadcnt_dscnt 0x1
	v_mul_f32_e32 v6, v4, v3
	v_mul_f32_e32 v3, v5, v3
	s_delay_alu instid0(VALU_DEP_2) | instskip(NEXT) | instid1(VALU_DEP_2)
	v_fmac_f32_e32 v6, v5, v2
	v_fma_f32 v2, v4, v2, -v3
	s_delay_alu instid0(VALU_DEP_2) | instskip(SKIP_1) | instid1(VALU_DEP_1)
	v_add_f32_e32 v4, 0, v6
	s_wait_dscnt 0x0
	v_dual_add_f32 v2, 0, v2 :: v_dual_mul_f32 v5, v4, v9
	s_delay_alu instid0(VALU_DEP_1) | instskip(NEXT) | instid1(VALU_DEP_1)
	v_mul_f32_e32 v3, v2, v9
	v_fmac_f32_e32 v3, v4, v8
	s_delay_alu instid0(VALU_DEP_3)
	v_fma_f32 v2, v2, v8, -v5
	scratch_store_b64 off, v[2:3], off offset:8
.LBB44_19:
	s_wait_alu 0xfffe
	s_or_b32 exec_lo, exec_lo, s1
	s_wait_loadcnt 0x0
	s_wait_storecnt 0x0
	s_barrier_signal -1
	s_barrier_wait -1
	global_inv scope:SCOPE_SE
	scratch_load_b64 v[2:3], off, off offset:16
	s_mov_b32 s1, exec_lo
	s_wait_loadcnt 0x0
	ds_store_b64 v1, v[2:3]
	s_wait_dscnt 0x0
	s_barrier_signal -1
	s_barrier_wait -1
	global_inv scope:SCOPE_SE
	v_cmpx_gt_u32_e32 2, v0
	s_cbranch_execz .LBB44_23
; %bb.20:
	scratch_load_b64 v[2:3], v7, off
	ds_load_b64 v[4:5], v1
	s_wait_loadcnt_dscnt 0x0
	v_mul_f32_e32 v6, v5, v3
	v_mul_f32_e32 v8, v4, v3
	s_delay_alu instid0(VALU_DEP_2) | instskip(NEXT) | instid1(VALU_DEP_1)
	v_fma_f32 v3, v4, v2, -v6
	v_dual_fmac_f32 v8, v5, v2 :: v_dual_add_f32 v3, 0, v3
	s_delay_alu instid0(VALU_DEP_1)
	v_add_f32_e32 v2, 0, v8
	s_and_saveexec_b32 s4, s0
	s_cbranch_execz .LBB44_22
; %bb.21:
	scratch_load_b64 v[4:5], off, off offset:8
	v_mov_b32_e32 v6, 0
	ds_load_b64 v[8:9], v6 offset:376
	s_wait_loadcnt_dscnt 0x0
	v_mul_f32_e32 v6, v8, v5
	v_mul_f32_e32 v5, v9, v5
	s_delay_alu instid0(VALU_DEP_2) | instskip(NEXT) | instid1(VALU_DEP_2)
	v_fmac_f32_e32 v6, v9, v4
	v_fma_f32 v4, v8, v4, -v5
	s_delay_alu instid0(VALU_DEP_1)
	v_dual_add_f32 v2, v2, v6 :: v_dual_add_f32 v3, v3, v4
.LBB44_22:
	s_wait_alu 0xfffe
	s_or_b32 exec_lo, exec_lo, s4
	v_mov_b32_e32 v4, 0
	ds_load_b64 v[4:5], v4 offset:16
	s_wait_dscnt 0x0
	v_mul_f32_e32 v8, v2, v5
	v_mul_f32_e32 v6, v3, v5
	s_delay_alu instid0(VALU_DEP_2) | instskip(NEXT) | instid1(VALU_DEP_2)
	v_fma_f32 v5, v3, v4, -v8
	v_fmac_f32_e32 v6, v2, v4
	scratch_store_b64 off, v[5:6], off offset:16
.LBB44_23:
	s_wait_alu 0xfffe
	s_or_b32 exec_lo, exec_lo, s1
	s_wait_loadcnt 0x0
	s_wait_storecnt 0x0
	s_barrier_signal -1
	s_barrier_wait -1
	global_inv scope:SCOPE_SE
	scratch_load_b64 v[3:4], off, off offset:24
	v_add_nc_u32_e32 v2, -1, v0
	s_mov_b32 s0, exec_lo
	s_wait_loadcnt 0x0
	ds_store_b64 v1, v[3:4]
	s_wait_dscnt 0x0
	s_barrier_signal -1
	s_barrier_wait -1
	global_inv scope:SCOPE_SE
	v_cmpx_gt_u32_e32 3, v0
	s_cbranch_execz .LBB44_27
; %bb.24:
	v_dual_mov_b32 v3, 0 :: v_dual_add_nc_u32 v4, -1, v0
	v_dual_mov_b32 v6, v13 :: v_dual_add_nc_u32 v5, 0x170, v13
	v_mov_b32_e32 v8, 0
	s_mov_b32 s1, 0
.LBB44_25:                              ; =>This Inner Loop Header: Depth=1
	scratch_load_b64 v[9:10], v6, off
	ds_load_b64 v[11:12], v5
	v_add_nc_u32_e32 v6, 8, v6
	s_wait_loadcnt_dscnt 0x0
	v_dual_mul_f32 v14, v12, v10 :: v_dual_add_nc_u32 v5, 8, v5
	v_mul_f32_e32 v10, v11, v10
	s_delay_alu instid0(VALU_DEP_2) | instskip(NEXT) | instid1(VALU_DEP_2)
	v_fma_f32 v11, v11, v9, -v14
	v_fmac_f32_e32 v10, v12, v9
	v_add_nc_u32_e32 v4, 1, v4
	s_delay_alu instid0(VALU_DEP_2) | instskip(NEXT) | instid1(VALU_DEP_2)
	v_dual_add_f32 v8, v8, v11 :: v_dual_add_f32 v3, v3, v10
	v_cmp_lt_u32_e32 vcc_lo, 1, v4
	s_wait_alu 0xfffe
	s_or_b32 s1, vcc_lo, s1
	s_wait_alu 0xfffe
	s_and_not1_b32 exec_lo, exec_lo, s1
	s_cbranch_execnz .LBB44_25
; %bb.26:
	s_or_b32 exec_lo, exec_lo, s1
	v_mov_b32_e32 v4, 0
	ds_load_b64 v[4:5], v4 offset:24
	s_wait_dscnt 0x0
	v_mul_f32_e32 v9, v3, v5
	v_mul_f32_e32 v6, v8, v5
	s_delay_alu instid0(VALU_DEP_2) | instskip(NEXT) | instid1(VALU_DEP_2)
	v_fma_f32 v5, v8, v4, -v9
	v_fmac_f32_e32 v6, v3, v4
	scratch_store_b64 off, v[5:6], off offset:24
.LBB44_27:
	s_wait_alu 0xfffe
	s_or_b32 exec_lo, exec_lo, s0
	s_wait_loadcnt 0x0
	s_wait_storecnt 0x0
	s_barrier_signal -1
	s_barrier_wait -1
	global_inv scope:SCOPE_SE
	scratch_load_b64 v[3:4], off, off offset:32
	s_mov_b32 s0, exec_lo
	s_wait_loadcnt 0x0
	ds_store_b64 v1, v[3:4]
	s_wait_dscnt 0x0
	s_barrier_signal -1
	s_barrier_wait -1
	global_inv scope:SCOPE_SE
	v_cmpx_gt_u32_e32 4, v0
	s_cbranch_execz .LBB44_31
; %bb.28:
	v_dual_mov_b32 v3, 0 :: v_dual_add_nc_u32 v4, -1, v0
	v_dual_mov_b32 v6, v13 :: v_dual_add_nc_u32 v5, 0x170, v13
	v_mov_b32_e32 v8, 0
	s_mov_b32 s1, 0
.LBB44_29:                              ; =>This Inner Loop Header: Depth=1
	scratch_load_b64 v[9:10], v6, off
	ds_load_b64 v[11:12], v5
	v_add_nc_u32_e32 v6, 8, v6
	s_wait_loadcnt_dscnt 0x0
	v_dual_mul_f32 v14, v12, v10 :: v_dual_add_nc_u32 v5, 8, v5
	v_mul_f32_e32 v10, v11, v10
	s_delay_alu instid0(VALU_DEP_2) | instskip(NEXT) | instid1(VALU_DEP_2)
	v_fma_f32 v11, v11, v9, -v14
	v_fmac_f32_e32 v10, v12, v9
	v_add_nc_u32_e32 v4, 1, v4
	s_delay_alu instid0(VALU_DEP_2) | instskip(NEXT) | instid1(VALU_DEP_2)
	v_dual_add_f32 v8, v8, v11 :: v_dual_add_f32 v3, v3, v10
	v_cmp_lt_u32_e32 vcc_lo, 2, v4
	s_wait_alu 0xfffe
	s_or_b32 s1, vcc_lo, s1
	s_wait_alu 0xfffe
	s_and_not1_b32 exec_lo, exec_lo, s1
	s_cbranch_execnz .LBB44_29
; %bb.30:
	s_or_b32 exec_lo, exec_lo, s1
	v_mov_b32_e32 v4, 0
	ds_load_b64 v[4:5], v4 offset:32
	s_wait_dscnt 0x0
	v_mul_f32_e32 v9, v3, v5
	v_mul_f32_e32 v6, v8, v5
	s_delay_alu instid0(VALU_DEP_2) | instskip(NEXT) | instid1(VALU_DEP_2)
	v_fma_f32 v5, v8, v4, -v9
	v_fmac_f32_e32 v6, v3, v4
	scratch_store_b64 off, v[5:6], off offset:32
.LBB44_31:
	s_wait_alu 0xfffe
	s_or_b32 exec_lo, exec_lo, s0
	s_wait_loadcnt 0x0
	s_wait_storecnt 0x0
	s_barrier_signal -1
	s_barrier_wait -1
	global_inv scope:SCOPE_SE
	scratch_load_b64 v[3:4], off, off offset:40
	;; [unrolled: 53-line block ×19, first 2 shown]
	s_mov_b32 s0, exec_lo
	s_wait_loadcnt 0x0
	ds_store_b64 v1, v[3:4]
	s_wait_dscnt 0x0
	s_barrier_signal -1
	s_barrier_wait -1
	global_inv scope:SCOPE_SE
	v_cmpx_gt_u32_e32 22, v0
	s_cbranch_execz .LBB44_103
; %bb.100:
	v_dual_mov_b32 v3, 0 :: v_dual_add_nc_u32 v4, -1, v0
	v_dual_mov_b32 v6, v13 :: v_dual_add_nc_u32 v5, 0x170, v13
	v_mov_b32_e32 v8, 0
	s_mov_b32 s1, 0
.LBB44_101:                             ; =>This Inner Loop Header: Depth=1
	scratch_load_b64 v[9:10], v6, off
	ds_load_b64 v[11:12], v5
	v_add_nc_u32_e32 v6, 8, v6
	s_wait_loadcnt_dscnt 0x0
	v_dual_mul_f32 v14, v12, v10 :: v_dual_add_nc_u32 v5, 8, v5
	v_mul_f32_e32 v10, v11, v10
	s_delay_alu instid0(VALU_DEP_2) | instskip(NEXT) | instid1(VALU_DEP_2)
	v_fma_f32 v11, v11, v9, -v14
	v_fmac_f32_e32 v10, v12, v9
	v_add_nc_u32_e32 v4, 1, v4
	s_delay_alu instid0(VALU_DEP_2) | instskip(NEXT) | instid1(VALU_DEP_2)
	v_dual_add_f32 v8, v8, v11 :: v_dual_add_f32 v3, v3, v10
	v_cmp_lt_u32_e32 vcc_lo, 20, v4
	s_wait_alu 0xfffe
	s_or_b32 s1, vcc_lo, s1
	s_wait_alu 0xfffe
	s_and_not1_b32 exec_lo, exec_lo, s1
	s_cbranch_execnz .LBB44_101
; %bb.102:
	s_or_b32 exec_lo, exec_lo, s1
	v_mov_b32_e32 v4, 0
	ds_load_b64 v[4:5], v4 offset:176
	s_wait_dscnt 0x0
	v_mul_f32_e32 v9, v3, v5
	v_mul_f32_e32 v6, v8, v5
	s_delay_alu instid0(VALU_DEP_2) | instskip(NEXT) | instid1(VALU_DEP_2)
	v_fma_f32 v5, v8, v4, -v9
	v_fmac_f32_e32 v6, v3, v4
	scratch_store_b64 off, v[5:6], off offset:176
.LBB44_103:
	s_wait_alu 0xfffe
	s_or_b32 exec_lo, exec_lo, s0
	s_wait_loadcnt 0x0
	s_wait_storecnt 0x0
	s_barrier_signal -1
	s_barrier_wait -1
	global_inv scope:SCOPE_SE
	scratch_load_b64 v[3:4], off, off offset:184
	s_mov_b32 s0, exec_lo
	s_wait_loadcnt 0x0
	ds_store_b64 v1, v[3:4]
	s_wait_dscnt 0x0
	s_barrier_signal -1
	s_barrier_wait -1
	global_inv scope:SCOPE_SE
	v_cmpx_gt_u32_e32 23, v0
	s_cbranch_execz .LBB44_107
; %bb.104:
	v_dual_mov_b32 v3, 0 :: v_dual_add_nc_u32 v4, -1, v0
	v_dual_mov_b32 v6, v13 :: v_dual_add_nc_u32 v5, 0x170, v13
	v_mov_b32_e32 v8, 0
	s_mov_b32 s1, 0
.LBB44_105:                             ; =>This Inner Loop Header: Depth=1
	scratch_load_b64 v[9:10], v6, off
	ds_load_b64 v[11:12], v5
	v_add_nc_u32_e32 v6, 8, v6
	s_wait_loadcnt_dscnt 0x0
	v_dual_mul_f32 v14, v12, v10 :: v_dual_add_nc_u32 v5, 8, v5
	v_mul_f32_e32 v10, v11, v10
	s_delay_alu instid0(VALU_DEP_2) | instskip(NEXT) | instid1(VALU_DEP_2)
	v_fma_f32 v11, v11, v9, -v14
	v_fmac_f32_e32 v10, v12, v9
	v_add_nc_u32_e32 v4, 1, v4
	s_delay_alu instid0(VALU_DEP_2) | instskip(NEXT) | instid1(VALU_DEP_2)
	v_dual_add_f32 v8, v8, v11 :: v_dual_add_f32 v3, v3, v10
	v_cmp_lt_u32_e32 vcc_lo, 21, v4
	s_wait_alu 0xfffe
	s_or_b32 s1, vcc_lo, s1
	s_wait_alu 0xfffe
	s_and_not1_b32 exec_lo, exec_lo, s1
	s_cbranch_execnz .LBB44_105
; %bb.106:
	s_or_b32 exec_lo, exec_lo, s1
	v_mov_b32_e32 v4, 0
	ds_load_b64 v[4:5], v4 offset:184
	s_wait_dscnt 0x0
	v_mul_f32_e32 v9, v3, v5
	v_mul_f32_e32 v6, v8, v5
	s_delay_alu instid0(VALU_DEP_2) | instskip(NEXT) | instid1(VALU_DEP_2)
	v_fma_f32 v5, v8, v4, -v9
	v_fmac_f32_e32 v6, v3, v4
	scratch_store_b64 off, v[5:6], off offset:184
.LBB44_107:
	s_wait_alu 0xfffe
	s_or_b32 exec_lo, exec_lo, s0
	s_wait_loadcnt 0x0
	s_wait_storecnt 0x0
	s_barrier_signal -1
	s_barrier_wait -1
	global_inv scope:SCOPE_SE
	scratch_load_b64 v[3:4], off, off offset:192
	;; [unrolled: 53-line block ×21, first 2 shown]
	s_mov_b32 s0, exec_lo
	s_wait_loadcnt 0x0
	ds_store_b64 v1, v[3:4]
	s_wait_dscnt 0x0
	s_barrier_signal -1
	s_barrier_wait -1
	global_inv scope:SCOPE_SE
	v_cmpx_gt_u32_e32 43, v0
	s_cbranch_execz .LBB44_187
; %bb.184:
	v_dual_mov_b32 v3, 0 :: v_dual_add_nc_u32 v4, -1, v0
	v_dual_mov_b32 v6, v13 :: v_dual_add_nc_u32 v5, 0x170, v13
	v_mov_b32_e32 v8, 0
	s_mov_b32 s1, 0
.LBB44_185:                             ; =>This Inner Loop Header: Depth=1
	scratch_load_b64 v[9:10], v6, off
	ds_load_b64 v[11:12], v5
	v_add_nc_u32_e32 v6, 8, v6
	v_add_nc_u32_e32 v4, 1, v4
	;; [unrolled: 1-line block ×3, first 2 shown]
	s_delay_alu instid0(VALU_DEP_2)
	v_cmp_lt_u32_e32 vcc_lo, 41, v4
	s_wait_alu 0xfffe
	s_or_b32 s1, vcc_lo, s1
	s_wait_loadcnt_dscnt 0x0
	v_mul_f32_e32 v13, v12, v10
	v_mul_f32_e32 v10, v11, v10
	s_delay_alu instid0(VALU_DEP_2) | instskip(NEXT) | instid1(VALU_DEP_2)
	v_fma_f32 v11, v11, v9, -v13
	v_fmac_f32_e32 v10, v12, v9
	s_delay_alu instid0(VALU_DEP_1)
	v_dual_add_f32 v8, v8, v11 :: v_dual_add_f32 v3, v3, v10
	s_wait_alu 0xfffe
	s_and_not1_b32 exec_lo, exec_lo, s1
	s_cbranch_execnz .LBB44_185
; %bb.186:
	s_or_b32 exec_lo, exec_lo, s1
	v_mov_b32_e32 v4, 0
	ds_load_b64 v[4:5], v4 offset:344
	s_wait_dscnt 0x0
	v_mul_f32_e32 v9, v3, v5
	v_mul_f32_e32 v6, v8, v5
	s_delay_alu instid0(VALU_DEP_2) | instskip(NEXT) | instid1(VALU_DEP_2)
	v_fma_f32 v5, v8, v4, -v9
	v_fmac_f32_e32 v6, v3, v4
	scratch_store_b64 off, v[5:6], off offset:344
.LBB44_187:
	s_wait_alu 0xfffe
	s_or_b32 exec_lo, exec_lo, s0
	s_wait_loadcnt 0x0
	s_wait_storecnt 0x0
	s_barrier_signal -1
	s_barrier_wait -1
	global_inv scope:SCOPE_SE
	scratch_load_b64 v[3:4], off, off offset:352
	s_mov_b32 s0, exec_lo
	s_wait_loadcnt 0x0
	ds_store_b64 v1, v[3:4]
	s_wait_dscnt 0x0
	s_barrier_signal -1
	s_barrier_wait -1
	global_inv scope:SCOPE_SE
	v_cmpx_ne_u32_e32 44, v0
	s_cbranch_execz .LBB44_191
; %bb.188:
	v_dual_mov_b32 v3, 0 :: v_dual_mov_b32 v4, 0
	s_mov_b32 s1, 0
.LBB44_189:                             ; =>This Inner Loop Header: Depth=1
	scratch_load_b64 v[5:6], v7, off
	ds_load_b64 v[8:9], v1
	v_add_nc_u32_e32 v2, 1, v2
	v_add_nc_u32_e32 v1, 8, v1
	;; [unrolled: 1-line block ×3, first 2 shown]
	s_delay_alu instid0(VALU_DEP_3)
	v_cmp_lt_u32_e32 vcc_lo, 42, v2
	s_wait_alu 0xfffe
	s_or_b32 s1, vcc_lo, s1
	s_wait_loadcnt_dscnt 0x0
	v_mul_f32_e32 v10, v9, v6
	v_mul_f32_e32 v6, v8, v6
	s_delay_alu instid0(VALU_DEP_2) | instskip(NEXT) | instid1(VALU_DEP_2)
	v_fma_f32 v8, v8, v5, -v10
	v_fmac_f32_e32 v6, v9, v5
	s_delay_alu instid0(VALU_DEP_1)
	v_dual_add_f32 v4, v4, v8 :: v_dual_add_f32 v3, v3, v6
	s_wait_alu 0xfffe
	s_and_not1_b32 exec_lo, exec_lo, s1
	s_cbranch_execnz .LBB44_189
; %bb.190:
	s_or_b32 exec_lo, exec_lo, s1
	v_mov_b32_e32 v1, 0
	ds_load_b64 v[1:2], v1 offset:352
	s_wait_dscnt 0x0
	v_mul_f32_e32 v6, v3, v2
	v_mul_f32_e32 v5, v4, v2
	s_delay_alu instid0(VALU_DEP_2) | instskip(NEXT) | instid1(VALU_DEP_2)
	v_fma_f32 v4, v4, v1, -v6
	v_fmac_f32_e32 v5, v3, v1
	scratch_store_b64 off, v[4:5], off offset:352
.LBB44_191:
	s_wait_alu 0xfffe
	s_or_b32 exec_lo, exec_lo, s0
	s_mov_b32 s1, -1
	s_wait_loadcnt 0x0
	s_wait_storecnt 0x0
	s_barrier_signal -1
	s_barrier_wait -1
	global_inv scope:SCOPE_SE
.LBB44_192:
	s_wait_alu 0xfffe
	s_and_b32 vcc_lo, exec_lo, s1
	s_wait_alu 0xfffe
	s_cbranch_vccz .LBB44_194
; %bb.193:
	v_mov_b32_e32 v1, 0
	s_lshl_b64 s[0:1], s[16:17], 2
	s_wait_alu 0xfffe
	s_add_nc_u64 s[0:1], s[6:7], s[0:1]
	global_load_b32 v1, v1, s[0:1]
	s_wait_loadcnt 0x0
	v_cmp_ne_u32_e32 vcc_lo, 0, v1
	s_cbranch_vccz .LBB44_195
.LBB44_194:
	s_nop 0
	s_sendmsg sendmsg(MSG_DEALLOC_VGPRS)
	s_endpgm
.LBB44_195:
	v_lshl_add_u32 v23, v0, 3, 0x170
	s_mov_b32 s0, exec_lo
	v_cmpx_eq_u32_e32 44, v0
	s_cbranch_execz .LBB44_197
; %bb.196:
	scratch_load_b64 v[1:2], off, off offset:344
	v_mov_b32_e32 v3, 0
	s_delay_alu instid0(VALU_DEP_1)
	v_mov_b32_e32 v4, v3
	scratch_store_b64 off, v[3:4], off offset:344
	s_wait_loadcnt 0x0
	ds_store_b64 v23, v[1:2]
.LBB44_197:
	s_wait_alu 0xfffe
	s_or_b32 exec_lo, exec_lo, s0
	s_wait_storecnt_dscnt 0x0
	s_barrier_signal -1
	s_barrier_wait -1
	global_inv scope:SCOPE_SE
	s_clause 0x1
	scratch_load_b64 v[2:3], off, off offset:352
	scratch_load_b64 v[4:5], off, off offset:344
	v_mov_b32_e32 v1, 0
	s_mov_b32 s0, exec_lo
	ds_load_b64 v[6:7], v1 offset:720
	s_wait_loadcnt_dscnt 0x100
	v_mul_f32_e32 v8, v7, v3
	v_mul_f32_e32 v3, v6, v3
	s_delay_alu instid0(VALU_DEP_2) | instskip(NEXT) | instid1(VALU_DEP_2)
	v_fma_f32 v6, v6, v2, -v8
	v_fmac_f32_e32 v3, v7, v2
	s_delay_alu instid0(VALU_DEP_1) | instskip(SKIP_1) | instid1(VALU_DEP_1)
	v_dual_add_f32 v2, 0, v6 :: v_dual_add_f32 v3, 0, v3
	s_wait_loadcnt 0x0
	v_dual_sub_f32 v2, v4, v2 :: v_dual_sub_f32 v3, v5, v3
	scratch_store_b64 off, v[2:3], off offset:344
	v_cmpx_lt_u32_e32 42, v0
	s_cbranch_execz .LBB44_199
; %bb.198:
	scratch_load_b64 v[3:4], off, off offset:336
	v_mov_b32_e32 v2, v1
	scratch_store_b64 off, v[1:2], off offset:336
	s_wait_loadcnt 0x0
	ds_store_b64 v23, v[3:4]
.LBB44_199:
	s_wait_alu 0xfffe
	s_or_b32 exec_lo, exec_lo, s0
	s_wait_storecnt_dscnt 0x0
	s_barrier_signal -1
	s_barrier_wait -1
	global_inv scope:SCOPE_SE
	s_clause 0x1
	scratch_load_b128 v[2:5], off, off offset:344
	scratch_load_b64 v[10:11], off, off offset:336
	ds_load_2addr_b64 v[6:9], v1 offset0:89 offset1:90
	s_mov_b32 s0, exec_lo
	s_wait_loadcnt_dscnt 0x100
	v_dual_mul_f32 v1, v7, v3 :: v_dual_mul_f32 v12, v8, v5
	v_mul_f32_e32 v3, v6, v3
	s_delay_alu instid0(VALU_DEP_2) | instskip(NEXT) | instid1(VALU_DEP_2)
	v_fma_f32 v1, v6, v2, -v1
	v_dual_fmac_f32 v12, v9, v4 :: v_dual_fmac_f32 v3, v7, v2
	s_delay_alu instid0(VALU_DEP_2) | instskip(NEXT) | instid1(VALU_DEP_2)
	v_add_f32_e32 v1, 0, v1
	v_add_f32_e32 v3, 0, v3
	v_mul_f32_e32 v5, v9, v5
	s_delay_alu instid0(VALU_DEP_1) | instskip(NEXT) | instid1(VALU_DEP_1)
	v_fma_f32 v2, v8, v4, -v5
	v_dual_add_f32 v1, v1, v2 :: v_dual_add_f32 v2, v3, v12
	s_wait_loadcnt 0x0
	s_delay_alu instid0(VALU_DEP_1)
	v_dual_sub_f32 v1, v10, v1 :: v_dual_sub_f32 v2, v11, v2
	scratch_store_b64 off, v[1:2], off offset:336
	v_cmpx_lt_u32_e32 41, v0
	s_cbranch_execz .LBB44_201
; %bb.200:
	scratch_load_b64 v[1:2], off, off offset:328
	v_mov_b32_e32 v3, 0
	s_delay_alu instid0(VALU_DEP_1)
	v_mov_b32_e32 v4, v3
	scratch_store_b64 off, v[3:4], off offset:328
	s_wait_loadcnt 0x0
	ds_store_b64 v23, v[1:2]
.LBB44_201:
	s_wait_alu 0xfffe
	s_or_b32 exec_lo, exec_lo, s0
	s_wait_storecnt_dscnt 0x0
	s_barrier_signal -1
	s_barrier_wait -1
	global_inv scope:SCOPE_SE
	s_clause 0x2
	scratch_load_b128 v[2:5], off, off offset:336
	scratch_load_b64 v[10:11], off, off offset:352
	scratch_load_b64 v[12:13], off, off offset:328
	v_mov_b32_e32 v1, 0
	ds_load_b128 v[6:9], v1 offset:704
	ds_load_b64 v[14:15], v1 offset:720
	s_mov_b32 s0, exec_lo
	s_wait_loadcnt_dscnt 0x201
	v_dual_mul_f32 v16, v7, v3 :: v_dual_mul_f32 v17, v8, v5
	s_wait_loadcnt_dscnt 0x100
	v_mul_f32_e32 v18, v14, v11
	v_mul_f32_e32 v3, v6, v3
	;; [unrolled: 1-line block ×3, first 2 shown]
	v_fma_f32 v6, v6, v2, -v16
	s_delay_alu instid0(VALU_DEP_4) | instskip(NEXT) | instid1(VALU_DEP_4)
	v_fmac_f32_e32 v18, v15, v10
	v_fmac_f32_e32 v3, v7, v2
	v_mul_f32_e32 v2, v15, v11
	s_delay_alu instid0(VALU_DEP_1) | instskip(SKIP_3) | instid1(VALU_DEP_1)
	v_fma_f32 v2, v14, v10, -v2
	v_fmac_f32_e32 v17, v9, v4
	v_fma_f32 v4, v8, v4, -v5
	v_add_f32_e32 v5, 0, v6
	v_add_f32_e32 v4, v5, v4
	s_delay_alu instid0(VALU_DEP_1) | instskip(SKIP_1) | instid1(VALU_DEP_1)
	v_dual_add_f32 v2, v4, v2 :: v_dual_add_f32 v3, 0, v3
	s_wait_loadcnt 0x0
	v_dual_sub_f32 v2, v12, v2 :: v_dual_add_f32 v3, v3, v17
	s_delay_alu instid0(VALU_DEP_1) | instskip(NEXT) | instid1(VALU_DEP_1)
	v_add_f32_e32 v3, v3, v18
	v_sub_f32_e32 v3, v13, v3
	scratch_store_b64 off, v[2:3], off offset:328
	v_cmpx_lt_u32_e32 40, v0
	s_cbranch_execz .LBB44_203
; %bb.202:
	scratch_load_b64 v[3:4], off, off offset:320
	v_mov_b32_e32 v2, v1
	scratch_store_b64 off, v[1:2], off offset:320
	s_wait_loadcnt 0x0
	ds_store_b64 v23, v[3:4]
.LBB44_203:
	s_wait_alu 0xfffe
	s_or_b32 exec_lo, exec_lo, s0
	s_wait_storecnt_dscnt 0x0
	s_barrier_signal -1
	s_barrier_wait -1
	global_inv scope:SCOPE_SE
	s_clause 0x2
	scratch_load_b128 v[2:5], off, off offset:328
	scratch_load_b128 v[6:9], off, off offset:344
	scratch_load_b64 v[18:19], off, off offset:320
	ds_load_2addr_b64 v[10:13], v1 offset0:87 offset1:88
	ds_load_2addr_b64 v[14:17], v1 offset0:89 offset1:90
	s_mov_b32 s0, exec_lo
	s_wait_loadcnt_dscnt 0x201
	v_dual_mul_f32 v1, v10, v3 :: v_dual_mul_f32 v20, v12, v5
	s_wait_loadcnt_dscnt 0x100
	v_dual_mul_f32 v3, v11, v3 :: v_dual_mul_f32 v22, v16, v9
	v_mul_f32_e32 v5, v13, v5
	s_delay_alu instid0(VALU_DEP_3) | instskip(NEXT) | instid1(VALU_DEP_3)
	v_dual_mul_f32 v21, v14, v7 :: v_dual_fmac_f32 v20, v13, v4
	v_fma_f32 v3, v10, v2, -v3
	s_delay_alu instid0(VALU_DEP_4) | instskip(SKIP_2) | instid1(VALU_DEP_4)
	v_dual_fmac_f32 v1, v11, v2 :: v_dual_fmac_f32 v22, v17, v8
	v_mul_f32_e32 v2, v15, v7
	v_fma_f32 v4, v12, v4, -v5
	v_add_f32_e32 v3, 0, v3
	v_fmac_f32_e32 v21, v15, v6
	s_delay_alu instid0(VALU_DEP_4) | instskip(NEXT) | instid1(VALU_DEP_3)
	v_fma_f32 v2, v14, v6, -v2
	v_add_f32_e32 v3, v3, v4
	s_delay_alu instid0(VALU_DEP_1) | instskip(NEXT) | instid1(VALU_DEP_1)
	v_dual_add_f32 v1, 0, v1 :: v_dual_add_f32 v2, v3, v2
	v_add_f32_e32 v1, v1, v20
	s_delay_alu instid0(VALU_DEP_1) | instskip(NEXT) | instid1(VALU_DEP_1)
	v_add_f32_e32 v1, v1, v21
	v_add_f32_e32 v3, v1, v22
	v_mul_f32_e32 v5, v17, v9
	s_delay_alu instid0(VALU_DEP_1) | instskip(NEXT) | instid1(VALU_DEP_1)
	v_fma_f32 v4, v16, v8, -v5
	v_add_f32_e32 v2, v2, v4
	s_wait_loadcnt 0x0
	s_delay_alu instid0(VALU_DEP_1)
	v_dual_sub_f32 v1, v18, v2 :: v_dual_sub_f32 v2, v19, v3
	scratch_store_b64 off, v[1:2], off offset:320
	v_cmpx_lt_u32_e32 39, v0
	s_cbranch_execz .LBB44_205
; %bb.204:
	scratch_load_b64 v[1:2], off, off offset:312
	v_mov_b32_e32 v3, 0
	s_delay_alu instid0(VALU_DEP_1)
	v_mov_b32_e32 v4, v3
	scratch_store_b64 off, v[3:4], off offset:312
	s_wait_loadcnt 0x0
	ds_store_b64 v23, v[1:2]
.LBB44_205:
	s_wait_alu 0xfffe
	s_or_b32 exec_lo, exec_lo, s0
	s_wait_storecnt_dscnt 0x0
	s_barrier_signal -1
	s_barrier_wait -1
	global_inv scope:SCOPE_SE
	s_clause 0x3
	scratch_load_b128 v[2:5], off, off offset:320
	scratch_load_b128 v[6:9], off, off offset:336
	scratch_load_b64 v[18:19], off, off offset:352
	scratch_load_b64 v[20:21], off, off offset:312
	v_mov_b32_e32 v1, 0
	ds_load_b128 v[10:13], v1 offset:688
	ds_load_b128 v[14:17], v1 offset:704
	ds_load_b64 v[114:115], v1 offset:720
	s_mov_b32 s0, exec_lo
	s_wait_loadcnt_dscnt 0x302
	v_mul_f32_e32 v22, v10, v3
	v_dual_mul_f32 v116, v12, v5 :: v_dual_mul_f32 v3, v11, v3
	v_mul_f32_e32 v5, v13, v5
	s_wait_loadcnt_dscnt 0x100
	s_delay_alu instid0(VALU_DEP_3)
	v_dual_mul_f32 v119, v114, v19 :: v_dual_fmac_f32 v22, v11, v2
	v_dual_mul_f32 v117, v14, v7 :: v_dual_mul_f32 v118, v16, v9
	v_fma_f32 v3, v10, v2, -v3
	v_mul_f32_e32 v2, v15, v7
	v_fmac_f32_e32 v116, v13, v4
	v_fma_f32 v4, v12, v4, -v5
	v_dual_add_f32 v5, 0, v22 :: v_dual_fmac_f32 v118, v17, v8
	v_add_f32_e32 v3, 0, v3
	v_fma_f32 v2, v14, v6, -v2
	v_fmac_f32_e32 v117, v15, v6
	v_fmac_f32_e32 v119, v115, v18
	s_delay_alu instid0(VALU_DEP_4) | instskip(SKIP_2) | instid1(VALU_DEP_3)
	v_add_f32_e32 v3, v3, v4
	v_mul_f32_e32 v7, v17, v9
	v_add_f32_e32 v4, v5, v116
	v_add_f32_e32 v2, v3, v2
	s_delay_alu instid0(VALU_DEP_3) | instskip(NEXT) | instid1(VALU_DEP_1)
	v_fma_f32 v6, v16, v8, -v7
	v_dual_add_f32 v3, v4, v117 :: v_dual_add_f32 v2, v2, v6
	v_mul_f32_e32 v5, v115, v19
	s_delay_alu instid0(VALU_DEP_2) | instskip(NEXT) | instid1(VALU_DEP_2)
	v_add_f32_e32 v3, v3, v118
	v_fma_f32 v4, v114, v18, -v5
	s_delay_alu instid0(VALU_DEP_1) | instskip(SKIP_1) | instid1(VALU_DEP_1)
	v_dual_add_f32 v2, v2, v4 :: v_dual_add_f32 v3, v3, v119
	s_wait_loadcnt 0x0
	v_dual_sub_f32 v2, v20, v2 :: v_dual_sub_f32 v3, v21, v3
	scratch_store_b64 off, v[2:3], off offset:312
	v_cmpx_lt_u32_e32 38, v0
	s_cbranch_execz .LBB44_207
; %bb.206:
	scratch_load_b64 v[3:4], off, off offset:304
	v_mov_b32_e32 v2, v1
	scratch_store_b64 off, v[1:2], off offset:304
	s_wait_loadcnt 0x0
	ds_store_b64 v23, v[3:4]
.LBB44_207:
	s_wait_alu 0xfffe
	s_or_b32 exec_lo, exec_lo, s0
	s_wait_storecnt_dscnt 0x0
	s_barrier_signal -1
	s_barrier_wait -1
	global_inv scope:SCOPE_SE
	s_clause 0x3
	scratch_load_b128 v[2:5], off, off offset:312
	scratch_load_b128 v[6:9], off, off offset:328
	;; [unrolled: 1-line block ×3, first 2 shown]
	scratch_load_b64 v[118:119], off, off offset:304
	ds_load_2addr_b64 v[14:17], v1 offset0:85 offset1:86
	ds_load_2addr_b64 v[18:21], v1 offset0:87 offset1:88
	;; [unrolled: 1-line block ×3, first 2 shown]
	s_mov_b32 s0, exec_lo
	s_wait_loadcnt_dscnt 0x302
	v_dual_mul_f32 v1, v14, v3 :: v_dual_mul_f32 v22, v16, v5
	v_mul_f32_e32 v3, v15, v3
	s_wait_loadcnt_dscnt 0x201
	v_dual_mul_f32 v5, v17, v5 :: v_dual_mul_f32 v120, v18, v7
	s_delay_alu instid0(VALU_DEP_3) | instskip(NEXT) | instid1(VALU_DEP_3)
	v_dual_mul_f32 v121, v20, v9 :: v_dual_fmac_f32 v22, v17, v4
	v_fma_f32 v3, v14, v2, -v3
	v_fmac_f32_e32 v1, v15, v2
	v_mul_f32_e32 v2, v19, v7
	v_fma_f32 v4, v16, v4, -v5
	s_delay_alu instid0(VALU_DEP_4)
	v_dual_fmac_f32 v120, v19, v6 :: v_dual_add_f32 v3, 0, v3
	s_wait_loadcnt_dscnt 0x100
	v_dual_mul_f32 v122, v114, v11 :: v_dual_mul_f32 v123, v116, v13
	v_fma_f32 v2, v18, v6, -v2
	v_fmac_f32_e32 v121, v21, v8
	v_add_f32_e32 v3, v3, v4
	s_delay_alu instid0(VALU_DEP_4) | instskip(SKIP_1) | instid1(VALU_DEP_3)
	v_dual_mul_f32 v5, v21, v9 :: v_dual_fmac_f32 v122, v115, v10
	v_dual_fmac_f32 v123, v117, v12 :: v_dual_mul_f32 v4, v115, v11
	v_add_f32_e32 v2, v3, v2
	s_delay_alu instid0(VALU_DEP_3) | instskip(SKIP_1) | instid1(VALU_DEP_4)
	v_fma_f32 v5, v20, v8, -v5
	v_mul_f32_e32 v3, v117, v13
	v_fma_f32 v4, v114, v10, -v4
	s_delay_alu instid0(VALU_DEP_3) | instskip(SKIP_1) | instid1(VALU_DEP_4)
	v_add_f32_e32 v2, v2, v5
	v_add_f32_e32 v1, 0, v1
	v_fma_f32 v3, v116, v12, -v3
	s_delay_alu instid0(VALU_DEP_2) | instskip(NEXT) | instid1(VALU_DEP_1)
	v_dual_add_f32 v2, v2, v4 :: v_dual_add_f32 v1, v1, v22
	v_dual_add_f32 v2, v2, v3 :: v_dual_add_f32 v1, v1, v120
	s_delay_alu instid0(VALU_DEP_1) | instskip(NEXT) | instid1(VALU_DEP_1)
	v_add_f32_e32 v1, v1, v121
	v_add_f32_e32 v1, v1, v122
	s_delay_alu instid0(VALU_DEP_1) | instskip(SKIP_1) | instid1(VALU_DEP_1)
	v_add_f32_e32 v3, v1, v123
	s_wait_loadcnt 0x0
	v_dual_sub_f32 v1, v118, v2 :: v_dual_sub_f32 v2, v119, v3
	scratch_store_b64 off, v[1:2], off offset:304
	v_cmpx_lt_u32_e32 37, v0
	s_cbranch_execz .LBB44_209
; %bb.208:
	scratch_load_b64 v[1:2], off, off offset:296
	v_mov_b32_e32 v3, 0
	s_delay_alu instid0(VALU_DEP_1)
	v_mov_b32_e32 v4, v3
	scratch_store_b64 off, v[3:4], off offset:296
	s_wait_loadcnt 0x0
	ds_store_b64 v23, v[1:2]
.LBB44_209:
	s_wait_alu 0xfffe
	s_or_b32 exec_lo, exec_lo, s0
	s_wait_storecnt_dscnt 0x0
	s_barrier_signal -1
	s_barrier_wait -1
	global_inv scope:SCOPE_SE
	s_clause 0x4
	scratch_load_b128 v[2:5], off, off offset:304
	scratch_load_b128 v[6:9], off, off offset:320
	;; [unrolled: 1-line block ×3, first 2 shown]
	scratch_load_b64 v[118:119], off, off offset:352
	scratch_load_b64 v[120:121], off, off offset:296
	v_mov_b32_e32 v1, 0
	ds_load_b128 v[14:17], v1 offset:672
	ds_load_b128 v[18:21], v1 offset:688
	;; [unrolled: 1-line block ×3, first 2 shown]
	ds_load_b64 v[122:123], v1 offset:720
	s_mov_b32 s0, exec_lo
	s_wait_loadcnt_dscnt 0x403
	v_mul_f32_e32 v22, v14, v3
	s_wait_loadcnt_dscnt 0x302
	v_dual_mul_f32 v126, v20, v9 :: v_dual_mul_f32 v3, v15, v3
	v_dual_mul_f32 v124, v16, v5 :: v_dual_mul_f32 v125, v18, v7
	v_mul_f32_e32 v5, v17, v5
	s_wait_loadcnt_dscnt 0x100
	v_dual_mul_f32 v129, v122, v119 :: v_dual_fmac_f32 v22, v15, v2
	v_fma_f32 v3, v14, v2, -v3
	v_mul_f32_e32 v2, v19, v7
	v_fmac_f32_e32 v124, v17, v4
	v_fma_f32 v4, v16, v4, -v5
	v_dual_add_f32 v5, 0, v22 :: v_dual_fmac_f32 v126, v21, v8
	v_add_f32_e32 v3, 0, v3
	v_fma_f32 v2, v18, v6, -v2
	v_fmac_f32_e32 v125, v19, v6
	v_dual_mul_f32 v127, v114, v11 :: v_dual_mul_f32 v128, v116, v13
	s_delay_alu instid0(VALU_DEP_4) | instskip(SKIP_1) | instid1(VALU_DEP_3)
	v_add_f32_e32 v3, v3, v4
	v_mul_f32_e32 v7, v21, v9
	v_dual_add_f32 v4, v5, v124 :: v_dual_fmac_f32 v127, v115, v10
	s_delay_alu instid0(VALU_DEP_4) | instskip(NEXT) | instid1(VALU_DEP_4)
	v_fmac_f32_e32 v128, v117, v12
	v_add_f32_e32 v2, v3, v2
	s_delay_alu instid0(VALU_DEP_4) | instskip(SKIP_3) | instid1(VALU_DEP_4)
	v_fma_f32 v6, v20, v8, -v7
	v_mul_f32_e32 v5, v115, v11
	v_add_f32_e32 v3, v4, v125
	v_mul_f32_e32 v4, v117, v13
	v_add_f32_e32 v2, v2, v6
	s_delay_alu instid0(VALU_DEP_4) | instskip(SKIP_3) | instid1(VALU_DEP_4)
	v_fma_f32 v5, v114, v10, -v5
	v_mul_f32_e32 v6, v123, v119
	v_add_f32_e32 v3, v3, v126
	v_fma_f32 v4, v116, v12, -v4
	v_add_f32_e32 v2, v2, v5
	s_delay_alu instid0(VALU_DEP_4) | instskip(NEXT) | instid1(VALU_DEP_2)
	v_fma_f32 v5, v122, v118, -v6
	v_dual_add_f32 v3, v3, v127 :: v_dual_add_f32 v2, v2, v4
	s_delay_alu instid0(VALU_DEP_1) | instskip(SKIP_1) | instid1(VALU_DEP_1)
	v_dual_fmac_f32 v129, v123, v118 :: v_dual_add_f32 v2, v2, v5
	s_wait_loadcnt 0x0
	v_dual_add_f32 v3, v3, v128 :: v_dual_sub_f32 v2, v120, v2
	s_delay_alu instid0(VALU_DEP_1) | instskip(NEXT) | instid1(VALU_DEP_1)
	v_add_f32_e32 v3, v3, v129
	v_sub_f32_e32 v3, v121, v3
	scratch_store_b64 off, v[2:3], off offset:296
	v_cmpx_lt_u32_e32 36, v0
	s_cbranch_execz .LBB44_211
; %bb.210:
	scratch_load_b64 v[3:4], off, off offset:288
	v_mov_b32_e32 v2, v1
	scratch_store_b64 off, v[1:2], off offset:288
	s_wait_loadcnt 0x0
	ds_store_b64 v23, v[3:4]
.LBB44_211:
	s_wait_alu 0xfffe
	s_or_b32 exec_lo, exec_lo, s0
	s_wait_storecnt_dscnt 0x0
	s_barrier_signal -1
	s_barrier_wait -1
	global_inv scope:SCOPE_SE
	s_clause 0x4
	scratch_load_b128 v[2:5], off, off offset:296
	scratch_load_b128 v[6:9], off, off offset:312
	;; [unrolled: 1-line block ×4, first 2 shown]
	scratch_load_b64 v[126:127], off, off offset:288
	ds_load_2addr_b64 v[18:21], v1 offset0:83 offset1:84
	ds_load_2addr_b64 v[114:117], v1 offset0:85 offset1:86
	;; [unrolled: 1-line block ×4, first 2 shown]
	s_mov_b32 s0, exec_lo
	s_wait_loadcnt_dscnt 0x403
	v_dual_mul_f32 v1, v18, v3 :: v_dual_mul_f32 v22, v20, v5
	v_mul_f32_e32 v3, v19, v3
	s_wait_loadcnt_dscnt 0x302
	v_dual_mul_f32 v5, v21, v5 :: v_dual_mul_f32 v128, v114, v7
	s_delay_alu instid0(VALU_DEP_3) | instskip(NEXT) | instid1(VALU_DEP_3)
	v_dual_mul_f32 v129, v116, v9 :: v_dual_fmac_f32 v22, v21, v4
	v_fma_f32 v3, v18, v2, -v3
	v_fmac_f32_e32 v1, v19, v2
	v_mul_f32_e32 v2, v115, v7
	v_fma_f32 v4, v20, v4, -v5
	s_delay_alu instid0(VALU_DEP_4)
	v_dual_fmac_f32 v128, v115, v6 :: v_dual_add_f32 v3, 0, v3
	s_wait_loadcnt_dscnt 0x201
	v_dual_mul_f32 v130, v118, v11 :: v_dual_mul_f32 v131, v120, v13
	v_fma_f32 v2, v114, v6, -v2
	s_wait_loadcnt_dscnt 0x100
	v_dual_mul_f32 v132, v122, v15 :: v_dual_mul_f32 v133, v124, v17
	v_add_f32_e32 v3, v3, v4
	v_mul_f32_e32 v5, v117, v9
	v_dual_fmac_f32 v129, v117, v8 :: v_dual_fmac_f32 v130, v119, v10
	v_mul_f32_e32 v4, v119, v11
	s_delay_alu instid0(VALU_DEP_4) | instskip(NEXT) | instid1(VALU_DEP_4)
	v_add_f32_e32 v2, v3, v2
	v_fma_f32 v5, v116, v8, -v5
	v_mul_f32_e32 v3, v121, v13
	v_fmac_f32_e32 v133, v125, v16
	v_fma_f32 v4, v118, v10, -v4
	v_fmac_f32_e32 v132, v123, v14
	v_add_f32_e32 v2, v2, v5
	v_add_f32_e32 v1, 0, v1
	v_mul_f32_e32 v5, v123, v15
	v_fma_f32 v3, v120, v12, -v3
	s_delay_alu instid0(VALU_DEP_3) | instskip(SKIP_1) | instid1(VALU_DEP_4)
	v_dual_add_f32 v2, v2, v4 :: v_dual_add_f32 v1, v1, v22
	v_mul_f32_e32 v4, v125, v17
	v_fma_f32 v5, v122, v14, -v5
	s_delay_alu instid0(VALU_DEP_3) | instskip(SKIP_1) | instid1(VALU_DEP_4)
	v_dual_add_f32 v2, v2, v3 :: v_dual_add_f32 v1, v1, v128
	v_fmac_f32_e32 v131, v121, v12
	v_fma_f32 v3, v124, v16, -v4
	s_delay_alu instid0(VALU_DEP_3) | instskip(NEXT) | instid1(VALU_DEP_1)
	v_add_f32_e32 v2, v2, v5
	v_dual_add_f32 v1, v1, v129 :: v_dual_add_f32 v2, v2, v3
	s_delay_alu instid0(VALU_DEP_1) | instskip(NEXT) | instid1(VALU_DEP_1)
	v_add_f32_e32 v1, v1, v130
	v_add_f32_e32 v1, v1, v131
	s_delay_alu instid0(VALU_DEP_1) | instskip(NEXT) | instid1(VALU_DEP_1)
	v_add_f32_e32 v1, v1, v132
	v_add_f32_e32 v3, v1, v133
	s_wait_loadcnt 0x0
	s_delay_alu instid0(VALU_DEP_1)
	v_dual_sub_f32 v1, v126, v2 :: v_dual_sub_f32 v2, v127, v3
	scratch_store_b64 off, v[1:2], off offset:288
	v_cmpx_lt_u32_e32 35, v0
	s_cbranch_execz .LBB44_213
; %bb.212:
	scratch_load_b64 v[1:2], off, off offset:280
	v_mov_b32_e32 v3, 0
	s_delay_alu instid0(VALU_DEP_1)
	v_mov_b32_e32 v4, v3
	scratch_store_b64 off, v[3:4], off offset:280
	s_wait_loadcnt 0x0
	ds_store_b64 v23, v[1:2]
.LBB44_213:
	s_wait_alu 0xfffe
	s_or_b32 exec_lo, exec_lo, s0
	s_wait_storecnt_dscnt 0x0
	s_barrier_signal -1
	s_barrier_wait -1
	global_inv scope:SCOPE_SE
	s_clause 0x5
	scratch_load_b128 v[2:5], off, off offset:288
	scratch_load_b128 v[6:9], off, off offset:304
	;; [unrolled: 1-line block ×4, first 2 shown]
	scratch_load_b64 v[126:127], off, off offset:352
	scratch_load_b64 v[128:129], off, off offset:280
	v_mov_b32_e32 v1, 0
	ds_load_b128 v[18:21], v1 offset:656
	ds_load_b128 v[114:117], v1 offset:672
	ds_load_b128 v[118:121], v1 offset:688
	ds_load_b128 v[122:125], v1 offset:704
	ds_load_b64 v[130:131], v1 offset:720
	s_mov_b32 s0, exec_lo
	s_wait_loadcnt_dscnt 0x504
	v_mul_f32_e32 v22, v18, v3
	s_wait_loadcnt_dscnt 0x302
	v_dual_mul_f32 v3, v19, v3 :: v_dual_mul_f32 v136, v120, v13
	v_dual_mul_f32 v132, v20, v5 :: v_dual_mul_f32 v133, v114, v7
	v_mul_f32_e32 v5, v21, v5
	s_delay_alu instid0(VALU_DEP_3) | instskip(SKIP_3) | instid1(VALU_DEP_3)
	v_fma_f32 v3, v18, v2, -v3
	s_wait_loadcnt_dscnt 0x100
	v_dual_mul_f32 v139, v130, v127 :: v_dual_fmac_f32 v22, v19, v2
	v_mul_f32_e32 v2, v115, v7
	v_dual_fmac_f32 v132, v21, v4 :: v_dual_add_f32 v3, 0, v3
	v_fma_f32 v4, v20, v4, -v5
	v_dual_mul_f32 v134, v116, v9 :: v_dual_mul_f32 v135, v118, v11
	v_add_f32_e32 v5, 0, v22
	v_fma_f32 v2, v114, v6, -v2
	s_delay_alu instid0(VALU_DEP_4) | instskip(SKIP_3) | instid1(VALU_DEP_4)
	v_add_f32_e32 v3, v3, v4
	v_mul_f32_e32 v7, v117, v9
	v_dual_fmac_f32 v134, v117, v8 :: v_dual_fmac_f32 v133, v115, v6
	v_add_f32_e32 v4, v5, v132
	v_add_f32_e32 v2, v3, v2
	s_delay_alu instid0(VALU_DEP_4)
	v_fma_f32 v6, v116, v8, -v7
	v_mul_f32_e32 v5, v119, v11
	v_dual_fmac_f32 v135, v119, v10 :: v_dual_fmac_f32 v136, v121, v12
	v_add_f32_e32 v3, v4, v133
	v_mul_f32_e32 v4, v121, v13
	v_add_f32_e32 v2, v2, v6
	v_fma_f32 v5, v118, v10, -v5
	v_mul_f32_e32 v6, v123, v15
	v_add_f32_e32 v3, v3, v134
	v_fma_f32 v4, v120, v12, -v4
	v_dual_mul_f32 v137, v122, v15 :: v_dual_mul_f32 v138, v124, v17
	s_delay_alu instid0(VALU_DEP_3) | instskip(SKIP_2) | instid1(VALU_DEP_4)
	v_dual_add_f32 v2, v2, v5 :: v_dual_add_f32 v3, v3, v135
	v_mul_f32_e32 v5, v125, v17
	v_fma_f32 v6, v122, v14, -v6
	v_dual_fmac_f32 v137, v123, v14 :: v_dual_fmac_f32 v138, v125, v16
	s_delay_alu instid0(VALU_DEP_4) | instskip(SKIP_3) | instid1(VALU_DEP_4)
	v_add_f32_e32 v2, v2, v4
	v_add_f32_e32 v3, v3, v136
	v_mul_f32_e32 v4, v131, v127
	v_fma_f32 v5, v124, v16, -v5
	v_add_f32_e32 v2, v2, v6
	v_fmac_f32_e32 v139, v131, v126
	s_delay_alu instid0(VALU_DEP_4) | instskip(NEXT) | instid1(VALU_DEP_3)
	v_fma_f32 v4, v130, v126, -v4
	v_add_f32_e32 v2, v2, v5
	s_delay_alu instid0(VALU_DEP_1) | instskip(NEXT) | instid1(VALU_DEP_1)
	v_dual_add_f32 v3, v3, v137 :: v_dual_add_f32 v2, v2, v4
	v_add_f32_e32 v3, v3, v138
	s_wait_loadcnt 0x0
	s_delay_alu instid0(VALU_DEP_1) | instskip(NEXT) | instid1(VALU_DEP_1)
	v_dual_sub_f32 v2, v128, v2 :: v_dual_add_f32 v3, v3, v139
	v_sub_f32_e32 v3, v129, v3
	scratch_store_b64 off, v[2:3], off offset:280
	v_cmpx_lt_u32_e32 34, v0
	s_cbranch_execz .LBB44_215
; %bb.214:
	scratch_load_b64 v[3:4], off, off offset:272
	v_mov_b32_e32 v2, v1
	scratch_store_b64 off, v[1:2], off offset:272
	s_wait_loadcnt 0x0
	ds_store_b64 v23, v[3:4]
.LBB44_215:
	s_wait_alu 0xfffe
	s_or_b32 exec_lo, exec_lo, s0
	s_wait_storecnt_dscnt 0x0
	s_barrier_signal -1
	s_barrier_wait -1
	global_inv scope:SCOPE_SE
	s_clause 0x5
	scratch_load_b128 v[2:5], off, off offset:280
	scratch_load_b128 v[6:9], off, off offset:296
	;; [unrolled: 1-line block ×5, first 2 shown]
	scratch_load_b64 v[134:135], off, off offset:272
	ds_load_2addr_b64 v[114:117], v1 offset0:81 offset1:82
	ds_load_2addr_b64 v[118:121], v1 offset0:83 offset1:84
	ds_load_2addr_b64 v[122:125], v1 offset0:85 offset1:86
	ds_load_2addr_b64 v[126:129], v1 offset0:87 offset1:88
	ds_load_2addr_b64 v[130:133], v1 offset0:89 offset1:90
	s_mov_b32 s0, exec_lo
	s_wait_loadcnt_dscnt 0x504
	v_dual_mul_f32 v1, v114, v3 :: v_dual_mul_f32 v22, v116, v5
	v_mul_f32_e32 v3, v115, v3
	s_wait_loadcnt_dscnt 0x403
	v_dual_mul_f32 v5, v117, v5 :: v_dual_mul_f32 v136, v118, v7
	s_delay_alu instid0(VALU_DEP_3) | instskip(NEXT) | instid1(VALU_DEP_3)
	v_dual_mul_f32 v137, v120, v9 :: v_dual_fmac_f32 v22, v117, v4
	v_fma_f32 v3, v114, v2, -v3
	v_fmac_f32_e32 v1, v115, v2
	v_mul_f32_e32 v2, v119, v7
	v_fma_f32 v4, v116, v4, -v5
	s_delay_alu instid0(VALU_DEP_4)
	v_dual_fmac_f32 v136, v119, v6 :: v_dual_add_f32 v3, 0, v3
	s_wait_loadcnt_dscnt 0x100
	v_dual_mul_f32 v142, v130, v19 :: v_dual_mul_f32 v143, v132, v21
	v_fma_f32 v2, v118, v6, -v2
	v_dual_mul_f32 v138, v122, v11 :: v_dual_mul_f32 v139, v124, v13
	v_add_f32_e32 v3, v3, v4
	v_dual_mul_f32 v5, v121, v9 :: v_dual_mul_f32 v140, v126, v15
	v_dual_mul_f32 v141, v128, v17 :: v_dual_mul_f32 v4, v123, v11
	s_delay_alu instid0(VALU_DEP_3) | instskip(NEXT) | instid1(VALU_DEP_3)
	v_add_f32_e32 v2, v3, v2
	v_fma_f32 v5, v120, v8, -v5
	v_dual_mul_f32 v3, v125, v13 :: v_dual_fmac_f32 v142, v131, v18
	s_delay_alu instid0(VALU_DEP_4) | instskip(SKIP_1) | instid1(VALU_DEP_4)
	v_fma_f32 v4, v122, v10, -v4
	v_dual_fmac_f32 v137, v121, v8 :: v_dual_fmac_f32 v138, v123, v10
	v_add_f32_e32 v2, v2, v5
	v_add_f32_e32 v1, 0, v1
	v_fma_f32 v3, v124, v12, -v3
	v_dual_fmac_f32 v140, v127, v14 :: v_dual_fmac_f32 v141, v129, v16
	s_delay_alu instid0(VALU_DEP_3) | instskip(SKIP_1) | instid1(VALU_DEP_2)
	v_dual_add_f32 v2, v2, v4 :: v_dual_add_f32 v1, v1, v22
	v_mul_f32_e32 v4, v129, v17
	v_dual_fmac_f32 v143, v133, v20 :: v_dual_add_f32 v2, v2, v3
	s_delay_alu instid0(VALU_DEP_3) | instskip(NEXT) | instid1(VALU_DEP_3)
	v_add_f32_e32 v1, v1, v136
	v_fma_f32 v4, v128, v16, -v4
	v_mul_f32_e32 v5, v127, v15
	v_mul_f32_e32 v3, v131, v19
	s_delay_alu instid0(VALU_DEP_4) | instskip(NEXT) | instid1(VALU_DEP_3)
	v_add_f32_e32 v1, v1, v137
	v_fma_f32 v5, v126, v14, -v5
	v_fmac_f32_e32 v139, v125, v12
	s_delay_alu instid0(VALU_DEP_4) | instskip(NEXT) | instid1(VALU_DEP_3)
	v_fma_f32 v3, v130, v18, -v3
	v_add_f32_e32 v2, v2, v5
	s_delay_alu instid0(VALU_DEP_1) | instskip(SKIP_1) | instid1(VALU_DEP_2)
	v_dual_mul_f32 v5, v133, v21 :: v_dual_add_f32 v2, v2, v4
	v_add_f32_e32 v1, v1, v138
	v_fma_f32 v4, v132, v20, -v5
	s_delay_alu instid0(VALU_DEP_3) | instskip(NEXT) | instid1(VALU_DEP_1)
	v_add_f32_e32 v2, v2, v3
	v_dual_add_f32 v1, v1, v139 :: v_dual_add_f32 v2, v2, v4
	s_delay_alu instid0(VALU_DEP_1) | instskip(NEXT) | instid1(VALU_DEP_1)
	v_add_f32_e32 v1, v1, v140
	v_add_f32_e32 v1, v1, v141
	s_delay_alu instid0(VALU_DEP_1) | instskip(NEXT) | instid1(VALU_DEP_1)
	v_add_f32_e32 v1, v1, v142
	v_add_f32_e32 v3, v1, v143
	s_wait_loadcnt 0x0
	s_delay_alu instid0(VALU_DEP_1)
	v_dual_sub_f32 v1, v134, v2 :: v_dual_sub_f32 v2, v135, v3
	scratch_store_b64 off, v[1:2], off offset:272
	v_cmpx_lt_u32_e32 33, v0
	s_cbranch_execz .LBB44_217
; %bb.216:
	scratch_load_b64 v[1:2], off, off offset:264
	v_mov_b32_e32 v3, 0
	s_delay_alu instid0(VALU_DEP_1)
	v_mov_b32_e32 v4, v3
	scratch_store_b64 off, v[3:4], off offset:264
	s_wait_loadcnt 0x0
	ds_store_b64 v23, v[1:2]
.LBB44_217:
	s_wait_alu 0xfffe
	s_or_b32 exec_lo, exec_lo, s0
	s_wait_storecnt_dscnt 0x0
	s_barrier_signal -1
	s_barrier_wait -1
	global_inv scope:SCOPE_SE
	s_clause 0x6
	scratch_load_b128 v[2:5], off, off offset:272
	scratch_load_b128 v[6:9], off, off offset:288
	;; [unrolled: 1-line block ×5, first 2 shown]
	scratch_load_b64 v[134:135], off, off offset:352
	scratch_load_b64 v[136:137], off, off offset:264
	v_mov_b32_e32 v1, 0
	ds_load_b128 v[114:117], v1 offset:640
	ds_load_b128 v[118:121], v1 offset:656
	;; [unrolled: 1-line block ×5, first 2 shown]
	ds_load_b64 v[138:139], v1 offset:720
	s_mov_b32 s0, exec_lo
	s_wait_loadcnt_dscnt 0x605
	v_mul_f32_e32 v22, v114, v3
	v_dual_mul_f32 v3, v115, v3 :: v_dual_mul_f32 v140, v116, v5
	s_wait_loadcnt_dscnt 0x302
	v_dual_mul_f32 v141, v118, v7 :: v_dual_mul_f32 v146, v128, v17
	v_mul_f32_e32 v5, v117, v5
	s_delay_alu instid0(VALU_DEP_3) | instskip(SKIP_3) | instid1(VALU_DEP_3)
	v_fma_f32 v3, v114, v2, -v3
	s_wait_loadcnt_dscnt 0x100
	v_dual_mul_f32 v149, v138, v135 :: v_dual_fmac_f32 v22, v115, v2
	v_mul_f32_e32 v2, v119, v7
	v_dual_fmac_f32 v140, v117, v4 :: v_dual_add_f32 v3, 0, v3
	v_fma_f32 v4, v116, v4, -v5
	v_dual_mul_f32 v142, v120, v9 :: v_dual_mul_f32 v143, v122, v11
	v_add_f32_e32 v5, 0, v22
	v_fma_f32 v2, v118, v6, -v2
	s_delay_alu instid0(VALU_DEP_4) | instskip(SKIP_3) | instid1(VALU_DEP_4)
	v_add_f32_e32 v3, v3, v4
	v_mul_f32_e32 v7, v121, v9
	v_dual_fmac_f32 v142, v121, v8 :: v_dual_fmac_f32 v141, v119, v6
	v_add_f32_e32 v4, v5, v140
	v_add_f32_e32 v2, v3, v2
	s_delay_alu instid0(VALU_DEP_4)
	v_fma_f32 v6, v120, v8, -v7
	v_dual_mul_f32 v5, v123, v11 :: v_dual_mul_f32 v144, v124, v13
	v_mul_f32_e32 v145, v126, v15
	v_add_f32_e32 v3, v4, v141
	v_mul_f32_e32 v4, v125, v13
	v_add_f32_e32 v2, v2, v6
	v_fma_f32 v5, v122, v10, -v5
	v_dual_fmac_f32 v143, v123, v10 :: v_dual_fmac_f32 v144, v125, v12
	v_mul_f32_e32 v6, v127, v15
	s_delay_alu instid0(VALU_DEP_3) | instskip(SKIP_2) | instid1(VALU_DEP_4)
	v_dual_add_f32 v3, v3, v142 :: v_dual_add_f32 v2, v2, v5
	v_fma_f32 v4, v124, v12, -v4
	v_mul_f32_e32 v5, v129, v17
	v_fma_f32 v6, v126, v14, -v6
	s_delay_alu instid0(VALU_DEP_4) | instskip(SKIP_3) | instid1(VALU_DEP_4)
	v_add_f32_e32 v3, v3, v143
	v_dual_mul_f32 v147, v130, v19 :: v_dual_mul_f32 v148, v132, v21
	v_dual_add_f32 v2, v2, v4 :: v_dual_fmac_f32 v145, v127, v14
	v_fmac_f32_e32 v146, v129, v16
	v_add_f32_e32 v3, v3, v144
	v_mul_f32_e32 v4, v131, v19
	v_fma_f32 v5, v128, v16, -v5
	v_add_f32_e32 v2, v2, v6
	v_dual_mul_f32 v6, v133, v21 :: v_dual_fmac_f32 v147, v131, v18
	v_dual_add_f32 v3, v3, v145 :: v_dual_fmac_f32 v148, v133, v20
	v_fma_f32 v4, v130, v18, -v4
	s_delay_alu instid0(VALU_DEP_4) | instskip(NEXT) | instid1(VALU_DEP_4)
	v_add_f32_e32 v2, v2, v5
	v_fma_f32 v6, v132, v20, -v6
	s_delay_alu instid0(VALU_DEP_4) | instskip(NEXT) | instid1(VALU_DEP_3)
	v_add_f32_e32 v3, v3, v146
	v_dual_mul_f32 v5, v139, v135 :: v_dual_add_f32 v2, v2, v4
	s_delay_alu instid0(VALU_DEP_2) | instskip(NEXT) | instid1(VALU_DEP_2)
	v_add_f32_e32 v3, v3, v147
	v_fma_f32 v4, v138, v134, -v5
	s_delay_alu instid0(VALU_DEP_3) | instskip(NEXT) | instid1(VALU_DEP_1)
	v_add_f32_e32 v2, v2, v6
	v_dual_fmac_f32 v149, v139, v134 :: v_dual_add_f32 v2, v2, v4
	s_wait_loadcnt 0x0
	s_delay_alu instid0(VALU_DEP_1) | instskip(NEXT) | instid1(VALU_DEP_1)
	v_dual_add_f32 v3, v3, v148 :: v_dual_sub_f32 v2, v136, v2
	v_add_f32_e32 v3, v3, v149
	s_delay_alu instid0(VALU_DEP_1)
	v_sub_f32_e32 v3, v137, v3
	scratch_store_b64 off, v[2:3], off offset:264
	v_cmpx_lt_u32_e32 32, v0
	s_cbranch_execz .LBB44_219
; %bb.218:
	scratch_load_b64 v[3:4], off, off offset:256
	v_mov_b32_e32 v2, v1
	scratch_store_b64 off, v[1:2], off offset:256
	s_wait_loadcnt 0x0
	ds_store_b64 v23, v[3:4]
.LBB44_219:
	s_wait_alu 0xfffe
	s_or_b32 exec_lo, exec_lo, s0
	s_wait_storecnt_dscnt 0x0
	s_barrier_signal -1
	s_barrier_wait -1
	global_inv scope:SCOPE_SE
	s_clause 0x6
	scratch_load_b128 v[2:5], off, off offset:264
	scratch_load_b128 v[6:9], off, off offset:280
	;; [unrolled: 1-line block ×6, first 2 shown]
	scratch_load_b64 v[142:143], off, off offset:256
	ds_load_2addr_b64 v[118:121], v1 offset0:79 offset1:80
	ds_load_2addr_b64 v[122:125], v1 offset0:81 offset1:82
	;; [unrolled: 1-line block ×6, first 2 shown]
	s_mov_b32 s0, exec_lo
	s_wait_loadcnt_dscnt 0x605
	v_dual_mul_f32 v1, v118, v3 :: v_dual_mul_f32 v22, v120, v5
	v_mul_f32_e32 v3, v119, v3
	s_wait_loadcnt_dscnt 0x504
	v_dual_mul_f32 v5, v121, v5 :: v_dual_mul_f32 v144, v122, v7
	s_delay_alu instid0(VALU_DEP_3) | instskip(NEXT) | instid1(VALU_DEP_3)
	v_dual_mul_f32 v145, v124, v9 :: v_dual_fmac_f32 v22, v121, v4
	v_fma_f32 v3, v118, v2, -v3
	v_fmac_f32_e32 v1, v119, v2
	v_mul_f32_e32 v2, v123, v7
	v_fma_f32 v4, v120, v4, -v5
	s_delay_alu instid0(VALU_DEP_4)
	v_dual_fmac_f32 v144, v123, v6 :: v_dual_add_f32 v3, 0, v3
	s_wait_loadcnt_dscnt 0x201
	v_dual_mul_f32 v150, v134, v19 :: v_dual_mul_f32 v151, v136, v21
	v_fma_f32 v2, v122, v6, -v2
	v_dual_mul_f32 v146, v126, v11 :: v_dual_mul_f32 v147, v128, v13
	v_add_f32_e32 v3, v3, v4
	v_dual_mul_f32 v5, v125, v9 :: v_dual_mul_f32 v148, v130, v15
	v_dual_mul_f32 v149, v132, v17 :: v_dual_mul_f32 v4, v127, v11
	s_delay_alu instid0(VALU_DEP_3) | instskip(NEXT) | instid1(VALU_DEP_3)
	v_add_f32_e32 v2, v3, v2
	v_fma_f32 v5, v124, v8, -v5
	v_dual_mul_f32 v3, v129, v13 :: v_dual_fmac_f32 v150, v135, v18
	s_delay_alu instid0(VALU_DEP_4) | instskip(SKIP_1) | instid1(VALU_DEP_4)
	v_fma_f32 v4, v126, v10, -v4
	v_dual_fmac_f32 v145, v125, v8 :: v_dual_fmac_f32 v146, v127, v10
	v_add_f32_e32 v2, v2, v5
	v_add_f32_e32 v1, 0, v1
	v_fma_f32 v3, v128, v12, -v3
	v_fmac_f32_e32 v148, v131, v14
	s_wait_loadcnt_dscnt 0x100
	v_dual_mul_f32 v152, v138, v115 :: v_dual_mul_f32 v153, v140, v117
	v_dual_add_f32 v1, v1, v22 :: v_dual_add_f32 v2, v2, v4
	v_mul_f32_e32 v4, v133, v17
	v_fmac_f32_e32 v151, v137, v20
	s_delay_alu instid0(VALU_DEP_4) | instskip(NEXT) | instid1(VALU_DEP_4)
	v_fmac_f32_e32 v153, v141, v116
	v_dual_add_f32 v1, v1, v144 :: v_dual_add_f32 v2, v2, v3
	s_delay_alu instid0(VALU_DEP_4) | instskip(SKIP_1) | instid1(VALU_DEP_3)
	v_fma_f32 v4, v132, v16, -v4
	v_mul_f32_e32 v5, v131, v15
	v_dual_fmac_f32 v152, v139, v114 :: v_dual_add_f32 v1, v1, v145
	s_delay_alu instid0(VALU_DEP_2) | instskip(SKIP_1) | instid1(VALU_DEP_2)
	v_fma_f32 v5, v130, v14, -v5
	v_fmac_f32_e32 v147, v129, v12
	v_dual_add_f32 v1, v1, v146 :: v_dual_add_f32 v2, v2, v5
	s_delay_alu instid0(VALU_DEP_1) | instskip(SKIP_1) | instid1(VALU_DEP_3)
	v_add_f32_e32 v2, v2, v4
	v_mul_f32_e32 v4, v139, v115
	v_add_f32_e32 v1, v1, v147
	s_delay_alu instid0(VALU_DEP_2) | instskip(SKIP_1) | instid1(VALU_DEP_1)
	v_fma_f32 v4, v138, v114, -v4
	v_mul_f32_e32 v5, v137, v21
	v_fma_f32 v5, v136, v20, -v5
	v_mul_f32_e32 v3, v135, v19
	s_delay_alu instid0(VALU_DEP_1) | instskip(NEXT) | instid1(VALU_DEP_1)
	v_fma_f32 v3, v134, v18, -v3
	v_dual_fmac_f32 v149, v133, v16 :: v_dual_add_f32 v2, v2, v3
	v_mul_f32_e32 v3, v141, v117
	s_delay_alu instid0(VALU_DEP_2) | instskip(NEXT) | instid1(VALU_DEP_2)
	v_add_f32_e32 v2, v2, v5
	v_fma_f32 v3, v140, v116, -v3
	s_delay_alu instid0(VALU_DEP_2) | instskip(NEXT) | instid1(VALU_DEP_1)
	v_add_f32_e32 v2, v2, v4
	v_dual_add_f32 v1, v1, v148 :: v_dual_add_f32 v2, v2, v3
	s_delay_alu instid0(VALU_DEP_1) | instskip(NEXT) | instid1(VALU_DEP_1)
	v_add_f32_e32 v1, v1, v149
	v_add_f32_e32 v1, v1, v150
	s_delay_alu instid0(VALU_DEP_1) | instskip(NEXT) | instid1(VALU_DEP_1)
	v_add_f32_e32 v1, v1, v151
	v_add_f32_e32 v1, v1, v152
	s_delay_alu instid0(VALU_DEP_1) | instskip(SKIP_1) | instid1(VALU_DEP_1)
	v_add_f32_e32 v3, v1, v153
	s_wait_loadcnt 0x0
	v_dual_sub_f32 v1, v142, v2 :: v_dual_sub_f32 v2, v143, v3
	scratch_store_b64 off, v[1:2], off offset:256
	v_cmpx_lt_u32_e32 31, v0
	s_cbranch_execz .LBB44_221
; %bb.220:
	scratch_load_b64 v[1:2], off, off offset:248
	v_mov_b32_e32 v3, 0
	s_delay_alu instid0(VALU_DEP_1)
	v_mov_b32_e32 v4, v3
	scratch_store_b64 off, v[3:4], off offset:248
	s_wait_loadcnt 0x0
	ds_store_b64 v23, v[1:2]
.LBB44_221:
	s_wait_alu 0xfffe
	s_or_b32 exec_lo, exec_lo, s0
	s_wait_storecnt_dscnt 0x0
	s_barrier_signal -1
	s_barrier_wait -1
	global_inv scope:SCOPE_SE
	s_clause 0x7
	scratch_load_b128 v[2:5], off, off offset:256
	scratch_load_b128 v[6:9], off, off offset:272
	;; [unrolled: 1-line block ×6, first 2 shown]
	scratch_load_b64 v[142:143], off, off offset:352
	scratch_load_b64 v[144:145], off, off offset:248
	v_mov_b32_e32 v1, 0
	ds_load_b128 v[118:121], v1 offset:624
	ds_load_b128 v[122:125], v1 offset:640
	ds_load_b128 v[126:129], v1 offset:656
	ds_load_b128 v[130:133], v1 offset:672
	ds_load_b128 v[134:137], v1 offset:688
	ds_load_b128 v[138:141], v1 offset:704
	ds_load_b64 v[146:147], v1 offset:720
	s_mov_b32 s0, exec_lo
	s_wait_loadcnt_dscnt 0x706
	v_mul_f32_e32 v22, v118, v3
	v_dual_mul_f32 v3, v119, v3 :: v_dual_mul_f32 v148, v120, v5
	s_wait_loadcnt_dscnt 0x302
	v_dual_mul_f32 v149, v122, v7 :: v_dual_mul_f32 v156, v136, v21
	v_mul_f32_e32 v5, v121, v5
	s_wait_loadcnt_dscnt 0x100
	v_dual_mul_f32 v159, v146, v143 :: v_dual_fmac_f32 v22, v119, v2
	v_fma_f32 v3, v118, v2, -v3
	v_dual_mul_f32 v150, v124, v9 :: v_dual_mul_f32 v151, v126, v11
	v_mul_f32_e32 v2, v123, v7
	s_delay_alu instid0(VALU_DEP_3) | instskip(SKIP_1) | instid1(VALU_DEP_4)
	v_dual_fmac_f32 v148, v121, v4 :: v_dual_add_f32 v3, 0, v3
	v_fma_f32 v4, v120, v4, -v5
	v_dual_add_f32 v5, 0, v22 :: v_dual_fmac_f32 v150, v125, v8
	v_fmac_f32_e32 v149, v123, v6
	v_fma_f32 v2, v122, v6, -v2
	s_delay_alu instid0(VALU_DEP_4) | instskip(SKIP_3) | instid1(VALU_DEP_4)
	v_add_f32_e32 v3, v3, v4
	v_mul_f32_e32 v7, v125, v9
	v_add_f32_e32 v4, v5, v148
	v_dual_mul_f32 v152, v128, v13 :: v_dual_mul_f32 v153, v130, v15
	v_add_f32_e32 v2, v3, v2
	s_delay_alu instid0(VALU_DEP_4)
	v_fma_f32 v6, v124, v8, -v7
	v_mul_f32_e32 v5, v127, v11
	v_add_f32_e32 v3, v4, v149
	v_dual_mul_f32 v4, v129, v13 :: v_dual_fmac_f32 v151, v127, v10
	v_fmac_f32_e32 v152, v129, v12
	v_add_f32_e32 v2, v2, v6
	v_fma_f32 v5, v126, v10, -v5
	v_mul_f32_e32 v6, v131, v15
	v_add_f32_e32 v3, v3, v150
	v_fma_f32 v4, v128, v12, -v4
	v_dual_mul_f32 v154, v132, v17 :: v_dual_mul_f32 v155, v134, v19
	s_delay_alu instid0(VALU_DEP_3) | instskip(SKIP_1) | instid1(VALU_DEP_3)
	v_dual_add_f32 v2, v2, v5 :: v_dual_add_f32 v3, v3, v151
	v_mul_f32_e32 v5, v133, v17
	v_dual_fmac_f32 v153, v131, v14 :: v_dual_fmac_f32 v154, v133, v16
	v_fma_f32 v6, v130, v14, -v6
	s_delay_alu instid0(VALU_DEP_4) | instskip(SKIP_4) | instid1(VALU_DEP_4)
	v_add_f32_e32 v2, v2, v4
	v_add_f32_e32 v3, v3, v152
	v_mul_f32_e32 v4, v135, v19
	v_fma_f32 v5, v132, v16, -v5
	v_fmac_f32_e32 v155, v135, v18
	v_dual_add_f32 v2, v2, v6 :: v_dual_add_f32 v3, v3, v153
	v_fmac_f32_e32 v156, v137, v20
	v_mul_f32_e32 v6, v137, v21
	v_fma_f32 v4, v134, v18, -v4
	s_delay_alu instid0(VALU_DEP_4) | instskip(SKIP_1) | instid1(VALU_DEP_2)
	v_dual_add_f32 v2, v2, v5 :: v_dual_add_f32 v3, v3, v154
	v_dual_mul_f32 v157, v138, v115 :: v_dual_mul_f32 v158, v140, v117
	v_dual_mul_f32 v5, v139, v115 :: v_dual_add_f32 v2, v2, v4
	v_fma_f32 v6, v136, v20, -v6
	s_delay_alu instid0(VALU_DEP_4) | instskip(NEXT) | instid1(VALU_DEP_4)
	v_dual_add_f32 v3, v3, v155 :: v_dual_mul_f32 v4, v141, v117
	v_dual_fmac_f32 v157, v139, v114 :: v_dual_fmac_f32 v158, v141, v116
	s_delay_alu instid0(VALU_DEP_4) | instskip(NEXT) | instid1(VALU_DEP_3)
	v_fma_f32 v5, v138, v114, -v5
	v_dual_add_f32 v2, v2, v6 :: v_dual_add_f32 v3, v3, v156
	v_mul_f32_e32 v6, v147, v143
	v_fma_f32 v4, v140, v116, -v4
	s_delay_alu instid0(VALU_DEP_3) | instskip(NEXT) | instid1(VALU_DEP_4)
	v_dual_fmac_f32 v159, v147, v142 :: v_dual_add_f32 v2, v2, v5
	v_add_f32_e32 v3, v3, v157
	s_delay_alu instid0(VALU_DEP_4) | instskip(NEXT) | instid1(VALU_DEP_2)
	v_fma_f32 v5, v146, v142, -v6
	v_dual_add_f32 v2, v2, v4 :: v_dual_add_f32 v3, v3, v158
	s_delay_alu instid0(VALU_DEP_1) | instskip(SKIP_1) | instid1(VALU_DEP_1)
	v_dual_add_f32 v2, v2, v5 :: v_dual_add_f32 v3, v3, v159
	s_wait_loadcnt 0x0
	v_dual_sub_f32 v2, v144, v2 :: v_dual_sub_f32 v3, v145, v3
	scratch_store_b64 off, v[2:3], off offset:248
	v_cmpx_lt_u32_e32 30, v0
	s_cbranch_execz .LBB44_223
; %bb.222:
	scratch_load_b64 v[3:4], off, off offset:240
	v_mov_b32_e32 v2, v1
	scratch_store_b64 off, v[1:2], off offset:240
	s_wait_loadcnt 0x0
	ds_store_b64 v23, v[3:4]
.LBB44_223:
	s_wait_alu 0xfffe
	s_or_b32 exec_lo, exec_lo, s0
	s_wait_storecnt_dscnt 0x0
	s_barrier_signal -1
	s_barrier_wait -1
	global_inv scope:SCOPE_SE
	s_clause 0x7
	scratch_load_b128 v[2:5], off, off offset:248
	scratch_load_b128 v[6:9], off, off offset:264
	;; [unrolled: 1-line block ×7, first 2 shown]
	scratch_load_b64 v[150:151], off, off offset:240
	ds_load_2addr_b64 v[122:125], v1 offset0:77 offset1:78
	ds_load_2addr_b64 v[126:129], v1 offset0:79 offset1:80
	;; [unrolled: 1-line block ×7, first 2 shown]
	s_mov_b32 s0, exec_lo
	s_wait_loadcnt_dscnt 0x706
	v_dual_mul_f32 v1, v122, v3 :: v_dual_mul_f32 v22, v124, v5
	v_mul_f32_e32 v3, v123, v3
	s_wait_loadcnt_dscnt 0x605
	v_dual_mul_f32 v5, v125, v5 :: v_dual_mul_f32 v152, v126, v7
	s_delay_alu instid0(VALU_DEP_3) | instskip(NEXT) | instid1(VALU_DEP_3)
	v_dual_mul_f32 v153, v128, v9 :: v_dual_fmac_f32 v22, v125, v4
	v_fma_f32 v3, v122, v2, -v3
	v_fmac_f32_e32 v1, v123, v2
	v_mul_f32_e32 v2, v127, v7
	v_fma_f32 v4, v124, v4, -v5
	s_delay_alu instid0(VALU_DEP_4)
	v_dual_fmac_f32 v152, v127, v6 :: v_dual_add_f32 v3, 0, v3
	s_wait_loadcnt_dscnt 0x302
	v_dual_mul_f32 v158, v138, v19 :: v_dual_mul_f32 v159, v140, v21
	v_fma_f32 v2, v126, v6, -v2
	v_dual_mul_f32 v154, v130, v11 :: v_dual_mul_f32 v155, v132, v13
	v_add_f32_e32 v3, v3, v4
	v_dual_mul_f32 v5, v129, v9 :: v_dual_mul_f32 v156, v134, v15
	v_dual_mul_f32 v157, v136, v17 :: v_dual_mul_f32 v4, v131, v11
	s_delay_alu instid0(VALU_DEP_3) | instskip(NEXT) | instid1(VALU_DEP_3)
	v_add_f32_e32 v2, v3, v2
	v_fma_f32 v5, v128, v8, -v5
	v_dual_mul_f32 v3, v133, v13 :: v_dual_fmac_f32 v158, v139, v18
	s_delay_alu instid0(VALU_DEP_4) | instskip(SKIP_1) | instid1(VALU_DEP_4)
	v_fma_f32 v4, v130, v10, -v4
	v_dual_fmac_f32 v153, v129, v8 :: v_dual_fmac_f32 v154, v131, v10
	v_add_f32_e32 v2, v2, v5
	v_add_f32_e32 v1, 0, v1
	v_fma_f32 v3, v132, v12, -v3
	v_fmac_f32_e32 v156, v135, v14
	s_wait_loadcnt_dscnt 0x201
	v_dual_mul_f32 v160, v142, v115 :: v_dual_mul_f32 v161, v144, v117
	v_dual_add_f32 v1, v1, v22 :: v_dual_add_f32 v2, v2, v4
	v_mul_f32_e32 v4, v137, v17
	s_wait_loadcnt_dscnt 0x100
	v_dual_mul_f32 v162, v146, v119 :: v_dual_mul_f32 v163, v148, v121
	s_delay_alu instid0(VALU_DEP_3) | instskip(NEXT) | instid1(VALU_DEP_3)
	v_dual_add_f32 v1, v1, v152 :: v_dual_add_f32 v2, v2, v3
	v_fma_f32 v4, v136, v16, -v4
	v_mul_f32_e32 v5, v135, v15
	v_fmac_f32_e32 v161, v145, v116
	s_delay_alu instid0(VALU_DEP_4) | instskip(SKIP_1) | instid1(VALU_DEP_4)
	v_add_f32_e32 v1, v1, v153
	v_dual_fmac_f32 v163, v149, v120 :: v_dual_fmac_f32 v160, v143, v114
	v_fma_f32 v5, v134, v14, -v5
	v_fmac_f32_e32 v155, v133, v12
	s_delay_alu instid0(VALU_DEP_4) | instskip(SKIP_1) | instid1(VALU_DEP_4)
	v_add_f32_e32 v1, v1, v154
	v_fmac_f32_e32 v162, v147, v118
	v_add_f32_e32 v2, v2, v5
	s_delay_alu instid0(VALU_DEP_1) | instskip(SKIP_2) | instid1(VALU_DEP_2)
	v_add_f32_e32 v2, v2, v4
	v_mul_f32_e32 v4, v143, v115
	v_add_f32_e32 v1, v1, v155
	v_fma_f32 v4, v142, v114, -v4
	v_mul_f32_e32 v5, v141, v21
	s_delay_alu instid0(VALU_DEP_3) | instskip(NEXT) | instid1(VALU_DEP_2)
	v_add_f32_e32 v1, v1, v156
	v_fma_f32 v5, v140, v20, -v5
	v_mul_f32_e32 v3, v139, v19
	s_delay_alu instid0(VALU_DEP_1) | instskip(NEXT) | instid1(VALU_DEP_1)
	v_fma_f32 v3, v138, v18, -v3
	v_dual_fmac_f32 v157, v137, v16 :: v_dual_add_f32 v2, v2, v3
	v_mul_f32_e32 v3, v145, v117
	s_delay_alu instid0(VALU_DEP_2) | instskip(NEXT) | instid1(VALU_DEP_2)
	v_dual_add_f32 v2, v2, v5 :: v_dual_mul_f32 v5, v147, v119
	v_fma_f32 v3, v144, v116, -v3
	s_delay_alu instid0(VALU_DEP_2) | instskip(SKIP_1) | instid1(VALU_DEP_4)
	v_dual_add_f32 v2, v2, v4 :: v_dual_add_f32 v1, v1, v157
	v_mul_f32_e32 v4, v149, v121
	v_fma_f32 v5, v146, v118, -v5
	s_delay_alu instid0(VALU_DEP_3) | instskip(NEXT) | instid1(VALU_DEP_3)
	v_dual_add_f32 v2, v2, v3 :: v_dual_fmac_f32 v159, v141, v20
	v_fma_f32 v3, v148, v120, -v4
	s_delay_alu instid0(VALU_DEP_2) | instskip(NEXT) | instid1(VALU_DEP_1)
	v_dual_add_f32 v2, v2, v5 :: v_dual_add_f32 v1, v1, v158
	v_add_f32_e32 v2, v2, v3
	s_delay_alu instid0(VALU_DEP_2) | instskip(NEXT) | instid1(VALU_DEP_1)
	v_add_f32_e32 v1, v1, v159
	v_add_f32_e32 v1, v1, v160
	s_delay_alu instid0(VALU_DEP_1) | instskip(NEXT) | instid1(VALU_DEP_1)
	v_add_f32_e32 v1, v1, v161
	v_add_f32_e32 v1, v1, v162
	s_delay_alu instid0(VALU_DEP_1) | instskip(SKIP_1) | instid1(VALU_DEP_1)
	v_add_f32_e32 v3, v1, v163
	s_wait_loadcnt 0x0
	v_dual_sub_f32 v1, v150, v2 :: v_dual_sub_f32 v2, v151, v3
	scratch_store_b64 off, v[1:2], off offset:240
	v_cmpx_lt_u32_e32 29, v0
	s_cbranch_execz .LBB44_225
; %bb.224:
	scratch_load_b64 v[1:2], off, off offset:232
	v_mov_b32_e32 v3, 0
	s_delay_alu instid0(VALU_DEP_1)
	v_mov_b32_e32 v4, v3
	scratch_store_b64 off, v[3:4], off offset:232
	s_wait_loadcnt 0x0
	ds_store_b64 v23, v[1:2]
.LBB44_225:
	s_wait_alu 0xfffe
	s_or_b32 exec_lo, exec_lo, s0
	s_wait_storecnt_dscnt 0x0
	s_barrier_signal -1
	s_barrier_wait -1
	global_inv scope:SCOPE_SE
	s_clause 0x8
	scratch_load_b128 v[2:5], off, off offset:240
	scratch_load_b128 v[6:9], off, off offset:256
	;; [unrolled: 1-line block ×7, first 2 shown]
	scratch_load_b64 v[150:151], off, off offset:352
	scratch_load_b64 v[152:153], off, off offset:232
	v_mov_b32_e32 v1, 0
	ds_load_b128 v[122:125], v1 offset:608
	ds_load_b128 v[126:129], v1 offset:624
	;; [unrolled: 1-line block ×7, first 2 shown]
	ds_load_b64 v[154:155], v1 offset:720
	s_mov_b32 s0, exec_lo
	s_wait_loadcnt_dscnt 0x807
	v_mul_f32_e32 v22, v122, v3
	v_dual_mul_f32 v3, v123, v3 :: v_dual_mul_f32 v156, v124, v5
	s_wait_loadcnt_dscnt 0x706
	v_mul_f32_e32 v157, v126, v7
	v_mul_f32_e32 v5, v125, v5
	s_wait_loadcnt_dscnt 0x302
	v_mul_f32_e32 v166, v144, v117
	v_fma_f32 v3, v122, v2, -v3
	s_wait_loadcnt_dscnt 0x100
	v_dual_mul_f32 v169, v154, v151 :: v_dual_fmac_f32 v22, v123, v2
	v_mul_f32_e32 v2, v127, v7
	s_delay_alu instid0(VALU_DEP_3) | instskip(SKIP_4) | instid1(VALU_DEP_4)
	v_dual_fmac_f32 v156, v125, v4 :: v_dual_add_f32 v3, 0, v3
	v_fma_f32 v4, v124, v4, -v5
	v_dual_mul_f32 v158, v128, v9 :: v_dual_mul_f32 v159, v130, v11
	v_add_f32_e32 v5, 0, v22
	v_fma_f32 v2, v126, v6, -v2
	v_add_f32_e32 v3, v3, v4
	v_mul_f32_e32 v7, v129, v9
	v_dual_fmac_f32 v158, v129, v8 :: v_dual_fmac_f32 v157, v127, v6
	v_add_f32_e32 v4, v5, v156
	s_delay_alu instid0(VALU_DEP_4) | instskip(NEXT) | instid1(VALU_DEP_4)
	v_add_f32_e32 v2, v3, v2
	v_fma_f32 v6, v128, v8, -v7
	v_dual_mul_f32 v5, v131, v11 :: v_dual_mul_f32 v160, v132, v13
	v_mul_f32_e32 v161, v134, v15
	v_add_f32_e32 v3, v4, v157
	v_mul_f32_e32 v4, v133, v13
	v_add_f32_e32 v2, v2, v6
	v_fma_f32 v5, v130, v10, -v5
	v_dual_fmac_f32 v159, v131, v10 :: v_dual_fmac_f32 v160, v133, v12
	v_mul_f32_e32 v6, v135, v15
	s_delay_alu instid0(VALU_DEP_3) | instskip(SKIP_2) | instid1(VALU_DEP_4)
	v_dual_add_f32 v3, v3, v158 :: v_dual_add_f32 v2, v2, v5
	v_fma_f32 v4, v132, v12, -v4
	v_mul_f32_e32 v5, v137, v17
	v_fma_f32 v6, v134, v14, -v6
	s_delay_alu instid0(VALU_DEP_4) | instskip(SKIP_3) | instid1(VALU_DEP_4)
	v_dual_add_f32 v3, v3, v159 :: v_dual_mul_f32 v162, v136, v17
	v_mul_f32_e32 v163, v138, v19
	v_add_f32_e32 v2, v2, v4
	v_dual_mul_f32 v164, v140, v21 :: v_dual_mul_f32 v165, v142, v115
	v_dual_fmac_f32 v161, v135, v14 :: v_dual_fmac_f32 v162, v137, v16
	s_delay_alu instid0(VALU_DEP_3) | instskip(SKIP_3) | instid1(VALU_DEP_4)
	v_dual_add_f32 v3, v3, v160 :: v_dual_add_f32 v2, v2, v6
	v_mul_f32_e32 v4, v139, v19
	v_fma_f32 v5, v136, v16, -v5
	v_dual_mul_f32 v6, v141, v21 :: v_dual_fmac_f32 v163, v139, v18
	v_dual_add_f32 v3, v3, v161 :: v_dual_fmac_f32 v164, v141, v20
	s_delay_alu instid0(VALU_DEP_4) | instskip(NEXT) | instid1(VALU_DEP_4)
	v_fma_f32 v4, v138, v18, -v4
	v_add_f32_e32 v2, v2, v5
	s_delay_alu instid0(VALU_DEP_4) | instskip(NEXT) | instid1(VALU_DEP_4)
	v_fma_f32 v6, v140, v20, -v6
	v_add_f32_e32 v3, v3, v162
	v_mul_f32_e32 v5, v143, v115
	v_dual_mul_f32 v167, v146, v119 :: v_dual_mul_f32 v168, v148, v121
	s_delay_alu instid0(VALU_DEP_3) | instskip(SKIP_1) | instid1(VALU_DEP_4)
	v_dual_add_f32 v2, v2, v4 :: v_dual_add_f32 v3, v3, v163
	v_mul_f32_e32 v4, v145, v117
	v_fma_f32 v5, v142, v114, -v5
	v_dual_fmac_f32 v165, v143, v114 :: v_dual_fmac_f32 v166, v145, v116
	s_delay_alu instid0(VALU_DEP_4) | instskip(SKIP_2) | instid1(VALU_DEP_3)
	v_dual_add_f32 v2, v2, v6 :: v_dual_add_f32 v3, v3, v164
	v_mul_f32_e32 v6, v147, v119
	v_fma_f32 v4, v144, v116, -v4
	v_dual_fmac_f32 v167, v147, v118 :: v_dual_add_f32 v2, v2, v5
	s_delay_alu instid0(VALU_DEP_4) | instskip(SKIP_3) | instid1(VALU_DEP_4)
	v_add_f32_e32 v3, v3, v165
	v_mul_f32_e32 v5, v149, v121
	v_fma_f32 v6, v146, v118, -v6
	v_fmac_f32_e32 v168, v149, v120
	v_dual_add_f32 v2, v2, v4 :: v_dual_add_f32 v3, v3, v166
	v_mul_f32_e32 v4, v155, v151
	v_fma_f32 v5, v148, v120, -v5
	s_delay_alu instid0(VALU_DEP_3) | instskip(SKIP_1) | instid1(VALU_DEP_4)
	v_dual_add_f32 v2, v2, v6 :: v_dual_add_f32 v3, v3, v167
	v_fmac_f32_e32 v169, v155, v150
	v_fma_f32 v4, v154, v150, -v4
	s_delay_alu instid0(VALU_DEP_3) | instskip(NEXT) | instid1(VALU_DEP_1)
	v_add_f32_e32 v2, v2, v5
	v_add_f32_e32 v2, v2, v4
	s_wait_loadcnt 0x0
	s_delay_alu instid0(VALU_DEP_1) | instskip(NEXT) | instid1(VALU_DEP_1)
	v_dual_add_f32 v3, v3, v168 :: v_dual_sub_f32 v2, v152, v2
	v_add_f32_e32 v3, v3, v169
	s_delay_alu instid0(VALU_DEP_1)
	v_sub_f32_e32 v3, v153, v3
	scratch_store_b64 off, v[2:3], off offset:232
	v_cmpx_lt_u32_e32 28, v0
	s_cbranch_execz .LBB44_227
; %bb.226:
	scratch_load_b64 v[3:4], off, off offset:224
	v_mov_b32_e32 v2, v1
	scratch_store_b64 off, v[1:2], off offset:224
	s_wait_loadcnt 0x0
	ds_store_b64 v23, v[3:4]
.LBB44_227:
	s_wait_alu 0xfffe
	s_or_b32 exec_lo, exec_lo, s0
	s_wait_storecnt_dscnt 0x0
	s_barrier_signal -1
	s_barrier_wait -1
	global_inv scope:SCOPE_SE
	s_clause 0x8
	scratch_load_b128 v[2:5], off, off offset:232
	scratch_load_b128 v[6:9], off, off offset:248
	;; [unrolled: 1-line block ×8, first 2 shown]
	scratch_load_b64 v[158:159], off, off offset:224
	ds_load_2addr_b64 v[126:129], v1 offset0:75 offset1:76
	ds_load_2addr_b64 v[130:133], v1 offset0:77 offset1:78
	;; [unrolled: 1-line block ×8, first 2 shown]
	s_mov_b32 s0, exec_lo
	s_wait_loadcnt_dscnt 0x807
	v_dual_mul_f32 v1, v126, v3 :: v_dual_mul_f32 v22, v128, v5
	v_mul_f32_e32 v3, v127, v3
	s_wait_loadcnt_dscnt 0x706
	v_dual_mul_f32 v5, v129, v5 :: v_dual_mul_f32 v160, v130, v7
	s_delay_alu instid0(VALU_DEP_3) | instskip(NEXT) | instid1(VALU_DEP_3)
	v_dual_mul_f32 v161, v132, v9 :: v_dual_fmac_f32 v22, v129, v4
	v_fma_f32 v3, v126, v2, -v3
	v_fmac_f32_e32 v1, v127, v2
	v_mul_f32_e32 v2, v131, v7
	v_fma_f32 v4, v128, v4, -v5
	s_delay_alu instid0(VALU_DEP_4)
	v_dual_fmac_f32 v160, v131, v6 :: v_dual_add_f32 v3, 0, v3
	s_wait_loadcnt_dscnt 0x403
	v_dual_mul_f32 v166, v142, v19 :: v_dual_mul_f32 v167, v144, v21
	v_fma_f32 v2, v130, v6, -v2
	v_dual_mul_f32 v162, v134, v11 :: v_dual_mul_f32 v163, v136, v13
	v_add_f32_e32 v3, v3, v4
	v_dual_mul_f32 v5, v133, v9 :: v_dual_mul_f32 v164, v138, v15
	v_dual_mul_f32 v165, v140, v17 :: v_dual_mul_f32 v4, v135, v11
	s_delay_alu instid0(VALU_DEP_3) | instskip(NEXT) | instid1(VALU_DEP_3)
	v_add_f32_e32 v2, v3, v2
	v_fma_f32 v5, v132, v8, -v5
	v_dual_mul_f32 v3, v137, v13 :: v_dual_fmac_f32 v166, v143, v18
	s_delay_alu instid0(VALU_DEP_4) | instskip(SKIP_1) | instid1(VALU_DEP_4)
	v_fma_f32 v4, v134, v10, -v4
	v_dual_fmac_f32 v161, v133, v8 :: v_dual_fmac_f32 v162, v135, v10
	v_add_f32_e32 v2, v2, v5
	v_add_f32_e32 v1, 0, v1
	v_fma_f32 v3, v136, v12, -v3
	v_fmac_f32_e32 v164, v139, v14
	s_wait_loadcnt_dscnt 0x302
	v_dual_mul_f32 v168, v146, v115 :: v_dual_mul_f32 v169, v148, v117
	v_dual_add_f32 v1, v1, v22 :: v_dual_add_f32 v2, v2, v4
	v_mul_f32_e32 v4, v141, v17
	s_wait_loadcnt_dscnt 0x100
	v_dual_mul_f32 v172, v154, v123 :: v_dual_mul_f32 v173, v156, v125
	s_delay_alu instid0(VALU_DEP_3) | instskip(NEXT) | instid1(VALU_DEP_3)
	v_dual_add_f32 v1, v1, v160 :: v_dual_add_f32 v2, v2, v3
	v_fma_f32 v4, v140, v16, -v4
	v_mul_f32_e32 v5, v139, v15
	v_dual_mul_f32 v170, v150, v119 :: v_dual_mul_f32 v171, v152, v121
	s_delay_alu instid0(VALU_DEP_4) | instskip(SKIP_1) | instid1(VALU_DEP_4)
	v_add_f32_e32 v1, v1, v161
	v_fmac_f32_e32 v173, v157, v124
	v_fma_f32 v5, v138, v14, -v5
	v_dual_fmac_f32 v163, v137, v12 :: v_dual_fmac_f32 v168, v147, v114
	s_delay_alu instid0(VALU_DEP_4) | instskip(NEXT) | instid1(VALU_DEP_3)
	v_add_f32_e32 v1, v1, v162
	v_dual_fmac_f32 v171, v153, v120 :: v_dual_add_f32 v2, v2, v5
	v_fmac_f32_e32 v170, v151, v118
	v_fmac_f32_e32 v172, v155, v122
	s_delay_alu instid0(VALU_DEP_3) | instskip(SKIP_2) | instid1(VALU_DEP_2)
	v_add_f32_e32 v2, v2, v4
	v_mul_f32_e32 v4, v147, v115
	v_add_f32_e32 v1, v1, v163
	v_fma_f32 v4, v146, v114, -v4
	v_mul_f32_e32 v5, v145, v21
	s_delay_alu instid0(VALU_DEP_3) | instskip(NEXT) | instid1(VALU_DEP_2)
	v_add_f32_e32 v1, v1, v164
	v_fma_f32 v5, v144, v20, -v5
	v_mul_f32_e32 v3, v143, v19
	s_delay_alu instid0(VALU_DEP_1) | instskip(NEXT) | instid1(VALU_DEP_1)
	v_fma_f32 v3, v142, v18, -v3
	v_dual_fmac_f32 v165, v141, v16 :: v_dual_add_f32 v2, v2, v3
	v_mul_f32_e32 v3, v149, v117
	s_delay_alu instid0(VALU_DEP_2) | instskip(NEXT) | instid1(VALU_DEP_2)
	v_dual_add_f32 v2, v2, v5 :: v_dual_mul_f32 v5, v151, v119
	v_fma_f32 v3, v148, v116, -v3
	s_delay_alu instid0(VALU_DEP_2) | instskip(SKIP_1) | instid1(VALU_DEP_4)
	v_dual_add_f32 v2, v2, v4 :: v_dual_add_f32 v1, v1, v165
	v_mul_f32_e32 v4, v153, v121
	v_fma_f32 v5, v150, v118, -v5
	s_delay_alu instid0(VALU_DEP_3) | instskip(SKIP_1) | instid1(VALU_DEP_4)
	v_dual_add_f32 v2, v2, v3 :: v_dual_fmac_f32 v167, v145, v20
	v_mul_f32_e32 v3, v155, v123
	v_fma_f32 v4, v152, v120, -v4
	s_delay_alu instid0(VALU_DEP_3) | instskip(SKIP_1) | instid1(VALU_DEP_4)
	v_dual_add_f32 v2, v2, v5 :: v_dual_add_f32 v1, v1, v166
	v_mul_f32_e32 v5, v157, v125
	v_fma_f32 v3, v154, v122, -v3
	s_delay_alu instid0(VALU_DEP_3) | instskip(SKIP_1) | instid1(VALU_DEP_4)
	v_add_f32_e32 v2, v2, v4
	v_fmac_f32_e32 v169, v149, v116
	v_fma_f32 v4, v156, v124, -v5
	s_delay_alu instid0(VALU_DEP_3) | instskip(NEXT) | instid1(VALU_DEP_1)
	v_add_f32_e32 v2, v2, v3
	v_dual_add_f32 v1, v1, v167 :: v_dual_add_f32 v2, v2, v4
	s_delay_alu instid0(VALU_DEP_1) | instskip(NEXT) | instid1(VALU_DEP_1)
	v_add_f32_e32 v1, v1, v168
	v_add_f32_e32 v1, v1, v169
	s_delay_alu instid0(VALU_DEP_1) | instskip(NEXT) | instid1(VALU_DEP_1)
	v_add_f32_e32 v1, v1, v170
	v_add_f32_e32 v1, v1, v171
	;; [unrolled: 3-line block ×3, first 2 shown]
	s_wait_loadcnt 0x0
	s_delay_alu instid0(VALU_DEP_1)
	v_dual_sub_f32 v1, v158, v2 :: v_dual_sub_f32 v2, v159, v3
	scratch_store_b64 off, v[1:2], off offset:224
	v_cmpx_lt_u32_e32 27, v0
	s_cbranch_execz .LBB44_229
; %bb.228:
	scratch_load_b64 v[1:2], off, off offset:216
	v_mov_b32_e32 v3, 0
	s_delay_alu instid0(VALU_DEP_1)
	v_mov_b32_e32 v4, v3
	scratch_store_b64 off, v[3:4], off offset:216
	s_wait_loadcnt 0x0
	ds_store_b64 v23, v[1:2]
.LBB44_229:
	s_wait_alu 0xfffe
	s_or_b32 exec_lo, exec_lo, s0
	s_wait_storecnt_dscnt 0x0
	s_barrier_signal -1
	s_barrier_wait -1
	global_inv scope:SCOPE_SE
	s_clause 0x9
	scratch_load_b128 v[2:5], off, off offset:224
	scratch_load_b128 v[6:9], off, off offset:240
	;; [unrolled: 1-line block ×8, first 2 shown]
	scratch_load_b64 v[158:159], off, off offset:352
	scratch_load_b64 v[160:161], off, off offset:216
	v_mov_b32_e32 v1, 0
	ds_load_b128 v[126:129], v1 offset:592
	ds_load_b128 v[130:133], v1 offset:608
	;; [unrolled: 1-line block ×8, first 2 shown]
	ds_load_b64 v[162:163], v1 offset:720
	s_mov_b32 s0, exec_lo
	s_wait_loadcnt_dscnt 0x908
	v_mul_f32_e32 v22, v126, v3
	s_wait_loadcnt_dscnt 0x807
	v_dual_mul_f32 v164, v128, v5 :: v_dual_mul_f32 v165, v130, v7
	v_mul_f32_e32 v3, v127, v3
	s_delay_alu instid0(VALU_DEP_3)
	v_dual_mul_f32 v5, v129, v5 :: v_dual_fmac_f32 v22, v127, v2
	s_wait_loadcnt_dscnt 0x302
	v_mul_f32_e32 v176, v152, v121
	v_dual_mul_f32 v166, v132, v9 :: v_dual_mul_f32 v167, v134, v11
	s_wait_loadcnt_dscnt 0x100
	v_mul_f32_e32 v179, v162, v159
	v_fma_f32 v3, v126, v2, -v3
	v_mul_f32_e32 v2, v131, v7
	v_fmac_f32_e32 v164, v129, v4
	v_fma_f32 v4, v128, v4, -v5
	v_dual_add_f32 v5, 0, v22 :: v_dual_fmac_f32 v166, v133, v8
	v_add_f32_e32 v3, 0, v3
	v_fmac_f32_e32 v165, v131, v6
	v_fma_f32 v2, v130, v6, -v2
	v_dual_mul_f32 v168, v136, v13 :: v_dual_mul_f32 v169, v138, v15
	s_delay_alu instid0(VALU_DEP_4) | instskip(SKIP_2) | instid1(VALU_DEP_4)
	v_add_f32_e32 v3, v3, v4
	v_mul_f32_e32 v7, v133, v9
	v_dual_add_f32 v4, v5, v164 :: v_dual_fmac_f32 v167, v135, v10
	v_fmac_f32_e32 v168, v137, v12
	s_delay_alu instid0(VALU_DEP_4) | instskip(NEXT) | instid1(VALU_DEP_4)
	v_add_f32_e32 v2, v3, v2
	v_fma_f32 v6, v132, v8, -v7
	v_mul_f32_e32 v5, v135, v11
	v_add_f32_e32 v3, v4, v165
	v_mul_f32_e32 v4, v137, v13
	v_dual_mul_f32 v170, v140, v17 :: v_dual_mul_f32 v171, v142, v19
	v_add_f32_e32 v2, v2, v6
	v_fma_f32 v5, v134, v10, -v5
	v_mul_f32_e32 v6, v139, v15
	v_add_f32_e32 v3, v3, v166
	v_fma_f32 v4, v136, v12, -v4
	v_dual_fmac_f32 v169, v139, v14 :: v_dual_fmac_f32 v170, v141, v16
	s_delay_alu instid0(VALU_DEP_3) | instskip(SKIP_3) | instid1(VALU_DEP_4)
	v_dual_add_f32 v2, v2, v5 :: v_dual_add_f32 v3, v3, v167
	v_mul_f32_e32 v5, v141, v17
	v_fma_f32 v6, v138, v14, -v6
	v_dual_mul_f32 v172, v144, v21 :: v_dual_mul_f32 v173, v146, v115
	v_add_f32_e32 v2, v2, v4
	v_add_f32_e32 v3, v3, v168
	v_mul_f32_e32 v4, v143, v19
	v_fma_f32 v5, v140, v16, -v5
	v_fmac_f32_e32 v171, v143, v18
	s_delay_alu instid0(VALU_DEP_4) | instskip(SKIP_3) | instid1(VALU_DEP_4)
	v_dual_add_f32 v2, v2, v6 :: v_dual_add_f32 v3, v3, v169
	v_fmac_f32_e32 v172, v145, v20
	v_mul_f32_e32 v6, v145, v21
	v_fma_f32 v4, v142, v18, -v4
	v_dual_add_f32 v2, v2, v5 :: v_dual_add_f32 v3, v3, v170
	v_mul_f32_e32 v5, v147, v115
	s_delay_alu instid0(VALU_DEP_4) | instskip(SKIP_1) | instid1(VALU_DEP_4)
	v_fma_f32 v6, v144, v20, -v6
	v_dual_mul_f32 v174, v148, v117 :: v_dual_mul_f32 v175, v150, v119
	v_dual_add_f32 v2, v2, v4 :: v_dual_add_f32 v3, v3, v171
	v_dual_mul_f32 v4, v149, v117 :: v_dual_fmac_f32 v173, v147, v114
	s_delay_alu instid0(VALU_DEP_3) | instskip(SKIP_1) | instid1(VALU_DEP_4)
	v_fmac_f32_e32 v174, v149, v116
	v_fma_f32 v5, v146, v114, -v5
	v_dual_add_f32 v2, v2, v6 :: v_dual_add_f32 v3, v3, v172
	v_mul_f32_e32 v6, v151, v119
	v_fma_f32 v4, v148, v116, -v4
	s_delay_alu instid0(VALU_DEP_3) | instskip(NEXT) | instid1(VALU_DEP_4)
	v_dual_fmac_f32 v175, v151, v118 :: v_dual_add_f32 v2, v2, v5
	v_add_f32_e32 v3, v3, v173
	v_mul_f32_e32 v5, v153, v121
	v_fma_f32 v6, v150, v118, -v6
	v_dual_mul_f32 v177, v154, v123 :: v_dual_mul_f32 v178, v156, v125
	s_delay_alu instid0(VALU_DEP_4) | instskip(SKIP_3) | instid1(VALU_DEP_4)
	v_dual_add_f32 v2, v2, v4 :: v_dual_add_f32 v3, v3, v174
	v_fmac_f32_e32 v176, v153, v120
	v_mul_f32_e32 v4, v155, v123
	v_fma_f32 v5, v152, v120, -v5
	v_dual_add_f32 v2, v2, v6 :: v_dual_add_f32 v3, v3, v175
	v_dual_mul_f32 v6, v157, v125 :: v_dual_fmac_f32 v177, v155, v122
	s_delay_alu instid0(VALU_DEP_4) | instskip(NEXT) | instid1(VALU_DEP_3)
	v_fma_f32 v4, v154, v122, -v4
	v_dual_add_f32 v2, v2, v5 :: v_dual_add_f32 v3, v3, v176
	v_dual_mul_f32 v5, v163, v159 :: v_dual_fmac_f32 v178, v157, v124
	s_delay_alu instid0(VALU_DEP_4) | instskip(NEXT) | instid1(VALU_DEP_3)
	v_fma_f32 v6, v156, v124, -v6
	v_dual_add_f32 v2, v2, v4 :: v_dual_add_f32 v3, v3, v177
	s_delay_alu instid0(VALU_DEP_3) | instskip(NEXT) | instid1(VALU_DEP_2)
	v_fma_f32 v4, v162, v158, -v5
	v_add_f32_e32 v3, v3, v178
	s_delay_alu instid0(VALU_DEP_3) | instskip(NEXT) | instid1(VALU_DEP_1)
	v_add_f32_e32 v2, v2, v6
	v_dual_fmac_f32 v179, v163, v158 :: v_dual_add_f32 v2, v2, v4
	s_wait_loadcnt 0x0
	s_delay_alu instid0(VALU_DEP_1) | instskip(NEXT) | instid1(VALU_DEP_1)
	v_dual_add_f32 v3, v3, v179 :: v_dual_sub_f32 v2, v160, v2
	v_sub_f32_e32 v3, v161, v3
	scratch_store_b64 off, v[2:3], off offset:216
	v_cmpx_lt_u32_e32 26, v0
	s_cbranch_execz .LBB44_231
; %bb.230:
	scratch_load_b64 v[3:4], off, off offset:208
	v_mov_b32_e32 v2, v1
	scratch_store_b64 off, v[1:2], off offset:208
	s_wait_loadcnt 0x0
	ds_store_b64 v23, v[3:4]
.LBB44_231:
	s_wait_alu 0xfffe
	s_or_b32 exec_lo, exec_lo, s0
	s_wait_storecnt_dscnt 0x0
	s_barrier_signal -1
	s_barrier_wait -1
	global_inv scope:SCOPE_SE
	s_clause 0x9
	scratch_load_b128 v[2:5], off, off offset:216
	scratch_load_b128 v[6:9], off, off offset:232
	;; [unrolled: 1-line block ×9, first 2 shown]
	scratch_load_b64 v[166:167], off, off offset:208
	ds_load_2addr_b64 v[130:133], v1 offset0:73 offset1:74
	ds_load_2addr_b64 v[134:137], v1 offset0:75 offset1:76
	;; [unrolled: 1-line block ×9, first 2 shown]
	s_mov_b32 s0, exec_lo
	s_wait_loadcnt_dscnt 0x908
	v_dual_mul_f32 v1, v130, v3 :: v_dual_mul_f32 v22, v132, v5
	v_mul_f32_e32 v3, v131, v3
	s_wait_loadcnt_dscnt 0x807
	v_dual_mul_f32 v5, v133, v5 :: v_dual_mul_f32 v168, v134, v7
	s_delay_alu instid0(VALU_DEP_3) | instskip(NEXT) | instid1(VALU_DEP_3)
	v_dual_mul_f32 v169, v136, v9 :: v_dual_fmac_f32 v22, v133, v4
	v_fma_f32 v3, v130, v2, -v3
	v_fmac_f32_e32 v1, v131, v2
	v_mul_f32_e32 v2, v135, v7
	v_fma_f32 v4, v132, v4, -v5
	s_delay_alu instid0(VALU_DEP_4)
	v_dual_fmac_f32 v168, v135, v6 :: v_dual_add_f32 v3, 0, v3
	s_wait_loadcnt_dscnt 0x504
	v_dual_mul_f32 v174, v146, v19 :: v_dual_mul_f32 v175, v148, v21
	v_fma_f32 v2, v134, v6, -v2
	v_dual_mul_f32 v170, v138, v11 :: v_dual_mul_f32 v171, v140, v13
	v_add_f32_e32 v3, v3, v4
	v_dual_mul_f32 v5, v137, v9 :: v_dual_mul_f32 v172, v142, v15
	v_dual_mul_f32 v173, v144, v17 :: v_dual_mul_f32 v4, v139, v11
	s_delay_alu instid0(VALU_DEP_3) | instskip(NEXT) | instid1(VALU_DEP_3)
	v_add_f32_e32 v2, v3, v2
	v_fma_f32 v5, v136, v8, -v5
	v_dual_mul_f32 v3, v141, v13 :: v_dual_fmac_f32 v174, v147, v18
	s_delay_alu instid0(VALU_DEP_4) | instskip(SKIP_1) | instid1(VALU_DEP_4)
	v_fma_f32 v4, v138, v10, -v4
	v_dual_fmac_f32 v169, v137, v8 :: v_dual_fmac_f32 v170, v139, v10
	v_add_f32_e32 v2, v2, v5
	v_add_f32_e32 v1, 0, v1
	v_fma_f32 v3, v140, v12, -v3
	v_fmac_f32_e32 v172, v143, v14
	s_wait_loadcnt_dscnt 0x403
	v_dual_mul_f32 v176, v150, v115 :: v_dual_mul_f32 v177, v152, v117
	v_dual_add_f32 v1, v1, v22 :: v_dual_add_f32 v2, v2, v4
	v_mul_f32_e32 v4, v145, v17
	s_wait_loadcnt_dscnt 0x201
	v_dual_mul_f32 v180, v158, v123 :: v_dual_mul_f32 v181, v160, v125
	s_delay_alu instid0(VALU_DEP_3) | instskip(NEXT) | instid1(VALU_DEP_3)
	v_dual_add_f32 v1, v1, v168 :: v_dual_add_f32 v2, v2, v3
	v_fma_f32 v4, v144, v16, -v4
	v_mul_f32_e32 v5, v143, v15
	v_dual_mul_f32 v178, v154, v119 :: v_dual_mul_f32 v179, v156, v121
	s_wait_loadcnt_dscnt 0x100
	v_dual_add_f32 v1, v1, v169 :: v_dual_mul_f32 v182, v162, v127
	v_mul_f32_e32 v183, v164, v129
	v_fma_f32 v5, v142, v14, -v5
	v_fmac_f32_e32 v171, v141, v12
	s_delay_alu instid0(VALU_DEP_4) | instskip(SKIP_1) | instid1(VALU_DEP_4)
	v_add_f32_e32 v1, v1, v170
	v_dual_fmac_f32 v176, v151, v114 :: v_dual_fmac_f32 v177, v153, v116
	v_add_f32_e32 v2, v2, v5
	v_dual_fmac_f32 v178, v155, v118 :: v_dual_fmac_f32 v181, v161, v124
	v_dual_fmac_f32 v183, v165, v128 :: v_dual_fmac_f32 v180, v159, v122
	s_delay_alu instid0(VALU_DEP_3) | instskip(SKIP_2) | instid1(VALU_DEP_2)
	v_add_f32_e32 v2, v2, v4
	v_mul_f32_e32 v4, v151, v115
	v_dual_add_f32 v1, v1, v171 :: v_dual_fmac_f32 v182, v163, v126
	v_fma_f32 v4, v150, v114, -v4
	v_mul_f32_e32 v5, v149, v21
	s_delay_alu instid0(VALU_DEP_3) | instskip(NEXT) | instid1(VALU_DEP_2)
	v_add_f32_e32 v1, v1, v172
	v_fma_f32 v5, v148, v20, -v5
	v_mul_f32_e32 v3, v147, v19
	s_delay_alu instid0(VALU_DEP_1) | instskip(NEXT) | instid1(VALU_DEP_1)
	v_fma_f32 v3, v146, v18, -v3
	v_dual_fmac_f32 v173, v145, v16 :: v_dual_add_f32 v2, v2, v3
	v_mul_f32_e32 v3, v153, v117
	s_delay_alu instid0(VALU_DEP_2) | instskip(NEXT) | instid1(VALU_DEP_2)
	v_dual_add_f32 v2, v2, v5 :: v_dual_mul_f32 v5, v155, v119
	v_fma_f32 v3, v152, v116, -v3
	s_delay_alu instid0(VALU_DEP_2) | instskip(SKIP_1) | instid1(VALU_DEP_4)
	v_dual_add_f32 v2, v2, v4 :: v_dual_add_f32 v1, v1, v173
	v_mul_f32_e32 v4, v157, v121
	v_fma_f32 v5, v154, v118, -v5
	s_delay_alu instid0(VALU_DEP_3) | instskip(NEXT) | instid1(VALU_DEP_3)
	v_dual_add_f32 v2, v2, v3 :: v_dual_fmac_f32 v175, v149, v20
	v_fma_f32 v4, v156, v120, -v4
	s_delay_alu instid0(VALU_DEP_2) | instskip(SKIP_1) | instid1(VALU_DEP_2)
	v_add_f32_e32 v2, v2, v5
	v_mul_f32_e32 v5, v161, v125
	v_dual_add_f32 v1, v1, v174 :: v_dual_add_f32 v2, v2, v4
	s_delay_alu instid0(VALU_DEP_2) | instskip(SKIP_1) | instid1(VALU_DEP_3)
	v_fma_f32 v5, v160, v124, -v5
	v_mul_f32_e32 v3, v159, v123
	v_add_f32_e32 v1, v1, v175
	v_mul_f32_e32 v4, v163, v127
	s_delay_alu instid0(VALU_DEP_3) | instskip(NEXT) | instid1(VALU_DEP_3)
	v_fma_f32 v3, v158, v122, -v3
	v_add_f32_e32 v1, v1, v176
	s_delay_alu instid0(VALU_DEP_3) | instskip(NEXT) | instid1(VALU_DEP_3)
	v_fma_f32 v4, v162, v126, -v4
	v_dual_add_f32 v2, v2, v3 :: v_dual_mul_f32 v3, v165, v129
	s_delay_alu instid0(VALU_DEP_1) | instskip(NEXT) | instid1(VALU_DEP_4)
	v_add_f32_e32 v2, v2, v5
	v_add_f32_e32 v1, v1, v177
	s_delay_alu instid0(VALU_DEP_3) | instskip(NEXT) | instid1(VALU_DEP_3)
	v_fma_f32 v3, v164, v128, -v3
	v_add_f32_e32 v2, v2, v4
	v_fmac_f32_e32 v179, v157, v120
	s_delay_alu instid0(VALU_DEP_2) | instskip(NEXT) | instid1(VALU_DEP_1)
	v_dual_add_f32 v1, v1, v178 :: v_dual_add_f32 v2, v2, v3
	v_add_f32_e32 v1, v1, v179
	s_delay_alu instid0(VALU_DEP_1) | instskip(NEXT) | instid1(VALU_DEP_1)
	v_add_f32_e32 v1, v1, v180
	v_add_f32_e32 v1, v1, v181
	s_delay_alu instid0(VALU_DEP_1) | instskip(NEXT) | instid1(VALU_DEP_1)
	v_add_f32_e32 v1, v1, v182
	v_add_f32_e32 v3, v1, v183
	s_wait_loadcnt 0x0
	s_delay_alu instid0(VALU_DEP_1)
	v_dual_sub_f32 v1, v166, v2 :: v_dual_sub_f32 v2, v167, v3
	scratch_store_b64 off, v[1:2], off offset:208
	v_cmpx_lt_u32_e32 25, v0
	s_cbranch_execz .LBB44_233
; %bb.232:
	scratch_load_b64 v[1:2], off, off offset:200
	v_mov_b32_e32 v3, 0
	s_delay_alu instid0(VALU_DEP_1)
	v_mov_b32_e32 v4, v3
	scratch_store_b64 off, v[3:4], off offset:200
	s_wait_loadcnt 0x0
	ds_store_b64 v23, v[1:2]
.LBB44_233:
	s_wait_alu 0xfffe
	s_or_b32 exec_lo, exec_lo, s0
	s_wait_storecnt_dscnt 0x0
	s_barrier_signal -1
	s_barrier_wait -1
	global_inv scope:SCOPE_SE
	s_clause 0xa
	scratch_load_b128 v[2:5], off, off offset:208
	scratch_load_b128 v[6:9], off, off offset:224
	;; [unrolled: 1-line block ×9, first 2 shown]
	scratch_load_b64 v[166:167], off, off offset:352
	scratch_load_b64 v[168:169], off, off offset:200
	v_mov_b32_e32 v1, 0
	ds_load_b128 v[130:133], v1 offset:576
	ds_load_b128 v[134:137], v1 offset:592
	ds_load_b128 v[138:141], v1 offset:608
	ds_load_b128 v[142:145], v1 offset:624
	ds_load_b128 v[146:149], v1 offset:640
	ds_load_b128 v[150:153], v1 offset:656
	ds_load_b128 v[154:157], v1 offset:672
	ds_load_b128 v[158:161], v1 offset:688
	ds_load_b128 v[162:165], v1 offset:704
	ds_load_b64 v[170:171], v1 offset:720
	s_mov_b32 s0, exec_lo
	s_wait_loadcnt_dscnt 0xa09
	v_mul_f32_e32 v22, v130, v3
	s_wait_loadcnt_dscnt 0x908
	v_dual_mul_f32 v172, v132, v5 :: v_dual_mul_f32 v173, v134, v7
	v_mul_f32_e32 v3, v131, v3
	s_delay_alu instid0(VALU_DEP_3)
	v_dual_mul_f32 v5, v133, v5 :: v_dual_fmac_f32 v22, v131, v2
	s_wait_loadcnt_dscnt 0x807
	v_dual_mul_f32 v174, v136, v9 :: v_dual_mul_f32 v175, v138, v11
	s_wait_loadcnt_dscnt 0x100
	v_dual_mul_f32 v186, v160, v125 :: v_dual_mul_f32 v189, v170, v167
	v_fma_f32 v3, v130, v2, -v3
	v_mul_f32_e32 v2, v135, v7
	v_fmac_f32_e32 v172, v133, v4
	v_fma_f32 v4, v132, v4, -v5
	v_dual_add_f32 v5, 0, v22 :: v_dual_fmac_f32 v174, v137, v8
	v_add_f32_e32 v3, 0, v3
	v_fmac_f32_e32 v173, v135, v6
	v_fma_f32 v2, v134, v6, -v2
	v_dual_mul_f32 v176, v140, v13 :: v_dual_mul_f32 v177, v142, v15
	s_delay_alu instid0(VALU_DEP_4) | instskip(SKIP_2) | instid1(VALU_DEP_4)
	v_add_f32_e32 v3, v3, v4
	v_mul_f32_e32 v7, v137, v9
	v_dual_add_f32 v4, v5, v172 :: v_dual_fmac_f32 v175, v139, v10
	v_fmac_f32_e32 v176, v141, v12
	s_delay_alu instid0(VALU_DEP_4) | instskip(NEXT) | instid1(VALU_DEP_4)
	v_add_f32_e32 v2, v3, v2
	v_fma_f32 v6, v136, v8, -v7
	v_mul_f32_e32 v5, v139, v11
	v_add_f32_e32 v3, v4, v173
	v_mul_f32_e32 v4, v141, v13
	v_dual_mul_f32 v178, v144, v17 :: v_dual_mul_f32 v179, v146, v19
	v_add_f32_e32 v2, v2, v6
	v_fma_f32 v5, v138, v10, -v5
	v_mul_f32_e32 v6, v143, v15
	v_add_f32_e32 v3, v3, v174
	v_fma_f32 v4, v140, v12, -v4
	v_dual_fmac_f32 v177, v143, v14 :: v_dual_fmac_f32 v178, v145, v16
	s_delay_alu instid0(VALU_DEP_3) | instskip(SKIP_3) | instid1(VALU_DEP_4)
	v_dual_add_f32 v2, v2, v5 :: v_dual_add_f32 v3, v3, v175
	v_mul_f32_e32 v5, v145, v17
	v_fma_f32 v6, v142, v14, -v6
	v_dual_mul_f32 v180, v148, v21 :: v_dual_mul_f32 v181, v150, v115
	v_add_f32_e32 v2, v2, v4
	v_add_f32_e32 v3, v3, v176
	v_mul_f32_e32 v4, v147, v19
	v_fma_f32 v5, v144, v16, -v5
	v_fmac_f32_e32 v179, v147, v18
	s_delay_alu instid0(VALU_DEP_4) | instskip(SKIP_3) | instid1(VALU_DEP_4)
	v_dual_add_f32 v2, v2, v6 :: v_dual_add_f32 v3, v3, v177
	v_fmac_f32_e32 v180, v149, v20
	v_mul_f32_e32 v6, v149, v21
	v_fma_f32 v4, v146, v18, -v4
	v_dual_add_f32 v2, v2, v5 :: v_dual_add_f32 v3, v3, v178
	v_mul_f32_e32 v5, v151, v115
	s_delay_alu instid0(VALU_DEP_4) | instskip(SKIP_1) | instid1(VALU_DEP_4)
	v_fma_f32 v6, v148, v20, -v6
	v_dual_mul_f32 v182, v152, v117 :: v_dual_mul_f32 v183, v154, v119
	v_dual_add_f32 v2, v2, v4 :: v_dual_add_f32 v3, v3, v179
	v_dual_mul_f32 v4, v153, v117 :: v_dual_fmac_f32 v181, v151, v114
	s_delay_alu instid0(VALU_DEP_3) | instskip(SKIP_1) | instid1(VALU_DEP_4)
	v_fmac_f32_e32 v182, v153, v116
	v_fma_f32 v5, v150, v114, -v5
	v_dual_add_f32 v2, v2, v6 :: v_dual_add_f32 v3, v3, v180
	v_mul_f32_e32 v6, v155, v119
	v_fma_f32 v4, v152, v116, -v4
	s_delay_alu instid0(VALU_DEP_3) | instskip(NEXT) | instid1(VALU_DEP_4)
	v_dual_fmac_f32 v183, v155, v118 :: v_dual_add_f32 v2, v2, v5
	v_add_f32_e32 v3, v3, v181
	v_dual_mul_f32 v184, v156, v121 :: v_dual_mul_f32 v185, v158, v123
	v_mul_f32_e32 v5, v157, v121
	v_fma_f32 v6, v154, v118, -v6
	s_delay_alu instid0(VALU_DEP_4) | instskip(NEXT) | instid1(VALU_DEP_4)
	v_dual_add_f32 v2, v2, v4 :: v_dual_add_f32 v3, v3, v182
	v_fmac_f32_e32 v184, v157, v120
	v_mul_f32_e32 v4, v159, v123
	v_fma_f32 v5, v156, v120, -v5
	s_delay_alu instid0(VALU_DEP_4) | instskip(SKIP_1) | instid1(VALU_DEP_4)
	v_dual_add_f32 v2, v2, v6 :: v_dual_add_f32 v3, v3, v183
	v_dual_mul_f32 v6, v161, v125 :: v_dual_fmac_f32 v185, v159, v122
	v_fma_f32 v4, v158, v122, -v4
	s_delay_alu instid0(VALU_DEP_3) | instskip(SKIP_3) | instid1(VALU_DEP_4)
	v_dual_add_f32 v2, v2, v5 :: v_dual_add_f32 v3, v3, v184
	v_dual_mul_f32 v187, v162, v127 :: v_dual_mul_f32 v188, v164, v129
	v_dual_mul_f32 v5, v163, v127 :: v_dual_fmac_f32 v186, v161, v124
	v_fma_f32 v6, v160, v124, -v6
	v_dual_add_f32 v2, v2, v4 :: v_dual_add_f32 v3, v3, v185
	s_delay_alu instid0(VALU_DEP_4) | instskip(NEXT) | instid1(VALU_DEP_4)
	v_dual_mul_f32 v4, v165, v129 :: v_dual_fmac_f32 v187, v163, v126
	v_fma_f32 v5, v162, v126, -v5
	s_delay_alu instid0(VALU_DEP_3) | instskip(NEXT) | instid1(VALU_DEP_4)
	v_dual_fmac_f32 v188, v165, v128 :: v_dual_add_f32 v3, v3, v186
	v_add_f32_e32 v2, v2, v6
	v_mul_f32_e32 v6, v171, v167
	v_fma_f32 v4, v164, v128, -v4
	v_fmac_f32_e32 v189, v171, v166
	s_delay_alu instid0(VALU_DEP_4) | instskip(NEXT) | instid1(VALU_DEP_4)
	v_dual_add_f32 v3, v3, v187 :: v_dual_add_f32 v2, v2, v5
	v_fma_f32 v5, v170, v166, -v6
	s_delay_alu instid0(VALU_DEP_2) | instskip(NEXT) | instid1(VALU_DEP_1)
	v_add_f32_e32 v3, v3, v188
	v_dual_add_f32 v2, v2, v4 :: v_dual_add_f32 v3, v3, v189
	s_wait_loadcnt 0x0
	s_delay_alu instid0(VALU_DEP_1) | instskip(NEXT) | instid1(VALU_DEP_1)
	v_dual_add_f32 v2, v2, v5 :: v_dual_sub_f32 v3, v169, v3
	v_sub_f32_e32 v2, v168, v2
	scratch_store_b64 off, v[2:3], off offset:200
	v_cmpx_lt_u32_e32 24, v0
	s_cbranch_execz .LBB44_235
; %bb.234:
	scratch_load_b64 v[3:4], off, off offset:192
	v_mov_b32_e32 v2, v1
	scratch_store_b64 off, v[1:2], off offset:192
	s_wait_loadcnt 0x0
	ds_store_b64 v23, v[3:4]
.LBB44_235:
	s_wait_alu 0xfffe
	s_or_b32 exec_lo, exec_lo, s0
	s_wait_storecnt_dscnt 0x0
	s_barrier_signal -1
	s_barrier_wait -1
	global_inv scope:SCOPE_SE
	s_clause 0xa
	scratch_load_b128 v[2:5], off, off offset:200
	scratch_load_b128 v[6:9], off, off offset:216
	;; [unrolled: 1-line block ×10, first 2 shown]
	scratch_load_b64 v[174:175], off, off offset:192
	ds_load_2addr_b64 v[134:137], v1 offset0:71 offset1:72
	ds_load_2addr_b64 v[138:141], v1 offset0:73 offset1:74
	;; [unrolled: 1-line block ×10, first 2 shown]
	s_mov_b32 s0, exec_lo
	s_wait_loadcnt_dscnt 0xa09
	v_dual_mul_f32 v1, v134, v3 :: v_dual_mul_f32 v22, v136, v5
	v_mul_f32_e32 v3, v135, v3
	s_wait_loadcnt_dscnt 0x908
	v_dual_mul_f32 v5, v137, v5 :: v_dual_mul_f32 v176, v138, v7
	s_delay_alu instid0(VALU_DEP_3) | instskip(NEXT) | instid1(VALU_DEP_3)
	v_dual_mul_f32 v177, v140, v9 :: v_dual_fmac_f32 v22, v137, v4
	v_fma_f32 v3, v134, v2, -v3
	v_fmac_f32_e32 v1, v135, v2
	v_mul_f32_e32 v2, v139, v7
	v_fma_f32 v4, v136, v4, -v5
	s_delay_alu instid0(VALU_DEP_4)
	v_dual_fmac_f32 v176, v139, v6 :: v_dual_add_f32 v3, 0, v3
	s_wait_loadcnt_dscnt 0x605
	v_dual_mul_f32 v182, v150, v19 :: v_dual_mul_f32 v183, v152, v21
	v_fma_f32 v2, v138, v6, -v2
	v_dual_mul_f32 v178, v142, v11 :: v_dual_mul_f32 v179, v144, v13
	v_add_f32_e32 v3, v3, v4
	v_dual_mul_f32 v5, v141, v9 :: v_dual_mul_f32 v180, v146, v15
	v_dual_mul_f32 v181, v148, v17 :: v_dual_mul_f32 v4, v143, v11
	s_delay_alu instid0(VALU_DEP_3) | instskip(NEXT) | instid1(VALU_DEP_3)
	v_add_f32_e32 v2, v3, v2
	v_fma_f32 v5, v140, v8, -v5
	v_dual_mul_f32 v3, v145, v13 :: v_dual_fmac_f32 v182, v151, v18
	s_delay_alu instid0(VALU_DEP_4) | instskip(SKIP_1) | instid1(VALU_DEP_4)
	v_fma_f32 v4, v142, v10, -v4
	v_dual_fmac_f32 v177, v141, v8 :: v_dual_fmac_f32 v178, v143, v10
	v_add_f32_e32 v2, v2, v5
	v_add_f32_e32 v1, 0, v1
	v_fma_f32 v3, v144, v12, -v3
	v_fmac_f32_e32 v180, v147, v14
	s_wait_loadcnt_dscnt 0x504
	v_dual_mul_f32 v184, v154, v115 :: v_dual_mul_f32 v185, v156, v117
	v_dual_add_f32 v1, v1, v22 :: v_dual_add_f32 v2, v2, v4
	v_mul_f32_e32 v4, v149, v17
	s_wait_loadcnt_dscnt 0x302
	v_dual_mul_f32 v188, v162, v123 :: v_dual_mul_f32 v189, v164, v125
	s_delay_alu instid0(VALU_DEP_3) | instskip(NEXT) | instid1(VALU_DEP_3)
	v_dual_add_f32 v1, v1, v176 :: v_dual_add_f32 v2, v2, v3
	v_fma_f32 v4, v148, v16, -v4
	v_mul_f32_e32 v5, v147, v15
	v_dual_mul_f32 v186, v158, v119 :: v_dual_mul_f32 v187, v160, v121
	s_wait_loadcnt_dscnt 0x201
	v_dual_add_f32 v1, v1, v177 :: v_dual_mul_f32 v190, v166, v127
	v_mul_f32_e32 v191, v168, v129
	v_fma_f32 v5, v146, v14, -v5
	v_fmac_f32_e32 v179, v145, v12
	s_delay_alu instid0(VALU_DEP_4) | instskip(SKIP_1) | instid1(VALU_DEP_4)
	v_add_f32_e32 v1, v1, v178
	v_dual_fmac_f32 v184, v155, v114 :: v_dual_fmac_f32 v185, v157, v116
	v_add_f32_e32 v2, v2, v5
	v_fmac_f32_e32 v186, v159, v118
	s_wait_loadcnt_dscnt 0x100
	v_dual_mul_f32 v192, v170, v131 :: v_dual_mul_f32 v193, v172, v133
	v_fmac_f32_e32 v187, v161, v120
	v_add_f32_e32 v2, v2, v4
	v_mul_f32_e32 v4, v155, v115
	s_delay_alu instid0(VALU_DEP_4) | instskip(SKIP_2) | instid1(VALU_DEP_4)
	v_dual_add_f32 v1, v1, v179 :: v_dual_fmac_f32 v192, v171, v130
	v_fmac_f32_e32 v189, v165, v124
	v_fmac_f32_e32 v191, v169, v128
	v_fma_f32 v4, v154, v114, -v4
	v_mul_f32_e32 v5, v153, v21
	v_add_f32_e32 v1, v1, v180
	v_dual_fmac_f32 v193, v173, v132 :: v_dual_fmac_f32 v188, v163, v122
	v_fmac_f32_e32 v190, v167, v126
	s_delay_alu instid0(VALU_DEP_4) | instskip(SKIP_1) | instid1(VALU_DEP_1)
	v_fma_f32 v5, v152, v20, -v5
	v_mul_f32_e32 v3, v151, v19
	v_fma_f32 v3, v150, v18, -v3
	s_delay_alu instid0(VALU_DEP_1) | instskip(SKIP_1) | instid1(VALU_DEP_2)
	v_dual_fmac_f32 v181, v149, v16 :: v_dual_add_f32 v2, v2, v3
	v_mul_f32_e32 v3, v157, v117
	v_dual_add_f32 v2, v2, v5 :: v_dual_mul_f32 v5, v159, v119
	s_delay_alu instid0(VALU_DEP_2) | instskip(NEXT) | instid1(VALU_DEP_2)
	v_fma_f32 v3, v156, v116, -v3
	v_dual_add_f32 v2, v2, v4 :: v_dual_add_f32 v1, v1, v181
	v_mul_f32_e32 v4, v161, v121
	s_delay_alu instid0(VALU_DEP_4) | instskip(NEXT) | instid1(VALU_DEP_3)
	v_fma_f32 v5, v158, v118, -v5
	v_dual_add_f32 v2, v2, v3 :: v_dual_fmac_f32 v183, v153, v20
	s_delay_alu instid0(VALU_DEP_3) | instskip(NEXT) | instid1(VALU_DEP_2)
	v_fma_f32 v4, v160, v120, -v4
	v_add_f32_e32 v2, v2, v5
	v_mul_f32_e32 v5, v165, v125
	s_delay_alu instid0(VALU_DEP_2) | instskip(NEXT) | instid1(VALU_DEP_2)
	v_dual_add_f32 v1, v1, v182 :: v_dual_add_f32 v2, v2, v4
	v_fma_f32 v5, v164, v124, -v5
	v_mul_f32_e32 v3, v163, v123
	s_delay_alu instid0(VALU_DEP_3) | instskip(SKIP_1) | instid1(VALU_DEP_3)
	v_add_f32_e32 v1, v1, v183
	v_mul_f32_e32 v4, v167, v127
	v_fma_f32 v3, v162, v122, -v3
	s_delay_alu instid0(VALU_DEP_3) | instskip(NEXT) | instid1(VALU_DEP_3)
	v_add_f32_e32 v1, v1, v184
	v_fma_f32 v4, v166, v126, -v4
	s_delay_alu instid0(VALU_DEP_3) | instskip(NEXT) | instid1(VALU_DEP_1)
	v_dual_add_f32 v2, v2, v3 :: v_dual_mul_f32 v3, v169, v129
	v_add_f32_e32 v2, v2, v5
	s_delay_alu instid0(VALU_DEP_4) | instskip(SKIP_1) | instid1(VALU_DEP_4)
	v_add_f32_e32 v1, v1, v185
	v_mul_f32_e32 v5, v171, v131
	v_fma_f32 v3, v168, v128, -v3
	s_delay_alu instid0(VALU_DEP_3) | instskip(SKIP_1) | instid1(VALU_DEP_4)
	v_dual_add_f32 v2, v2, v4 :: v_dual_add_f32 v1, v1, v186
	v_mul_f32_e32 v4, v173, v133
	v_fma_f32 v5, v170, v130, -v5
	s_delay_alu instid0(VALU_DEP_3) | instskip(NEXT) | instid1(VALU_DEP_4)
	v_add_f32_e32 v2, v2, v3
	v_add_f32_e32 v1, v1, v187
	s_delay_alu instid0(VALU_DEP_4) | instskip(NEXT) | instid1(VALU_DEP_2)
	v_fma_f32 v3, v172, v132, -v4
	v_dual_add_f32 v2, v2, v5 :: v_dual_add_f32 v1, v1, v188
	s_delay_alu instid0(VALU_DEP_1) | instskip(NEXT) | instid1(VALU_DEP_1)
	v_dual_add_f32 v2, v2, v3 :: v_dual_add_f32 v1, v1, v189
	v_add_f32_e32 v1, v1, v190
	s_delay_alu instid0(VALU_DEP_1) | instskip(NEXT) | instid1(VALU_DEP_1)
	v_add_f32_e32 v1, v1, v191
	v_add_f32_e32 v1, v1, v192
	s_delay_alu instid0(VALU_DEP_1) | instskip(SKIP_1) | instid1(VALU_DEP_1)
	v_add_f32_e32 v3, v1, v193
	s_wait_loadcnt 0x0
	v_dual_sub_f32 v1, v174, v2 :: v_dual_sub_f32 v2, v175, v3
	scratch_store_b64 off, v[1:2], off offset:192
	v_cmpx_lt_u32_e32 23, v0
	s_cbranch_execz .LBB44_237
; %bb.236:
	scratch_load_b64 v[1:2], off, off offset:184
	v_mov_b32_e32 v3, 0
	s_delay_alu instid0(VALU_DEP_1)
	v_mov_b32_e32 v4, v3
	scratch_store_b64 off, v[3:4], off offset:184
	s_wait_loadcnt 0x0
	ds_store_b64 v23, v[1:2]
.LBB44_237:
	s_wait_alu 0xfffe
	s_or_b32 exec_lo, exec_lo, s0
	s_wait_storecnt_dscnt 0x0
	s_barrier_signal -1
	s_barrier_wait -1
	global_inv scope:SCOPE_SE
	s_clause 0xb
	scratch_load_b128 v[2:5], off, off offset:192
	scratch_load_b128 v[6:9], off, off offset:208
	;; [unrolled: 1-line block ×10, first 2 shown]
	scratch_load_b64 v[174:175], off, off offset:352
	scratch_load_b64 v[176:177], off, off offset:184
	v_mov_b32_e32 v1, 0
	ds_load_b128 v[134:137], v1 offset:560
	ds_load_b128 v[138:141], v1 offset:576
	;; [unrolled: 1-line block ×10, first 2 shown]
	ds_load_b64 v[178:179], v1 offset:720
	s_mov_b32 s0, exec_lo
	s_wait_loadcnt_dscnt 0xb0a
	v_mul_f32_e32 v22, v134, v3
	s_wait_loadcnt_dscnt 0xa09
	v_dual_mul_f32 v180, v136, v5 :: v_dual_mul_f32 v181, v138, v7
	v_mul_f32_e32 v5, v137, v5
	v_dual_mul_f32 v3, v135, v3 :: v_dual_mul_f32 v182, v140, v9
	s_wait_loadcnt_dscnt 0x908
	v_dual_mul_f32 v183, v142, v11 :: v_dual_fmac_f32 v22, v135, v2
	s_wait_loadcnt_dscnt 0x302
	v_mul_f32_e32 v196, v168, v129
	v_fma_f32 v3, v134, v2, -v3
	s_wait_loadcnt_dscnt 0x100
	v_mul_f32_e32 v199, v178, v175
	v_mul_f32_e32 v2, v139, v7
	v_fmac_f32_e32 v180, v137, v4
	v_fma_f32 v4, v136, v4, -v5
	v_add_f32_e32 v3, 0, v3
	v_dual_add_f32 v5, 0, v22 :: v_dual_fmac_f32 v182, v141, v8
	v_fmac_f32_e32 v181, v139, v6
	v_fma_f32 v2, v138, v6, -v2
	s_delay_alu instid0(VALU_DEP_4) | instskip(SKIP_3) | instid1(VALU_DEP_4)
	v_add_f32_e32 v3, v3, v4
	v_mul_f32_e32 v7, v141, v9
	v_add_f32_e32 v4, v5, v180
	v_dual_mul_f32 v184, v144, v13 :: v_dual_mul_f32 v185, v146, v15
	v_add_f32_e32 v2, v3, v2
	s_delay_alu instid0(VALU_DEP_4)
	v_fma_f32 v6, v140, v8, -v7
	v_mul_f32_e32 v5, v143, v11
	v_add_f32_e32 v3, v4, v181
	v_dual_mul_f32 v4, v145, v13 :: v_dual_fmac_f32 v183, v143, v10
	v_fmac_f32_e32 v184, v145, v12
	v_add_f32_e32 v2, v2, v6
	v_fma_f32 v5, v142, v10, -v5
	v_mul_f32_e32 v6, v147, v15
	v_add_f32_e32 v3, v3, v182
	v_fma_f32 v4, v144, v12, -v4
	v_dual_mul_f32 v186, v148, v17 :: v_dual_mul_f32 v187, v150, v19
	s_delay_alu instid0(VALU_DEP_3) | instskip(SKIP_1) | instid1(VALU_DEP_3)
	v_dual_add_f32 v2, v2, v5 :: v_dual_add_f32 v3, v3, v183
	v_mul_f32_e32 v5, v149, v17
	v_dual_fmac_f32 v185, v147, v14 :: v_dual_fmac_f32 v186, v149, v16
	v_fma_f32 v6, v146, v14, -v6
	s_delay_alu instid0(VALU_DEP_4) | instskip(SKIP_4) | instid1(VALU_DEP_4)
	v_add_f32_e32 v2, v2, v4
	v_dual_add_f32 v3, v3, v184 :: v_dual_mul_f32 v188, v152, v21
	v_mul_f32_e32 v189, v154, v115
	v_mul_f32_e32 v4, v151, v19
	v_fma_f32 v5, v148, v16, -v5
	v_dual_add_f32 v2, v2, v6 :: v_dual_add_f32 v3, v3, v185
	v_fmac_f32_e32 v188, v153, v20
	v_dual_mul_f32 v6, v153, v21 :: v_dual_fmac_f32 v187, v151, v18
	v_fma_f32 v4, v150, v18, -v4
	s_delay_alu instid0(VALU_DEP_4) | instskip(SKIP_1) | instid1(VALU_DEP_4)
	v_dual_add_f32 v2, v2, v5 :: v_dual_add_f32 v3, v3, v186
	v_mul_f32_e32 v5, v155, v115
	v_fma_f32 v6, v152, v20, -v6
	v_dual_mul_f32 v190, v156, v117 :: v_dual_mul_f32 v191, v158, v119
	s_delay_alu instid0(VALU_DEP_4) | instskip(SKIP_1) | instid1(VALU_DEP_3)
	v_dual_add_f32 v2, v2, v4 :: v_dual_add_f32 v3, v3, v187
	v_dual_mul_f32 v4, v157, v117 :: v_dual_fmac_f32 v189, v155, v114
	v_fmac_f32_e32 v190, v157, v116
	v_fma_f32 v5, v154, v114, -v5
	s_delay_alu instid0(VALU_DEP_4) | instskip(SKIP_2) | instid1(VALU_DEP_3)
	v_dual_add_f32 v2, v2, v6 :: v_dual_add_f32 v3, v3, v188
	v_mul_f32_e32 v6, v159, v119
	v_fma_f32 v4, v156, v116, -v4
	v_dual_fmac_f32 v191, v159, v118 :: v_dual_add_f32 v2, v2, v5
	s_delay_alu instid0(VALU_DEP_4) | instskip(SKIP_3) | instid1(VALU_DEP_4)
	v_add_f32_e32 v3, v3, v189
	v_dual_mul_f32 v192, v160, v121 :: v_dual_mul_f32 v193, v162, v123
	v_mul_f32_e32 v5, v161, v121
	v_fma_f32 v6, v158, v118, -v6
	v_dual_add_f32 v2, v2, v4 :: v_dual_add_f32 v3, v3, v190
	s_delay_alu instid0(VALU_DEP_4) | instskip(SKIP_2) | instid1(VALU_DEP_4)
	v_fmac_f32_e32 v192, v161, v120
	v_mul_f32_e32 v4, v163, v123
	v_fma_f32 v5, v160, v120, -v5
	v_dual_add_f32 v2, v2, v6 :: v_dual_add_f32 v3, v3, v191
	v_dual_mul_f32 v194, v164, v125 :: v_dual_mul_f32 v195, v166, v127
	v_dual_mul_f32 v6, v165, v125 :: v_dual_fmac_f32 v193, v163, v122
	v_fma_f32 v4, v162, v122, -v4
	s_delay_alu instid0(VALU_DEP_4) | instskip(NEXT) | instid1(VALU_DEP_4)
	v_dual_add_f32 v2, v2, v5 :: v_dual_add_f32 v3, v3, v192
	v_dual_mul_f32 v5, v167, v127 :: v_dual_fmac_f32 v194, v165, v124
	s_delay_alu instid0(VALU_DEP_4) | instskip(NEXT) | instid1(VALU_DEP_3)
	v_fma_f32 v6, v164, v124, -v6
	v_dual_add_f32 v2, v2, v4 :: v_dual_add_f32 v3, v3, v193
	v_dual_mul_f32 v4, v169, v129 :: v_dual_fmac_f32 v195, v167, v126
	s_delay_alu instid0(VALU_DEP_4) | instskip(NEXT) | instid1(VALU_DEP_3)
	v_fma_f32 v5, v166, v126, -v5
	v_dual_fmac_f32 v196, v169, v128 :: v_dual_add_f32 v3, v3, v194
	s_delay_alu instid0(VALU_DEP_4) | instskip(SKIP_3) | instid1(VALU_DEP_4)
	v_add_f32_e32 v2, v2, v6
	v_dual_mul_f32 v197, v170, v131 :: v_dual_mul_f32 v198, v172, v133
	v_mul_f32_e32 v6, v171, v131
	v_fma_f32 v4, v168, v128, -v4
	v_dual_add_f32 v3, v3, v195 :: v_dual_add_f32 v2, v2, v5
	s_delay_alu instid0(VALU_DEP_4) | instskip(SKIP_2) | instid1(VALU_DEP_4)
	v_fmac_f32_e32 v197, v171, v130
	v_mul_f32_e32 v5, v173, v133
	v_fma_f32 v6, v170, v130, -v6
	v_add_f32_e32 v3, v3, v196
	v_add_f32_e32 v2, v2, v4
	v_mul_f32_e32 v4, v179, v175
	v_dual_fmac_f32 v198, v173, v132 :: v_dual_fmac_f32 v199, v179, v174
	v_fma_f32 v5, v172, v132, -v5
	s_delay_alu instid0(VALU_DEP_4) | instskip(NEXT) | instid1(VALU_DEP_4)
	v_dual_add_f32 v3, v3, v197 :: v_dual_add_f32 v2, v2, v6
	v_fma_f32 v4, v178, v174, -v4
	s_delay_alu instid0(VALU_DEP_2) | instskip(NEXT) | instid1(VALU_DEP_1)
	v_dual_add_f32 v3, v3, v198 :: v_dual_add_f32 v2, v2, v5
	v_dual_add_f32 v3, v3, v199 :: v_dual_add_f32 v2, v2, v4
	s_wait_loadcnt 0x0
	s_delay_alu instid0(VALU_DEP_1)
	v_dual_sub_f32 v3, v177, v3 :: v_dual_sub_f32 v2, v176, v2
	scratch_store_b64 off, v[2:3], off offset:184
	v_cmpx_lt_u32_e32 22, v0
	s_cbranch_execz .LBB44_239
; %bb.238:
	scratch_load_b64 v[3:4], off, off offset:176
	v_mov_b32_e32 v2, v1
	scratch_store_b64 off, v[1:2], off offset:176
	s_wait_loadcnt 0x0
	ds_store_b64 v23, v[3:4]
.LBB44_239:
	s_wait_alu 0xfffe
	s_or_b32 exec_lo, exec_lo, s0
	s_wait_storecnt_dscnt 0x0
	s_barrier_signal -1
	s_barrier_wait -1
	global_inv scope:SCOPE_SE
	s_clause 0xb
	scratch_load_b128 v[2:5], off, off offset:184
	scratch_load_b128 v[6:9], off, off offset:200
	;; [unrolled: 1-line block ×11, first 2 shown]
	scratch_load_b64 v[182:183], off, off offset:176
	ds_load_2addr_b64 v[138:141], v1 offset0:69 offset1:70
	ds_load_2addr_b64 v[142:145], v1 offset0:71 offset1:72
	;; [unrolled: 1-line block ×11, first 2 shown]
	s_mov_b32 s0, exec_lo
	s_wait_loadcnt_dscnt 0xb0a
	v_dual_mul_f32 v1, v138, v3 :: v_dual_mul_f32 v22, v140, v5
	v_mul_f32_e32 v3, v139, v3
	s_wait_loadcnt_dscnt 0xa09
	v_dual_mul_f32 v5, v141, v5 :: v_dual_mul_f32 v184, v142, v7
	s_delay_alu instid0(VALU_DEP_3) | instskip(NEXT) | instid1(VALU_DEP_3)
	v_dual_mul_f32 v185, v144, v9 :: v_dual_fmac_f32 v22, v141, v4
	v_fma_f32 v3, v138, v2, -v3
	v_fmac_f32_e32 v1, v139, v2
	v_mul_f32_e32 v2, v143, v7
	v_fma_f32 v4, v140, v4, -v5
	s_delay_alu instid0(VALU_DEP_4)
	v_dual_fmac_f32 v184, v143, v6 :: v_dual_add_f32 v3, 0, v3
	s_wait_loadcnt_dscnt 0x706
	v_dual_mul_f32 v190, v154, v19 :: v_dual_mul_f32 v191, v156, v21
	v_fma_f32 v2, v142, v6, -v2
	v_dual_mul_f32 v186, v146, v11 :: v_dual_mul_f32 v187, v148, v13
	v_add_f32_e32 v3, v3, v4
	v_dual_mul_f32 v5, v145, v9 :: v_dual_mul_f32 v188, v150, v15
	v_dual_mul_f32 v189, v152, v17 :: v_dual_mul_f32 v4, v147, v11
	s_delay_alu instid0(VALU_DEP_3) | instskip(NEXT) | instid1(VALU_DEP_3)
	v_add_f32_e32 v2, v3, v2
	v_fma_f32 v5, v144, v8, -v5
	v_dual_mul_f32 v3, v149, v13 :: v_dual_fmac_f32 v190, v155, v18
	s_delay_alu instid0(VALU_DEP_4) | instskip(SKIP_1) | instid1(VALU_DEP_4)
	v_fma_f32 v4, v146, v10, -v4
	v_dual_fmac_f32 v185, v145, v8 :: v_dual_fmac_f32 v186, v147, v10
	v_add_f32_e32 v2, v2, v5
	v_add_f32_e32 v1, 0, v1
	v_fma_f32 v3, v148, v12, -v3
	v_fmac_f32_e32 v188, v151, v14
	s_wait_loadcnt_dscnt 0x605
	v_dual_mul_f32 v192, v158, v115 :: v_dual_mul_f32 v193, v160, v117
	v_dual_add_f32 v1, v1, v22 :: v_dual_add_f32 v2, v2, v4
	v_mul_f32_e32 v4, v153, v17
	s_wait_loadcnt_dscnt 0x403
	v_dual_mul_f32 v196, v166, v123 :: v_dual_mul_f32 v197, v168, v125
	s_delay_alu instid0(VALU_DEP_3) | instskip(NEXT) | instid1(VALU_DEP_3)
	v_dual_add_f32 v1, v1, v184 :: v_dual_add_f32 v2, v2, v3
	v_fma_f32 v4, v152, v16, -v4
	v_mul_f32_e32 v5, v151, v15
	v_dual_mul_f32 v194, v162, v119 :: v_dual_mul_f32 v195, v164, v121
	s_wait_loadcnt_dscnt 0x100
	v_dual_add_f32 v1, v1, v185 :: v_dual_mul_f32 v202, v178, v135
	v_mul_f32_e32 v203, v180, v137
	v_fma_f32 v5, v150, v14, -v5
	v_fmac_f32_e32 v187, v149, v12
	s_delay_alu instid0(VALU_DEP_4)
	v_add_f32_e32 v1, v1, v186
	v_fmac_f32_e32 v192, v159, v114
	v_dual_mul_f32 v198, v170, v127 :: v_dual_mul_f32 v199, v172, v129
	v_add_f32_e32 v2, v2, v5
	v_dual_fmac_f32 v194, v163, v118 :: v_dual_fmac_f32 v193, v161, v116
	v_dual_mul_f32 v200, v174, v131 :: v_dual_mul_f32 v201, v176, v133
	s_delay_alu instid0(VALU_DEP_3) | instskip(SKIP_2) | instid1(VALU_DEP_4)
	v_add_f32_e32 v2, v2, v4
	v_mul_f32_e32 v4, v159, v115
	v_add_f32_e32 v1, v1, v187
	v_dual_fmac_f32 v195, v165, v120 :: v_dual_fmac_f32 v200, v175, v130
	v_fmac_f32_e32 v199, v173, v128
	s_delay_alu instid0(VALU_DEP_4) | instskip(SKIP_4) | instid1(VALU_DEP_4)
	v_fma_f32 v4, v158, v114, -v4
	v_mul_f32_e32 v5, v157, v21
	v_add_f32_e32 v1, v1, v188
	v_dual_fmac_f32 v201, v177, v132 :: v_dual_fmac_f32 v196, v167, v122
	v_fmac_f32_e32 v203, v181, v136
	v_fma_f32 v5, v156, v20, -v5
	v_mul_f32_e32 v3, v155, v19
	v_fmac_f32_e32 v202, v179, v134
	v_fmac_f32_e32 v198, v171, v126
	s_delay_alu instid0(VALU_DEP_3) | instskip(NEXT) | instid1(VALU_DEP_1)
	v_fma_f32 v3, v154, v18, -v3
	v_dual_fmac_f32 v189, v153, v16 :: v_dual_add_f32 v2, v2, v3
	v_mul_f32_e32 v3, v161, v117
	s_delay_alu instid0(VALU_DEP_2) | instskip(NEXT) | instid1(VALU_DEP_2)
	v_dual_add_f32 v2, v2, v5 :: v_dual_mul_f32 v5, v163, v119
	v_fma_f32 v3, v160, v116, -v3
	s_delay_alu instid0(VALU_DEP_2) | instskip(SKIP_1) | instid1(VALU_DEP_4)
	v_dual_add_f32 v2, v2, v4 :: v_dual_add_f32 v1, v1, v189
	v_mul_f32_e32 v4, v165, v121
	v_fma_f32 v5, v162, v118, -v5
	s_delay_alu instid0(VALU_DEP_3) | instskip(NEXT) | instid1(VALU_DEP_3)
	v_dual_add_f32 v2, v2, v3 :: v_dual_fmac_f32 v191, v157, v20
	v_fma_f32 v4, v164, v120, -v4
	s_delay_alu instid0(VALU_DEP_2) | instskip(SKIP_1) | instid1(VALU_DEP_2)
	v_add_f32_e32 v2, v2, v5
	v_mul_f32_e32 v5, v169, v125
	v_dual_add_f32 v1, v1, v190 :: v_dual_add_f32 v2, v2, v4
	s_delay_alu instid0(VALU_DEP_2) | instskip(SKIP_1) | instid1(VALU_DEP_3)
	v_fma_f32 v5, v168, v124, -v5
	v_mul_f32_e32 v3, v167, v123
	v_add_f32_e32 v1, v1, v191
	v_mul_f32_e32 v4, v171, v127
	s_delay_alu instid0(VALU_DEP_3) | instskip(NEXT) | instid1(VALU_DEP_3)
	v_fma_f32 v3, v166, v122, -v3
	v_add_f32_e32 v1, v1, v192
	s_delay_alu instid0(VALU_DEP_3) | instskip(NEXT) | instid1(VALU_DEP_3)
	v_fma_f32 v4, v170, v126, -v4
	v_add_f32_e32 v2, v2, v3
	s_delay_alu instid0(VALU_DEP_1) | instskip(NEXT) | instid1(VALU_DEP_4)
	v_add_f32_e32 v2, v2, v5
	v_add_f32_e32 v1, v1, v193
	s_delay_alu instid0(VALU_DEP_2) | instskip(SKIP_1) | instid1(VALU_DEP_2)
	v_dual_mul_f32 v5, v175, v131 :: v_dual_add_f32 v2, v2, v4
	v_mul_f32_e32 v4, v177, v133
	v_fma_f32 v5, v174, v130, -v5
	s_delay_alu instid0(VALU_DEP_2) | instskip(SKIP_1) | instid1(VALU_DEP_1)
	v_fma_f32 v4, v176, v132, -v4
	v_mul_f32_e32 v3, v173, v129
	v_fma_f32 v3, v172, v128, -v3
	s_delay_alu instid0(VALU_DEP_1) | instskip(NEXT) | instid1(VALU_DEP_1)
	v_dual_add_f32 v1, v1, v194 :: v_dual_add_f32 v2, v2, v3
	v_add_f32_e32 v1, v1, v195
	s_delay_alu instid0(VALU_DEP_2) | instskip(NEXT) | instid1(VALU_DEP_2)
	v_dual_mul_f32 v3, v179, v135 :: v_dual_add_f32 v2, v2, v5
	v_add_f32_e32 v1, v1, v196
	v_mul_f32_e32 v5, v181, v137
	s_delay_alu instid0(VALU_DEP_3) | instskip(NEXT) | instid1(VALU_DEP_4)
	v_fma_f32 v3, v178, v134, -v3
	v_add_f32_e32 v2, v2, v4
	v_fmac_f32_e32 v197, v169, v124
	s_delay_alu instid0(VALU_DEP_4) | instskip(NEXT) | instid1(VALU_DEP_2)
	v_fma_f32 v4, v180, v136, -v5
	v_dual_add_f32 v2, v2, v3 :: v_dual_add_f32 v1, v1, v197
	s_delay_alu instid0(VALU_DEP_1) | instskip(NEXT) | instid1(VALU_DEP_1)
	v_dual_add_f32 v2, v2, v4 :: v_dual_add_f32 v1, v1, v198
	v_add_f32_e32 v1, v1, v199
	s_delay_alu instid0(VALU_DEP_1) | instskip(NEXT) | instid1(VALU_DEP_1)
	v_add_f32_e32 v1, v1, v200
	v_add_f32_e32 v1, v1, v201
	s_delay_alu instid0(VALU_DEP_1) | instskip(NEXT) | instid1(VALU_DEP_1)
	v_add_f32_e32 v1, v1, v202
	v_add_f32_e32 v3, v1, v203
	s_wait_loadcnt 0x0
	s_delay_alu instid0(VALU_DEP_1)
	v_dual_sub_f32 v1, v182, v2 :: v_dual_sub_f32 v2, v183, v3
	scratch_store_b64 off, v[1:2], off offset:176
	v_cmpx_lt_u32_e32 21, v0
	s_cbranch_execz .LBB44_241
; %bb.240:
	scratch_load_b64 v[1:2], off, off offset:168
	v_mov_b32_e32 v3, 0
	s_delay_alu instid0(VALU_DEP_1)
	v_mov_b32_e32 v4, v3
	scratch_store_b64 off, v[3:4], off offset:168
	s_wait_loadcnt 0x0
	ds_store_b64 v23, v[1:2]
.LBB44_241:
	s_wait_alu 0xfffe
	s_or_b32 exec_lo, exec_lo, s0
	s_wait_storecnt_dscnt 0x0
	s_barrier_signal -1
	s_barrier_wait -1
	global_inv scope:SCOPE_SE
	s_clause 0xc
	scratch_load_b128 v[2:5], off, off offset:176
	scratch_load_b128 v[6:9], off, off offset:192
	;; [unrolled: 1-line block ×11, first 2 shown]
	scratch_load_b64 v[182:183], off, off offset:352
	scratch_load_b64 v[184:185], off, off offset:168
	v_mov_b32_e32 v1, 0
	ds_load_b128 v[138:141], v1 offset:544
	ds_load_b128 v[142:145], v1 offset:560
	;; [unrolled: 1-line block ×11, first 2 shown]
	ds_load_b64 v[186:187], v1 offset:720
	s_mov_b32 s0, exec_lo
	s_wait_loadcnt_dscnt 0xc0b
	v_mul_f32_e32 v22, v138, v3
	s_wait_loadcnt_dscnt 0xb0a
	v_dual_mul_f32 v188, v140, v5 :: v_dual_mul_f32 v189, v142, v7
	v_mul_f32_e32 v5, v141, v5
	s_wait_loadcnt_dscnt 0xa09
	v_dual_mul_f32 v190, v144, v9 :: v_dual_mul_f32 v191, v146, v11
	v_mul_f32_e32 v3, v139, v3
	v_fmac_f32_e32 v22, v139, v2
	s_wait_loadcnt_dscnt 0x908
	v_dual_mul_f32 v192, v148, v13 :: v_dual_mul_f32 v193, v150, v15
	s_wait_loadcnt_dscnt 0x100
	v_dual_mul_f32 v206, v176, v133 :: v_dual_mul_f32 v209, v186, v183
	v_fma_f32 v3, v138, v2, -v3
	v_mul_f32_e32 v2, v143, v7
	v_fmac_f32_e32 v188, v141, v4
	v_fma_f32 v4, v140, v4, -v5
	v_dual_add_f32 v5, 0, v22 :: v_dual_fmac_f32 v190, v145, v8
	v_add_f32_e32 v3, 0, v3
	v_fmac_f32_e32 v189, v143, v6
	v_fma_f32 v2, v142, v6, -v2
	v_dual_fmac_f32 v191, v147, v10 :: v_dual_fmac_f32 v192, v149, v12
	s_delay_alu instid0(VALU_DEP_4) | instskip(SKIP_3) | instid1(VALU_DEP_4)
	v_add_f32_e32 v3, v3, v4
	v_mul_f32_e32 v7, v145, v9
	v_add_f32_e32 v4, v5, v188
	v_dual_mul_f32 v194, v152, v17 :: v_dual_mul_f32 v195, v154, v19
	v_add_f32_e32 v2, v3, v2
	s_delay_alu instid0(VALU_DEP_4)
	v_fma_f32 v6, v144, v8, -v7
	v_mul_f32_e32 v5, v147, v11
	v_add_f32_e32 v3, v4, v189
	v_dual_mul_f32 v4, v149, v13 :: v_dual_fmac_f32 v193, v151, v14
	v_fmac_f32_e32 v194, v153, v16
	v_add_f32_e32 v2, v2, v6
	v_fma_f32 v5, v146, v10, -v5
	v_mul_f32_e32 v6, v151, v15
	v_add_f32_e32 v3, v3, v190
	v_fma_f32 v4, v148, v12, -v4
	v_dual_mul_f32 v196, v156, v21 :: v_dual_mul_f32 v197, v158, v115
	s_delay_alu instid0(VALU_DEP_3) | instskip(SKIP_2) | instid1(VALU_DEP_3)
	v_dual_add_f32 v2, v2, v5 :: v_dual_add_f32 v3, v3, v191
	v_mul_f32_e32 v5, v153, v17
	v_fma_f32 v6, v150, v14, -v6
	v_dual_fmac_f32 v195, v155, v18 :: v_dual_add_f32 v2, v2, v4
	s_delay_alu instid0(VALU_DEP_4) | instskip(SKIP_3) | instid1(VALU_DEP_4)
	v_add_f32_e32 v3, v3, v192
	v_mul_f32_e32 v4, v155, v19
	v_fma_f32 v5, v152, v16, -v5
	v_fmac_f32_e32 v196, v157, v20
	v_dual_add_f32 v2, v2, v6 :: v_dual_add_f32 v3, v3, v193
	v_mul_f32_e32 v6, v157, v21
	v_fma_f32 v4, v154, v18, -v4
	v_dual_mul_f32 v198, v160, v117 :: v_dual_mul_f32 v199, v162, v119
	s_delay_alu instid0(VALU_DEP_4) | instskip(SKIP_2) | instid1(VALU_DEP_4)
	v_dual_add_f32 v2, v2, v5 :: v_dual_add_f32 v3, v3, v194
	v_mul_f32_e32 v5, v159, v115
	v_fma_f32 v6, v156, v20, -v6
	v_dual_fmac_f32 v197, v159, v114 :: v_dual_fmac_f32 v198, v161, v116
	s_delay_alu instid0(VALU_DEP_4) | instskip(SKIP_3) | instid1(VALU_DEP_4)
	v_dual_add_f32 v2, v2, v4 :: v_dual_add_f32 v3, v3, v195
	v_mul_f32_e32 v4, v161, v117
	v_fma_f32 v5, v158, v114, -v5
	v_fmac_f32_e32 v199, v163, v118
	v_dual_add_f32 v2, v2, v6 :: v_dual_add_f32 v3, v3, v196
	v_mul_f32_e32 v6, v163, v119
	v_fma_f32 v4, v160, v116, -v4
	v_dual_mul_f32 v200, v164, v121 :: v_dual_mul_f32 v201, v166, v123
	s_delay_alu instid0(VALU_DEP_4) | instskip(SKIP_4) | instid1(VALU_DEP_4)
	v_add_f32_e32 v2, v2, v5
	v_add_f32_e32 v3, v3, v197
	v_mul_f32_e32 v5, v165, v121
	v_fma_f32 v6, v162, v118, -v6
	v_fmac_f32_e32 v200, v165, v120
	v_dual_add_f32 v2, v2, v4 :: v_dual_add_f32 v3, v3, v198
	v_mul_f32_e32 v4, v167, v123
	v_fma_f32 v5, v164, v120, -v5
	v_dual_mul_f32 v202, v168, v125 :: v_dual_mul_f32 v203, v170, v127
	s_delay_alu instid0(VALU_DEP_4) | instskip(SKIP_2) | instid1(VALU_DEP_3)
	v_dual_add_f32 v2, v2, v6 :: v_dual_add_f32 v3, v3, v199
	v_dual_mul_f32 v6, v169, v125 :: v_dual_fmac_f32 v201, v167, v122
	v_fma_f32 v4, v166, v122, -v4
	v_dual_add_f32 v2, v2, v5 :: v_dual_add_f32 v3, v3, v200
	v_dual_mul_f32 v204, v172, v129 :: v_dual_mul_f32 v205, v174, v131
	v_dual_mul_f32 v5, v171, v127 :: v_dual_fmac_f32 v202, v169, v124
	v_fma_f32 v6, v168, v124, -v6
	s_delay_alu instid0(VALU_DEP_4) | instskip(SKIP_1) | instid1(VALU_DEP_4)
	v_dual_add_f32 v2, v2, v4 :: v_dual_add_f32 v3, v3, v201
	v_dual_mul_f32 v4, v173, v129 :: v_dual_fmac_f32 v203, v171, v126
	v_fma_f32 v5, v170, v126, -v5
	s_delay_alu instid0(VALU_DEP_3) | instskip(NEXT) | instid1(VALU_DEP_4)
	v_dual_fmac_f32 v204, v173, v128 :: v_dual_add_f32 v3, v3, v202
	v_add_f32_e32 v2, v2, v6
	v_mul_f32_e32 v6, v175, v131
	v_fma_f32 v4, v172, v128, -v4
	v_fmac_f32_e32 v205, v175, v130
	s_delay_alu instid0(VALU_DEP_4) | instskip(SKIP_3) | instid1(VALU_DEP_4)
	v_dual_add_f32 v3, v3, v203 :: v_dual_add_f32 v2, v2, v5
	v_mul_f32_e32 v5, v177, v133
	v_fma_f32 v6, v174, v130, -v6
	v_dual_mul_f32 v207, v178, v135 :: v_dual_mul_f32 v208, v180, v137
	v_add_f32_e32 v3, v3, v204
	v_add_f32_e32 v2, v2, v4
	v_mul_f32_e32 v4, v179, v135
	s_delay_alu instid0(VALU_DEP_4) | instskip(SKIP_1) | instid1(VALU_DEP_4)
	v_dual_fmac_f32 v206, v177, v132 :: v_dual_fmac_f32 v207, v179, v134
	v_fma_f32 v5, v176, v132, -v5
	v_dual_add_f32 v3, v3, v205 :: v_dual_add_f32 v2, v2, v6
	v_mul_f32_e32 v6, v181, v137
	v_fma_f32 v4, v178, v134, -v4
	v_fmac_f32_e32 v209, v187, v182
	s_delay_alu instid0(VALU_DEP_4) | instskip(SKIP_2) | instid1(VALU_DEP_3)
	v_dual_add_f32 v3, v3, v206 :: v_dual_add_f32 v2, v2, v5
	v_dual_mul_f32 v5, v187, v183 :: v_dual_fmac_f32 v208, v181, v136
	v_fma_f32 v6, v180, v136, -v6
	v_dual_add_f32 v3, v3, v207 :: v_dual_add_f32 v2, v2, v4
	s_delay_alu instid0(VALU_DEP_3) | instskip(NEXT) | instid1(VALU_DEP_2)
	v_fma_f32 v4, v186, v182, -v5
	v_dual_add_f32 v3, v3, v208 :: v_dual_add_f32 v2, v2, v6
	s_delay_alu instid0(VALU_DEP_1) | instskip(SKIP_1) | instid1(VALU_DEP_1)
	v_dual_add_f32 v3, v3, v209 :: v_dual_add_f32 v2, v2, v4
	s_wait_loadcnt 0x0
	v_dual_sub_f32 v3, v185, v3 :: v_dual_sub_f32 v2, v184, v2
	scratch_store_b64 off, v[2:3], off offset:168
	v_cmpx_lt_u32_e32 20, v0
	s_cbranch_execz .LBB44_243
; %bb.242:
	scratch_load_b64 v[3:4], off, off offset:160
	v_mov_b32_e32 v2, v1
	scratch_store_b64 off, v[1:2], off offset:160
	s_wait_loadcnt 0x0
	ds_store_b64 v23, v[3:4]
.LBB44_243:
	s_wait_alu 0xfffe
	s_or_b32 exec_lo, exec_lo, s0
	s_wait_storecnt_dscnt 0x0
	s_barrier_signal -1
	s_barrier_wait -1
	global_inv scope:SCOPE_SE
	s_clause 0xc
	scratch_load_b128 v[2:5], off, off offset:168
	scratch_load_b128 v[6:9], off, off offset:184
	;; [unrolled: 1-line block ×12, first 2 shown]
	scratch_load_b64 v[190:191], off, off offset:160
	ds_load_2addr_b64 v[142:145], v1 offset0:67 offset1:68
	ds_load_2addr_b64 v[146:149], v1 offset0:69 offset1:70
	ds_load_2addr_b64 v[150:153], v1 offset0:71 offset1:72
	ds_load_2addr_b64 v[154:157], v1 offset0:73 offset1:74
	ds_load_2addr_b64 v[158:161], v1 offset0:75 offset1:76
	ds_load_2addr_b64 v[162:165], v1 offset0:77 offset1:78
	ds_load_2addr_b64 v[166:169], v1 offset0:79 offset1:80
	ds_load_2addr_b64 v[170:173], v1 offset0:81 offset1:82
	ds_load_2addr_b64 v[174:177], v1 offset0:83 offset1:84
	ds_load_2addr_b64 v[178:181], v1 offset0:85 offset1:86
	ds_load_2addr_b64 v[182:185], v1 offset0:87 offset1:88
	ds_load_2addr_b64 v[186:189], v1 offset0:89 offset1:90
	s_mov_b32 s0, exec_lo
	s_wait_loadcnt_dscnt 0xc0b
	v_dual_mul_f32 v1, v142, v3 :: v_dual_mul_f32 v22, v144, v5
	v_mul_f32_e32 v3, v143, v3
	s_wait_loadcnt_dscnt 0xb0a
	v_dual_mul_f32 v5, v145, v5 :: v_dual_mul_f32 v192, v146, v7
	s_delay_alu instid0(VALU_DEP_3) | instskip(NEXT) | instid1(VALU_DEP_3)
	v_dual_mul_f32 v193, v148, v9 :: v_dual_fmac_f32 v22, v145, v4
	v_fma_f32 v3, v142, v2, -v3
	v_fmac_f32_e32 v1, v143, v2
	v_mul_f32_e32 v2, v147, v7
	v_fma_f32 v4, v144, v4, -v5
	s_delay_alu instid0(VALU_DEP_4)
	v_dual_fmac_f32 v192, v147, v6 :: v_dual_add_f32 v3, 0, v3
	s_wait_loadcnt_dscnt 0x807
	v_dual_mul_f32 v198, v158, v19 :: v_dual_mul_f32 v199, v160, v21
	v_fma_f32 v2, v146, v6, -v2
	v_dual_mul_f32 v194, v150, v11 :: v_dual_mul_f32 v195, v152, v13
	v_add_f32_e32 v3, v3, v4
	v_dual_mul_f32 v5, v149, v9 :: v_dual_mul_f32 v196, v154, v15
	v_dual_mul_f32 v197, v156, v17 :: v_dual_mul_f32 v4, v151, v11
	s_delay_alu instid0(VALU_DEP_3) | instskip(NEXT) | instid1(VALU_DEP_3)
	v_add_f32_e32 v2, v3, v2
	v_fma_f32 v5, v148, v8, -v5
	v_dual_mul_f32 v3, v153, v13 :: v_dual_fmac_f32 v198, v159, v18
	s_delay_alu instid0(VALU_DEP_4) | instskip(SKIP_1) | instid1(VALU_DEP_4)
	v_fma_f32 v4, v150, v10, -v4
	v_dual_fmac_f32 v193, v149, v8 :: v_dual_fmac_f32 v194, v151, v10
	v_add_f32_e32 v2, v2, v5
	v_add_f32_e32 v1, 0, v1
	v_fma_f32 v3, v152, v12, -v3
	v_fmac_f32_e32 v196, v155, v14
	s_wait_loadcnt_dscnt 0x706
	v_dual_mul_f32 v200, v162, v115 :: v_dual_mul_f32 v201, v164, v117
	v_dual_add_f32 v1, v1, v22 :: v_dual_add_f32 v2, v2, v4
	v_mul_f32_e32 v4, v157, v17
	s_wait_loadcnt_dscnt 0x504
	v_dual_mul_f32 v204, v170, v123 :: v_dual_mul_f32 v205, v172, v125
	s_delay_alu instid0(VALU_DEP_3) | instskip(NEXT) | instid1(VALU_DEP_3)
	v_dual_add_f32 v1, v1, v192 :: v_dual_add_f32 v2, v2, v3
	v_fma_f32 v4, v156, v16, -v4
	v_mul_f32_e32 v5, v155, v15
	v_dual_mul_f32 v202, v166, v119 :: v_dual_mul_f32 v203, v168, v121
	s_wait_loadcnt_dscnt 0x201
	v_dual_add_f32 v1, v1, v193 :: v_dual_mul_f32 v210, v182, v135
	v_mul_f32_e32 v211, v184, v137
	v_fma_f32 v5, v154, v14, -v5
	v_fmac_f32_e32 v195, v153, v12
	s_delay_alu instid0(VALU_DEP_4)
	v_add_f32_e32 v1, v1, v194
	v_fmac_f32_e32 v200, v163, v114
	v_dual_mul_f32 v206, v174, v127 :: v_dual_mul_f32 v207, v176, v129
	v_add_f32_e32 v2, v2, v5
	v_dual_fmac_f32 v202, v167, v118 :: v_dual_fmac_f32 v201, v165, v116
	v_dual_mul_f32 v208, v178, v131 :: v_dual_mul_f32 v209, v180, v133
	s_delay_alu instid0(VALU_DEP_3) | instskip(SKIP_2) | instid1(VALU_DEP_4)
	v_add_f32_e32 v2, v2, v4
	v_mul_f32_e32 v4, v163, v115
	v_add_f32_e32 v1, v1, v195
	v_dual_fmac_f32 v203, v169, v120 :: v_dual_fmac_f32 v208, v179, v130
	v_fmac_f32_e32 v205, v173, v124
	s_delay_alu instid0(VALU_DEP_4) | instskip(SKIP_4) | instid1(VALU_DEP_3)
	v_fma_f32 v4, v162, v114, -v4
	v_mul_f32_e32 v5, v161, v21
	s_wait_loadcnt_dscnt 0x100
	v_dual_add_f32 v1, v1, v196 :: v_dual_mul_f32 v212, v186, v139
	v_dual_mul_f32 v213, v188, v141 :: v_dual_fmac_f32 v204, v171, v122
	v_fma_f32 v5, v160, v20, -v5
	v_mul_f32_e32 v3, v159, v19
	v_fmac_f32_e32 v211, v185, v136
	s_delay_alu instid0(VALU_DEP_4) | instskip(SKIP_1) | instid1(VALU_DEP_4)
	v_dual_fmac_f32 v213, v189, v140 :: v_dual_fmac_f32 v210, v183, v134
	v_fmac_f32_e32 v206, v175, v126
	v_fma_f32 v3, v158, v18, -v3
	v_dual_fmac_f32 v197, v157, v16 :: v_dual_fmac_f32 v212, v187, v138
	s_delay_alu instid0(VALU_DEP_2) | instskip(NEXT) | instid1(VALU_DEP_1)
	v_dual_add_f32 v2, v2, v3 :: v_dual_mul_f32 v3, v165, v117
	v_dual_add_f32 v2, v2, v5 :: v_dual_mul_f32 v5, v167, v119
	s_delay_alu instid0(VALU_DEP_2) | instskip(NEXT) | instid1(VALU_DEP_2)
	v_fma_f32 v3, v164, v116, -v3
	v_dual_add_f32 v2, v2, v4 :: v_dual_add_f32 v1, v1, v197
	v_mul_f32_e32 v4, v169, v121
	s_delay_alu instid0(VALU_DEP_4) | instskip(NEXT) | instid1(VALU_DEP_3)
	v_fma_f32 v5, v166, v118, -v5
	v_dual_add_f32 v2, v2, v3 :: v_dual_fmac_f32 v199, v161, v20
	s_delay_alu instid0(VALU_DEP_3) | instskip(NEXT) | instid1(VALU_DEP_2)
	v_fma_f32 v4, v168, v120, -v4
	v_add_f32_e32 v2, v2, v5
	v_mul_f32_e32 v5, v173, v125
	s_delay_alu instid0(VALU_DEP_2) | instskip(NEXT) | instid1(VALU_DEP_2)
	v_dual_add_f32 v1, v1, v198 :: v_dual_add_f32 v2, v2, v4
	v_fma_f32 v5, v172, v124, -v5
	v_mul_f32_e32 v3, v171, v123
	s_delay_alu instid0(VALU_DEP_3) | instskip(SKIP_1) | instid1(VALU_DEP_3)
	v_add_f32_e32 v1, v1, v199
	v_mul_f32_e32 v4, v175, v127
	v_fma_f32 v3, v170, v122, -v3
	s_delay_alu instid0(VALU_DEP_3) | instskip(NEXT) | instid1(VALU_DEP_3)
	v_add_f32_e32 v1, v1, v200
	v_fma_f32 v4, v174, v126, -v4
	s_delay_alu instid0(VALU_DEP_3) | instskip(NEXT) | instid1(VALU_DEP_1)
	v_add_f32_e32 v2, v2, v3
	v_add_f32_e32 v2, v2, v5
	s_delay_alu instid0(VALU_DEP_4) | instskip(NEXT) | instid1(VALU_DEP_2)
	v_add_f32_e32 v1, v1, v201
	v_dual_mul_f32 v5, v179, v131 :: v_dual_add_f32 v2, v2, v4
	v_mul_f32_e32 v4, v181, v133
	s_delay_alu instid0(VALU_DEP_2) | instskip(NEXT) | instid1(VALU_DEP_2)
	v_fma_f32 v5, v178, v130, -v5
	v_fma_f32 v4, v180, v132, -v4
	v_mul_f32_e32 v3, v177, v129
	s_delay_alu instid0(VALU_DEP_1) | instskip(NEXT) | instid1(VALU_DEP_1)
	v_fma_f32 v3, v176, v128, -v3
	v_dual_add_f32 v1, v1, v202 :: v_dual_add_f32 v2, v2, v3
	s_delay_alu instid0(VALU_DEP_1) | instskip(NEXT) | instid1(VALU_DEP_2)
	v_add_f32_e32 v1, v1, v203
	v_dual_mul_f32 v3, v183, v135 :: v_dual_add_f32 v2, v2, v5
	v_mul_f32_e32 v5, v185, v137
	s_delay_alu instid0(VALU_DEP_2) | instskip(NEXT) | instid1(VALU_DEP_3)
	v_fma_f32 v3, v182, v134, -v3
	v_add_f32_e32 v2, v2, v4
	v_dual_add_f32 v1, v1, v204 :: v_dual_mul_f32 v4, v187, v139
	s_delay_alu instid0(VALU_DEP_4) | instskip(NEXT) | instid1(VALU_DEP_2)
	v_fma_f32 v5, v184, v136, -v5
	v_dual_add_f32 v2, v2, v3 :: v_dual_add_f32 v1, v1, v205
	v_fmac_f32_e32 v207, v177, v128
	s_delay_alu instid0(VALU_DEP_4) | instskip(SKIP_1) | instid1(VALU_DEP_4)
	v_fma_f32 v4, v186, v138, -v4
	v_mul_f32_e32 v3, v189, v141
	v_dual_add_f32 v2, v2, v5 :: v_dual_add_f32 v1, v1, v206
	s_delay_alu instid0(VALU_DEP_2) | instskip(NEXT) | instid1(VALU_DEP_2)
	v_fma_f32 v3, v188, v140, -v3
	v_dual_add_f32 v2, v2, v4 :: v_dual_add_f32 v1, v1, v207
	s_delay_alu instid0(VALU_DEP_1) | instskip(NEXT) | instid1(VALU_DEP_2)
	v_dual_fmac_f32 v209, v181, v132 :: v_dual_add_f32 v2, v2, v3
	v_add_f32_e32 v1, v1, v208
	s_delay_alu instid0(VALU_DEP_1) | instskip(NEXT) | instid1(VALU_DEP_1)
	v_add_f32_e32 v1, v1, v209
	v_add_f32_e32 v1, v1, v210
	s_delay_alu instid0(VALU_DEP_1) | instskip(NEXT) | instid1(VALU_DEP_1)
	v_add_f32_e32 v1, v1, v211
	v_add_f32_e32 v1, v1, v212
	s_delay_alu instid0(VALU_DEP_1) | instskip(SKIP_1) | instid1(VALU_DEP_1)
	v_add_f32_e32 v3, v1, v213
	s_wait_loadcnt 0x0
	v_dual_sub_f32 v1, v190, v2 :: v_dual_sub_f32 v2, v191, v3
	scratch_store_b64 off, v[1:2], off offset:160
	v_cmpx_lt_u32_e32 19, v0
	s_cbranch_execz .LBB44_245
; %bb.244:
	scratch_load_b64 v[1:2], off, off offset:152
	v_mov_b32_e32 v3, 0
	s_delay_alu instid0(VALU_DEP_1)
	v_mov_b32_e32 v4, v3
	scratch_store_b64 off, v[3:4], off offset:152
	s_wait_loadcnt 0x0
	ds_store_b64 v23, v[1:2]
.LBB44_245:
	s_wait_alu 0xfffe
	s_or_b32 exec_lo, exec_lo, s0
	s_wait_storecnt_dscnt 0x0
	s_barrier_signal -1
	s_barrier_wait -1
	global_inv scope:SCOPE_SE
	s_clause 0xd
	scratch_load_b128 v[2:5], off, off offset:160
	scratch_load_b128 v[6:9], off, off offset:176
	;; [unrolled: 1-line block ×12, first 2 shown]
	scratch_load_b64 v[190:191], off, off offset:352
	scratch_load_b64 v[192:193], off, off offset:152
	v_mov_b32_e32 v1, 0
	ds_load_b128 v[142:145], v1 offset:528
	ds_load_b128 v[146:149], v1 offset:544
	;; [unrolled: 1-line block ×12, first 2 shown]
	ds_load_b64 v[194:195], v1 offset:720
	s_mov_b32 s0, exec_lo
	s_wait_loadcnt_dscnt 0xd0c
	v_mul_f32_e32 v22, v142, v3
	s_wait_loadcnt_dscnt 0xc0b
	v_dual_mul_f32 v196, v144, v5 :: v_dual_mul_f32 v197, v146, v7
	v_mul_f32_e32 v5, v145, v5
	s_wait_loadcnt_dscnt 0xb0a
	v_dual_mul_f32 v198, v148, v9 :: v_dual_mul_f32 v199, v150, v11
	v_dual_mul_f32 v3, v143, v3 :: v_dual_mul_f32 v200, v152, v13
	s_wait_loadcnt_dscnt 0xa09
	v_dual_mul_f32 v201, v154, v15 :: v_dual_fmac_f32 v22, v143, v2
	s_wait_loadcnt_dscnt 0x302
	v_mul_f32_e32 v216, v184, v137
	v_fma_f32 v3, v142, v2, -v3
	s_wait_loadcnt_dscnt 0x100
	v_mul_f32_e32 v219, v194, v191
	v_mul_f32_e32 v2, v147, v7
	v_fmac_f32_e32 v196, v145, v4
	v_fma_f32 v4, v144, v4, -v5
	v_add_f32_e32 v3, 0, v3
	v_dual_add_f32 v5, 0, v22 :: v_dual_fmac_f32 v198, v149, v8
	v_fmac_f32_e32 v197, v147, v6
	v_fma_f32 v2, v146, v6, -v2
	s_delay_alu instid0(VALU_DEP_4) | instskip(SKIP_3) | instid1(VALU_DEP_4)
	v_add_f32_e32 v3, v3, v4
	v_mul_f32_e32 v7, v149, v9
	v_dual_add_f32 v4, v5, v196 :: v_dual_fmac_f32 v199, v151, v10
	v_fmac_f32_e32 v200, v153, v12
	v_add_f32_e32 v2, v3, v2
	s_delay_alu instid0(VALU_DEP_4)
	v_fma_f32 v6, v148, v8, -v7
	v_mul_f32_e32 v5, v151, v11
	v_add_f32_e32 v3, v4, v197
	v_mul_f32_e32 v4, v153, v13
	v_dual_mul_f32 v202, v156, v17 :: v_dual_mul_f32 v203, v158, v19
	v_add_f32_e32 v2, v2, v6
	v_fma_f32 v5, v150, v10, -v5
	v_mul_f32_e32 v6, v155, v15
	v_add_f32_e32 v3, v3, v198
	v_fma_f32 v4, v152, v12, -v4
	v_dual_fmac_f32 v201, v155, v14 :: v_dual_fmac_f32 v202, v157, v16
	s_delay_alu instid0(VALU_DEP_3) | instskip(SKIP_3) | instid1(VALU_DEP_4)
	v_dual_add_f32 v2, v2, v5 :: v_dual_add_f32 v3, v3, v199
	v_mul_f32_e32 v5, v157, v17
	v_fma_f32 v6, v154, v14, -v6
	v_dual_mul_f32 v204, v160, v21 :: v_dual_mul_f32 v205, v162, v115
	v_add_f32_e32 v2, v2, v4
	v_add_f32_e32 v3, v3, v200
	v_mul_f32_e32 v4, v159, v19
	v_fma_f32 v5, v156, v16, -v5
	v_fmac_f32_e32 v203, v159, v18
	s_delay_alu instid0(VALU_DEP_4) | instskip(SKIP_3) | instid1(VALU_DEP_4)
	v_dual_add_f32 v2, v2, v6 :: v_dual_add_f32 v3, v3, v201
	v_fmac_f32_e32 v204, v161, v20
	v_mul_f32_e32 v6, v161, v21
	v_fma_f32 v4, v158, v18, -v4
	v_dual_add_f32 v2, v2, v5 :: v_dual_add_f32 v3, v3, v202
	v_mul_f32_e32 v5, v163, v115
	s_delay_alu instid0(VALU_DEP_4) | instskip(SKIP_1) | instid1(VALU_DEP_4)
	v_fma_f32 v6, v160, v20, -v6
	v_dual_mul_f32 v206, v164, v117 :: v_dual_mul_f32 v207, v166, v119
	v_dual_add_f32 v2, v2, v4 :: v_dual_add_f32 v3, v3, v203
	v_dual_mul_f32 v4, v165, v117 :: v_dual_fmac_f32 v205, v163, v114
	s_delay_alu instid0(VALU_DEP_3) | instskip(SKIP_1) | instid1(VALU_DEP_4)
	v_fmac_f32_e32 v206, v165, v116
	v_fma_f32 v5, v162, v114, -v5
	v_dual_add_f32 v2, v2, v6 :: v_dual_add_f32 v3, v3, v204
	v_mul_f32_e32 v6, v167, v119
	v_fma_f32 v4, v164, v116, -v4
	s_delay_alu instid0(VALU_DEP_3) | instskip(NEXT) | instid1(VALU_DEP_4)
	v_dual_fmac_f32 v207, v167, v118 :: v_dual_add_f32 v2, v2, v5
	v_add_f32_e32 v3, v3, v205
	v_dual_mul_f32 v208, v168, v121 :: v_dual_mul_f32 v209, v170, v123
	v_mul_f32_e32 v5, v169, v121
	v_fma_f32 v6, v166, v118, -v6
	s_delay_alu instid0(VALU_DEP_4) | instskip(NEXT) | instid1(VALU_DEP_4)
	v_dual_add_f32 v2, v2, v4 :: v_dual_add_f32 v3, v3, v206
	v_fmac_f32_e32 v208, v169, v120
	v_mul_f32_e32 v4, v171, v123
	v_fma_f32 v5, v168, v120, -v5
	s_delay_alu instid0(VALU_DEP_4) | instskip(SKIP_3) | instid1(VALU_DEP_4)
	v_dual_add_f32 v2, v2, v6 :: v_dual_add_f32 v3, v3, v207
	v_dual_mul_f32 v210, v172, v125 :: v_dual_mul_f32 v211, v174, v127
	v_dual_mul_f32 v6, v173, v125 :: v_dual_fmac_f32 v209, v171, v122
	v_fma_f32 v4, v170, v122, -v4
	v_dual_add_f32 v2, v2, v5 :: v_dual_add_f32 v3, v3, v208
	v_dual_mul_f32 v212, v176, v129 :: v_dual_mul_f32 v213, v178, v131
	v_dual_mul_f32 v5, v175, v127 :: v_dual_fmac_f32 v210, v173, v124
	v_fma_f32 v6, v172, v124, -v6
	s_delay_alu instid0(VALU_DEP_4) | instskip(SKIP_1) | instid1(VALU_DEP_4)
	v_dual_add_f32 v2, v2, v4 :: v_dual_add_f32 v3, v3, v209
	v_dual_mul_f32 v4, v177, v129 :: v_dual_fmac_f32 v211, v175, v126
	v_fma_f32 v5, v174, v126, -v5
	s_delay_alu instid0(VALU_DEP_3) | instskip(NEXT) | instid1(VALU_DEP_4)
	v_dual_fmac_f32 v212, v177, v128 :: v_dual_add_f32 v3, v3, v210
	v_add_f32_e32 v2, v2, v6
	v_mul_f32_e32 v6, v179, v131
	v_fma_f32 v4, v176, v128, -v4
	v_dual_mul_f32 v214, v180, v133 :: v_dual_mul_f32 v215, v182, v135
	s_delay_alu instid0(VALU_DEP_4) | instskip(SKIP_3) | instid1(VALU_DEP_4)
	v_dual_add_f32 v3, v3, v211 :: v_dual_add_f32 v2, v2, v5
	v_fmac_f32_e32 v213, v179, v130
	v_mul_f32_e32 v5, v181, v133
	v_fma_f32 v6, v178, v130, -v6
	v_add_f32_e32 v3, v3, v212
	v_add_f32_e32 v2, v2, v4
	v_mul_f32_e32 v4, v183, v135
	v_dual_fmac_f32 v214, v181, v132 :: v_dual_fmac_f32 v215, v183, v134
	v_fma_f32 v5, v180, v132, -v5
	s_delay_alu instid0(VALU_DEP_4) | instskip(SKIP_3) | instid1(VALU_DEP_4)
	v_dual_add_f32 v3, v3, v213 :: v_dual_add_f32 v2, v2, v6
	v_mul_f32_e32 v6, v185, v137
	v_fma_f32 v4, v182, v134, -v4
	v_dual_mul_f32 v217, v186, v139 :: v_dual_mul_f32 v218, v188, v141
	v_dual_add_f32 v2, v2, v5 :: v_dual_mul_f32 v5, v187, v139
	v_dual_add_f32 v3, v3, v214 :: v_dual_fmac_f32 v216, v185, v136
	v_fma_f32 v6, v184, v136, -v6
	s_delay_alu instid0(VALU_DEP_3) | instskip(NEXT) | instid1(VALU_DEP_3)
	v_dual_add_f32 v2, v2, v4 :: v_dual_fmac_f32 v217, v187, v138
	v_dual_add_f32 v3, v3, v215 :: v_dual_mul_f32 v4, v189, v141
	v_fma_f32 v5, v186, v138, -v5
	v_dual_fmac_f32 v218, v189, v140 :: v_dual_fmac_f32 v219, v195, v190
	s_delay_alu instid0(VALU_DEP_3) | instskip(SKIP_2) | instid1(VALU_DEP_3)
	v_dual_add_f32 v3, v3, v216 :: v_dual_add_f32 v2, v2, v6
	v_mul_f32_e32 v6, v195, v191
	v_fma_f32 v4, v188, v140, -v4
	v_add_f32_e32 v3, v3, v217
	s_delay_alu instid0(VALU_DEP_4) | instskip(NEXT) | instid1(VALU_DEP_4)
	v_add_f32_e32 v2, v2, v5
	v_fma_f32 v5, v194, v190, -v6
	s_delay_alu instid0(VALU_DEP_2) | instskip(NEXT) | instid1(VALU_DEP_1)
	v_dual_add_f32 v3, v3, v218 :: v_dual_add_f32 v2, v2, v4
	v_dual_add_f32 v3, v3, v219 :: v_dual_add_f32 v2, v2, v5
	s_wait_loadcnt 0x0
	s_delay_alu instid0(VALU_DEP_1)
	v_dual_sub_f32 v3, v193, v3 :: v_dual_sub_f32 v2, v192, v2
	scratch_store_b64 off, v[2:3], off offset:152
	v_cmpx_lt_u32_e32 18, v0
	s_cbranch_execz .LBB44_247
; %bb.246:
	scratch_load_b64 v[3:4], off, off offset:144
	v_mov_b32_e32 v2, v1
	scratch_store_b64 off, v[1:2], off offset:144
	s_wait_loadcnt 0x0
	ds_store_b64 v23, v[3:4]
.LBB44_247:
	s_wait_alu 0xfffe
	s_or_b32 exec_lo, exec_lo, s0
	s_wait_storecnt_dscnt 0x0
	s_barrier_signal -1
	s_barrier_wait -1
	global_inv scope:SCOPE_SE
	s_clause 0xd
	scratch_load_b128 v[2:5], off, off offset:152
	scratch_load_b128 v[6:9], off, off offset:168
	;; [unrolled: 1-line block ×13, first 2 shown]
	scratch_load_b64 v[198:199], off, off offset:144
	ds_load_2addr_b64 v[146:149], v1 offset0:65 offset1:66
	ds_load_2addr_b64 v[150:153], v1 offset0:67 offset1:68
	;; [unrolled: 1-line block ×13, first 2 shown]
	s_mov_b32 s0, exec_lo
	s_wait_loadcnt_dscnt 0xd0c
	v_dual_mul_f32 v1, v146, v3 :: v_dual_mul_f32 v22, v148, v5
	v_mul_f32_e32 v3, v147, v3
	s_wait_loadcnt_dscnt 0xc0b
	v_dual_mul_f32 v5, v149, v5 :: v_dual_mul_f32 v200, v150, v7
	s_delay_alu instid0(VALU_DEP_3) | instskip(NEXT) | instid1(VALU_DEP_3)
	v_dual_mul_f32 v201, v152, v9 :: v_dual_fmac_f32 v22, v149, v4
	v_fma_f32 v3, v146, v2, -v3
	v_fmac_f32_e32 v1, v147, v2
	v_mul_f32_e32 v2, v151, v7
	v_fma_f32 v4, v148, v4, -v5
	s_delay_alu instid0(VALU_DEP_4)
	v_dual_fmac_f32 v200, v151, v6 :: v_dual_add_f32 v3, 0, v3
	s_wait_loadcnt_dscnt 0x908
	v_dual_mul_f32 v206, v162, v19 :: v_dual_mul_f32 v207, v164, v21
	v_fma_f32 v2, v150, v6, -v2
	v_dual_mul_f32 v202, v154, v11 :: v_dual_mul_f32 v203, v156, v13
	v_add_f32_e32 v3, v3, v4
	v_dual_mul_f32 v5, v153, v9 :: v_dual_mul_f32 v204, v158, v15
	v_dual_mul_f32 v205, v160, v17 :: v_dual_mul_f32 v4, v155, v11
	s_delay_alu instid0(VALU_DEP_3) | instskip(NEXT) | instid1(VALU_DEP_3)
	v_add_f32_e32 v2, v3, v2
	v_fma_f32 v5, v152, v8, -v5
	v_dual_mul_f32 v3, v157, v13 :: v_dual_fmac_f32 v206, v163, v18
	s_delay_alu instid0(VALU_DEP_4) | instskip(SKIP_1) | instid1(VALU_DEP_4)
	v_fma_f32 v4, v154, v10, -v4
	v_dual_fmac_f32 v201, v153, v8 :: v_dual_fmac_f32 v202, v155, v10
	v_add_f32_e32 v2, v2, v5
	v_add_f32_e32 v1, 0, v1
	v_fma_f32 v3, v156, v12, -v3
	v_fmac_f32_e32 v204, v159, v14
	s_wait_loadcnt_dscnt 0x807
	v_dual_mul_f32 v208, v166, v115 :: v_dual_mul_f32 v209, v168, v117
	v_dual_add_f32 v1, v1, v22 :: v_dual_add_f32 v2, v2, v4
	v_mul_f32_e32 v4, v161, v17
	s_wait_loadcnt_dscnt 0x605
	v_dual_mul_f32 v212, v174, v123 :: v_dual_mul_f32 v213, v176, v125
	s_delay_alu instid0(VALU_DEP_3) | instskip(NEXT) | instid1(VALU_DEP_3)
	v_dual_add_f32 v1, v1, v200 :: v_dual_add_f32 v2, v2, v3
	v_fma_f32 v4, v160, v16, -v4
	v_mul_f32_e32 v5, v159, v15
	v_dual_mul_f32 v210, v170, v119 :: v_dual_mul_f32 v211, v172, v121
	s_wait_loadcnt_dscnt 0x302
	v_dual_add_f32 v1, v1, v201 :: v_dual_mul_f32 v218, v186, v135
	v_mul_f32_e32 v219, v188, v137
	v_fma_f32 v5, v158, v14, -v5
	v_fmac_f32_e32 v203, v157, v12
	s_delay_alu instid0(VALU_DEP_4)
	v_add_f32_e32 v1, v1, v202
	v_fmac_f32_e32 v208, v167, v114
	v_dual_mul_f32 v214, v178, v127 :: v_dual_mul_f32 v215, v180, v129
	v_add_f32_e32 v2, v2, v5
	v_dual_fmac_f32 v210, v171, v118 :: v_dual_fmac_f32 v209, v169, v116
	v_dual_mul_f32 v216, v182, v131 :: v_dual_mul_f32 v217, v184, v133
	s_delay_alu instid0(VALU_DEP_3) | instskip(SKIP_2) | instid1(VALU_DEP_4)
	v_add_f32_e32 v2, v2, v4
	v_mul_f32_e32 v4, v167, v115
	v_add_f32_e32 v1, v1, v203
	v_dual_fmac_f32 v211, v173, v120 :: v_dual_fmac_f32 v216, v183, v130
	v_fmac_f32_e32 v213, v177, v124
	s_delay_alu instid0(VALU_DEP_4) | instskip(SKIP_4) | instid1(VALU_DEP_3)
	v_fma_f32 v4, v166, v114, -v4
	v_mul_f32_e32 v5, v165, v21
	s_wait_loadcnt_dscnt 0x201
	v_dual_add_f32 v1, v1, v204 :: v_dual_mul_f32 v220, v190, v139
	v_dual_mul_f32 v221, v192, v141 :: v_dual_fmac_f32 v212, v175, v122
	v_fma_f32 v5, v164, v20, -v5
	v_mul_f32_e32 v3, v163, v19
	s_wait_loadcnt_dscnt 0x100
	v_dual_mul_f32 v222, v194, v143 :: v_dual_mul_f32 v223, v196, v145
	v_fmac_f32_e32 v219, v189, v136
	v_fmac_f32_e32 v221, v193, v140
	v_fma_f32 v3, v162, v18, -v3
	v_fmac_f32_e32 v205, v161, v16
	v_dual_fmac_f32 v223, v197, v144 :: v_dual_fmac_f32 v218, v187, v134
	v_fmac_f32_e32 v214, v179, v126
	s_delay_alu instid0(VALU_DEP_4) | instskip(SKIP_2) | instid1(VALU_DEP_3)
	v_dual_add_f32 v2, v2, v3 :: v_dual_mul_f32 v3, v169, v117
	v_fmac_f32_e32 v220, v191, v138
	v_fmac_f32_e32 v222, v195, v142
	v_dual_add_f32 v2, v2, v5 :: v_dual_mul_f32 v5, v171, v119
	s_delay_alu instid0(VALU_DEP_4) | instskip(NEXT) | instid1(VALU_DEP_2)
	v_fma_f32 v3, v168, v116, -v3
	v_dual_add_f32 v2, v2, v4 :: v_dual_add_f32 v1, v1, v205
	v_mul_f32_e32 v4, v173, v121
	s_delay_alu instid0(VALU_DEP_4) | instskip(NEXT) | instid1(VALU_DEP_3)
	v_fma_f32 v5, v170, v118, -v5
	v_dual_add_f32 v2, v2, v3 :: v_dual_fmac_f32 v207, v165, v20
	s_delay_alu instid0(VALU_DEP_3) | instskip(NEXT) | instid1(VALU_DEP_2)
	v_fma_f32 v4, v172, v120, -v4
	v_add_f32_e32 v2, v2, v5
	v_mul_f32_e32 v5, v177, v125
	s_delay_alu instid0(VALU_DEP_2) | instskip(NEXT) | instid1(VALU_DEP_2)
	v_dual_add_f32 v1, v1, v206 :: v_dual_add_f32 v2, v2, v4
	v_fma_f32 v5, v176, v124, -v5
	v_mul_f32_e32 v3, v175, v123
	s_delay_alu instid0(VALU_DEP_3) | instskip(SKIP_1) | instid1(VALU_DEP_3)
	v_add_f32_e32 v1, v1, v207
	v_mul_f32_e32 v4, v179, v127
	v_fma_f32 v3, v174, v122, -v3
	s_delay_alu instid0(VALU_DEP_3) | instskip(NEXT) | instid1(VALU_DEP_3)
	v_add_f32_e32 v1, v1, v208
	v_fma_f32 v4, v178, v126, -v4
	s_delay_alu instid0(VALU_DEP_3) | instskip(NEXT) | instid1(VALU_DEP_1)
	v_add_f32_e32 v2, v2, v3
	v_add_f32_e32 v2, v2, v5
	s_delay_alu instid0(VALU_DEP_4) | instskip(NEXT) | instid1(VALU_DEP_2)
	v_add_f32_e32 v1, v1, v209
	v_dual_mul_f32 v5, v183, v131 :: v_dual_add_f32 v2, v2, v4
	v_mul_f32_e32 v4, v185, v133
	s_delay_alu instid0(VALU_DEP_2) | instskip(NEXT) | instid1(VALU_DEP_2)
	v_fma_f32 v5, v182, v130, -v5
	v_fma_f32 v4, v184, v132, -v4
	v_mul_f32_e32 v3, v181, v129
	s_delay_alu instid0(VALU_DEP_1) | instskip(NEXT) | instid1(VALU_DEP_1)
	v_fma_f32 v3, v180, v128, -v3
	v_dual_add_f32 v1, v1, v210 :: v_dual_add_f32 v2, v2, v3
	s_delay_alu instid0(VALU_DEP_1) | instskip(NEXT) | instid1(VALU_DEP_2)
	v_add_f32_e32 v1, v1, v211
	v_dual_mul_f32 v3, v187, v135 :: v_dual_add_f32 v2, v2, v5
	v_mul_f32_e32 v5, v189, v137
	s_delay_alu instid0(VALU_DEP_2) | instskip(NEXT) | instid1(VALU_DEP_3)
	v_fma_f32 v3, v186, v134, -v3
	v_add_f32_e32 v2, v2, v4
	v_dual_add_f32 v1, v1, v212 :: v_dual_mul_f32 v4, v191, v139
	s_delay_alu instid0(VALU_DEP_4) | instskip(NEXT) | instid1(VALU_DEP_2)
	v_fma_f32 v5, v188, v136, -v5
	v_dual_add_f32 v2, v2, v3 :: v_dual_add_f32 v1, v1, v213
	v_fmac_f32_e32 v215, v181, v128
	v_mul_f32_e32 v3, v193, v141
	v_fma_f32 v4, v190, v138, -v4
	s_delay_alu instid0(VALU_DEP_4) | instskip(SKIP_1) | instid1(VALU_DEP_4)
	v_dual_add_f32 v2, v2, v5 :: v_dual_add_f32 v1, v1, v214
	v_mul_f32_e32 v5, v195, v143
	v_fma_f32 v3, v192, v140, -v3
	s_delay_alu instid0(VALU_DEP_3) | instskip(SKIP_1) | instid1(VALU_DEP_4)
	v_dual_add_f32 v2, v2, v4 :: v_dual_add_f32 v1, v1, v215
	v_fmac_f32_e32 v217, v185, v132
	v_fma_f32 v5, v194, v142, -v5
	v_mul_f32_e32 v4, v197, v145
	s_delay_alu instid0(VALU_DEP_4) | instskip(NEXT) | instid1(VALU_DEP_2)
	v_dual_add_f32 v2, v2, v3 :: v_dual_add_f32 v1, v1, v216
	v_fma_f32 v3, v196, v144, -v4
	s_delay_alu instid0(VALU_DEP_2) | instskip(NEXT) | instid1(VALU_DEP_1)
	v_add_f32_e32 v2, v2, v5
	v_dual_add_f32 v1, v1, v217 :: v_dual_add_f32 v2, v2, v3
	s_delay_alu instid0(VALU_DEP_1) | instskip(NEXT) | instid1(VALU_DEP_1)
	v_add_f32_e32 v1, v1, v218
	v_add_f32_e32 v1, v1, v219
	s_delay_alu instid0(VALU_DEP_1) | instskip(NEXT) | instid1(VALU_DEP_1)
	v_add_f32_e32 v1, v1, v220
	v_add_f32_e32 v1, v1, v221
	;; [unrolled: 3-line block ×3, first 2 shown]
	s_wait_loadcnt 0x0
	s_delay_alu instid0(VALU_DEP_1)
	v_dual_sub_f32 v1, v198, v2 :: v_dual_sub_f32 v2, v199, v3
	scratch_store_b64 off, v[1:2], off offset:144
	v_cmpx_lt_u32_e32 17, v0
	s_cbranch_execz .LBB44_249
; %bb.248:
	scratch_load_b64 v[1:2], off, off offset:136
	v_mov_b32_e32 v3, 0
	s_delay_alu instid0(VALU_DEP_1)
	v_mov_b32_e32 v4, v3
	scratch_store_b64 off, v[3:4], off offset:136
	s_wait_loadcnt 0x0
	ds_store_b64 v23, v[1:2]
.LBB44_249:
	s_wait_alu 0xfffe
	s_or_b32 exec_lo, exec_lo, s0
	s_wait_storecnt_dscnt 0x0
	s_barrier_signal -1
	s_barrier_wait -1
	global_inv scope:SCOPE_SE
	s_clause 0xe
	scratch_load_b128 v[2:5], off, off offset:144
	scratch_load_b128 v[6:9], off, off offset:160
	;; [unrolled: 1-line block ×13, first 2 shown]
	scratch_load_b64 v[198:199], off, off offset:352
	scratch_load_b64 v[200:201], off, off offset:136
	v_mov_b32_e32 v1, 0
	ds_load_b128 v[146:149], v1 offset:512
	ds_load_b128 v[150:153], v1 offset:528
	;; [unrolled: 1-line block ×13, first 2 shown]
	ds_load_b64 v[202:203], v1 offset:720
	s_mov_b32 s0, exec_lo
	s_wait_loadcnt_dscnt 0xe0d
	v_mul_f32_e32 v22, v146, v3
	s_wait_loadcnt_dscnt 0xd0c
	v_dual_mul_f32 v204, v148, v5 :: v_dual_mul_f32 v205, v150, v7
	v_mul_f32_e32 v5, v149, v5
	s_wait_loadcnt_dscnt 0xc0b
	v_dual_mul_f32 v206, v152, v9 :: v_dual_mul_f32 v207, v154, v11
	s_wait_loadcnt_dscnt 0xb0a
	v_dual_mul_f32 v208, v156, v13 :: v_dual_mul_f32 v209, v158, v15
	v_mul_f32_e32 v3, v147, v3
	v_fmac_f32_e32 v22, v147, v2
	s_delay_alu instid0(VALU_DEP_3)
	v_dual_fmac_f32 v207, v155, v10 :: v_dual_fmac_f32 v208, v157, v12
	s_wait_loadcnt_dscnt 0x100
	v_dual_mul_f32 v226, v192, v141 :: v_dual_mul_f32 v229, v202, v199
	v_fma_f32 v3, v146, v2, -v3
	v_mul_f32_e32 v2, v151, v7
	v_fmac_f32_e32 v204, v149, v4
	v_fma_f32 v4, v148, v4, -v5
	v_dual_add_f32 v5, 0, v22 :: v_dual_fmac_f32 v206, v153, v8
	v_add_f32_e32 v3, 0, v3
	v_fmac_f32_e32 v205, v151, v6
	v_fma_f32 v2, v150, v6, -v2
	v_dual_mul_f32 v210, v160, v17 :: v_dual_mul_f32 v211, v162, v19
	s_delay_alu instid0(VALU_DEP_4) | instskip(SKIP_2) | instid1(VALU_DEP_4)
	v_add_f32_e32 v3, v3, v4
	v_mul_f32_e32 v7, v153, v9
	v_dual_add_f32 v4, v5, v204 :: v_dual_fmac_f32 v209, v159, v14
	v_fmac_f32_e32 v210, v161, v16
	s_delay_alu instid0(VALU_DEP_4) | instskip(NEXT) | instid1(VALU_DEP_4)
	v_add_f32_e32 v2, v3, v2
	v_fma_f32 v6, v152, v8, -v7
	v_mul_f32_e32 v5, v155, v11
	v_add_f32_e32 v3, v4, v205
	v_mul_f32_e32 v4, v157, v13
	v_dual_mul_f32 v212, v164, v21 :: v_dual_mul_f32 v213, v166, v115
	v_add_f32_e32 v2, v2, v6
	v_fma_f32 v5, v154, v10, -v5
	v_mul_f32_e32 v6, v159, v15
	v_add_f32_e32 v3, v3, v206
	v_fma_f32 v4, v156, v12, -v4
	v_dual_mul_f32 v214, v168, v117 :: v_dual_mul_f32 v215, v170, v119
	s_delay_alu instid0(VALU_DEP_3) | instskip(SKIP_2) | instid1(VALU_DEP_3)
	v_dual_add_f32 v2, v2, v5 :: v_dual_add_f32 v3, v3, v207
	v_mul_f32_e32 v5, v161, v17
	v_fma_f32 v6, v158, v14, -v6
	v_dual_fmac_f32 v211, v163, v18 :: v_dual_add_f32 v2, v2, v4
	s_delay_alu instid0(VALU_DEP_4) | instskip(SKIP_3) | instid1(VALU_DEP_4)
	v_add_f32_e32 v3, v3, v208
	v_mul_f32_e32 v4, v163, v19
	v_fma_f32 v5, v160, v16, -v5
	v_fmac_f32_e32 v212, v165, v20
	v_dual_add_f32 v2, v2, v6 :: v_dual_add_f32 v3, v3, v209
	v_mul_f32_e32 v6, v165, v21
	v_fma_f32 v4, v162, v18, -v4
	v_dual_fmac_f32 v213, v167, v114 :: v_dual_fmac_f32 v214, v169, v116
	s_delay_alu instid0(VALU_DEP_4) | instskip(SKIP_3) | instid1(VALU_DEP_4)
	v_dual_add_f32 v2, v2, v5 :: v_dual_add_f32 v3, v3, v210
	v_mul_f32_e32 v5, v167, v115
	v_fma_f32 v6, v164, v20, -v6
	v_dual_mul_f32 v216, v172, v121 :: v_dual_mul_f32 v217, v174, v123
	v_dual_add_f32 v2, v2, v4 :: v_dual_add_f32 v3, v3, v211
	v_mul_f32_e32 v4, v169, v117
	v_fma_f32 v5, v166, v114, -v5
	v_fmac_f32_e32 v215, v171, v118
	s_delay_alu instid0(VALU_DEP_4) | instskip(SKIP_3) | instid1(VALU_DEP_4)
	v_dual_add_f32 v2, v2, v6 :: v_dual_add_f32 v3, v3, v212
	v_mul_f32_e32 v6, v171, v119
	v_fma_f32 v4, v168, v116, -v4
	v_fmac_f32_e32 v216, v173, v120
	v_add_f32_e32 v2, v2, v5
	v_add_f32_e32 v3, v3, v213
	v_mul_f32_e32 v5, v173, v121
	v_fma_f32 v6, v170, v118, -v6
	v_dual_mul_f32 v218, v176, v125 :: v_dual_mul_f32 v219, v178, v127
	s_delay_alu instid0(VALU_DEP_4) | instskip(SKIP_3) | instid1(VALU_DEP_4)
	v_dual_add_f32 v2, v2, v4 :: v_dual_add_f32 v3, v3, v214
	v_mul_f32_e32 v4, v175, v123
	v_fma_f32 v5, v172, v120, -v5
	v_fmac_f32_e32 v217, v175, v122
	v_dual_add_f32 v2, v2, v6 :: v_dual_add_f32 v3, v3, v215
	v_mul_f32_e32 v6, v177, v125
	v_fma_f32 v4, v174, v122, -v4
	v_fmac_f32_e32 v218, v177, v124
	s_delay_alu instid0(VALU_DEP_4) | instskip(SKIP_2) | instid1(VALU_DEP_3)
	v_dual_add_f32 v2, v2, v5 :: v_dual_add_f32 v3, v3, v216
	v_dual_mul_f32 v5, v179, v127 :: v_dual_mul_f32 v220, v180, v129
	v_mul_f32_e32 v221, v182, v131
	v_dual_add_f32 v2, v2, v4 :: v_dual_add_f32 v3, v3, v217
	v_fma_f32 v6, v176, v124, -v6
	v_dual_mul_f32 v4, v181, v129 :: v_dual_fmac_f32 v219, v179, v126
	v_fma_f32 v5, v178, v126, -v5
	s_delay_alu instid0(VALU_DEP_4) | instskip(NEXT) | instid1(VALU_DEP_4)
	v_dual_add_f32 v3, v3, v218 :: v_dual_fmac_f32 v220, v181, v128
	v_add_f32_e32 v2, v2, v6
	v_mul_f32_e32 v6, v183, v131
	v_dual_mul_f32 v222, v184, v133 :: v_dual_mul_f32 v223, v186, v135
	s_delay_alu instid0(VALU_DEP_4) | instskip(SKIP_3) | instid1(VALU_DEP_4)
	v_add_f32_e32 v3, v3, v219
	v_fma_f32 v4, v180, v128, -v4
	v_dual_add_f32 v2, v2, v5 :: v_dual_fmac_f32 v221, v183, v130
	v_fma_f32 v6, v182, v130, -v6
	v_add_f32_e32 v3, v3, v220
	s_delay_alu instid0(VALU_DEP_3) | instskip(SKIP_1) | instid1(VALU_DEP_3)
	v_dual_mul_f32 v5, v185, v133 :: v_dual_add_f32 v2, v2, v4
	v_dual_fmac_f32 v222, v185, v132 :: v_dual_fmac_f32 v223, v187, v134
	v_add_f32_e32 v3, v3, v221
	v_dual_mul_f32 v224, v188, v137 :: v_dual_mul_f32 v225, v190, v139
	v_mul_f32_e32 v4, v187, v135
	v_fma_f32 v5, v184, v132, -v5
	v_add_f32_e32 v2, v2, v6
	v_dual_mul_f32 v6, v189, v137 :: v_dual_add_f32 v3, v3, v222
	s_delay_alu instid0(VALU_DEP_4) | instskip(SKIP_1) | instid1(VALU_DEP_4)
	v_fma_f32 v4, v186, v134, -v4
	v_fmac_f32_e32 v224, v189, v136
	v_dual_add_f32 v2, v2, v5 :: v_dual_mul_f32 v5, v191, v139
	s_delay_alu instid0(VALU_DEP_4) | instskip(SKIP_1) | instid1(VALU_DEP_3)
	v_add_f32_e32 v3, v3, v223
	v_fma_f32 v6, v188, v136, -v6
	v_dual_fmac_f32 v225, v191, v138 :: v_dual_add_f32 v2, v2, v4
	s_delay_alu instid0(VALU_DEP_3) | instskip(SKIP_2) | instid1(VALU_DEP_3)
	v_dual_mul_f32 v4, v193, v141 :: v_dual_add_f32 v3, v3, v224
	v_dual_mul_f32 v227, v194, v143 :: v_dual_mul_f32 v228, v196, v145
	v_fma_f32 v5, v190, v138, -v5
	v_dual_add_f32 v2, v2, v6 :: v_dual_add_f32 v3, v3, v225
	s_delay_alu instid0(VALU_DEP_3) | instskip(SKIP_2) | instid1(VALU_DEP_3)
	v_dual_fmac_f32 v226, v193, v140 :: v_dual_fmac_f32 v227, v195, v142
	v_mul_f32_e32 v6, v195, v143
	v_fma_f32 v4, v192, v140, -v4
	v_dual_add_f32 v2, v2, v5 :: v_dual_add_f32 v3, v3, v226
	v_mul_f32_e32 v5, v197, v145
	s_delay_alu instid0(VALU_DEP_4) | instskip(SKIP_1) | instid1(VALU_DEP_4)
	v_fma_f32 v6, v194, v142, -v6
	v_dual_fmac_f32 v228, v197, v144 :: v_dual_fmac_f32 v229, v203, v198
	v_dual_add_f32 v2, v2, v4 :: v_dual_add_f32 v3, v3, v227
	v_mul_f32_e32 v4, v203, v199
	v_fma_f32 v5, v196, v144, -v5
	s_delay_alu instid0(VALU_DEP_3) | instskip(NEXT) | instid1(VALU_DEP_3)
	v_dual_add_f32 v2, v2, v6 :: v_dual_add_f32 v3, v3, v228
	v_fma_f32 v4, v202, v198, -v4
	s_delay_alu instid0(VALU_DEP_2) | instskip(SKIP_1) | instid1(VALU_DEP_1)
	v_add_f32_e32 v3, v3, v229
	s_wait_loadcnt 0x0
	v_dual_add_f32 v2, v2, v5 :: v_dual_sub_f32 v3, v201, v3
	s_delay_alu instid0(VALU_DEP_1) | instskip(NEXT) | instid1(VALU_DEP_1)
	v_add_f32_e32 v2, v2, v4
	v_sub_f32_e32 v2, v200, v2
	scratch_store_b64 off, v[2:3], off offset:136
	v_cmpx_lt_u32_e32 16, v0
	s_cbranch_execz .LBB44_251
; %bb.250:
	scratch_load_b64 v[3:4], off, off offset:128
	v_mov_b32_e32 v2, v1
	scratch_store_b64 off, v[1:2], off offset:128
	s_wait_loadcnt 0x0
	ds_store_b64 v23, v[3:4]
.LBB44_251:
	s_wait_alu 0xfffe
	s_or_b32 exec_lo, exec_lo, s0
	s_wait_storecnt_dscnt 0x0
	s_barrier_signal -1
	s_barrier_wait -1
	global_inv scope:SCOPE_SE
	s_clause 0xe
	scratch_load_b128 v[2:5], off, off offset:136
	scratch_load_b128 v[6:9], off, off offset:152
	;; [unrolled: 1-line block ×14, first 2 shown]
	scratch_load_b64 v[206:207], off, off offset:128
	ds_load_2addr_b64 v[150:153], v1 offset0:63 offset1:64
	ds_load_2addr_b64 v[154:157], v1 offset0:65 offset1:66
	;; [unrolled: 1-line block ×14, first 2 shown]
	s_mov_b32 s0, exec_lo
	s_wait_loadcnt_dscnt 0xe0d
	v_dual_mul_f32 v1, v150, v3 :: v_dual_mul_f32 v22, v152, v5
	v_mul_f32_e32 v3, v151, v3
	s_wait_loadcnt_dscnt 0xd0c
	v_dual_mul_f32 v5, v153, v5 :: v_dual_mul_f32 v208, v154, v7
	s_delay_alu instid0(VALU_DEP_3) | instskip(NEXT) | instid1(VALU_DEP_3)
	v_dual_mul_f32 v209, v156, v9 :: v_dual_fmac_f32 v22, v153, v4
	v_fma_f32 v3, v150, v2, -v3
	v_fmac_f32_e32 v1, v151, v2
	v_mul_f32_e32 v2, v155, v7
	v_fma_f32 v4, v152, v4, -v5
	s_delay_alu instid0(VALU_DEP_4)
	v_dual_fmac_f32 v208, v155, v6 :: v_dual_add_f32 v3, 0, v3
	s_wait_loadcnt_dscnt 0xa09
	v_dual_mul_f32 v214, v166, v19 :: v_dual_mul_f32 v215, v168, v21
	v_fma_f32 v2, v154, v6, -v2
	v_dual_mul_f32 v210, v158, v11 :: v_dual_mul_f32 v211, v160, v13
	v_add_f32_e32 v3, v3, v4
	v_dual_mul_f32 v5, v157, v9 :: v_dual_mul_f32 v212, v162, v15
	v_dual_mul_f32 v213, v164, v17 :: v_dual_mul_f32 v4, v159, v11
	s_delay_alu instid0(VALU_DEP_3) | instskip(NEXT) | instid1(VALU_DEP_3)
	v_add_f32_e32 v2, v3, v2
	v_fma_f32 v5, v156, v8, -v5
	v_dual_mul_f32 v3, v161, v13 :: v_dual_fmac_f32 v214, v167, v18
	s_delay_alu instid0(VALU_DEP_4) | instskip(SKIP_1) | instid1(VALU_DEP_4)
	v_fma_f32 v4, v158, v10, -v4
	v_dual_fmac_f32 v209, v157, v8 :: v_dual_fmac_f32 v210, v159, v10
	v_add_f32_e32 v2, v2, v5
	v_add_f32_e32 v1, 0, v1
	v_fma_f32 v3, v160, v12, -v3
	v_fmac_f32_e32 v212, v163, v14
	s_wait_loadcnt_dscnt 0x908
	v_dual_mul_f32 v216, v170, v115 :: v_dual_mul_f32 v217, v172, v117
	v_dual_add_f32 v1, v1, v22 :: v_dual_add_f32 v2, v2, v4
	v_mul_f32_e32 v4, v165, v17
	s_wait_loadcnt_dscnt 0x706
	v_dual_mul_f32 v220, v178, v123 :: v_dual_mul_f32 v221, v180, v125
	s_delay_alu instid0(VALU_DEP_3) | instskip(NEXT) | instid1(VALU_DEP_3)
	v_dual_add_f32 v1, v1, v208 :: v_dual_add_f32 v2, v2, v3
	v_fma_f32 v4, v164, v16, -v4
	v_mul_f32_e32 v5, v163, v15
	v_dual_mul_f32 v218, v174, v119 :: v_dual_mul_f32 v219, v176, v121
	s_wait_loadcnt_dscnt 0x403
	v_dual_add_f32 v1, v1, v209 :: v_dual_mul_f32 v226, v190, v135
	v_mul_f32_e32 v227, v192, v137
	v_fma_f32 v5, v162, v14, -v5
	v_fmac_f32_e32 v211, v161, v12
	s_delay_alu instid0(VALU_DEP_4)
	v_add_f32_e32 v1, v1, v210
	v_fmac_f32_e32 v216, v171, v114
	v_dual_mul_f32 v222, v182, v127 :: v_dual_mul_f32 v223, v184, v129
	v_add_f32_e32 v2, v2, v5
	v_dual_fmac_f32 v218, v175, v118 :: v_dual_fmac_f32 v217, v173, v116
	v_dual_mul_f32 v224, v186, v131 :: v_dual_mul_f32 v225, v188, v133
	s_delay_alu instid0(VALU_DEP_3) | instskip(SKIP_2) | instid1(VALU_DEP_4)
	v_add_f32_e32 v2, v2, v4
	v_mul_f32_e32 v4, v171, v115
	v_add_f32_e32 v1, v1, v211
	v_dual_fmac_f32 v219, v177, v120 :: v_dual_fmac_f32 v224, v187, v130
	s_wait_loadcnt_dscnt 0x100
	v_dual_mul_f32 v232, v202, v147 :: v_dual_mul_f32 v233, v204, v149
	v_fma_f32 v4, v170, v114, -v4
	v_mul_f32_e32 v5, v169, v21
	v_dual_add_f32 v1, v1, v212 :: v_dual_fmac_f32 v220, v179, v122
	v_dual_fmac_f32 v221, v181, v124 :: v_dual_mul_f32 v228, v194, v139
	v_mul_f32_e32 v229, v196, v141
	s_delay_alu instid0(VALU_DEP_4) | instskip(SKIP_2) | instid1(VALU_DEP_4)
	v_fma_f32 v5, v168, v20, -v5
	v_mul_f32_e32 v3, v167, v19
	v_dual_mul_f32 v230, v198, v143 :: v_dual_mul_f32 v231, v200, v145
	v_fmac_f32_e32 v229, v197, v140
	v_fmac_f32_e32 v233, v205, v148
	s_delay_alu instid0(VALU_DEP_4) | instskip(SKIP_3) | instid1(VALU_DEP_4)
	v_fma_f32 v3, v166, v18, -v3
	v_fmac_f32_e32 v213, v165, v16
	v_dual_fmac_f32 v231, v201, v144 :: v_dual_fmac_f32 v226, v191, v134
	v_fmac_f32_e32 v222, v183, v126
	v_dual_add_f32 v2, v2, v3 :: v_dual_mul_f32 v3, v173, v117
	v_fmac_f32_e32 v232, v203, v146
	v_fmac_f32_e32 v228, v195, v138
	;; [unrolled: 1-line block ×3, first 2 shown]
	s_delay_alu instid0(VALU_DEP_4) | instskip(SKIP_1) | instid1(VALU_DEP_2)
	v_dual_add_f32 v2, v2, v5 :: v_dual_mul_f32 v5, v175, v119
	v_fma_f32 v3, v172, v116, -v3
	v_dual_add_f32 v2, v2, v4 :: v_dual_add_f32 v1, v1, v213
	v_mul_f32_e32 v4, v177, v121
	s_delay_alu instid0(VALU_DEP_4) | instskip(NEXT) | instid1(VALU_DEP_3)
	v_fma_f32 v5, v174, v118, -v5
	v_dual_add_f32 v2, v2, v3 :: v_dual_fmac_f32 v215, v169, v20
	s_delay_alu instid0(VALU_DEP_3) | instskip(NEXT) | instid1(VALU_DEP_2)
	v_fma_f32 v4, v176, v120, -v4
	v_add_f32_e32 v2, v2, v5
	v_mul_f32_e32 v5, v181, v125
	s_delay_alu instid0(VALU_DEP_2) | instskip(NEXT) | instid1(VALU_DEP_2)
	v_dual_add_f32 v1, v1, v214 :: v_dual_add_f32 v2, v2, v4
	v_fma_f32 v5, v180, v124, -v5
	v_mul_f32_e32 v3, v179, v123
	s_delay_alu instid0(VALU_DEP_3) | instskip(SKIP_1) | instid1(VALU_DEP_3)
	v_add_f32_e32 v1, v1, v215
	v_mul_f32_e32 v4, v183, v127
	v_fma_f32 v3, v178, v122, -v3
	s_delay_alu instid0(VALU_DEP_3) | instskip(NEXT) | instid1(VALU_DEP_3)
	v_add_f32_e32 v1, v1, v216
	v_fma_f32 v4, v182, v126, -v4
	s_delay_alu instid0(VALU_DEP_3) | instskip(NEXT) | instid1(VALU_DEP_1)
	v_add_f32_e32 v2, v2, v3
	v_add_f32_e32 v2, v2, v5
	s_delay_alu instid0(VALU_DEP_4) | instskip(NEXT) | instid1(VALU_DEP_2)
	v_add_f32_e32 v1, v1, v217
	v_dual_mul_f32 v5, v187, v131 :: v_dual_add_f32 v2, v2, v4
	v_mul_f32_e32 v4, v189, v133
	s_delay_alu instid0(VALU_DEP_2) | instskip(NEXT) | instid1(VALU_DEP_2)
	v_fma_f32 v5, v186, v130, -v5
	v_fma_f32 v4, v188, v132, -v4
	v_mul_f32_e32 v3, v185, v129
	s_delay_alu instid0(VALU_DEP_1) | instskip(NEXT) | instid1(VALU_DEP_1)
	v_fma_f32 v3, v184, v128, -v3
	v_dual_add_f32 v1, v1, v218 :: v_dual_add_f32 v2, v2, v3
	s_delay_alu instid0(VALU_DEP_1) | instskip(NEXT) | instid1(VALU_DEP_2)
	v_add_f32_e32 v1, v1, v219
	v_dual_mul_f32 v3, v191, v135 :: v_dual_add_f32 v2, v2, v5
	v_mul_f32_e32 v5, v193, v137
	s_delay_alu instid0(VALU_DEP_2) | instskip(NEXT) | instid1(VALU_DEP_3)
	v_fma_f32 v3, v190, v134, -v3
	v_add_f32_e32 v2, v2, v4
	v_dual_add_f32 v1, v1, v220 :: v_dual_mul_f32 v4, v195, v139
	s_delay_alu instid0(VALU_DEP_4) | instskip(NEXT) | instid1(VALU_DEP_2)
	v_fma_f32 v5, v192, v136, -v5
	v_dual_add_f32 v2, v2, v3 :: v_dual_add_f32 v1, v1, v221
	v_fmac_f32_e32 v223, v185, v128
	v_mul_f32_e32 v3, v197, v141
	v_fma_f32 v4, v194, v138, -v4
	s_delay_alu instid0(VALU_DEP_4) | instskip(SKIP_1) | instid1(VALU_DEP_4)
	v_dual_add_f32 v2, v2, v5 :: v_dual_add_f32 v1, v1, v222
	v_mul_f32_e32 v5, v199, v143
	v_fma_f32 v3, v196, v140, -v3
	s_delay_alu instid0(VALU_DEP_3) | instskip(SKIP_3) | instid1(VALU_DEP_4)
	v_dual_add_f32 v2, v2, v4 :: v_dual_add_f32 v1, v1, v223
	v_fmac_f32_e32 v225, v189, v132
	v_mul_f32_e32 v4, v201, v145
	v_fma_f32 v5, v198, v142, -v5
	v_dual_add_f32 v2, v2, v3 :: v_dual_add_f32 v1, v1, v224
	v_mul_f32_e32 v3, v203, v147
	s_delay_alu instid0(VALU_DEP_4) | instskip(NEXT) | instid1(VALU_DEP_3)
	v_fma_f32 v4, v200, v144, -v4
	v_add_f32_e32 v2, v2, v5
	s_delay_alu instid0(VALU_DEP_4) | instskip(SKIP_2) | instid1(VALU_DEP_4)
	v_add_f32_e32 v1, v1, v225
	v_mul_f32_e32 v5, v205, v149
	v_fma_f32 v3, v202, v146, -v3
	v_add_f32_e32 v2, v2, v4
	v_fmac_f32_e32 v227, v193, v136
	s_delay_alu instid0(VALU_DEP_4) | instskip(NEXT) | instid1(VALU_DEP_3)
	v_fma_f32 v4, v204, v148, -v5
	v_dual_add_f32 v2, v2, v3 :: v_dual_add_f32 v1, v1, v226
	s_delay_alu instid0(VALU_DEP_1) | instskip(NEXT) | instid1(VALU_DEP_1)
	v_dual_add_f32 v2, v2, v4 :: v_dual_add_f32 v1, v1, v227
	v_add_f32_e32 v1, v1, v228
	s_delay_alu instid0(VALU_DEP_1) | instskip(NEXT) | instid1(VALU_DEP_1)
	v_add_f32_e32 v1, v1, v229
	v_add_f32_e32 v1, v1, v230
	s_delay_alu instid0(VALU_DEP_1) | instskip(NEXT) | instid1(VALU_DEP_1)
	v_add_f32_e32 v1, v1, v231
	v_add_f32_e32 v1, v1, v232
	s_delay_alu instid0(VALU_DEP_1) | instskip(SKIP_1) | instid1(VALU_DEP_1)
	v_add_f32_e32 v3, v1, v233
	s_wait_loadcnt 0x0
	v_dual_sub_f32 v1, v206, v2 :: v_dual_sub_f32 v2, v207, v3
	scratch_store_b64 off, v[1:2], off offset:128
	v_cmpx_lt_u32_e32 15, v0
	s_cbranch_execz .LBB44_253
; %bb.252:
	scratch_load_b64 v[1:2], off, off offset:120
	v_mov_b32_e32 v3, 0
	s_delay_alu instid0(VALU_DEP_1)
	v_mov_b32_e32 v4, v3
	scratch_store_b64 off, v[3:4], off offset:120
	s_wait_loadcnt 0x0
	ds_store_b64 v23, v[1:2]
.LBB44_253:
	s_wait_alu 0xfffe
	s_or_b32 exec_lo, exec_lo, s0
	s_wait_storecnt_dscnt 0x0
	s_barrier_signal -1
	s_barrier_wait -1
	global_inv scope:SCOPE_SE
	s_clause 0xf
	scratch_load_b128 v[2:5], off, off offset:128
	scratch_load_b128 v[6:9], off, off offset:144
	;; [unrolled: 1-line block ×14, first 2 shown]
	scratch_load_b64 v[206:207], off, off offset:352
	scratch_load_b64 v[208:209], off, off offset:120
	v_mov_b32_e32 v1, 0
	ds_load_b128 v[150:153], v1 offset:496
	ds_load_b128 v[154:157], v1 offset:512
	;; [unrolled: 1-line block ×14, first 2 shown]
	ds_load_b64 v[210:211], v1 offset:720
	s_mov_b32 s0, exec_lo
	s_wait_loadcnt_dscnt 0xf0e
	v_mul_f32_e32 v22, v150, v3
	s_wait_loadcnt_dscnt 0xe0d
	v_dual_mul_f32 v212, v152, v5 :: v_dual_mul_f32 v213, v154, v7
	v_mul_f32_e32 v5, v153, v5
	s_wait_loadcnt_dscnt 0xd0c
	v_dual_mul_f32 v214, v156, v9 :: v_dual_mul_f32 v215, v158, v11
	s_wait_loadcnt_dscnt 0xc0b
	v_dual_mul_f32 v216, v160, v13 :: v_dual_mul_f32 v217, v162, v15
	v_dual_mul_f32 v3, v151, v3 :: v_dual_mul_f32 v218, v164, v17
	s_wait_loadcnt_dscnt 0xb0a
	v_dual_mul_f32 v219, v166, v19 :: v_dual_fmac_f32 v22, v151, v2
	s_wait_loadcnt_dscnt 0x302
	v_mul_f32_e32 v236, v200, v145
	v_fma_f32 v3, v150, v2, -v3
	s_wait_loadcnt_dscnt 0x100
	v_mul_f32_e32 v239, v210, v207
	v_mul_f32_e32 v2, v155, v7
	v_fmac_f32_e32 v212, v153, v4
	v_fma_f32 v4, v152, v4, -v5
	v_add_f32_e32 v3, 0, v3
	v_dual_add_f32 v5, 0, v22 :: v_dual_fmac_f32 v214, v157, v8
	v_fmac_f32_e32 v213, v155, v6
	v_fma_f32 v2, v154, v6, -v2
	s_delay_alu instid0(VALU_DEP_4) | instskip(SKIP_3) | instid1(VALU_DEP_4)
	v_add_f32_e32 v3, v3, v4
	v_mul_f32_e32 v7, v157, v9
	v_dual_add_f32 v4, v5, v212 :: v_dual_fmac_f32 v215, v159, v10
	v_fmac_f32_e32 v216, v161, v12
	v_add_f32_e32 v2, v3, v2
	s_delay_alu instid0(VALU_DEP_4)
	v_fma_f32 v6, v156, v8, -v7
	v_mul_f32_e32 v5, v159, v11
	v_add_f32_e32 v3, v4, v213
	v_dual_mul_f32 v4, v161, v13 :: v_dual_fmac_f32 v217, v163, v14
	v_fmac_f32_e32 v218, v165, v16
	v_add_f32_e32 v2, v2, v6
	v_fma_f32 v5, v158, v10, -v5
	v_mul_f32_e32 v6, v163, v15
	v_add_f32_e32 v3, v3, v214
	v_fma_f32 v4, v160, v12, -v4
	v_dual_mul_f32 v220, v168, v21 :: v_dual_mul_f32 v221, v170, v115
	s_delay_alu instid0(VALU_DEP_3) | instskip(SKIP_3) | instid1(VALU_DEP_4)
	v_dual_add_f32 v2, v2, v5 :: v_dual_add_f32 v3, v3, v215
	v_mul_f32_e32 v5, v165, v17
	v_fma_f32 v6, v162, v14, -v6
	v_dual_mul_f32 v222, v172, v117 :: v_dual_mul_f32 v223, v174, v119
	v_add_f32_e32 v2, v2, v4
	v_add_f32_e32 v3, v3, v216
	v_mul_f32_e32 v4, v167, v19
	v_fma_f32 v5, v164, v16, -v5
	v_fmac_f32_e32 v219, v167, v18
	s_delay_alu instid0(VALU_DEP_4) | instskip(SKIP_3) | instid1(VALU_DEP_4)
	v_dual_add_f32 v2, v2, v6 :: v_dual_add_f32 v3, v3, v217
	v_fmac_f32_e32 v220, v169, v20
	v_mul_f32_e32 v6, v169, v21
	v_fma_f32 v4, v166, v18, -v4
	v_dual_add_f32 v2, v2, v5 :: v_dual_add_f32 v3, v3, v218
	v_mul_f32_e32 v5, v171, v115
	s_delay_alu instid0(VALU_DEP_4) | instskip(SKIP_1) | instid1(VALU_DEP_4)
	v_fma_f32 v6, v168, v20, -v6
	v_dual_fmac_f32 v221, v171, v114 :: v_dual_fmac_f32 v222, v173, v116
	v_dual_add_f32 v2, v2, v4 :: v_dual_add_f32 v3, v3, v219
	v_mul_f32_e32 v4, v173, v117
	v_fma_f32 v5, v170, v114, -v5
	v_fmac_f32_e32 v223, v175, v118
	s_delay_alu instid0(VALU_DEP_4) | instskip(SKIP_3) | instid1(VALU_DEP_4)
	v_dual_add_f32 v2, v2, v6 :: v_dual_add_f32 v3, v3, v220
	v_mul_f32_e32 v6, v175, v119
	v_fma_f32 v4, v172, v116, -v4
	v_dual_mul_f32 v224, v176, v121 :: v_dual_mul_f32 v225, v178, v123
	v_add_f32_e32 v2, v2, v5
	v_add_f32_e32 v3, v3, v221
	v_mul_f32_e32 v5, v177, v121
	v_fma_f32 v6, v174, v118, -v6
	v_fmac_f32_e32 v224, v177, v120
	s_delay_alu instid0(VALU_DEP_4) | instskip(SKIP_3) | instid1(VALU_DEP_4)
	v_dual_add_f32 v2, v2, v4 :: v_dual_add_f32 v3, v3, v222
	v_mul_f32_e32 v4, v179, v123
	v_fma_f32 v5, v176, v120, -v5
	v_dual_mul_f32 v226, v180, v125 :: v_dual_mul_f32 v227, v182, v127
	v_dual_add_f32 v2, v2, v6 :: v_dual_add_f32 v3, v3, v223
	v_dual_mul_f32 v6, v181, v125 :: v_dual_fmac_f32 v225, v179, v122
	v_fma_f32 v4, v178, v122, -v4
	s_delay_alu instid0(VALU_DEP_3) | instskip(SKIP_3) | instid1(VALU_DEP_4)
	v_dual_add_f32 v2, v2, v5 :: v_dual_add_f32 v3, v3, v224
	v_dual_mul_f32 v228, v184, v129 :: v_dual_mul_f32 v229, v186, v131
	v_dual_mul_f32 v5, v183, v127 :: v_dual_fmac_f32 v226, v181, v124
	v_fma_f32 v6, v180, v124, -v6
	v_dual_add_f32 v2, v2, v4 :: v_dual_add_f32 v3, v3, v225
	v_dual_mul_f32 v4, v185, v129 :: v_dual_fmac_f32 v227, v183, v126
	s_delay_alu instid0(VALU_DEP_4) | instskip(NEXT) | instid1(VALU_DEP_3)
	v_fma_f32 v5, v182, v126, -v5
	v_dual_fmac_f32 v228, v185, v128 :: v_dual_add_f32 v3, v3, v226
	s_delay_alu instid0(VALU_DEP_4) | instskip(SKIP_3) | instid1(VALU_DEP_4)
	v_add_f32_e32 v2, v2, v6
	v_mul_f32_e32 v6, v187, v131
	v_fma_f32 v4, v184, v128, -v4
	v_dual_mul_f32 v230, v188, v133 :: v_dual_mul_f32 v231, v190, v135
	v_dual_add_f32 v3, v3, v227 :: v_dual_add_f32 v2, v2, v5
	v_fmac_f32_e32 v229, v187, v130
	v_mul_f32_e32 v5, v189, v133
	v_fma_f32 v6, v186, v130, -v6
	s_delay_alu instid0(VALU_DEP_4) | instskip(SKIP_4) | instid1(VALU_DEP_4)
	v_add_f32_e32 v3, v3, v228
	v_add_f32_e32 v2, v2, v4
	v_mul_f32_e32 v4, v191, v135
	v_dual_fmac_f32 v230, v189, v132 :: v_dual_fmac_f32 v231, v191, v134
	v_fma_f32 v5, v188, v132, -v5
	v_dual_add_f32 v3, v3, v229 :: v_dual_add_f32 v2, v2, v6
	v_dual_mul_f32 v232, v192, v137 :: v_dual_mul_f32 v233, v194, v139
	s_delay_alu instid0(VALU_DEP_2) | instskip(SKIP_1) | instid1(VALU_DEP_4)
	v_dual_mul_f32 v6, v193, v137 :: v_dual_add_f32 v3, v3, v230
	v_fma_f32 v4, v190, v134, -v4
	v_dual_add_f32 v2, v2, v5 :: v_dual_mul_f32 v5, v195, v139
	s_delay_alu instid0(VALU_DEP_3) | instskip(NEXT) | instid1(VALU_DEP_4)
	v_dual_fmac_f32 v232, v193, v136 :: v_dual_add_f32 v3, v3, v231
	v_fma_f32 v6, v192, v136, -v6
	s_delay_alu instid0(VALU_DEP_3) | instskip(SKIP_1) | instid1(VALU_DEP_4)
	v_dual_add_f32 v2, v2, v4 :: v_dual_fmac_f32 v233, v195, v138
	v_dual_mul_f32 v234, v196, v141 :: v_dual_mul_f32 v235, v198, v143
	v_dual_mul_f32 v4, v197, v141 :: v_dual_add_f32 v3, v3, v232
	v_fma_f32 v5, v194, v138, -v5
	s_delay_alu instid0(VALU_DEP_4)
	v_add_f32_e32 v2, v2, v6
	v_mul_f32_e32 v6, v199, v143
	v_dual_fmac_f32 v234, v197, v140 :: v_dual_fmac_f32 v235, v199, v142
	v_fma_f32 v4, v196, v140, -v4
	v_add_f32_e32 v3, v3, v233
	v_add_f32_e32 v2, v2, v5
	v_dual_mul_f32 v237, v202, v147 :: v_dual_mul_f32 v238, v204, v149
	v_mul_f32_e32 v5, v201, v145
	v_fma_f32 v6, v198, v142, -v6
	s_delay_alu instid0(VALU_DEP_4) | instskip(SKIP_3) | instid1(VALU_DEP_4)
	v_dual_add_f32 v3, v3, v234 :: v_dual_add_f32 v2, v2, v4
	v_mul_f32_e32 v4, v203, v147
	v_dual_fmac_f32 v236, v201, v144 :: v_dual_fmac_f32 v237, v203, v146
	v_fma_f32 v5, v200, v144, -v5
	v_dual_add_f32 v3, v3, v235 :: v_dual_add_f32 v2, v2, v6
	v_mul_f32_e32 v6, v205, v149
	v_fma_f32 v4, v202, v146, -v4
	v_fmac_f32_e32 v239, v211, v206
	s_delay_alu instid0(VALU_DEP_4) | instskip(SKIP_2) | instid1(VALU_DEP_3)
	v_dual_add_f32 v3, v3, v236 :: v_dual_add_f32 v2, v2, v5
	v_dual_mul_f32 v5, v211, v207 :: v_dual_fmac_f32 v238, v205, v148
	v_fma_f32 v6, v204, v148, -v6
	v_dual_add_f32 v3, v3, v237 :: v_dual_add_f32 v2, v2, v4
	s_delay_alu instid0(VALU_DEP_3) | instskip(NEXT) | instid1(VALU_DEP_2)
	v_fma_f32 v4, v210, v206, -v5
	v_add_f32_e32 v3, v3, v238
	s_delay_alu instid0(VALU_DEP_1) | instskip(SKIP_1) | instid1(VALU_DEP_1)
	v_dual_add_f32 v2, v2, v6 :: v_dual_add_f32 v3, v3, v239
	s_wait_loadcnt 0x0
	v_dual_add_f32 v2, v2, v4 :: v_dual_sub_f32 v3, v209, v3
	s_delay_alu instid0(VALU_DEP_1)
	v_sub_f32_e32 v2, v208, v2
	scratch_store_b64 off, v[2:3], off offset:120
	v_cmpx_lt_u32_e32 14, v0
	s_cbranch_execz .LBB44_255
; %bb.254:
	scratch_load_b64 v[3:4], off, off offset:112
	v_mov_b32_e32 v2, v1
	scratch_store_b64 off, v[1:2], off offset:112
	s_wait_loadcnt 0x0
	ds_store_b64 v23, v[3:4]
.LBB44_255:
	s_wait_alu 0xfffe
	s_or_b32 exec_lo, exec_lo, s0
	s_wait_storecnt_dscnt 0x0
	s_barrier_signal -1
	s_barrier_wait -1
	global_inv scope:SCOPE_SE
	s_clause 0xf
	scratch_load_b128 v[2:5], off, off offset:120
	scratch_load_b128 v[6:9], off, off offset:136
	;; [unrolled: 1-line block ×15, first 2 shown]
	scratch_load_b64 v[214:215], off, off offset:112
	ds_load_2addr_b64 v[154:157], v1 offset0:61 offset1:62
	ds_load_2addr_b64 v[158:161], v1 offset0:63 offset1:64
	;; [unrolled: 1-line block ×15, first 2 shown]
	s_mov_b32 s0, exec_lo
	s_wait_loadcnt_dscnt 0xf0e
	v_dual_mul_f32 v1, v154, v3 :: v_dual_mul_f32 v22, v156, v5
	v_mul_f32_e32 v3, v155, v3
	s_wait_loadcnt_dscnt 0xe0d
	v_dual_mul_f32 v5, v157, v5 :: v_dual_mul_f32 v216, v158, v7
	s_delay_alu instid0(VALU_DEP_3) | instskip(NEXT) | instid1(VALU_DEP_3)
	v_dual_mul_f32 v217, v160, v9 :: v_dual_fmac_f32 v22, v157, v4
	v_fma_f32 v3, v154, v2, -v3
	v_fmac_f32_e32 v1, v155, v2
	v_mul_f32_e32 v2, v159, v7
	v_fma_f32 v4, v156, v4, -v5
	s_delay_alu instid0(VALU_DEP_4)
	v_dual_fmac_f32 v216, v159, v6 :: v_dual_add_f32 v3, 0, v3
	s_wait_loadcnt_dscnt 0xb0a
	v_dual_mul_f32 v222, v170, v19 :: v_dual_mul_f32 v223, v172, v21
	v_fma_f32 v2, v158, v6, -v2
	v_dual_mul_f32 v218, v162, v11 :: v_dual_mul_f32 v219, v164, v13
	v_add_f32_e32 v3, v3, v4
	v_dual_mul_f32 v5, v161, v9 :: v_dual_mul_f32 v220, v166, v15
	v_dual_mul_f32 v221, v168, v17 :: v_dual_mul_f32 v4, v163, v11
	s_delay_alu instid0(VALU_DEP_3) | instskip(NEXT) | instid1(VALU_DEP_3)
	v_add_f32_e32 v2, v3, v2
	v_fma_f32 v5, v160, v8, -v5
	v_dual_mul_f32 v3, v165, v13 :: v_dual_fmac_f32 v222, v171, v18
	s_delay_alu instid0(VALU_DEP_4) | instskip(SKIP_1) | instid1(VALU_DEP_4)
	v_fma_f32 v4, v162, v10, -v4
	v_dual_fmac_f32 v217, v161, v8 :: v_dual_fmac_f32 v218, v163, v10
	v_add_f32_e32 v2, v2, v5
	v_add_f32_e32 v1, 0, v1
	v_fma_f32 v3, v164, v12, -v3
	v_fmac_f32_e32 v220, v167, v14
	s_wait_loadcnt_dscnt 0xa09
	v_dual_mul_f32 v224, v174, v115 :: v_dual_mul_f32 v225, v176, v117
	v_dual_add_f32 v1, v1, v22 :: v_dual_add_f32 v2, v2, v4
	v_mul_f32_e32 v4, v169, v17
	s_wait_loadcnt_dscnt 0x807
	v_dual_mul_f32 v228, v182, v123 :: v_dual_mul_f32 v229, v184, v125
	s_delay_alu instid0(VALU_DEP_3) | instskip(NEXT) | instid1(VALU_DEP_3)
	v_dual_add_f32 v1, v1, v216 :: v_dual_add_f32 v2, v2, v3
	v_fma_f32 v4, v168, v16, -v4
	v_mul_f32_e32 v5, v167, v15
	v_dual_mul_f32 v226, v178, v119 :: v_dual_mul_f32 v227, v180, v121
	s_wait_loadcnt_dscnt 0x504
	v_dual_add_f32 v1, v1, v217 :: v_dual_mul_f32 v234, v194, v135
	v_mul_f32_e32 v235, v196, v137
	v_fma_f32 v5, v166, v14, -v5
	v_fmac_f32_e32 v219, v165, v12
	s_delay_alu instid0(VALU_DEP_4)
	v_add_f32_e32 v1, v1, v218
	v_fmac_f32_e32 v224, v175, v114
	v_dual_mul_f32 v230, v186, v127 :: v_dual_mul_f32 v231, v188, v129
	v_add_f32_e32 v2, v2, v5
	v_dual_fmac_f32 v226, v179, v118 :: v_dual_fmac_f32 v225, v177, v116
	v_dual_mul_f32 v232, v190, v131 :: v_dual_mul_f32 v233, v192, v133
	s_delay_alu instid0(VALU_DEP_3) | instskip(SKIP_2) | instid1(VALU_DEP_4)
	v_add_f32_e32 v2, v2, v4
	v_mul_f32_e32 v4, v175, v115
	v_add_f32_e32 v1, v1, v219
	v_dual_fmac_f32 v227, v181, v120 :: v_dual_fmac_f32 v232, v191, v130
	s_wait_loadcnt_dscnt 0x201
	v_dual_mul_f32 v240, v206, v147 :: v_dual_mul_f32 v241, v208, v149
	v_fma_f32 v4, v174, v114, -v4
	v_mul_f32_e32 v5, v173, v21
	v_dual_add_f32 v1, v1, v220 :: v_dual_fmac_f32 v228, v183, v122
	v_dual_fmac_f32 v229, v185, v124 :: v_dual_mul_f32 v236, v198, v139
	v_mul_f32_e32 v237, v200, v141
	s_delay_alu instid0(VALU_DEP_4) | instskip(SKIP_4) | instid1(VALU_DEP_3)
	v_fma_f32 v5, v172, v20, -v5
	v_mul_f32_e32 v3, v171, v19
	s_wait_loadcnt_dscnt 0x100
	v_dual_mul_f32 v242, v210, v151 :: v_dual_mul_f32 v243, v212, v153
	v_dual_mul_f32 v238, v202, v143 :: v_dual_mul_f32 v239, v204, v145
	v_fma_f32 v3, v170, v18, -v3
	v_fmac_f32_e32 v221, v169, v16
	v_fmac_f32_e32 v235, v197, v136
	v_fmac_f32_e32 v241, v209, v148
	s_delay_alu instid0(VALU_DEP_4) | instskip(SKIP_3) | instid1(VALU_DEP_4)
	v_dual_fmac_f32 v239, v205, v144 :: v_dual_add_f32 v2, v2, v3
	v_mul_f32_e32 v3, v177, v117
	v_dual_fmac_f32 v243, v213, v152 :: v_dual_fmac_f32 v234, v195, v134
	v_fmac_f32_e32 v230, v187, v126
	v_dual_add_f32 v2, v2, v5 :: v_dual_mul_f32 v5, v179, v119
	s_delay_alu instid0(VALU_DEP_4) | instskip(SKIP_2) | instid1(VALU_DEP_4)
	v_fma_f32 v3, v176, v116, -v3
	v_fmac_f32_e32 v240, v207, v146
	v_fmac_f32_e32 v236, v199, v138
	v_dual_add_f32 v2, v2, v4 :: v_dual_add_f32 v1, v1, v221
	v_mul_f32_e32 v4, v181, v121
	v_fma_f32 v5, v178, v118, -v5
	v_fmac_f32_e32 v242, v211, v150
	s_delay_alu instid0(VALU_DEP_4) | instskip(NEXT) | instid1(VALU_DEP_4)
	v_dual_add_f32 v2, v2, v3 :: v_dual_fmac_f32 v223, v173, v20
	v_fma_f32 v4, v180, v120, -v4
	v_fmac_f32_e32 v238, v203, v142
	s_delay_alu instid0(VALU_DEP_3) | instskip(SKIP_1) | instid1(VALU_DEP_2)
	v_add_f32_e32 v2, v2, v5
	v_mul_f32_e32 v5, v185, v125
	v_dual_add_f32 v1, v1, v222 :: v_dual_add_f32 v2, v2, v4
	s_delay_alu instid0(VALU_DEP_2) | instskip(SKIP_1) | instid1(VALU_DEP_3)
	v_fma_f32 v5, v184, v124, -v5
	v_mul_f32_e32 v3, v183, v123
	v_add_f32_e32 v1, v1, v223
	v_mul_f32_e32 v4, v187, v127
	s_delay_alu instid0(VALU_DEP_3) | instskip(NEXT) | instid1(VALU_DEP_3)
	v_fma_f32 v3, v182, v122, -v3
	v_add_f32_e32 v1, v1, v224
	s_delay_alu instid0(VALU_DEP_3) | instskip(NEXT) | instid1(VALU_DEP_3)
	v_fma_f32 v4, v186, v126, -v4
	v_add_f32_e32 v2, v2, v3
	s_delay_alu instid0(VALU_DEP_1) | instskip(NEXT) | instid1(VALU_DEP_4)
	v_add_f32_e32 v2, v2, v5
	v_add_f32_e32 v1, v1, v225
	s_delay_alu instid0(VALU_DEP_2) | instskip(SKIP_1) | instid1(VALU_DEP_2)
	v_dual_mul_f32 v5, v191, v131 :: v_dual_add_f32 v2, v2, v4
	v_mul_f32_e32 v4, v193, v133
	v_fma_f32 v5, v190, v130, -v5
	s_delay_alu instid0(VALU_DEP_2) | instskip(SKIP_1) | instid1(VALU_DEP_1)
	v_fma_f32 v4, v192, v132, -v4
	v_mul_f32_e32 v3, v189, v129
	v_fma_f32 v3, v188, v128, -v3
	s_delay_alu instid0(VALU_DEP_1) | instskip(NEXT) | instid1(VALU_DEP_1)
	v_dual_add_f32 v1, v1, v226 :: v_dual_add_f32 v2, v2, v3
	v_add_f32_e32 v1, v1, v227
	s_delay_alu instid0(VALU_DEP_2) | instskip(SKIP_1) | instid1(VALU_DEP_2)
	v_dual_mul_f32 v3, v195, v135 :: v_dual_add_f32 v2, v2, v5
	v_mul_f32_e32 v5, v197, v137
	v_fma_f32 v3, v194, v134, -v3
	s_delay_alu instid0(VALU_DEP_3) | instskip(SKIP_1) | instid1(VALU_DEP_4)
	v_add_f32_e32 v2, v2, v4
	v_dual_add_f32 v1, v1, v228 :: v_dual_mul_f32 v4, v199, v139
	v_fma_f32 v5, v196, v136, -v5
	s_delay_alu instid0(VALU_DEP_2) | instskip(SKIP_3) | instid1(VALU_DEP_4)
	v_dual_add_f32 v2, v2, v3 :: v_dual_add_f32 v1, v1, v229
	v_fmac_f32_e32 v231, v189, v128
	v_mul_f32_e32 v3, v201, v141
	v_fma_f32 v4, v198, v138, -v4
	v_dual_add_f32 v2, v2, v5 :: v_dual_add_f32 v1, v1, v230
	v_mul_f32_e32 v5, v203, v143
	s_delay_alu instid0(VALU_DEP_4) | instskip(NEXT) | instid1(VALU_DEP_3)
	v_fma_f32 v3, v200, v140, -v3
	v_dual_add_f32 v2, v2, v4 :: v_dual_add_f32 v1, v1, v231
	v_fmac_f32_e32 v233, v193, v132
	v_mul_f32_e32 v4, v205, v145
	v_fma_f32 v5, v202, v142, -v5
	s_delay_alu instid0(VALU_DEP_4) | instskip(SKIP_1) | instid1(VALU_DEP_4)
	v_dual_add_f32 v2, v2, v3 :: v_dual_add_f32 v1, v1, v232
	v_mul_f32_e32 v3, v207, v147
	v_fma_f32 v4, v204, v144, -v4
	s_delay_alu instid0(VALU_DEP_3) | instskip(NEXT) | instid1(VALU_DEP_4)
	v_add_f32_e32 v2, v2, v5
	v_add_f32_e32 v1, v1, v233
	v_mul_f32_e32 v5, v209, v149
	v_fma_f32 v3, v206, v146, -v3
	s_delay_alu instid0(VALU_DEP_3) | instskip(SKIP_1) | instid1(VALU_DEP_4)
	v_dual_add_f32 v2, v2, v4 :: v_dual_add_f32 v1, v1, v234
	v_mul_f32_e32 v4, v211, v151
	v_fma_f32 v5, v208, v148, -v5
	s_delay_alu instid0(VALU_DEP_3) | instskip(NEXT) | instid1(VALU_DEP_4)
	v_add_f32_e32 v2, v2, v3
	v_add_f32_e32 v1, v1, v235
	v_mul_f32_e32 v3, v213, v153
	v_fma_f32 v4, v210, v150, -v4
	s_delay_alu instid0(VALU_DEP_3) | instskip(NEXT) | instid1(VALU_DEP_3)
	v_dual_add_f32 v2, v2, v5 :: v_dual_add_f32 v1, v1, v236
	v_fma_f32 v3, v212, v152, -v3
	s_delay_alu instid0(VALU_DEP_2) | instskip(NEXT) | instid1(VALU_DEP_1)
	v_add_f32_e32 v2, v2, v4
	v_dual_fmac_f32 v237, v201, v140 :: v_dual_add_f32 v2, v2, v3
	s_delay_alu instid0(VALU_DEP_1) | instskip(NEXT) | instid1(VALU_DEP_1)
	v_add_f32_e32 v1, v1, v237
	v_add_f32_e32 v1, v1, v238
	s_delay_alu instid0(VALU_DEP_1) | instskip(NEXT) | instid1(VALU_DEP_1)
	v_add_f32_e32 v1, v1, v239
	v_add_f32_e32 v1, v1, v240
	;; [unrolled: 3-line block ×3, first 2 shown]
	s_delay_alu instid0(VALU_DEP_1) | instskip(SKIP_1) | instid1(VALU_DEP_1)
	v_add_f32_e32 v3, v1, v243
	s_wait_loadcnt 0x0
	v_dual_sub_f32 v1, v214, v2 :: v_dual_sub_f32 v2, v215, v3
	scratch_store_b64 off, v[1:2], off offset:112
	v_cmpx_lt_u32_e32 13, v0
	s_cbranch_execz .LBB44_257
; %bb.256:
	scratch_load_b64 v[1:2], off, off offset:104
	v_mov_b32_e32 v3, 0
	s_delay_alu instid0(VALU_DEP_1)
	v_mov_b32_e32 v4, v3
	scratch_store_b64 off, v[3:4], off offset:104
	s_wait_loadcnt 0x0
	ds_store_b64 v23, v[1:2]
.LBB44_257:
	s_wait_alu 0xfffe
	s_or_b32 exec_lo, exec_lo, s0
	s_wait_storecnt_dscnt 0x0
	s_barrier_signal -1
	s_barrier_wait -1
	global_inv scope:SCOPE_SE
	s_clause 0x10
	scratch_load_b128 v[2:5], off, off offset:112
	scratch_load_b128 v[6:9], off, off offset:128
	scratch_load_b128 v[10:13], off, off offset:144
	scratch_load_b128 v[14:17], off, off offset:160
	scratch_load_b128 v[18:21], off, off offset:176
	scratch_load_b128 v[114:117], off, off offset:192
	scratch_load_b128 v[118:121], off, off offset:208
	scratch_load_b128 v[122:125], off, off offset:224
	scratch_load_b128 v[126:129], off, off offset:240
	scratch_load_b128 v[130:133], off, off offset:256
	scratch_load_b128 v[134:137], off, off offset:272
	scratch_load_b128 v[138:141], off, off offset:288
	scratch_load_b128 v[142:145], off, off offset:304
	scratch_load_b128 v[146:149], off, off offset:320
	scratch_load_b128 v[150:153], off, off offset:336
	scratch_load_b64 v[214:215], off, off offset:352
	scratch_load_b64 v[216:217], off, off offset:104
	v_mov_b32_e32 v1, 0
	ds_load_b128 v[154:157], v1 offset:480
	ds_load_b128 v[158:161], v1 offset:496
	;; [unrolled: 1-line block ×15, first 2 shown]
	ds_load_b64 v[218:219], v1 offset:720
	s_mov_b32 s0, exec_lo
	s_wait_loadcnt_dscnt 0x100f
	v_mul_f32_e32 v22, v154, v3
	s_wait_loadcnt_dscnt 0xf0e
	v_dual_mul_f32 v220, v156, v5 :: v_dual_mul_f32 v221, v158, v7
	v_mul_f32_e32 v5, v157, v5
	s_wait_loadcnt_dscnt 0xe0d
	v_dual_mul_f32 v222, v160, v9 :: v_dual_mul_f32 v223, v162, v11
	s_wait_loadcnt_dscnt 0xd0c
	v_dual_mul_f32 v224, v164, v13 :: v_dual_mul_f32 v225, v166, v15
	;; [unrolled: 2-line block ×3, first 2 shown]
	v_mul_f32_e32 v3, v155, v3
	v_fmac_f32_e32 v22, v155, v2
	v_dual_fmac_f32 v223, v163, v10 :: v_dual_fmac_f32 v224, v165, v12
	s_wait_loadcnt_dscnt 0x100
	v_dual_mul_f32 v246, v208, v149 :: v_dual_mul_f32 v249, v218, v215
	v_fma_f32 v3, v154, v2, -v3
	v_mul_f32_e32 v2, v159, v7
	v_fmac_f32_e32 v220, v157, v4
	v_fma_f32 v4, v156, v4, -v5
	v_dual_add_f32 v5, 0, v22 :: v_dual_fmac_f32 v222, v161, v8
	v_add_f32_e32 v3, 0, v3
	v_fmac_f32_e32 v221, v159, v6
	v_fma_f32 v2, v158, v6, -v2
	v_dual_fmac_f32 v225, v167, v14 :: v_dual_fmac_f32 v226, v169, v16
	s_delay_alu instid0(VALU_DEP_4) | instskip(SKIP_3) | instid1(VALU_DEP_4)
	v_add_f32_e32 v3, v3, v4
	v_mul_f32_e32 v7, v161, v9
	v_add_f32_e32 v4, v5, v220
	v_dual_mul_f32 v228, v172, v21 :: v_dual_mul_f32 v229, v174, v115
	v_add_f32_e32 v2, v3, v2
	s_delay_alu instid0(VALU_DEP_4)
	v_fma_f32 v6, v160, v8, -v7
	v_mul_f32_e32 v5, v163, v11
	v_add_f32_e32 v3, v4, v221
	v_mul_f32_e32 v4, v165, v13
	v_dual_mul_f32 v230, v176, v117 :: v_dual_mul_f32 v231, v178, v119
	v_add_f32_e32 v2, v2, v6
	v_fma_f32 v5, v162, v10, -v5
	v_mul_f32_e32 v6, v167, v15
	v_add_f32_e32 v3, v3, v222
	v_fma_f32 v4, v164, v12, -v4
	v_dual_fmac_f32 v229, v175, v114 :: v_dual_fmac_f32 v230, v177, v116
	s_delay_alu instid0(VALU_DEP_3) | instskip(SKIP_2) | instid1(VALU_DEP_3)
	v_dual_add_f32 v2, v2, v5 :: v_dual_add_f32 v3, v3, v223
	v_mul_f32_e32 v5, v169, v17
	v_fma_f32 v6, v166, v14, -v6
	v_dual_fmac_f32 v227, v171, v18 :: v_dual_add_f32 v2, v2, v4
	s_delay_alu instid0(VALU_DEP_4) | instskip(SKIP_3) | instid1(VALU_DEP_4)
	v_add_f32_e32 v3, v3, v224
	v_mul_f32_e32 v4, v171, v19
	v_fma_f32 v5, v168, v16, -v5
	v_fmac_f32_e32 v228, v173, v20
	v_dual_add_f32 v2, v2, v6 :: v_dual_add_f32 v3, v3, v225
	v_mul_f32_e32 v6, v173, v21
	v_fma_f32 v4, v170, v18, -v4
	v_dual_mul_f32 v232, v180, v121 :: v_dual_mul_f32 v233, v182, v123
	s_delay_alu instid0(VALU_DEP_4) | instskip(SKIP_3) | instid1(VALU_DEP_4)
	v_dual_add_f32 v2, v2, v5 :: v_dual_add_f32 v3, v3, v226
	v_mul_f32_e32 v5, v175, v115
	v_fma_f32 v6, v172, v20, -v6
	v_dual_mul_f32 v234, v184, v125 :: v_dual_mul_f32 v235, v186, v127
	v_dual_add_f32 v2, v2, v4 :: v_dual_add_f32 v3, v3, v227
	v_mul_f32_e32 v4, v177, v117
	v_fma_f32 v5, v174, v114, -v5
	v_fmac_f32_e32 v231, v179, v118
	s_delay_alu instid0(VALU_DEP_4) | instskip(SKIP_3) | instid1(VALU_DEP_4)
	v_dual_add_f32 v2, v2, v6 :: v_dual_add_f32 v3, v3, v228
	v_mul_f32_e32 v6, v179, v119
	v_fma_f32 v4, v176, v116, -v4
	v_fmac_f32_e32 v232, v181, v120
	v_add_f32_e32 v2, v2, v5
	v_add_f32_e32 v3, v3, v229
	v_mul_f32_e32 v5, v181, v121
	v_fma_f32 v6, v178, v118, -v6
	s_delay_alu instid0(VALU_DEP_4) | instskip(NEXT) | instid1(VALU_DEP_4)
	v_dual_fmac_f32 v233, v183, v122 :: v_dual_add_f32 v2, v2, v4
	v_add_f32_e32 v3, v3, v230
	v_mul_f32_e32 v4, v183, v123
	v_fma_f32 v5, v180, v120, -v5
	v_fmac_f32_e32 v234, v185, v124
	s_delay_alu instid0(VALU_DEP_4) | instskip(SKIP_3) | instid1(VALU_DEP_4)
	v_dual_add_f32 v2, v2, v6 :: v_dual_add_f32 v3, v3, v231
	v_mul_f32_e32 v6, v185, v125
	v_fma_f32 v4, v182, v122, -v4
	v_dual_mul_f32 v236, v188, v129 :: v_dual_mul_f32 v237, v190, v131
	v_dual_add_f32 v2, v2, v5 :: v_dual_add_f32 v3, v3, v232
	v_mul_f32_e32 v5, v187, v127
	v_fma_f32 v6, v184, v124, -v6
	s_delay_alu instid0(VALU_DEP_3) | instskip(NEXT) | instid1(VALU_DEP_4)
	v_dual_fmac_f32 v235, v187, v126 :: v_dual_add_f32 v2, v2, v4
	v_add_f32_e32 v3, v3, v233
	v_mul_f32_e32 v4, v189, v129
	v_fma_f32 v5, v186, v126, -v5
	v_fmac_f32_e32 v236, v189, v128
	v_dual_mul_f32 v238, v192, v133 :: v_dual_mul_f32 v239, v194, v135
	v_add_f32_e32 v3, v3, v234
	v_add_f32_e32 v2, v2, v6
	v_mul_f32_e32 v6, v191, v131
	v_fma_f32 v4, v188, v128, -v4
	v_fmac_f32_e32 v237, v191, v130
	s_delay_alu instid0(VALU_DEP_4) | instskip(NEXT) | instid1(VALU_DEP_4)
	v_dual_add_f32 v3, v3, v235 :: v_dual_add_f32 v2, v2, v5
	v_fma_f32 v6, v190, v130, -v6
	v_mul_f32_e32 v5, v193, v133
	v_dual_fmac_f32 v238, v193, v132 :: v_dual_fmac_f32 v239, v195, v134
	s_delay_alu instid0(VALU_DEP_4) | instskip(SKIP_3) | instid1(VALU_DEP_4)
	v_add_f32_e32 v3, v3, v236
	v_add_f32_e32 v2, v2, v4
	v_dual_mul_f32 v240, v196, v137 :: v_dual_mul_f32 v241, v198, v139
	v_mul_f32_e32 v4, v195, v135
	v_add_f32_e32 v3, v3, v237
	v_fma_f32 v5, v192, v132, -v5
	v_add_f32_e32 v2, v2, v6
	v_mul_f32_e32 v6, v197, v137
	v_fma_f32 v4, v194, v134, -v4
	v_dual_add_f32 v3, v3, v238 :: v_dual_fmac_f32 v240, v197, v136
	s_delay_alu instid0(VALU_DEP_4) | instskip(SKIP_1) | instid1(VALU_DEP_3)
	v_dual_add_f32 v2, v2, v5 :: v_dual_mul_f32 v5, v199, v139
	v_dual_mul_f32 v242, v200, v141 :: v_dual_mul_f32 v243, v202, v143
	v_add_f32_e32 v3, v3, v239
	v_fma_f32 v6, v196, v136, -v6
	s_delay_alu instid0(VALU_DEP_4) | instskip(NEXT) | instid1(VALU_DEP_3)
	v_dual_add_f32 v2, v2, v4 :: v_dual_fmac_f32 v241, v199, v138
	v_dual_mul_f32 v4, v201, v141 :: v_dual_add_f32 v3, v3, v240
	v_fma_f32 v5, v198, v138, -v5
	s_delay_alu instid0(VALU_DEP_3) | instskip(SKIP_1) | instid1(VALU_DEP_4)
	v_add_f32_e32 v2, v2, v6
	v_dual_fmac_f32 v242, v201, v140 :: v_dual_fmac_f32 v243, v203, v142
	v_add_f32_e32 v3, v3, v241
	v_dual_mul_f32 v244, v204, v145 :: v_dual_mul_f32 v245, v206, v147
	v_mul_f32_e32 v6, v203, v143
	v_fma_f32 v4, v200, v140, -v4
	s_delay_alu instid0(VALU_DEP_4) | instskip(SKIP_1) | instid1(VALU_DEP_4)
	v_dual_add_f32 v2, v2, v5 :: v_dual_add_f32 v3, v3, v242
	v_mul_f32_e32 v5, v205, v145
	v_fma_f32 v6, v202, v142, -v6
	v_dual_fmac_f32 v244, v205, v144 :: v_dual_fmac_f32 v245, v207, v146
	s_delay_alu instid0(VALU_DEP_4) | instskip(SKIP_3) | instid1(VALU_DEP_4)
	v_dual_add_f32 v2, v2, v4 :: v_dual_add_f32 v3, v3, v243
	v_mul_f32_e32 v4, v207, v147
	v_fma_f32 v5, v204, v144, -v5
	v_dual_mul_f32 v247, v210, v151 :: v_dual_mul_f32 v248, v212, v153
	v_dual_add_f32 v2, v2, v6 :: v_dual_add_f32 v3, v3, v244
	s_delay_alu instid0(VALU_DEP_4) | instskip(SKIP_2) | instid1(VALU_DEP_4)
	v_fma_f32 v4, v206, v146, -v4
	v_fmac_f32_e32 v246, v209, v148
	v_mul_f32_e32 v6, v209, v149
	v_dual_add_f32 v2, v2, v5 :: v_dual_fmac_f32 v247, v211, v150
	v_add_f32_e32 v3, v3, v245
	v_mul_f32_e32 v5, v211, v151
	s_delay_alu instid0(VALU_DEP_4) | instskip(NEXT) | instid1(VALU_DEP_4)
	v_fma_f32 v6, v208, v148, -v6
	v_add_f32_e32 v2, v2, v4
	v_dual_fmac_f32 v248, v213, v152 :: v_dual_fmac_f32 v249, v219, v214
	v_dual_add_f32 v3, v3, v246 :: v_dual_mul_f32 v4, v213, v153
	v_fma_f32 v5, v210, v150, -v5
	s_delay_alu instid0(VALU_DEP_2) | instskip(SKIP_1) | instid1(VALU_DEP_4)
	v_dual_add_f32 v3, v3, v247 :: v_dual_add_f32 v2, v2, v6
	v_mul_f32_e32 v6, v219, v215
	v_fma_f32 v4, v212, v152, -v4
	s_delay_alu instid0(VALU_DEP_3) | instskip(NEXT) | instid1(VALU_DEP_1)
	v_add_f32_e32 v3, v3, v248
	v_add_f32_e32 v3, v3, v249
	;; [unrolled: 1-line block ×3, first 2 shown]
	v_fma_f32 v5, v218, v214, -v6
	s_wait_loadcnt 0x0
	s_delay_alu instid0(VALU_DEP_2) | instskip(NEXT) | instid1(VALU_DEP_1)
	v_dual_sub_f32 v3, v217, v3 :: v_dual_add_f32 v2, v2, v4
	v_add_f32_e32 v2, v2, v5
	s_delay_alu instid0(VALU_DEP_1)
	v_sub_f32_e32 v2, v216, v2
	scratch_store_b64 off, v[2:3], off offset:104
	v_cmpx_lt_u32_e32 12, v0
	s_cbranch_execz .LBB44_259
; %bb.258:
	scratch_load_b64 v[3:4], off, off offset:96
	v_mov_b32_e32 v2, v1
	scratch_store_b64 off, v[1:2], off offset:96
	s_wait_loadcnt 0x0
	ds_store_b64 v23, v[3:4]
.LBB44_259:
	s_wait_alu 0xfffe
	s_or_b32 exec_lo, exec_lo, s0
	s_wait_storecnt_dscnt 0x0
	s_barrier_signal -1
	s_barrier_wait -1
	global_inv scope:SCOPE_SE
	s_clause 0x10
	scratch_load_b128 v[2:5], off, off offset:104
	scratch_load_b128 v[6:9], off, off offset:120
	;; [unrolled: 1-line block ×16, first 2 shown]
	scratch_load_b64 v[222:223], off, off offset:96
	ds_load_2addr_b64 v[158:161], v1 offset0:59 offset1:60
	ds_load_2addr_b64 v[162:165], v1 offset0:61 offset1:62
	;; [unrolled: 1-line block ×16, first 2 shown]
	s_mov_b32 s0, exec_lo
	s_wait_loadcnt_dscnt 0x100f
	v_dual_mul_f32 v1, v158, v3 :: v_dual_mul_f32 v22, v160, v5
	v_mul_f32_e32 v3, v159, v3
	s_wait_loadcnt_dscnt 0xf0e
	v_dual_mul_f32 v5, v161, v5 :: v_dual_mul_f32 v224, v162, v7
	s_delay_alu instid0(VALU_DEP_3) | instskip(NEXT) | instid1(VALU_DEP_3)
	v_dual_mul_f32 v225, v164, v9 :: v_dual_fmac_f32 v22, v161, v4
	v_fma_f32 v3, v158, v2, -v3
	v_fmac_f32_e32 v1, v159, v2
	v_mul_f32_e32 v2, v163, v7
	v_fma_f32 v4, v160, v4, -v5
	s_delay_alu instid0(VALU_DEP_4)
	v_dual_fmac_f32 v224, v163, v6 :: v_dual_add_f32 v3, 0, v3
	s_wait_loadcnt_dscnt 0xc0b
	v_dual_mul_f32 v230, v174, v19 :: v_dual_mul_f32 v231, v176, v21
	v_fma_f32 v2, v162, v6, -v2
	v_dual_mul_f32 v226, v166, v11 :: v_dual_mul_f32 v227, v168, v13
	v_add_f32_e32 v3, v3, v4
	v_dual_mul_f32 v5, v165, v9 :: v_dual_mul_f32 v228, v170, v15
	v_dual_mul_f32 v229, v172, v17 :: v_dual_mul_f32 v4, v167, v11
	s_delay_alu instid0(VALU_DEP_3) | instskip(NEXT) | instid1(VALU_DEP_3)
	v_add_f32_e32 v2, v3, v2
	v_fma_f32 v5, v164, v8, -v5
	v_dual_mul_f32 v3, v169, v13 :: v_dual_fmac_f32 v230, v175, v18
	s_delay_alu instid0(VALU_DEP_4) | instskip(SKIP_1) | instid1(VALU_DEP_4)
	v_fma_f32 v4, v166, v10, -v4
	v_dual_fmac_f32 v225, v165, v8 :: v_dual_fmac_f32 v226, v167, v10
	v_add_f32_e32 v2, v2, v5
	v_add_f32_e32 v1, 0, v1
	v_fma_f32 v3, v168, v12, -v3
	v_fmac_f32_e32 v228, v171, v14
	s_wait_loadcnt_dscnt 0xb0a
	v_dual_mul_f32 v232, v178, v115 :: v_dual_mul_f32 v233, v180, v117
	v_dual_add_f32 v1, v1, v22 :: v_dual_add_f32 v2, v2, v4
	v_mul_f32_e32 v4, v173, v17
	s_wait_loadcnt_dscnt 0x908
	v_dual_mul_f32 v236, v186, v123 :: v_dual_mul_f32 v237, v188, v125
	s_delay_alu instid0(VALU_DEP_3) | instskip(NEXT) | instid1(VALU_DEP_3)
	v_dual_add_f32 v1, v1, v224 :: v_dual_add_f32 v2, v2, v3
	v_fma_f32 v4, v172, v16, -v4
	v_mul_f32_e32 v5, v171, v15
	v_dual_mul_f32 v234, v182, v119 :: v_dual_mul_f32 v235, v184, v121
	s_wait_loadcnt_dscnt 0x605
	v_dual_add_f32 v1, v1, v225 :: v_dual_mul_f32 v242, v198, v135
	v_mul_f32_e32 v243, v200, v137
	v_fma_f32 v5, v170, v14, -v5
	v_fmac_f32_e32 v227, v169, v12
	s_delay_alu instid0(VALU_DEP_4)
	v_add_f32_e32 v1, v1, v226
	v_fmac_f32_e32 v232, v179, v114
	v_dual_mul_f32 v238, v190, v127 :: v_dual_mul_f32 v239, v192, v129
	v_add_f32_e32 v2, v2, v5
	v_dual_fmac_f32 v234, v183, v118 :: v_dual_fmac_f32 v233, v181, v116
	v_dual_mul_f32 v240, v194, v131 :: v_dual_mul_f32 v241, v196, v133
	s_delay_alu instid0(VALU_DEP_3) | instskip(SKIP_2) | instid1(VALU_DEP_4)
	v_add_f32_e32 v2, v2, v4
	v_mul_f32_e32 v4, v179, v115
	v_add_f32_e32 v1, v1, v227
	v_dual_fmac_f32 v235, v185, v120 :: v_dual_fmac_f32 v240, v195, v130
	s_wait_loadcnt_dscnt 0x302
	v_dual_mul_f32 v248, v210, v147 :: v_dual_mul_f32 v249, v212, v149
	v_fma_f32 v4, v178, v114, -v4
	v_mul_f32_e32 v5, v177, v21
	v_dual_add_f32 v1, v1, v228 :: v_dual_fmac_f32 v236, v187, v122
	v_dual_fmac_f32 v237, v189, v124 :: v_dual_mul_f32 v244, v202, v139
	v_mul_f32_e32 v245, v204, v141
	s_delay_alu instid0(VALU_DEP_4) | instskip(SKIP_4) | instid1(VALU_DEP_3)
	v_fma_f32 v5, v176, v20, -v5
	v_mul_f32_e32 v3, v175, v19
	s_wait_loadcnt_dscnt 0x201
	v_dual_mul_f32 v250, v214, v151 :: v_dual_mul_f32 v251, v216, v153
	v_dual_mul_f32 v246, v206, v143 :: v_dual_mul_f32 v247, v208, v145
	v_fma_f32 v3, v174, v18, -v3
	v_fmac_f32_e32 v229, v173, v16
	s_wait_loadcnt_dscnt 0x100
	v_dual_fmac_f32 v243, v201, v136 :: v_dual_mul_f32 v252, v218, v155
	s_delay_alu instid0(VALU_DEP_3) | instskip(SKIP_1) | instid1(VALU_DEP_3)
	v_dual_mul_f32 v253, v220, v157 :: v_dual_add_f32 v2, v2, v3
	v_mul_f32_e32 v3, v181, v117
	v_dual_fmac_f32 v245, v205, v140 :: v_dual_fmac_f32 v252, v219, v154
	s_delay_alu instid0(VALU_DEP_3) | instskip(SKIP_1) | instid1(VALU_DEP_4)
	v_dual_fmac_f32 v249, v213, v148 :: v_dual_add_f32 v2, v2, v5
	v_mul_f32_e32 v5, v183, v119
	v_fma_f32 v3, v180, v116, -v3
	v_dual_fmac_f32 v242, v199, v134 :: v_dual_fmac_f32 v251, v217, v152
	s_delay_alu instid0(VALU_DEP_4) | instskip(SKIP_3) | instid1(VALU_DEP_4)
	v_dual_add_f32 v2, v2, v4 :: v_dual_add_f32 v1, v1, v229
	v_mul_f32_e32 v4, v185, v121
	v_fma_f32 v5, v182, v118, -v5
	v_fmac_f32_e32 v238, v191, v126
	v_dual_add_f32 v2, v2, v3 :: v_dual_fmac_f32 v231, v177, v20
	s_delay_alu instid0(VALU_DEP_4) | instskip(SKIP_1) | instid1(VALU_DEP_3)
	v_fma_f32 v4, v184, v120, -v4
	v_dual_fmac_f32 v253, v221, v156 :: v_dual_fmac_f32 v248, v211, v146
	v_add_f32_e32 v2, v2, v5
	v_mul_f32_e32 v5, v189, v125
	v_add_f32_e32 v1, v1, v230
	v_fmac_f32_e32 v244, v203, v138
	v_fmac_f32_e32 v250, v215, v150
	v_add_f32_e32 v2, v2, v4
	v_fma_f32 v5, v188, v124, -v5
	v_mul_f32_e32 v3, v187, v123
	v_add_f32_e32 v1, v1, v231
	v_mul_f32_e32 v4, v191, v127
	v_fmac_f32_e32 v246, v207, v142
	s_delay_alu instid0(VALU_DEP_4) | instskip(NEXT) | instid1(VALU_DEP_4)
	v_fma_f32 v3, v186, v122, -v3
	v_add_f32_e32 v1, v1, v232
	s_delay_alu instid0(VALU_DEP_4) | instskip(NEXT) | instid1(VALU_DEP_3)
	v_fma_f32 v4, v190, v126, -v4
	v_add_f32_e32 v2, v2, v3
	s_delay_alu instid0(VALU_DEP_1) | instskip(NEXT) | instid1(VALU_DEP_4)
	v_add_f32_e32 v2, v2, v5
	v_add_f32_e32 v1, v1, v233
	s_delay_alu instid0(VALU_DEP_2) | instskip(SKIP_1) | instid1(VALU_DEP_2)
	v_dual_mul_f32 v5, v195, v131 :: v_dual_add_f32 v2, v2, v4
	v_mul_f32_e32 v4, v197, v133
	v_fma_f32 v5, v194, v130, -v5
	s_delay_alu instid0(VALU_DEP_2) | instskip(SKIP_1) | instid1(VALU_DEP_1)
	v_fma_f32 v4, v196, v132, -v4
	v_mul_f32_e32 v3, v193, v129
	v_fma_f32 v3, v192, v128, -v3
	s_delay_alu instid0(VALU_DEP_1) | instskip(NEXT) | instid1(VALU_DEP_1)
	v_dual_add_f32 v1, v1, v234 :: v_dual_add_f32 v2, v2, v3
	v_add_f32_e32 v1, v1, v235
	s_delay_alu instid0(VALU_DEP_2) | instskip(SKIP_1) | instid1(VALU_DEP_2)
	v_dual_mul_f32 v3, v199, v135 :: v_dual_add_f32 v2, v2, v5
	v_mul_f32_e32 v5, v201, v137
	v_fma_f32 v3, v198, v134, -v3
	s_delay_alu instid0(VALU_DEP_3) | instskip(SKIP_1) | instid1(VALU_DEP_4)
	v_add_f32_e32 v2, v2, v4
	v_dual_add_f32 v1, v1, v236 :: v_dual_mul_f32 v4, v203, v139
	v_fma_f32 v5, v200, v136, -v5
	s_delay_alu instid0(VALU_DEP_2) | instskip(SKIP_3) | instid1(VALU_DEP_4)
	v_dual_add_f32 v2, v2, v3 :: v_dual_add_f32 v1, v1, v237
	v_fmac_f32_e32 v239, v193, v128
	v_mul_f32_e32 v3, v205, v141
	v_fma_f32 v4, v202, v138, -v4
	v_dual_add_f32 v2, v2, v5 :: v_dual_add_f32 v1, v1, v238
	v_mul_f32_e32 v5, v207, v143
	s_delay_alu instid0(VALU_DEP_4) | instskip(NEXT) | instid1(VALU_DEP_3)
	v_fma_f32 v3, v204, v140, -v3
	v_dual_add_f32 v2, v2, v4 :: v_dual_add_f32 v1, v1, v239
	v_fmac_f32_e32 v241, v197, v132
	v_mul_f32_e32 v4, v209, v145
	v_fma_f32 v5, v206, v142, -v5
	s_delay_alu instid0(VALU_DEP_4) | instskip(SKIP_1) | instid1(VALU_DEP_4)
	v_dual_add_f32 v2, v2, v3 :: v_dual_add_f32 v1, v1, v240
	v_mul_f32_e32 v3, v211, v147
	v_fma_f32 v4, v208, v144, -v4
	s_delay_alu instid0(VALU_DEP_3) | instskip(NEXT) | instid1(VALU_DEP_4)
	v_add_f32_e32 v2, v2, v5
	v_add_f32_e32 v1, v1, v241
	v_mul_f32_e32 v5, v213, v149
	v_fma_f32 v3, v210, v146, -v3
	s_delay_alu instid0(VALU_DEP_3) | instskip(SKIP_1) | instid1(VALU_DEP_4)
	v_dual_add_f32 v2, v2, v4 :: v_dual_add_f32 v1, v1, v242
	v_mul_f32_e32 v4, v215, v151
	v_fma_f32 v5, v212, v148, -v5
	s_delay_alu instid0(VALU_DEP_3) | instskip(NEXT) | instid1(VALU_DEP_4)
	v_add_f32_e32 v2, v2, v3
	v_add_f32_e32 v1, v1, v243
	v_mul_f32_e32 v3, v217, v153
	v_fma_f32 v4, v214, v150, -v4
	s_delay_alu instid0(VALU_DEP_4) | instskip(NEXT) | instid1(VALU_DEP_3)
	v_dual_add_f32 v2, v2, v5 :: v_dual_mul_f32 v5, v219, v155
	v_fma_f32 v3, v216, v152, -v3
	s_delay_alu instid0(VALU_DEP_2) | instskip(SKIP_3) | instid1(VALU_DEP_4)
	v_add_f32_e32 v2, v2, v4
	v_add_f32_e32 v1, v1, v244
	v_mul_f32_e32 v4, v221, v157
	v_fma_f32 v5, v218, v154, -v5
	v_dual_add_f32 v2, v2, v3 :: v_dual_fmac_f32 v247, v209, v144
	s_delay_alu instid0(VALU_DEP_3) | instskip(NEXT) | instid1(VALU_DEP_2)
	v_fma_f32 v3, v220, v156, -v4
	v_add_f32_e32 v2, v2, v5
	s_delay_alu instid0(VALU_DEP_1) | instskip(NEXT) | instid1(VALU_DEP_1)
	v_dual_add_f32 v1, v1, v245 :: v_dual_add_f32 v2, v2, v3
	v_add_f32_e32 v1, v1, v246
	s_delay_alu instid0(VALU_DEP_1) | instskip(NEXT) | instid1(VALU_DEP_1)
	v_add_f32_e32 v1, v1, v247
	v_add_f32_e32 v1, v1, v248
	s_delay_alu instid0(VALU_DEP_1) | instskip(NEXT) | instid1(VALU_DEP_1)
	v_add_f32_e32 v1, v1, v249
	;; [unrolled: 3-line block ×3, first 2 shown]
	v_add_f32_e32 v1, v1, v252
	s_delay_alu instid0(VALU_DEP_1) | instskip(SKIP_1) | instid1(VALU_DEP_1)
	v_add_f32_e32 v3, v1, v253
	s_wait_loadcnt 0x0
	v_dual_sub_f32 v1, v222, v2 :: v_dual_sub_f32 v2, v223, v3
	scratch_store_b64 off, v[1:2], off offset:96
	v_cmpx_lt_u32_e32 11, v0
	s_cbranch_execz .LBB44_261
; %bb.260:
	scratch_load_b64 v[1:2], off, off offset:88
	v_mov_b32_e32 v3, 0
	s_delay_alu instid0(VALU_DEP_1)
	v_mov_b32_e32 v4, v3
	scratch_store_b64 off, v[3:4], off offset:88
	s_wait_loadcnt 0x0
	ds_store_b64 v23, v[1:2]
.LBB44_261:
	s_wait_alu 0xfffe
	s_or_b32 exec_lo, exec_lo, s0
	s_wait_storecnt_dscnt 0x0
	s_barrier_signal -1
	s_barrier_wait -1
	global_inv scope:SCOPE_SE
	s_clause 0x4
	scratch_load_b128 v[5:8], off, off offset:96
	scratch_load_b128 v[1:4], off, off offset:112
	;; [unrolled: 1-line block ×5, first 2 shown]
	v_mov_b32_e32 v21, 0
	ds_load_b128 v[114:117], v21 offset:464
	ds_load_b128 v[118:121], v21 offset:480
	;; [unrolled: 1-line block ×3, first 2 shown]
	scratch_load_b64 v[126:127], off, off offset:88
	s_mov_b32 s0, exec_lo
	s_wait_loadcnt_dscnt 0x502
	v_mul_f32_e32 v22, v115, v6
	v_dual_mul_f32 v128, v114, v6 :: v_dual_mul_f32 v129, v116, v8
	v_mul_f32_e32 v6, v117, v8
	s_delay_alu instid0(VALU_DEP_3) | instskip(NEXT) | instid1(VALU_DEP_3)
	v_fma_f32 v22, v114, v5, -v22
	v_dual_fmac_f32 v128, v115, v5 :: v_dual_fmac_f32 v129, v117, v7
	s_wait_loadcnt_dscnt 0x401
	v_mul_f32_e32 v115, v118, v2
	v_fma_f32 v114, v116, v7, -v6
	ds_load_b128 v[5:8], v21 offset:512
	s_wait_loadcnt_dscnt 0x301
	v_dual_mul_f32 v116, v120, v4 :: v_dual_mul_f32 v117, v122, v10
	v_dual_mul_f32 v4, v121, v4 :: v_dual_fmac_f32 v115, v119, v1
	v_mul_f32_e32 v10, v123, v10
	s_delay_alu instid0(VALU_DEP_3)
	v_dual_mul_f32 v130, v124, v12 :: v_dual_fmac_f32 v117, v123, v9
	v_mul_f32_e32 v12, v125, v12
	v_mul_f32_e32 v2, v119, v2
	v_fmac_f32_e32 v116, v121, v3
	v_fma_f32 v119, v120, v3, -v4
	v_fma_f32 v120, v122, v9, -v10
	v_fmac_f32_e32 v130, v125, v11
	v_fma_f32 v121, v124, v11, -v12
	ds_load_b128 v[9:12], v21 offset:528
	s_wait_loadcnt_dscnt 0x201
	v_dual_mul_f32 v123, v7, v16 :: v_dual_mul_f32 v122, v5, v14
	v_mul_f32_e32 v14, v6, v14
	v_mul_f32_e32 v16, v8, v16
	s_delay_alu instid0(VALU_DEP_3)
	v_fmac_f32_e32 v123, v8, v15
	v_fma_f32 v118, v118, v1, -v2
	scratch_load_b128 v[1:4], off, off offset:176
	v_fmac_f32_e32 v122, v6, v13
	v_fma_f32 v13, v5, v13, -v14
	v_fma_f32 v14, v7, v15, -v16
	ds_load_b128 v[5:8], v21 offset:544
	s_wait_loadcnt_dscnt 0x201
	v_mul_f32_e32 v15, v9, v18
	v_mul_f32_e32 v16, v10, v18
	;; [unrolled: 1-line block ×3, first 2 shown]
	s_delay_alu instid0(VALU_DEP_3) | instskip(NEXT) | instid1(VALU_DEP_3)
	v_dual_mul_f32 v20, v12, v20 :: v_dual_fmac_f32 v15, v10, v17
	v_fma_f32 v16, v9, v17, -v16
	s_delay_alu instid0(VALU_DEP_3) | instskip(NEXT) | instid1(VALU_DEP_3)
	v_fmac_f32_e32 v18, v12, v19
	v_fma_f32 v17, v11, v19, -v20
	scratch_load_b128 v[9:12], off, off offset:192
	s_wait_loadcnt_dscnt 0x100
	v_mul_f32_e32 v19, v5, v2
	v_mul_f32_e32 v2, v6, v2
	;; [unrolled: 1-line block ×3, first 2 shown]
	s_delay_alu instid0(VALU_DEP_3) | instskip(NEXT) | instid1(VALU_DEP_3)
	v_dual_mul_f32 v4, v8, v4 :: v_dual_fmac_f32 v19, v6, v1
	v_fma_f32 v124, v5, v1, -v2
	s_delay_alu instid0(VALU_DEP_3) | instskip(NEXT) | instid1(VALU_DEP_3)
	v_fmac_f32_e32 v20, v8, v3
	v_fma_f32 v125, v7, v3, -v4
	ds_load_b128 v[1:4], v21 offset:560
	ds_load_b128 v[5:8], v21 offset:576
	s_wait_loadcnt_dscnt 0x1
	v_mul_f32_e32 v131, v1, v10
	v_mul_f32_e32 v10, v2, v10
	s_delay_alu instid0(VALU_DEP_2) | instskip(NEXT) | instid1(VALU_DEP_2)
	v_dual_mul_f32 v132, v3, v12 :: v_dual_fmac_f32 v131, v2, v9
	v_fma_f32 v133, v1, v9, -v10
	v_mul_f32_e32 v1, v4, v12
	s_delay_alu instid0(VALU_DEP_3) | instskip(NEXT) | instid1(VALU_DEP_2)
	v_fmac_f32_e32 v132, v4, v11
	v_fma_f32 v134, v3, v11, -v1
	s_clause 0x1
	scratch_load_b128 v[1:4], off, off offset:208
	scratch_load_b128 v[9:12], off, off offset:224
	s_wait_loadcnt_dscnt 0x100
	v_mul_f32_e32 v135, v5, v2
	v_dual_mul_f32 v2, v6, v2 :: v_dual_mul_f32 v137, v7, v4
	s_delay_alu instid0(VALU_DEP_2) | instskip(NEXT) | instid1(VALU_DEP_2)
	v_fmac_f32_e32 v135, v6, v1
	v_fma_f32 v136, v5, v1, -v2
	v_mul_f32_e32 v1, v8, v4
	s_delay_alu instid0(VALU_DEP_4) | instskip(NEXT) | instid1(VALU_DEP_2)
	v_fmac_f32_e32 v137, v8, v3
	v_fma_f32 v138, v7, v3, -v1
	ds_load_b128 v[1:4], v21 offset:592
	ds_load_b128 v[5:8], v21 offset:608
	s_wait_loadcnt_dscnt 0x1
	v_mul_f32_e32 v139, v1, v10
	v_mul_f32_e32 v141, v3, v12
	s_delay_alu instid0(VALU_DEP_2) | instskip(NEXT) | instid1(VALU_DEP_2)
	v_fmac_f32_e32 v139, v2, v9
	v_dual_mul_f32 v2, v2, v10 :: v_dual_fmac_f32 v141, v4, v11
	s_delay_alu instid0(VALU_DEP_1) | instskip(SKIP_1) | instid1(VALU_DEP_1)
	v_fma_f32 v140, v1, v9, -v2
	v_mul_f32_e32 v1, v4, v12
	v_fma_f32 v142, v3, v11, -v1
	s_clause 0x1
	scratch_load_b128 v[1:4], off, off offset:240
	scratch_load_b128 v[9:12], off, off offset:256
	s_wait_loadcnt_dscnt 0x100
	v_mul_f32_e32 v143, v5, v2
	v_dual_mul_f32 v145, v7, v4 :: v_dual_mul_f32 v2, v6, v2
	s_delay_alu instid0(VALU_DEP_2) | instskip(NEXT) | instid1(VALU_DEP_2)
	v_fmac_f32_e32 v143, v6, v1
	v_fmac_f32_e32 v145, v8, v3
	s_delay_alu instid0(VALU_DEP_3) | instskip(SKIP_1) | instid1(VALU_DEP_1)
	v_fma_f32 v144, v5, v1, -v2
	v_mul_f32_e32 v1, v8, v4
	v_fma_f32 v146, v7, v3, -v1
	ds_load_b128 v[1:4], v21 offset:624
	ds_load_b128 v[5:8], v21 offset:640
	s_wait_loadcnt_dscnt 0x1
	v_mul_f32_e32 v147, v1, v10
	v_mul_f32_e32 v149, v3, v12
	s_delay_alu instid0(VALU_DEP_2) | instskip(NEXT) | instid1(VALU_DEP_2)
	v_fmac_f32_e32 v147, v2, v9
	v_dual_mul_f32 v2, v2, v10 :: v_dual_fmac_f32 v149, v4, v11
	s_delay_alu instid0(VALU_DEP_1) | instskip(SKIP_1) | instid1(VALU_DEP_1)
	v_fma_f32 v148, v1, v9, -v2
	v_mul_f32_e32 v1, v4, v12
	v_fma_f32 v150, v3, v11, -v1
	s_clause 0x1
	scratch_load_b128 v[1:4], off, off offset:272
	scratch_load_b128 v[9:12], off, off offset:288
	s_wait_loadcnt_dscnt 0x100
	v_mul_f32_e32 v151, v5, v2
	v_mul_f32_e32 v2, v6, v2
	s_delay_alu instid0(VALU_DEP_1) | instskip(SKIP_1) | instid1(VALU_DEP_1)
	v_fma_f32 v152, v5, v1, -v2
	v_add_f32_e32 v2, 0, v128
	v_add_f32_e32 v2, v2, v129
	s_delay_alu instid0(VALU_DEP_1) | instskip(NEXT) | instid1(VALU_DEP_1)
	v_add_f32_e32 v2, v2, v115
	v_add_f32_e32 v2, v2, v116
	v_mul_f32_e32 v153, v7, v4
	v_fmac_f32_e32 v151, v6, v1
	s_delay_alu instid0(VALU_DEP_2) | instskip(NEXT) | instid1(VALU_DEP_1)
	v_dual_add_f32 v2, v2, v117 :: v_dual_fmac_f32 v153, v8, v3
	v_dual_add_f32 v2, v2, v130 :: v_dual_mul_f32 v1, v8, v4
	s_delay_alu instid0(VALU_DEP_1) | instskip(NEXT) | instid1(VALU_DEP_2)
	v_add_f32_e32 v2, v2, v122
	v_fma_f32 v154, v7, v3, -v1
	s_delay_alu instid0(VALU_DEP_2) | instskip(NEXT) | instid1(VALU_DEP_1)
	v_dual_add_f32 v1, 0, v22 :: v_dual_add_f32 v2, v2, v123
	v_add_f32_e32 v1, v1, v114
	s_delay_alu instid0(VALU_DEP_1) | instskip(NEXT) | instid1(VALU_DEP_1)
	v_add_f32_e32 v1, v1, v118
	v_add_f32_e32 v1, v1, v119
	scratch_load_b64 v[118:119], off, off offset:352
	v_add_f32_e32 v1, v1, v120
	s_delay_alu instid0(VALU_DEP_1) | instskip(NEXT) | instid1(VALU_DEP_1)
	v_add_f32_e32 v1, v1, v121
	v_add_f32_e32 v1, v1, v13
	s_delay_alu instid0(VALU_DEP_1) | instskip(NEXT) | instid1(VALU_DEP_1)
	v_add_f32_e32 v1, v1, v14
	v_add_f32_e32 v1, v1, v16
	s_delay_alu instid0(VALU_DEP_1) | instskip(SKIP_2) | instid1(VALU_DEP_1)
	v_dual_add_f32 v5, v2, v15 :: v_dual_add_f32 v6, v1, v17
	ds_load_b128 v[1:4], v21 offset:656
	v_dual_add_f32 v5, v5, v18 :: v_dual_add_f32 v6, v6, v124
	v_add_f32_e32 v13, v6, v125
	s_delay_alu instid0(VALU_DEP_1) | instskip(NEXT) | instid1(VALU_DEP_1)
	v_add_f32_e32 v13, v13, v133
	v_add_f32_e32 v13, v13, v134
	s_delay_alu instid0(VALU_DEP_1) | instskip(NEXT) | instid1(VALU_DEP_1)
	v_add_f32_e32 v13, v13, v136
	v_add_f32_e32 v18, v13, v138
	s_delay_alu instid0(VALU_DEP_1) | instskip(NEXT) | instid1(VALU_DEP_1)
	v_dual_add_f32 v5, v5, v19 :: v_dual_add_f32 v18, v18, v140
	v_add_f32_e32 v14, v5, v20
	ds_load_b128 v[5:8], v21 offset:672
	s_wait_loadcnt_dscnt 0x101
	v_mul_f32_e32 v22, v1, v10
	v_mul_f32_e32 v10, v2, v10
	;; [unrolled: 1-line block ×4, first 2 shown]
	v_add_f32_e32 v14, v14, v131
	v_fmac_f32_e32 v22, v2, v9
	v_fma_f32 v123, v1, v9, -v10
	v_fmac_f32_e32 v122, v4, v11
	v_fma_f32 v124, v3, v11, -v12
	s_clause 0x1
	scratch_load_b128 v[1:4], off, off offset:304
	scratch_load_b128 v[9:12], off, off offset:320
	v_add_f32_e32 v14, v14, v132
	v_add_f32_e32 v18, v18, v142
	s_delay_alu instid0(VALU_DEP_2) | instskip(SKIP_2) | instid1(VALU_DEP_1)
	v_add_f32_e32 v17, v14, v135
	scratch_load_b128 v[13:16], off, off offset:336
	v_dual_add_f32 v18, v18, v144 :: v_dual_add_f32 v17, v17, v137
	v_add_f32_e32 v18, v18, v146
	s_delay_alu instid0(VALU_DEP_1) | instskip(NEXT) | instid1(VALU_DEP_1)
	v_add_f32_e32 v120, v18, v148
	v_add_f32_e32 v125, v120, v150
	s_wait_loadcnt_dscnt 0x200
	v_mul_f32_e32 v129, v5, v2
	v_dual_mul_f32 v2, v6, v2 :: v_dual_add_f32 v17, v17, v139
	v_mul_f32_e32 v130, v7, v4
	v_mul_f32_e32 v4, v8, v4
	s_delay_alu instid0(VALU_DEP_3) | instskip(NEXT) | instid1(VALU_DEP_3)
	v_fma_f32 v2, v5, v1, -v2
	v_dual_add_f32 v17, v17, v141 :: v_dual_fmac_f32 v130, v8, v3
	s_delay_alu instid0(VALU_DEP_1) | instskip(NEXT) | instid1(VALU_DEP_1)
	v_add_f32_e32 v17, v17, v143
	v_add_f32_e32 v114, v17, v145
	ds_load_b128 v[17:20], v21 offset:688
	v_add_f32_e32 v121, v114, v147
	ds_load_b128 v[114:117], v21 offset:704
	v_add_f32_e32 v128, v121, v149
	ds_load_b64 v[120:121], v21 offset:720
	v_add_f32_e32 v128, v128, v151
	s_delay_alu instid0(VALU_DEP_1) | instskip(SKIP_2) | instid1(VALU_DEP_2)
	v_dual_add_f32 v128, v128, v153 :: v_dual_add_f32 v125, v125, v152
	s_wait_loadcnt_dscnt 0x102
	v_mul_f32_e32 v5, v20, v12
	v_add_f32_e32 v22, v128, v22
	s_delay_alu instid0(VALU_DEP_3) | instskip(SKIP_3) | instid1(VALU_DEP_3)
	v_dual_add_f32 v125, v125, v154 :: v_dual_mul_f32 v128, v19, v12
	v_fmac_f32_e32 v129, v6, v1
	s_wait_loadcnt_dscnt 0x1
	v_mul_f32_e32 v131, v114, v14
	v_dual_add_f32 v22, v22, v122 :: v_dual_add_f32 v123, v125, v123
	s_wait_dscnt 0x0
	v_dual_mul_f32 v125, v17, v10 :: v_dual_mul_f32 v122, v120, v119
	v_fma_f32 v1, v7, v3, -v4
	v_dual_mul_f32 v3, v18, v10 :: v_dual_fmac_f32 v128, v20, v11
	v_dual_add_f32 v123, v123, v124 :: v_dual_add_f32 v4, v22, v129
	s_delay_alu instid0(VALU_DEP_4) | instskip(NEXT) | instid1(VALU_DEP_3)
	v_dual_mul_f32 v124, v116, v16 :: v_dual_fmac_f32 v125, v18, v9
	v_fma_f32 v3, v17, v9, -v3
	s_delay_alu instid0(VALU_DEP_3) | instskip(SKIP_1) | instid1(VALU_DEP_2)
	v_add_f32_e32 v2, v123, v2
	v_fmac_f32_e32 v122, v121, v118
	v_dual_fmac_f32 v124, v117, v15 :: v_dual_add_f32 v1, v2, v1
	v_add_f32_e32 v2, v4, v130
	v_mul_f32_e32 v4, v115, v14
	v_fma_f32 v5, v19, v11, -v5
	s_delay_alu instid0(VALU_DEP_3) | instskip(SKIP_1) | instid1(VALU_DEP_4)
	v_dual_add_f32 v1, v1, v3 :: v_dual_add_f32 v2, v2, v125
	v_fmac_f32_e32 v131, v115, v13
	v_fma_f32 v4, v114, v13, -v4
	s_delay_alu instid0(VALU_DEP_3) | instskip(NEXT) | instid1(VALU_DEP_1)
	v_add_f32_e32 v2, v2, v128
	v_dual_mul_f32 v3, v117, v16 :: v_dual_add_f32 v2, v2, v131
	v_add_f32_e32 v1, v1, v5
	s_delay_alu instid0(VALU_DEP_2) | instskip(NEXT) | instid1(VALU_DEP_3)
	v_fma_f32 v3, v116, v15, -v3
	v_dual_add_f32 v2, v2, v124 :: v_dual_mul_f32 v5, v121, v119
	s_delay_alu instid0(VALU_DEP_1) | instskip(NEXT) | instid1(VALU_DEP_2)
	v_dual_add_f32 v2, v2, v122 :: v_dual_add_f32 v1, v1, v4
	v_fma_f32 v4, v120, v118, -v5
	s_delay_alu instid0(VALU_DEP_2) | instskip(NEXT) | instid1(VALU_DEP_1)
	v_dual_sub_f32 v2, v127, v2 :: v_dual_add_f32 v1, v1, v3
	v_add_f32_e32 v1, v1, v4
	s_delay_alu instid0(VALU_DEP_1)
	v_sub_f32_e32 v1, v126, v1
	scratch_store_b64 off, v[1:2], off offset:88
	v_cmpx_lt_u32_e32 10, v0
	s_cbranch_execz .LBB44_263
; %bb.262:
	scratch_load_b64 v[1:2], off, off offset:80
	v_mov_b32_e32 v22, v21
	scratch_store_b64 off, v[21:22], off offset:80
	s_wait_loadcnt 0x0
	ds_store_b64 v23, v[1:2]
.LBB44_263:
	s_wait_alu 0xfffe
	s_or_b32 exec_lo, exec_lo, s0
	s_wait_storecnt_dscnt 0x0
	s_barrier_signal -1
	s_barrier_wait -1
	global_inv scope:SCOPE_SE
	s_clause 0x4
	scratch_load_b128 v[5:8], off, off offset:88
	scratch_load_b128 v[1:4], off, off offset:104
	scratch_load_b128 v[9:12], off, off offset:120
	scratch_load_b128 v[13:16], off, off offset:136
	scratch_load_b128 v[17:20], off, off offset:152
	ds_load_2addr_b64 v[114:117], v21 offset0:57 offset1:58
	ds_load_2addr_b64 v[118:121], v21 offset0:59 offset1:60
	;; [unrolled: 1-line block ×3, first 2 shown]
	scratch_load_b64 v[126:127], off, off offset:80
	s_mov_b32 s0, exec_lo
	s_wait_loadcnt_dscnt 0x502
	v_dual_mul_f32 v22, v115, v6 :: v_dual_mul_f32 v129, v116, v8
	v_mul_f32_e32 v128, v114, v6
	v_mul_f32_e32 v6, v117, v8
	s_wait_loadcnt_dscnt 0x300
	v_mul_f32_e32 v130, v124, v12
	v_fma_f32 v22, v114, v5, -v22
	v_dual_fmac_f32 v129, v117, v7 :: v_dual_fmac_f32 v128, v115, v5
	v_mul_f32_e32 v117, v122, v10
	v_mul_f32_e32 v115, v118, v2
	v_fma_f32 v114, v116, v7, -v6
	ds_load_2addr_b64 v[5:8], v21 offset0:63 offset1:64
	v_mul_f32_e32 v116, v120, v4
	v_dual_mul_f32 v4, v121, v4 :: v_dual_fmac_f32 v117, v123, v9
	v_mul_f32_e32 v10, v123, v10
	v_mul_f32_e32 v12, v125, v12
	;; [unrolled: 1-line block ×3, first 2 shown]
	v_dual_fmac_f32 v115, v119, v1 :: v_dual_fmac_f32 v116, v121, v3
	v_fma_f32 v119, v120, v3, -v4
	v_fma_f32 v120, v122, v9, -v10
	v_fmac_f32_e32 v130, v125, v11
	v_fma_f32 v121, v124, v11, -v12
	ds_load_2addr_b64 v[9:12], v21 offset0:65 offset1:66
	s_wait_loadcnt_dscnt 0x201
	v_dual_mul_f32 v123, v7, v16 :: v_dual_mul_f32 v122, v5, v14
	s_delay_alu instid0(VALU_DEP_1)
	v_dual_mul_f32 v14, v6, v14 :: v_dual_fmac_f32 v123, v8, v15
	v_fma_f32 v118, v118, v1, -v2
	scratch_load_b128 v[1:4], off, off offset:168
	v_mul_f32_e32 v16, v8, v16
	v_fmac_f32_e32 v122, v6, v13
	v_fma_f32 v13, v5, v13, -v14
	s_delay_alu instid0(VALU_DEP_3)
	v_fma_f32 v14, v7, v15, -v16
	s_wait_loadcnt_dscnt 0x200
	v_mul_f32_e32 v15, v9, v18
	v_mul_f32_e32 v16, v10, v18
	;; [unrolled: 1-line block ×4, first 2 shown]
	ds_load_2addr_b64 v[5:8], v21 offset0:67 offset1:68
	v_fmac_f32_e32 v15, v10, v17
	v_fma_f32 v16, v9, v17, -v16
	v_fmac_f32_e32 v18, v12, v19
	v_fma_f32 v17, v11, v19, -v20
	scratch_load_b128 v[9:12], off, off offset:184
	s_wait_loadcnt_dscnt 0x100
	v_mul_f32_e32 v19, v5, v2
	v_mul_f32_e32 v2, v6, v2
	;; [unrolled: 1-line block ×3, first 2 shown]
	s_delay_alu instid0(VALU_DEP_3) | instskip(NEXT) | instid1(VALU_DEP_3)
	v_dual_mul_f32 v4, v8, v4 :: v_dual_fmac_f32 v19, v6, v1
	v_fma_f32 v124, v5, v1, -v2
	s_delay_alu instid0(VALU_DEP_3) | instskip(NEXT) | instid1(VALU_DEP_3)
	v_fmac_f32_e32 v20, v8, v3
	v_fma_f32 v125, v7, v3, -v4
	ds_load_2addr_b64 v[1:4], v21 offset0:69 offset1:70
	ds_load_2addr_b64 v[5:8], v21 offset0:71 offset1:72
	s_wait_loadcnt_dscnt 0x1
	v_mul_f32_e32 v131, v1, v10
	v_mul_f32_e32 v10, v2, v10
	s_delay_alu instid0(VALU_DEP_2) | instskip(NEXT) | instid1(VALU_DEP_2)
	v_dual_mul_f32 v132, v3, v12 :: v_dual_fmac_f32 v131, v2, v9
	v_fma_f32 v133, v1, v9, -v10
	v_mul_f32_e32 v1, v4, v12
	s_delay_alu instid0(VALU_DEP_3) | instskip(NEXT) | instid1(VALU_DEP_2)
	v_fmac_f32_e32 v132, v4, v11
	v_fma_f32 v134, v3, v11, -v1
	s_clause 0x1
	scratch_load_b128 v[1:4], off, off offset:200
	scratch_load_b128 v[9:12], off, off offset:216
	s_wait_loadcnt_dscnt 0x100
	v_mul_f32_e32 v135, v5, v2
	v_dual_mul_f32 v2, v6, v2 :: v_dual_mul_f32 v137, v7, v4
	s_delay_alu instid0(VALU_DEP_2) | instskip(NEXT) | instid1(VALU_DEP_2)
	v_fmac_f32_e32 v135, v6, v1
	v_fma_f32 v136, v5, v1, -v2
	v_mul_f32_e32 v1, v8, v4
	s_delay_alu instid0(VALU_DEP_4) | instskip(NEXT) | instid1(VALU_DEP_2)
	v_fmac_f32_e32 v137, v8, v3
	v_fma_f32 v138, v7, v3, -v1
	ds_load_2addr_b64 v[1:4], v21 offset0:73 offset1:74
	ds_load_2addr_b64 v[5:8], v21 offset0:75 offset1:76
	s_wait_loadcnt_dscnt 0x1
	v_mul_f32_e32 v139, v1, v10
	v_mul_f32_e32 v141, v3, v12
	s_delay_alu instid0(VALU_DEP_2) | instskip(NEXT) | instid1(VALU_DEP_2)
	v_fmac_f32_e32 v139, v2, v9
	v_dual_mul_f32 v2, v2, v10 :: v_dual_fmac_f32 v141, v4, v11
	s_delay_alu instid0(VALU_DEP_1) | instskip(SKIP_1) | instid1(VALU_DEP_1)
	v_fma_f32 v140, v1, v9, -v2
	v_mul_f32_e32 v1, v4, v12
	v_fma_f32 v142, v3, v11, -v1
	s_clause 0x1
	scratch_load_b128 v[1:4], off, off offset:232
	scratch_load_b128 v[9:12], off, off offset:248
	s_wait_loadcnt_dscnt 0x100
	v_mul_f32_e32 v143, v5, v2
	v_dual_mul_f32 v2, v6, v2 :: v_dual_mul_f32 v145, v7, v4
	s_delay_alu instid0(VALU_DEP_2) | instskip(NEXT) | instid1(VALU_DEP_2)
	v_fmac_f32_e32 v143, v6, v1
	v_fma_f32 v144, v5, v1, -v2
	v_mul_f32_e32 v1, v8, v4
	s_delay_alu instid0(VALU_DEP_4) | instskip(NEXT) | instid1(VALU_DEP_2)
	v_fmac_f32_e32 v145, v8, v3
	v_fma_f32 v146, v7, v3, -v1
	ds_load_2addr_b64 v[1:4], v21 offset0:77 offset1:78
	ds_load_2addr_b64 v[5:8], v21 offset0:79 offset1:80
	s_wait_loadcnt_dscnt 0x1
	v_mul_f32_e32 v147, v1, v10
	v_mul_f32_e32 v149, v3, v12
	s_delay_alu instid0(VALU_DEP_2) | instskip(NEXT) | instid1(VALU_DEP_2)
	v_fmac_f32_e32 v147, v2, v9
	v_dual_mul_f32 v2, v2, v10 :: v_dual_fmac_f32 v149, v4, v11
	s_delay_alu instid0(VALU_DEP_1) | instskip(SKIP_1) | instid1(VALU_DEP_1)
	v_fma_f32 v148, v1, v9, -v2
	v_mul_f32_e32 v1, v4, v12
	v_fma_f32 v150, v3, v11, -v1
	s_clause 0x1
	scratch_load_b128 v[1:4], off, off offset:264
	scratch_load_b128 v[9:12], off, off offset:280
	s_wait_loadcnt_dscnt 0x100
	v_mul_f32_e32 v151, v5, v2
	v_mul_f32_e32 v2, v6, v2
	s_delay_alu instid0(VALU_DEP_1) | instskip(SKIP_1) | instid1(VALU_DEP_1)
	v_fma_f32 v152, v5, v1, -v2
	v_add_f32_e32 v2, 0, v128
	v_add_f32_e32 v2, v2, v129
	s_delay_alu instid0(VALU_DEP_1) | instskip(SKIP_1) | instid1(VALU_DEP_2)
	v_add_f32_e32 v2, v2, v115
	v_fmac_f32_e32 v151, v6, v1
	v_add_f32_e32 v2, v2, v116
	s_delay_alu instid0(VALU_DEP_1) | instskip(NEXT) | instid1(VALU_DEP_1)
	v_dual_mul_f32 v153, v7, v4 :: v_dual_add_f32 v2, v2, v117
	v_dual_fmac_f32 v153, v8, v3 :: v_dual_add_f32 v2, v2, v130
	s_delay_alu instid0(VALU_DEP_1) | instskip(NEXT) | instid1(VALU_DEP_1)
	v_dual_mul_f32 v1, v8, v4 :: v_dual_add_f32 v2, v2, v122
	v_fma_f32 v154, v7, v3, -v1
	s_delay_alu instid0(VALU_DEP_2) | instskip(NEXT) | instid1(VALU_DEP_1)
	v_dual_add_f32 v1, 0, v22 :: v_dual_add_f32 v2, v2, v123
	v_dual_add_f32 v1, v1, v114 :: v_dual_add_f32 v2, v2, v15
	s_delay_alu instid0(VALU_DEP_1) | instskip(NEXT) | instid1(VALU_DEP_2)
	v_add_f32_e32 v1, v1, v118
	v_add_f32_e32 v5, v2, v18
	s_delay_alu instid0(VALU_DEP_2) | instskip(NEXT) | instid1(VALU_DEP_1)
	v_add_f32_e32 v1, v1, v119
	v_add_f32_e32 v1, v1, v120
	s_delay_alu instid0(VALU_DEP_1) | instskip(NEXT) | instid1(VALU_DEP_1)
	v_add_f32_e32 v1, v1, v121
	v_add_f32_e32 v1, v1, v13
	;; [unrolled: 1-line block ×3, first 2 shown]
	s_delay_alu instid0(VALU_DEP_1) | instskip(NEXT) | instid1(VALU_DEP_1)
	v_add_f32_e32 v13, v13, v20
	v_add_f32_e32 v13, v13, v131
	s_delay_alu instid0(VALU_DEP_1) | instskip(NEXT) | instid1(VALU_DEP_1)
	v_add_f32_e32 v18, v13, v132
	v_dual_add_f32 v18, v18, v135 :: v_dual_add_f32 v1, v1, v14
	s_delay_alu instid0(VALU_DEP_1) | instskip(NEXT) | instid1(VALU_DEP_1)
	v_dual_add_f32 v18, v18, v137 :: v_dual_add_f32 v1, v1, v16
	v_dual_add_f32 v114, v18, v139 :: v_dual_add_f32 v1, v1, v17
	s_delay_alu instid0(VALU_DEP_1) | instskip(NEXT) | instid1(VALU_DEP_2)
	v_add_f32_e32 v114, v114, v141
	v_add_f32_e32 v6, v1, v124
	ds_load_2addr_b64 v[1:4], v21 offset0:81 offset1:82
	v_add_f32_e32 v114, v114, v143
	v_add_f32_e32 v14, v6, v125
	scratch_load_b128 v[5:8], off, off offset:296
	v_add_f32_e32 v14, v14, v133
	s_delay_alu instid0(VALU_DEP_1)
	v_add_f32_e32 v17, v14, v134
	ds_load_2addr_b64 v[13:16], v21 offset0:83 offset1:84
	s_wait_loadcnt_dscnt 0x101
	v_mul_f32_e32 v22, v1, v10
	v_mul_f32_e32 v10, v2, v10
	;; [unrolled: 1-line block ×4, first 2 shown]
	s_delay_alu instid0(VALU_DEP_4) | instskip(NEXT) | instid1(VALU_DEP_4)
	v_fmac_f32_e32 v22, v2, v9
	v_fma_f32 v119, v1, v9, -v10
	s_delay_alu instid0(VALU_DEP_4) | instskip(NEXT) | instid1(VALU_DEP_4)
	v_fmac_f32_e32 v118, v4, v11
	v_fma_f32 v120, v3, v11, -v12
	s_clause 0x1
	scratch_load_b128 v[1:4], off, off offset:312
	scratch_load_b128 v[9:12], off, off offset:328
	s_wait_loadcnt_dscnt 0x200
	v_mul_f32_e32 v122, v15, v8
	v_add_f32_e32 v17, v17, v136
	v_mul_f32_e32 v121, v13, v6
	v_mul_f32_e32 v6, v14, v6
	;; [unrolled: 1-line block ×3, first 2 shown]
	s_delay_alu instid0(VALU_DEP_4) | instskip(NEXT) | instid1(VALU_DEP_3)
	v_dual_fmac_f32 v122, v16, v7 :: v_dual_add_f32 v17, v17, v138
	v_fma_f32 v123, v13, v5, -v6
	v_add_f32_e32 v13, v114, v145
	s_delay_alu instid0(VALU_DEP_4) | instskip(NEXT) | instid1(VALU_DEP_4)
	v_fma_f32 v124, v15, v7, -v8
	v_add_f32_e32 v17, v17, v140
	s_delay_alu instid0(VALU_DEP_1) | instskip(SKIP_2) | instid1(VALU_DEP_1)
	v_add_f32_e32 v115, v17, v142
	scratch_load_b128 v[17:20], off, off offset:344
	v_add_f32_e32 v115, v115, v144
	v_add_f32_e32 v115, v115, v146
	s_delay_alu instid0(VALU_DEP_1)
	v_dual_add_f32 v114, v115, v148 :: v_dual_fmac_f32 v121, v14, v5
	ds_load_2addr_b64 v[5:8], v21 offset0:85 offset1:86
	v_add_f32_e32 v115, v13, v147
	ds_load_2addr_b64 v[13:16], v21 offset0:87 offset1:88
	v_dual_add_f32 v125, v114, v150 :: v_dual_add_f32 v128, v115, v149
	ds_load_2addr_b64 v[114:117], v21 offset0:89 offset1:90
	v_add_f32_e32 v21, v125, v152
	s_wait_loadcnt_dscnt 0x202
	v_dual_add_f32 v125, v128, v151 :: v_dual_mul_f32 v128, v5, v2
	s_delay_alu instid0(VALU_DEP_1) | instskip(NEXT) | instid1(VALU_DEP_2)
	v_dual_mul_f32 v2, v6, v2 :: v_dual_add_f32 v125, v125, v153
	v_fmac_f32_e32 v128, v6, v1
	s_wait_loadcnt_dscnt 0x101
	v_mul_f32_e32 v6, v14, v10
	s_delay_alu instid0(VALU_DEP_3) | instskip(SKIP_2) | instid1(VALU_DEP_3)
	v_add_f32_e32 v22, v125, v22
	v_mul_f32_e32 v125, v13, v10
	v_fma_f32 v2, v5, v1, -v2
	v_add_f32_e32 v22, v22, v118
	s_delay_alu instid0(VALU_DEP_1) | instskip(SKIP_2) | instid1(VALU_DEP_1)
	v_add_f32_e32 v22, v22, v121
	s_wait_loadcnt_dscnt 0x0
	v_mul_f32_e32 v118, v114, v18
	v_dual_add_f32 v21, v21, v154 :: v_dual_fmac_f32 v118, v115, v17
	s_delay_alu instid0(VALU_DEP_1) | instskip(SKIP_2) | instid1(VALU_DEP_2)
	v_add_f32_e32 v21, v21, v119
	v_mul_f32_e32 v119, v7, v4
	v_mul_f32_e32 v4, v8, v4
	v_fmac_f32_e32 v119, v8, v3
	s_delay_alu instid0(VALU_DEP_2) | instskip(SKIP_3) | instid1(VALU_DEP_3)
	v_fma_f32 v3, v7, v3, -v4
	v_dual_mul_f32 v4, v16, v12 :: v_dual_fmac_f32 v125, v14, v9
	v_add_f32_e32 v21, v21, v120
	v_dual_mul_f32 v120, v116, v20 :: v_dual_add_f32 v5, v22, v122
	v_fma_f32 v4, v15, v11, -v4
	s_delay_alu instid0(VALU_DEP_3) | instskip(NEXT) | instid1(VALU_DEP_3)
	v_add_f32_e32 v21, v21, v123
	v_fmac_f32_e32 v120, v117, v19
	s_delay_alu instid0(VALU_DEP_2) | instskip(NEXT) | instid1(VALU_DEP_1)
	v_add_f32_e32 v1, v21, v124
	v_add_f32_e32 v1, v1, v2
	;; [unrolled: 1-line block ×3, first 2 shown]
	v_mul_f32_e32 v129, v15, v12
	v_fma_f32 v5, v13, v9, -v6
	s_delay_alu instid0(VALU_DEP_3) | instskip(NEXT) | instid1(VALU_DEP_1)
	v_add_f32_e32 v2, v2, v119
	v_dual_fmac_f32 v129, v16, v11 :: v_dual_add_f32 v2, v2, v125
	s_delay_alu instid0(VALU_DEP_1) | instskip(NEXT) | instid1(VALU_DEP_1)
	v_add_f32_e32 v2, v2, v129
	v_add_f32_e32 v2, v2, v118
	s_delay_alu instid0(VALU_DEP_1) | instskip(SKIP_1) | instid1(VALU_DEP_2)
	v_dual_add_f32 v2, v2, v120 :: v_dual_add_f32 v1, v1, v3
	v_mul_f32_e32 v3, v115, v18
	v_dual_sub_f32 v2, v127, v2 :: v_dual_add_f32 v1, v1, v5
	v_mul_f32_e32 v5, v117, v20
	s_delay_alu instid0(VALU_DEP_3) | instskip(NEXT) | instid1(VALU_DEP_3)
	v_fma_f32 v3, v114, v17, -v3
	v_add_f32_e32 v1, v1, v4
	s_delay_alu instid0(VALU_DEP_3) | instskip(NEXT) | instid1(VALU_DEP_2)
	v_fma_f32 v4, v116, v19, -v5
	v_add_f32_e32 v1, v1, v3
	s_delay_alu instid0(VALU_DEP_1) | instskip(NEXT) | instid1(VALU_DEP_1)
	v_add_f32_e32 v1, v1, v4
	v_sub_f32_e32 v1, v126, v1
	scratch_store_b64 off, v[1:2], off offset:80
	v_cmpx_lt_u32_e32 9, v0
	s_cbranch_execz .LBB44_265
; %bb.264:
	scratch_load_b64 v[1:2], off, off offset:72
	v_mov_b32_e32 v3, 0
	s_delay_alu instid0(VALU_DEP_1)
	v_mov_b32_e32 v4, v3
	scratch_store_b64 off, v[3:4], off offset:72
	s_wait_loadcnt 0x0
	ds_store_b64 v23, v[1:2]
.LBB44_265:
	s_wait_alu 0xfffe
	s_or_b32 exec_lo, exec_lo, s0
	s_wait_storecnt_dscnt 0x0
	s_barrier_signal -1
	s_barrier_wait -1
	global_inv scope:SCOPE_SE
	s_clause 0x4
	scratch_load_b128 v[5:8], off, off offset:80
	scratch_load_b128 v[1:4], off, off offset:96
	;; [unrolled: 1-line block ×5, first 2 shown]
	v_mov_b32_e32 v21, 0
	ds_load_b128 v[114:117], v21 offset:448
	ds_load_b128 v[118:121], v21 offset:464
	;; [unrolled: 1-line block ×3, first 2 shown]
	scratch_load_b64 v[126:127], off, off offset:72
	s_mov_b32 s0, exec_lo
	s_wait_loadcnt_dscnt 0x502
	v_mul_f32_e32 v22, v115, v6
	v_dual_mul_f32 v128, v114, v6 :: v_dual_mul_f32 v129, v116, v8
	v_mul_f32_e32 v6, v117, v8
	s_delay_alu instid0(VALU_DEP_3) | instskip(NEXT) | instid1(VALU_DEP_3)
	v_fma_f32 v22, v114, v5, -v22
	v_dual_fmac_f32 v128, v115, v5 :: v_dual_fmac_f32 v129, v117, v7
	s_wait_loadcnt_dscnt 0x401
	v_mul_f32_e32 v115, v118, v2
	v_fma_f32 v114, v116, v7, -v6
	ds_load_b128 v[5:8], v21 offset:496
	s_wait_loadcnt_dscnt 0x301
	v_dual_mul_f32 v116, v120, v4 :: v_dual_mul_f32 v117, v122, v10
	v_dual_mul_f32 v4, v121, v4 :: v_dual_fmac_f32 v115, v119, v1
	v_mul_f32_e32 v10, v123, v10
	s_delay_alu instid0(VALU_DEP_3)
	v_dual_mul_f32 v130, v124, v12 :: v_dual_fmac_f32 v117, v123, v9
	v_mul_f32_e32 v12, v125, v12
	v_mul_f32_e32 v2, v119, v2
	v_fmac_f32_e32 v116, v121, v3
	v_fma_f32 v119, v120, v3, -v4
	v_fma_f32 v120, v122, v9, -v10
	v_fmac_f32_e32 v130, v125, v11
	v_fma_f32 v121, v124, v11, -v12
	ds_load_b128 v[9:12], v21 offset:512
	s_wait_loadcnt_dscnt 0x201
	v_dual_mul_f32 v123, v7, v16 :: v_dual_mul_f32 v122, v5, v14
	v_mul_f32_e32 v14, v6, v14
	v_mul_f32_e32 v16, v8, v16
	s_delay_alu instid0(VALU_DEP_3)
	v_fmac_f32_e32 v123, v8, v15
	v_fma_f32 v118, v118, v1, -v2
	scratch_load_b128 v[1:4], off, off offset:160
	v_fmac_f32_e32 v122, v6, v13
	v_fma_f32 v13, v5, v13, -v14
	v_fma_f32 v14, v7, v15, -v16
	ds_load_b128 v[5:8], v21 offset:528
	s_wait_loadcnt_dscnt 0x201
	v_mul_f32_e32 v15, v9, v18
	v_mul_f32_e32 v16, v10, v18
	;; [unrolled: 1-line block ×3, first 2 shown]
	s_delay_alu instid0(VALU_DEP_3) | instskip(NEXT) | instid1(VALU_DEP_3)
	v_dual_mul_f32 v20, v12, v20 :: v_dual_fmac_f32 v15, v10, v17
	v_fma_f32 v16, v9, v17, -v16
	s_delay_alu instid0(VALU_DEP_3) | instskip(NEXT) | instid1(VALU_DEP_3)
	v_fmac_f32_e32 v18, v12, v19
	v_fma_f32 v17, v11, v19, -v20
	scratch_load_b128 v[9:12], off, off offset:176
	s_wait_loadcnt_dscnt 0x100
	v_mul_f32_e32 v19, v5, v2
	v_mul_f32_e32 v2, v6, v2
	v_mul_f32_e32 v20, v7, v4
	s_delay_alu instid0(VALU_DEP_3) | instskip(NEXT) | instid1(VALU_DEP_3)
	v_dual_mul_f32 v4, v8, v4 :: v_dual_fmac_f32 v19, v6, v1
	v_fma_f32 v124, v5, v1, -v2
	s_delay_alu instid0(VALU_DEP_3) | instskip(NEXT) | instid1(VALU_DEP_3)
	v_fmac_f32_e32 v20, v8, v3
	v_fma_f32 v125, v7, v3, -v4
	ds_load_b128 v[1:4], v21 offset:544
	ds_load_b128 v[5:8], v21 offset:560
	s_wait_loadcnt_dscnt 0x1
	v_mul_f32_e32 v131, v1, v10
	v_mul_f32_e32 v10, v2, v10
	s_delay_alu instid0(VALU_DEP_2) | instskip(NEXT) | instid1(VALU_DEP_2)
	v_dual_mul_f32 v132, v3, v12 :: v_dual_fmac_f32 v131, v2, v9
	v_fma_f32 v133, v1, v9, -v10
	v_mul_f32_e32 v1, v4, v12
	s_delay_alu instid0(VALU_DEP_3) | instskip(NEXT) | instid1(VALU_DEP_2)
	v_fmac_f32_e32 v132, v4, v11
	v_fma_f32 v134, v3, v11, -v1
	s_clause 0x1
	scratch_load_b128 v[1:4], off, off offset:192
	scratch_load_b128 v[9:12], off, off offset:208
	s_wait_loadcnt_dscnt 0x100
	v_mul_f32_e32 v135, v5, v2
	v_dual_mul_f32 v2, v6, v2 :: v_dual_mul_f32 v137, v7, v4
	s_delay_alu instid0(VALU_DEP_2) | instskip(NEXT) | instid1(VALU_DEP_2)
	v_fmac_f32_e32 v135, v6, v1
	v_fma_f32 v136, v5, v1, -v2
	v_mul_f32_e32 v1, v8, v4
	s_delay_alu instid0(VALU_DEP_4) | instskip(NEXT) | instid1(VALU_DEP_2)
	v_fmac_f32_e32 v137, v8, v3
	v_fma_f32 v138, v7, v3, -v1
	ds_load_b128 v[1:4], v21 offset:576
	ds_load_b128 v[5:8], v21 offset:592
	s_wait_loadcnt_dscnt 0x1
	v_mul_f32_e32 v139, v1, v10
	v_mul_f32_e32 v141, v3, v12
	s_delay_alu instid0(VALU_DEP_2) | instskip(NEXT) | instid1(VALU_DEP_2)
	v_fmac_f32_e32 v139, v2, v9
	v_dual_mul_f32 v2, v2, v10 :: v_dual_fmac_f32 v141, v4, v11
	s_delay_alu instid0(VALU_DEP_1) | instskip(SKIP_1) | instid1(VALU_DEP_1)
	v_fma_f32 v140, v1, v9, -v2
	v_mul_f32_e32 v1, v4, v12
	v_fma_f32 v142, v3, v11, -v1
	s_clause 0x1
	scratch_load_b128 v[1:4], off, off offset:224
	scratch_load_b128 v[9:12], off, off offset:240
	s_wait_loadcnt_dscnt 0x100
	v_mul_f32_e32 v143, v5, v2
	v_dual_mul_f32 v145, v7, v4 :: v_dual_mul_f32 v2, v6, v2
	s_delay_alu instid0(VALU_DEP_2) | instskip(NEXT) | instid1(VALU_DEP_2)
	v_fmac_f32_e32 v143, v6, v1
	v_fmac_f32_e32 v145, v8, v3
	s_delay_alu instid0(VALU_DEP_3) | instskip(SKIP_1) | instid1(VALU_DEP_1)
	v_fma_f32 v144, v5, v1, -v2
	v_mul_f32_e32 v1, v8, v4
	v_fma_f32 v146, v7, v3, -v1
	ds_load_b128 v[1:4], v21 offset:608
	ds_load_b128 v[5:8], v21 offset:624
	s_wait_loadcnt_dscnt 0x1
	v_mul_f32_e32 v147, v1, v10
	v_mul_f32_e32 v149, v3, v12
	s_delay_alu instid0(VALU_DEP_2) | instskip(NEXT) | instid1(VALU_DEP_2)
	v_fmac_f32_e32 v147, v2, v9
	v_dual_mul_f32 v2, v2, v10 :: v_dual_fmac_f32 v149, v4, v11
	s_delay_alu instid0(VALU_DEP_1) | instskip(SKIP_1) | instid1(VALU_DEP_1)
	v_fma_f32 v148, v1, v9, -v2
	v_mul_f32_e32 v1, v4, v12
	v_fma_f32 v150, v3, v11, -v1
	s_clause 0x1
	scratch_load_b128 v[1:4], off, off offset:256
	scratch_load_b128 v[9:12], off, off offset:272
	s_wait_loadcnt_dscnt 0x100
	v_mul_f32_e32 v151, v5, v2
	v_mul_f32_e32 v2, v6, v2
	s_delay_alu instid0(VALU_DEP_1) | instskip(SKIP_1) | instid1(VALU_DEP_1)
	v_fma_f32 v152, v5, v1, -v2
	v_add_f32_e32 v2, 0, v128
	v_add_f32_e32 v2, v2, v129
	s_delay_alu instid0(VALU_DEP_1) | instskip(NEXT) | instid1(VALU_DEP_1)
	v_add_f32_e32 v2, v2, v115
	v_add_f32_e32 v2, v2, v116
	v_mul_f32_e32 v153, v7, v4
	v_fmac_f32_e32 v151, v6, v1
	s_delay_alu instid0(VALU_DEP_2) | instskip(NEXT) | instid1(VALU_DEP_1)
	v_dual_add_f32 v2, v2, v117 :: v_dual_fmac_f32 v153, v8, v3
	v_dual_add_f32 v2, v2, v130 :: v_dual_mul_f32 v1, v8, v4
	s_delay_alu instid0(VALU_DEP_1) | instskip(NEXT) | instid1(VALU_DEP_2)
	v_add_f32_e32 v2, v2, v122
	v_fma_f32 v154, v7, v3, -v1
	s_delay_alu instid0(VALU_DEP_2) | instskip(NEXT) | instid1(VALU_DEP_1)
	v_dual_add_f32 v1, 0, v22 :: v_dual_add_f32 v2, v2, v123
	v_dual_add_f32 v1, v1, v114 :: v_dual_add_f32 v2, v2, v15
	s_delay_alu instid0(VALU_DEP_1) | instskip(NEXT) | instid1(VALU_DEP_2)
	v_add_f32_e32 v1, v1, v118
	v_add_f32_e32 v5, v2, v18
	s_delay_alu instid0(VALU_DEP_2) | instskip(SKIP_2) | instid1(VALU_DEP_1)
	v_add_f32_e32 v1, v1, v119
	scratch_load_b64 v[118:119], off, off offset:352
	v_add_f32_e32 v1, v1, v120
	v_add_f32_e32 v1, v1, v121
	s_delay_alu instid0(VALU_DEP_1) | instskip(SKIP_1) | instid1(VALU_DEP_2)
	v_add_f32_e32 v1, v1, v13
	v_add_f32_e32 v13, v5, v19
	;; [unrolled: 1-line block ×3, first 2 shown]
	s_delay_alu instid0(VALU_DEP_2) | instskip(NEXT) | instid1(VALU_DEP_2)
	v_add_f32_e32 v13, v13, v20
	v_add_f32_e32 v1, v1, v16
	s_delay_alu instid0(VALU_DEP_2) | instskip(NEXT) | instid1(VALU_DEP_2)
	v_add_f32_e32 v13, v13, v131
	v_add_f32_e32 v1, v1, v17
	;; [unrolled: 3-line block ×3, first 2 shown]
	scratch_load_b128 v[1:4], off, off offset:288
	v_add_f32_e32 v18, v18, v135
	v_add_f32_e32 v14, v6, v125
	ds_load_b128 v[5:8], v21 offset:640
	v_add_f32_e32 v18, v18, v137
	v_add_f32_e32 v14, v14, v133
	s_delay_alu instid0(VALU_DEP_2) | instskip(NEXT) | instid1(VALU_DEP_2)
	v_add_f32_e32 v114, v18, v139
	v_add_f32_e32 v17, v14, v134
	ds_load_b128 v[13:16], v21 offset:656
	v_add_f32_e32 v114, v114, v141
	s_delay_alu instid0(VALU_DEP_1)
	v_add_f32_e32 v114, v114, v143
	s_wait_loadcnt_dscnt 0x201
	v_mul_f32_e32 v22, v5, v10
	v_mul_f32_e32 v10, v6, v10
	v_mul_f32_e32 v122, v7, v12
	v_mul_f32_e32 v12, v8, v12
	v_add_f32_e32 v114, v114, v145
	v_fmac_f32_e32 v22, v6, v9
	v_fma_f32 v123, v5, v9, -v10
	v_fmac_f32_e32 v122, v8, v11
	v_fma_f32 v124, v7, v11, -v12
	s_clause 0x1
	scratch_load_b128 v[5:8], off, off offset:304
	scratch_load_b128 v[9:12], off, off offset:320
	s_wait_loadcnt_dscnt 0x200
	v_mul_f32_e32 v128, v15, v4
	v_mul_f32_e32 v4, v16, v4
	v_add_f32_e32 v17, v17, v136
	v_mul_f32_e32 v125, v13, v2
	v_mul_f32_e32 v2, v14, v2
	v_fmac_f32_e32 v128, v16, v3
	v_fma_f32 v130, v15, v3, -v4
	v_add_f32_e32 v17, v17, v138
	s_delay_alu instid0(VALU_DEP_4) | instskip(SKIP_1) | instid1(VALU_DEP_3)
	v_fma_f32 v129, v13, v1, -v2
	v_add_f32_e32 v13, v114, v147
	v_add_f32_e32 v17, v17, v140
	s_delay_alu instid0(VALU_DEP_2) | instskip(NEXT) | instid1(VALU_DEP_2)
	v_add_f32_e32 v114, v13, v149
	v_add_f32_e32 v115, v17, v142
	scratch_load_b128 v[17:20], off, off offset:336
	v_add_f32_e32 v121, v114, v151
	s_delay_alu instid0(VALU_DEP_1) | instskip(NEXT) | instid1(VALU_DEP_1)
	v_dual_add_f32 v115, v115, v144 :: v_dual_add_f32 v132, v121, v153
	v_add_f32_e32 v115, v115, v146
	s_delay_alu instid0(VALU_DEP_1)
	v_dual_add_f32 v22, v132, v22 :: v_dual_add_f32 v115, v115, v148
	v_fmac_f32_e32 v125, v14, v1
	ds_load_b128 v[1:4], v21 offset:672
	v_add_f32_e32 v22, v22, v122
	v_add_f32_e32 v14, v115, v150
	ds_load_b128 v[114:117], v21 offset:704
	v_add_f32_e32 v22, v22, v125
	v_add_f32_e32 v120, v14, v152
	ds_load_b128 v[13:16], v21 offset:688
	v_dual_add_f32 v22, v22, v128 :: v_dual_add_f32 v131, v120, v154
	ds_load_b64 v[120:121], v21 offset:720
	v_add_f32_e32 v123, v131, v123
	s_wait_loadcnt_dscnt 0x203
	v_mul_f32_e32 v131, v1, v6
	v_mul_f32_e32 v6, v2, v6
	;; [unrolled: 1-line block ×3, first 2 shown]
	v_add_f32_e32 v123, v123, v124
	s_delay_alu instid0(VALU_DEP_4) | instskip(NEXT) | instid1(VALU_DEP_4)
	v_dual_mul_f32 v8, v4, v8 :: v_dual_fmac_f32 v131, v2, v5
	v_fma_f32 v1, v1, v5, -v6
	s_delay_alu instid0(VALU_DEP_4)
	v_fmac_f32_e32 v122, v4, v7
	s_wait_loadcnt_dscnt 0x101
	v_dual_mul_f32 v124, v13, v10 :: v_dual_add_f32 v123, v123, v129
	v_fma_f32 v2, v3, v7, -v8
	v_dual_add_f32 v4, v22, v131 :: v_dual_mul_f32 v125, v15, v12
	s_wait_dscnt 0x0
	s_delay_alu instid0(VALU_DEP_3) | instskip(SKIP_1) | instid1(VALU_DEP_2)
	v_dual_mul_f32 v128, v120, v119 :: v_dual_add_f32 v123, v123, v130
	v_dual_mul_f32 v5, v16, v12 :: v_dual_fmac_f32 v124, v14, v9
	v_dual_fmac_f32 v125, v16, v11 :: v_dual_fmac_f32 v128, v121, v118
	s_delay_alu instid0(VALU_DEP_3) | instskip(NEXT) | instid1(VALU_DEP_3)
	v_add_f32_e32 v1, v123, v1
	v_fma_f32 v5, v15, v11, -v5
	s_delay_alu instid0(VALU_DEP_2) | instskip(SKIP_3) | instid1(VALU_DEP_2)
	v_add_f32_e32 v1, v1, v2
	s_wait_loadcnt 0x0
	v_dual_mul_f32 v129, v114, v18 :: v_dual_mul_f32 v130, v116, v20
	v_mul_f32_e32 v3, v14, v10
	v_dual_fmac_f32 v129, v115, v17 :: v_dual_fmac_f32 v130, v117, v19
	s_delay_alu instid0(VALU_DEP_2) | instskip(SKIP_2) | instid1(VALU_DEP_2)
	v_fma_f32 v3, v13, v9, -v3
	v_add_f32_e32 v2, v4, v122
	v_mul_f32_e32 v4, v115, v18
	v_dual_add_f32 v2, v2, v124 :: v_dual_add_f32 v1, v1, v3
	v_mul_f32_e32 v3, v117, v20
	s_delay_alu instid0(VALU_DEP_3) | instskip(NEXT) | instid1(VALU_DEP_3)
	v_fma_f32 v4, v114, v17, -v4
	v_add_f32_e32 v2, v2, v125
	s_delay_alu instid0(VALU_DEP_3) | instskip(NEXT) | instid1(VALU_DEP_2)
	v_fma_f32 v3, v116, v19, -v3
	v_add_f32_e32 v2, v2, v129
	s_delay_alu instid0(VALU_DEP_1) | instskip(NEXT) | instid1(VALU_DEP_1)
	v_dual_add_f32 v1, v1, v5 :: v_dual_add_f32 v2, v2, v130
	v_dual_mul_f32 v5, v121, v119 :: v_dual_add_f32 v2, v2, v128
	s_delay_alu instid0(VALU_DEP_2) | instskip(NEXT) | instid1(VALU_DEP_2)
	v_add_f32_e32 v1, v1, v4
	v_fma_f32 v4, v120, v118, -v5
	s_delay_alu instid0(VALU_DEP_2) | instskip(NEXT) | instid1(VALU_DEP_1)
	v_dual_sub_f32 v2, v127, v2 :: v_dual_add_f32 v1, v1, v3
	v_add_f32_e32 v1, v1, v4
	s_delay_alu instid0(VALU_DEP_1)
	v_sub_f32_e32 v1, v126, v1
	scratch_store_b64 off, v[1:2], off offset:72
	v_cmpx_lt_u32_e32 8, v0
	s_cbranch_execz .LBB44_267
; %bb.266:
	scratch_load_b64 v[1:2], off, off offset:64
	v_mov_b32_e32 v22, v21
	scratch_store_b64 off, v[21:22], off offset:64
	s_wait_loadcnt 0x0
	ds_store_b64 v23, v[1:2]
.LBB44_267:
	s_wait_alu 0xfffe
	s_or_b32 exec_lo, exec_lo, s0
	s_wait_storecnt_dscnt 0x0
	s_barrier_signal -1
	s_barrier_wait -1
	global_inv scope:SCOPE_SE
	s_clause 0x4
	scratch_load_b128 v[5:8], off, off offset:72
	scratch_load_b128 v[1:4], off, off offset:88
	scratch_load_b128 v[9:12], off, off offset:104
	scratch_load_b128 v[13:16], off, off offset:120
	scratch_load_b128 v[17:20], off, off offset:136
	ds_load_2addr_b64 v[114:117], v21 offset0:55 offset1:56
	ds_load_2addr_b64 v[118:121], v21 offset0:57 offset1:58
	;; [unrolled: 1-line block ×3, first 2 shown]
	scratch_load_b64 v[126:127], off, off offset:64
	s_mov_b32 s0, exec_lo
	s_wait_loadcnt_dscnt 0x502
	v_dual_mul_f32 v22, v115, v6 :: v_dual_mul_f32 v129, v116, v8
	v_mul_f32_e32 v128, v114, v6
	v_mul_f32_e32 v6, v117, v8
	s_wait_loadcnt_dscnt 0x300
	v_mul_f32_e32 v130, v124, v12
	v_fma_f32 v22, v114, v5, -v22
	v_dual_fmac_f32 v129, v117, v7 :: v_dual_fmac_f32 v128, v115, v5
	v_mul_f32_e32 v117, v122, v10
	v_mul_f32_e32 v115, v118, v2
	v_fma_f32 v114, v116, v7, -v6
	ds_load_2addr_b64 v[5:8], v21 offset0:61 offset1:62
	v_mul_f32_e32 v116, v120, v4
	v_dual_mul_f32 v4, v121, v4 :: v_dual_fmac_f32 v117, v123, v9
	v_mul_f32_e32 v10, v123, v10
	v_mul_f32_e32 v12, v125, v12
	;; [unrolled: 1-line block ×3, first 2 shown]
	v_dual_fmac_f32 v115, v119, v1 :: v_dual_fmac_f32 v116, v121, v3
	v_fma_f32 v119, v120, v3, -v4
	v_fma_f32 v120, v122, v9, -v10
	v_fmac_f32_e32 v130, v125, v11
	v_fma_f32 v121, v124, v11, -v12
	ds_load_2addr_b64 v[9:12], v21 offset0:63 offset1:64
	s_wait_loadcnt_dscnt 0x201
	v_dual_mul_f32 v123, v7, v16 :: v_dual_mul_f32 v122, v5, v14
	s_delay_alu instid0(VALU_DEP_1)
	v_dual_mul_f32 v14, v6, v14 :: v_dual_fmac_f32 v123, v8, v15
	v_fma_f32 v118, v118, v1, -v2
	scratch_load_b128 v[1:4], off, off offset:152
	v_mul_f32_e32 v16, v8, v16
	v_fmac_f32_e32 v122, v6, v13
	v_fma_f32 v13, v5, v13, -v14
	s_delay_alu instid0(VALU_DEP_3)
	v_fma_f32 v14, v7, v15, -v16
	s_wait_loadcnt_dscnt 0x200
	v_mul_f32_e32 v15, v9, v18
	v_mul_f32_e32 v16, v10, v18
	;; [unrolled: 1-line block ×4, first 2 shown]
	ds_load_2addr_b64 v[5:8], v21 offset0:65 offset1:66
	v_fmac_f32_e32 v15, v10, v17
	v_fma_f32 v16, v9, v17, -v16
	v_fmac_f32_e32 v18, v12, v19
	v_fma_f32 v17, v11, v19, -v20
	scratch_load_b128 v[9:12], off, off offset:168
	s_wait_loadcnt_dscnt 0x100
	v_mul_f32_e32 v19, v5, v2
	v_mul_f32_e32 v2, v6, v2
	;; [unrolled: 1-line block ×3, first 2 shown]
	s_delay_alu instid0(VALU_DEP_3) | instskip(NEXT) | instid1(VALU_DEP_3)
	v_dual_mul_f32 v4, v8, v4 :: v_dual_fmac_f32 v19, v6, v1
	v_fma_f32 v124, v5, v1, -v2
	s_delay_alu instid0(VALU_DEP_3) | instskip(NEXT) | instid1(VALU_DEP_3)
	v_fmac_f32_e32 v20, v8, v3
	v_fma_f32 v125, v7, v3, -v4
	ds_load_2addr_b64 v[1:4], v21 offset0:67 offset1:68
	ds_load_2addr_b64 v[5:8], v21 offset0:69 offset1:70
	s_wait_loadcnt_dscnt 0x1
	v_mul_f32_e32 v131, v1, v10
	v_mul_f32_e32 v10, v2, v10
	s_delay_alu instid0(VALU_DEP_2) | instskip(NEXT) | instid1(VALU_DEP_2)
	v_dual_mul_f32 v132, v3, v12 :: v_dual_fmac_f32 v131, v2, v9
	v_fma_f32 v133, v1, v9, -v10
	v_mul_f32_e32 v1, v4, v12
	s_delay_alu instid0(VALU_DEP_3) | instskip(NEXT) | instid1(VALU_DEP_2)
	v_fmac_f32_e32 v132, v4, v11
	v_fma_f32 v134, v3, v11, -v1
	s_clause 0x1
	scratch_load_b128 v[1:4], off, off offset:184
	scratch_load_b128 v[9:12], off, off offset:200
	s_wait_loadcnt_dscnt 0x100
	v_mul_f32_e32 v135, v5, v2
	v_dual_mul_f32 v2, v6, v2 :: v_dual_mul_f32 v137, v7, v4
	s_delay_alu instid0(VALU_DEP_2) | instskip(NEXT) | instid1(VALU_DEP_2)
	v_fmac_f32_e32 v135, v6, v1
	v_fma_f32 v136, v5, v1, -v2
	v_mul_f32_e32 v1, v8, v4
	s_delay_alu instid0(VALU_DEP_4) | instskip(NEXT) | instid1(VALU_DEP_2)
	v_fmac_f32_e32 v137, v8, v3
	v_fma_f32 v138, v7, v3, -v1
	ds_load_2addr_b64 v[1:4], v21 offset0:71 offset1:72
	ds_load_2addr_b64 v[5:8], v21 offset0:73 offset1:74
	s_wait_loadcnt_dscnt 0x1
	v_mul_f32_e32 v139, v1, v10
	v_mul_f32_e32 v141, v3, v12
	s_delay_alu instid0(VALU_DEP_2) | instskip(NEXT) | instid1(VALU_DEP_2)
	v_fmac_f32_e32 v139, v2, v9
	v_dual_mul_f32 v2, v2, v10 :: v_dual_fmac_f32 v141, v4, v11
	s_delay_alu instid0(VALU_DEP_1) | instskip(SKIP_1) | instid1(VALU_DEP_1)
	v_fma_f32 v140, v1, v9, -v2
	v_mul_f32_e32 v1, v4, v12
	v_fma_f32 v142, v3, v11, -v1
	s_clause 0x1
	scratch_load_b128 v[1:4], off, off offset:216
	scratch_load_b128 v[9:12], off, off offset:232
	s_wait_loadcnt_dscnt 0x100
	v_mul_f32_e32 v143, v5, v2
	v_dual_mul_f32 v2, v6, v2 :: v_dual_mul_f32 v145, v7, v4
	s_delay_alu instid0(VALU_DEP_2) | instskip(NEXT) | instid1(VALU_DEP_2)
	v_fmac_f32_e32 v143, v6, v1
	v_fma_f32 v144, v5, v1, -v2
	v_mul_f32_e32 v1, v8, v4
	s_delay_alu instid0(VALU_DEP_4) | instskip(NEXT) | instid1(VALU_DEP_2)
	v_fmac_f32_e32 v145, v8, v3
	v_fma_f32 v146, v7, v3, -v1
	ds_load_2addr_b64 v[1:4], v21 offset0:75 offset1:76
	ds_load_2addr_b64 v[5:8], v21 offset0:77 offset1:78
	s_wait_loadcnt_dscnt 0x1
	v_mul_f32_e32 v147, v1, v10
	v_mul_f32_e32 v149, v3, v12
	s_delay_alu instid0(VALU_DEP_2) | instskip(NEXT) | instid1(VALU_DEP_2)
	v_fmac_f32_e32 v147, v2, v9
	v_dual_mul_f32 v2, v2, v10 :: v_dual_fmac_f32 v149, v4, v11
	s_delay_alu instid0(VALU_DEP_1) | instskip(SKIP_1) | instid1(VALU_DEP_1)
	v_fma_f32 v148, v1, v9, -v2
	v_mul_f32_e32 v1, v4, v12
	;; [unrolled: 25-line block ×3, first 2 shown]
	v_fma_f32 v158, v3, v11, -v1
	s_clause 0x1
	scratch_load_b128 v[1:4], off, off offset:280
	scratch_load_b128 v[9:12], off, off offset:296
	s_wait_loadcnt_dscnt 0x100
	v_mul_f32_e32 v159, v5, v2
	v_mul_f32_e32 v2, v6, v2
	s_delay_alu instid0(VALU_DEP_1) | instskip(SKIP_1) | instid1(VALU_DEP_1)
	v_fma_f32 v160, v5, v1, -v2
	v_add_f32_e32 v2, 0, v128
	v_add_f32_e32 v2, v2, v129
	s_delay_alu instid0(VALU_DEP_1) | instskip(NEXT) | instid1(VALU_DEP_1)
	v_add_f32_e32 v2, v2, v115
	v_add_f32_e32 v2, v2, v116
	s_delay_alu instid0(VALU_DEP_1) | instskip(NEXT) | instid1(VALU_DEP_1)
	;; [unrolled: 3-line block ×3, first 2 shown]
	v_add_f32_e32 v2, v2, v122
	v_add_f32_e32 v2, v2, v123
	s_delay_alu instid0(VALU_DEP_1) | instskip(SKIP_1) | instid1(VALU_DEP_2)
	v_add_f32_e32 v2, v2, v15
	v_fmac_f32_e32 v159, v6, v1
	v_dual_mul_f32 v161, v7, v4 :: v_dual_add_f32 v2, v2, v18
	s_delay_alu instid0(VALU_DEP_1) | instskip(NEXT) | instid1(VALU_DEP_1)
	v_dual_mul_f32 v1, v8, v4 :: v_dual_add_f32 v2, v2, v19
	v_fma_f32 v162, v7, v3, -v1
	v_add_f32_e32 v1, 0, v22
	s_delay_alu instid0(VALU_DEP_3) | instskip(NEXT) | instid1(VALU_DEP_2)
	v_dual_fmac_f32 v161, v8, v3 :: v_dual_add_f32 v2, v2, v20
	v_add_f32_e32 v1, v1, v114
	s_delay_alu instid0(VALU_DEP_2) | instskip(NEXT) | instid1(VALU_DEP_2)
	v_add_f32_e32 v5, v2, v131
	v_add_f32_e32 v1, v1, v118
	s_delay_alu instid0(VALU_DEP_2) | instskip(NEXT) | instid1(VALU_DEP_2)
	v_add_f32_e32 v5, v5, v132
	;; [unrolled: 3-line block ×3, first 2 shown]
	v_add_f32_e32 v1, v1, v120
	s_delay_alu instid0(VALU_DEP_1) | instskip(NEXT) | instid1(VALU_DEP_1)
	v_add_f32_e32 v1, v1, v121
	v_add_f32_e32 v1, v1, v13
	s_delay_alu instid0(VALU_DEP_1) | instskip(SKIP_1) | instid1(VALU_DEP_1)
	v_add_f32_e32 v1, v1, v14
	v_add_f32_e32 v14, v5, v137
	;; [unrolled: 1-line block ×3, first 2 shown]
	s_delay_alu instid0(VALU_DEP_1) | instskip(NEXT) | instid1(VALU_DEP_1)
	v_dual_add_f32 v14, v14, v141 :: v_dual_add_f32 v1, v1, v16
	v_add_f32_e32 v1, v1, v17
	s_delay_alu instid0(VALU_DEP_1) | instskip(NEXT) | instid1(VALU_DEP_1)
	v_add_f32_e32 v1, v1, v124
	v_add_f32_e32 v1, v1, v125
	s_delay_alu instid0(VALU_DEP_1) | instskip(NEXT) | instid1(VALU_DEP_1)
	v_add_f32_e32 v1, v1, v133
	v_add_f32_e32 v6, v1, v134
	ds_load_2addr_b64 v[1:4], v21 offset0:83 offset1:84
	v_add_f32_e32 v6, v6, v136
	s_delay_alu instid0(VALU_DEP_1)
	v_add_f32_e32 v13, v6, v138
	ds_load_2addr_b64 v[5:8], v21 offset0:85 offset1:86
	s_wait_loadcnt_dscnt 0x1
	v_mul_f32_e32 v22, v1, v10
	v_mul_f32_e32 v118, v3, v12
	;; [unrolled: 1-line block ×4, first 2 shown]
	s_delay_alu instid0(VALU_DEP_4) | instskip(NEXT) | instid1(VALU_DEP_4)
	v_fmac_f32_e32 v22, v2, v9
	v_fmac_f32_e32 v118, v4, v11
	s_delay_alu instid0(VALU_DEP_4) | instskip(NEXT) | instid1(VALU_DEP_4)
	v_fma_f32 v119, v1, v9, -v10
	v_fma_f32 v120, v3, v11, -v12
	s_clause 0x1
	scratch_load_b128 v[1:4], off, off offset:312
	scratch_load_b128 v[9:12], off, off offset:328
	v_add_f32_e32 v13, v13, v140
	v_add_f32_e32 v17, v14, v143
	s_delay_alu instid0(VALU_DEP_1) | instskip(SKIP_3) | instid1(VALU_DEP_2)
	v_add_f32_e32 v17, v17, v145
	s_wait_loadcnt_dscnt 0x100
	v_mul_f32_e32 v123, v7, v4
	v_mul_f32_e32 v4, v8, v4
	v_fmac_f32_e32 v123, v8, v3
	v_add_f32_e32 v13, v13, v142
	s_delay_alu instid0(VALU_DEP_3) | instskip(NEXT) | instid1(VALU_DEP_2)
	v_fma_f32 v3, v7, v3, -v4
	v_add_f32_e32 v13, v13, v144
	s_delay_alu instid0(VALU_DEP_1) | instskip(SKIP_2) | instid1(VALU_DEP_1)
	v_add_f32_e32 v18, v13, v146
	scratch_load_b128 v[13:16], off, off offset:344
	v_dual_add_f32 v17, v17, v147 :: v_dual_add_f32 v18, v18, v148
	v_dual_add_f32 v17, v17, v149 :: v_dual_add_f32 v18, v18, v150
	s_delay_alu instid0(VALU_DEP_1)
	v_dual_add_f32 v115, v17, v151 :: v_dual_add_f32 v114, v18, v152
	ds_load_2addr_b64 v[17:20], v21 offset0:87 offset1:88
	v_dual_add_f32 v122, v115, v153 :: v_dual_add_f32 v121, v114, v154
	ds_load_2addr_b64 v[114:117], v21 offset0:89 offset1:90
	v_add_f32_e32 v21, v121, v156
	v_dual_add_f32 v121, v122, v155 :: v_dual_mul_f32 v122, v5, v2
	v_mul_f32_e32 v2, v6, v2
	s_delay_alu instid0(VALU_DEP_2) | instskip(NEXT) | instid1(VALU_DEP_2)
	v_dual_add_f32 v21, v21, v158 :: v_dual_fmac_f32 v122, v6, v1
	v_fma_f32 v2, v5, v1, -v2
	s_delay_alu instid0(VALU_DEP_2) | instskip(SKIP_3) | instid1(VALU_DEP_3)
	v_add_f32_e32 v21, v21, v160
	s_wait_loadcnt_dscnt 0x101
	v_mul_f32_e32 v124, v17, v10
	v_dual_add_f32 v121, v121, v157 :: v_dual_mul_f32 v6, v18, v10
	v_dual_mul_f32 v4, v20, v12 :: v_dual_add_f32 v21, v21, v162
	s_delay_alu instid0(VALU_DEP_2) | instskip(NEXT) | instid1(VALU_DEP_2)
	v_dual_fmac_f32 v124, v18, v9 :: v_dual_add_f32 v121, v121, v159
	v_fma_f32 v4, v19, v11, -v4
	s_delay_alu instid0(VALU_DEP_3) | instskip(NEXT) | instid1(VALU_DEP_3)
	v_add_f32_e32 v21, v21, v119
	v_add_f32_e32 v121, v121, v161
	s_delay_alu instid0(VALU_DEP_2) | instskip(NEXT) | instid1(VALU_DEP_2)
	v_add_f32_e32 v1, v21, v120
	v_add_f32_e32 v22, v121, v22
	s_delay_alu instid0(VALU_DEP_2) | instskip(NEXT) | instid1(VALU_DEP_2)
	v_add_f32_e32 v1, v1, v2
	v_add_f32_e32 v5, v22, v118
	v_mul_f32_e32 v125, v19, v12
	s_delay_alu instid0(VALU_DEP_3) | instskip(NEXT) | instid1(VALU_DEP_3)
	v_add_f32_e32 v1, v1, v3
	v_add_f32_e32 v2, v5, v122
	v_fma_f32 v5, v17, v9, -v6
	s_delay_alu instid0(VALU_DEP_4) | instskip(NEXT) | instid1(VALU_DEP_2)
	v_fmac_f32_e32 v125, v20, v11
	v_dual_add_f32 v2, v2, v123 :: v_dual_add_f32 v1, v1, v5
	s_delay_alu instid0(VALU_DEP_1) | instskip(NEXT) | instid1(VALU_DEP_1)
	v_add_f32_e32 v2, v2, v124
	v_dual_add_f32 v1, v1, v4 :: v_dual_add_f32 v2, v2, v125
	s_wait_loadcnt_dscnt 0x0
	v_mul_f32_e32 v128, v114, v14
	v_mul_f32_e32 v3, v115, v14
	;; [unrolled: 1-line block ×3, first 2 shown]
	s_delay_alu instid0(VALU_DEP_3) | instskip(NEXT) | instid1(VALU_DEP_3)
	v_dual_mul_f32 v5, v117, v16 :: v_dual_fmac_f32 v128, v115, v13
	v_fma_f32 v3, v114, v13, -v3
	s_delay_alu instid0(VALU_DEP_3) | instskip(NEXT) | instid1(VALU_DEP_3)
	v_fmac_f32_e32 v119, v117, v15
	v_fma_f32 v4, v116, v15, -v5
	s_delay_alu instid0(VALU_DEP_3) | instskip(NEXT) | instid1(VALU_DEP_1)
	v_dual_add_f32 v2, v2, v128 :: v_dual_add_f32 v1, v1, v3
	v_dual_add_f32 v2, v2, v119 :: v_dual_add_f32 v1, v1, v4
	s_delay_alu instid0(VALU_DEP_1)
	v_dual_sub_f32 v2, v127, v2 :: v_dual_sub_f32 v1, v126, v1
	scratch_store_b64 off, v[1:2], off offset:64
	v_cmpx_lt_u32_e32 7, v0
	s_cbranch_execz .LBB44_269
; %bb.268:
	scratch_load_b64 v[1:2], off, off offset:56
	v_mov_b32_e32 v3, 0
	s_delay_alu instid0(VALU_DEP_1)
	v_mov_b32_e32 v4, v3
	scratch_store_b64 off, v[3:4], off offset:56
	s_wait_loadcnt 0x0
	ds_store_b64 v23, v[1:2]
.LBB44_269:
	s_wait_alu 0xfffe
	s_or_b32 exec_lo, exec_lo, s0
	s_wait_storecnt_dscnt 0x0
	s_barrier_signal -1
	s_barrier_wait -1
	global_inv scope:SCOPE_SE
	s_clause 0x4
	scratch_load_b128 v[5:8], off, off offset:64
	scratch_load_b128 v[1:4], off, off offset:80
	;; [unrolled: 1-line block ×5, first 2 shown]
	v_mov_b32_e32 v21, 0
	ds_load_b128 v[114:117], v21 offset:432
	ds_load_b128 v[118:121], v21 offset:448
	;; [unrolled: 1-line block ×3, first 2 shown]
	scratch_load_b64 v[126:127], off, off offset:56
	s_mov_b32 s0, exec_lo
	s_wait_loadcnt_dscnt 0x502
	v_mul_f32_e32 v22, v115, v6
	v_dual_mul_f32 v128, v114, v6 :: v_dual_mul_f32 v129, v116, v8
	v_mul_f32_e32 v6, v117, v8
	s_delay_alu instid0(VALU_DEP_3) | instskip(NEXT) | instid1(VALU_DEP_3)
	v_fma_f32 v22, v114, v5, -v22
	v_dual_fmac_f32 v128, v115, v5 :: v_dual_fmac_f32 v129, v117, v7
	s_wait_loadcnt_dscnt 0x401
	v_mul_f32_e32 v115, v118, v2
	v_fma_f32 v114, v116, v7, -v6
	ds_load_b128 v[5:8], v21 offset:480
	s_wait_loadcnt_dscnt 0x301
	v_dual_mul_f32 v116, v120, v4 :: v_dual_mul_f32 v117, v122, v10
	v_dual_mul_f32 v4, v121, v4 :: v_dual_fmac_f32 v115, v119, v1
	v_mul_f32_e32 v10, v123, v10
	s_delay_alu instid0(VALU_DEP_3)
	v_dual_mul_f32 v130, v124, v12 :: v_dual_fmac_f32 v117, v123, v9
	v_mul_f32_e32 v12, v125, v12
	v_mul_f32_e32 v2, v119, v2
	v_fmac_f32_e32 v116, v121, v3
	v_fma_f32 v119, v120, v3, -v4
	v_fma_f32 v120, v122, v9, -v10
	v_fmac_f32_e32 v130, v125, v11
	v_fma_f32 v121, v124, v11, -v12
	ds_load_b128 v[9:12], v21 offset:496
	s_wait_loadcnt_dscnt 0x201
	v_dual_mul_f32 v123, v7, v16 :: v_dual_mul_f32 v122, v5, v14
	v_mul_f32_e32 v14, v6, v14
	v_mul_f32_e32 v16, v8, v16
	s_delay_alu instid0(VALU_DEP_3)
	v_fmac_f32_e32 v123, v8, v15
	v_fma_f32 v118, v118, v1, -v2
	scratch_load_b128 v[1:4], off, off offset:144
	v_fmac_f32_e32 v122, v6, v13
	v_fma_f32 v13, v5, v13, -v14
	v_fma_f32 v14, v7, v15, -v16
	ds_load_b128 v[5:8], v21 offset:512
	s_wait_loadcnt_dscnt 0x201
	v_mul_f32_e32 v15, v9, v18
	v_mul_f32_e32 v16, v10, v18
	;; [unrolled: 1-line block ×3, first 2 shown]
	s_delay_alu instid0(VALU_DEP_3) | instskip(NEXT) | instid1(VALU_DEP_3)
	v_dual_mul_f32 v20, v12, v20 :: v_dual_fmac_f32 v15, v10, v17
	v_fma_f32 v16, v9, v17, -v16
	s_delay_alu instid0(VALU_DEP_3) | instskip(NEXT) | instid1(VALU_DEP_3)
	v_fmac_f32_e32 v18, v12, v19
	v_fma_f32 v17, v11, v19, -v20
	scratch_load_b128 v[9:12], off, off offset:160
	s_wait_loadcnt_dscnt 0x100
	v_mul_f32_e32 v19, v5, v2
	v_mul_f32_e32 v2, v6, v2
	;; [unrolled: 1-line block ×3, first 2 shown]
	s_delay_alu instid0(VALU_DEP_3) | instskip(NEXT) | instid1(VALU_DEP_3)
	v_dual_mul_f32 v4, v8, v4 :: v_dual_fmac_f32 v19, v6, v1
	v_fma_f32 v124, v5, v1, -v2
	s_delay_alu instid0(VALU_DEP_3) | instskip(NEXT) | instid1(VALU_DEP_3)
	v_fmac_f32_e32 v20, v8, v3
	v_fma_f32 v125, v7, v3, -v4
	ds_load_b128 v[1:4], v21 offset:528
	ds_load_b128 v[5:8], v21 offset:544
	s_wait_loadcnt_dscnt 0x1
	v_mul_f32_e32 v131, v1, v10
	v_mul_f32_e32 v10, v2, v10
	s_delay_alu instid0(VALU_DEP_2) | instskip(NEXT) | instid1(VALU_DEP_2)
	v_dual_mul_f32 v132, v3, v12 :: v_dual_fmac_f32 v131, v2, v9
	v_fma_f32 v133, v1, v9, -v10
	v_mul_f32_e32 v1, v4, v12
	s_delay_alu instid0(VALU_DEP_3) | instskip(NEXT) | instid1(VALU_DEP_2)
	v_fmac_f32_e32 v132, v4, v11
	v_fma_f32 v134, v3, v11, -v1
	s_clause 0x1
	scratch_load_b128 v[1:4], off, off offset:176
	scratch_load_b128 v[9:12], off, off offset:192
	s_wait_loadcnt_dscnt 0x100
	v_mul_f32_e32 v135, v5, v2
	v_dual_mul_f32 v2, v6, v2 :: v_dual_mul_f32 v137, v7, v4
	s_delay_alu instid0(VALU_DEP_2) | instskip(NEXT) | instid1(VALU_DEP_2)
	v_fmac_f32_e32 v135, v6, v1
	v_fma_f32 v136, v5, v1, -v2
	v_mul_f32_e32 v1, v8, v4
	s_delay_alu instid0(VALU_DEP_4) | instskip(NEXT) | instid1(VALU_DEP_2)
	v_fmac_f32_e32 v137, v8, v3
	v_fma_f32 v138, v7, v3, -v1
	ds_load_b128 v[1:4], v21 offset:560
	ds_load_b128 v[5:8], v21 offset:576
	s_wait_loadcnt_dscnt 0x1
	v_mul_f32_e32 v139, v1, v10
	v_mul_f32_e32 v141, v3, v12
	s_delay_alu instid0(VALU_DEP_2) | instskip(NEXT) | instid1(VALU_DEP_2)
	v_fmac_f32_e32 v139, v2, v9
	v_dual_mul_f32 v2, v2, v10 :: v_dual_fmac_f32 v141, v4, v11
	s_delay_alu instid0(VALU_DEP_1) | instskip(SKIP_1) | instid1(VALU_DEP_1)
	v_fma_f32 v140, v1, v9, -v2
	v_mul_f32_e32 v1, v4, v12
	v_fma_f32 v142, v3, v11, -v1
	s_clause 0x1
	scratch_load_b128 v[1:4], off, off offset:208
	scratch_load_b128 v[9:12], off, off offset:224
	s_wait_loadcnt_dscnt 0x100
	v_mul_f32_e32 v143, v5, v2
	v_dual_mul_f32 v145, v7, v4 :: v_dual_mul_f32 v2, v6, v2
	s_delay_alu instid0(VALU_DEP_2) | instskip(NEXT) | instid1(VALU_DEP_2)
	v_fmac_f32_e32 v143, v6, v1
	v_fmac_f32_e32 v145, v8, v3
	s_delay_alu instid0(VALU_DEP_3) | instskip(SKIP_1) | instid1(VALU_DEP_1)
	v_fma_f32 v144, v5, v1, -v2
	v_mul_f32_e32 v1, v8, v4
	v_fma_f32 v146, v7, v3, -v1
	ds_load_b128 v[1:4], v21 offset:592
	ds_load_b128 v[5:8], v21 offset:608
	s_wait_loadcnt_dscnt 0x1
	v_mul_f32_e32 v147, v1, v10
	v_mul_f32_e32 v149, v3, v12
	s_delay_alu instid0(VALU_DEP_2) | instskip(NEXT) | instid1(VALU_DEP_2)
	v_fmac_f32_e32 v147, v2, v9
	v_dual_mul_f32 v2, v2, v10 :: v_dual_fmac_f32 v149, v4, v11
	s_delay_alu instid0(VALU_DEP_1) | instskip(SKIP_1) | instid1(VALU_DEP_1)
	v_fma_f32 v148, v1, v9, -v2
	v_mul_f32_e32 v1, v4, v12
	v_fma_f32 v150, v3, v11, -v1
	s_clause 0x1
	scratch_load_b128 v[1:4], off, off offset:240
	scratch_load_b128 v[9:12], off, off offset:256
	s_wait_loadcnt_dscnt 0x100
	v_mul_f32_e32 v151, v5, v2
	v_dual_mul_f32 v2, v6, v2 :: v_dual_mul_f32 v153, v7, v4
	s_delay_alu instid0(VALU_DEP_2) | instskip(NEXT) | instid1(VALU_DEP_2)
	v_fmac_f32_e32 v151, v6, v1
	v_fma_f32 v152, v5, v1, -v2
	v_mul_f32_e32 v1, v8, v4
	s_delay_alu instid0(VALU_DEP_4) | instskip(NEXT) | instid1(VALU_DEP_2)
	v_fmac_f32_e32 v153, v8, v3
	v_fma_f32 v154, v7, v3, -v1
	ds_load_b128 v[1:4], v21 offset:624
	ds_load_b128 v[5:8], v21 offset:640
	s_wait_loadcnt_dscnt 0x1
	v_mul_f32_e32 v155, v1, v10
	v_mul_f32_e32 v157, v3, v12
	s_delay_alu instid0(VALU_DEP_2) | instskip(NEXT) | instid1(VALU_DEP_2)
	v_fmac_f32_e32 v155, v2, v9
	v_dual_mul_f32 v2, v2, v10 :: v_dual_fmac_f32 v157, v4, v11
	s_delay_alu instid0(VALU_DEP_1) | instskip(SKIP_1) | instid1(VALU_DEP_1)
	v_fma_f32 v156, v1, v9, -v2
	v_mul_f32_e32 v1, v4, v12
	v_fma_f32 v158, v3, v11, -v1
	s_clause 0x1
	scratch_load_b128 v[1:4], off, off offset:272
	scratch_load_b128 v[9:12], off, off offset:288
	s_wait_loadcnt_dscnt 0x100
	v_mul_f32_e32 v159, v5, v2
	v_mul_f32_e32 v2, v6, v2
	s_delay_alu instid0(VALU_DEP_1) | instskip(SKIP_1) | instid1(VALU_DEP_1)
	v_fma_f32 v160, v5, v1, -v2
	v_add_f32_e32 v2, 0, v128
	v_add_f32_e32 v2, v2, v129
	s_delay_alu instid0(VALU_DEP_1) | instskip(NEXT) | instid1(VALU_DEP_1)
	v_add_f32_e32 v2, v2, v115
	v_add_f32_e32 v2, v2, v116
	s_delay_alu instid0(VALU_DEP_1) | instskip(NEXT) | instid1(VALU_DEP_1)
	;; [unrolled: 3-line block ×4, first 2 shown]
	v_dual_add_f32 v2, v2, v15 :: v_dual_mul_f32 v161, v7, v4
	v_add_f32_e32 v2, v2, v18
	s_delay_alu instid0(VALU_DEP_1) | instskip(NEXT) | instid1(VALU_DEP_3)
	v_add_f32_e32 v2, v2, v19
	v_fmac_f32_e32 v161, v8, v3
	v_fmac_f32_e32 v159, v6, v1
	s_delay_alu instid0(VALU_DEP_3) | instskip(NEXT) | instid1(VALU_DEP_1)
	v_add_f32_e32 v2, v2, v20
	v_add_f32_e32 v5, v2, v131
	s_delay_alu instid0(VALU_DEP_1) | instskip(NEXT) | instid1(VALU_DEP_1)
	v_add_f32_e32 v5, v5, v132
	v_add_f32_e32 v5, v5, v135
	v_mul_f32_e32 v1, v8, v4
	s_delay_alu instid0(VALU_DEP_1) | instskip(SKIP_1) | instid1(VALU_DEP_1)
	v_fma_f32 v162, v7, v3, -v1
	v_add_f32_e32 v1, 0, v22
	v_add_f32_e32 v1, v1, v114
	s_delay_alu instid0(VALU_DEP_1) | instskip(NEXT) | instid1(VALU_DEP_1)
	v_add_f32_e32 v1, v1, v118
	v_add_f32_e32 v1, v1, v119
	scratch_load_b64 v[118:119], off, off offset:352
	v_add_f32_e32 v1, v1, v120
	s_delay_alu instid0(VALU_DEP_1) | instskip(NEXT) | instid1(VALU_DEP_1)
	v_add_f32_e32 v1, v1, v121
	v_add_f32_e32 v1, v1, v13
	s_delay_alu instid0(VALU_DEP_1) | instskip(SKIP_1) | instid1(VALU_DEP_1)
	v_add_f32_e32 v1, v1, v14
	v_add_f32_e32 v14, v5, v137
	;; [unrolled: 1-line block ×3, first 2 shown]
	s_delay_alu instid0(VALU_DEP_1) | instskip(NEXT) | instid1(VALU_DEP_1)
	v_dual_add_f32 v14, v14, v141 :: v_dual_add_f32 v1, v1, v16
	v_add_f32_e32 v1, v1, v17
	s_delay_alu instid0(VALU_DEP_2) | instskip(NEXT) | instid1(VALU_DEP_2)
	v_add_f32_e32 v17, v14, v143
	v_add_f32_e32 v1, v1, v124
	s_delay_alu instid0(VALU_DEP_1) | instskip(NEXT) | instid1(VALU_DEP_1)
	v_add_f32_e32 v1, v1, v125
	v_add_f32_e32 v1, v1, v133
	s_delay_alu instid0(VALU_DEP_1) | instskip(SKIP_2) | instid1(VALU_DEP_1)
	v_add_f32_e32 v6, v1, v134
	ds_load_b128 v[1:4], v21 offset:656
	v_add_f32_e32 v6, v6, v136
	v_add_f32_e32 v13, v6, v138
	ds_load_b128 v[5:8], v21 offset:672
	s_wait_loadcnt_dscnt 0x101
	v_mul_f32_e32 v22, v1, v10
	v_mul_f32_e32 v10, v2, v10
	;; [unrolled: 1-line block ×4, first 2 shown]
	s_delay_alu instid0(VALU_DEP_4) | instskip(NEXT) | instid1(VALU_DEP_4)
	v_fmac_f32_e32 v22, v2, v9
	v_fma_f32 v123, v1, v9, -v10
	s_delay_alu instid0(VALU_DEP_4) | instskip(NEXT) | instid1(VALU_DEP_4)
	v_fmac_f32_e32 v122, v4, v11
	v_fma_f32 v124, v3, v11, -v12
	s_clause 0x1
	scratch_load_b128 v[1:4], off, off offset:304
	scratch_load_b128 v[9:12], off, off offset:320
	v_add_f32_e32 v17, v17, v145
	s_delay_alu instid0(VALU_DEP_1) | instskip(SKIP_1) | instid1(VALU_DEP_1)
	v_add_f32_e32 v17, v17, v147
	s_wait_loadcnt_dscnt 0x100
	v_dual_add_f32 v17, v17, v149 :: v_dual_mul_f32 v130, v7, v4
	v_mul_f32_e32 v129, v5, v2
	v_mul_f32_e32 v2, v6, v2
	;; [unrolled: 1-line block ×3, first 2 shown]
	s_delay_alu instid0(VALU_DEP_3) | instskip(NEXT) | instid1(VALU_DEP_3)
	v_dual_fmac_f32 v130, v8, v3 :: v_dual_fmac_f32 v129, v6, v1
	v_fma_f32 v2, v5, v1, -v2
	v_add_f32_e32 v17, v17, v151
	s_delay_alu instid0(VALU_DEP_4) | instskip(NEXT) | instid1(VALU_DEP_2)
	v_fma_f32 v1, v7, v3, -v4
	v_add_f32_e32 v114, v17, v153
	s_delay_alu instid0(VALU_DEP_1) | instskip(SKIP_2) | instid1(VALU_DEP_1)
	v_add_f32_e32 v121, v114, v155
	ds_load_b128 v[114:117], v21 offset:704
	v_add_f32_e32 v128, v121, v157
	v_add_f32_e32 v128, v128, v159
	s_delay_alu instid0(VALU_DEP_1) | instskip(NEXT) | instid1(VALU_DEP_1)
	v_dual_add_f32 v128, v128, v161 :: v_dual_add_f32 v13, v13, v140
	v_add_f32_e32 v22, v128, v22
	s_delay_alu instid0(VALU_DEP_2) | instskip(NEXT) | instid1(VALU_DEP_1)
	v_add_f32_e32 v13, v13, v142
	v_dual_add_f32 v22, v22, v122 :: v_dual_add_f32 v13, v13, v144
	s_delay_alu instid0(VALU_DEP_1) | instskip(SKIP_2) | instid1(VALU_DEP_1)
	v_add_f32_e32 v18, v13, v146
	scratch_load_b128 v[13:16], off, off offset:336
	v_add_f32_e32 v18, v18, v148
	v_add_f32_e32 v18, v18, v150
	s_delay_alu instid0(VALU_DEP_1) | instskip(NEXT) | instid1(VALU_DEP_1)
	v_add_f32_e32 v18, v18, v152
	v_add_f32_e32 v18, v18, v154
	s_delay_alu instid0(VALU_DEP_1)
	v_add_f32_e32 v120, v18, v156
	ds_load_b128 v[17:20], v21 offset:688
	v_add_f32_e32 v125, v120, v158
	ds_load_b64 v[120:121], v21 offset:720
	s_wait_loadcnt_dscnt 0x101
	v_dual_mul_f32 v128, v19, v12 :: v_dual_mul_f32 v3, v18, v10
	s_wait_dscnt 0x0
	v_mul_f32_e32 v122, v120, v119
	s_delay_alu instid0(VALU_DEP_2) | instskip(NEXT) | instid1(VALU_DEP_3)
	v_fma_f32 v3, v17, v9, -v3
	v_fmac_f32_e32 v128, v20, v11
	s_delay_alu instid0(VALU_DEP_3) | instskip(SKIP_1) | instid1(VALU_DEP_1)
	v_fmac_f32_e32 v122, v121, v118
	v_dual_add_f32 v4, v22, v129 :: v_dual_add_f32 v125, v125, v160
	v_add_f32_e32 v125, v125, v162
	s_delay_alu instid0(VALU_DEP_1) | instskip(SKIP_1) | instid1(VALU_DEP_2)
	v_add_f32_e32 v123, v125, v123
	v_mul_f32_e32 v125, v17, v10
	v_add_f32_e32 v123, v123, v124
	s_delay_alu instid0(VALU_DEP_1) | instskip(NEXT) | instid1(VALU_DEP_1)
	v_dual_fmac_f32 v125, v18, v9 :: v_dual_add_f32 v2, v123, v2
	v_dual_add_f32 v1, v2, v1 :: v_dual_add_f32 v2, v4, v130
	s_delay_alu instid0(VALU_DEP_1) | instskip(NEXT) | instid1(VALU_DEP_1)
	v_add_f32_e32 v2, v2, v125
	v_add_f32_e32 v2, v2, v128
	s_wait_loadcnt 0x0
	v_dual_mul_f32 v124, v116, v16 :: v_dual_mul_f32 v131, v114, v14
	v_mul_f32_e32 v4, v115, v14
	s_delay_alu instid0(VALU_DEP_2) | instskip(NEXT) | instid1(VALU_DEP_2)
	v_dual_fmac_f32 v124, v117, v15 :: v_dual_fmac_f32 v131, v115, v13
	v_fma_f32 v4, v114, v13, -v4
	s_delay_alu instid0(VALU_DEP_2) | instskip(SKIP_2) | instid1(VALU_DEP_3)
	v_add_f32_e32 v2, v2, v131
	v_add_f32_e32 v1, v1, v3
	v_mul_f32_e32 v3, v117, v16
	v_add_f32_e32 v2, v2, v124
	v_mul_f32_e32 v5, v20, v12
	s_delay_alu instid0(VALU_DEP_3) | instskip(NEXT) | instid1(VALU_DEP_3)
	v_fma_f32 v3, v116, v15, -v3
	v_add_f32_e32 v2, v2, v122
	s_delay_alu instid0(VALU_DEP_3) | instskip(NEXT) | instid1(VALU_DEP_1)
	v_fma_f32 v5, v19, v11, -v5
	v_dual_sub_f32 v2, v127, v2 :: v_dual_add_f32 v1, v1, v5
	v_mul_f32_e32 v5, v121, v119
	s_delay_alu instid0(VALU_DEP_2) | instskip(NEXT) | instid1(VALU_DEP_2)
	v_add_f32_e32 v1, v1, v4
	v_fma_f32 v4, v120, v118, -v5
	s_delay_alu instid0(VALU_DEP_2) | instskip(NEXT) | instid1(VALU_DEP_1)
	v_add_f32_e32 v1, v1, v3
	v_add_f32_e32 v1, v1, v4
	s_delay_alu instid0(VALU_DEP_1)
	v_sub_f32_e32 v1, v126, v1
	scratch_store_b64 off, v[1:2], off offset:56
	v_cmpx_lt_u32_e32 6, v0
	s_cbranch_execz .LBB44_271
; %bb.270:
	scratch_load_b64 v[1:2], off, off offset:48
	v_mov_b32_e32 v22, v21
	scratch_store_b64 off, v[21:22], off offset:48
	s_wait_loadcnt 0x0
	ds_store_b64 v23, v[1:2]
.LBB44_271:
	s_wait_alu 0xfffe
	s_or_b32 exec_lo, exec_lo, s0
	s_wait_storecnt_dscnt 0x0
	s_barrier_signal -1
	s_barrier_wait -1
	global_inv scope:SCOPE_SE
	s_clause 0x4
	scratch_load_b128 v[5:8], off, off offset:56
	scratch_load_b128 v[1:4], off, off offset:72
	;; [unrolled: 1-line block ×5, first 2 shown]
	ds_load_2addr_b64 v[114:117], v21 offset0:53 offset1:54
	ds_load_2addr_b64 v[118:121], v21 offset0:55 offset1:56
	ds_load_2addr_b64 v[122:125], v21 offset0:57 offset1:58
	scratch_load_b64 v[126:127], off, off offset:48
	s_mov_b32 s0, exec_lo
	s_wait_loadcnt_dscnt 0x502
	v_dual_mul_f32 v22, v115, v6 :: v_dual_mul_f32 v129, v116, v8
	v_mul_f32_e32 v128, v114, v6
	v_mul_f32_e32 v6, v117, v8
	s_wait_loadcnt_dscnt 0x300
	v_mul_f32_e32 v130, v124, v12
	v_fma_f32 v22, v114, v5, -v22
	v_dual_fmac_f32 v129, v117, v7 :: v_dual_fmac_f32 v128, v115, v5
	v_mul_f32_e32 v117, v122, v10
	v_mul_f32_e32 v115, v118, v2
	v_fma_f32 v114, v116, v7, -v6
	ds_load_2addr_b64 v[5:8], v21 offset0:59 offset1:60
	v_mul_f32_e32 v116, v120, v4
	v_dual_mul_f32 v4, v121, v4 :: v_dual_fmac_f32 v117, v123, v9
	v_mul_f32_e32 v10, v123, v10
	v_mul_f32_e32 v12, v125, v12
	v_mul_f32_e32 v2, v119, v2
	v_dual_fmac_f32 v115, v119, v1 :: v_dual_fmac_f32 v116, v121, v3
	v_fma_f32 v119, v120, v3, -v4
	v_fma_f32 v120, v122, v9, -v10
	v_fmac_f32_e32 v130, v125, v11
	v_fma_f32 v121, v124, v11, -v12
	ds_load_2addr_b64 v[9:12], v21 offset0:61 offset1:62
	s_wait_loadcnt_dscnt 0x201
	v_dual_mul_f32 v123, v7, v16 :: v_dual_mul_f32 v122, v5, v14
	s_delay_alu instid0(VALU_DEP_1)
	v_dual_mul_f32 v14, v6, v14 :: v_dual_fmac_f32 v123, v8, v15
	v_fma_f32 v118, v118, v1, -v2
	scratch_load_b128 v[1:4], off, off offset:136
	v_mul_f32_e32 v16, v8, v16
	v_fmac_f32_e32 v122, v6, v13
	v_fma_f32 v13, v5, v13, -v14
	s_delay_alu instid0(VALU_DEP_3)
	v_fma_f32 v14, v7, v15, -v16
	s_wait_loadcnt_dscnt 0x200
	v_mul_f32_e32 v15, v9, v18
	v_mul_f32_e32 v16, v10, v18
	;; [unrolled: 1-line block ×4, first 2 shown]
	ds_load_2addr_b64 v[5:8], v21 offset0:63 offset1:64
	v_fmac_f32_e32 v15, v10, v17
	v_fma_f32 v16, v9, v17, -v16
	v_fmac_f32_e32 v18, v12, v19
	v_fma_f32 v17, v11, v19, -v20
	scratch_load_b128 v[9:12], off, off offset:152
	s_wait_loadcnt_dscnt 0x100
	v_mul_f32_e32 v19, v5, v2
	v_mul_f32_e32 v2, v6, v2
	;; [unrolled: 1-line block ×3, first 2 shown]
	s_delay_alu instid0(VALU_DEP_3) | instskip(NEXT) | instid1(VALU_DEP_3)
	v_dual_mul_f32 v4, v8, v4 :: v_dual_fmac_f32 v19, v6, v1
	v_fma_f32 v124, v5, v1, -v2
	s_delay_alu instid0(VALU_DEP_3) | instskip(NEXT) | instid1(VALU_DEP_3)
	v_fmac_f32_e32 v20, v8, v3
	v_fma_f32 v125, v7, v3, -v4
	ds_load_2addr_b64 v[1:4], v21 offset0:65 offset1:66
	ds_load_2addr_b64 v[5:8], v21 offset0:67 offset1:68
	s_wait_loadcnt_dscnt 0x1
	v_mul_f32_e32 v131, v1, v10
	v_mul_f32_e32 v10, v2, v10
	s_delay_alu instid0(VALU_DEP_2) | instskip(NEXT) | instid1(VALU_DEP_2)
	v_dual_mul_f32 v132, v3, v12 :: v_dual_fmac_f32 v131, v2, v9
	v_fma_f32 v133, v1, v9, -v10
	v_mul_f32_e32 v1, v4, v12
	s_delay_alu instid0(VALU_DEP_3) | instskip(NEXT) | instid1(VALU_DEP_2)
	v_fmac_f32_e32 v132, v4, v11
	v_fma_f32 v134, v3, v11, -v1
	s_clause 0x1
	scratch_load_b128 v[1:4], off, off offset:168
	scratch_load_b128 v[9:12], off, off offset:184
	s_wait_loadcnt_dscnt 0x100
	v_mul_f32_e32 v135, v5, v2
	v_dual_mul_f32 v2, v6, v2 :: v_dual_mul_f32 v137, v7, v4
	s_delay_alu instid0(VALU_DEP_2) | instskip(NEXT) | instid1(VALU_DEP_2)
	v_fmac_f32_e32 v135, v6, v1
	v_fma_f32 v136, v5, v1, -v2
	v_mul_f32_e32 v1, v8, v4
	s_delay_alu instid0(VALU_DEP_4) | instskip(NEXT) | instid1(VALU_DEP_2)
	v_fmac_f32_e32 v137, v8, v3
	v_fma_f32 v138, v7, v3, -v1
	ds_load_2addr_b64 v[1:4], v21 offset0:69 offset1:70
	ds_load_2addr_b64 v[5:8], v21 offset0:71 offset1:72
	s_wait_loadcnt_dscnt 0x1
	v_mul_f32_e32 v139, v1, v10
	v_mul_f32_e32 v141, v3, v12
	s_delay_alu instid0(VALU_DEP_2) | instskip(NEXT) | instid1(VALU_DEP_2)
	v_fmac_f32_e32 v139, v2, v9
	v_dual_mul_f32 v2, v2, v10 :: v_dual_fmac_f32 v141, v4, v11
	s_delay_alu instid0(VALU_DEP_1) | instskip(SKIP_1) | instid1(VALU_DEP_1)
	v_fma_f32 v140, v1, v9, -v2
	v_mul_f32_e32 v1, v4, v12
	v_fma_f32 v142, v3, v11, -v1
	s_clause 0x1
	scratch_load_b128 v[1:4], off, off offset:200
	scratch_load_b128 v[9:12], off, off offset:216
	s_wait_loadcnt_dscnt 0x100
	v_mul_f32_e32 v143, v5, v2
	v_dual_mul_f32 v2, v6, v2 :: v_dual_mul_f32 v145, v7, v4
	s_delay_alu instid0(VALU_DEP_2) | instskip(NEXT) | instid1(VALU_DEP_2)
	v_fmac_f32_e32 v143, v6, v1
	v_fma_f32 v144, v5, v1, -v2
	v_mul_f32_e32 v1, v8, v4
	s_delay_alu instid0(VALU_DEP_4) | instskip(NEXT) | instid1(VALU_DEP_2)
	v_fmac_f32_e32 v145, v8, v3
	v_fma_f32 v146, v7, v3, -v1
	ds_load_2addr_b64 v[1:4], v21 offset0:73 offset1:74
	ds_load_2addr_b64 v[5:8], v21 offset0:75 offset1:76
	s_wait_loadcnt_dscnt 0x1
	v_mul_f32_e32 v147, v1, v10
	v_mul_f32_e32 v149, v3, v12
	s_delay_alu instid0(VALU_DEP_2) | instskip(NEXT) | instid1(VALU_DEP_2)
	v_fmac_f32_e32 v147, v2, v9
	v_dual_mul_f32 v2, v2, v10 :: v_dual_fmac_f32 v149, v4, v11
	s_delay_alu instid0(VALU_DEP_1) | instskip(SKIP_1) | instid1(VALU_DEP_1)
	v_fma_f32 v148, v1, v9, -v2
	v_mul_f32_e32 v1, v4, v12
	;; [unrolled: 25-line block ×3, first 2 shown]
	v_fma_f32 v158, v3, v11, -v1
	s_clause 0x1
	scratch_load_b128 v[1:4], off, off offset:264
	scratch_load_b128 v[9:12], off, off offset:280
	s_wait_loadcnt_dscnt 0x100
	v_mul_f32_e32 v159, v5, v2
	v_mul_f32_e32 v2, v6, v2
	s_delay_alu instid0(VALU_DEP_1) | instskip(SKIP_1) | instid1(VALU_DEP_1)
	v_fma_f32 v160, v5, v1, -v2
	v_add_f32_e32 v2, 0, v128
	v_add_f32_e32 v2, v2, v129
	s_delay_alu instid0(VALU_DEP_1) | instskip(NEXT) | instid1(VALU_DEP_1)
	v_add_f32_e32 v2, v2, v115
	v_add_f32_e32 v2, v2, v116
	s_delay_alu instid0(VALU_DEP_1) | instskip(NEXT) | instid1(VALU_DEP_1)
	;; [unrolled: 3-line block ×3, first 2 shown]
	v_add_f32_e32 v2, v2, v122
	v_add_f32_e32 v2, v2, v123
	s_delay_alu instid0(VALU_DEP_1) | instskip(SKIP_1) | instid1(VALU_DEP_2)
	v_dual_add_f32 v2, v2, v15 :: v_dual_mul_f32 v161, v7, v4
	v_fmac_f32_e32 v159, v6, v1
	v_dual_add_f32 v2, v2, v18 :: v_dual_mul_f32 v1, v8, v4
	s_delay_alu instid0(VALU_DEP_1) | instskip(NEXT) | instid1(VALU_DEP_4)
	v_add_f32_e32 v2, v2, v19
	v_fmac_f32_e32 v161, v8, v3
	s_delay_alu instid0(VALU_DEP_3) | instskip(NEXT) | instid1(VALU_DEP_3)
	v_fma_f32 v162, v7, v3, -v1
	v_dual_add_f32 v2, v2, v20 :: v_dual_add_f32 v1, 0, v22
	s_delay_alu instid0(VALU_DEP_1) | instskip(NEXT) | instid1(VALU_DEP_1)
	v_dual_add_f32 v2, v2, v131 :: v_dual_add_f32 v1, v1, v114
	v_add_f32_e32 v5, v2, v132
	s_delay_alu instid0(VALU_DEP_2) | instskip(NEXT) | instid1(VALU_DEP_1)
	v_add_f32_e32 v1, v1, v118
	v_add_f32_e32 v1, v1, v119
	s_delay_alu instid0(VALU_DEP_1) | instskip(NEXT) | instid1(VALU_DEP_1)
	v_add_f32_e32 v1, v1, v120
	v_add_f32_e32 v1, v1, v121
	s_delay_alu instid0(VALU_DEP_1) | instskip(SKIP_1) | instid1(VALU_DEP_2)
	v_add_f32_e32 v1, v1, v13
	v_add_f32_e32 v13, v5, v135
	;; [unrolled: 1-line block ×3, first 2 shown]
	s_delay_alu instid0(VALU_DEP_2) | instskip(NEXT) | instid1(VALU_DEP_1)
	v_add_f32_e32 v13, v13, v137
	v_add_f32_e32 v13, v13, v139
	s_delay_alu instid0(VALU_DEP_1) | instskip(NEXT) | instid1(VALU_DEP_1)
	v_add_f32_e32 v18, v13, v141
	v_dual_add_f32 v18, v18, v143 :: v_dual_add_f32 v1, v1, v16
	s_delay_alu instid0(VALU_DEP_1) | instskip(NEXT) | instid1(VALU_DEP_2)
	v_add_f32_e32 v18, v18, v145
	v_add_f32_e32 v1, v1, v17
	s_delay_alu instid0(VALU_DEP_1) | instskip(NEXT) | instid1(VALU_DEP_1)
	v_add_f32_e32 v1, v1, v124
	v_add_f32_e32 v1, v1, v125
	s_delay_alu instid0(VALU_DEP_1) | instskip(NEXT) | instid1(VALU_DEP_1)
	v_add_f32_e32 v1, v1, v133
	v_add_f32_e32 v1, v1, v134
	s_delay_alu instid0(VALU_DEP_1)
	v_add_f32_e32 v6, v1, v136
	ds_load_2addr_b64 v[1:4], v21 offset0:81 offset1:82
	v_add_f32_e32 v114, v18, v147
	v_add_f32_e32 v14, v6, v138
	scratch_load_b128 v[5:8], off, off offset:296
	v_add_f32_e32 v114, v114, v149
	v_add_f32_e32 v14, v14, v140
	s_delay_alu instid0(VALU_DEP_1)
	v_add_f32_e32 v17, v14, v142
	ds_load_2addr_b64 v[13:16], v21 offset0:83 offset1:84
	s_wait_loadcnt_dscnt 0x101
	v_mul_f32_e32 v22, v1, v10
	v_mul_f32_e32 v10, v2, v10
	;; [unrolled: 1-line block ×4, first 2 shown]
	v_add_f32_e32 v114, v114, v151
	v_fmac_f32_e32 v22, v2, v9
	v_fma_f32 v119, v1, v9, -v10
	v_fmac_f32_e32 v118, v4, v11
	v_fma_f32 v120, v3, v11, -v12
	s_clause 0x1
	scratch_load_b128 v[9:12], off, off offset:328
	scratch_load_b128 v[1:4], off, off offset:312
	v_add_f32_e32 v17, v17, v144
	s_wait_loadcnt_dscnt 0x200
	v_mul_f32_e32 v121, v13, v6
	v_mul_f32_e32 v6, v14, v6
	;; [unrolled: 1-line block ×3, first 2 shown]
	s_delay_alu instid0(VALU_DEP_3) | instskip(SKIP_1) | instid1(VALU_DEP_4)
	v_dual_mul_f32 v8, v16, v8 :: v_dual_fmac_f32 v121, v14, v5
	v_add_f32_e32 v17, v17, v146
	v_fma_f32 v123, v13, v5, -v6
	s_delay_alu instid0(VALU_DEP_4) | instskip(NEXT) | instid1(VALU_DEP_4)
	v_fmac_f32_e32 v122, v16, v7
	v_fma_f32 v124, v15, v7, -v8
	ds_load_2addr_b64 v[5:8], v21 offset0:85 offset1:86
	v_add_f32_e32 v17, v17, v148
	s_delay_alu instid0(VALU_DEP_1) | instskip(SKIP_3) | instid1(VALU_DEP_1)
	v_add_f32_e32 v115, v17, v150
	scratch_load_b128 v[17:20], off, off offset:344
	v_add_f32_e32 v13, v114, v153
	v_add_f32_e32 v115, v115, v152
	;; [unrolled: 1-line block ×3, first 2 shown]
	s_delay_alu instid0(VALU_DEP_1)
	v_dual_add_f32 v114, v115, v156 :: v_dual_add_f32 v115, v13, v155
	ds_load_2addr_b64 v[13:16], v21 offset0:87 offset1:88
	v_dual_add_f32 v125, v114, v158 :: v_dual_add_f32 v128, v115, v157
	ds_load_2addr_b64 v[114:117], v21 offset0:89 offset1:90
	v_add_f32_e32 v21, v125, v160
	s_wait_loadcnt_dscnt 0x201
	v_mul_f32_e32 v129, v15, v12
	s_delay_alu instid0(VALU_DEP_1) | instskip(SKIP_2) | instid1(VALU_DEP_1)
	v_fmac_f32_e32 v129, v16, v11
	s_wait_loadcnt 0x1
	v_dual_add_f32 v125, v128, v159 :: v_dual_mul_f32 v128, v5, v2
	v_dual_mul_f32 v2, v6, v2 :: v_dual_add_f32 v125, v125, v161
	s_delay_alu instid0(VALU_DEP_2) | instskip(SKIP_2) | instid1(VALU_DEP_4)
	v_fmac_f32_e32 v128, v6, v1
	v_mul_f32_e32 v6, v14, v10
	v_add_f32_e32 v21, v21, v162
	v_fma_f32 v2, v5, v1, -v2
	v_add_f32_e32 v22, v125, v22
	v_mul_f32_e32 v125, v13, v10
	s_delay_alu instid0(VALU_DEP_2) | instskip(NEXT) | instid1(VALU_DEP_2)
	v_add_f32_e32 v22, v22, v118
	v_fmac_f32_e32 v125, v14, v9
	s_delay_alu instid0(VALU_DEP_2) | instskip(NEXT) | instid1(VALU_DEP_1)
	v_dual_add_f32 v21, v21, v119 :: v_dual_add_f32 v22, v22, v121
	v_add_f32_e32 v21, v21, v120
	s_delay_alu instid0(VALU_DEP_2) | instskip(NEXT) | instid1(VALU_DEP_2)
	v_add_f32_e32 v5, v22, v122
	v_add_f32_e32 v21, v21, v123
	s_delay_alu instid0(VALU_DEP_1) | instskip(NEXT) | instid1(VALU_DEP_1)
	v_add_f32_e32 v1, v21, v124
	v_add_f32_e32 v1, v1, v2
	s_delay_alu instid0(VALU_DEP_4)
	v_add_f32_e32 v2, v5, v128
	v_fma_f32 v5, v13, v9, -v6
	s_wait_loadcnt_dscnt 0x0
	v_mul_f32_e32 v120, v116, v20
	v_mul_f32_e32 v119, v7, v4
	;; [unrolled: 1-line block ×4, first 2 shown]
	s_delay_alu instid0(VALU_DEP_4) | instskip(NEXT) | instid1(VALU_DEP_4)
	v_fmac_f32_e32 v120, v117, v19
	v_fmac_f32_e32 v119, v8, v3
	s_delay_alu instid0(VALU_DEP_4) | instskip(SKIP_2) | instid1(VALU_DEP_4)
	v_fma_f32 v3, v7, v3, -v4
	v_mul_f32_e32 v4, v16, v12
	v_fmac_f32_e32 v118, v115, v17
	v_add_f32_e32 v2, v2, v119
	s_delay_alu instid0(VALU_DEP_4) | instskip(SKIP_2) | instid1(VALU_DEP_4)
	v_add_f32_e32 v1, v1, v3
	v_mul_f32_e32 v3, v115, v18
	v_fma_f32 v4, v15, v11, -v4
	v_add_f32_e32 v2, v2, v125
	s_delay_alu instid0(VALU_DEP_4) | instskip(SKIP_2) | instid1(VALU_DEP_3)
	v_add_f32_e32 v1, v1, v5
	v_mul_f32_e32 v5, v117, v20
	v_fma_f32 v3, v114, v17, -v3
	v_dual_add_f32 v2, v2, v129 :: v_dual_add_f32 v1, v1, v4
	s_delay_alu instid0(VALU_DEP_3) | instskip(NEXT) | instid1(VALU_DEP_2)
	v_fma_f32 v4, v116, v19, -v5
	v_dual_add_f32 v2, v2, v118 :: v_dual_add_f32 v1, v1, v3
	s_delay_alu instid0(VALU_DEP_1) | instskip(NEXT) | instid1(VALU_DEP_1)
	v_add_f32_e32 v2, v2, v120
	v_dual_add_f32 v1, v1, v4 :: v_dual_sub_f32 v2, v127, v2
	s_delay_alu instid0(VALU_DEP_1)
	v_sub_f32_e32 v1, v126, v1
	scratch_store_b64 off, v[1:2], off offset:48
	v_cmpx_lt_u32_e32 5, v0
	s_cbranch_execz .LBB44_273
; %bb.272:
	scratch_load_b64 v[1:2], off, off offset:40
	v_mov_b32_e32 v3, 0
	s_delay_alu instid0(VALU_DEP_1)
	v_mov_b32_e32 v4, v3
	scratch_store_b64 off, v[3:4], off offset:40
	s_wait_loadcnt 0x0
	ds_store_b64 v23, v[1:2]
.LBB44_273:
	s_wait_alu 0xfffe
	s_or_b32 exec_lo, exec_lo, s0
	s_wait_storecnt_dscnt 0x0
	s_barrier_signal -1
	s_barrier_wait -1
	global_inv scope:SCOPE_SE
	s_clause 0x4
	scratch_load_b128 v[5:8], off, off offset:48
	scratch_load_b128 v[1:4], off, off offset:64
	scratch_load_b128 v[9:12], off, off offset:80
	scratch_load_b128 v[13:16], off, off offset:96
	scratch_load_b128 v[17:20], off, off offset:112
	v_mov_b32_e32 v21, 0
	ds_load_b128 v[114:117], v21 offset:416
	ds_load_b128 v[118:121], v21 offset:432
	;; [unrolled: 1-line block ×3, first 2 shown]
	scratch_load_b64 v[126:127], off, off offset:40
	s_mov_b32 s0, exec_lo
	s_wait_loadcnt_dscnt 0x502
	v_mul_f32_e32 v22, v115, v6
	v_dual_mul_f32 v128, v114, v6 :: v_dual_mul_f32 v129, v116, v8
	v_mul_f32_e32 v6, v117, v8
	s_delay_alu instid0(VALU_DEP_3) | instskip(NEXT) | instid1(VALU_DEP_3)
	v_fma_f32 v22, v114, v5, -v22
	v_dual_fmac_f32 v128, v115, v5 :: v_dual_fmac_f32 v129, v117, v7
	s_wait_loadcnt_dscnt 0x401
	v_mul_f32_e32 v115, v118, v2
	v_fma_f32 v114, v116, v7, -v6
	ds_load_b128 v[5:8], v21 offset:464
	s_wait_loadcnt_dscnt 0x301
	v_dual_mul_f32 v116, v120, v4 :: v_dual_mul_f32 v117, v122, v10
	v_dual_mul_f32 v4, v121, v4 :: v_dual_fmac_f32 v115, v119, v1
	v_mul_f32_e32 v10, v123, v10
	s_delay_alu instid0(VALU_DEP_3)
	v_dual_mul_f32 v130, v124, v12 :: v_dual_fmac_f32 v117, v123, v9
	v_mul_f32_e32 v12, v125, v12
	v_mul_f32_e32 v2, v119, v2
	v_fmac_f32_e32 v116, v121, v3
	v_fma_f32 v119, v120, v3, -v4
	v_fma_f32 v120, v122, v9, -v10
	v_fmac_f32_e32 v130, v125, v11
	v_fma_f32 v121, v124, v11, -v12
	ds_load_b128 v[9:12], v21 offset:480
	s_wait_loadcnt_dscnt 0x201
	v_dual_mul_f32 v123, v7, v16 :: v_dual_mul_f32 v122, v5, v14
	v_mul_f32_e32 v14, v6, v14
	v_mul_f32_e32 v16, v8, v16
	s_delay_alu instid0(VALU_DEP_3)
	v_fmac_f32_e32 v123, v8, v15
	v_fma_f32 v118, v118, v1, -v2
	scratch_load_b128 v[1:4], off, off offset:128
	v_fmac_f32_e32 v122, v6, v13
	v_fma_f32 v13, v5, v13, -v14
	v_fma_f32 v14, v7, v15, -v16
	ds_load_b128 v[5:8], v21 offset:496
	s_wait_loadcnt_dscnt 0x201
	v_mul_f32_e32 v15, v9, v18
	v_mul_f32_e32 v16, v10, v18
	;; [unrolled: 1-line block ×3, first 2 shown]
	s_delay_alu instid0(VALU_DEP_3) | instskip(NEXT) | instid1(VALU_DEP_3)
	v_dual_mul_f32 v20, v12, v20 :: v_dual_fmac_f32 v15, v10, v17
	v_fma_f32 v16, v9, v17, -v16
	s_delay_alu instid0(VALU_DEP_3) | instskip(NEXT) | instid1(VALU_DEP_3)
	v_fmac_f32_e32 v18, v12, v19
	v_fma_f32 v17, v11, v19, -v20
	scratch_load_b128 v[9:12], off, off offset:144
	s_wait_loadcnt_dscnt 0x100
	v_mul_f32_e32 v19, v5, v2
	v_mul_f32_e32 v2, v6, v2
	;; [unrolled: 1-line block ×3, first 2 shown]
	s_delay_alu instid0(VALU_DEP_3) | instskip(NEXT) | instid1(VALU_DEP_3)
	v_dual_mul_f32 v4, v8, v4 :: v_dual_fmac_f32 v19, v6, v1
	v_fma_f32 v124, v5, v1, -v2
	s_delay_alu instid0(VALU_DEP_3) | instskip(NEXT) | instid1(VALU_DEP_3)
	v_fmac_f32_e32 v20, v8, v3
	v_fma_f32 v125, v7, v3, -v4
	ds_load_b128 v[1:4], v21 offset:512
	ds_load_b128 v[5:8], v21 offset:528
	s_wait_loadcnt_dscnt 0x1
	v_mul_f32_e32 v131, v1, v10
	v_mul_f32_e32 v10, v2, v10
	s_delay_alu instid0(VALU_DEP_2) | instskip(NEXT) | instid1(VALU_DEP_2)
	v_dual_mul_f32 v132, v3, v12 :: v_dual_fmac_f32 v131, v2, v9
	v_fma_f32 v133, v1, v9, -v10
	v_mul_f32_e32 v1, v4, v12
	s_delay_alu instid0(VALU_DEP_3) | instskip(NEXT) | instid1(VALU_DEP_2)
	v_fmac_f32_e32 v132, v4, v11
	v_fma_f32 v134, v3, v11, -v1
	s_clause 0x1
	scratch_load_b128 v[1:4], off, off offset:160
	scratch_load_b128 v[9:12], off, off offset:176
	s_wait_loadcnt_dscnt 0x100
	v_mul_f32_e32 v135, v5, v2
	v_dual_mul_f32 v2, v6, v2 :: v_dual_mul_f32 v137, v7, v4
	s_delay_alu instid0(VALU_DEP_2) | instskip(NEXT) | instid1(VALU_DEP_2)
	v_fmac_f32_e32 v135, v6, v1
	v_fma_f32 v136, v5, v1, -v2
	v_mul_f32_e32 v1, v8, v4
	s_delay_alu instid0(VALU_DEP_4) | instskip(NEXT) | instid1(VALU_DEP_2)
	v_fmac_f32_e32 v137, v8, v3
	v_fma_f32 v138, v7, v3, -v1
	ds_load_b128 v[1:4], v21 offset:544
	ds_load_b128 v[5:8], v21 offset:560
	s_wait_loadcnt_dscnt 0x1
	v_mul_f32_e32 v139, v1, v10
	v_mul_f32_e32 v141, v3, v12
	s_delay_alu instid0(VALU_DEP_2) | instskip(NEXT) | instid1(VALU_DEP_2)
	v_fmac_f32_e32 v139, v2, v9
	v_dual_mul_f32 v2, v2, v10 :: v_dual_fmac_f32 v141, v4, v11
	s_delay_alu instid0(VALU_DEP_1) | instskip(SKIP_1) | instid1(VALU_DEP_1)
	v_fma_f32 v140, v1, v9, -v2
	v_mul_f32_e32 v1, v4, v12
	v_fma_f32 v142, v3, v11, -v1
	s_clause 0x1
	scratch_load_b128 v[1:4], off, off offset:192
	scratch_load_b128 v[9:12], off, off offset:208
	s_wait_loadcnt_dscnt 0x100
	v_mul_f32_e32 v143, v5, v2
	v_dual_mul_f32 v145, v7, v4 :: v_dual_mul_f32 v2, v6, v2
	s_delay_alu instid0(VALU_DEP_2) | instskip(NEXT) | instid1(VALU_DEP_2)
	v_fmac_f32_e32 v143, v6, v1
	v_fmac_f32_e32 v145, v8, v3
	s_delay_alu instid0(VALU_DEP_3) | instskip(SKIP_1) | instid1(VALU_DEP_1)
	v_fma_f32 v144, v5, v1, -v2
	v_mul_f32_e32 v1, v8, v4
	v_fma_f32 v146, v7, v3, -v1
	ds_load_b128 v[1:4], v21 offset:576
	ds_load_b128 v[5:8], v21 offset:592
	s_wait_loadcnt_dscnt 0x1
	v_mul_f32_e32 v147, v1, v10
	v_mul_f32_e32 v149, v3, v12
	s_delay_alu instid0(VALU_DEP_2) | instskip(NEXT) | instid1(VALU_DEP_2)
	v_fmac_f32_e32 v147, v2, v9
	v_dual_mul_f32 v2, v2, v10 :: v_dual_fmac_f32 v149, v4, v11
	s_delay_alu instid0(VALU_DEP_1) | instskip(SKIP_1) | instid1(VALU_DEP_1)
	v_fma_f32 v148, v1, v9, -v2
	v_mul_f32_e32 v1, v4, v12
	v_fma_f32 v150, v3, v11, -v1
	s_clause 0x1
	scratch_load_b128 v[1:4], off, off offset:224
	scratch_load_b128 v[9:12], off, off offset:240
	s_wait_loadcnt_dscnt 0x100
	v_mul_f32_e32 v151, v5, v2
	v_dual_mul_f32 v2, v6, v2 :: v_dual_mul_f32 v153, v7, v4
	s_delay_alu instid0(VALU_DEP_2) | instskip(NEXT) | instid1(VALU_DEP_2)
	v_fmac_f32_e32 v151, v6, v1
	v_fma_f32 v152, v5, v1, -v2
	v_mul_f32_e32 v1, v8, v4
	s_delay_alu instid0(VALU_DEP_4) | instskip(NEXT) | instid1(VALU_DEP_2)
	v_fmac_f32_e32 v153, v8, v3
	v_fma_f32 v154, v7, v3, -v1
	ds_load_b128 v[1:4], v21 offset:608
	ds_load_b128 v[5:8], v21 offset:624
	s_wait_loadcnt_dscnt 0x1
	v_mul_f32_e32 v155, v1, v10
	v_mul_f32_e32 v157, v3, v12
	s_delay_alu instid0(VALU_DEP_2) | instskip(NEXT) | instid1(VALU_DEP_2)
	v_fmac_f32_e32 v155, v2, v9
	v_dual_mul_f32 v2, v2, v10 :: v_dual_fmac_f32 v157, v4, v11
	s_delay_alu instid0(VALU_DEP_1) | instskip(SKIP_1) | instid1(VALU_DEP_1)
	v_fma_f32 v156, v1, v9, -v2
	v_mul_f32_e32 v1, v4, v12
	v_fma_f32 v158, v3, v11, -v1
	s_clause 0x1
	scratch_load_b128 v[1:4], off, off offset:256
	scratch_load_b128 v[9:12], off, off offset:272
	s_wait_loadcnt_dscnt 0x100
	v_mul_f32_e32 v159, v5, v2
	v_mul_f32_e32 v2, v6, v2
	s_delay_alu instid0(VALU_DEP_1) | instskip(SKIP_1) | instid1(VALU_DEP_1)
	v_fma_f32 v160, v5, v1, -v2
	v_add_f32_e32 v2, 0, v128
	v_add_f32_e32 v2, v2, v129
	s_delay_alu instid0(VALU_DEP_1) | instskip(NEXT) | instid1(VALU_DEP_1)
	v_add_f32_e32 v2, v2, v115
	v_add_f32_e32 v2, v2, v116
	s_delay_alu instid0(VALU_DEP_1) | instskip(NEXT) | instid1(VALU_DEP_1)
	;; [unrolled: 3-line block ×4, first 2 shown]
	v_dual_add_f32 v2, v2, v15 :: v_dual_mul_f32 v161, v7, v4
	v_add_f32_e32 v2, v2, v18
	s_delay_alu instid0(VALU_DEP_1) | instskip(SKIP_1) | instid1(VALU_DEP_2)
	v_add_f32_e32 v2, v2, v19
	v_fmac_f32_e32 v159, v6, v1
	v_dual_fmac_f32 v161, v8, v3 :: v_dual_add_f32 v2, v2, v20
	s_delay_alu instid0(VALU_DEP_1) | instskip(NEXT) | instid1(VALU_DEP_1)
	v_dual_mul_f32 v1, v8, v4 :: v_dual_add_f32 v2, v2, v131
	v_fma_f32 v162, v7, v3, -v1
	v_add_f32_e32 v1, 0, v22
	s_delay_alu instid0(VALU_DEP_3) | instskip(NEXT) | instid1(VALU_DEP_2)
	v_add_f32_e32 v5, v2, v132
	v_add_f32_e32 v1, v1, v114
	s_delay_alu instid0(VALU_DEP_1) | instskip(NEXT) | instid1(VALU_DEP_1)
	v_add_f32_e32 v1, v1, v118
	v_add_f32_e32 v1, v1, v119
	scratch_load_b64 v[118:119], off, off offset:352
	v_add_f32_e32 v1, v1, v120
	s_delay_alu instid0(VALU_DEP_1) | instskip(NEXT) | instid1(VALU_DEP_1)
	v_add_f32_e32 v1, v1, v121
	v_add_f32_e32 v1, v1, v13
	;; [unrolled: 1-line block ×3, first 2 shown]
	s_delay_alu instid0(VALU_DEP_1) | instskip(NEXT) | instid1(VALU_DEP_1)
	v_add_f32_e32 v13, v13, v137
	v_add_f32_e32 v13, v13, v139
	s_delay_alu instid0(VALU_DEP_1) | instskip(NEXT) | instid1(VALU_DEP_1)
	v_add_f32_e32 v18, v13, v141
	v_dual_add_f32 v18, v18, v143 :: v_dual_add_f32 v1, v1, v14
	s_delay_alu instid0(VALU_DEP_1) | instskip(NEXT) | instid1(VALU_DEP_1)
	v_dual_add_f32 v18, v18, v145 :: v_dual_add_f32 v1, v1, v16
	v_add_f32_e32 v1, v1, v17
	s_delay_alu instid0(VALU_DEP_1) | instskip(NEXT) | instid1(VALU_DEP_1)
	v_add_f32_e32 v1, v1, v124
	v_add_f32_e32 v1, v1, v125
	s_delay_alu instid0(VALU_DEP_1) | instskip(NEXT) | instid1(VALU_DEP_1)
	v_add_f32_e32 v1, v1, v133
	v_add_f32_e32 v1, v1, v134
	s_delay_alu instid0(VALU_DEP_1)
	v_add_f32_e32 v6, v1, v136
	scratch_load_b128 v[1:4], off, off offset:288
	v_add_f32_e32 v114, v18, v147
	v_add_f32_e32 v14, v6, v138
	ds_load_b128 v[5:8], v21 offset:640
	v_add_f32_e32 v114, v114, v149
	v_add_f32_e32 v14, v14, v140
	s_delay_alu instid0(VALU_DEP_1)
	v_add_f32_e32 v17, v14, v142
	ds_load_b128 v[13:16], v21 offset:656
	s_wait_loadcnt_dscnt 0x201
	v_mul_f32_e32 v22, v5, v10
	v_mul_f32_e32 v10, v6, v10
	v_mul_f32_e32 v122, v7, v12
	v_mul_f32_e32 v12, v8, v12
	v_add_f32_e32 v114, v114, v151
	v_fmac_f32_e32 v22, v6, v9
	v_fma_f32 v123, v5, v9, -v10
	v_fmac_f32_e32 v122, v8, v11
	v_fma_f32 v124, v7, v11, -v12
	scratch_load_b128 v[5:8], off, off offset:304
	v_add_f32_e32 v114, v114, v153
	scratch_load_b128 v[9:12], off, off offset:320
	s_wait_loadcnt_dscnt 0x200
	v_mul_f32_e32 v125, v13, v2
	v_mul_f32_e32 v2, v14, v2
	;; [unrolled: 1-line block ×3, first 2 shown]
	s_delay_alu instid0(VALU_DEP_3) | instskip(NEXT) | instid1(VALU_DEP_3)
	v_dual_mul_f32 v4, v16, v4 :: v_dual_fmac_f32 v125, v14, v1
	v_fma_f32 v129, v13, v1, -v2
	v_add_f32_e32 v13, v114, v155
	s_delay_alu instid0(VALU_DEP_4) | instskip(NEXT) | instid1(VALU_DEP_4)
	v_fmac_f32_e32 v128, v16, v3
	v_fma_f32 v130, v15, v3, -v4
	ds_load_b128 v[1:4], v21 offset:672
	v_add_f32_e32 v114, v13, v157
	s_delay_alu instid0(VALU_DEP_1) | instskip(NEXT) | instid1(VALU_DEP_1)
	v_add_f32_e32 v121, v114, v159
	v_add_f32_e32 v132, v121, v161
	s_delay_alu instid0(VALU_DEP_1) | instskip(NEXT) | instid1(VALU_DEP_1)
	v_dual_add_f32 v17, v17, v144 :: v_dual_add_f32 v22, v132, v22
	v_add_f32_e32 v17, v17, v146
	s_delay_alu instid0(VALU_DEP_1) | instskip(NEXT) | instid1(VALU_DEP_1)
	v_dual_add_f32 v22, v22, v122 :: v_dual_add_f32 v17, v17, v148
	v_dual_add_f32 v22, v22, v125 :: v_dual_add_f32 v115, v17, v150
	scratch_load_b128 v[17:20], off, off offset:336
	v_add_f32_e32 v22, v22, v128
	v_add_f32_e32 v115, v115, v152
	s_delay_alu instid0(VALU_DEP_1) | instskip(NEXT) | instid1(VALU_DEP_1)
	v_add_f32_e32 v115, v115, v154
	v_add_f32_e32 v115, v115, v156
	s_delay_alu instid0(VALU_DEP_1)
	v_add_f32_e32 v14, v115, v158
	ds_load_b128 v[114:117], v21 offset:704
	v_add_f32_e32 v120, v14, v160
	ds_load_b128 v[13:16], v21 offset:688
	s_wait_loadcnt_dscnt 0x202
	v_mul_f32_e32 v122, v3, v8
	v_mul_f32_e32 v8, v4, v8
	v_add_f32_e32 v131, v120, v162
	ds_load_b64 v[120:121], v21 offset:720
	v_fmac_f32_e32 v122, v4, v7
	v_add_f32_e32 v123, v131, v123
	v_mul_f32_e32 v131, v1, v6
	v_mul_f32_e32 v6, v2, v6
	s_delay_alu instid0(VALU_DEP_2) | instskip(NEXT) | instid1(VALU_DEP_4)
	v_fmac_f32_e32 v131, v2, v5
	v_add_f32_e32 v123, v123, v124
	s_delay_alu instid0(VALU_DEP_3)
	v_fma_f32 v1, v1, v5, -v6
	v_fma_f32 v2, v3, v7, -v8
	s_wait_loadcnt_dscnt 0x101
	v_mul_f32_e32 v124, v13, v10
	v_add_f32_e32 v4, v22, v131
	v_mul_f32_e32 v3, v14, v10
	s_delay_alu instid0(VALU_DEP_3) | instskip(SKIP_2) | instid1(VALU_DEP_3)
	v_fmac_f32_e32 v124, v14, v9
	s_wait_dscnt 0x0
	v_dual_add_f32 v123, v123, v129 :: v_dual_mul_f32 v128, v120, v119
	v_fma_f32 v3, v13, v9, -v3
	s_delay_alu instid0(VALU_DEP_2) | instskip(NEXT) | instid1(VALU_DEP_1)
	v_add_f32_e32 v123, v123, v130
	v_dual_fmac_f32 v128, v121, v118 :: v_dual_add_f32 v1, v123, v1
	s_delay_alu instid0(VALU_DEP_1) | instskip(SKIP_1) | instid1(VALU_DEP_1)
	v_add_f32_e32 v1, v1, v2
	v_add_f32_e32 v2, v4, v122
	;; [unrolled: 1-line block ×3, first 2 shown]
	s_wait_loadcnt 0x0
	v_mul_f32_e32 v130, v116, v20
	v_mul_f32_e32 v125, v15, v12
	;; [unrolled: 1-line block ×4, first 2 shown]
	s_delay_alu instid0(VALU_DEP_4) | instskip(NEXT) | instid1(VALU_DEP_4)
	v_fmac_f32_e32 v130, v117, v19
	v_fmac_f32_e32 v125, v16, v11
	s_delay_alu instid0(VALU_DEP_4) | instskip(NEXT) | instid1(VALU_DEP_4)
	v_fmac_f32_e32 v129, v115, v17
	v_fma_f32 v4, v114, v17, -v4
	s_delay_alu instid0(VALU_DEP_3) | instskip(NEXT) | instid1(VALU_DEP_1)
	v_dual_add_f32 v2, v2, v125 :: v_dual_mul_f32 v5, v16, v12
	v_add_f32_e32 v2, v2, v129
	s_delay_alu instid0(VALU_DEP_2) | instskip(NEXT) | instid1(VALU_DEP_2)
	v_fma_f32 v5, v15, v11, -v5
	v_add_f32_e32 v2, v2, v130
	s_delay_alu instid0(VALU_DEP_1) | instskip(NEXT) | instid1(VALU_DEP_1)
	v_dual_add_f32 v2, v2, v128 :: v_dual_add_f32 v1, v1, v3
	v_dual_mul_f32 v3, v117, v20 :: v_dual_sub_f32 v2, v127, v2
	s_delay_alu instid0(VALU_DEP_2) | instskip(SKIP_1) | instid1(VALU_DEP_3)
	v_add_f32_e32 v1, v1, v5
	v_mul_f32_e32 v5, v121, v119
	v_fma_f32 v3, v116, v19, -v3
	s_delay_alu instid0(VALU_DEP_3) | instskip(NEXT) | instid1(VALU_DEP_3)
	v_add_f32_e32 v1, v1, v4
	v_fma_f32 v4, v120, v118, -v5
	s_delay_alu instid0(VALU_DEP_2) | instskip(NEXT) | instid1(VALU_DEP_1)
	v_add_f32_e32 v1, v1, v3
	v_add_f32_e32 v1, v1, v4
	s_delay_alu instid0(VALU_DEP_1)
	v_sub_f32_e32 v1, v126, v1
	scratch_store_b64 off, v[1:2], off offset:40
	v_cmpx_lt_u32_e32 4, v0
	s_cbranch_execz .LBB44_275
; %bb.274:
	scratch_load_b64 v[1:2], off, off offset:32
	v_mov_b32_e32 v22, v21
	scratch_store_b64 off, v[21:22], off offset:32
	s_wait_loadcnt 0x0
	ds_store_b64 v23, v[1:2]
.LBB44_275:
	s_wait_alu 0xfffe
	s_or_b32 exec_lo, exec_lo, s0
	s_wait_storecnt_dscnt 0x0
	s_barrier_signal -1
	s_barrier_wait -1
	global_inv scope:SCOPE_SE
	s_clause 0x4
	scratch_load_b128 v[5:8], off, off offset:40
	scratch_load_b128 v[1:4], off, off offset:56
	;; [unrolled: 1-line block ×5, first 2 shown]
	ds_load_2addr_b64 v[114:117], v21 offset0:51 offset1:52
	ds_load_2addr_b64 v[118:121], v21 offset0:53 offset1:54
	;; [unrolled: 1-line block ×3, first 2 shown]
	scratch_load_b64 v[126:127], off, off offset:32
	s_mov_b32 s0, exec_lo
	s_wait_loadcnt_dscnt 0x502
	v_dual_mul_f32 v22, v115, v6 :: v_dual_mul_f32 v129, v116, v8
	v_mul_f32_e32 v128, v114, v6
	v_mul_f32_e32 v6, v117, v8
	s_wait_loadcnt_dscnt 0x300
	v_mul_f32_e32 v130, v124, v12
	v_fma_f32 v22, v114, v5, -v22
	v_dual_fmac_f32 v129, v117, v7 :: v_dual_fmac_f32 v128, v115, v5
	v_mul_f32_e32 v117, v122, v10
	v_mul_f32_e32 v115, v118, v2
	v_fma_f32 v114, v116, v7, -v6
	ds_load_2addr_b64 v[5:8], v21 offset0:57 offset1:58
	v_mul_f32_e32 v116, v120, v4
	v_dual_mul_f32 v4, v121, v4 :: v_dual_fmac_f32 v117, v123, v9
	v_mul_f32_e32 v10, v123, v10
	v_mul_f32_e32 v12, v125, v12
	v_mul_f32_e32 v2, v119, v2
	v_dual_fmac_f32 v115, v119, v1 :: v_dual_fmac_f32 v116, v121, v3
	v_fma_f32 v119, v120, v3, -v4
	v_fma_f32 v120, v122, v9, -v10
	v_fmac_f32_e32 v130, v125, v11
	v_fma_f32 v121, v124, v11, -v12
	ds_load_2addr_b64 v[9:12], v21 offset0:59 offset1:60
	s_wait_loadcnt_dscnt 0x201
	v_dual_mul_f32 v123, v7, v16 :: v_dual_mul_f32 v122, v5, v14
	s_delay_alu instid0(VALU_DEP_1)
	v_dual_mul_f32 v14, v6, v14 :: v_dual_fmac_f32 v123, v8, v15
	v_fma_f32 v118, v118, v1, -v2
	scratch_load_b128 v[1:4], off, off offset:120
	v_mul_f32_e32 v16, v8, v16
	v_fmac_f32_e32 v122, v6, v13
	v_fma_f32 v13, v5, v13, -v14
	s_delay_alu instid0(VALU_DEP_3)
	v_fma_f32 v14, v7, v15, -v16
	s_wait_loadcnt_dscnt 0x200
	v_mul_f32_e32 v15, v9, v18
	v_mul_f32_e32 v16, v10, v18
	;; [unrolled: 1-line block ×4, first 2 shown]
	ds_load_2addr_b64 v[5:8], v21 offset0:61 offset1:62
	v_fmac_f32_e32 v15, v10, v17
	v_fma_f32 v16, v9, v17, -v16
	v_fmac_f32_e32 v18, v12, v19
	v_fma_f32 v17, v11, v19, -v20
	scratch_load_b128 v[9:12], off, off offset:136
	s_wait_loadcnt_dscnt 0x100
	v_mul_f32_e32 v19, v5, v2
	v_mul_f32_e32 v2, v6, v2
	;; [unrolled: 1-line block ×3, first 2 shown]
	s_delay_alu instid0(VALU_DEP_3) | instskip(NEXT) | instid1(VALU_DEP_3)
	v_dual_mul_f32 v4, v8, v4 :: v_dual_fmac_f32 v19, v6, v1
	v_fma_f32 v124, v5, v1, -v2
	s_delay_alu instid0(VALU_DEP_3) | instskip(NEXT) | instid1(VALU_DEP_3)
	v_fmac_f32_e32 v20, v8, v3
	v_fma_f32 v125, v7, v3, -v4
	ds_load_2addr_b64 v[1:4], v21 offset0:63 offset1:64
	ds_load_2addr_b64 v[5:8], v21 offset0:65 offset1:66
	s_wait_loadcnt_dscnt 0x1
	v_mul_f32_e32 v131, v1, v10
	v_mul_f32_e32 v10, v2, v10
	s_delay_alu instid0(VALU_DEP_2) | instskip(NEXT) | instid1(VALU_DEP_2)
	v_dual_mul_f32 v132, v3, v12 :: v_dual_fmac_f32 v131, v2, v9
	v_fma_f32 v133, v1, v9, -v10
	v_mul_f32_e32 v1, v4, v12
	s_delay_alu instid0(VALU_DEP_3) | instskip(NEXT) | instid1(VALU_DEP_2)
	v_fmac_f32_e32 v132, v4, v11
	v_fma_f32 v134, v3, v11, -v1
	s_clause 0x1
	scratch_load_b128 v[1:4], off, off offset:152
	scratch_load_b128 v[9:12], off, off offset:168
	s_wait_loadcnt_dscnt 0x100
	v_mul_f32_e32 v135, v5, v2
	v_dual_mul_f32 v2, v6, v2 :: v_dual_mul_f32 v137, v7, v4
	s_delay_alu instid0(VALU_DEP_2) | instskip(NEXT) | instid1(VALU_DEP_2)
	v_fmac_f32_e32 v135, v6, v1
	v_fma_f32 v136, v5, v1, -v2
	v_mul_f32_e32 v1, v8, v4
	s_delay_alu instid0(VALU_DEP_4) | instskip(NEXT) | instid1(VALU_DEP_2)
	v_fmac_f32_e32 v137, v8, v3
	v_fma_f32 v138, v7, v3, -v1
	ds_load_2addr_b64 v[1:4], v21 offset0:67 offset1:68
	ds_load_2addr_b64 v[5:8], v21 offset0:69 offset1:70
	s_wait_loadcnt_dscnt 0x1
	v_mul_f32_e32 v139, v1, v10
	v_mul_f32_e32 v141, v3, v12
	s_delay_alu instid0(VALU_DEP_2) | instskip(NEXT) | instid1(VALU_DEP_2)
	v_fmac_f32_e32 v139, v2, v9
	v_dual_mul_f32 v2, v2, v10 :: v_dual_fmac_f32 v141, v4, v11
	s_delay_alu instid0(VALU_DEP_1) | instskip(SKIP_1) | instid1(VALU_DEP_1)
	v_fma_f32 v140, v1, v9, -v2
	v_mul_f32_e32 v1, v4, v12
	v_fma_f32 v142, v3, v11, -v1
	s_clause 0x1
	scratch_load_b128 v[1:4], off, off offset:184
	scratch_load_b128 v[9:12], off, off offset:200
	s_wait_loadcnt_dscnt 0x100
	v_mul_f32_e32 v143, v5, v2
	v_dual_mul_f32 v2, v6, v2 :: v_dual_mul_f32 v145, v7, v4
	s_delay_alu instid0(VALU_DEP_2) | instskip(NEXT) | instid1(VALU_DEP_2)
	v_fmac_f32_e32 v143, v6, v1
	v_fma_f32 v144, v5, v1, -v2
	v_mul_f32_e32 v1, v8, v4
	s_delay_alu instid0(VALU_DEP_4) | instskip(NEXT) | instid1(VALU_DEP_2)
	v_fmac_f32_e32 v145, v8, v3
	v_fma_f32 v146, v7, v3, -v1
	ds_load_2addr_b64 v[1:4], v21 offset0:71 offset1:72
	ds_load_2addr_b64 v[5:8], v21 offset0:73 offset1:74
	s_wait_loadcnt_dscnt 0x1
	v_mul_f32_e32 v147, v1, v10
	v_mul_f32_e32 v149, v3, v12
	s_delay_alu instid0(VALU_DEP_2) | instskip(NEXT) | instid1(VALU_DEP_2)
	v_fmac_f32_e32 v147, v2, v9
	v_dual_mul_f32 v2, v2, v10 :: v_dual_fmac_f32 v149, v4, v11
	s_delay_alu instid0(VALU_DEP_1) | instskip(SKIP_1) | instid1(VALU_DEP_1)
	v_fma_f32 v148, v1, v9, -v2
	v_mul_f32_e32 v1, v4, v12
	v_fma_f32 v150, v3, v11, -v1
	s_clause 0x1
	scratch_load_b128 v[1:4], off, off offset:216
	scratch_load_b128 v[9:12], off, off offset:232
	s_wait_loadcnt_dscnt 0x100
	v_mul_f32_e32 v151, v5, v2
	v_dual_mul_f32 v2, v6, v2 :: v_dual_mul_f32 v153, v7, v4
	s_delay_alu instid0(VALU_DEP_2) | instskip(NEXT) | instid1(VALU_DEP_2)
	v_fmac_f32_e32 v151, v6, v1
	v_fma_f32 v152, v5, v1, -v2
	v_mul_f32_e32 v1, v8, v4
	s_delay_alu instid0(VALU_DEP_4) | instskip(NEXT) | instid1(VALU_DEP_2)
	v_fmac_f32_e32 v153, v8, v3
	v_fma_f32 v154, v7, v3, -v1
	ds_load_2addr_b64 v[1:4], v21 offset0:75 offset1:76
	ds_load_2addr_b64 v[5:8], v21 offset0:77 offset1:78
	s_wait_loadcnt_dscnt 0x1
	v_mul_f32_e32 v155, v1, v10
	v_mul_f32_e32 v157, v3, v12
	s_delay_alu instid0(VALU_DEP_2) | instskip(NEXT) | instid1(VALU_DEP_2)
	v_fmac_f32_e32 v155, v2, v9
	v_dual_mul_f32 v2, v2, v10 :: v_dual_fmac_f32 v157, v4, v11
	s_delay_alu instid0(VALU_DEP_1) | instskip(SKIP_1) | instid1(VALU_DEP_1)
	v_fma_f32 v156, v1, v9, -v2
	v_mul_f32_e32 v1, v4, v12
	v_fma_f32 v158, v3, v11, -v1
	s_clause 0x1
	scratch_load_b128 v[1:4], off, off offset:248
	scratch_load_b128 v[9:12], off, off offset:264
	s_wait_loadcnt_dscnt 0x100
	v_mul_f32_e32 v159, v5, v2
	v_dual_mul_f32 v2, v6, v2 :: v_dual_mul_f32 v161, v7, v4
	s_delay_alu instid0(VALU_DEP_2) | instskip(NEXT) | instid1(VALU_DEP_2)
	v_fmac_f32_e32 v159, v6, v1
	v_fma_f32 v160, v5, v1, -v2
	v_mul_f32_e32 v1, v8, v4
	s_delay_alu instid0(VALU_DEP_4) | instskip(NEXT) | instid1(VALU_DEP_2)
	v_fmac_f32_e32 v161, v8, v3
	v_fma_f32 v162, v7, v3, -v1
	ds_load_2addr_b64 v[1:4], v21 offset0:79 offset1:80
	ds_load_2addr_b64 v[5:8], v21 offset0:81 offset1:82
	s_wait_loadcnt_dscnt 0x1
	v_mul_f32_e32 v163, v1, v10
	v_mul_f32_e32 v165, v3, v12
	s_delay_alu instid0(VALU_DEP_2) | instskip(NEXT) | instid1(VALU_DEP_2)
	v_fmac_f32_e32 v163, v2, v9
	v_dual_mul_f32 v2, v2, v10 :: v_dual_fmac_f32 v165, v4, v11
	s_delay_alu instid0(VALU_DEP_1) | instskip(SKIP_1) | instid1(VALU_DEP_1)
	v_fma_f32 v164, v1, v9, -v2
	v_mul_f32_e32 v1, v4, v12
	v_fma_f32 v166, v3, v11, -v1
	s_clause 0x1
	scratch_load_b128 v[1:4], off, off offset:280
	scratch_load_b128 v[9:12], off, off offset:296
	s_wait_loadcnt_dscnt 0x100
	v_mul_f32_e32 v167, v5, v2
	v_mul_f32_e32 v2, v6, v2
	s_delay_alu instid0(VALU_DEP_1) | instskip(SKIP_1) | instid1(VALU_DEP_1)
	v_fma_f32 v168, v5, v1, -v2
	v_add_f32_e32 v2, 0, v128
	v_add_f32_e32 v2, v2, v129
	s_delay_alu instid0(VALU_DEP_1) | instskip(NEXT) | instid1(VALU_DEP_1)
	v_add_f32_e32 v2, v2, v115
	v_add_f32_e32 v2, v2, v116
	s_delay_alu instid0(VALU_DEP_1) | instskip(NEXT) | instid1(VALU_DEP_1)
	;; [unrolled: 3-line block ×6, first 2 shown]
	v_add_f32_e32 v2, v2, v131
	v_add_f32_e32 v2, v2, v132
	v_fmac_f32_e32 v167, v6, v1
	s_delay_alu instid0(VALU_DEP_2) | instskip(NEXT) | instid1(VALU_DEP_1)
	v_dual_add_f32 v2, v2, v135 :: v_dual_mul_f32 v169, v7, v4
	v_add_f32_e32 v2, v2, v137
	s_delay_alu instid0(VALU_DEP_1) | instskip(NEXT) | instid1(VALU_DEP_1)
	v_add_f32_e32 v5, v2, v139
	v_add_f32_e32 v5, v5, v141
	s_delay_alu instid0(VALU_DEP_1) | instskip(SKIP_1) | instid1(VALU_DEP_1)
	v_add_f32_e32 v5, v5, v143
	v_mul_f32_e32 v1, v8, v4
	v_fma_f32 v170, v7, v3, -v1
	v_add_f32_e32 v1, 0, v22
	s_delay_alu instid0(VALU_DEP_1) | instskip(NEXT) | instid1(VALU_DEP_1)
	v_add_f32_e32 v1, v1, v114
	v_add_f32_e32 v1, v1, v118
	s_delay_alu instid0(VALU_DEP_1) | instskip(NEXT) | instid1(VALU_DEP_1)
	v_add_f32_e32 v1, v1, v119
	;; [unrolled: 3-line block ×3, first 2 shown]
	v_add_f32_e32 v1, v1, v13
	s_delay_alu instid0(VALU_DEP_1) | instskip(SKIP_1) | instid1(VALU_DEP_2)
	v_add_f32_e32 v1, v1, v14
	v_add_f32_e32 v14, v5, v145
	;; [unrolled: 1-line block ×3, first 2 shown]
	s_delay_alu instid0(VALU_DEP_1) | instskip(NEXT) | instid1(VALU_DEP_1)
	v_add_f32_e32 v1, v1, v17
	v_add_f32_e32 v1, v1, v124
	s_delay_alu instid0(VALU_DEP_1) | instskip(NEXT) | instid1(VALU_DEP_1)
	v_add_f32_e32 v1, v1, v125
	v_add_f32_e32 v1, v1, v133
	;; [unrolled: 3-line block ×4, first 2 shown]
	s_delay_alu instid0(VALU_DEP_1) | instskip(SKIP_3) | instid1(VALU_DEP_2)
	v_dual_add_f32 v6, v1, v142 :: v_dual_fmac_f32 v169, v8, v3
	ds_load_2addr_b64 v[1:4], v21 offset0:83 offset1:84
	v_add_f32_e32 v14, v14, v147
	v_add_f32_e32 v6, v6, v144
	v_add_f32_e32 v14, v14, v149
	s_delay_alu instid0(VALU_DEP_2) | instskip(SKIP_2) | instid1(VALU_DEP_1)
	v_add_f32_e32 v13, v6, v146
	ds_load_2addr_b64 v[5:8], v21 offset0:85 offset1:86
	v_add_f32_e32 v13, v13, v148
	v_add_f32_e32 v13, v13, v150
	s_wait_loadcnt_dscnt 0x1
	v_mul_f32_e32 v22, v1, v10
	v_mul_f32_e32 v118, v3, v12
	;; [unrolled: 1-line block ×4, first 2 shown]
	s_delay_alu instid0(VALU_DEP_4) | instskip(NEXT) | instid1(VALU_DEP_4)
	v_dual_add_f32 v13, v13, v152 :: v_dual_fmac_f32 v22, v2, v9
	v_fmac_f32_e32 v118, v4, v11
	s_delay_alu instid0(VALU_DEP_4) | instskip(NEXT) | instid1(VALU_DEP_4)
	v_fma_f32 v119, v1, v9, -v10
	v_fma_f32 v120, v3, v11, -v12
	s_clause 0x1
	scratch_load_b128 v[1:4], off, off offset:312
	scratch_load_b128 v[9:12], off, off offset:328
	v_dual_add_f32 v17, v14, v151 :: v_dual_add_f32 v18, v13, v154
	scratch_load_b128 v[13:16], off, off offset:344
	v_dual_add_f32 v17, v17, v153 :: v_dual_add_f32 v18, v18, v156
	s_delay_alu instid0(VALU_DEP_1) | instskip(NEXT) | instid1(VALU_DEP_1)
	v_dual_add_f32 v17, v17, v155 :: v_dual_add_f32 v18, v18, v158
	v_dual_add_f32 v17, v17, v157 :: v_dual_add_f32 v114, v18, v160
	s_delay_alu instid0(VALU_DEP_1) | instskip(NEXT) | instid1(VALU_DEP_2)
	v_add_f32_e32 v115, v17, v159
	v_add_f32_e32 v121, v114, v162
	ds_load_2addr_b64 v[17:20], v21 offset0:87 offset1:88
	v_add_f32_e32 v122, v115, v161
	ds_load_2addr_b64 v[114:117], v21 offset0:89 offset1:90
	v_add_f32_e32 v21, v121, v164
	v_add_f32_e32 v121, v122, v163
	s_delay_alu instid0(VALU_DEP_2) | instskip(NEXT) | instid1(VALU_DEP_2)
	v_add_f32_e32 v21, v21, v166
	v_add_f32_e32 v121, v121, v165
	s_delay_alu instid0(VALU_DEP_2) | instskip(NEXT) | instid1(VALU_DEP_2)
	;; [unrolled: 3-line block ×3, first 2 shown]
	v_add_f32_e32 v21, v21, v170
	v_add_f32_e32 v121, v121, v169
	s_delay_alu instid0(VALU_DEP_2) | instskip(SKIP_1) | instid1(VALU_DEP_2)
	v_add_f32_e32 v21, v21, v119
	s_wait_loadcnt_dscnt 0x202
	v_dual_add_f32 v22, v121, v22 :: v_dual_mul_f32 v123, v7, v4
	v_mul_f32_e32 v122, v5, v2
	v_mul_f32_e32 v2, v6, v2
	;; [unrolled: 1-line block ×3, first 2 shown]
	s_wait_loadcnt_dscnt 0x101
	v_dual_mul_f32 v124, v17, v10 :: v_dual_fmac_f32 v123, v8, v3
	v_fmac_f32_e32 v122, v6, v1
	v_fma_f32 v2, v5, v1, -v2
	v_add_f32_e32 v1, v21, v120
	v_add_f32_e32 v5, v22, v118
	v_mul_f32_e32 v6, v18, v10
	v_fma_f32 v3, v7, v3, -v4
	v_mul_f32_e32 v125, v19, v12
	v_add_f32_e32 v1, v1, v2
	v_add_f32_e32 v2, v5, v122
	v_mul_f32_e32 v4, v20, v12
	v_fmac_f32_e32 v124, v18, v9
	v_fma_f32 v5, v17, v9, -v6
	v_add_f32_e32 v1, v1, v3
	v_add_f32_e32 v2, v2, v123
	s_wait_loadcnt_dscnt 0x0
	v_mul_f32_e32 v128, v114, v14
	v_mul_f32_e32 v3, v115, v14
	v_fmac_f32_e32 v125, v20, v11
	v_fma_f32 v4, v19, v11, -v4
	v_dual_add_f32 v1, v1, v5 :: v_dual_add_f32 v2, v2, v124
	v_mul_f32_e32 v119, v116, v16
	v_dual_mul_f32 v5, v117, v16 :: v_dual_fmac_f32 v128, v115, v13
	v_fma_f32 v3, v114, v13, -v3
	s_delay_alu instid0(VALU_DEP_4) | instskip(NEXT) | instid1(VALU_DEP_4)
	v_dual_add_f32 v1, v1, v4 :: v_dual_add_f32 v2, v2, v125
	v_fmac_f32_e32 v119, v117, v15
	s_delay_alu instid0(VALU_DEP_4) | instskip(NEXT) | instid1(VALU_DEP_3)
	v_fma_f32 v4, v116, v15, -v5
	v_dual_add_f32 v1, v1, v3 :: v_dual_add_f32 v2, v2, v128
	s_delay_alu instid0(VALU_DEP_1) | instskip(NEXT) | instid1(VALU_DEP_1)
	v_dual_add_f32 v1, v1, v4 :: v_dual_add_f32 v2, v2, v119
	v_dual_sub_f32 v1, v126, v1 :: v_dual_sub_f32 v2, v127, v2
	scratch_store_b64 off, v[1:2], off offset:32
	v_cmpx_lt_u32_e32 3, v0
	s_cbranch_execz .LBB44_277
; %bb.276:
	scratch_load_b64 v[1:2], off, off offset:24
	v_mov_b32_e32 v3, 0
	s_delay_alu instid0(VALU_DEP_1)
	v_mov_b32_e32 v4, v3
	scratch_store_b64 off, v[3:4], off offset:24
	s_wait_loadcnt 0x0
	ds_store_b64 v23, v[1:2]
.LBB44_277:
	s_wait_alu 0xfffe
	s_or_b32 exec_lo, exec_lo, s0
	s_wait_storecnt_dscnt 0x0
	s_barrier_signal -1
	s_barrier_wait -1
	global_inv scope:SCOPE_SE
	s_clause 0x4
	scratch_load_b128 v[5:8], off, off offset:32
	scratch_load_b128 v[1:4], off, off offset:48
	;; [unrolled: 1-line block ×5, first 2 shown]
	v_mov_b32_e32 v21, 0
	ds_load_b128 v[114:117], v21 offset:400
	ds_load_b128 v[118:121], v21 offset:416
	;; [unrolled: 1-line block ×3, first 2 shown]
	scratch_load_b64 v[126:127], off, off offset:24
	s_mov_b32 s0, exec_lo
	s_wait_loadcnt_dscnt 0x502
	v_mul_f32_e32 v22, v115, v6
	v_dual_mul_f32 v128, v114, v6 :: v_dual_mul_f32 v129, v116, v8
	v_mul_f32_e32 v6, v117, v8
	s_delay_alu instid0(VALU_DEP_3) | instskip(NEXT) | instid1(VALU_DEP_3)
	v_fma_f32 v22, v114, v5, -v22
	v_dual_fmac_f32 v128, v115, v5 :: v_dual_fmac_f32 v129, v117, v7
	s_wait_loadcnt_dscnt 0x401
	v_mul_f32_e32 v115, v118, v2
	v_fma_f32 v114, v116, v7, -v6
	ds_load_b128 v[5:8], v21 offset:448
	s_wait_loadcnt_dscnt 0x301
	v_dual_mul_f32 v116, v120, v4 :: v_dual_mul_f32 v117, v122, v10
	v_dual_mul_f32 v4, v121, v4 :: v_dual_fmac_f32 v115, v119, v1
	v_mul_f32_e32 v10, v123, v10
	s_delay_alu instid0(VALU_DEP_3)
	v_dual_mul_f32 v130, v124, v12 :: v_dual_fmac_f32 v117, v123, v9
	v_mul_f32_e32 v12, v125, v12
	v_mul_f32_e32 v2, v119, v2
	v_fmac_f32_e32 v116, v121, v3
	v_fma_f32 v119, v120, v3, -v4
	v_fma_f32 v120, v122, v9, -v10
	v_fmac_f32_e32 v130, v125, v11
	v_fma_f32 v121, v124, v11, -v12
	ds_load_b128 v[9:12], v21 offset:464
	s_wait_loadcnt_dscnt 0x201
	v_dual_mul_f32 v123, v7, v16 :: v_dual_mul_f32 v122, v5, v14
	v_mul_f32_e32 v14, v6, v14
	v_mul_f32_e32 v16, v8, v16
	s_delay_alu instid0(VALU_DEP_3)
	v_fmac_f32_e32 v123, v8, v15
	v_fma_f32 v118, v118, v1, -v2
	scratch_load_b128 v[1:4], off, off offset:112
	v_fmac_f32_e32 v122, v6, v13
	v_fma_f32 v13, v5, v13, -v14
	v_fma_f32 v14, v7, v15, -v16
	ds_load_b128 v[5:8], v21 offset:480
	s_wait_loadcnt_dscnt 0x201
	v_mul_f32_e32 v15, v9, v18
	v_mul_f32_e32 v16, v10, v18
	;; [unrolled: 1-line block ×3, first 2 shown]
	s_delay_alu instid0(VALU_DEP_3) | instskip(NEXT) | instid1(VALU_DEP_3)
	v_dual_mul_f32 v20, v12, v20 :: v_dual_fmac_f32 v15, v10, v17
	v_fma_f32 v16, v9, v17, -v16
	s_delay_alu instid0(VALU_DEP_3) | instskip(NEXT) | instid1(VALU_DEP_3)
	v_fmac_f32_e32 v18, v12, v19
	v_fma_f32 v17, v11, v19, -v20
	scratch_load_b128 v[9:12], off, off offset:128
	s_wait_loadcnt_dscnt 0x100
	v_mul_f32_e32 v19, v5, v2
	v_mul_f32_e32 v2, v6, v2
	;; [unrolled: 1-line block ×3, first 2 shown]
	s_delay_alu instid0(VALU_DEP_3) | instskip(NEXT) | instid1(VALU_DEP_3)
	v_dual_mul_f32 v4, v8, v4 :: v_dual_fmac_f32 v19, v6, v1
	v_fma_f32 v124, v5, v1, -v2
	s_delay_alu instid0(VALU_DEP_3) | instskip(NEXT) | instid1(VALU_DEP_3)
	v_fmac_f32_e32 v20, v8, v3
	v_fma_f32 v125, v7, v3, -v4
	ds_load_b128 v[1:4], v21 offset:496
	ds_load_b128 v[5:8], v21 offset:512
	s_wait_loadcnt_dscnt 0x1
	v_mul_f32_e32 v131, v1, v10
	v_mul_f32_e32 v10, v2, v10
	s_delay_alu instid0(VALU_DEP_2) | instskip(NEXT) | instid1(VALU_DEP_2)
	v_dual_mul_f32 v132, v3, v12 :: v_dual_fmac_f32 v131, v2, v9
	v_fma_f32 v133, v1, v9, -v10
	v_mul_f32_e32 v1, v4, v12
	s_delay_alu instid0(VALU_DEP_3) | instskip(NEXT) | instid1(VALU_DEP_2)
	v_fmac_f32_e32 v132, v4, v11
	v_fma_f32 v134, v3, v11, -v1
	s_clause 0x1
	scratch_load_b128 v[1:4], off, off offset:144
	scratch_load_b128 v[9:12], off, off offset:160
	s_wait_loadcnt_dscnt 0x100
	v_mul_f32_e32 v135, v5, v2
	v_dual_mul_f32 v2, v6, v2 :: v_dual_mul_f32 v137, v7, v4
	s_delay_alu instid0(VALU_DEP_2) | instskip(NEXT) | instid1(VALU_DEP_2)
	v_fmac_f32_e32 v135, v6, v1
	v_fma_f32 v136, v5, v1, -v2
	v_mul_f32_e32 v1, v8, v4
	s_delay_alu instid0(VALU_DEP_4) | instskip(NEXT) | instid1(VALU_DEP_2)
	v_fmac_f32_e32 v137, v8, v3
	v_fma_f32 v138, v7, v3, -v1
	ds_load_b128 v[1:4], v21 offset:528
	ds_load_b128 v[5:8], v21 offset:544
	s_wait_loadcnt_dscnt 0x1
	v_mul_f32_e32 v139, v1, v10
	v_mul_f32_e32 v141, v3, v12
	s_delay_alu instid0(VALU_DEP_2) | instskip(NEXT) | instid1(VALU_DEP_2)
	v_fmac_f32_e32 v139, v2, v9
	v_dual_mul_f32 v2, v2, v10 :: v_dual_fmac_f32 v141, v4, v11
	s_delay_alu instid0(VALU_DEP_1) | instskip(SKIP_1) | instid1(VALU_DEP_1)
	v_fma_f32 v140, v1, v9, -v2
	v_mul_f32_e32 v1, v4, v12
	v_fma_f32 v142, v3, v11, -v1
	s_clause 0x1
	scratch_load_b128 v[1:4], off, off offset:176
	scratch_load_b128 v[9:12], off, off offset:192
	s_wait_loadcnt_dscnt 0x100
	v_mul_f32_e32 v143, v5, v2
	v_dual_mul_f32 v145, v7, v4 :: v_dual_mul_f32 v2, v6, v2
	s_delay_alu instid0(VALU_DEP_2) | instskip(NEXT) | instid1(VALU_DEP_2)
	v_fmac_f32_e32 v143, v6, v1
	v_fmac_f32_e32 v145, v8, v3
	s_delay_alu instid0(VALU_DEP_3) | instskip(SKIP_1) | instid1(VALU_DEP_1)
	v_fma_f32 v144, v5, v1, -v2
	v_mul_f32_e32 v1, v8, v4
	v_fma_f32 v146, v7, v3, -v1
	ds_load_b128 v[1:4], v21 offset:560
	ds_load_b128 v[5:8], v21 offset:576
	s_wait_loadcnt_dscnt 0x1
	v_mul_f32_e32 v147, v1, v10
	v_mul_f32_e32 v149, v3, v12
	s_delay_alu instid0(VALU_DEP_2) | instskip(NEXT) | instid1(VALU_DEP_2)
	v_fmac_f32_e32 v147, v2, v9
	v_dual_mul_f32 v2, v2, v10 :: v_dual_fmac_f32 v149, v4, v11
	s_delay_alu instid0(VALU_DEP_1) | instskip(SKIP_1) | instid1(VALU_DEP_1)
	v_fma_f32 v148, v1, v9, -v2
	v_mul_f32_e32 v1, v4, v12
	v_fma_f32 v150, v3, v11, -v1
	s_clause 0x1
	scratch_load_b128 v[1:4], off, off offset:208
	scratch_load_b128 v[9:12], off, off offset:224
	s_wait_loadcnt_dscnt 0x100
	v_mul_f32_e32 v151, v5, v2
	v_dual_mul_f32 v2, v6, v2 :: v_dual_mul_f32 v153, v7, v4
	s_delay_alu instid0(VALU_DEP_2) | instskip(NEXT) | instid1(VALU_DEP_2)
	v_fmac_f32_e32 v151, v6, v1
	v_fma_f32 v152, v5, v1, -v2
	v_mul_f32_e32 v1, v8, v4
	s_delay_alu instid0(VALU_DEP_4) | instskip(NEXT) | instid1(VALU_DEP_2)
	v_fmac_f32_e32 v153, v8, v3
	v_fma_f32 v154, v7, v3, -v1
	ds_load_b128 v[1:4], v21 offset:592
	ds_load_b128 v[5:8], v21 offset:608
	s_wait_loadcnt_dscnt 0x1
	v_mul_f32_e32 v155, v1, v10
	v_mul_f32_e32 v157, v3, v12
	s_delay_alu instid0(VALU_DEP_2) | instskip(NEXT) | instid1(VALU_DEP_2)
	v_fmac_f32_e32 v155, v2, v9
	v_dual_mul_f32 v2, v2, v10 :: v_dual_fmac_f32 v157, v4, v11
	s_delay_alu instid0(VALU_DEP_1) | instskip(SKIP_1) | instid1(VALU_DEP_1)
	v_fma_f32 v156, v1, v9, -v2
	v_mul_f32_e32 v1, v4, v12
	v_fma_f32 v158, v3, v11, -v1
	s_clause 0x1
	scratch_load_b128 v[1:4], off, off offset:240
	scratch_load_b128 v[9:12], off, off offset:256
	s_wait_loadcnt_dscnt 0x100
	v_mul_f32_e32 v159, v5, v2
	v_dual_mul_f32 v2, v6, v2 :: v_dual_mul_f32 v161, v7, v4
	s_delay_alu instid0(VALU_DEP_2) | instskip(NEXT) | instid1(VALU_DEP_2)
	v_fmac_f32_e32 v159, v6, v1
	v_fma_f32 v160, v5, v1, -v2
	v_mul_f32_e32 v1, v8, v4
	s_delay_alu instid0(VALU_DEP_4) | instskip(NEXT) | instid1(VALU_DEP_2)
	v_fmac_f32_e32 v161, v8, v3
	v_fma_f32 v162, v7, v3, -v1
	ds_load_b128 v[1:4], v21 offset:624
	ds_load_b128 v[5:8], v21 offset:640
	s_wait_loadcnt_dscnt 0x1
	v_mul_f32_e32 v163, v1, v10
	v_mul_f32_e32 v165, v3, v12
	s_delay_alu instid0(VALU_DEP_2) | instskip(NEXT) | instid1(VALU_DEP_2)
	v_fmac_f32_e32 v163, v2, v9
	v_dual_mul_f32 v2, v2, v10 :: v_dual_fmac_f32 v165, v4, v11
	s_delay_alu instid0(VALU_DEP_1) | instskip(SKIP_1) | instid1(VALU_DEP_1)
	v_fma_f32 v164, v1, v9, -v2
	v_mul_f32_e32 v1, v4, v12
	v_fma_f32 v166, v3, v11, -v1
	s_clause 0x1
	scratch_load_b128 v[1:4], off, off offset:272
	scratch_load_b128 v[9:12], off, off offset:288
	s_wait_loadcnt_dscnt 0x100
	v_mul_f32_e32 v167, v5, v2
	v_mul_f32_e32 v2, v6, v2
	s_delay_alu instid0(VALU_DEP_1) | instskip(SKIP_1) | instid1(VALU_DEP_1)
	v_fma_f32 v168, v5, v1, -v2
	v_add_f32_e32 v2, 0, v128
	v_add_f32_e32 v2, v2, v129
	s_delay_alu instid0(VALU_DEP_1) | instskip(NEXT) | instid1(VALU_DEP_1)
	v_add_f32_e32 v2, v2, v115
	v_add_f32_e32 v2, v2, v116
	s_delay_alu instid0(VALU_DEP_1) | instskip(NEXT) | instid1(VALU_DEP_1)
	;; [unrolled: 3-line block ×7, first 2 shown]
	v_add_f32_e32 v2, v2, v135
	v_add_f32_e32 v2, v2, v137
	v_fmac_f32_e32 v167, v6, v1
	v_mul_f32_e32 v1, v8, v4
	s_delay_alu instid0(VALU_DEP_3) | instskip(NEXT) | instid1(VALU_DEP_2)
	v_add_f32_e32 v5, v2, v139
	v_fma_f32 v170, v7, v3, -v1
	v_add_f32_e32 v1, 0, v22
	s_delay_alu instid0(VALU_DEP_3) | instskip(NEXT) | instid1(VALU_DEP_2)
	v_add_f32_e32 v5, v5, v141
	v_add_f32_e32 v1, v1, v114
	s_delay_alu instid0(VALU_DEP_2) | instskip(SKIP_1) | instid1(VALU_DEP_3)
	v_add_f32_e32 v5, v5, v143
	v_mul_f32_e32 v169, v7, v4
	v_add_f32_e32 v1, v1, v118
	s_delay_alu instid0(VALU_DEP_1) | instskip(SKIP_2) | instid1(VALU_DEP_1)
	v_add_f32_e32 v1, v1, v119
	scratch_load_b64 v[118:119], off, off offset:352
	v_add_f32_e32 v1, v1, v120
	v_add_f32_e32 v1, v1, v121
	s_delay_alu instid0(VALU_DEP_1) | instskip(NEXT) | instid1(VALU_DEP_1)
	v_add_f32_e32 v1, v1, v13
	v_add_f32_e32 v1, v1, v14
	;; [unrolled: 1-line block ×3, first 2 shown]
	s_delay_alu instid0(VALU_DEP_2) | instskip(NEXT) | instid1(VALU_DEP_1)
	v_add_f32_e32 v1, v1, v16
	v_add_f32_e32 v1, v1, v17
	s_delay_alu instid0(VALU_DEP_1) | instskip(NEXT) | instid1(VALU_DEP_1)
	v_add_f32_e32 v1, v1, v124
	v_add_f32_e32 v1, v1, v125
	s_delay_alu instid0(VALU_DEP_1) | instskip(NEXT) | instid1(VALU_DEP_1)
	;; [unrolled: 3-line block ×4, first 2 shown]
	v_add_f32_e32 v1, v1, v140
	v_dual_add_f32 v6, v1, v142 :: v_dual_fmac_f32 v169, v8, v3
	ds_load_b128 v[1:4], v21 offset:656
	v_add_f32_e32 v14, v14, v147
	v_add_f32_e32 v6, v6, v144
	s_delay_alu instid0(VALU_DEP_2) | instskip(NEXT) | instid1(VALU_DEP_2)
	v_add_f32_e32 v14, v14, v149
	v_add_f32_e32 v13, v6, v146
	ds_load_b128 v[5:8], v21 offset:672
	s_wait_loadcnt_dscnt 0x101
	v_mul_f32_e32 v22, v1, v10
	v_mul_f32_e32 v10, v2, v10
	;; [unrolled: 1-line block ×3, first 2 shown]
	v_dual_mul_f32 v12, v4, v12 :: v_dual_add_f32 v17, v14, v151
	s_delay_alu instid0(VALU_DEP_4) | instskip(NEXT) | instid1(VALU_DEP_4)
	v_fmac_f32_e32 v22, v2, v9
	v_fma_f32 v123, v1, v9, -v10
	s_delay_alu instid0(VALU_DEP_4) | instskip(NEXT) | instid1(VALU_DEP_4)
	v_fmac_f32_e32 v122, v4, v11
	v_fma_f32 v124, v3, v11, -v12
	s_clause 0x1
	scratch_load_b128 v[1:4], off, off offset:304
	scratch_load_b128 v[9:12], off, off offset:320
	v_add_f32_e32 v17, v17, v153
	s_delay_alu instid0(VALU_DEP_1) | instskip(NEXT) | instid1(VALU_DEP_1)
	v_add_f32_e32 v17, v17, v155
	v_add_f32_e32 v17, v17, v157
	s_delay_alu instid0(VALU_DEP_1) | instskip(NEXT) | instid1(VALU_DEP_1)
	v_add_f32_e32 v17, v17, v159
	v_add_f32_e32 v114, v17, v161
	s_delay_alu instid0(VALU_DEP_1)
	v_add_f32_e32 v121, v114, v163
	ds_load_b128 v[114:117], v21 offset:704
	v_add_f32_e32 v128, v121, v165
	s_wait_loadcnt_dscnt 0x101
	v_dual_mul_f32 v129, v5, v2 :: v_dual_mul_f32 v130, v7, v4
	v_dual_add_f32 v13, v13, v148 :: v_dual_mul_f32 v2, v6, v2
	s_delay_alu instid0(VALU_DEP_2) | instskip(NEXT) | instid1(VALU_DEP_2)
	v_dual_mul_f32 v4, v8, v4 :: v_dual_fmac_f32 v129, v6, v1
	v_dual_fmac_f32 v130, v8, v3 :: v_dual_add_f32 v13, v13, v150
	s_delay_alu instid0(VALU_DEP_3) | instskip(NEXT) | instid1(VALU_DEP_3)
	v_fma_f32 v2, v5, v1, -v2
	v_fma_f32 v1, v7, v3, -v4
	s_delay_alu instid0(VALU_DEP_3) | instskip(NEXT) | instid1(VALU_DEP_1)
	v_add_f32_e32 v13, v13, v152
	v_add_f32_e32 v18, v13, v154
	scratch_load_b128 v[13:16], off, off offset:336
	v_add_f32_e32 v128, v128, v167
	v_add_f32_e32 v18, v18, v156
	s_delay_alu instid0(VALU_DEP_2) | instskip(NEXT) | instid1(VALU_DEP_2)
	v_add_f32_e32 v128, v128, v169
	v_add_f32_e32 v18, v18, v158
	s_delay_alu instid0(VALU_DEP_2) | instskip(NEXT) | instid1(VALU_DEP_2)
	;; [unrolled: 3-line block ×3, first 2 shown]
	v_add_f32_e32 v22, v22, v122
	v_add_f32_e32 v18, v18, v162
	s_delay_alu instid0(VALU_DEP_1)
	v_add_f32_e32 v120, v18, v164
	ds_load_b128 v[17:20], v21 offset:688
	v_add_f32_e32 v125, v120, v166
	ds_load_b64 v[120:121], v21 offset:720
	s_wait_loadcnt_dscnt 0x101
	v_dual_mul_f32 v3, v18, v10 :: v_dual_mul_f32 v128, v19, v12
	v_mul_f32_e32 v5, v20, v12
	s_delay_alu instid0(VALU_DEP_2) | instskip(NEXT) | instid1(VALU_DEP_3)
	v_fma_f32 v3, v17, v9, -v3
	v_fmac_f32_e32 v128, v20, v11
	s_delay_alu instid0(VALU_DEP_3) | instskip(SKIP_2) | instid1(VALU_DEP_1)
	v_fma_f32 v5, v19, v11, -v5
	s_wait_dscnt 0x0
	v_mul_f32_e32 v122, v120, v119
	v_fmac_f32_e32 v122, v121, v118
	v_add_f32_e32 v4, v22, v129
	s_wait_loadcnt 0x0
	v_mul_f32_e32 v131, v114, v14
	s_delay_alu instid0(VALU_DEP_1) | instskip(SKIP_1) | instid1(VALU_DEP_1)
	v_fmac_f32_e32 v131, v115, v13
	v_add_f32_e32 v125, v125, v168
	v_add_f32_e32 v125, v125, v170
	s_delay_alu instid0(VALU_DEP_1) | instskip(SKIP_1) | instid1(VALU_DEP_2)
	v_add_f32_e32 v123, v125, v123
	v_mul_f32_e32 v125, v17, v10
	v_add_f32_e32 v123, v123, v124
	s_delay_alu instid0(VALU_DEP_2) | instskip(NEXT) | instid1(VALU_DEP_2)
	v_dual_fmac_f32 v125, v18, v9 :: v_dual_mul_f32 v124, v116, v16
	v_add_f32_e32 v2, v123, v2
	s_delay_alu instid0(VALU_DEP_1) | instskip(SKIP_1) | instid1(VALU_DEP_2)
	v_dual_fmac_f32 v124, v117, v15 :: v_dual_add_f32 v1, v2, v1
	v_add_f32_e32 v2, v4, v130
	v_dual_mul_f32 v4, v115, v14 :: v_dual_add_f32 v1, v1, v3
	s_delay_alu instid0(VALU_DEP_2) | instskip(NEXT) | instid1(VALU_DEP_2)
	v_dual_add_f32 v2, v2, v125 :: v_dual_mul_f32 v3, v117, v16
	v_fma_f32 v4, v114, v13, -v4
	s_delay_alu instid0(VALU_DEP_2) | instskip(SKIP_1) | instid1(VALU_DEP_4)
	v_dual_add_f32 v1, v1, v5 :: v_dual_add_f32 v2, v2, v128
	v_mul_f32_e32 v5, v121, v119
	v_fma_f32 v3, v116, v15, -v3
	s_delay_alu instid0(VALU_DEP_3) | instskip(NEXT) | instid1(VALU_DEP_3)
	v_dual_add_f32 v1, v1, v4 :: v_dual_add_f32 v2, v2, v131
	v_fma_f32 v4, v120, v118, -v5
	s_delay_alu instid0(VALU_DEP_2) | instskip(NEXT) | instid1(VALU_DEP_1)
	v_dual_add_f32 v1, v1, v3 :: v_dual_add_f32 v2, v2, v124
	v_dual_add_f32 v1, v1, v4 :: v_dual_add_f32 v2, v2, v122
	s_delay_alu instid0(VALU_DEP_1)
	v_dual_sub_f32 v1, v126, v1 :: v_dual_sub_f32 v2, v127, v2
	scratch_store_b64 off, v[1:2], off offset:24
	v_cmpx_lt_u32_e32 2, v0
	s_cbranch_execz .LBB44_279
; %bb.278:
	scratch_load_b64 v[1:2], off, off offset:16
	v_mov_b32_e32 v22, v21
	scratch_store_b64 off, v[21:22], off offset:16
	s_wait_loadcnt 0x0
	ds_store_b64 v23, v[1:2]
.LBB44_279:
	s_wait_alu 0xfffe
	s_or_b32 exec_lo, exec_lo, s0
	s_wait_storecnt_dscnt 0x0
	s_barrier_signal -1
	s_barrier_wait -1
	global_inv scope:SCOPE_SE
	s_clause 0x4
	scratch_load_b128 v[5:8], off, off offset:24
	scratch_load_b128 v[1:4], off, off offset:40
	;; [unrolled: 1-line block ×5, first 2 shown]
	ds_load_2addr_b64 v[114:117], v21 offset0:49 offset1:50
	ds_load_2addr_b64 v[118:121], v21 offset0:51 offset1:52
	;; [unrolled: 1-line block ×3, first 2 shown]
	scratch_load_b64 v[126:127], off, off offset:16
	s_mov_b32 s0, exec_lo
	s_wait_loadcnt_dscnt 0x502
	v_dual_mul_f32 v22, v115, v6 :: v_dual_mul_f32 v129, v116, v8
	v_mul_f32_e32 v128, v114, v6
	v_mul_f32_e32 v6, v117, v8
	s_wait_loadcnt_dscnt 0x300
	v_mul_f32_e32 v130, v124, v12
	v_fma_f32 v22, v114, v5, -v22
	v_dual_fmac_f32 v129, v117, v7 :: v_dual_fmac_f32 v128, v115, v5
	v_mul_f32_e32 v117, v122, v10
	v_mul_f32_e32 v115, v118, v2
	v_fma_f32 v114, v116, v7, -v6
	ds_load_2addr_b64 v[5:8], v21 offset0:55 offset1:56
	v_mul_f32_e32 v116, v120, v4
	v_dual_mul_f32 v4, v121, v4 :: v_dual_fmac_f32 v117, v123, v9
	v_mul_f32_e32 v10, v123, v10
	v_mul_f32_e32 v12, v125, v12
	;; [unrolled: 1-line block ×3, first 2 shown]
	v_dual_fmac_f32 v115, v119, v1 :: v_dual_fmac_f32 v116, v121, v3
	v_fma_f32 v119, v120, v3, -v4
	v_fma_f32 v120, v122, v9, -v10
	v_fmac_f32_e32 v130, v125, v11
	v_fma_f32 v121, v124, v11, -v12
	ds_load_2addr_b64 v[9:12], v21 offset0:57 offset1:58
	s_wait_loadcnt_dscnt 0x201
	v_dual_mul_f32 v123, v7, v16 :: v_dual_mul_f32 v122, v5, v14
	s_delay_alu instid0(VALU_DEP_1)
	v_dual_mul_f32 v14, v6, v14 :: v_dual_fmac_f32 v123, v8, v15
	v_fma_f32 v118, v118, v1, -v2
	scratch_load_b128 v[1:4], off, off offset:104
	v_mul_f32_e32 v16, v8, v16
	v_fmac_f32_e32 v122, v6, v13
	v_fma_f32 v13, v5, v13, -v14
	s_delay_alu instid0(VALU_DEP_3)
	v_fma_f32 v14, v7, v15, -v16
	s_wait_loadcnt_dscnt 0x200
	v_mul_f32_e32 v15, v9, v18
	v_mul_f32_e32 v16, v10, v18
	;; [unrolled: 1-line block ×4, first 2 shown]
	ds_load_2addr_b64 v[5:8], v21 offset0:59 offset1:60
	v_fmac_f32_e32 v15, v10, v17
	v_fma_f32 v16, v9, v17, -v16
	v_fmac_f32_e32 v18, v12, v19
	v_fma_f32 v17, v11, v19, -v20
	scratch_load_b128 v[9:12], off, off offset:120
	s_wait_loadcnt_dscnt 0x100
	v_mul_f32_e32 v19, v5, v2
	v_mul_f32_e32 v2, v6, v2
	;; [unrolled: 1-line block ×3, first 2 shown]
	s_delay_alu instid0(VALU_DEP_3) | instskip(NEXT) | instid1(VALU_DEP_3)
	v_dual_mul_f32 v4, v8, v4 :: v_dual_fmac_f32 v19, v6, v1
	v_fma_f32 v124, v5, v1, -v2
	s_delay_alu instid0(VALU_DEP_3) | instskip(NEXT) | instid1(VALU_DEP_3)
	v_fmac_f32_e32 v20, v8, v3
	v_fma_f32 v125, v7, v3, -v4
	ds_load_2addr_b64 v[1:4], v21 offset0:61 offset1:62
	ds_load_2addr_b64 v[5:8], v21 offset0:63 offset1:64
	s_wait_loadcnt_dscnt 0x1
	v_mul_f32_e32 v131, v1, v10
	v_mul_f32_e32 v10, v2, v10
	s_delay_alu instid0(VALU_DEP_2) | instskip(NEXT) | instid1(VALU_DEP_2)
	v_dual_mul_f32 v132, v3, v12 :: v_dual_fmac_f32 v131, v2, v9
	v_fma_f32 v133, v1, v9, -v10
	v_mul_f32_e32 v1, v4, v12
	s_delay_alu instid0(VALU_DEP_3) | instskip(NEXT) | instid1(VALU_DEP_2)
	v_fmac_f32_e32 v132, v4, v11
	v_fma_f32 v134, v3, v11, -v1
	s_clause 0x1
	scratch_load_b128 v[1:4], off, off offset:136
	scratch_load_b128 v[9:12], off, off offset:152
	s_wait_loadcnt_dscnt 0x100
	v_mul_f32_e32 v135, v5, v2
	v_dual_mul_f32 v2, v6, v2 :: v_dual_mul_f32 v137, v7, v4
	s_delay_alu instid0(VALU_DEP_2) | instskip(NEXT) | instid1(VALU_DEP_2)
	v_fmac_f32_e32 v135, v6, v1
	v_fma_f32 v136, v5, v1, -v2
	v_mul_f32_e32 v1, v8, v4
	s_delay_alu instid0(VALU_DEP_4) | instskip(NEXT) | instid1(VALU_DEP_2)
	v_fmac_f32_e32 v137, v8, v3
	v_fma_f32 v138, v7, v3, -v1
	ds_load_2addr_b64 v[1:4], v21 offset0:65 offset1:66
	ds_load_2addr_b64 v[5:8], v21 offset0:67 offset1:68
	s_wait_loadcnt_dscnt 0x1
	v_mul_f32_e32 v139, v1, v10
	v_mul_f32_e32 v141, v3, v12
	s_delay_alu instid0(VALU_DEP_2) | instskip(NEXT) | instid1(VALU_DEP_2)
	v_fmac_f32_e32 v139, v2, v9
	v_dual_mul_f32 v2, v2, v10 :: v_dual_fmac_f32 v141, v4, v11
	s_delay_alu instid0(VALU_DEP_1) | instskip(SKIP_1) | instid1(VALU_DEP_1)
	v_fma_f32 v140, v1, v9, -v2
	v_mul_f32_e32 v1, v4, v12
	v_fma_f32 v142, v3, v11, -v1
	s_clause 0x1
	scratch_load_b128 v[1:4], off, off offset:168
	scratch_load_b128 v[9:12], off, off offset:184
	s_wait_loadcnt_dscnt 0x100
	v_mul_f32_e32 v143, v5, v2
	v_dual_mul_f32 v2, v6, v2 :: v_dual_mul_f32 v145, v7, v4
	s_delay_alu instid0(VALU_DEP_2) | instskip(NEXT) | instid1(VALU_DEP_2)
	v_fmac_f32_e32 v143, v6, v1
	v_fma_f32 v144, v5, v1, -v2
	v_mul_f32_e32 v1, v8, v4
	s_delay_alu instid0(VALU_DEP_4) | instskip(NEXT) | instid1(VALU_DEP_2)
	v_fmac_f32_e32 v145, v8, v3
	v_fma_f32 v146, v7, v3, -v1
	ds_load_2addr_b64 v[1:4], v21 offset0:69 offset1:70
	ds_load_2addr_b64 v[5:8], v21 offset0:71 offset1:72
	s_wait_loadcnt_dscnt 0x1
	v_mul_f32_e32 v147, v1, v10
	v_mul_f32_e32 v149, v3, v12
	s_delay_alu instid0(VALU_DEP_2) | instskip(NEXT) | instid1(VALU_DEP_2)
	v_fmac_f32_e32 v147, v2, v9
	v_dual_mul_f32 v2, v2, v10 :: v_dual_fmac_f32 v149, v4, v11
	s_delay_alu instid0(VALU_DEP_1) | instskip(SKIP_1) | instid1(VALU_DEP_1)
	v_fma_f32 v148, v1, v9, -v2
	v_mul_f32_e32 v1, v4, v12
	;; [unrolled: 25-line block ×4, first 2 shown]
	v_fma_f32 v166, v3, v11, -v1
	s_clause 0x1
	scratch_load_b128 v[1:4], off, off offset:264
	scratch_load_b128 v[9:12], off, off offset:280
	s_wait_loadcnt_dscnt 0x100
	v_mul_f32_e32 v167, v5, v2
	v_mul_f32_e32 v2, v6, v2
	s_delay_alu instid0(VALU_DEP_1) | instskip(SKIP_1) | instid1(VALU_DEP_1)
	v_fma_f32 v168, v5, v1, -v2
	v_add_f32_e32 v2, 0, v128
	v_add_f32_e32 v2, v2, v129
	s_delay_alu instid0(VALU_DEP_1) | instskip(NEXT) | instid1(VALU_DEP_1)
	v_add_f32_e32 v2, v2, v115
	v_add_f32_e32 v2, v2, v116
	s_delay_alu instid0(VALU_DEP_1) | instskip(NEXT) | instid1(VALU_DEP_1)
	v_add_f32_e32 v2, v2, v117
	v_add_f32_e32 v2, v2, v130
	s_delay_alu instid0(VALU_DEP_1) | instskip(NEXT) | instid1(VALU_DEP_1)
	v_add_f32_e32 v2, v2, v122
	v_add_f32_e32 v2, v2, v123
	s_delay_alu instid0(VALU_DEP_1) | instskip(NEXT) | instid1(VALU_DEP_1)
	v_add_f32_e32 v2, v2, v15
	v_add_f32_e32 v2, v2, v18
	s_delay_alu instid0(VALU_DEP_1) | instskip(NEXT) | instid1(VALU_DEP_1)
	v_add_f32_e32 v2, v2, v19
	v_add_f32_e32 v2, v2, v20
	s_delay_alu instid0(VALU_DEP_1) | instskip(NEXT) | instid1(VALU_DEP_1)
	v_add_f32_e32 v2, v2, v131
	v_add_f32_e32 v2, v2, v132
	v_fmac_f32_e32 v167, v6, v1
	s_delay_alu instid0(VALU_DEP_2) | instskip(NEXT) | instid1(VALU_DEP_1)
	v_dual_add_f32 v2, v2, v135 :: v_dual_mul_f32 v169, v7, v4
	v_dual_add_f32 v2, v2, v137 :: v_dual_mul_f32 v1, v8, v4
	s_delay_alu instid0(VALU_DEP_1) | instskip(NEXT) | instid1(VALU_DEP_2)
	v_add_f32_e32 v2, v2, v139
	v_fma_f32 v170, v7, v3, -v1
	v_add_f32_e32 v1, 0, v22
	s_delay_alu instid0(VALU_DEP_3) | instskip(NEXT) | instid1(VALU_DEP_2)
	v_add_f32_e32 v5, v2, v141
	v_add_f32_e32 v1, v1, v114
	s_delay_alu instid0(VALU_DEP_1) | instskip(NEXT) | instid1(VALU_DEP_1)
	v_add_f32_e32 v1, v1, v118
	v_add_f32_e32 v1, v1, v119
	s_delay_alu instid0(VALU_DEP_1) | instskip(NEXT) | instid1(VALU_DEP_1)
	v_add_f32_e32 v1, v1, v120
	v_add_f32_e32 v1, v1, v121
	s_delay_alu instid0(VALU_DEP_1) | instskip(SKIP_1) | instid1(VALU_DEP_2)
	v_add_f32_e32 v1, v1, v13
	v_add_f32_e32 v13, v5, v143
	;; [unrolled: 1-line block ×3, first 2 shown]
	s_delay_alu instid0(VALU_DEP_2) | instskip(NEXT) | instid1(VALU_DEP_2)
	v_add_f32_e32 v13, v13, v145
	v_add_f32_e32 v1, v1, v16
	s_delay_alu instid0(VALU_DEP_1) | instskip(NEXT) | instid1(VALU_DEP_1)
	v_add_f32_e32 v1, v1, v17
	v_add_f32_e32 v1, v1, v124
	s_delay_alu instid0(VALU_DEP_1) | instskip(NEXT) | instid1(VALU_DEP_1)
	;; [unrolled: 3-line block ×5, first 2 shown]
	v_add_f32_e32 v1, v1, v142
	v_dual_add_f32 v6, v1, v144 :: v_dual_fmac_f32 v169, v8, v3
	ds_load_2addr_b64 v[1:4], v21 offset0:81 offset1:82
	v_dual_add_f32 v13, v13, v147 :: v_dual_add_f32 v14, v6, v146
	scratch_load_b128 v[5:8], off, off offset:296
	v_add_f32_e32 v18, v13, v149
	v_add_f32_e32 v14, v14, v148
	s_delay_alu instid0(VALU_DEP_1)
	v_add_f32_e32 v17, v14, v150
	ds_load_2addr_b64 v[13:16], v21 offset0:83 offset1:84
	v_add_f32_e32 v17, v17, v152
	s_wait_loadcnt_dscnt 0x101
	v_mul_f32_e32 v22, v1, v10
	v_mul_f32_e32 v10, v2, v10
	;; [unrolled: 1-line block ×4, first 2 shown]
	v_add_f32_e32 v18, v18, v151
	v_fmac_f32_e32 v22, v2, v9
	v_fma_f32 v119, v1, v9, -v10
	v_fmac_f32_e32 v118, v4, v11
	v_fma_f32 v120, v3, v11, -v12
	scratch_load_b128 v[9:12], off, off offset:328
	v_dual_add_f32 v17, v17, v154 :: v_dual_add_f32 v18, v18, v153
	scratch_load_b128 v[1:4], off, off offset:312
	v_dual_add_f32 v17, v17, v156 :: v_dual_add_f32 v114, v18, v155
	s_delay_alu instid0(VALU_DEP_1) | instskip(SKIP_3) | instid1(VALU_DEP_1)
	v_add_f32_e32 v115, v17, v158
	scratch_load_b128 v[17:20], off, off offset:344
	v_add_f32_e32 v114, v114, v157
	s_wait_loadcnt_dscnt 0x300
	v_dual_add_f32 v114, v114, v159 :: v_dual_mul_f32 v121, v13, v6
	v_mul_f32_e32 v6, v14, v6
	v_mul_f32_e32 v122, v15, v8
	s_delay_alu instid0(VALU_DEP_3) | instskip(NEXT) | instid1(VALU_DEP_3)
	v_dual_mul_f32 v8, v16, v8 :: v_dual_fmac_f32 v121, v14, v5
	v_fma_f32 v123, v13, v5, -v6
	s_delay_alu instid0(VALU_DEP_3) | instskip(NEXT) | instid1(VALU_DEP_3)
	v_fmac_f32_e32 v122, v16, v7
	v_fma_f32 v124, v15, v7, -v8
	ds_load_2addr_b64 v[5:8], v21 offset0:85 offset1:86
	v_add_f32_e32 v115, v115, v160
	v_add_f32_e32 v13, v114, v161
	s_delay_alu instid0(VALU_DEP_2) | instskip(NEXT) | instid1(VALU_DEP_1)
	v_add_f32_e32 v115, v115, v162
	v_dual_add_f32 v114, v115, v164 :: v_dual_add_f32 v115, v13, v163
	ds_load_2addr_b64 v[13:16], v21 offset0:87 offset1:88
	v_dual_add_f32 v125, v114, v166 :: v_dual_add_f32 v128, v115, v165
	ds_load_2addr_b64 v[114:117], v21 offset0:89 offset1:90
	v_add_f32_e32 v21, v125, v168
	s_delay_alu instid0(VALU_DEP_1) | instskip(NEXT) | instid1(VALU_DEP_1)
	v_add_f32_e32 v21, v21, v170
	v_add_f32_e32 v21, v21, v119
	s_wait_loadcnt_dscnt 0x102
	v_mul_f32_e32 v119, v7, v4
	v_mul_f32_e32 v4, v8, v4
	s_wait_dscnt 0x1
	v_mul_f32_e32 v129, v15, v12
	v_add_f32_e32 v21, v21, v120
	v_fmac_f32_e32 v119, v8, v3
	s_wait_loadcnt_dscnt 0x0
	v_mul_f32_e32 v120, v116, v20
	v_fma_f32 v3, v7, v3, -v4
	v_dual_mul_f32 v4, v16, v12 :: v_dual_add_f32 v21, v21, v123
	v_fmac_f32_e32 v129, v16, v11
	s_delay_alu instid0(VALU_DEP_4) | instskip(SKIP_3) | instid1(VALU_DEP_3)
	v_fmac_f32_e32 v120, v117, v19
	v_dual_add_f32 v125, v128, v167 :: v_dual_mul_f32 v128, v5, v2
	v_mul_f32_e32 v2, v6, v2
	v_fma_f32 v4, v15, v11, -v4
	v_add_f32_e32 v125, v125, v169
	s_delay_alu instid0(VALU_DEP_4) | instskip(NEXT) | instid1(VALU_DEP_4)
	v_fmac_f32_e32 v128, v6, v1
	v_fma_f32 v2, v5, v1, -v2
	v_dual_add_f32 v1, v21, v124 :: v_dual_mul_f32 v6, v14, v10
	s_delay_alu instid0(VALU_DEP_4) | instskip(SKIP_1) | instid1(VALU_DEP_3)
	v_add_f32_e32 v22, v125, v22
	v_mul_f32_e32 v125, v13, v10
	v_add_f32_e32 v1, v1, v2
	s_delay_alu instid0(VALU_DEP_3) | instskip(NEXT) | instid1(VALU_DEP_3)
	v_add_f32_e32 v22, v22, v118
	v_fmac_f32_e32 v125, v14, v9
	s_delay_alu instid0(VALU_DEP_3) | instskip(NEXT) | instid1(VALU_DEP_3)
	v_dual_mul_f32 v118, v114, v18 :: v_dual_add_f32 v1, v1, v3
	v_dual_mul_f32 v3, v115, v18 :: v_dual_add_f32 v22, v22, v121
	s_delay_alu instid0(VALU_DEP_2) | instskip(NEXT) | instid1(VALU_DEP_2)
	v_fmac_f32_e32 v118, v115, v17
	v_fma_f32 v3, v114, v17, -v3
	s_delay_alu instid0(VALU_DEP_3) | instskip(NEXT) | instid1(VALU_DEP_1)
	v_add_f32_e32 v5, v22, v122
	v_add_f32_e32 v2, v5, v128
	v_fma_f32 v5, v13, v9, -v6
	s_delay_alu instid0(VALU_DEP_1) | instskip(NEXT) | instid1(VALU_DEP_1)
	v_dual_add_f32 v2, v2, v119 :: v_dual_add_f32 v1, v1, v5
	v_dual_mul_f32 v5, v117, v20 :: v_dual_add_f32 v2, v2, v125
	s_delay_alu instid0(VALU_DEP_2) | instskip(NEXT) | instid1(VALU_DEP_2)
	v_add_f32_e32 v1, v1, v4
	v_fma_f32 v4, v116, v19, -v5
	s_delay_alu instid0(VALU_DEP_2) | instskip(NEXT) | instid1(VALU_DEP_1)
	v_dual_add_f32 v2, v2, v129 :: v_dual_add_f32 v1, v1, v3
	v_dual_add_f32 v2, v2, v118 :: v_dual_add_f32 v1, v1, v4
	s_delay_alu instid0(VALU_DEP_1) | instskip(NEXT) | instid1(VALU_DEP_1)
	v_add_f32_e32 v2, v2, v120
	v_dual_sub_f32 v1, v126, v1 :: v_dual_sub_f32 v2, v127, v2
	scratch_store_b64 off, v[1:2], off offset:16
	v_cmpx_lt_u32_e32 1, v0
	s_cbranch_execz .LBB44_281
; %bb.280:
	scratch_load_b64 v[1:2], off, off offset:8
	v_mov_b32_e32 v3, 0
	s_delay_alu instid0(VALU_DEP_1)
	v_mov_b32_e32 v4, v3
	scratch_store_b64 off, v[3:4], off offset:8
	s_wait_loadcnt 0x0
	ds_store_b64 v23, v[1:2]
.LBB44_281:
	s_wait_alu 0xfffe
	s_or_b32 exec_lo, exec_lo, s0
	s_wait_storecnt_dscnt 0x0
	s_barrier_signal -1
	s_barrier_wait -1
	global_inv scope:SCOPE_SE
	s_clause 0x4
	scratch_load_b128 v[5:8], off, off offset:16
	scratch_load_b128 v[1:4], off, off offset:32
	;; [unrolled: 1-line block ×5, first 2 shown]
	v_mov_b32_e32 v114, 0
	ds_load_b128 v[115:118], v114 offset:384
	ds_load_b128 v[119:122], v114 offset:400
	;; [unrolled: 1-line block ×3, first 2 shown]
	scratch_load_b64 v[21:22], off, off offset:8
	s_mov_b32 s0, exec_lo
	s_wait_loadcnt_dscnt 0x502
	v_mul_f32_e32 v127, v116, v6
	v_dual_mul_f32 v128, v115, v6 :: v_dual_mul_f32 v129, v117, v8
	v_mul_f32_e32 v6, v118, v8
	s_delay_alu instid0(VALU_DEP_3) | instskip(NEXT) | instid1(VALU_DEP_3)
	v_fma_f32 v115, v115, v5, -v127
	v_dual_fmac_f32 v128, v116, v5 :: v_dual_fmac_f32 v129, v118, v7
	s_delay_alu instid0(VALU_DEP_3)
	v_fma_f32 v116, v117, v7, -v6
	ds_load_b128 v[5:8], v114 offset:432
	s_wait_loadcnt_dscnt 0x402
	v_dual_mul_f32 v117, v119, v2 :: v_dual_mul_f32 v118, v121, v4
	s_wait_loadcnt_dscnt 0x301
	v_dual_mul_f32 v127, v123, v10 :: v_dual_mul_f32 v4, v122, v4
	v_mul_f32_e32 v10, v124, v10
	v_mul_f32_e32 v130, v125, v12
	;; [unrolled: 1-line block ×4, first 2 shown]
	v_dual_fmac_f32 v117, v120, v1 :: v_dual_fmac_f32 v118, v122, v3
	v_fma_f32 v120, v121, v3, -v4
	v_fmac_f32_e32 v127, v124, v9
	v_fma_f32 v121, v123, v9, -v10
	v_fmac_f32_e32 v130, v126, v11
	v_fma_f32 v122, v125, v11, -v12
	ds_load_b128 v[9:12], v114 offset:448
	s_wait_loadcnt_dscnt 0x201
	v_mul_f32_e32 v123, v5, v14
	v_mul_f32_e32 v14, v6, v14
	;; [unrolled: 1-line block ×3, first 2 shown]
	s_delay_alu instid0(VALU_DEP_3)
	v_dual_mul_f32 v16, v8, v16 :: v_dual_fmac_f32 v123, v6, v13
	v_fma_f32 v119, v119, v1, -v2
	scratch_load_b128 v[1:4], off, off offset:96
	v_fma_f32 v13, v5, v13, -v14
	v_fmac_f32_e32 v124, v8, v15
	v_fma_f32 v14, v7, v15, -v16
	ds_load_b128 v[5:8], v114 offset:464
	s_wait_loadcnt_dscnt 0x201
	v_mul_f32_e32 v15, v9, v18
	v_mul_f32_e32 v16, v10, v18
	;; [unrolled: 1-line block ×3, first 2 shown]
	s_delay_alu instid0(VALU_DEP_3) | instskip(NEXT) | instid1(VALU_DEP_3)
	v_dual_mul_f32 v20, v12, v20 :: v_dual_fmac_f32 v15, v10, v17
	v_fma_f32 v16, v9, v17, -v16
	s_delay_alu instid0(VALU_DEP_3) | instskip(NEXT) | instid1(VALU_DEP_3)
	v_fmac_f32_e32 v18, v12, v19
	v_fma_f32 v17, v11, v19, -v20
	scratch_load_b128 v[9:12], off, off offset:112
	s_wait_loadcnt_dscnt 0x100
	v_mul_f32_e32 v19, v5, v2
	v_mul_f32_e32 v2, v6, v2
	;; [unrolled: 1-line block ×3, first 2 shown]
	s_delay_alu instid0(VALU_DEP_3) | instskip(NEXT) | instid1(VALU_DEP_3)
	v_dual_mul_f32 v4, v8, v4 :: v_dual_fmac_f32 v19, v6, v1
	v_fma_f32 v125, v5, v1, -v2
	s_delay_alu instid0(VALU_DEP_3) | instskip(NEXT) | instid1(VALU_DEP_3)
	v_fmac_f32_e32 v20, v8, v3
	v_fma_f32 v126, v7, v3, -v4
	ds_load_b128 v[1:4], v114 offset:480
	ds_load_b128 v[5:8], v114 offset:496
	s_wait_loadcnt_dscnt 0x1
	v_mul_f32_e32 v131, v1, v10
	v_mul_f32_e32 v10, v2, v10
	s_delay_alu instid0(VALU_DEP_2) | instskip(NEXT) | instid1(VALU_DEP_2)
	v_dual_mul_f32 v132, v3, v12 :: v_dual_fmac_f32 v131, v2, v9
	v_fma_f32 v133, v1, v9, -v10
	v_mul_f32_e32 v1, v4, v12
	s_delay_alu instid0(VALU_DEP_3) | instskip(NEXT) | instid1(VALU_DEP_2)
	v_fmac_f32_e32 v132, v4, v11
	v_fma_f32 v134, v3, v11, -v1
	s_clause 0x1
	scratch_load_b128 v[1:4], off, off offset:128
	scratch_load_b128 v[9:12], off, off offset:144
	s_wait_loadcnt_dscnt 0x100
	v_mul_f32_e32 v135, v5, v2
	v_dual_mul_f32 v2, v6, v2 :: v_dual_mul_f32 v137, v7, v4
	s_delay_alu instid0(VALU_DEP_2) | instskip(NEXT) | instid1(VALU_DEP_2)
	v_fmac_f32_e32 v135, v6, v1
	v_fma_f32 v136, v5, v1, -v2
	v_mul_f32_e32 v1, v8, v4
	s_delay_alu instid0(VALU_DEP_4) | instskip(NEXT) | instid1(VALU_DEP_2)
	v_fmac_f32_e32 v137, v8, v3
	v_fma_f32 v138, v7, v3, -v1
	ds_load_b128 v[1:4], v114 offset:512
	ds_load_b128 v[5:8], v114 offset:528
	s_wait_loadcnt_dscnt 0x1
	v_mul_f32_e32 v139, v1, v10
	v_mul_f32_e32 v141, v3, v12
	s_delay_alu instid0(VALU_DEP_2) | instskip(NEXT) | instid1(VALU_DEP_2)
	v_fmac_f32_e32 v139, v2, v9
	v_dual_mul_f32 v2, v2, v10 :: v_dual_fmac_f32 v141, v4, v11
	s_delay_alu instid0(VALU_DEP_1) | instskip(SKIP_1) | instid1(VALU_DEP_1)
	v_fma_f32 v140, v1, v9, -v2
	v_mul_f32_e32 v1, v4, v12
	v_fma_f32 v142, v3, v11, -v1
	s_clause 0x1
	scratch_load_b128 v[1:4], off, off offset:160
	scratch_load_b128 v[9:12], off, off offset:176
	s_wait_loadcnt_dscnt 0x100
	v_mul_f32_e32 v143, v5, v2
	v_dual_mul_f32 v145, v7, v4 :: v_dual_mul_f32 v2, v6, v2
	s_delay_alu instid0(VALU_DEP_2) | instskip(NEXT) | instid1(VALU_DEP_2)
	v_fmac_f32_e32 v143, v6, v1
	v_fmac_f32_e32 v145, v8, v3
	s_delay_alu instid0(VALU_DEP_3) | instskip(SKIP_1) | instid1(VALU_DEP_1)
	v_fma_f32 v144, v5, v1, -v2
	v_mul_f32_e32 v1, v8, v4
	v_fma_f32 v146, v7, v3, -v1
	ds_load_b128 v[1:4], v114 offset:544
	ds_load_b128 v[5:8], v114 offset:560
	s_wait_loadcnt_dscnt 0x1
	v_mul_f32_e32 v147, v1, v10
	v_mul_f32_e32 v149, v3, v12
	s_delay_alu instid0(VALU_DEP_2) | instskip(NEXT) | instid1(VALU_DEP_2)
	v_fmac_f32_e32 v147, v2, v9
	v_dual_mul_f32 v2, v2, v10 :: v_dual_fmac_f32 v149, v4, v11
	s_delay_alu instid0(VALU_DEP_1) | instskip(SKIP_1) | instid1(VALU_DEP_1)
	v_fma_f32 v148, v1, v9, -v2
	v_mul_f32_e32 v1, v4, v12
	v_fma_f32 v150, v3, v11, -v1
	s_clause 0x1
	scratch_load_b128 v[1:4], off, off offset:192
	scratch_load_b128 v[9:12], off, off offset:208
	s_wait_loadcnt_dscnt 0x100
	v_mul_f32_e32 v151, v5, v2
	v_dual_mul_f32 v2, v6, v2 :: v_dual_mul_f32 v153, v7, v4
	s_delay_alu instid0(VALU_DEP_2) | instskip(NEXT) | instid1(VALU_DEP_2)
	v_fmac_f32_e32 v151, v6, v1
	v_fma_f32 v152, v5, v1, -v2
	v_mul_f32_e32 v1, v8, v4
	s_delay_alu instid0(VALU_DEP_4) | instskip(NEXT) | instid1(VALU_DEP_2)
	v_fmac_f32_e32 v153, v8, v3
	v_fma_f32 v154, v7, v3, -v1
	ds_load_b128 v[1:4], v114 offset:576
	ds_load_b128 v[5:8], v114 offset:592
	s_wait_loadcnt_dscnt 0x1
	v_mul_f32_e32 v155, v1, v10
	v_mul_f32_e32 v157, v3, v12
	s_delay_alu instid0(VALU_DEP_2) | instskip(NEXT) | instid1(VALU_DEP_2)
	v_fmac_f32_e32 v155, v2, v9
	v_dual_mul_f32 v2, v2, v10 :: v_dual_fmac_f32 v157, v4, v11
	s_delay_alu instid0(VALU_DEP_1) | instskip(SKIP_1) | instid1(VALU_DEP_1)
	v_fma_f32 v156, v1, v9, -v2
	v_mul_f32_e32 v1, v4, v12
	v_fma_f32 v158, v3, v11, -v1
	s_clause 0x1
	scratch_load_b128 v[1:4], off, off offset:224
	scratch_load_b128 v[9:12], off, off offset:240
	s_wait_loadcnt_dscnt 0x100
	v_mul_f32_e32 v159, v5, v2
	v_dual_mul_f32 v2, v6, v2 :: v_dual_mul_f32 v161, v7, v4
	s_delay_alu instid0(VALU_DEP_2) | instskip(NEXT) | instid1(VALU_DEP_2)
	v_fmac_f32_e32 v159, v6, v1
	v_fma_f32 v160, v5, v1, -v2
	v_mul_f32_e32 v1, v8, v4
	s_delay_alu instid0(VALU_DEP_4) | instskip(NEXT) | instid1(VALU_DEP_2)
	v_fmac_f32_e32 v161, v8, v3
	v_fma_f32 v162, v7, v3, -v1
	ds_load_b128 v[1:4], v114 offset:608
	ds_load_b128 v[5:8], v114 offset:624
	s_wait_loadcnt_dscnt 0x1
	v_mul_f32_e32 v163, v1, v10
	v_mul_f32_e32 v165, v3, v12
	s_delay_alu instid0(VALU_DEP_2) | instskip(NEXT) | instid1(VALU_DEP_2)
	v_fmac_f32_e32 v163, v2, v9
	v_dual_mul_f32 v2, v2, v10 :: v_dual_fmac_f32 v165, v4, v11
	s_delay_alu instid0(VALU_DEP_1) | instskip(SKIP_1) | instid1(VALU_DEP_1)
	v_fma_f32 v164, v1, v9, -v2
	v_mul_f32_e32 v1, v4, v12
	v_fma_f32 v166, v3, v11, -v1
	s_clause 0x1
	scratch_load_b128 v[1:4], off, off offset:256
	scratch_load_b128 v[9:12], off, off offset:272
	s_wait_loadcnt_dscnt 0x100
	v_mul_f32_e32 v167, v5, v2
	v_mul_f32_e32 v2, v6, v2
	s_delay_alu instid0(VALU_DEP_1) | instskip(SKIP_1) | instid1(VALU_DEP_1)
	v_fma_f32 v168, v5, v1, -v2
	v_add_f32_e32 v2, 0, v128
	v_add_f32_e32 v2, v2, v129
	s_delay_alu instid0(VALU_DEP_1) | instskip(NEXT) | instid1(VALU_DEP_1)
	v_add_f32_e32 v2, v2, v117
	v_add_f32_e32 v2, v2, v118
	s_delay_alu instid0(VALU_DEP_1) | instskip(NEXT) | instid1(VALU_DEP_1)
	;; [unrolled: 3-line block ×7, first 2 shown]
	v_add_f32_e32 v2, v2, v135
	v_add_f32_e32 v2, v2, v137
	v_fmac_f32_e32 v167, v6, v1
	v_mul_f32_e32 v1, v8, v4
	s_delay_alu instid0(VALU_DEP_3) | instskip(NEXT) | instid1(VALU_DEP_2)
	v_dual_mul_f32 v169, v7, v4 :: v_dual_add_f32 v2, v2, v139
	v_fma_f32 v170, v7, v3, -v1
	v_add_f32_e32 v1, 0, v115
	s_delay_alu instid0(VALU_DEP_3) | instskip(NEXT) | instid1(VALU_DEP_2)
	v_add_f32_e32 v5, v2, v141
	v_add_f32_e32 v1, v1, v116
	s_delay_alu instid0(VALU_DEP_1) | instskip(NEXT) | instid1(VALU_DEP_1)
	v_add_f32_e32 v1, v1, v119
	v_add_f32_e32 v1, v1, v120
	scratch_load_b64 v[119:120], off, off offset:352
	v_add_f32_e32 v1, v1, v121
	s_delay_alu instid0(VALU_DEP_1) | instskip(NEXT) | instid1(VALU_DEP_1)
	v_add_f32_e32 v1, v1, v122
	v_add_f32_e32 v1, v1, v13
	v_add_f32_e32 v13, v5, v143
	s_delay_alu instid0(VALU_DEP_2) | instskip(NEXT) | instid1(VALU_DEP_2)
	v_add_f32_e32 v1, v1, v14
	v_add_f32_e32 v13, v13, v145
	s_delay_alu instid0(VALU_DEP_2) | instskip(NEXT) | instid1(VALU_DEP_1)
	v_add_f32_e32 v1, v1, v16
	v_add_f32_e32 v1, v1, v17
	s_delay_alu instid0(VALU_DEP_1) | instskip(NEXT) | instid1(VALU_DEP_1)
	v_add_f32_e32 v1, v1, v125
	v_add_f32_e32 v1, v1, v126
	s_delay_alu instid0(VALU_DEP_1) | instskip(NEXT) | instid1(VALU_DEP_1)
	;; [unrolled: 3-line block ×4, first 2 shown]
	v_add_f32_e32 v1, v1, v140
	v_add_f32_e32 v1, v1, v142
	s_delay_alu instid0(VALU_DEP_1)
	v_dual_add_f32 v6, v1, v144 :: v_dual_fmac_f32 v169, v8, v3
	scratch_load_b128 v[1:4], off, off offset:288
	v_dual_add_f32 v13, v13, v147 :: v_dual_add_f32 v14, v6, v146
	ds_load_b128 v[5:8], v114 offset:640
	v_add_f32_e32 v18, v13, v149
	v_add_f32_e32 v14, v14, v148
	s_delay_alu instid0(VALU_DEP_1) | instskip(SKIP_2) | instid1(VALU_DEP_1)
	v_add_f32_e32 v17, v14, v150
	ds_load_b128 v[13:16], v114 offset:656
	v_add_f32_e32 v17, v17, v152
	v_add_f32_e32 v17, v17, v154
	s_wait_loadcnt_dscnt 0x201
	v_mul_f32_e32 v123, v5, v10
	v_mul_f32_e32 v10, v6, v10
	;; [unrolled: 1-line block ×4, first 2 shown]
	v_add_f32_e32 v18, v18, v151
	v_fmac_f32_e32 v123, v6, v9
	v_fma_f32 v125, v5, v9, -v10
	v_fmac_f32_e32 v124, v8, v11
	v_fma_f32 v126, v7, v11, -v12
	s_clause 0x1
	scratch_load_b128 v[5:8], off, off offset:304
	scratch_load_b128 v[9:12], off, off offset:320
	v_dual_add_f32 v18, v18, v153 :: v_dual_add_f32 v17, v17, v156
	s_delay_alu instid0(VALU_DEP_1) | instskip(SKIP_2) | instid1(VALU_DEP_1)
	v_dual_add_f32 v115, v18, v155 :: v_dual_add_f32 v116, v17, v158
	scratch_load_b128 v[17:20], off, off offset:336
	v_dual_add_f32 v115, v115, v157 :: v_dual_add_f32 v116, v116, v160
	v_dual_add_f32 v115, v115, v159 :: v_dual_add_f32 v116, v116, v162
	s_delay_alu instid0(VALU_DEP_1) | instskip(SKIP_4) | instid1(VALU_DEP_3)
	v_dual_add_f32 v115, v115, v161 :: v_dual_add_f32 v116, v116, v164
	s_wait_loadcnt_dscnt 0x300
	v_mul_f32_e32 v127, v13, v2
	v_mul_f32_e32 v2, v14, v2
	;; [unrolled: 1-line block ×3, first 2 shown]
	v_dual_mul_f32 v4, v16, v4 :: v_dual_fmac_f32 v127, v14, v1
	s_delay_alu instid0(VALU_DEP_3) | instskip(SKIP_1) | instid1(VALU_DEP_4)
	v_fma_f32 v129, v13, v1, -v2
	v_dual_add_f32 v13, v115, v163 :: v_dual_add_f32 v14, v116, v166
	v_fmac_f32_e32 v128, v16, v3
	s_delay_alu instid0(VALU_DEP_4)
	v_fma_f32 v130, v15, v3, -v4
	ds_load_b128 v[1:4], v114 offset:672
	v_add_f32_e32 v115, v13, v165
	v_add_f32_e32 v121, v14, v168
	ds_load_b128 v[13:16], v114 offset:688
	v_dual_add_f32 v122, v115, v167 :: v_dual_add_f32 v131, v121, v170
	ds_load_b128 v[115:118], v114 offset:704
	v_add_f32_e32 v132, v122, v169
	v_add_f32_e32 v125, v131, v125
	ds_load_b64 v[121:122], v114 offset:720
	v_add_f32_e32 v123, v132, v123
	v_add_f32_e32 v125, v125, v126
	s_delay_alu instid0(VALU_DEP_2) | instskip(SKIP_2) | instid1(VALU_DEP_3)
	v_add_f32_e32 v123, v123, v124
	s_wait_loadcnt_dscnt 0x203
	v_mul_f32_e32 v131, v1, v6
	v_dual_mul_f32 v6, v2, v6 :: v_dual_add_f32 v125, v125, v129
	v_mul_f32_e32 v124, v3, v8
	v_dual_add_f32 v123, v123, v127 :: v_dual_mul_f32 v8, v4, v8
	s_delay_alu instid0(VALU_DEP_3) | instskip(NEXT) | instid1(VALU_DEP_4)
	v_fma_f32 v1, v1, v5, -v6
	v_add_f32_e32 v125, v125, v130
	v_fmac_f32_e32 v131, v2, v5
	s_wait_loadcnt_dscnt 0x102
	v_dual_add_f32 v123, v123, v128 :: v_dual_mul_f32 v126, v13, v10
	v_fmac_f32_e32 v124, v4, v7
	v_fma_f32 v2, v3, v7, -v8
	v_mul_f32_e32 v3, v14, v10
	s_delay_alu instid0(VALU_DEP_4) | instskip(SKIP_2) | instid1(VALU_DEP_4)
	v_dual_add_f32 v1, v125, v1 :: v_dual_add_f32 v4, v123, v131
	v_mul_f32_e32 v127, v15, v12
	v_dual_mul_f32 v5, v16, v12 :: v_dual_fmac_f32 v126, v14, v9
	v_fma_f32 v3, v13, v9, -v3
	s_delay_alu instid0(VALU_DEP_4)
	v_dual_add_f32 v1, v1, v2 :: v_dual_add_f32 v2, v4, v124
	s_wait_loadcnt_dscnt 0x1
	v_mul_f32_e32 v129, v115, v18
	v_mul_f32_e32 v4, v116, v18
	v_fmac_f32_e32 v127, v16, v11
	v_fma_f32 v5, v15, v11, -v5
	v_dual_add_f32 v1, v1, v3 :: v_dual_add_f32 v2, v2, v126
	v_mul_f32_e32 v130, v117, v20
	v_mul_f32_e32 v3, v118, v20
	v_fmac_f32_e32 v129, v116, v17
	v_fma_f32 v4, v115, v17, -v4
	v_dual_add_f32 v1, v1, v5 :: v_dual_add_f32 v2, v2, v127
	s_wait_dscnt 0x0
	v_mul_f32_e32 v128, v121, v120
	v_mul_f32_e32 v5, v122, v120
	v_fmac_f32_e32 v130, v118, v19
	v_fma_f32 v3, v117, v19, -v3
	v_dual_add_f32 v1, v1, v4 :: v_dual_add_f32 v2, v2, v129
	v_fmac_f32_e32 v128, v122, v119
	v_fma_f32 v4, v121, v119, -v5
	s_delay_alu instid0(VALU_DEP_3) | instskip(NEXT) | instid1(VALU_DEP_1)
	v_dual_add_f32 v1, v1, v3 :: v_dual_add_f32 v2, v2, v130
	v_add_f32_e32 v1, v1, v4
	s_delay_alu instid0(VALU_DEP_1) | instskip(NEXT) | instid1(VALU_DEP_1)
	v_dual_add_f32 v2, v2, v128 :: v_dual_sub_f32 v1, v21, v1
	v_sub_f32_e32 v2, v22, v2
	scratch_store_b64 off, v[1:2], off offset:8
	v_cmpx_ne_u32_e32 0, v0
	s_cbranch_execz .LBB44_283
; %bb.282:
	scratch_load_b64 v[0:1], off, off
	v_mov_b32_e32 v115, v114
	scratch_store_b64 off, v[114:115], off
	s_wait_loadcnt 0x0
	ds_store_b64 v23, v[0:1]
.LBB44_283:
	s_wait_alu 0xfffe
	s_or_b32 exec_lo, exec_lo, s0
	s_wait_storecnt_dscnt 0x0
	s_barrier_signal -1
	s_barrier_wait -1
	global_inv scope:SCOPE_SE
	s_clause 0x6
	scratch_load_b128 v[0:3], off, off offset:8
	scratch_load_b128 v[4:7], off, off offset:24
	;; [unrolled: 1-line block ×7, first 2 shown]
	ds_load_2addr_b64 v[119:122], v114 offset0:47 offset1:48
	ds_load_2addr_b64 v[123:126], v114 offset0:49 offset1:50
	scratch_load_b64 v[127:128], off, off
	s_and_b32 vcc_lo, exec_lo, s18
	s_wait_loadcnt_dscnt 0x701
	v_mul_f32_e32 v129, v120, v1
	v_dual_mul_f32 v130, v119, v1 :: v_dual_mul_f32 v131, v121, v3
	s_delay_alu instid0(VALU_DEP_1) | instskip(NEXT) | instid1(VALU_DEP_2)
	v_dual_mul_f32 v1, v122, v3 :: v_dual_fmac_f32 v130, v120, v0
	v_fmac_f32_e32 v131, v122, v2
	s_delay_alu instid0(VALU_DEP_2)
	v_fma_f32 v120, v121, v2, -v1
	s_wait_loadcnt_dscnt 0x600
	v_mul_f32_e32 v122, v125, v7
	v_fma_f32 v119, v119, v0, -v129
	ds_load_2addr_b64 v[0:3], v114 offset0:51 offset1:52
	v_mul_f32_e32 v121, v123, v5
	v_mul_f32_e32 v5, v124, v5
	;; [unrolled: 1-line block ×3, first 2 shown]
	s_delay_alu instid0(VALU_DEP_3) | instskip(NEXT) | instid1(VALU_DEP_3)
	v_dual_fmac_f32 v122, v126, v6 :: v_dual_fmac_f32 v121, v124, v4
	v_fma_f32 v123, v123, v4, -v5
	s_delay_alu instid0(VALU_DEP_3)
	v_fma_f32 v124, v125, v6, -v7
	ds_load_2addr_b64 v[4:7], v114 offset0:53 offset1:54
	s_wait_loadcnt_dscnt 0x501
	v_mul_f32_e32 v125, v0, v9
	v_dual_mul_f32 v9, v1, v9 :: v_dual_mul_f32 v126, v2, v11
	v_mul_f32_e32 v11, v3, v11
	s_delay_alu instid0(VALU_DEP_3) | instskip(NEXT) | instid1(VALU_DEP_3)
	v_fmac_f32_e32 v125, v1, v8
	v_fma_f32 v129, v0, v8, -v9
	s_delay_alu instid0(VALU_DEP_4) | instskip(NEXT) | instid1(VALU_DEP_4)
	v_fmac_f32_e32 v126, v3, v10
	v_fma_f32 v132, v2, v10, -v11
	ds_load_2addr_b64 v[0:3], v114 offset0:55 offset1:56
	s_wait_loadcnt_dscnt 0x401
	v_mul_f32_e32 v133, v4, v13
	v_dual_mul_f32 v8, v5, v13 :: v_dual_mul_f32 v13, v6, v15
	v_mul_f32_e32 v9, v7, v15
	s_delay_alu instid0(VALU_DEP_3) | instskip(NEXT) | instid1(VALU_DEP_3)
	v_fmac_f32_e32 v133, v5, v12
	v_fma_f32 v12, v4, v12, -v8
	s_delay_alu instid0(VALU_DEP_4) | instskip(NEXT) | instid1(VALU_DEP_4)
	v_fmac_f32_e32 v13, v7, v14
	;; [unrolled: 11-line block ×4, first 2 shown]
	v_fma_f32 v22, v6, v22, -v9
	ds_load_2addr_b64 v[4:7], v114 offset0:61 offset1:62
	s_wait_loadcnt_dscnt 0x101
	v_mul_f32_e32 v23, v0, v116
	v_mul_f32_e32 v8, v1, v116
	;; [unrolled: 1-line block ×4, first 2 shown]
	s_delay_alu instid0(VALU_DEP_4) | instskip(NEXT) | instid1(VALU_DEP_4)
	v_fmac_f32_e32 v23, v1, v115
	v_fma_f32 v115, v0, v115, -v8
	s_delay_alu instid0(VALU_DEP_4) | instskip(NEXT) | instid1(VALU_DEP_4)
	v_fmac_f32_e32 v116, v3, v117
	v_fma_f32 v117, v2, v117, -v9
	s_clause 0x1
	scratch_load_b128 v[0:3], off, off offset:120
	scratch_load_b128 v[8:11], off, off offset:136
	s_wait_loadcnt_dscnt 0x100
	v_mul_f32_e32 v118, v4, v1
	v_mul_f32_e32 v1, v5, v1
	s_delay_alu instid0(VALU_DEP_2) | instskip(NEXT) | instid1(VALU_DEP_2)
	v_dual_mul_f32 v135, v6, v3 :: v_dual_fmac_f32 v118, v5, v0
	v_fma_f32 v134, v4, v0, -v1
	v_mul_f32_e32 v0, v7, v3
	s_delay_alu instid0(VALU_DEP_3) | instskip(NEXT) | instid1(VALU_DEP_2)
	v_fmac_f32_e32 v135, v7, v2
	v_fma_f32 v136, v6, v2, -v0
	ds_load_2addr_b64 v[0:3], v114 offset0:63 offset1:64
	ds_load_2addr_b64 v[4:7], v114 offset0:65 offset1:66
	s_wait_loadcnt_dscnt 0x1
	v_mul_f32_e32 v137, v0, v9
	v_mul_f32_e32 v139, v2, v11
	s_delay_alu instid0(VALU_DEP_2) | instskip(SKIP_1) | instid1(VALU_DEP_3)
	v_fmac_f32_e32 v137, v1, v8
	v_mul_f32_e32 v1, v1, v9
	v_fmac_f32_e32 v139, v3, v10
	s_delay_alu instid0(VALU_DEP_2) | instskip(SKIP_1) | instid1(VALU_DEP_1)
	v_fma_f32 v138, v0, v8, -v1
	v_mul_f32_e32 v0, v3, v11
	v_fma_f32 v140, v2, v10, -v0
	s_clause 0x1
	scratch_load_b128 v[0:3], off, off offset:152
	scratch_load_b128 v[8:11], off, off offset:168
	s_wait_loadcnt_dscnt 0x100
	v_mul_f32_e32 v141, v4, v1
	v_mul_f32_e32 v1, v5, v1
	;; [unrolled: 1-line block ×3, first 2 shown]
	s_delay_alu instid0(VALU_DEP_3) | instskip(NEXT) | instid1(VALU_DEP_3)
	v_fmac_f32_e32 v141, v5, v0
	v_fma_f32 v142, v4, v0, -v1
	v_mul_f32_e32 v0, v7, v3
	s_delay_alu instid0(VALU_DEP_1)
	v_fma_f32 v144, v6, v2, -v0
	v_fmac_f32_e32 v143, v7, v2
	ds_load_2addr_b64 v[0:3], v114 offset0:67 offset1:68
	ds_load_2addr_b64 v[4:7], v114 offset0:69 offset1:70
	s_wait_loadcnt_dscnt 0x1
	v_mul_f32_e32 v145, v0, v9
	s_delay_alu instid0(VALU_DEP_1) | instskip(SKIP_2) | instid1(VALU_DEP_2)
	v_fmac_f32_e32 v145, v1, v8
	v_mul_f32_e32 v1, v1, v9
	v_mul_f32_e32 v147, v2, v11
	v_fma_f32 v146, v0, v8, -v1
	v_mul_f32_e32 v0, v3, v11
	s_delay_alu instid0(VALU_DEP_3) | instskip(NEXT) | instid1(VALU_DEP_2)
	v_fmac_f32_e32 v147, v3, v10
	v_fma_f32 v148, v2, v10, -v0
	s_clause 0x1
	scratch_load_b128 v[0:3], off, off offset:184
	scratch_load_b128 v[8:11], off, off offset:200
	s_wait_loadcnt_dscnt 0x100
	v_mul_f32_e32 v151, v6, v3
	v_mul_f32_e32 v149, v4, v1
	s_delay_alu instid0(VALU_DEP_2) | instskip(SKIP_1) | instid1(VALU_DEP_3)
	v_fmac_f32_e32 v151, v7, v2
	v_mul_f32_e32 v1, v5, v1
	v_fmac_f32_e32 v149, v5, v0
	s_delay_alu instid0(VALU_DEP_2) | instskip(SKIP_1) | instid1(VALU_DEP_1)
	v_fma_f32 v150, v4, v0, -v1
	v_mul_f32_e32 v0, v7, v3
	v_fma_f32 v152, v6, v2, -v0
	ds_load_2addr_b64 v[0:3], v114 offset0:71 offset1:72
	ds_load_2addr_b64 v[4:7], v114 offset0:73 offset1:74
	s_wait_loadcnt_dscnt 0x1
	v_mul_f32_e32 v153, v0, v9
	v_mul_f32_e32 v155, v2, v11
	s_delay_alu instid0(VALU_DEP_2) | instskip(SKIP_1) | instid1(VALU_DEP_3)
	v_fmac_f32_e32 v153, v1, v8
	v_mul_f32_e32 v1, v1, v9
	v_fmac_f32_e32 v155, v3, v10
	s_delay_alu instid0(VALU_DEP_2) | instskip(SKIP_1) | instid1(VALU_DEP_1)
	v_fma_f32 v154, v0, v8, -v1
	v_mul_f32_e32 v0, v3, v11
	v_fma_f32 v156, v2, v10, -v0
	s_clause 0x1
	scratch_load_b128 v[0:3], off, off offset:216
	scratch_load_b128 v[8:11], off, off offset:232
	s_wait_loadcnt_dscnt 0x100
	v_mul_f32_e32 v157, v4, v1
	v_mul_f32_e32 v1, v5, v1
	;; [unrolled: 1-line block ×3, first 2 shown]
	s_delay_alu instid0(VALU_DEP_3) | instskip(NEXT) | instid1(VALU_DEP_3)
	v_fmac_f32_e32 v157, v5, v0
	v_fma_f32 v158, v4, v0, -v1
	v_mul_f32_e32 v0, v7, v3
	s_delay_alu instid0(VALU_DEP_4) | instskip(NEXT) | instid1(VALU_DEP_2)
	v_fmac_f32_e32 v159, v7, v2
	v_fma_f32 v160, v6, v2, -v0
	ds_load_2addr_b64 v[0:3], v114 offset0:75 offset1:76
	ds_load_2addr_b64 v[4:7], v114 offset0:77 offset1:78
	s_wait_loadcnt_dscnt 0x1
	v_mul_f32_e32 v161, v0, v9
	v_mul_f32_e32 v163, v2, v11
	s_delay_alu instid0(VALU_DEP_2) | instskip(SKIP_1) | instid1(VALU_DEP_3)
	v_fmac_f32_e32 v161, v1, v8
	v_mul_f32_e32 v1, v1, v9
	v_fmac_f32_e32 v163, v3, v10
	s_delay_alu instid0(VALU_DEP_2) | instskip(SKIP_1) | instid1(VALU_DEP_1)
	v_fma_f32 v162, v0, v8, -v1
	v_mul_f32_e32 v0, v3, v11
	v_fma_f32 v164, v2, v10, -v0
	s_clause 0x1
	scratch_load_b128 v[0:3], off, off offset:248
	scratch_load_b128 v[8:11], off, off offset:264
	s_wait_loadcnt_dscnt 0x100
	v_mul_f32_e32 v165, v4, v1
	v_mul_f32_e32 v1, v5, v1
	s_delay_alu instid0(VALU_DEP_2) | instskip(NEXT) | instid1(VALU_DEP_2)
	v_fmac_f32_e32 v165, v5, v0
	v_fma_f32 v166, v4, v0, -v1
	v_dual_mul_f32 v0, v7, v3 :: v_dual_add_f32 v1, 0, v130
	s_delay_alu instid0(VALU_DEP_1) | instskip(SKIP_1) | instid1(VALU_DEP_1)
	v_fma_f32 v168, v6, v2, -v0
	v_add_f32_e32 v0, 0, v119
	v_dual_add_f32 v1, v1, v131 :: v_dual_add_f32 v0, v0, v120
	s_delay_alu instid0(VALU_DEP_1) | instskip(NEXT) | instid1(VALU_DEP_1)
	v_dual_add_f32 v1, v1, v121 :: v_dual_add_f32 v0, v0, v123
	v_dual_add_f32 v1, v1, v122 :: v_dual_add_f32 v0, v0, v124
	s_delay_alu instid0(VALU_DEP_1) | instskip(NEXT) | instid1(VALU_DEP_1)
	v_add_f32_e32 v1, v1, v125
	v_dual_add_f32 v0, v0, v129 :: v_dual_add_f32 v1, v1, v126
	s_delay_alu instid0(VALU_DEP_1) | instskip(NEXT) | instid1(VALU_DEP_1)
	v_dual_add_f32 v0, v0, v132 :: v_dual_add_f32 v1, v1, v133
	v_dual_add_f32 v0, v0, v12 :: v_dual_add_f32 v1, v1, v13
	s_delay_alu instid0(VALU_DEP_1) | instskip(NEXT) | instid1(VALU_DEP_1)
	v_dual_add_f32 v0, v0, v14 :: v_dual_add_f32 v1, v1, v15
	v_dual_add_f32 v0, v0, v16 :: v_dual_add_f32 v1, v1, v17
	s_delay_alu instid0(VALU_DEP_1) | instskip(NEXT) | instid1(VALU_DEP_1)
	v_dual_add_f32 v0, v0, v18 :: v_dual_add_f32 v1, v1, v19
	v_dual_add_f32 v0, v0, v20 :: v_dual_add_f32 v1, v1, v21
	s_delay_alu instid0(VALU_DEP_1) | instskip(NEXT) | instid1(VALU_DEP_1)
	v_dual_add_f32 v0, v0, v22 :: v_dual_add_f32 v1, v1, v23
	v_dual_add_f32 v0, v0, v115 :: v_dual_add_f32 v1, v1, v116
	s_delay_alu instid0(VALU_DEP_1) | instskip(NEXT) | instid1(VALU_DEP_1)
	v_dual_add_f32 v0, v0, v117 :: v_dual_add_f32 v1, v1, v118
	v_dual_add_f32 v0, v0, v134 :: v_dual_add_f32 v1, v1, v135
	s_delay_alu instid0(VALU_DEP_1) | instskip(NEXT) | instid1(VALU_DEP_1)
	v_dual_add_f32 v0, v0, v136 :: v_dual_add_f32 v1, v1, v137
	v_dual_add_f32 v0, v0, v138 :: v_dual_add_f32 v5, v1, v139
	s_delay_alu instid0(VALU_DEP_1) | instskip(NEXT) | instid1(VALU_DEP_1)
	v_dual_add_f32 v4, v0, v140 :: v_dual_add_f32 v13, v5, v141
	v_add_f32_e32 v12, v4, v142
	s_delay_alu instid0(VALU_DEP_1) | instskip(NEXT) | instid1(VALU_DEP_1)
	v_dual_add_f32 v12, v12, v144 :: v_dual_add_f32 v13, v13, v143
	v_add_f32_e32 v12, v12, v146
	s_delay_alu instid0(VALU_DEP_1) | instskip(NEXT) | instid1(VALU_DEP_1)
	v_dual_add_f32 v16, v13, v145 :: v_dual_add_f32 v17, v12, v148
	v_add_f32_e32 v16, v16, v147
	ds_load_2addr_b64 v[12:15], v114 offset0:81 offset1:82
	v_dual_add_f32 v17, v17, v150 :: v_dual_add_f32 v16, v16, v149
	s_delay_alu instid0(VALU_DEP_1) | instskip(NEXT) | instid1(VALU_DEP_1)
	v_dual_add_f32 v17, v17, v152 :: v_dual_add_f32 v16, v16, v151
	v_dual_add_f32 v17, v17, v154 :: v_dual_add_f32 v16, v16, v153
	s_delay_alu instid0(VALU_DEP_1)
	v_dual_add_f32 v20, v17, v156 :: v_dual_add_f32 v21, v16, v155
	scratch_load_b128 v[16:19], off, off offset:328
	v_dual_add_f32 v115, v20, v158 :: v_dual_add_f32 v116, v21, v157
	scratch_load_b128 v[20:23], off, off offset:344
	v_mul_f32_e32 v167, v6, v3
	v_dual_add_f32 v115, v115, v160 :: v_dual_add_f32 v116, v116, v159
	s_delay_alu instid0(VALU_DEP_2)
	v_fmac_f32_e32 v167, v7, v2
	scratch_load_b128 v[4:7], off, off offset:280
	ds_load_2addr_b64 v[0:3], v114 offset0:79 offset1:80
	v_dual_add_f32 v115, v115, v162 :: v_dual_add_f32 v116, v116, v161
	s_wait_loadcnt_dscnt 0x300
	v_mul_f32_e32 v123, v0, v9
	v_dual_mul_f32 v9, v1, v9 :: v_dual_mul_f32 v124, v2, v11
	v_mul_f32_e32 v11, v3, v11
	s_delay_alu instid0(VALU_DEP_3) | instskip(NEXT) | instid1(VALU_DEP_3)
	v_fmac_f32_e32 v123, v1, v8
	v_fma_f32 v119, v0, v8, -v9
	s_delay_alu instid0(VALU_DEP_4) | instskip(NEXT) | instid1(VALU_DEP_4)
	v_fmac_f32_e32 v124, v3, v10
	v_fma_f32 v125, v2, v10, -v11
	s_clause 0x1
	scratch_load_b128 v[0:3], off, off offset:296
	scratch_load_b128 v[8:11], off, off offset:312
	s_wait_loadcnt 0x2
	v_mul_f32_e32 v126, v12, v5
	v_mul_f32_e32 v5, v13, v5
	v_mul_f32_e32 v129, v14, v7
	s_delay_alu instid0(VALU_DEP_3) | instskip(NEXT) | instid1(VALU_DEP_3)
	v_dual_mul_f32 v7, v15, v7 :: v_dual_fmac_f32 v126, v13, v4
	v_fma_f32 v130, v12, v4, -v5
	v_dual_add_f32 v12, v115, v164 :: v_dual_add_f32 v115, v116, v163
	s_delay_alu instid0(VALU_DEP_4) | instskip(NEXT) | instid1(VALU_DEP_4)
	v_fmac_f32_e32 v129, v15, v6
	v_fma_f32 v131, v14, v6, -v7
	ds_load_2addr_b64 v[4:7], v114 offset0:83 offset1:84
	v_dual_add_f32 v116, v12, v166 :: v_dual_add_f32 v115, v115, v165
	ds_load_2addr_b64 v[12:15], v114 offset0:85 offset1:86
	v_add_f32_e32 v120, v116, v168
	v_add_f32_e32 v132, v115, v167
	ds_load_2addr_b64 v[115:118], v114 offset0:87 offset1:88
	v_add_f32_e32 v133, v120, v119
	ds_load_2addr_b64 v[119:122], v114 offset0:89 offset1:90
	v_dual_add_f32 v114, v132, v123 :: v_dual_add_f32 v125, v133, v125
	s_wait_loadcnt_dscnt 0x103
	s_delay_alu instid0(VALU_DEP_1) | instskip(SKIP_1) | instid1(VALU_DEP_3)
	v_dual_add_f32 v114, v114, v124 :: v_dual_mul_f32 v123, v4, v1
	v_mul_f32_e32 v1, v5, v1
	v_add_f32_e32 v124, v125, v130
	s_delay_alu instid0(VALU_DEP_3)
	v_add_f32_e32 v114, v114, v126
	v_mul_f32_e32 v132, v6, v3
	v_mul_f32_e32 v3, v7, v3
	v_fmac_f32_e32 v123, v5, v0
	v_fma_f32 v0, v4, v0, -v1
	v_dual_add_f32 v4, v124, v131 :: v_dual_add_f32 v5, v114, v129
	s_wait_loadcnt_dscnt 0x2
	v_dual_mul_f32 v125, v12, v9 :: v_dual_fmac_f32 v132, v7, v2
	v_fma_f32 v1, v6, v2, -v3
	s_delay_alu instid0(VALU_DEP_3)
	v_dual_mul_f32 v7, v13, v9 :: v_dual_add_f32 v0, v4, v0
	v_add_f32_e32 v4, v5, v123
	v_mul_f32_e32 v126, v14, v11
	v_mul_f32_e32 v5, v15, v11
	v_fmac_f32_e32 v125, v13, v8
	v_fma_f32 v7, v12, v8, -v7
	v_add_f32_e32 v0, v0, v1
	s_wait_dscnt 0x1
	v_dual_add_f32 v1, v4, v132 :: v_dual_mul_f32 v2, v115, v17
	v_mul_f32_e32 v4, v116, v17
	v_fmac_f32_e32 v126, v15, v10
	v_fma_f32 v5, v14, v10, -v5
	s_delay_alu instid0(VALU_DEP_4) | instskip(SKIP_3) | instid1(VALU_DEP_4)
	v_dual_add_f32 v0, v0, v7 :: v_dual_add_f32 v1, v1, v125
	v_mul_f32_e32 v3, v117, v19
	v_dual_mul_f32 v7, v118, v19 :: v_dual_fmac_f32 v2, v116, v16
	v_fma_f32 v4, v115, v16, -v4
	v_dual_add_f32 v0, v0, v5 :: v_dual_add_f32 v1, v1, v126
	s_wait_dscnt 0x0
	v_mul_f32_e32 v6, v119, v21
	v_mul_f32_e32 v5, v120, v21
	v_fmac_f32_e32 v3, v118, v18
	v_fma_f32 v7, v117, v18, -v7
	v_dual_add_f32 v0, v0, v4 :: v_dual_add_f32 v1, v1, v2
	v_mul_f32_e32 v9, v121, v23
	v_mul_f32_e32 v2, v122, v23
	v_fmac_f32_e32 v6, v120, v20
	v_fma_f32 v4, v119, v20, -v5
	v_add_f32_e32 v0, v0, v7
	v_add_f32_e32 v1, v1, v3
	v_fmac_f32_e32 v9, v122, v22
	v_fma_f32 v2, v121, v22, -v2
	s_delay_alu instid0(VALU_DEP_3) | instskip(NEXT) | instid1(VALU_DEP_1)
	v_dual_add_f32 v0, v0, v4 :: v_dual_add_f32 v1, v1, v6
	v_dual_add_f32 v0, v0, v2 :: v_dual_add_f32 v1, v1, v9
	s_delay_alu instid0(VALU_DEP_1)
	v_dual_sub_f32 v0, v127, v0 :: v_dual_sub_f32 v1, v128, v1
	scratch_store_b64 off, v[0:1], off
	s_wait_alu 0xfffe
	s_cbranch_vccz .LBB44_372
; %bb.284:
	v_mov_b32_e32 v0, 0
	global_load_b32 v1, v0, s[2:3] offset:172
	s_wait_loadcnt 0x0
	v_cmp_ne_u32_e32 vcc_lo, 44, v1
	s_cbranch_vccz .LBB44_286
; %bb.285:
	v_lshlrev_b32_e32 v1, 3, v1
	s_delay_alu instid0(VALU_DEP_1)
	v_mov_b32_e32 v5, v1
	scratch_load_b64 v[1:2], v5, off offset:-8
	scratch_load_b64 v[3:4], off, off offset:344
	s_wait_loadcnt 0x1
	scratch_store_b64 off, v[1:2], off offset:344
	s_wait_loadcnt 0x0
	scratch_store_b64 v5, v[3:4], off offset:-8
.LBB44_286:
	global_load_b32 v0, v0, s[2:3] offset:168
	s_wait_loadcnt 0x0
	v_cmp_eq_u32_e32 vcc_lo, 43, v0
	s_cbranch_vccnz .LBB44_288
; %bb.287:
	v_lshlrev_b32_e32 v0, 3, v0
	s_delay_alu instid0(VALU_DEP_1)
	v_mov_b32_e32 v4, v0
	scratch_load_b64 v[0:1], v4, off offset:-8
	scratch_load_b64 v[2:3], off, off offset:336
	s_wait_loadcnt 0x1
	scratch_store_b64 off, v[0:1], off offset:336
	s_wait_loadcnt 0x0
	scratch_store_b64 v4, v[2:3], off offset:-8
.LBB44_288:
	v_mov_b32_e32 v0, 0
	global_load_b32 v1, v0, s[2:3] offset:164
	s_wait_loadcnt 0x0
	v_cmp_eq_u32_e32 vcc_lo, 42, v1
	s_cbranch_vccnz .LBB44_290
; %bb.289:
	v_lshlrev_b32_e32 v1, 3, v1
	s_delay_alu instid0(VALU_DEP_1)
	v_mov_b32_e32 v5, v1
	scratch_load_b64 v[1:2], v5, off offset:-8
	scratch_load_b64 v[3:4], off, off offset:328
	s_wait_loadcnt 0x1
	scratch_store_b64 off, v[1:2], off offset:328
	s_wait_loadcnt 0x0
	scratch_store_b64 v5, v[3:4], off offset:-8
.LBB44_290:
	global_load_b32 v0, v0, s[2:3] offset:160
	s_wait_loadcnt 0x0
	v_cmp_eq_u32_e32 vcc_lo, 41, v0
	s_cbranch_vccnz .LBB44_292
; %bb.291:
	v_lshlrev_b32_e32 v0, 3, v0
	s_delay_alu instid0(VALU_DEP_1)
	v_mov_b32_e32 v4, v0
	scratch_load_b64 v[0:1], v4, off offset:-8
	scratch_load_b64 v[2:3], off, off offset:320
	s_wait_loadcnt 0x1
	scratch_store_b64 off, v[0:1], off offset:320
	s_wait_loadcnt 0x0
	scratch_store_b64 v4, v[2:3], off offset:-8
.LBB44_292:
	v_mov_b32_e32 v0, 0
	global_load_b32 v1, v0, s[2:3] offset:156
	s_wait_loadcnt 0x0
	v_cmp_eq_u32_e32 vcc_lo, 40, v1
	s_cbranch_vccnz .LBB44_294
; %bb.293:
	v_lshlrev_b32_e32 v1, 3, v1
	s_delay_alu instid0(VALU_DEP_1)
	v_mov_b32_e32 v5, v1
	scratch_load_b64 v[1:2], v5, off offset:-8
	scratch_load_b64 v[3:4], off, off offset:312
	s_wait_loadcnt 0x1
	scratch_store_b64 off, v[1:2], off offset:312
	s_wait_loadcnt 0x0
	scratch_store_b64 v5, v[3:4], off offset:-8
.LBB44_294:
	;; [unrolled: 31-line block ×21, first 2 shown]
	global_load_b32 v0, v0, s[2:3]
	s_wait_loadcnt 0x0
	v_cmp_eq_u32_e32 vcc_lo, 1, v0
	s_cbranch_vccnz .LBB44_372
; %bb.371:
	v_lshlrev_b32_e32 v0, 3, v0
	s_delay_alu instid0(VALU_DEP_1)
	v_mov_b32_e32 v4, v0
	scratch_load_b64 v[0:1], v4, off offset:-8
	scratch_load_b64 v[2:3], off, off
	s_wait_loadcnt 0x1
	scratch_store_b64 off, v[0:1], off
	s_wait_loadcnt 0x0
	scratch_store_b64 v4, v[2:3], off offset:-8
.LBB44_372:
	s_clause 0x16
	scratch_load_b128 v[0:3], off, off
	scratch_load_b128 v[4:7], off, off offset:16
	scratch_load_b128 v[8:11], off, off offset:32
	scratch_load_b128 v[12:15], off, off offset:48
	scratch_load_b128 v[16:19], off, off offset:64
	scratch_load_b128 v[20:23], off, off offset:80
	scratch_load_b128 v[114:117], off, off offset:96
	scratch_load_b128 v[118:121], off, off offset:112
	scratch_load_b128 v[122:125], off, off offset:128
	scratch_load_b128 v[126:129], off, off offset:144
	scratch_load_b128 v[130:133], off, off offset:160
	scratch_load_b128 v[134:137], off, off offset:176
	scratch_load_b128 v[138:141], off, off offset:192
	scratch_load_b128 v[142:145], off, off offset:208
	scratch_load_b128 v[146:149], off, off offset:224
	scratch_load_b128 v[150:153], off, off offset:240
	scratch_load_b128 v[154:157], off, off offset:256
	scratch_load_b128 v[158:161], off, off offset:272
	scratch_load_b128 v[162:165], off, off offset:288
	scratch_load_b128 v[166:169], off, off offset:304
	scratch_load_b128 v[170:173], off, off offset:320
	scratch_load_b128 v[174:177], off, off offset:336
	scratch_load_b64 v[178:179], off, off offset:352
	s_wait_loadcnt 0x16
	s_clause 0x1
	global_store_b64 v[24:25], v[0:1], off
	global_store_b64 v[26:27], v[2:3], off
	s_wait_loadcnt 0x15
	s_clause 0x1
	global_store_b64 v[28:29], v[4:5], off
	global_store_b64 v[30:31], v[6:7], off
	;; [unrolled: 4-line block ×22, first 2 shown]
	s_wait_loadcnt 0x0
	global_store_b64 v[112:113], v[178:179], off
	s_nop 0
	s_sendmsg sendmsg(MSG_DEALLOC_VGPRS)
	s_endpgm
	.section	.rodata,"a",@progbits
	.p2align	6, 0x0
	.amdhsa_kernel _ZN9rocsolver6v33100L18getri_kernel_smallILi45E19rocblas_complex_numIfEPS3_EEvT1_iilPiilS6_bb
		.amdhsa_group_segment_fixed_size 728
		.amdhsa_private_segment_fixed_size 368
		.amdhsa_kernarg_size 60
		.amdhsa_user_sgpr_count 2
		.amdhsa_user_sgpr_dispatch_ptr 0
		.amdhsa_user_sgpr_queue_ptr 0
		.amdhsa_user_sgpr_kernarg_segment_ptr 1
		.amdhsa_user_sgpr_dispatch_id 0
		.amdhsa_user_sgpr_private_segment_size 0
		.amdhsa_wavefront_size32 1
		.amdhsa_uses_dynamic_stack 0
		.amdhsa_enable_private_segment 1
		.amdhsa_system_sgpr_workgroup_id_x 1
		.amdhsa_system_sgpr_workgroup_id_y 0
		.amdhsa_system_sgpr_workgroup_id_z 0
		.amdhsa_system_sgpr_workgroup_info 0
		.amdhsa_system_vgpr_workitem_id 0
		.amdhsa_next_free_vgpr 254
		.amdhsa_next_free_sgpr 19
		.amdhsa_reserve_vcc 1
		.amdhsa_float_round_mode_32 0
		.amdhsa_float_round_mode_16_64 0
		.amdhsa_float_denorm_mode_32 3
		.amdhsa_float_denorm_mode_16_64 3
		.amdhsa_fp16_overflow 0
		.amdhsa_workgroup_processor_mode 1
		.amdhsa_memory_ordered 1
		.amdhsa_forward_progress 1
		.amdhsa_inst_pref_size 255
		.amdhsa_round_robin_scheduling 0
		.amdhsa_exception_fp_ieee_invalid_op 0
		.amdhsa_exception_fp_denorm_src 0
		.amdhsa_exception_fp_ieee_div_zero 0
		.amdhsa_exception_fp_ieee_overflow 0
		.amdhsa_exception_fp_ieee_underflow 0
		.amdhsa_exception_fp_ieee_inexact 0
		.amdhsa_exception_int_div_zero 0
	.end_amdhsa_kernel
	.section	.text._ZN9rocsolver6v33100L18getri_kernel_smallILi45E19rocblas_complex_numIfEPS3_EEvT1_iilPiilS6_bb,"axG",@progbits,_ZN9rocsolver6v33100L18getri_kernel_smallILi45E19rocblas_complex_numIfEPS3_EEvT1_iilPiilS6_bb,comdat
.Lfunc_end44:
	.size	_ZN9rocsolver6v33100L18getri_kernel_smallILi45E19rocblas_complex_numIfEPS3_EEvT1_iilPiilS6_bb, .Lfunc_end44-_ZN9rocsolver6v33100L18getri_kernel_smallILi45E19rocblas_complex_numIfEPS3_EEvT1_iilPiilS6_bb
                                        ; -- End function
	.set _ZN9rocsolver6v33100L18getri_kernel_smallILi45E19rocblas_complex_numIfEPS3_EEvT1_iilPiilS6_bb.num_vgpr, 254
	.set _ZN9rocsolver6v33100L18getri_kernel_smallILi45E19rocblas_complex_numIfEPS3_EEvT1_iilPiilS6_bb.num_agpr, 0
	.set _ZN9rocsolver6v33100L18getri_kernel_smallILi45E19rocblas_complex_numIfEPS3_EEvT1_iilPiilS6_bb.numbered_sgpr, 19
	.set _ZN9rocsolver6v33100L18getri_kernel_smallILi45E19rocblas_complex_numIfEPS3_EEvT1_iilPiilS6_bb.num_named_barrier, 0
	.set _ZN9rocsolver6v33100L18getri_kernel_smallILi45E19rocblas_complex_numIfEPS3_EEvT1_iilPiilS6_bb.private_seg_size, 368
	.set _ZN9rocsolver6v33100L18getri_kernel_smallILi45E19rocblas_complex_numIfEPS3_EEvT1_iilPiilS6_bb.uses_vcc, 1
	.set _ZN9rocsolver6v33100L18getri_kernel_smallILi45E19rocblas_complex_numIfEPS3_EEvT1_iilPiilS6_bb.uses_flat_scratch, 1
	.set _ZN9rocsolver6v33100L18getri_kernel_smallILi45E19rocblas_complex_numIfEPS3_EEvT1_iilPiilS6_bb.has_dyn_sized_stack, 0
	.set _ZN9rocsolver6v33100L18getri_kernel_smallILi45E19rocblas_complex_numIfEPS3_EEvT1_iilPiilS6_bb.has_recursion, 0
	.set _ZN9rocsolver6v33100L18getri_kernel_smallILi45E19rocblas_complex_numIfEPS3_EEvT1_iilPiilS6_bb.has_indirect_call, 0
	.section	.AMDGPU.csdata,"",@progbits
; Kernel info:
; codeLenInByte = 70716
; TotalNumSgprs: 21
; NumVgprs: 254
; ScratchSize: 368
; MemoryBound: 0
; FloatMode: 240
; IeeeMode: 1
; LDSByteSize: 728 bytes/workgroup (compile time only)
; SGPRBlocks: 0
; VGPRBlocks: 31
; NumSGPRsForWavesPerEU: 21
; NumVGPRsForWavesPerEU: 254
; Occupancy: 5
; WaveLimiterHint : 1
; COMPUTE_PGM_RSRC2:SCRATCH_EN: 1
; COMPUTE_PGM_RSRC2:USER_SGPR: 2
; COMPUTE_PGM_RSRC2:TRAP_HANDLER: 0
; COMPUTE_PGM_RSRC2:TGID_X_EN: 1
; COMPUTE_PGM_RSRC2:TGID_Y_EN: 0
; COMPUTE_PGM_RSRC2:TGID_Z_EN: 0
; COMPUTE_PGM_RSRC2:TIDIG_COMP_CNT: 0
	.section	.text._ZN9rocsolver6v33100L18getri_kernel_smallILi46E19rocblas_complex_numIfEPS3_EEvT1_iilPiilS6_bb,"axG",@progbits,_ZN9rocsolver6v33100L18getri_kernel_smallILi46E19rocblas_complex_numIfEPS3_EEvT1_iilPiilS6_bb,comdat
	.globl	_ZN9rocsolver6v33100L18getri_kernel_smallILi46E19rocblas_complex_numIfEPS3_EEvT1_iilPiilS6_bb ; -- Begin function _ZN9rocsolver6v33100L18getri_kernel_smallILi46E19rocblas_complex_numIfEPS3_EEvT1_iilPiilS6_bb
	.p2align	8
	.type	_ZN9rocsolver6v33100L18getri_kernel_smallILi46E19rocblas_complex_numIfEPS3_EEvT1_iilPiilS6_bb,@function
_ZN9rocsolver6v33100L18getri_kernel_smallILi46E19rocblas_complex_numIfEPS3_EEvT1_iilPiilS6_bb: ; @_ZN9rocsolver6v33100L18getri_kernel_smallILi46E19rocblas_complex_numIfEPS3_EEvT1_iilPiilS6_bb
; %bb.0:
	s_mov_b32 s2, exec_lo
	v_cmpx_gt_u32_e32 46, v0
	s_cbranch_execz .LBB45_198
; %bb.1:
	s_clause 0x2
	s_load_b32 s2, s[0:1], 0x38
	s_load_b128 s[12:15], s[0:1], 0x10
	s_load_b128 s[4:7], s[0:1], 0x28
	s_mov_b32 s16, ttmp9
	s_wait_kmcnt 0x0
	s_bitcmp1_b32 s2, 8
	s_cselect_b32 s18, -1, 0
	s_bfe_u32 s2, s2, 0x10008
	s_ashr_i32 s17, ttmp9, 31
	s_cmp_eq_u32 s2, 0
                                        ; implicit-def: $sgpr2_sgpr3
	s_cbranch_scc1 .LBB45_3
; %bb.2:
	s_load_b32 s2, s[0:1], 0x20
	s_mul_u64 s[4:5], s[4:5], s[16:17]
	s_delay_alu instid0(SALU_CYCLE_1) | instskip(NEXT) | instid1(SALU_CYCLE_1)
	s_lshl_b64 s[4:5], s[4:5], 2
	s_add_nc_u64 s[4:5], s[14:15], s[4:5]
	s_wait_kmcnt 0x0
	s_ashr_i32 s3, s2, 31
	s_delay_alu instid0(SALU_CYCLE_1) | instskip(NEXT) | instid1(SALU_CYCLE_1)
	s_lshl_b64 s[2:3], s[2:3], 2
	s_add_nc_u64 s[2:3], s[4:5], s[2:3]
.LBB45_3:
	s_clause 0x1
	s_load_b128 s[8:11], s[0:1], 0x0
	s_load_b32 s4, s[0:1], 0x38
	s_mul_u64 s[0:1], s[12:13], s[16:17]
	v_lshlrev_b32_e32 v13, 3, v0
	s_lshl_b64 s[0:1], s[0:1], 3
	s_wait_kmcnt 0x0
	v_add3_u32 v3, s11, s11, v0
	s_ashr_i32 s13, s10, 31
	s_mov_b32 s12, s10
	s_add_nc_u64 s[0:1], s[8:9], s[0:1]
	s_lshl_b64 s[12:13], s[12:13], 3
	v_add_nc_u32_e32 v5, s11, v3
	v_ashrrev_i32_e32 v4, 31, v3
	s_add_nc_u64 s[0:1], s[0:1], s[12:13]
	s_ashr_i32 s9, s11, 31
	v_add_co_u32 v28, s5, s0, v13
	v_add_nc_u32_e32 v7, s11, v5
	s_mov_b32 s8, s11
	v_lshlrev_b64_e32 v[3:4], 3, v[3:4]
	v_add_co_ci_u32_e64 v29, null, s1, 0, s5
	s_delay_alu instid0(VALU_DEP_3) | instskip(SKIP_3) | instid1(VALU_DEP_1)
	v_add_nc_u32_e32 v9, s11, v7
	s_lshl_b64 s[8:9], s[8:9], 3
	v_ashrrev_i32_e32 v6, 31, v5
	v_add_co_u32 v30, vcc_lo, v28, s8
	v_add_co_ci_u32_e64 v31, null, s9, v29, vcc_lo
	v_add_co_u32 v32, vcc_lo, s0, v3
	v_add_nc_u32_e32 v3, s11, v9
	v_lshlrev_b64_e32 v[5:6], 3, v[5:6]
	v_ashrrev_i32_e32 v8, 31, v7
	v_ashrrev_i32_e32 v10, 31, v9
	s_wait_alu 0xfffd
	v_add_co_ci_u32_e64 v33, null, s1, v4, vcc_lo
	v_add_nc_u32_e32 v11, s11, v3
	v_ashrrev_i32_e32 v4, 31, v3
	v_lshlrev_b64_e32 v[7:8], 3, v[7:8]
	v_add_co_u32 v34, vcc_lo, s0, v5
	s_wait_alu 0xfffd
	v_add_co_ci_u32_e64 v35, null, s1, v6, vcc_lo
	v_lshlrev_b64_e32 v[5:6], 3, v[9:10]
	v_add_nc_u32_e32 v16, s11, v11
	v_lshlrev_b64_e32 v[14:15], 3, v[3:4]
	v_ashrrev_i32_e32 v12, 31, v11
	v_add_co_u32 v36, vcc_lo, s0, v7
	s_delay_alu instid0(VALU_DEP_4)
	v_ashrrev_i32_e32 v17, 31, v16
	v_add_nc_u32_e32 v18, s11, v16
	s_wait_alu 0xfffd
	v_add_co_ci_u32_e64 v37, null, s1, v8, vcc_lo
	v_add_co_u32 v38, vcc_lo, s0, v5
	v_lshlrev_b64_e32 v[11:12], 3, v[11:12]
	s_wait_alu 0xfffd
	v_add_co_ci_u32_e64 v39, null, s1, v6, vcc_lo
	v_add_co_u32 v40, vcc_lo, s0, v14
	s_wait_alu 0xfffd
	v_add_co_ci_u32_e64 v41, null, s1, v15, vcc_lo
	v_lshlrev_b64_e32 v[14:15], 3, v[16:17]
	v_ashrrev_i32_e32 v19, 31, v18
	v_add_nc_u32_e32 v16, s11, v18
	v_add_co_u32 v42, vcc_lo, s0, v11
	s_wait_alu 0xfffd
	v_add_co_ci_u32_e64 v43, null, s1, v12, vcc_lo
	v_lshlrev_b64_e32 v[11:12], 3, v[18:19]
	v_ashrrev_i32_e32 v17, 31, v16
	v_add_nc_u32_e32 v18, s11, v16
	;; [unrolled: 6-line block ×24, first 2 shown]
	v_add_co_u32 v88, vcc_lo, s0, v14
	s_wait_alu 0xfffd
	v_add_co_ci_u32_e64 v89, null, s1, v15, vcc_lo
	v_lshlrev_b64_e32 v[14:15], 3, v[16:17]
	v_add_nc_u32_e32 v16, s11, v18
	v_ashrrev_i32_e32 v19, 31, v18
	v_add_co_u32 v90, vcc_lo, s0, v11
	s_wait_alu 0xfffd
	v_add_co_ci_u32_e64 v91, null, s1, v12, vcc_lo
	v_add_nc_u32_e32 v26, s11, v16
	v_lshlrev_b64_e32 v[11:12], 3, v[18:19]
	v_add_co_u32 v92, vcc_lo, s0, v14
	s_wait_alu 0xfffd
	v_add_co_ci_u32_e64 v93, null, s1, v15, vcc_lo
	v_ashrrev_i32_e32 v27, 31, v26
	s_delay_alu instid0(VALU_DEP_4) | instskip(SKIP_2) | instid1(VALU_DEP_3)
	v_add_co_u32 v94, vcc_lo, s0, v11
	s_wait_alu 0xfffd
	v_add_co_ci_u32_e64 v95, null, s1, v12, vcc_lo
	v_lshlrev_b64_e32 v[11:12], 3, v[26:27]
	v_add_nc_u32_e32 v26, s11, v26
	v_ashrrev_i32_e32 v17, 31, v16
	s_clause 0x4
	global_load_b64 v[1:2], v13, s[0:1]
	global_load_b64 v[3:4], v[30:31], off
	global_load_b64 v[5:6], v[32:33], off
	;; [unrolled: 1-line block ×4, first 2 shown]
	s_bitcmp0_b32 s4, 0
	v_add_nc_u32_e32 v102, s11, v26
	v_ashrrev_i32_e32 v27, 31, v26
	v_lshlrev_b64_e32 v[14:15], 3, v[16:17]
	s_delay_alu instid0(VALU_DEP_3) | instskip(NEXT) | instid1(VALU_DEP_3)
	v_add_nc_u32_e32 v104, s11, v102
	v_lshlrev_b64_e32 v[26:27], 3, v[26:27]
	v_ashrrev_i32_e32 v103, 31, v102
	s_delay_alu instid0(VALU_DEP_4)
	v_add_co_u32 v96, vcc_lo, s0, v14
	s_wait_alu 0xfffd
	v_add_co_ci_u32_e64 v97, null, s1, v15, vcc_lo
	v_add_co_u32 v98, vcc_lo, s0, v11
	v_add_nc_u32_e32 v106, s11, v104
	s_wait_alu 0xfffd
	v_add_co_ci_u32_e64 v99, null, s1, v12, vcc_lo
	v_add_co_u32 v100, vcc_lo, s0, v26
	s_wait_alu 0xfffd
	v_add_co_ci_u32_e64 v101, null, s1, v27, vcc_lo
	v_lshlrev_b64_e32 v[26:27], 3, v[102:103]
	v_ashrrev_i32_e32 v105, 31, v104
	v_add_nc_u32_e32 v108, s11, v106
	v_ashrrev_i32_e32 v107, 31, v106
	s_clause 0x13
	global_load_b64 v[11:12], v[38:39], off
	global_load_b64 v[14:15], v[40:41], off
	;; [unrolled: 1-line block ×20, first 2 shown]
	v_lshlrev_b64_e32 v[104:105], 3, v[104:105]
	v_add_co_u32 v102, vcc_lo, s0, v26
	v_ashrrev_i32_e32 v109, 31, v108
	s_wait_alu 0xfffd
	v_add_co_ci_u32_e64 v103, null, s1, v27, vcc_lo
	v_lshlrev_b64_e32 v[26:27], 3, v[106:107]
	v_add_nc_u32_e32 v111, s11, v108
	v_lshlrev_b64_e32 v[109:110], 3, v[108:109]
	v_add_co_u32 v104, vcc_lo, s0, v104
	s_wait_alu 0xfffd
	v_add_co_ci_u32_e64 v105, null, s1, v105, vcc_lo
	v_add_co_u32 v106, vcc_lo, s0, v26
	v_ashrrev_i32_e32 v112, 31, v111
	v_add_nc_u32_e32 v26, s11, v111
	s_wait_alu 0xfffd
	v_add_co_ci_u32_e64 v107, null, s1, v27, vcc_lo
	v_add_co_u32 v108, vcc_lo, s0, v109
	s_wait_alu 0xfffd
	v_add_co_ci_u32_e64 v109, null, s1, v110, vcc_lo
	v_lshlrev_b64_e32 v[110:111], 3, v[111:112]
	v_add_nc_u32_e32 v112, s11, v26
	v_ashrrev_i32_e32 v27, 31, v26
	s_clause 0xb
	global_load_b64 v[146:147], v[78:79], off
	global_load_b64 v[148:149], v[80:81], off
	;; [unrolled: 1-line block ×12, first 2 shown]
	v_add_nc_u32_e32 v114, s11, v112
	v_lshlrev_b64_e32 v[26:27], 3, v[26:27]
	v_ashrrev_i32_e32 v113, 31, v112
	v_add_co_u32 v110, vcc_lo, s0, v110
	s_delay_alu instid0(VALU_DEP_4)
	v_add_nc_u32_e32 v118, s11, v114
	v_ashrrev_i32_e32 v115, 31, v114
	s_wait_alu 0xfffd
	v_add_co_ci_u32_e64 v111, null, s1, v111, vcc_lo
	v_lshlrev_b64_e32 v[116:117], 3, v[112:113]
	v_ashrrev_i32_e32 v119, 31, v118
	v_add_co_u32 v112, vcc_lo, s0, v26
	s_wait_alu 0xfffd
	v_add_co_ci_u32_e64 v113, null, s1, v27, vcc_lo
	v_lshlrev_b64_e32 v[26:27], 3, v[114:115]
	v_lshlrev_b64_e32 v[118:119], 3, v[118:119]
	v_add_co_u32 v114, vcc_lo, s0, v116
	s_wait_alu 0xfffd
	v_add_co_ci_u32_e64 v115, null, s1, v117, vcc_lo
	s_delay_alu instid0(VALU_DEP_4)
	v_add_co_u32 v116, vcc_lo, s0, v26
	s_wait_alu 0xfffd
	v_add_co_ci_u32_e64 v117, null, s1, v27, vcc_lo
	v_add_co_u32 v118, vcc_lo, s0, v118
	s_wait_alu 0xfffd
	v_add_co_ci_u32_e64 v119, null, s1, v119, vcc_lo
	s_clause 0x8
	global_load_b64 v[170:171], v[102:103], off
	global_load_b64 v[172:173], v[104:105], off
	;; [unrolled: 1-line block ×9, first 2 shown]
	s_mov_b32 s1, -1
	s_wait_loadcnt 0x2c
	scratch_store_b128 off, v[1:4], off
	s_wait_loadcnt 0x2a
	scratch_store_b128 off, v[5:8], off offset:16
	s_wait_loadcnt 0x28
	scratch_store_b128 off, v[9:12], off offset:32
	;; [unrolled: 2-line block ×22, first 2 shown]
	s_cbranch_scc1 .LBB45_196
; %bb.4:
	v_cmp_eq_u32_e64 s0, 0, v0
	s_and_saveexec_b32 s1, s0
; %bb.5:
	v_mov_b32_e32 v1, 0
	ds_store_b32 v1, v1 offset:736
; %bb.6:
	s_wait_alu 0xfffe
	s_or_b32 exec_lo, exec_lo, s1
	s_wait_storecnt_dscnt 0x0
	s_barrier_signal -1
	s_barrier_wait -1
	global_inv scope:SCOPE_SE
	scratch_load_b64 v[1:2], v13, off
	s_wait_loadcnt 0x0
	v_cmp_eq_f32_e32 vcc_lo, 0, v1
	v_cmp_eq_f32_e64 s1, 0, v2
	s_and_b32 s1, vcc_lo, s1
	s_wait_alu 0xfffe
	s_and_saveexec_b32 s4, s1
	s_cbranch_execz .LBB45_10
; %bb.7:
	v_mov_b32_e32 v1, 0
	s_mov_b32 s5, 0
	ds_load_b32 v2, v1 offset:736
	s_wait_dscnt 0x0
	v_readfirstlane_b32 s1, v2
	v_add_nc_u32_e32 v2, 1, v0
	s_cmp_eq_u32 s1, 0
	s_delay_alu instid0(VALU_DEP_1)
	v_cmp_gt_i32_e32 vcc_lo, s1, v2
	s_cselect_b32 s8, -1, 0
	s_wait_alu 0xfffe
	s_or_b32 s8, s8, vcc_lo
	s_wait_alu 0xfffe
	s_and_b32 exec_lo, exec_lo, s8
	s_cbranch_execz .LBB45_10
; %bb.8:
	v_mov_b32_e32 v3, s1
.LBB45_9:                               ; =>This Inner Loop Header: Depth=1
	ds_cmpstore_rtn_b32 v3, v1, v2, v3 offset:736
	s_wait_dscnt 0x0
	v_cmp_ne_u32_e32 vcc_lo, 0, v3
	v_cmp_le_i32_e64 s1, v3, v2
	s_and_b32 s1, vcc_lo, s1
	s_wait_alu 0xfffe
	s_and_b32 s1, exec_lo, s1
	s_wait_alu 0xfffe
	s_or_b32 s5, s1, s5
	s_wait_alu 0xfffe
	s_and_not1_b32 exec_lo, exec_lo, s5
	s_cbranch_execnz .LBB45_9
.LBB45_10:
	s_wait_alu 0xfffe
	s_or_b32 exec_lo, exec_lo, s4
	v_mov_b32_e32 v1, 0
	s_barrier_signal -1
	s_barrier_wait -1
	global_inv scope:SCOPE_SE
	ds_load_b32 v2, v1 offset:736
	s_and_saveexec_b32 s1, s0
	s_cbranch_execz .LBB45_12
; %bb.11:
	s_lshl_b64 s[4:5], s[16:17], 2
	s_wait_alu 0xfffe
	s_add_nc_u64 s[4:5], s[6:7], s[4:5]
	s_wait_dscnt 0x0
	global_store_b32 v1, v2, s[4:5]
.LBB45_12:
	s_wait_alu 0xfffe
	s_or_b32 exec_lo, exec_lo, s1
	s_wait_dscnt 0x0
	v_cmp_ne_u32_e32 vcc_lo, 0, v2
	s_mov_b32 s1, 0
	s_cbranch_vccnz .LBB45_196
; %bb.13:
	v_mov_b32_e32 v7, v13
                                        ; implicit-def: $vgpr3
                                        ; implicit-def: $vgpr5
	scratch_load_b64 v[1:2], v7, off
	s_wait_loadcnt 0x0
	v_cmp_ngt_f32_e64 s1, |v1|, |v2|
	s_wait_alu 0xfffe
	s_and_saveexec_b32 s4, s1
	s_wait_alu 0xfffe
	s_xor_b32 s1, exec_lo, s4
	s_cbranch_execz .LBB45_15
; %bb.14:
	v_div_scale_f32 v3, null, v2, v2, v1
	v_div_scale_f32 v6, vcc_lo, v1, v2, v1
	s_delay_alu instid0(VALU_DEP_2) | instskip(NEXT) | instid1(TRANS32_DEP_1)
	v_rcp_f32_e32 v4, v3
	v_fma_f32 v5, -v3, v4, 1.0
	s_delay_alu instid0(VALU_DEP_1) | instskip(NEXT) | instid1(VALU_DEP_1)
	v_fmac_f32_e32 v4, v5, v4
	v_mul_f32_e32 v5, v6, v4
	s_delay_alu instid0(VALU_DEP_1) | instskip(NEXT) | instid1(VALU_DEP_1)
	v_fma_f32 v8, -v3, v5, v6
	v_fmac_f32_e32 v5, v8, v4
	s_delay_alu instid0(VALU_DEP_1) | instskip(SKIP_1) | instid1(VALU_DEP_1)
	v_fma_f32 v3, -v3, v5, v6
	s_wait_alu 0xfffd
	v_div_fmas_f32 v3, v3, v4, v5
	s_delay_alu instid0(VALU_DEP_1) | instskip(NEXT) | instid1(VALU_DEP_1)
	v_div_fixup_f32 v3, v3, v2, v1
	v_fmac_f32_e32 v2, v1, v3
	s_delay_alu instid0(VALU_DEP_1) | instskip(NEXT) | instid1(VALU_DEP_1)
	v_div_scale_f32 v1, null, v2, v2, 1.0
	v_rcp_f32_e32 v4, v1
	s_delay_alu instid0(TRANS32_DEP_1) | instskip(NEXT) | instid1(VALU_DEP_1)
	v_fma_f32 v5, -v1, v4, 1.0
	v_fmac_f32_e32 v4, v5, v4
	v_div_scale_f32 v5, vcc_lo, 1.0, v2, 1.0
	s_delay_alu instid0(VALU_DEP_1) | instskip(NEXT) | instid1(VALU_DEP_1)
	v_mul_f32_e32 v6, v5, v4
	v_fma_f32 v8, -v1, v6, v5
	s_delay_alu instid0(VALU_DEP_1) | instskip(NEXT) | instid1(VALU_DEP_1)
	v_fmac_f32_e32 v6, v8, v4
	v_fma_f32 v1, -v1, v6, v5
	s_wait_alu 0xfffd
	s_delay_alu instid0(VALU_DEP_1) | instskip(NEXT) | instid1(VALU_DEP_1)
	v_div_fmas_f32 v1, v1, v4, v6
	v_div_fixup_f32 v1, v1, v2, 1.0
	s_delay_alu instid0(VALU_DEP_1) | instskip(SKIP_1) | instid1(VALU_DEP_2)
	v_mul_f32_e32 v3, v3, v1
	v_xor_b32_e32 v4, 0x80000000, v1
                                        ; implicit-def: $vgpr1_vgpr2
	v_xor_b32_e32 v5, 0x80000000, v3
.LBB45_15:
	s_wait_alu 0xfffe
	s_and_not1_saveexec_b32 s1, s1
	s_cbranch_execz .LBB45_17
; %bb.16:
	v_div_scale_f32 v3, null, v1, v1, v2
	v_div_scale_f32 v6, vcc_lo, v2, v1, v2
	s_delay_alu instid0(VALU_DEP_2) | instskip(NEXT) | instid1(TRANS32_DEP_1)
	v_rcp_f32_e32 v4, v3
	v_fma_f32 v5, -v3, v4, 1.0
	s_delay_alu instid0(VALU_DEP_1) | instskip(NEXT) | instid1(VALU_DEP_1)
	v_fmac_f32_e32 v4, v5, v4
	v_mul_f32_e32 v5, v6, v4
	s_delay_alu instid0(VALU_DEP_1) | instskip(NEXT) | instid1(VALU_DEP_1)
	v_fma_f32 v8, -v3, v5, v6
	v_fmac_f32_e32 v5, v8, v4
	s_delay_alu instid0(VALU_DEP_1) | instskip(SKIP_1) | instid1(VALU_DEP_1)
	v_fma_f32 v3, -v3, v5, v6
	s_wait_alu 0xfffd
	v_div_fmas_f32 v3, v3, v4, v5
	s_delay_alu instid0(VALU_DEP_1) | instskip(NEXT) | instid1(VALU_DEP_1)
	v_div_fixup_f32 v4, v3, v1, v2
	v_fmac_f32_e32 v1, v2, v4
	s_delay_alu instid0(VALU_DEP_1) | instskip(SKIP_1) | instid1(VALU_DEP_2)
	v_div_scale_f32 v2, null, v1, v1, 1.0
	v_div_scale_f32 v6, vcc_lo, 1.0, v1, 1.0
	v_rcp_f32_e32 v3, v2
	s_delay_alu instid0(TRANS32_DEP_1) | instskip(NEXT) | instid1(VALU_DEP_1)
	v_fma_f32 v5, -v2, v3, 1.0
	v_fmac_f32_e32 v3, v5, v3
	s_delay_alu instid0(VALU_DEP_1) | instskip(NEXT) | instid1(VALU_DEP_1)
	v_mul_f32_e32 v5, v6, v3
	v_fma_f32 v8, -v2, v5, v6
	s_delay_alu instid0(VALU_DEP_1) | instskip(NEXT) | instid1(VALU_DEP_1)
	v_fmac_f32_e32 v5, v8, v3
	v_fma_f32 v2, -v2, v5, v6
	s_wait_alu 0xfffd
	s_delay_alu instid0(VALU_DEP_1) | instskip(NEXT) | instid1(VALU_DEP_1)
	v_div_fmas_f32 v2, v2, v3, v5
	v_div_fixup_f32 v3, v2, v1, 1.0
	s_delay_alu instid0(VALU_DEP_1)
	v_xor_b32_e32 v5, 0x80000000, v3
	v_mul_f32_e64 v4, v4, -v3
.LBB45_17:
	s_wait_alu 0xfffe
	s_or_b32 exec_lo, exec_lo, s1
	scratch_store_b64 v7, v[3:4], off
	scratch_load_b64 v[2:3], off, off offset:8
	v_xor_b32_e32 v6, 0x80000000, v4
	v_add_nc_u32_e32 v1, 0x170, v13
	s_wait_loadcnt 0x0
	ds_store_2addr_b64 v13, v[5:6], v[2:3] offset1:46
	s_wait_storecnt_dscnt 0x0
	s_barrier_signal -1
	s_barrier_wait -1
	global_inv scope:SCOPE_SE
	s_and_saveexec_b32 s1, s0
	s_cbranch_execz .LBB45_19
; %bb.18:
	scratch_load_b64 v[2:3], v7, off
	ds_load_b64 v[4:5], v1
	v_mov_b32_e32 v6, 0
	ds_load_b64 v[8:9], v6 offset:8
	s_wait_loadcnt_dscnt 0x1
	v_mul_f32_e32 v6, v4, v3
	v_mul_f32_e32 v3, v5, v3
	s_delay_alu instid0(VALU_DEP_2) | instskip(NEXT) | instid1(VALU_DEP_2)
	v_fmac_f32_e32 v6, v5, v2
	v_fma_f32 v2, v4, v2, -v3
	s_delay_alu instid0(VALU_DEP_2) | instskip(SKIP_1) | instid1(VALU_DEP_1)
	v_add_f32_e32 v4, 0, v6
	s_wait_dscnt 0x0
	v_dual_add_f32 v2, 0, v2 :: v_dual_mul_f32 v5, v4, v9
	s_delay_alu instid0(VALU_DEP_1) | instskip(NEXT) | instid1(VALU_DEP_1)
	v_mul_f32_e32 v3, v2, v9
	v_fmac_f32_e32 v3, v4, v8
	s_delay_alu instid0(VALU_DEP_3)
	v_fma_f32 v2, v2, v8, -v5
	scratch_store_b64 off, v[2:3], off offset:8
.LBB45_19:
	s_wait_alu 0xfffe
	s_or_b32 exec_lo, exec_lo, s1
	s_wait_loadcnt 0x0
	s_wait_storecnt 0x0
	s_barrier_signal -1
	s_barrier_wait -1
	global_inv scope:SCOPE_SE
	scratch_load_b64 v[2:3], off, off offset:16
	s_mov_b32 s1, exec_lo
	s_wait_loadcnt 0x0
	ds_store_b64 v1, v[2:3]
	s_wait_dscnt 0x0
	s_barrier_signal -1
	s_barrier_wait -1
	global_inv scope:SCOPE_SE
	v_cmpx_gt_u32_e32 2, v0
	s_cbranch_execz .LBB45_23
; %bb.20:
	scratch_load_b64 v[2:3], v7, off
	ds_load_b64 v[4:5], v1
	s_wait_loadcnt_dscnt 0x0
	v_mul_f32_e32 v6, v5, v3
	v_mul_f32_e32 v8, v4, v3
	s_delay_alu instid0(VALU_DEP_2) | instskip(NEXT) | instid1(VALU_DEP_1)
	v_fma_f32 v3, v4, v2, -v6
	v_dual_fmac_f32 v8, v5, v2 :: v_dual_add_f32 v3, 0, v3
	s_delay_alu instid0(VALU_DEP_1)
	v_add_f32_e32 v2, 0, v8
	s_and_saveexec_b32 s4, s0
	s_cbranch_execz .LBB45_22
; %bb.21:
	scratch_load_b64 v[4:5], off, off offset:8
	v_mov_b32_e32 v6, 0
	ds_load_b64 v[8:9], v6 offset:376
	s_wait_loadcnt_dscnt 0x0
	v_mul_f32_e32 v6, v8, v5
	v_mul_f32_e32 v5, v9, v5
	s_delay_alu instid0(VALU_DEP_2) | instskip(NEXT) | instid1(VALU_DEP_2)
	v_fmac_f32_e32 v6, v9, v4
	v_fma_f32 v4, v8, v4, -v5
	s_delay_alu instid0(VALU_DEP_1)
	v_dual_add_f32 v2, v2, v6 :: v_dual_add_f32 v3, v3, v4
.LBB45_22:
	s_wait_alu 0xfffe
	s_or_b32 exec_lo, exec_lo, s4
	v_mov_b32_e32 v4, 0
	ds_load_b64 v[4:5], v4 offset:16
	s_wait_dscnt 0x0
	v_mul_f32_e32 v8, v2, v5
	v_mul_f32_e32 v6, v3, v5
	s_delay_alu instid0(VALU_DEP_2) | instskip(NEXT) | instid1(VALU_DEP_2)
	v_fma_f32 v5, v3, v4, -v8
	v_fmac_f32_e32 v6, v2, v4
	scratch_store_b64 off, v[5:6], off offset:16
.LBB45_23:
	s_wait_alu 0xfffe
	s_or_b32 exec_lo, exec_lo, s1
	s_wait_loadcnt 0x0
	s_wait_storecnt 0x0
	s_barrier_signal -1
	s_barrier_wait -1
	global_inv scope:SCOPE_SE
	scratch_load_b64 v[3:4], off, off offset:24
	v_add_nc_u32_e32 v2, -1, v0
	s_mov_b32 s0, exec_lo
	s_wait_loadcnt 0x0
	ds_store_b64 v1, v[3:4]
	s_wait_dscnt 0x0
	s_barrier_signal -1
	s_barrier_wait -1
	global_inv scope:SCOPE_SE
	v_cmpx_gt_u32_e32 3, v0
	s_cbranch_execz .LBB45_27
; %bb.24:
	v_dual_mov_b32 v3, 0 :: v_dual_add_nc_u32 v4, -1, v0
	v_dual_mov_b32 v6, v13 :: v_dual_add_nc_u32 v5, 0x170, v13
	v_mov_b32_e32 v8, 0
	s_mov_b32 s1, 0
.LBB45_25:                              ; =>This Inner Loop Header: Depth=1
	scratch_load_b64 v[9:10], v6, off
	ds_load_b64 v[11:12], v5
	v_add_nc_u32_e32 v6, 8, v6
	s_wait_loadcnt_dscnt 0x0
	v_dual_mul_f32 v14, v12, v10 :: v_dual_add_nc_u32 v5, 8, v5
	v_mul_f32_e32 v10, v11, v10
	s_delay_alu instid0(VALU_DEP_2) | instskip(NEXT) | instid1(VALU_DEP_2)
	v_fma_f32 v11, v11, v9, -v14
	v_fmac_f32_e32 v10, v12, v9
	v_add_nc_u32_e32 v4, 1, v4
	s_delay_alu instid0(VALU_DEP_2) | instskip(NEXT) | instid1(VALU_DEP_2)
	v_dual_add_f32 v8, v8, v11 :: v_dual_add_f32 v3, v3, v10
	v_cmp_lt_u32_e32 vcc_lo, 1, v4
	s_wait_alu 0xfffe
	s_or_b32 s1, vcc_lo, s1
	s_wait_alu 0xfffe
	s_and_not1_b32 exec_lo, exec_lo, s1
	s_cbranch_execnz .LBB45_25
; %bb.26:
	s_or_b32 exec_lo, exec_lo, s1
	v_mov_b32_e32 v4, 0
	ds_load_b64 v[4:5], v4 offset:24
	s_wait_dscnt 0x0
	v_mul_f32_e32 v9, v3, v5
	v_mul_f32_e32 v6, v8, v5
	s_delay_alu instid0(VALU_DEP_2) | instskip(NEXT) | instid1(VALU_DEP_2)
	v_fma_f32 v5, v8, v4, -v9
	v_fmac_f32_e32 v6, v3, v4
	scratch_store_b64 off, v[5:6], off offset:24
.LBB45_27:
	s_wait_alu 0xfffe
	s_or_b32 exec_lo, exec_lo, s0
	s_wait_loadcnt 0x0
	s_wait_storecnt 0x0
	s_barrier_signal -1
	s_barrier_wait -1
	global_inv scope:SCOPE_SE
	scratch_load_b64 v[3:4], off, off offset:32
	s_mov_b32 s0, exec_lo
	s_wait_loadcnt 0x0
	ds_store_b64 v1, v[3:4]
	s_wait_dscnt 0x0
	s_barrier_signal -1
	s_barrier_wait -1
	global_inv scope:SCOPE_SE
	v_cmpx_gt_u32_e32 4, v0
	s_cbranch_execz .LBB45_31
; %bb.28:
	v_dual_mov_b32 v3, 0 :: v_dual_add_nc_u32 v4, -1, v0
	v_dual_mov_b32 v6, v13 :: v_dual_add_nc_u32 v5, 0x170, v13
	v_mov_b32_e32 v8, 0
	s_mov_b32 s1, 0
.LBB45_29:                              ; =>This Inner Loop Header: Depth=1
	scratch_load_b64 v[9:10], v6, off
	ds_load_b64 v[11:12], v5
	v_add_nc_u32_e32 v6, 8, v6
	s_wait_loadcnt_dscnt 0x0
	v_dual_mul_f32 v14, v12, v10 :: v_dual_add_nc_u32 v5, 8, v5
	v_mul_f32_e32 v10, v11, v10
	s_delay_alu instid0(VALU_DEP_2) | instskip(NEXT) | instid1(VALU_DEP_2)
	v_fma_f32 v11, v11, v9, -v14
	v_fmac_f32_e32 v10, v12, v9
	v_add_nc_u32_e32 v4, 1, v4
	s_delay_alu instid0(VALU_DEP_2) | instskip(NEXT) | instid1(VALU_DEP_2)
	v_dual_add_f32 v8, v8, v11 :: v_dual_add_f32 v3, v3, v10
	v_cmp_lt_u32_e32 vcc_lo, 2, v4
	s_wait_alu 0xfffe
	s_or_b32 s1, vcc_lo, s1
	s_wait_alu 0xfffe
	s_and_not1_b32 exec_lo, exec_lo, s1
	s_cbranch_execnz .LBB45_29
; %bb.30:
	s_or_b32 exec_lo, exec_lo, s1
	v_mov_b32_e32 v4, 0
	ds_load_b64 v[4:5], v4 offset:32
	s_wait_dscnt 0x0
	v_mul_f32_e32 v9, v3, v5
	v_mul_f32_e32 v6, v8, v5
	s_delay_alu instid0(VALU_DEP_2) | instskip(NEXT) | instid1(VALU_DEP_2)
	v_fma_f32 v5, v8, v4, -v9
	v_fmac_f32_e32 v6, v3, v4
	scratch_store_b64 off, v[5:6], off offset:32
.LBB45_31:
	s_wait_alu 0xfffe
	s_or_b32 exec_lo, exec_lo, s0
	s_wait_loadcnt 0x0
	s_wait_storecnt 0x0
	s_barrier_signal -1
	s_barrier_wait -1
	global_inv scope:SCOPE_SE
	scratch_load_b64 v[3:4], off, off offset:40
	;; [unrolled: 53-line block ×19, first 2 shown]
	s_mov_b32 s0, exec_lo
	s_wait_loadcnt 0x0
	ds_store_b64 v1, v[3:4]
	s_wait_dscnt 0x0
	s_barrier_signal -1
	s_barrier_wait -1
	global_inv scope:SCOPE_SE
	v_cmpx_gt_u32_e32 22, v0
	s_cbranch_execz .LBB45_103
; %bb.100:
	v_dual_mov_b32 v3, 0 :: v_dual_add_nc_u32 v4, -1, v0
	v_dual_mov_b32 v6, v13 :: v_dual_add_nc_u32 v5, 0x170, v13
	v_mov_b32_e32 v8, 0
	s_mov_b32 s1, 0
.LBB45_101:                             ; =>This Inner Loop Header: Depth=1
	scratch_load_b64 v[9:10], v6, off
	ds_load_b64 v[11:12], v5
	v_add_nc_u32_e32 v6, 8, v6
	s_wait_loadcnt_dscnt 0x0
	v_dual_mul_f32 v14, v12, v10 :: v_dual_add_nc_u32 v5, 8, v5
	v_mul_f32_e32 v10, v11, v10
	s_delay_alu instid0(VALU_DEP_2) | instskip(NEXT) | instid1(VALU_DEP_2)
	v_fma_f32 v11, v11, v9, -v14
	v_fmac_f32_e32 v10, v12, v9
	v_add_nc_u32_e32 v4, 1, v4
	s_delay_alu instid0(VALU_DEP_2) | instskip(NEXT) | instid1(VALU_DEP_2)
	v_dual_add_f32 v8, v8, v11 :: v_dual_add_f32 v3, v3, v10
	v_cmp_lt_u32_e32 vcc_lo, 20, v4
	s_wait_alu 0xfffe
	s_or_b32 s1, vcc_lo, s1
	s_wait_alu 0xfffe
	s_and_not1_b32 exec_lo, exec_lo, s1
	s_cbranch_execnz .LBB45_101
; %bb.102:
	s_or_b32 exec_lo, exec_lo, s1
	v_mov_b32_e32 v4, 0
	ds_load_b64 v[4:5], v4 offset:176
	s_wait_dscnt 0x0
	v_mul_f32_e32 v9, v3, v5
	v_mul_f32_e32 v6, v8, v5
	s_delay_alu instid0(VALU_DEP_2) | instskip(NEXT) | instid1(VALU_DEP_2)
	v_fma_f32 v5, v8, v4, -v9
	v_fmac_f32_e32 v6, v3, v4
	scratch_store_b64 off, v[5:6], off offset:176
.LBB45_103:
	s_wait_alu 0xfffe
	s_or_b32 exec_lo, exec_lo, s0
	s_wait_loadcnt 0x0
	s_wait_storecnt 0x0
	s_barrier_signal -1
	s_barrier_wait -1
	global_inv scope:SCOPE_SE
	scratch_load_b64 v[3:4], off, off offset:184
	s_mov_b32 s0, exec_lo
	s_wait_loadcnt 0x0
	ds_store_b64 v1, v[3:4]
	s_wait_dscnt 0x0
	s_barrier_signal -1
	s_barrier_wait -1
	global_inv scope:SCOPE_SE
	v_cmpx_gt_u32_e32 23, v0
	s_cbranch_execz .LBB45_107
; %bb.104:
	v_dual_mov_b32 v3, 0 :: v_dual_add_nc_u32 v4, -1, v0
	v_dual_mov_b32 v6, v13 :: v_dual_add_nc_u32 v5, 0x170, v13
	v_mov_b32_e32 v8, 0
	s_mov_b32 s1, 0
.LBB45_105:                             ; =>This Inner Loop Header: Depth=1
	scratch_load_b64 v[9:10], v6, off
	ds_load_b64 v[11:12], v5
	v_add_nc_u32_e32 v6, 8, v6
	s_wait_loadcnt_dscnt 0x0
	v_dual_mul_f32 v14, v12, v10 :: v_dual_add_nc_u32 v5, 8, v5
	v_mul_f32_e32 v10, v11, v10
	s_delay_alu instid0(VALU_DEP_2) | instskip(NEXT) | instid1(VALU_DEP_2)
	v_fma_f32 v11, v11, v9, -v14
	v_fmac_f32_e32 v10, v12, v9
	v_add_nc_u32_e32 v4, 1, v4
	s_delay_alu instid0(VALU_DEP_2) | instskip(NEXT) | instid1(VALU_DEP_2)
	v_dual_add_f32 v8, v8, v11 :: v_dual_add_f32 v3, v3, v10
	v_cmp_lt_u32_e32 vcc_lo, 21, v4
	s_wait_alu 0xfffe
	s_or_b32 s1, vcc_lo, s1
	s_wait_alu 0xfffe
	s_and_not1_b32 exec_lo, exec_lo, s1
	s_cbranch_execnz .LBB45_105
; %bb.106:
	s_or_b32 exec_lo, exec_lo, s1
	v_mov_b32_e32 v4, 0
	ds_load_b64 v[4:5], v4 offset:184
	s_wait_dscnt 0x0
	v_mul_f32_e32 v9, v3, v5
	v_mul_f32_e32 v6, v8, v5
	s_delay_alu instid0(VALU_DEP_2) | instskip(NEXT) | instid1(VALU_DEP_2)
	v_fma_f32 v5, v8, v4, -v9
	v_fmac_f32_e32 v6, v3, v4
	scratch_store_b64 off, v[5:6], off offset:184
.LBB45_107:
	s_wait_alu 0xfffe
	s_or_b32 exec_lo, exec_lo, s0
	s_wait_loadcnt 0x0
	s_wait_storecnt 0x0
	s_barrier_signal -1
	s_barrier_wait -1
	global_inv scope:SCOPE_SE
	scratch_load_b64 v[3:4], off, off offset:192
	;; [unrolled: 53-line block ×22, first 2 shown]
	s_mov_b32 s0, exec_lo
	s_wait_loadcnt 0x0
	ds_store_b64 v1, v[3:4]
	s_wait_dscnt 0x0
	s_barrier_signal -1
	s_barrier_wait -1
	global_inv scope:SCOPE_SE
	v_cmpx_gt_u32_e32 44, v0
	s_cbranch_execz .LBB45_191
; %bb.188:
	v_dual_mov_b32 v3, 0 :: v_dual_add_nc_u32 v4, -1, v0
	v_dual_mov_b32 v6, v13 :: v_dual_add_nc_u32 v5, 0x170, v13
	v_mov_b32_e32 v8, 0
	s_mov_b32 s1, 0
.LBB45_189:                             ; =>This Inner Loop Header: Depth=1
	scratch_load_b64 v[9:10], v6, off
	ds_load_b64 v[11:12], v5
	v_add_nc_u32_e32 v6, 8, v6
	v_add_nc_u32_e32 v4, 1, v4
	;; [unrolled: 1-line block ×3, first 2 shown]
	s_delay_alu instid0(VALU_DEP_2)
	v_cmp_lt_u32_e32 vcc_lo, 42, v4
	s_wait_alu 0xfffe
	s_or_b32 s1, vcc_lo, s1
	s_wait_loadcnt_dscnt 0x0
	v_mul_f32_e32 v13, v12, v10
	v_mul_f32_e32 v10, v11, v10
	s_delay_alu instid0(VALU_DEP_2) | instskip(NEXT) | instid1(VALU_DEP_2)
	v_fma_f32 v11, v11, v9, -v13
	v_fmac_f32_e32 v10, v12, v9
	s_delay_alu instid0(VALU_DEP_1)
	v_dual_add_f32 v8, v8, v11 :: v_dual_add_f32 v3, v3, v10
	s_wait_alu 0xfffe
	s_and_not1_b32 exec_lo, exec_lo, s1
	s_cbranch_execnz .LBB45_189
; %bb.190:
	s_or_b32 exec_lo, exec_lo, s1
	v_mov_b32_e32 v4, 0
	ds_load_b64 v[4:5], v4 offset:352
	s_wait_dscnt 0x0
	v_mul_f32_e32 v9, v3, v5
	v_mul_f32_e32 v6, v8, v5
	s_delay_alu instid0(VALU_DEP_2) | instskip(NEXT) | instid1(VALU_DEP_2)
	v_fma_f32 v5, v8, v4, -v9
	v_fmac_f32_e32 v6, v3, v4
	scratch_store_b64 off, v[5:6], off offset:352
.LBB45_191:
	s_wait_alu 0xfffe
	s_or_b32 exec_lo, exec_lo, s0
	s_wait_loadcnt 0x0
	s_wait_storecnt 0x0
	s_barrier_signal -1
	s_barrier_wait -1
	global_inv scope:SCOPE_SE
	scratch_load_b64 v[3:4], off, off offset:360
	s_mov_b32 s0, exec_lo
	s_wait_loadcnt 0x0
	ds_store_b64 v1, v[3:4]
	s_wait_dscnt 0x0
	s_barrier_signal -1
	s_barrier_wait -1
	global_inv scope:SCOPE_SE
	v_cmpx_ne_u32_e32 45, v0
	s_cbranch_execz .LBB45_195
; %bb.192:
	v_dual_mov_b32 v3, 0 :: v_dual_mov_b32 v4, 0
	s_mov_b32 s1, 0
.LBB45_193:                             ; =>This Inner Loop Header: Depth=1
	scratch_load_b64 v[5:6], v7, off
	ds_load_b64 v[8:9], v1
	v_add_nc_u32_e32 v2, 1, v2
	v_add_nc_u32_e32 v1, 8, v1
	;; [unrolled: 1-line block ×3, first 2 shown]
	s_delay_alu instid0(VALU_DEP_3)
	v_cmp_lt_u32_e32 vcc_lo, 43, v2
	s_wait_alu 0xfffe
	s_or_b32 s1, vcc_lo, s1
	s_wait_loadcnt_dscnt 0x0
	v_mul_f32_e32 v10, v9, v6
	v_mul_f32_e32 v6, v8, v6
	s_delay_alu instid0(VALU_DEP_2) | instskip(NEXT) | instid1(VALU_DEP_2)
	v_fma_f32 v8, v8, v5, -v10
	v_fmac_f32_e32 v6, v9, v5
	s_delay_alu instid0(VALU_DEP_1)
	v_dual_add_f32 v4, v4, v8 :: v_dual_add_f32 v3, v3, v6
	s_wait_alu 0xfffe
	s_and_not1_b32 exec_lo, exec_lo, s1
	s_cbranch_execnz .LBB45_193
; %bb.194:
	s_or_b32 exec_lo, exec_lo, s1
	v_mov_b32_e32 v1, 0
	ds_load_b64 v[1:2], v1 offset:360
	s_wait_dscnt 0x0
	v_mul_f32_e32 v6, v3, v2
	v_mul_f32_e32 v5, v4, v2
	s_delay_alu instid0(VALU_DEP_2) | instskip(NEXT) | instid1(VALU_DEP_2)
	v_fma_f32 v4, v4, v1, -v6
	v_fmac_f32_e32 v5, v3, v1
	scratch_store_b64 off, v[4:5], off offset:360
.LBB45_195:
	s_wait_alu 0xfffe
	s_or_b32 exec_lo, exec_lo, s0
	s_mov_b32 s1, -1
	s_wait_loadcnt 0x0
	s_wait_storecnt 0x0
	s_barrier_signal -1
	s_barrier_wait -1
	global_inv scope:SCOPE_SE
.LBB45_196:
	s_wait_alu 0xfffe
	s_and_b32 vcc_lo, exec_lo, s1
	s_wait_alu 0xfffe
	s_cbranch_vccz .LBB45_198
; %bb.197:
	v_mov_b32_e32 v1, 0
	s_lshl_b64 s[0:1], s[16:17], 2
	s_wait_alu 0xfffe
	s_add_nc_u64 s[0:1], s[6:7], s[0:1]
	global_load_b32 v1, v1, s[0:1]
	s_wait_loadcnt 0x0
	v_cmp_ne_u32_e32 vcc_lo, 0, v1
	s_cbranch_vccz .LBB45_199
.LBB45_198:
	s_nop 0
	s_sendmsg sendmsg(MSG_DEALLOC_VGPRS)
	s_endpgm
.LBB45_199:
	v_lshl_add_u32 v23, v0, 3, 0x170
	s_mov_b32 s0, exec_lo
	v_cmpx_eq_u32_e32 45, v0
	s_cbranch_execz .LBB45_201
; %bb.200:
	scratch_load_b64 v[1:2], off, off offset:352
	v_mov_b32_e32 v3, 0
	s_delay_alu instid0(VALU_DEP_1)
	v_mov_b32_e32 v4, v3
	scratch_store_b64 off, v[3:4], off offset:352
	s_wait_loadcnt 0x0
	ds_store_b64 v23, v[1:2]
.LBB45_201:
	s_wait_alu 0xfffe
	s_or_b32 exec_lo, exec_lo, s0
	s_wait_storecnt_dscnt 0x0
	s_barrier_signal -1
	s_barrier_wait -1
	global_inv scope:SCOPE_SE
	s_clause 0x1
	scratch_load_b64 v[2:3], off, off offset:360
	scratch_load_b64 v[4:5], off, off offset:352
	v_mov_b32_e32 v1, 0
	s_mov_b32 s0, exec_lo
	ds_load_b64 v[6:7], v1 offset:728
	s_wait_loadcnt_dscnt 0x100
	v_mul_f32_e32 v8, v7, v3
	v_mul_f32_e32 v3, v6, v3
	s_delay_alu instid0(VALU_DEP_2) | instskip(NEXT) | instid1(VALU_DEP_2)
	v_fma_f32 v6, v6, v2, -v8
	v_fmac_f32_e32 v3, v7, v2
	s_delay_alu instid0(VALU_DEP_1) | instskip(SKIP_1) | instid1(VALU_DEP_1)
	v_dual_add_f32 v2, 0, v6 :: v_dual_add_f32 v3, 0, v3
	s_wait_loadcnt 0x0
	v_dual_sub_f32 v2, v4, v2 :: v_dual_sub_f32 v3, v5, v3
	scratch_store_b64 off, v[2:3], off offset:352
	v_cmpx_lt_u32_e32 43, v0
	s_cbranch_execz .LBB45_203
; %bb.202:
	scratch_load_b64 v[3:4], off, off offset:344
	v_mov_b32_e32 v2, v1
	scratch_store_b64 off, v[1:2], off offset:344
	s_wait_loadcnt 0x0
	ds_store_b64 v23, v[3:4]
.LBB45_203:
	s_wait_alu 0xfffe
	s_or_b32 exec_lo, exec_lo, s0
	s_wait_storecnt_dscnt 0x0
	s_barrier_signal -1
	s_barrier_wait -1
	global_inv scope:SCOPE_SE
	s_clause 0x1
	scratch_load_b128 v[2:5], off, off offset:352
	scratch_load_b64 v[10:11], off, off offset:344
	ds_load_b128 v[6:9], v1 offset:720
	s_mov_b32 s0, exec_lo
	s_wait_loadcnt_dscnt 0x100
	v_dual_mul_f32 v1, v7, v3 :: v_dual_mul_f32 v12, v8, v5
	v_mul_f32_e32 v3, v6, v3
	s_delay_alu instid0(VALU_DEP_2) | instskip(NEXT) | instid1(VALU_DEP_2)
	v_fma_f32 v1, v6, v2, -v1
	v_dual_fmac_f32 v12, v9, v4 :: v_dual_fmac_f32 v3, v7, v2
	s_delay_alu instid0(VALU_DEP_2) | instskip(NEXT) | instid1(VALU_DEP_2)
	v_add_f32_e32 v1, 0, v1
	v_add_f32_e32 v3, 0, v3
	v_mul_f32_e32 v5, v9, v5
	s_delay_alu instid0(VALU_DEP_1) | instskip(NEXT) | instid1(VALU_DEP_1)
	v_fma_f32 v2, v8, v4, -v5
	v_dual_add_f32 v1, v1, v2 :: v_dual_add_f32 v2, v3, v12
	s_wait_loadcnt 0x0
	s_delay_alu instid0(VALU_DEP_1)
	v_dual_sub_f32 v1, v10, v1 :: v_dual_sub_f32 v2, v11, v2
	scratch_store_b64 off, v[1:2], off offset:344
	v_cmpx_lt_u32_e32 42, v0
	s_cbranch_execz .LBB45_205
; %bb.204:
	scratch_load_b64 v[1:2], off, off offset:336
	v_mov_b32_e32 v3, 0
	s_delay_alu instid0(VALU_DEP_1)
	v_mov_b32_e32 v4, v3
	scratch_store_b64 off, v[3:4], off offset:336
	s_wait_loadcnt 0x0
	ds_store_b64 v23, v[1:2]
.LBB45_205:
	s_wait_alu 0xfffe
	s_or_b32 exec_lo, exec_lo, s0
	s_wait_storecnt_dscnt 0x0
	s_barrier_signal -1
	s_barrier_wait -1
	global_inv scope:SCOPE_SE
	s_clause 0x2
	scratch_load_b128 v[2:5], off, off offset:344
	scratch_load_b64 v[10:11], off, off offset:360
	scratch_load_b64 v[12:13], off, off offset:336
	v_mov_b32_e32 v1, 0
	ds_load_2addr_b64 v[6:9], v1 offset0:89 offset1:90
	ds_load_b64 v[14:15], v1 offset:728
	s_mov_b32 s0, exec_lo
	s_wait_loadcnt_dscnt 0x201
	v_dual_mul_f32 v16, v7, v3 :: v_dual_mul_f32 v17, v8, v5
	s_wait_loadcnt_dscnt 0x100
	v_mul_f32_e32 v18, v14, v11
	v_mul_f32_e32 v3, v6, v3
	;; [unrolled: 1-line block ×3, first 2 shown]
	v_fma_f32 v6, v6, v2, -v16
	s_delay_alu instid0(VALU_DEP_4) | instskip(NEXT) | instid1(VALU_DEP_4)
	v_fmac_f32_e32 v18, v15, v10
	v_fmac_f32_e32 v3, v7, v2
	v_mul_f32_e32 v2, v15, v11
	s_delay_alu instid0(VALU_DEP_1) | instskip(SKIP_3) | instid1(VALU_DEP_1)
	v_fma_f32 v2, v14, v10, -v2
	v_fmac_f32_e32 v17, v9, v4
	v_fma_f32 v4, v8, v4, -v5
	v_add_f32_e32 v5, 0, v6
	v_add_f32_e32 v4, v5, v4
	s_delay_alu instid0(VALU_DEP_1) | instskip(SKIP_1) | instid1(VALU_DEP_1)
	v_dual_add_f32 v2, v4, v2 :: v_dual_add_f32 v3, 0, v3
	s_wait_loadcnt 0x0
	v_dual_sub_f32 v2, v12, v2 :: v_dual_add_f32 v3, v3, v17
	s_delay_alu instid0(VALU_DEP_1) | instskip(NEXT) | instid1(VALU_DEP_1)
	v_add_f32_e32 v3, v3, v18
	v_sub_f32_e32 v3, v13, v3
	scratch_store_b64 off, v[2:3], off offset:336
	v_cmpx_lt_u32_e32 41, v0
	s_cbranch_execz .LBB45_207
; %bb.206:
	scratch_load_b64 v[3:4], off, off offset:328
	v_mov_b32_e32 v2, v1
	scratch_store_b64 off, v[1:2], off offset:328
	s_wait_loadcnt 0x0
	ds_store_b64 v23, v[3:4]
.LBB45_207:
	s_wait_alu 0xfffe
	s_or_b32 exec_lo, exec_lo, s0
	s_wait_storecnt_dscnt 0x0
	s_barrier_signal -1
	s_barrier_wait -1
	global_inv scope:SCOPE_SE
	s_clause 0x2
	scratch_load_b128 v[2:5], off, off offset:336
	scratch_load_b128 v[6:9], off, off offset:352
	scratch_load_b64 v[18:19], off, off offset:328
	ds_load_b128 v[10:13], v1 offset:704
	ds_load_b128 v[14:17], v1 offset:720
	s_mov_b32 s0, exec_lo
	s_wait_loadcnt_dscnt 0x201
	v_dual_mul_f32 v1, v10, v3 :: v_dual_mul_f32 v20, v12, v5
	s_wait_loadcnt_dscnt 0x100
	v_dual_mul_f32 v3, v11, v3 :: v_dual_mul_f32 v22, v16, v9
	v_mul_f32_e32 v5, v13, v5
	s_delay_alu instid0(VALU_DEP_3) | instskip(NEXT) | instid1(VALU_DEP_3)
	v_dual_mul_f32 v21, v14, v7 :: v_dual_fmac_f32 v20, v13, v4
	v_fma_f32 v3, v10, v2, -v3
	s_delay_alu instid0(VALU_DEP_4) | instskip(SKIP_2) | instid1(VALU_DEP_4)
	v_dual_fmac_f32 v1, v11, v2 :: v_dual_fmac_f32 v22, v17, v8
	v_mul_f32_e32 v2, v15, v7
	v_fma_f32 v4, v12, v4, -v5
	v_add_f32_e32 v3, 0, v3
	v_fmac_f32_e32 v21, v15, v6
	s_delay_alu instid0(VALU_DEP_4) | instskip(NEXT) | instid1(VALU_DEP_3)
	v_fma_f32 v2, v14, v6, -v2
	v_add_f32_e32 v3, v3, v4
	s_delay_alu instid0(VALU_DEP_1) | instskip(NEXT) | instid1(VALU_DEP_1)
	v_dual_add_f32 v1, 0, v1 :: v_dual_add_f32 v2, v3, v2
	v_add_f32_e32 v1, v1, v20
	s_delay_alu instid0(VALU_DEP_1) | instskip(NEXT) | instid1(VALU_DEP_1)
	v_add_f32_e32 v1, v1, v21
	v_add_f32_e32 v3, v1, v22
	v_mul_f32_e32 v5, v17, v9
	s_delay_alu instid0(VALU_DEP_1) | instskip(NEXT) | instid1(VALU_DEP_1)
	v_fma_f32 v4, v16, v8, -v5
	v_add_f32_e32 v2, v2, v4
	s_wait_loadcnt 0x0
	s_delay_alu instid0(VALU_DEP_1)
	v_dual_sub_f32 v1, v18, v2 :: v_dual_sub_f32 v2, v19, v3
	scratch_store_b64 off, v[1:2], off offset:328
	v_cmpx_lt_u32_e32 40, v0
	s_cbranch_execz .LBB45_209
; %bb.208:
	scratch_load_b64 v[1:2], off, off offset:320
	v_mov_b32_e32 v3, 0
	s_delay_alu instid0(VALU_DEP_1)
	v_mov_b32_e32 v4, v3
	scratch_store_b64 off, v[3:4], off offset:320
	s_wait_loadcnt 0x0
	ds_store_b64 v23, v[1:2]
.LBB45_209:
	s_wait_alu 0xfffe
	s_or_b32 exec_lo, exec_lo, s0
	s_wait_storecnt_dscnt 0x0
	s_barrier_signal -1
	s_barrier_wait -1
	global_inv scope:SCOPE_SE
	s_clause 0x3
	scratch_load_b128 v[2:5], off, off offset:328
	scratch_load_b128 v[6:9], off, off offset:344
	scratch_load_b64 v[18:19], off, off offset:360
	scratch_load_b64 v[20:21], off, off offset:320
	v_mov_b32_e32 v1, 0
	ds_load_2addr_b64 v[10:13], v1 offset0:87 offset1:88
	ds_load_2addr_b64 v[14:17], v1 offset0:89 offset1:90
	ds_load_b64 v[24:25], v1 offset:728
	s_mov_b32 s0, exec_lo
	s_wait_loadcnt_dscnt 0x302
	v_mul_f32_e32 v22, v10, v3
	v_dual_mul_f32 v26, v12, v5 :: v_dual_mul_f32 v3, v11, v3
	s_wait_loadcnt_dscnt 0x100
	v_mul_f32_e32 v121, v24, v19
	s_delay_alu instid0(VALU_DEP_3)
	v_dual_mul_f32 v5, v13, v5 :: v_dual_fmac_f32 v22, v11, v2
	v_dual_mul_f32 v27, v14, v7 :: v_dual_mul_f32 v120, v16, v9
	v_fma_f32 v3, v10, v2, -v3
	v_mul_f32_e32 v2, v15, v7
	v_fmac_f32_e32 v26, v13, v4
	v_fma_f32 v4, v12, v4, -v5
	v_dual_add_f32 v5, 0, v22 :: v_dual_fmac_f32 v120, v17, v8
	v_add_f32_e32 v3, 0, v3
	v_fma_f32 v2, v14, v6, -v2
	v_fmac_f32_e32 v27, v15, v6
	v_fmac_f32_e32 v121, v25, v18
	s_delay_alu instid0(VALU_DEP_4) | instskip(NEXT) | instid1(VALU_DEP_1)
	v_dual_add_f32 v3, v3, v4 :: v_dual_add_f32 v4, v5, v26
	v_dual_mul_f32 v7, v17, v9 :: v_dual_add_f32 v2, v3, v2
	s_delay_alu instid0(VALU_DEP_2) | instskip(NEXT) | instid1(VALU_DEP_2)
	v_add_f32_e32 v3, v4, v27
	v_fma_f32 v6, v16, v8, -v7
	s_delay_alu instid0(VALU_DEP_1) | instskip(NEXT) | instid1(VALU_DEP_1)
	v_dual_mul_f32 v5, v25, v19 :: v_dual_add_f32 v2, v2, v6
	v_fma_f32 v4, v24, v18, -v5
	s_delay_alu instid0(VALU_DEP_1) | instskip(SKIP_1) | instid1(VALU_DEP_1)
	v_add_f32_e32 v2, v2, v4
	s_wait_loadcnt 0x0
	v_dual_add_f32 v3, v3, v120 :: v_dual_sub_f32 v2, v20, v2
	s_delay_alu instid0(VALU_DEP_1) | instskip(NEXT) | instid1(VALU_DEP_1)
	v_add_f32_e32 v3, v3, v121
	v_sub_f32_e32 v3, v21, v3
	scratch_store_b64 off, v[2:3], off offset:320
	v_cmpx_lt_u32_e32 39, v0
	s_cbranch_execz .LBB45_211
; %bb.210:
	scratch_load_b64 v[3:4], off, off offset:312
	v_mov_b32_e32 v2, v1
	scratch_store_b64 off, v[1:2], off offset:312
	s_wait_loadcnt 0x0
	ds_store_b64 v23, v[3:4]
.LBB45_211:
	s_wait_alu 0xfffe
	s_or_b32 exec_lo, exec_lo, s0
	s_wait_storecnt_dscnt 0x0
	s_barrier_signal -1
	s_barrier_wait -1
	global_inv scope:SCOPE_SE
	s_clause 0x3
	scratch_load_b128 v[2:5], off, off offset:320
	scratch_load_b128 v[6:9], off, off offset:336
	;; [unrolled: 1-line block ×3, first 2 shown]
	scratch_load_b64 v[120:121], off, off offset:312
	ds_load_b128 v[14:17], v1 offset:688
	ds_load_b128 v[18:21], v1 offset:704
	;; [unrolled: 1-line block ×3, first 2 shown]
	s_mov_b32 s0, exec_lo
	s_wait_loadcnt_dscnt 0x302
	v_dual_mul_f32 v1, v14, v3 :: v_dual_mul_f32 v22, v16, v5
	v_mul_f32_e32 v3, v15, v3
	s_wait_loadcnt_dscnt 0x201
	v_dual_mul_f32 v5, v17, v5 :: v_dual_mul_f32 v122, v18, v7
	s_delay_alu instid0(VALU_DEP_3) | instskip(NEXT) | instid1(VALU_DEP_3)
	v_dual_mul_f32 v123, v20, v9 :: v_dual_fmac_f32 v22, v17, v4
	v_fma_f32 v3, v14, v2, -v3
	v_fmac_f32_e32 v1, v15, v2
	v_mul_f32_e32 v2, v19, v7
	v_fma_f32 v4, v16, v4, -v5
	s_wait_loadcnt_dscnt 0x100
	v_dual_mul_f32 v124, v24, v11 :: v_dual_mul_f32 v125, v26, v13
	v_dual_add_f32 v3, 0, v3 :: v_dual_fmac_f32 v122, v19, v6
	v_fma_f32 v2, v18, v6, -v2
	s_delay_alu instid0(VALU_DEP_3) | instskip(NEXT) | instid1(VALU_DEP_3)
	v_dual_fmac_f32 v124, v25, v10 :: v_dual_fmac_f32 v125, v27, v12
	v_dual_add_f32 v3, v3, v4 :: v_dual_mul_f32 v4, v25, v11
	s_delay_alu instid0(VALU_DEP_1) | instskip(NEXT) | instid1(VALU_DEP_2)
	v_dual_add_f32 v1, 0, v1 :: v_dual_add_f32 v2, v3, v2
	v_fma_f32 v4, v24, v10, -v4
	v_mul_f32_e32 v5, v21, v9
	v_mul_f32_e32 v3, v27, v13
	s_delay_alu instid0(VALU_DEP_2) | instskip(SKIP_1) | instid1(VALU_DEP_3)
	v_fma_f32 v5, v20, v8, -v5
	v_add_f32_e32 v1, v1, v22
	v_fma_f32 v3, v26, v12, -v3
	s_delay_alu instid0(VALU_DEP_2) | instskip(NEXT) | instid1(VALU_DEP_1)
	v_dual_add_f32 v2, v2, v5 :: v_dual_add_f32 v1, v1, v122
	v_add_f32_e32 v2, v2, v4
	s_delay_alu instid0(VALU_DEP_1) | instskip(NEXT) | instid1(VALU_DEP_1)
	v_dual_fmac_f32 v123, v21, v8 :: v_dual_add_f32 v2, v2, v3
	v_add_f32_e32 v1, v1, v123
	s_delay_alu instid0(VALU_DEP_1) | instskip(NEXT) | instid1(VALU_DEP_1)
	v_add_f32_e32 v1, v1, v124
	v_add_f32_e32 v3, v1, v125
	s_wait_loadcnt 0x0
	s_delay_alu instid0(VALU_DEP_1)
	v_dual_sub_f32 v1, v120, v2 :: v_dual_sub_f32 v2, v121, v3
	scratch_store_b64 off, v[1:2], off offset:312
	v_cmpx_lt_u32_e32 38, v0
	s_cbranch_execz .LBB45_213
; %bb.212:
	scratch_load_b64 v[1:2], off, off offset:304
	v_mov_b32_e32 v3, 0
	s_delay_alu instid0(VALU_DEP_1)
	v_mov_b32_e32 v4, v3
	scratch_store_b64 off, v[3:4], off offset:304
	s_wait_loadcnt 0x0
	ds_store_b64 v23, v[1:2]
.LBB45_213:
	s_wait_alu 0xfffe
	s_or_b32 exec_lo, exec_lo, s0
	s_wait_storecnt_dscnt 0x0
	s_barrier_signal -1
	s_barrier_wait -1
	global_inv scope:SCOPE_SE
	s_clause 0x4
	scratch_load_b128 v[2:5], off, off offset:312
	scratch_load_b128 v[6:9], off, off offset:328
	;; [unrolled: 1-line block ×3, first 2 shown]
	scratch_load_b64 v[120:121], off, off offset:360
	scratch_load_b64 v[122:123], off, off offset:304
	v_mov_b32_e32 v1, 0
	ds_load_2addr_b64 v[14:17], v1 offset0:85 offset1:86
	ds_load_2addr_b64 v[18:21], v1 offset0:87 offset1:88
	;; [unrolled: 1-line block ×3, first 2 shown]
	ds_load_b64 v[124:125], v1 offset:728
	s_mov_b32 s0, exec_lo
	s_wait_loadcnt_dscnt 0x403
	v_mul_f32_e32 v22, v14, v3
	s_wait_loadcnt_dscnt 0x302
	v_dual_mul_f32 v128, v20, v9 :: v_dual_mul_f32 v3, v15, v3
	v_dual_mul_f32 v126, v16, v5 :: v_dual_mul_f32 v127, v18, v7
	s_wait_loadcnt_dscnt 0x100
	v_dual_mul_f32 v131, v124, v121 :: v_dual_fmac_f32 v22, v15, v2
	v_mul_f32_e32 v5, v17, v5
	v_fma_f32 v3, v14, v2, -v3
	v_mul_f32_e32 v2, v19, v7
	v_fmac_f32_e32 v126, v17, v4
	v_fmac_f32_e32 v128, v21, v8
	v_fma_f32 v4, v16, v4, -v5
	v_add_f32_e32 v3, 0, v3
	v_add_f32_e32 v5, 0, v22
	v_fma_f32 v2, v18, v6, -v2
	v_fmac_f32_e32 v127, v19, v6
	v_dual_mul_f32 v129, v24, v11 :: v_dual_mul_f32 v130, v26, v13
	s_delay_alu instid0(VALU_DEP_4) | instskip(SKIP_1) | instid1(VALU_DEP_3)
	v_dual_add_f32 v3, v3, v4 :: v_dual_add_f32 v4, v5, v126
	v_mul_f32_e32 v7, v21, v9
	v_dual_mul_f32 v5, v25, v11 :: v_dual_fmac_f32 v130, v27, v12
	s_delay_alu instid0(VALU_DEP_3) | instskip(NEXT) | instid1(VALU_DEP_3)
	v_add_f32_e32 v2, v3, v2
	v_fma_f32 v6, v20, v8, -v7
	s_delay_alu instid0(VALU_DEP_1) | instskip(SKIP_3) | instid1(VALU_DEP_3)
	v_add_f32_e32 v2, v2, v6
	v_dual_mul_f32 v6, v125, v121 :: v_dual_add_f32 v3, v4, v127
	v_mul_f32_e32 v4, v27, v13
	v_fma_f32 v5, v24, v10, -v5
	v_add_f32_e32 v3, v3, v128
	s_delay_alu instid0(VALU_DEP_2) | instskip(NEXT) | instid1(VALU_DEP_4)
	v_dual_fmac_f32 v129, v25, v10 :: v_dual_add_f32 v2, v2, v5
	v_fma_f32 v4, v26, v12, -v4
	v_fma_f32 v5, v124, v120, -v6
	s_delay_alu instid0(VALU_DEP_2) | instskip(SKIP_1) | instid1(VALU_DEP_2)
	v_dual_add_f32 v3, v3, v129 :: v_dual_add_f32 v2, v2, v4
	v_fmac_f32_e32 v131, v125, v120
	v_dual_add_f32 v3, v3, v130 :: v_dual_add_f32 v2, v2, v5
	s_wait_loadcnt 0x0
	s_delay_alu instid0(VALU_DEP_1) | instskip(NEXT) | instid1(VALU_DEP_1)
	v_dual_add_f32 v3, v3, v131 :: v_dual_sub_f32 v2, v122, v2
	v_sub_f32_e32 v3, v123, v3
	scratch_store_b64 off, v[2:3], off offset:304
	v_cmpx_lt_u32_e32 37, v0
	s_cbranch_execz .LBB45_215
; %bb.214:
	scratch_load_b64 v[3:4], off, off offset:296
	v_mov_b32_e32 v2, v1
	scratch_store_b64 off, v[1:2], off offset:296
	s_wait_loadcnt 0x0
	ds_store_b64 v23, v[3:4]
.LBB45_215:
	s_wait_alu 0xfffe
	s_or_b32 exec_lo, exec_lo, s0
	s_wait_storecnt_dscnt 0x0
	s_barrier_signal -1
	s_barrier_wait -1
	global_inv scope:SCOPE_SE
	s_clause 0x4
	scratch_load_b128 v[2:5], off, off offset:304
	scratch_load_b128 v[6:9], off, off offset:320
	;; [unrolled: 1-line block ×4, first 2 shown]
	scratch_load_b64 v[128:129], off, off offset:296
	ds_load_b128 v[18:21], v1 offset:672
	ds_load_b128 v[24:27], v1 offset:688
	;; [unrolled: 1-line block ×4, first 2 shown]
	s_mov_b32 s0, exec_lo
	s_wait_loadcnt_dscnt 0x403
	v_dual_mul_f32 v1, v18, v3 :: v_dual_mul_f32 v22, v20, v5
	v_mul_f32_e32 v3, v19, v3
	s_wait_loadcnt_dscnt 0x302
	v_dual_mul_f32 v130, v24, v7 :: v_dual_mul_f32 v131, v26, v9
	s_delay_alu instid0(VALU_DEP_3) | instskip(NEXT) | instid1(VALU_DEP_3)
	v_dual_fmac_f32 v1, v19, v2 :: v_dual_fmac_f32 v22, v21, v4
	v_fma_f32 v3, v18, v2, -v3
	v_mul_f32_e32 v2, v25, v7
	s_wait_loadcnt_dscnt 0x201
	v_dual_mul_f32 v132, v120, v11 :: v_dual_mul_f32 v133, v122, v13
	s_delay_alu instid0(VALU_DEP_3) | instskip(NEXT) | instid1(VALU_DEP_3)
	v_dual_fmac_f32 v130, v25, v6 :: v_dual_add_f32 v3, 0, v3
	v_fma_f32 v2, v24, v6, -v2
	v_mul_f32_e32 v5, v21, v5
	s_delay_alu instid0(VALU_DEP_4) | instskip(SKIP_2) | instid1(VALU_DEP_3)
	v_dual_fmac_f32 v132, v121, v10 :: v_dual_add_f32 v1, 0, v1
	s_wait_loadcnt_dscnt 0x100
	v_dual_mul_f32 v134, v124, v15 :: v_dual_mul_f32 v135, v126, v17
	v_fma_f32 v4, v20, v4, -v5
	v_mul_f32_e32 v5, v27, v9
	s_delay_alu instid0(VALU_DEP_3) | instskip(NEXT) | instid1(VALU_DEP_4)
	v_dual_fmac_f32 v131, v27, v8 :: v_dual_fmac_f32 v134, v125, v14
	v_fmac_f32_e32 v135, v127, v16
	s_delay_alu instid0(VALU_DEP_3) | instskip(SKIP_1) | instid1(VALU_DEP_1)
	v_fma_f32 v5, v26, v8, -v5
	v_dual_add_f32 v3, v3, v4 :: v_dual_mul_f32 v4, v121, v11
	v_add_f32_e32 v2, v3, v2
	v_mul_f32_e32 v3, v123, v13
	s_delay_alu instid0(VALU_DEP_3) | instskip(NEXT) | instid1(VALU_DEP_3)
	v_fma_f32 v4, v120, v10, -v4
	v_dual_add_f32 v2, v2, v5 :: v_dual_add_f32 v1, v1, v22
	v_mul_f32_e32 v5, v125, v15
	s_delay_alu instid0(VALU_DEP_4) | instskip(NEXT) | instid1(VALU_DEP_3)
	v_fma_f32 v3, v122, v12, -v3
	v_dual_add_f32 v2, v2, v4 :: v_dual_add_f32 v1, v1, v130
	v_mul_f32_e32 v4, v127, v17
	v_fmac_f32_e32 v133, v123, v12
	v_fma_f32 v5, v124, v14, -v5
	s_delay_alu instid0(VALU_DEP_4) | instskip(SKIP_2) | instid1(VALU_DEP_2)
	v_add_f32_e32 v2, v2, v3
	v_add_f32_e32 v1, v1, v131
	v_fma_f32 v3, v126, v16, -v4
	v_dual_add_f32 v2, v2, v5 :: v_dual_add_f32 v1, v1, v132
	s_delay_alu instid0(VALU_DEP_1) | instskip(NEXT) | instid1(VALU_DEP_1)
	v_dual_add_f32 v2, v2, v3 :: v_dual_add_f32 v1, v1, v133
	v_add_f32_e32 v1, v1, v134
	s_delay_alu instid0(VALU_DEP_1) | instskip(SKIP_1) | instid1(VALU_DEP_1)
	v_add_f32_e32 v3, v1, v135
	s_wait_loadcnt 0x0
	v_dual_sub_f32 v1, v128, v2 :: v_dual_sub_f32 v2, v129, v3
	scratch_store_b64 off, v[1:2], off offset:296
	v_cmpx_lt_u32_e32 36, v0
	s_cbranch_execz .LBB45_217
; %bb.216:
	scratch_load_b64 v[1:2], off, off offset:288
	v_mov_b32_e32 v3, 0
	s_delay_alu instid0(VALU_DEP_1)
	v_mov_b32_e32 v4, v3
	scratch_store_b64 off, v[3:4], off offset:288
	s_wait_loadcnt 0x0
	ds_store_b64 v23, v[1:2]
.LBB45_217:
	s_wait_alu 0xfffe
	s_or_b32 exec_lo, exec_lo, s0
	s_wait_storecnt_dscnt 0x0
	s_barrier_signal -1
	s_barrier_wait -1
	global_inv scope:SCOPE_SE
	s_clause 0x5
	scratch_load_b128 v[2:5], off, off offset:296
	scratch_load_b128 v[6:9], off, off offset:312
	;; [unrolled: 1-line block ×4, first 2 shown]
	scratch_load_b64 v[128:129], off, off offset:360
	scratch_load_b64 v[130:131], off, off offset:288
	v_mov_b32_e32 v1, 0
	ds_load_2addr_b64 v[18:21], v1 offset0:83 offset1:84
	ds_load_2addr_b64 v[24:27], v1 offset0:85 offset1:86
	;; [unrolled: 1-line block ×4, first 2 shown]
	ds_load_b64 v[132:133], v1 offset:728
	s_mov_b32 s0, exec_lo
	s_wait_loadcnt_dscnt 0x504
	v_mul_f32_e32 v22, v18, v3
	v_dual_mul_f32 v134, v20, v5 :: v_dual_mul_f32 v3, v19, v3
	s_wait_loadcnt_dscnt 0x403
	v_dual_mul_f32 v135, v24, v7 :: v_dual_mul_f32 v136, v26, v9
	v_mul_f32_e32 v5, v21, v5
	s_wait_loadcnt_dscnt 0x100
	v_dual_mul_f32 v141, v132, v129 :: v_dual_fmac_f32 v22, v19, v2
	v_fma_f32 v3, v18, v2, -v3
	v_mul_f32_e32 v2, v25, v7
	v_fmac_f32_e32 v134, v21, v4
	v_fmac_f32_e32 v136, v27, v8
	v_fma_f32 v4, v20, v4, -v5
	v_add_f32_e32 v3, 0, v3
	v_add_f32_e32 v5, 0, v22
	v_mul_f32_e32 v7, v27, v9
	v_fma_f32 v2, v24, v6, -v2
	v_fmac_f32_e32 v135, v25, v6
	s_delay_alu instid0(VALU_DEP_4) | instskip(SKIP_3) | instid1(VALU_DEP_4)
	v_dual_add_f32 v3, v3, v4 :: v_dual_add_f32 v4, v5, v134
	v_mul_f32_e32 v5, v121, v11
	v_fma_f32 v6, v26, v8, -v7
	v_dual_mul_f32 v137, v120, v11 :: v_dual_mul_f32 v138, v122, v13
	v_dual_add_f32 v2, v3, v2 :: v_dual_add_f32 v3, v4, v135
	v_mul_f32_e32 v4, v123, v13
	v_fma_f32 v5, v120, v10, -v5
	s_delay_alu instid0(VALU_DEP_4) | instskip(NEXT) | instid1(VALU_DEP_4)
	v_fmac_f32_e32 v138, v123, v12
	v_add_f32_e32 v2, v2, v6
	v_fmac_f32_e32 v137, v121, v10
	v_dual_add_f32 v3, v3, v136 :: v_dual_mul_f32 v6, v125, v15
	v_fma_f32 v4, v122, v12, -v4
	s_delay_alu instid0(VALU_DEP_4) | instskip(SKIP_1) | instid1(VALU_DEP_4)
	v_dual_add_f32 v2, v2, v5 :: v_dual_mul_f32 v139, v124, v15
	v_mul_f32_e32 v140, v126, v17
	v_add_f32_e32 v3, v3, v137
	v_fma_f32 v6, v124, v14, -v6
	s_delay_alu instid0(VALU_DEP_4) | instskip(NEXT) | instid1(VALU_DEP_4)
	v_dual_add_f32 v2, v2, v4 :: v_dual_mul_f32 v5, v127, v17
	v_dual_fmac_f32 v139, v125, v14 :: v_dual_fmac_f32 v140, v127, v16
	s_delay_alu instid0(VALU_DEP_4) | instskip(NEXT) | instid1(VALU_DEP_3)
	v_dual_add_f32 v3, v3, v138 :: v_dual_mul_f32 v4, v133, v129
	v_add_f32_e32 v2, v2, v6
	s_delay_alu instid0(VALU_DEP_4) | instskip(NEXT) | instid1(VALU_DEP_3)
	v_fma_f32 v5, v126, v16, -v5
	v_add_f32_e32 v3, v3, v139
	s_delay_alu instid0(VALU_DEP_4) | instskip(NEXT) | instid1(VALU_DEP_2)
	v_fma_f32 v4, v132, v128, -v4
	v_dual_add_f32 v2, v2, v5 :: v_dual_add_f32 v3, v3, v140
	s_delay_alu instid0(VALU_DEP_1) | instskip(SKIP_1) | instid1(VALU_DEP_1)
	v_add_f32_e32 v2, v2, v4
	s_wait_loadcnt 0x0
	v_dual_fmac_f32 v141, v133, v128 :: v_dual_sub_f32 v2, v130, v2
	s_delay_alu instid0(VALU_DEP_1) | instskip(NEXT) | instid1(VALU_DEP_1)
	v_add_f32_e32 v3, v3, v141
	v_sub_f32_e32 v3, v131, v3
	scratch_store_b64 off, v[2:3], off offset:288
	v_cmpx_lt_u32_e32 35, v0
	s_cbranch_execz .LBB45_219
; %bb.218:
	scratch_load_b64 v[3:4], off, off offset:280
	v_mov_b32_e32 v2, v1
	scratch_store_b64 off, v[1:2], off offset:280
	s_wait_loadcnt 0x0
	ds_store_b64 v23, v[3:4]
.LBB45_219:
	s_wait_alu 0xfffe
	s_or_b32 exec_lo, exec_lo, s0
	s_wait_storecnt_dscnt 0x0
	s_barrier_signal -1
	s_barrier_wait -1
	global_inv scope:SCOPE_SE
	s_clause 0x5
	scratch_load_b128 v[2:5], off, off offset:288
	scratch_load_b128 v[6:9], off, off offset:304
	;; [unrolled: 1-line block ×5, first 2 shown]
	scratch_load_b64 v[136:137], off, off offset:280
	ds_load_b128 v[24:27], v1 offset:656
	ds_load_b128 v[120:123], v1 offset:672
	;; [unrolled: 1-line block ×5, first 2 shown]
	s_mov_b32 s0, exec_lo
	s_wait_loadcnt_dscnt 0x504
	v_dual_mul_f32 v1, v24, v3 :: v_dual_mul_f32 v22, v26, v5
	v_mul_f32_e32 v3, v25, v3
	s_wait_loadcnt_dscnt 0x403
	v_dual_mul_f32 v5, v27, v5 :: v_dual_mul_f32 v138, v120, v7
	s_delay_alu instid0(VALU_DEP_3) | instskip(NEXT) | instid1(VALU_DEP_3)
	v_dual_mul_f32 v139, v122, v9 :: v_dual_fmac_f32 v22, v27, v4
	v_fma_f32 v3, v24, v2, -v3
	v_fmac_f32_e32 v1, v25, v2
	v_mul_f32_e32 v2, v121, v7
	v_fma_f32 v4, v26, v4, -v5
	s_wait_loadcnt_dscnt 0x302
	v_dual_mul_f32 v140, v124, v11 :: v_dual_mul_f32 v141, v126, v13
	v_dual_add_f32 v3, 0, v3 :: v_dual_fmac_f32 v138, v121, v6
	s_wait_loadcnt_dscnt 0x201
	v_dual_mul_f32 v142, v128, v15 :: v_dual_mul_f32 v143, v130, v17
	s_delay_alu instid0(VALU_DEP_3) | instskip(SKIP_1) | instid1(VALU_DEP_3)
	v_dual_mul_f32 v5, v123, v9 :: v_dual_fmac_f32 v140, v125, v10
	v_fma_f32 v2, v120, v6, -v2
	v_dual_add_f32 v3, v3, v4 :: v_dual_fmac_f32 v142, v129, v14
	s_delay_alu instid0(VALU_DEP_3)
	v_fma_f32 v5, v122, v8, -v5
	v_mul_f32_e32 v4, v125, v11
	s_wait_loadcnt_dscnt 0x100
	v_dual_mul_f32 v144, v132, v19 :: v_dual_mul_f32 v145, v134, v21
	v_add_f32_e32 v2, v3, v2
	v_mul_f32_e32 v3, v127, v13
	v_fma_f32 v4, v124, v10, -v4
	s_delay_alu instid0(VALU_DEP_4) | instskip(NEXT) | instid1(VALU_DEP_4)
	v_dual_fmac_f32 v144, v133, v18 :: v_dual_fmac_f32 v143, v131, v16
	v_add_f32_e32 v2, v2, v5
	v_add_f32_e32 v1, 0, v1
	v_fma_f32 v3, v126, v12, -v3
	v_fmac_f32_e32 v145, v135, v20
	s_delay_alu instid0(VALU_DEP_3) | instskip(SKIP_1) | instid1(VALU_DEP_2)
	v_dual_add_f32 v2, v2, v4 :: v_dual_add_f32 v1, v1, v22
	v_mul_f32_e32 v4, v131, v17
	v_dual_fmac_f32 v139, v123, v8 :: v_dual_add_f32 v2, v2, v3
	s_delay_alu instid0(VALU_DEP_3) | instskip(NEXT) | instid1(VALU_DEP_3)
	v_add_f32_e32 v1, v1, v138
	v_fma_f32 v4, v130, v16, -v4
	v_mul_f32_e32 v5, v129, v15
	v_mul_f32_e32 v3, v133, v19
	s_delay_alu instid0(VALU_DEP_4) | instskip(NEXT) | instid1(VALU_DEP_3)
	v_add_f32_e32 v1, v1, v139
	v_fma_f32 v5, v128, v14, -v5
	v_fmac_f32_e32 v141, v127, v12
	s_delay_alu instid0(VALU_DEP_4) | instskip(NEXT) | instid1(VALU_DEP_3)
	v_fma_f32 v3, v132, v18, -v3
	v_add_f32_e32 v2, v2, v5
	s_delay_alu instid0(VALU_DEP_1) | instskip(SKIP_1) | instid1(VALU_DEP_2)
	v_dual_mul_f32 v5, v135, v21 :: v_dual_add_f32 v2, v2, v4
	v_add_f32_e32 v1, v1, v140
	v_fma_f32 v4, v134, v20, -v5
	s_delay_alu instid0(VALU_DEP_2) | instskip(NEXT) | instid1(VALU_DEP_1)
	v_dual_add_f32 v2, v2, v3 :: v_dual_add_f32 v1, v1, v141
	v_dual_add_f32 v2, v2, v4 :: v_dual_add_f32 v1, v1, v142
	s_delay_alu instid0(VALU_DEP_1) | instskip(NEXT) | instid1(VALU_DEP_1)
	v_add_f32_e32 v1, v1, v143
	v_add_f32_e32 v1, v1, v144
	s_delay_alu instid0(VALU_DEP_1) | instskip(SKIP_1) | instid1(VALU_DEP_1)
	v_add_f32_e32 v3, v1, v145
	s_wait_loadcnt 0x0
	v_dual_sub_f32 v1, v136, v2 :: v_dual_sub_f32 v2, v137, v3
	scratch_store_b64 off, v[1:2], off offset:280
	v_cmpx_lt_u32_e32 34, v0
	s_cbranch_execz .LBB45_221
; %bb.220:
	scratch_load_b64 v[1:2], off, off offset:272
	v_mov_b32_e32 v3, 0
	s_delay_alu instid0(VALU_DEP_1)
	v_mov_b32_e32 v4, v3
	scratch_store_b64 off, v[3:4], off offset:272
	s_wait_loadcnt 0x0
	ds_store_b64 v23, v[1:2]
.LBB45_221:
	s_wait_alu 0xfffe
	s_or_b32 exec_lo, exec_lo, s0
	s_wait_storecnt_dscnt 0x0
	s_barrier_signal -1
	s_barrier_wait -1
	global_inv scope:SCOPE_SE
	s_clause 0x6
	scratch_load_b128 v[2:5], off, off offset:280
	scratch_load_b128 v[6:9], off, off offset:296
	;; [unrolled: 1-line block ×5, first 2 shown]
	scratch_load_b64 v[136:137], off, off offset:360
	scratch_load_b64 v[138:139], off, off offset:272
	v_mov_b32_e32 v1, 0
	ds_load_2addr_b64 v[24:27], v1 offset0:81 offset1:82
	ds_load_2addr_b64 v[120:123], v1 offset0:83 offset1:84
	;; [unrolled: 1-line block ×5, first 2 shown]
	ds_load_b64 v[140:141], v1 offset:728
	s_mov_b32 s0, exec_lo
	s_wait_loadcnt_dscnt 0x605
	v_mul_f32_e32 v22, v24, v3
	v_dual_mul_f32 v3, v25, v3 :: v_dual_mul_f32 v142, v26, v5
	s_wait_loadcnt_dscnt 0x302
	v_dual_mul_f32 v143, v120, v7 :: v_dual_mul_f32 v148, v130, v17
	v_mul_f32_e32 v5, v27, v5
	s_delay_alu instid0(VALU_DEP_3)
	v_fma_f32 v3, v24, v2, -v3
	v_dual_mul_f32 v144, v122, v9 :: v_dual_mul_f32 v145, v124, v11
	s_wait_loadcnt_dscnt 0x100
	v_dual_mul_f32 v151, v140, v137 :: v_dual_fmac_f32 v22, v25, v2
	v_mul_f32_e32 v2, v121, v7
	v_dual_fmac_f32 v142, v27, v4 :: v_dual_add_f32 v3, 0, v3
	v_fma_f32 v4, v26, v4, -v5
	s_delay_alu instid0(VALU_DEP_4) | instskip(SKIP_2) | instid1(VALU_DEP_4)
	v_dual_add_f32 v5, 0, v22 :: v_dual_fmac_f32 v144, v123, v8
	v_mul_f32_e32 v7, v123, v9
	v_fma_f32 v2, v120, v6, -v2
	v_add_f32_e32 v3, v3, v4
	v_fmac_f32_e32 v143, v121, v6
	v_add_f32_e32 v4, v5, v142
	v_mul_f32_e32 v5, v125, v11
	v_fma_f32 v6, v122, v8, -v7
	v_add_f32_e32 v2, v3, v2
	v_dual_mul_f32 v146, v126, v13 :: v_dual_mul_f32 v147, v128, v15
	v_dual_add_f32 v3, v4, v143 :: v_dual_mul_f32 v4, v127, v13
	v_fma_f32 v5, v124, v10, -v5
	s_delay_alu instid0(VALU_DEP_4)
	v_add_f32_e32 v2, v2, v6
	v_fmac_f32_e32 v145, v125, v10
	v_mul_f32_e32 v6, v129, v15
	v_fmac_f32_e32 v146, v127, v12
	v_add_f32_e32 v3, v3, v144
	v_fma_f32 v4, v126, v12, -v4
	v_add_f32_e32 v2, v2, v5
	v_mul_f32_e32 v5, v131, v17
	v_fma_f32 v6, v128, v14, -v6
	v_add_f32_e32 v3, v3, v145
	v_dual_fmac_f32 v147, v129, v14 :: v_dual_fmac_f32 v148, v131, v16
	v_add_f32_e32 v2, v2, v4
	v_mul_f32_e32 v4, v133, v19
	v_fma_f32 v5, v130, v16, -v5
	v_dual_mul_f32 v149, v132, v19 :: v_dual_mul_f32 v150, v134, v21
	s_delay_alu instid0(VALU_DEP_4) | instskip(SKIP_1) | instid1(VALU_DEP_3)
	v_add_f32_e32 v2, v2, v6
	v_add_f32_e32 v3, v3, v146
	v_dual_mul_f32 v6, v135, v21 :: v_dual_fmac_f32 v149, v133, v18
	v_fma_f32 v4, v132, v18, -v4
	s_delay_alu instid0(VALU_DEP_3) | instskip(SKIP_1) | instid1(VALU_DEP_4)
	v_dual_add_f32 v2, v2, v5 :: v_dual_add_f32 v3, v3, v147
	v_dual_mul_f32 v5, v141, v137 :: v_dual_fmac_f32 v150, v135, v20
	v_fma_f32 v6, v134, v20, -v6
	s_delay_alu instid0(VALU_DEP_3) | instskip(NEXT) | instid1(VALU_DEP_4)
	v_add_f32_e32 v2, v2, v4
	v_add_f32_e32 v3, v3, v148
	s_delay_alu instid0(VALU_DEP_4) | instskip(NEXT) | instid1(VALU_DEP_2)
	v_fma_f32 v4, v140, v136, -v5
	v_dual_add_f32 v2, v2, v6 :: v_dual_add_f32 v3, v3, v149
	s_delay_alu instid0(VALU_DEP_1) | instskip(SKIP_1) | instid1(VALU_DEP_1)
	v_dual_add_f32 v2, v2, v4 :: v_dual_add_f32 v3, v3, v150
	s_wait_loadcnt 0x0
	v_dual_fmac_f32 v151, v141, v136 :: v_dual_sub_f32 v2, v138, v2
	s_delay_alu instid0(VALU_DEP_1) | instskip(NEXT) | instid1(VALU_DEP_1)
	v_add_f32_e32 v3, v3, v151
	v_sub_f32_e32 v3, v139, v3
	scratch_store_b64 off, v[2:3], off offset:272
	v_cmpx_lt_u32_e32 33, v0
	s_cbranch_execz .LBB45_223
; %bb.222:
	scratch_load_b64 v[3:4], off, off offset:264
	v_mov_b32_e32 v2, v1
	scratch_store_b64 off, v[1:2], off offset:264
	s_wait_loadcnt 0x0
	ds_store_b64 v23, v[3:4]
.LBB45_223:
	s_wait_alu 0xfffe
	s_or_b32 exec_lo, exec_lo, s0
	s_wait_storecnt_dscnt 0x0
	s_barrier_signal -1
	s_barrier_wait -1
	global_inv scope:SCOPE_SE
	s_clause 0x6
	scratch_load_b128 v[2:5], off, off offset:272
	scratch_load_b128 v[6:9], off, off offset:288
	;; [unrolled: 1-line block ×6, first 2 shown]
	scratch_load_b64 v[144:145], off, off offset:264
	ds_load_b128 v[120:123], v1 offset:640
	ds_load_b128 v[124:127], v1 offset:656
	;; [unrolled: 1-line block ×6, first 2 shown]
	s_mov_b32 s0, exec_lo
	s_wait_loadcnt_dscnt 0x605
	v_dual_mul_f32 v1, v120, v3 :: v_dual_mul_f32 v22, v122, v5
	v_mul_f32_e32 v3, v121, v3
	s_wait_loadcnt_dscnt 0x504
	v_dual_mul_f32 v5, v123, v5 :: v_dual_mul_f32 v146, v124, v7
	v_mul_f32_e32 v147, v126, v9
	s_wait_loadcnt_dscnt 0x100
	v_mul_f32_e32 v154, v140, v25
	v_fma_f32 v3, v120, v2, -v3
	v_dual_mul_f32 v155, v142, v27 :: v_dual_fmac_f32 v22, v123, v4
	v_fmac_f32_e32 v1, v121, v2
	v_mul_f32_e32 v2, v125, v7
	v_fma_f32 v4, v122, v4, -v5
	v_dual_add_f32 v3, 0, v3 :: v_dual_fmac_f32 v146, v125, v6
	v_dual_mul_f32 v148, v128, v11 :: v_dual_mul_f32 v149, v130, v13
	v_dual_mul_f32 v150, v132, v15 :: v_dual_mul_f32 v151, v134, v17
	s_delay_alu instid0(VALU_DEP_2) | instskip(SKIP_1) | instid1(VALU_DEP_3)
	v_dual_mul_f32 v5, v127, v9 :: v_dual_fmac_f32 v148, v129, v10
	v_fma_f32 v2, v124, v6, -v2
	v_dual_add_f32 v3, v3, v4 :: v_dual_fmac_f32 v150, v133, v14
	s_delay_alu instid0(VALU_DEP_3) | instskip(SKIP_2) | instid1(VALU_DEP_4)
	v_fma_f32 v5, v126, v8, -v5
	v_mul_f32_e32 v4, v129, v11
	v_dual_mul_f32 v152, v136, v19 :: v_dual_mul_f32 v153, v138, v21
	v_add_f32_e32 v2, v3, v2
	v_mul_f32_e32 v3, v131, v13
	s_delay_alu instid0(VALU_DEP_4) | instskip(NEXT) | instid1(VALU_DEP_4)
	v_fma_f32 v4, v128, v10, -v4
	v_dual_fmac_f32 v152, v137, v18 :: v_dual_fmac_f32 v151, v135, v16
	s_delay_alu instid0(VALU_DEP_4) | instskip(SKIP_3) | instid1(VALU_DEP_4)
	v_add_f32_e32 v2, v2, v5
	v_add_f32_e32 v1, 0, v1
	v_fma_f32 v3, v130, v12, -v3
	v_fmac_f32_e32 v153, v139, v20
	v_dual_fmac_f32 v155, v143, v26 :: v_dual_add_f32 v2, v2, v4
	s_delay_alu instid0(VALU_DEP_4) | instskip(SKIP_2) | instid1(VALU_DEP_3)
	v_dual_add_f32 v1, v1, v22 :: v_dual_mul_f32 v4, v135, v17
	v_fmac_f32_e32 v147, v127, v8
	v_fmac_f32_e32 v154, v141, v24
	v_dual_add_f32 v2, v2, v3 :: v_dual_add_f32 v1, v1, v146
	s_delay_alu instid0(VALU_DEP_4) | instskip(SKIP_1) | instid1(VALU_DEP_3)
	v_fma_f32 v4, v134, v16, -v4
	v_mul_f32_e32 v5, v133, v15
	v_add_f32_e32 v1, v1, v147
	s_delay_alu instid0(VALU_DEP_2) | instskip(NEXT) | instid1(VALU_DEP_1)
	v_fma_f32 v5, v132, v14, -v5
	v_dual_fmac_f32 v149, v131, v12 :: v_dual_add_f32 v2, v2, v5
	s_delay_alu instid0(VALU_DEP_1) | instskip(NEXT) | instid1(VALU_DEP_1)
	v_dual_mul_f32 v5, v139, v21 :: v_dual_add_f32 v2, v2, v4
	v_fma_f32 v5, v138, v20, -v5
	v_mul_f32_e32 v3, v137, v19
	v_mul_f32_e32 v4, v141, v25
	s_delay_alu instid0(VALU_DEP_2) | instskip(SKIP_1) | instid1(VALU_DEP_3)
	v_fma_f32 v3, v136, v18, -v3
	v_add_f32_e32 v1, v1, v148
	v_fma_f32 v4, v140, v24, -v4
	s_delay_alu instid0(VALU_DEP_3) | instskip(NEXT) | instid1(VALU_DEP_1)
	v_add_f32_e32 v2, v2, v3
	v_dual_mul_f32 v3, v143, v27 :: v_dual_add_f32 v2, v2, v5
	s_delay_alu instid0(VALU_DEP_4) | instskip(NEXT) | instid1(VALU_DEP_2)
	v_add_f32_e32 v1, v1, v149
	v_fma_f32 v3, v142, v26, -v3
	s_delay_alu instid0(VALU_DEP_2) | instskip(NEXT) | instid1(VALU_DEP_1)
	v_dual_add_f32 v2, v2, v4 :: v_dual_add_f32 v1, v1, v150
	v_add_f32_e32 v2, v2, v3
	s_delay_alu instid0(VALU_DEP_2) | instskip(NEXT) | instid1(VALU_DEP_1)
	v_add_f32_e32 v1, v1, v151
	v_add_f32_e32 v1, v1, v152
	s_delay_alu instid0(VALU_DEP_1) | instskip(NEXT) | instid1(VALU_DEP_1)
	v_add_f32_e32 v1, v1, v153
	v_add_f32_e32 v1, v1, v154
	s_delay_alu instid0(VALU_DEP_1) | instskip(SKIP_1) | instid1(VALU_DEP_1)
	v_add_f32_e32 v3, v1, v155
	s_wait_loadcnt 0x0
	v_dual_sub_f32 v1, v144, v2 :: v_dual_sub_f32 v2, v145, v3
	scratch_store_b64 off, v[1:2], off offset:264
	v_cmpx_lt_u32_e32 32, v0
	s_cbranch_execz .LBB45_225
; %bb.224:
	scratch_load_b64 v[1:2], off, off offset:256
	v_mov_b32_e32 v3, 0
	s_delay_alu instid0(VALU_DEP_1)
	v_mov_b32_e32 v4, v3
	scratch_store_b64 off, v[3:4], off offset:256
	s_wait_loadcnt 0x0
	ds_store_b64 v23, v[1:2]
.LBB45_225:
	s_wait_alu 0xfffe
	s_or_b32 exec_lo, exec_lo, s0
	s_wait_storecnt_dscnt 0x0
	s_barrier_signal -1
	s_barrier_wait -1
	global_inv scope:SCOPE_SE
	s_clause 0x7
	scratch_load_b128 v[2:5], off, off offset:264
	scratch_load_b128 v[6:9], off, off offset:280
	;; [unrolled: 1-line block ×6, first 2 shown]
	scratch_load_b64 v[144:145], off, off offset:360
	scratch_load_b64 v[146:147], off, off offset:256
	v_mov_b32_e32 v1, 0
	ds_load_2addr_b64 v[120:123], v1 offset0:79 offset1:80
	ds_load_2addr_b64 v[124:127], v1 offset0:81 offset1:82
	;; [unrolled: 1-line block ×6, first 2 shown]
	ds_load_b64 v[148:149], v1 offset:728
	s_mov_b32 s0, exec_lo
	s_wait_loadcnt_dscnt 0x706
	v_mul_f32_e32 v22, v120, v3
	v_dual_mul_f32 v3, v121, v3 :: v_dual_mul_f32 v150, v122, v5
	s_wait_loadcnt_dscnt 0x302
	v_dual_mul_f32 v151, v124, v7 :: v_dual_mul_f32 v158, v138, v21
	v_mul_f32_e32 v5, v123, v5
	s_delay_alu instid0(VALU_DEP_3)
	v_fma_f32 v3, v120, v2, -v3
	v_dual_mul_f32 v152, v126, v9 :: v_dual_mul_f32 v153, v128, v11
	s_wait_loadcnt_dscnt 0x100
	v_dual_mul_f32 v161, v148, v145 :: v_dual_fmac_f32 v22, v121, v2
	v_mul_f32_e32 v2, v125, v7
	v_dual_fmac_f32 v150, v123, v4 :: v_dual_add_f32 v3, 0, v3
	v_fma_f32 v4, v122, v4, -v5
	s_delay_alu instid0(VALU_DEP_4) | instskip(SKIP_2) | instid1(VALU_DEP_4)
	v_dual_add_f32 v5, 0, v22 :: v_dual_fmac_f32 v152, v127, v8
	v_mul_f32_e32 v7, v127, v9
	v_fma_f32 v2, v124, v6, -v2
	v_add_f32_e32 v3, v3, v4
	v_fmac_f32_e32 v151, v125, v6
	v_add_f32_e32 v4, v5, v150
	v_mul_f32_e32 v5, v129, v11
	v_fma_f32 v6, v126, v8, -v7
	v_add_f32_e32 v2, v3, v2
	v_dual_mul_f32 v154, v130, v13 :: v_dual_mul_f32 v155, v132, v15
	v_dual_add_f32 v3, v4, v151 :: v_dual_mul_f32 v4, v131, v13
	v_fma_f32 v5, v128, v10, -v5
	s_delay_alu instid0(VALU_DEP_4)
	v_add_f32_e32 v2, v2, v6
	v_fmac_f32_e32 v153, v129, v10
	v_mul_f32_e32 v6, v133, v15
	v_fmac_f32_e32 v154, v131, v12
	v_add_f32_e32 v3, v3, v152
	v_fma_f32 v4, v130, v12, -v4
	v_add_f32_e32 v2, v2, v5
	v_dual_mul_f32 v156, v134, v17 :: v_dual_mul_f32 v157, v136, v19
	s_delay_alu instid0(VALU_DEP_4)
	v_add_f32_e32 v3, v3, v153
	v_mul_f32_e32 v5, v135, v17
	v_fma_f32 v6, v132, v14, -v6
	v_dual_add_f32 v2, v2, v4 :: v_dual_fmac_f32 v155, v133, v14
	v_fmac_f32_e32 v156, v135, v16
	v_mul_f32_e32 v4, v137, v19
	v_fma_f32 v5, v134, v16, -v5
	s_delay_alu instid0(VALU_DEP_4) | instskip(SKIP_3) | instid1(VALU_DEP_3)
	v_add_f32_e32 v2, v2, v6
	v_add_f32_e32 v3, v3, v154
	v_dual_mul_f32 v6, v139, v21 :: v_dual_fmac_f32 v157, v137, v18
	v_fma_f32 v4, v136, v18, -v4
	v_dual_add_f32 v2, v2, v5 :: v_dual_add_f32 v3, v3, v155
	s_delay_alu instid0(VALU_DEP_3) | instskip(SKIP_1) | instid1(VALU_DEP_3)
	v_fma_f32 v6, v138, v20, -v6
	v_dual_mul_f32 v159, v140, v25 :: v_dual_mul_f32 v160, v142, v27
	v_add_f32_e32 v2, v2, v4
	s_delay_alu instid0(VALU_DEP_4) | instskip(SKIP_1) | instid1(VALU_DEP_4)
	v_add_f32_e32 v3, v3, v156
	v_dual_mul_f32 v5, v141, v25 :: v_dual_fmac_f32 v158, v139, v20
	v_dual_mul_f32 v4, v143, v27 :: v_dual_fmac_f32 v159, v141, v24
	s_delay_alu instid0(VALU_DEP_3) | instskip(NEXT) | instid1(VALU_DEP_3)
	v_dual_add_f32 v2, v2, v6 :: v_dual_add_f32 v3, v3, v157
	v_fma_f32 v5, v140, v24, -v5
	v_mul_f32_e32 v6, v149, v145
	v_dual_fmac_f32 v160, v143, v26 :: v_dual_fmac_f32 v161, v149, v144
	s_delay_alu instid0(VALU_DEP_4) | instskip(SKIP_3) | instid1(VALU_DEP_4)
	v_add_f32_e32 v3, v3, v158
	v_fma_f32 v4, v142, v26, -v4
	v_add_f32_e32 v2, v2, v5
	v_fma_f32 v5, v148, v144, -v6
	v_add_f32_e32 v3, v3, v159
	s_delay_alu instid0(VALU_DEP_1) | instskip(NEXT) | instid1(VALU_DEP_1)
	v_add_f32_e32 v3, v3, v160
	v_dual_add_f32 v2, v2, v4 :: v_dual_add_f32 v3, v3, v161
	s_wait_loadcnt 0x0
	s_delay_alu instid0(VALU_DEP_1) | instskip(NEXT) | instid1(VALU_DEP_1)
	v_dual_add_f32 v2, v2, v5 :: v_dual_sub_f32 v3, v147, v3
	v_sub_f32_e32 v2, v146, v2
	scratch_store_b64 off, v[2:3], off offset:256
	v_cmpx_lt_u32_e32 31, v0
	s_cbranch_execz .LBB45_227
; %bb.226:
	scratch_load_b64 v[3:4], off, off offset:248
	v_mov_b32_e32 v2, v1
	scratch_store_b64 off, v[1:2], off offset:248
	s_wait_loadcnt 0x0
	ds_store_b64 v23, v[3:4]
.LBB45_227:
	s_wait_alu 0xfffe
	s_or_b32 exec_lo, exec_lo, s0
	s_wait_storecnt_dscnt 0x0
	s_barrier_signal -1
	s_barrier_wait -1
	global_inv scope:SCOPE_SE
	s_clause 0x7
	scratch_load_b128 v[2:5], off, off offset:256
	scratch_load_b128 v[6:9], off, off offset:272
	;; [unrolled: 1-line block ×7, first 2 shown]
	scratch_load_b64 v[152:153], off, off offset:248
	ds_load_b128 v[124:127], v1 offset:624
	ds_load_b128 v[128:131], v1 offset:640
	;; [unrolled: 1-line block ×7, first 2 shown]
	s_mov_b32 s0, exec_lo
	s_wait_loadcnt_dscnt 0x706
	v_dual_mul_f32 v1, v124, v3 :: v_dual_mul_f32 v22, v126, v5
	v_mul_f32_e32 v3, v125, v3
	s_wait_loadcnt_dscnt 0x605
	v_dual_mul_f32 v5, v127, v5 :: v_dual_mul_f32 v154, v128, v7
	v_mul_f32_e32 v155, v130, v9
	s_wait_loadcnt_dscnt 0x201
	v_mul_f32_e32 v162, v144, v25
	v_fma_f32 v3, v124, v2, -v3
	s_wait_loadcnt_dscnt 0x100
	v_dual_mul_f32 v165, v150, v123 :: v_dual_fmac_f32 v22, v127, v4
	v_fmac_f32_e32 v1, v125, v2
	v_mul_f32_e32 v2, v129, v7
	v_fma_f32 v4, v126, v4, -v5
	v_dual_add_f32 v3, 0, v3 :: v_dual_fmac_f32 v154, v129, v6
	v_dual_mul_f32 v156, v132, v11 :: v_dual_mul_f32 v157, v134, v13
	v_dual_mul_f32 v158, v136, v15 :: v_dual_mul_f32 v159, v138, v17
	s_delay_alu instid0(VALU_DEP_2) | instskip(SKIP_1) | instid1(VALU_DEP_3)
	v_dual_mul_f32 v5, v131, v9 :: v_dual_fmac_f32 v156, v133, v10
	v_fma_f32 v2, v128, v6, -v2
	v_dual_add_f32 v3, v3, v4 :: v_dual_fmac_f32 v158, v137, v14
	s_delay_alu instid0(VALU_DEP_3) | instskip(SKIP_1) | instid1(VALU_DEP_3)
	v_fma_f32 v5, v130, v8, -v5
	v_dual_mul_f32 v160, v140, v19 :: v_dual_mul_f32 v161, v142, v21
	v_add_f32_e32 v2, v3, v2
	v_dual_mul_f32 v4, v133, v11 :: v_dual_mul_f32 v3, v135, v13
	s_delay_alu instid0(VALU_DEP_3) | instskip(NEXT) | instid1(VALU_DEP_3)
	v_dual_fmac_f32 v160, v141, v18 :: v_dual_fmac_f32 v159, v139, v16
	v_add_f32_e32 v2, v2, v5
	v_add_f32_e32 v1, 0, v1
	s_delay_alu instid0(VALU_DEP_4) | instskip(SKIP_2) | instid1(VALU_DEP_3)
	v_fma_f32 v4, v132, v10, -v4
	v_fma_f32 v3, v134, v12, -v3
	v_dual_mul_f32 v163, v146, v27 :: v_dual_mul_f32 v164, v148, v121
	v_dual_add_f32 v1, v1, v22 :: v_dual_add_f32 v2, v2, v4
	v_mul_f32_e32 v4, v139, v17
	v_fmac_f32_e32 v155, v131, v8
	s_delay_alu instid0(VALU_DEP_4) | instskip(NEXT) | instid1(VALU_DEP_4)
	v_fmac_f32_e32 v163, v147, v26
	v_dual_add_f32 v1, v1, v154 :: v_dual_add_f32 v2, v2, v3
	s_delay_alu instid0(VALU_DEP_4) | instskip(SKIP_2) | instid1(VALU_DEP_4)
	v_fma_f32 v4, v138, v16, -v4
	v_mul_f32_e32 v5, v137, v15
	v_fmac_f32_e32 v165, v151, v122
	v_add_f32_e32 v1, v1, v155
	v_fmac_f32_e32 v162, v145, v24
	v_fmac_f32_e32 v164, v149, v120
	v_fma_f32 v5, v136, v14, -v5
	s_delay_alu instid0(VALU_DEP_1) | instskip(NEXT) | instid1(VALU_DEP_1)
	v_dual_fmac_f32 v157, v135, v12 :: v_dual_add_f32 v2, v2, v5
	v_dual_mul_f32 v5, v143, v21 :: v_dual_add_f32 v2, v2, v4
	s_delay_alu instid0(VALU_DEP_1) | instskip(SKIP_2) | instid1(VALU_DEP_2)
	v_fma_f32 v5, v142, v20, -v5
	v_mul_f32_e32 v3, v141, v19
	v_mul_f32_e32 v4, v145, v25
	v_fma_f32 v3, v140, v18, -v3
	v_add_f32_e32 v1, v1, v156
	s_delay_alu instid0(VALU_DEP_3) | instskip(NEXT) | instid1(VALU_DEP_3)
	v_fma_f32 v4, v144, v24, -v4
	v_add_f32_e32 v2, v2, v3
	s_delay_alu instid0(VALU_DEP_1) | instskip(NEXT) | instid1(VALU_DEP_4)
	v_dual_mul_f32 v3, v147, v27 :: v_dual_add_f32 v2, v2, v5
	v_add_f32_e32 v1, v1, v157
	v_mul_f32_e32 v5, v149, v121
	s_delay_alu instid0(VALU_DEP_3) | instskip(NEXT) | instid1(VALU_DEP_3)
	v_fma_f32 v3, v146, v26, -v3
	v_dual_add_f32 v2, v2, v4 :: v_dual_add_f32 v1, v1, v158
	v_mul_f32_e32 v4, v151, v123
	v_fmac_f32_e32 v161, v143, v20
	v_fma_f32 v5, v148, v120, -v5
	s_delay_alu instid0(VALU_DEP_4) | instskip(SKIP_2) | instid1(VALU_DEP_2)
	v_add_f32_e32 v2, v2, v3
	v_add_f32_e32 v1, v1, v159
	v_fma_f32 v3, v150, v122, -v4
	v_dual_add_f32 v2, v2, v5 :: v_dual_add_f32 v1, v1, v160
	s_delay_alu instid0(VALU_DEP_1) | instskip(NEXT) | instid1(VALU_DEP_1)
	v_dual_add_f32 v2, v2, v3 :: v_dual_add_f32 v1, v1, v161
	v_add_f32_e32 v1, v1, v162
	s_delay_alu instid0(VALU_DEP_1) | instskip(NEXT) | instid1(VALU_DEP_1)
	v_add_f32_e32 v1, v1, v163
	v_add_f32_e32 v1, v1, v164
	s_delay_alu instid0(VALU_DEP_1) | instskip(SKIP_1) | instid1(VALU_DEP_1)
	v_add_f32_e32 v3, v1, v165
	s_wait_loadcnt 0x0
	v_dual_sub_f32 v1, v152, v2 :: v_dual_sub_f32 v2, v153, v3
	scratch_store_b64 off, v[1:2], off offset:248
	v_cmpx_lt_u32_e32 30, v0
	s_cbranch_execz .LBB45_229
; %bb.228:
	scratch_load_b64 v[1:2], off, off offset:240
	v_mov_b32_e32 v3, 0
	s_delay_alu instid0(VALU_DEP_1)
	v_mov_b32_e32 v4, v3
	scratch_store_b64 off, v[3:4], off offset:240
	s_wait_loadcnt 0x0
	ds_store_b64 v23, v[1:2]
.LBB45_229:
	s_wait_alu 0xfffe
	s_or_b32 exec_lo, exec_lo, s0
	s_wait_storecnt_dscnt 0x0
	s_barrier_signal -1
	s_barrier_wait -1
	global_inv scope:SCOPE_SE
	s_clause 0x8
	scratch_load_b128 v[2:5], off, off offset:248
	scratch_load_b128 v[6:9], off, off offset:264
	scratch_load_b128 v[10:13], off, off offset:280
	scratch_load_b128 v[14:17], off, off offset:296
	scratch_load_b128 v[18:21], off, off offset:312
	scratch_load_b128 v[24:27], off, off offset:328
	scratch_load_b128 v[120:123], off, off offset:344
	scratch_load_b64 v[152:153], off, off offset:360
	scratch_load_b64 v[154:155], off, off offset:240
	v_mov_b32_e32 v1, 0
	ds_load_2addr_b64 v[124:127], v1 offset0:77 offset1:78
	ds_load_2addr_b64 v[128:131], v1 offset0:79 offset1:80
	;; [unrolled: 1-line block ×7, first 2 shown]
	ds_load_b64 v[156:157], v1 offset:728
	s_mov_b32 s0, exec_lo
	s_wait_loadcnt_dscnt 0x807
	v_mul_f32_e32 v22, v124, v3
	v_dual_mul_f32 v3, v125, v3 :: v_dual_mul_f32 v158, v126, v5
	s_wait_loadcnt_dscnt 0x403
	v_dual_mul_f32 v159, v128, v7 :: v_dual_mul_f32 v166, v142, v21
	v_mul_f32_e32 v5, v127, v5
	s_delay_alu instid0(VALU_DEP_3)
	v_fma_f32 v3, v124, v2, -v3
	v_dual_mul_f32 v160, v130, v9 :: v_dual_mul_f32 v161, v132, v11
	s_wait_loadcnt_dscnt 0x100
	v_dual_mul_f32 v171, v156, v153 :: v_dual_fmac_f32 v22, v125, v2
	v_mul_f32_e32 v2, v129, v7
	v_dual_fmac_f32 v158, v127, v4 :: v_dual_add_f32 v3, 0, v3
	v_fma_f32 v4, v126, v4, -v5
	s_delay_alu instid0(VALU_DEP_4) | instskip(SKIP_2) | instid1(VALU_DEP_4)
	v_dual_add_f32 v5, 0, v22 :: v_dual_fmac_f32 v160, v131, v8
	v_mul_f32_e32 v7, v131, v9
	v_fma_f32 v2, v128, v6, -v2
	v_add_f32_e32 v3, v3, v4
	v_fmac_f32_e32 v159, v129, v6
	v_add_f32_e32 v4, v5, v158
	v_mul_f32_e32 v5, v133, v11
	v_fma_f32 v6, v130, v8, -v7
	v_add_f32_e32 v2, v3, v2
	v_dual_mul_f32 v162, v134, v13 :: v_dual_mul_f32 v163, v136, v15
	v_dual_add_f32 v3, v4, v159 :: v_dual_mul_f32 v4, v135, v13
	v_fma_f32 v5, v132, v10, -v5
	s_delay_alu instid0(VALU_DEP_4)
	v_add_f32_e32 v2, v2, v6
	v_fmac_f32_e32 v161, v133, v10
	v_mul_f32_e32 v6, v137, v15
	v_fmac_f32_e32 v162, v135, v12
	v_add_f32_e32 v3, v3, v160
	v_fma_f32 v4, v134, v12, -v4
	v_add_f32_e32 v2, v2, v5
	v_dual_mul_f32 v164, v138, v17 :: v_dual_mul_f32 v165, v140, v19
	s_delay_alu instid0(VALU_DEP_4)
	v_add_f32_e32 v3, v3, v161
	v_mul_f32_e32 v5, v139, v17
	v_fma_f32 v6, v136, v14, -v6
	v_dual_add_f32 v2, v2, v4 :: v_dual_fmac_f32 v163, v137, v14
	v_fmac_f32_e32 v164, v139, v16
	v_mul_f32_e32 v4, v141, v19
	v_fma_f32 v5, v138, v16, -v5
	s_delay_alu instid0(VALU_DEP_4) | instskip(SKIP_3) | instid1(VALU_DEP_3)
	v_add_f32_e32 v2, v2, v6
	v_add_f32_e32 v3, v3, v162
	v_dual_mul_f32 v6, v143, v21 :: v_dual_fmac_f32 v165, v141, v18
	v_fma_f32 v4, v140, v18, -v4
	v_dual_add_f32 v2, v2, v5 :: v_dual_add_f32 v3, v3, v163
	s_delay_alu instid0(VALU_DEP_3) | instskip(SKIP_1) | instid1(VALU_DEP_3)
	v_fma_f32 v6, v142, v20, -v6
	v_dual_mul_f32 v167, v144, v25 :: v_dual_mul_f32 v168, v146, v27
	v_add_f32_e32 v2, v2, v4
	s_delay_alu instid0(VALU_DEP_4) | instskip(SKIP_1) | instid1(VALU_DEP_4)
	v_add_f32_e32 v3, v3, v164
	v_dual_mul_f32 v5, v145, v25 :: v_dual_fmac_f32 v166, v143, v20
	v_dual_mul_f32 v4, v147, v27 :: v_dual_fmac_f32 v167, v145, v24
	s_delay_alu instid0(VALU_DEP_3) | instskip(NEXT) | instid1(VALU_DEP_3)
	v_dual_add_f32 v2, v2, v6 :: v_dual_add_f32 v3, v3, v165
	v_fma_f32 v5, v144, v24, -v5
	v_dual_mul_f32 v169, v148, v121 :: v_dual_mul_f32 v170, v150, v123
	s_delay_alu instid0(VALU_DEP_3) | instskip(NEXT) | instid1(VALU_DEP_2)
	v_dual_mul_f32 v6, v149, v121 :: v_dual_add_f32 v3, v3, v166
	v_dual_fmac_f32 v168, v147, v26 :: v_dual_fmac_f32 v169, v149, v120
	v_fma_f32 v4, v146, v26, -v4
	s_delay_alu instid0(VALU_DEP_3) | instskip(SKIP_3) | instid1(VALU_DEP_4)
	v_dual_add_f32 v2, v2, v5 :: v_dual_add_f32 v3, v3, v167
	v_mul_f32_e32 v5, v151, v123
	v_fma_f32 v6, v148, v120, -v6
	v_dual_fmac_f32 v170, v151, v122 :: v_dual_fmac_f32 v171, v157, v152
	v_add_f32_e32 v2, v2, v4
	v_dual_add_f32 v3, v3, v168 :: v_dual_mul_f32 v4, v157, v153
	v_fma_f32 v5, v150, v122, -v5
	s_delay_alu instid0(VALU_DEP_2) | instskip(NEXT) | instid1(VALU_DEP_3)
	v_dual_add_f32 v2, v2, v6 :: v_dual_add_f32 v3, v3, v169
	v_fma_f32 v4, v156, v152, -v4
	s_delay_alu instid0(VALU_DEP_2) | instskip(NEXT) | instid1(VALU_DEP_1)
	v_dual_add_f32 v2, v2, v5 :: v_dual_add_f32 v3, v3, v170
	v_dual_add_f32 v2, v2, v4 :: v_dual_add_f32 v3, v3, v171
	s_wait_loadcnt 0x0
	s_delay_alu instid0(VALU_DEP_1)
	v_dual_sub_f32 v2, v154, v2 :: v_dual_sub_f32 v3, v155, v3
	scratch_store_b64 off, v[2:3], off offset:240
	v_cmpx_lt_u32_e32 29, v0
	s_cbranch_execz .LBB45_231
; %bb.230:
	scratch_load_b64 v[3:4], off, off offset:232
	v_mov_b32_e32 v2, v1
	scratch_store_b64 off, v[1:2], off offset:232
	s_wait_loadcnt 0x0
	ds_store_b64 v23, v[3:4]
.LBB45_231:
	s_wait_alu 0xfffe
	s_or_b32 exec_lo, exec_lo, s0
	s_wait_storecnt_dscnt 0x0
	s_barrier_signal -1
	s_barrier_wait -1
	global_inv scope:SCOPE_SE
	s_clause 0x8
	scratch_load_b128 v[2:5], off, off offset:240
	scratch_load_b128 v[6:9], off, off offset:256
	;; [unrolled: 1-line block ×8, first 2 shown]
	scratch_load_b64 v[160:161], off, off offset:232
	ds_load_b128 v[128:131], v1 offset:608
	ds_load_b128 v[132:135], v1 offset:624
	;; [unrolled: 1-line block ×8, first 2 shown]
	s_mov_b32 s0, exec_lo
	s_wait_loadcnt_dscnt 0x807
	v_dual_mul_f32 v1, v128, v3 :: v_dual_mul_f32 v22, v130, v5
	v_mul_f32_e32 v3, v129, v3
	s_wait_loadcnt_dscnt 0x706
	v_dual_mul_f32 v5, v131, v5 :: v_dual_mul_f32 v162, v132, v7
	v_mul_f32_e32 v163, v134, v9
	s_wait_loadcnt_dscnt 0x201
	v_mul_f32_e32 v172, v152, v121
	v_fma_f32 v3, v128, v2, -v3
	s_wait_loadcnt_dscnt 0x100
	v_dual_mul_f32 v175, v158, v127 :: v_dual_fmac_f32 v22, v131, v4
	v_fmac_f32_e32 v1, v129, v2
	v_mul_f32_e32 v2, v133, v7
	v_fma_f32 v4, v130, v4, -v5
	v_dual_add_f32 v3, 0, v3 :: v_dual_fmac_f32 v162, v133, v6
	v_dual_mul_f32 v164, v136, v11 :: v_dual_mul_f32 v165, v138, v13
	v_dual_mul_f32 v166, v140, v15 :: v_dual_mul_f32 v167, v142, v17
	s_delay_alu instid0(VALU_DEP_2) | instskip(SKIP_1) | instid1(VALU_DEP_3)
	v_dual_mul_f32 v5, v135, v9 :: v_dual_fmac_f32 v164, v137, v10
	v_fma_f32 v2, v132, v6, -v2
	v_dual_add_f32 v3, v3, v4 :: v_dual_fmac_f32 v166, v141, v14
	s_delay_alu instid0(VALU_DEP_3) | instskip(SKIP_1) | instid1(VALU_DEP_3)
	v_fma_f32 v5, v134, v8, -v5
	v_dual_mul_f32 v168, v144, v19 :: v_dual_mul_f32 v169, v146, v21
	v_add_f32_e32 v2, v3, v2
	v_dual_mul_f32 v4, v137, v11 :: v_dual_mul_f32 v3, v139, v13
	s_delay_alu instid0(VALU_DEP_3) | instskip(SKIP_1) | instid1(VALU_DEP_4)
	v_fmac_f32_e32 v168, v145, v18
	v_dual_mul_f32 v170, v148, v25 :: v_dual_mul_f32 v171, v150, v27
	v_add_f32_e32 v2, v2, v5
	v_add_f32_e32 v1, 0, v1
	v_fma_f32 v4, v136, v10, -v4
	v_fma_f32 v3, v138, v12, -v3
	v_fmac_f32_e32 v167, v143, v16
	v_dual_mul_f32 v173, v154, v123 :: v_dual_mul_f32 v174, v156, v125
	s_delay_alu instid0(VALU_DEP_4) | instskip(SKIP_2) | instid1(VALU_DEP_4)
	v_dual_add_f32 v1, v1, v22 :: v_dual_add_f32 v2, v2, v4
	v_mul_f32_e32 v4, v143, v17
	v_fmac_f32_e32 v163, v135, v8
	v_dual_fmac_f32 v171, v151, v26 :: v_dual_fmac_f32 v174, v157, v124
	s_delay_alu instid0(VALU_DEP_4) | instskip(NEXT) | instid1(VALU_DEP_4)
	v_add_f32_e32 v1, v1, v162
	v_fma_f32 v4, v142, v16, -v4
	v_mul_f32_e32 v5, v141, v15
	v_dual_add_f32 v2, v2, v3 :: v_dual_fmac_f32 v173, v155, v122
	s_delay_alu instid0(VALU_DEP_4) | instskip(SKIP_1) | instid1(VALU_DEP_4)
	v_add_f32_e32 v1, v1, v163
	v_fmac_f32_e32 v170, v149, v24
	v_fma_f32 v5, v140, v14, -v5
	v_fmac_f32_e32 v165, v139, v12
	v_dual_fmac_f32 v175, v159, v126 :: v_dual_fmac_f32 v172, v153, v120
	s_delay_alu instid0(VALU_DEP_3) | instskip(NEXT) | instid1(VALU_DEP_1)
	v_add_f32_e32 v2, v2, v5
	v_dual_mul_f32 v5, v147, v21 :: v_dual_add_f32 v2, v2, v4
	s_delay_alu instid0(VALU_DEP_1) | instskip(SKIP_2) | instid1(VALU_DEP_2)
	v_fma_f32 v5, v146, v20, -v5
	v_mul_f32_e32 v3, v145, v19
	v_mul_f32_e32 v4, v149, v25
	v_fma_f32 v3, v144, v18, -v3
	v_add_f32_e32 v1, v1, v164
	s_delay_alu instid0(VALU_DEP_3) | instskip(NEXT) | instid1(VALU_DEP_3)
	v_fma_f32 v4, v148, v24, -v4
	v_add_f32_e32 v2, v2, v3
	s_delay_alu instid0(VALU_DEP_1) | instskip(NEXT) | instid1(VALU_DEP_4)
	v_dual_mul_f32 v3, v151, v27 :: v_dual_add_f32 v2, v2, v5
	v_add_f32_e32 v1, v1, v165
	s_delay_alu instid0(VALU_DEP_2) | instskip(NEXT) | instid1(VALU_DEP_2)
	v_fma_f32 v3, v150, v26, -v3
	v_dual_add_f32 v2, v2, v4 :: v_dual_add_f32 v1, v1, v166
	v_mul_f32_e32 v4, v155, v123
	s_delay_alu instid0(VALU_DEP_2) | instskip(SKIP_1) | instid1(VALU_DEP_3)
	v_dual_fmac_f32 v169, v147, v20 :: v_dual_add_f32 v2, v2, v3
	v_mul_f32_e32 v3, v157, v125
	v_fma_f32 v4, v154, v122, -v4
	v_mul_f32_e32 v5, v153, v121
	s_delay_alu instid0(VALU_DEP_3) | instskip(NEXT) | instid1(VALU_DEP_2)
	v_fma_f32 v3, v156, v124, -v3
	v_fma_f32 v5, v152, v120, -v5
	s_delay_alu instid0(VALU_DEP_1) | instskip(NEXT) | instid1(VALU_DEP_1)
	v_dual_add_f32 v1, v1, v167 :: v_dual_add_f32 v2, v2, v5
	v_dual_mul_f32 v5, v159, v127 :: v_dual_add_f32 v2, v2, v4
	s_delay_alu instid0(VALU_DEP_2) | instskip(NEXT) | instid1(VALU_DEP_2)
	v_add_f32_e32 v1, v1, v168
	v_fma_f32 v4, v158, v126, -v5
	s_delay_alu instid0(VALU_DEP_2) | instskip(NEXT) | instid1(VALU_DEP_1)
	v_dual_add_f32 v2, v2, v3 :: v_dual_add_f32 v1, v1, v169
	v_dual_add_f32 v2, v2, v4 :: v_dual_add_f32 v1, v1, v170
	s_delay_alu instid0(VALU_DEP_1) | instskip(NEXT) | instid1(VALU_DEP_1)
	v_add_f32_e32 v1, v1, v171
	v_add_f32_e32 v1, v1, v172
	s_delay_alu instid0(VALU_DEP_1) | instskip(NEXT) | instid1(VALU_DEP_1)
	v_add_f32_e32 v1, v1, v173
	v_add_f32_e32 v1, v1, v174
	s_delay_alu instid0(VALU_DEP_1) | instskip(SKIP_1) | instid1(VALU_DEP_1)
	v_add_f32_e32 v3, v1, v175
	s_wait_loadcnt 0x0
	v_dual_sub_f32 v1, v160, v2 :: v_dual_sub_f32 v2, v161, v3
	scratch_store_b64 off, v[1:2], off offset:232
	v_cmpx_lt_u32_e32 28, v0
	s_cbranch_execz .LBB45_233
; %bb.232:
	scratch_load_b64 v[1:2], off, off offset:224
	v_mov_b32_e32 v3, 0
	s_delay_alu instid0(VALU_DEP_1)
	v_mov_b32_e32 v4, v3
	scratch_store_b64 off, v[3:4], off offset:224
	s_wait_loadcnt 0x0
	ds_store_b64 v23, v[1:2]
.LBB45_233:
	s_wait_alu 0xfffe
	s_or_b32 exec_lo, exec_lo, s0
	s_wait_storecnt_dscnt 0x0
	s_barrier_signal -1
	s_barrier_wait -1
	global_inv scope:SCOPE_SE
	s_clause 0x9
	scratch_load_b128 v[2:5], off, off offset:232
	scratch_load_b128 v[6:9], off, off offset:248
	;; [unrolled: 1-line block ×8, first 2 shown]
	scratch_load_b64 v[160:161], off, off offset:360
	scratch_load_b64 v[162:163], off, off offset:224
	v_mov_b32_e32 v1, 0
	ds_load_2addr_b64 v[128:131], v1 offset0:75 offset1:76
	ds_load_2addr_b64 v[132:135], v1 offset0:77 offset1:78
	;; [unrolled: 1-line block ×8, first 2 shown]
	ds_load_b64 v[164:165], v1 offset:728
	s_mov_b32 s0, exec_lo
	s_wait_loadcnt_dscnt 0x908
	v_mul_f32_e32 v22, v128, v3
	v_dual_mul_f32 v3, v129, v3 :: v_dual_mul_f32 v166, v130, v5
	s_wait_loadcnt_dscnt 0x504
	v_dual_mul_f32 v167, v132, v7 :: v_dual_mul_f32 v174, v146, v21
	v_mul_f32_e32 v5, v131, v5
	s_delay_alu instid0(VALU_DEP_3)
	v_fma_f32 v3, v128, v2, -v3
	v_dual_mul_f32 v168, v134, v9 :: v_dual_mul_f32 v169, v136, v11
	s_wait_loadcnt_dscnt 0x100
	v_dual_mul_f32 v181, v164, v161 :: v_dual_fmac_f32 v22, v129, v2
	v_mul_f32_e32 v2, v133, v7
	v_dual_fmac_f32 v166, v131, v4 :: v_dual_add_f32 v3, 0, v3
	v_fma_f32 v4, v130, v4, -v5
	s_delay_alu instid0(VALU_DEP_4) | instskip(SKIP_2) | instid1(VALU_DEP_4)
	v_dual_add_f32 v5, 0, v22 :: v_dual_fmac_f32 v168, v135, v8
	v_mul_f32_e32 v7, v135, v9
	v_fma_f32 v2, v132, v6, -v2
	v_add_f32_e32 v3, v3, v4
	v_fmac_f32_e32 v167, v133, v6
	v_add_f32_e32 v4, v5, v166
	v_mul_f32_e32 v5, v137, v11
	v_fma_f32 v6, v134, v8, -v7
	v_add_f32_e32 v2, v3, v2
	v_dual_mul_f32 v170, v138, v13 :: v_dual_mul_f32 v171, v140, v15
	v_dual_add_f32 v3, v4, v167 :: v_dual_mul_f32 v4, v139, v13
	v_fma_f32 v5, v136, v10, -v5
	s_delay_alu instid0(VALU_DEP_4)
	v_add_f32_e32 v2, v2, v6
	v_fmac_f32_e32 v169, v137, v10
	v_mul_f32_e32 v6, v141, v15
	v_fmac_f32_e32 v170, v139, v12
	v_add_f32_e32 v3, v3, v168
	v_fma_f32 v4, v138, v12, -v4
	v_add_f32_e32 v2, v2, v5
	v_dual_mul_f32 v172, v142, v17 :: v_dual_mul_f32 v173, v144, v19
	s_delay_alu instid0(VALU_DEP_4)
	v_add_f32_e32 v3, v3, v169
	v_mul_f32_e32 v5, v143, v17
	v_fma_f32 v6, v140, v14, -v6
	v_dual_add_f32 v2, v2, v4 :: v_dual_fmac_f32 v171, v141, v14
	v_fmac_f32_e32 v172, v143, v16
	v_mul_f32_e32 v4, v145, v19
	v_fma_f32 v5, v142, v16, -v5
	s_delay_alu instid0(VALU_DEP_4) | instskip(SKIP_3) | instid1(VALU_DEP_3)
	v_add_f32_e32 v2, v2, v6
	v_add_f32_e32 v3, v3, v170
	v_dual_mul_f32 v6, v147, v21 :: v_dual_fmac_f32 v173, v145, v18
	v_fma_f32 v4, v144, v18, -v4
	v_dual_add_f32 v2, v2, v5 :: v_dual_add_f32 v3, v3, v171
	s_delay_alu instid0(VALU_DEP_3) | instskip(SKIP_1) | instid1(VALU_DEP_3)
	v_fma_f32 v6, v146, v20, -v6
	v_dual_mul_f32 v175, v148, v25 :: v_dual_mul_f32 v176, v150, v27
	v_add_f32_e32 v2, v2, v4
	s_delay_alu instid0(VALU_DEP_4) | instskip(SKIP_1) | instid1(VALU_DEP_4)
	v_add_f32_e32 v3, v3, v172
	v_dual_mul_f32 v5, v149, v25 :: v_dual_fmac_f32 v174, v147, v20
	v_dual_mul_f32 v4, v151, v27 :: v_dual_fmac_f32 v175, v149, v24
	s_delay_alu instid0(VALU_DEP_3) | instskip(NEXT) | instid1(VALU_DEP_3)
	v_dual_add_f32 v2, v2, v6 :: v_dual_add_f32 v3, v3, v173
	v_fma_f32 v5, v148, v24, -v5
	v_dual_mul_f32 v177, v152, v121 :: v_dual_mul_f32 v178, v154, v123
	s_delay_alu instid0(VALU_DEP_3) | instskip(NEXT) | instid1(VALU_DEP_2)
	v_dual_mul_f32 v6, v153, v121 :: v_dual_add_f32 v3, v3, v174
	v_dual_fmac_f32 v176, v151, v26 :: v_dual_fmac_f32 v177, v153, v120
	v_fma_f32 v4, v150, v26, -v4
	s_delay_alu instid0(VALU_DEP_3) | instskip(SKIP_3) | instid1(VALU_DEP_4)
	v_dual_add_f32 v2, v2, v5 :: v_dual_add_f32 v3, v3, v175
	v_mul_f32_e32 v5, v155, v123
	v_fma_f32 v6, v152, v120, -v6
	v_dual_mul_f32 v179, v156, v125 :: v_dual_mul_f32 v180, v158, v127
	v_add_f32_e32 v2, v2, v4
	v_dual_add_f32 v3, v3, v176 :: v_dual_mul_f32 v4, v157, v125
	s_delay_alu instid0(VALU_DEP_3) | instskip(SKIP_1) | instid1(VALU_DEP_3)
	v_dual_fmac_f32 v178, v155, v122 :: v_dual_fmac_f32 v179, v157, v124
	v_fma_f32 v5, v154, v122, -v5
	v_dual_add_f32 v2, v2, v6 :: v_dual_add_f32 v3, v3, v177
	v_mul_f32_e32 v6, v159, v127
	v_fma_f32 v4, v156, v124, -v4
	v_dual_fmac_f32 v180, v159, v126 :: v_dual_fmac_f32 v181, v165, v160
	s_delay_alu instid0(VALU_DEP_4) | instskip(SKIP_2) | instid1(VALU_DEP_3)
	v_dual_add_f32 v2, v2, v5 :: v_dual_add_f32 v3, v3, v178
	v_mul_f32_e32 v5, v165, v161
	v_fma_f32 v6, v158, v126, -v6
	v_dual_add_f32 v2, v2, v4 :: v_dual_add_f32 v3, v3, v179
	s_delay_alu instid0(VALU_DEP_3) | instskip(NEXT) | instid1(VALU_DEP_2)
	v_fma_f32 v4, v164, v160, -v5
	v_dual_add_f32 v2, v2, v6 :: v_dual_add_f32 v3, v3, v180
	s_delay_alu instid0(VALU_DEP_1) | instskip(SKIP_1) | instid1(VALU_DEP_1)
	v_dual_add_f32 v2, v2, v4 :: v_dual_add_f32 v3, v3, v181
	s_wait_loadcnt 0x0
	v_dual_sub_f32 v2, v162, v2 :: v_dual_sub_f32 v3, v163, v3
	scratch_store_b64 off, v[2:3], off offset:224
	v_cmpx_lt_u32_e32 27, v0
	s_cbranch_execz .LBB45_235
; %bb.234:
	scratch_load_b64 v[3:4], off, off offset:216
	v_mov_b32_e32 v2, v1
	scratch_store_b64 off, v[1:2], off offset:216
	s_wait_loadcnt 0x0
	ds_store_b64 v23, v[3:4]
.LBB45_235:
	s_wait_alu 0xfffe
	s_or_b32 exec_lo, exec_lo, s0
	s_wait_storecnt_dscnt 0x0
	s_barrier_signal -1
	s_barrier_wait -1
	global_inv scope:SCOPE_SE
	s_clause 0x9
	scratch_load_b128 v[2:5], off, off offset:224
	scratch_load_b128 v[6:9], off, off offset:240
	;; [unrolled: 1-line block ×9, first 2 shown]
	scratch_load_b64 v[168:169], off, off offset:216
	ds_load_b128 v[132:135], v1 offset:592
	ds_load_b128 v[136:139], v1 offset:608
	;; [unrolled: 1-line block ×9, first 2 shown]
	s_mov_b32 s0, exec_lo
	s_wait_loadcnt_dscnt 0x908
	v_dual_mul_f32 v1, v132, v3 :: v_dual_mul_f32 v22, v134, v5
	v_mul_f32_e32 v5, v135, v5
	v_mul_f32_e32 v3, v133, v3
	s_wait_loadcnt_dscnt 0x807
	v_dual_mul_f32 v170, v136, v7 :: v_dual_mul_f32 v171, v138, v9
	s_wait_loadcnt_dscnt 0x201
	v_dual_fmac_f32 v1, v133, v2 :: v_dual_mul_f32 v182, v160, v125
	v_fma_f32 v3, v132, v2, -v3
	s_wait_loadcnt_dscnt 0x100
	v_dual_mul_f32 v185, v166, v131 :: v_dual_fmac_f32 v22, v135, v4
	v_mul_f32_e32 v2, v137, v7
	v_fma_f32 v4, v134, v4, -v5
	v_dual_add_f32 v3, 0, v3 :: v_dual_fmac_f32 v170, v137, v6
	v_dual_mul_f32 v172, v140, v11 :: v_dual_mul_f32 v173, v142, v13
	v_dual_mul_f32 v174, v144, v15 :: v_dual_mul_f32 v175, v146, v17
	s_delay_alu instid0(VALU_DEP_2) | instskip(SKIP_1) | instid1(VALU_DEP_3)
	v_dual_mul_f32 v5, v139, v9 :: v_dual_fmac_f32 v172, v141, v10
	v_fma_f32 v2, v136, v6, -v2
	v_dual_add_f32 v3, v3, v4 :: v_dual_fmac_f32 v174, v145, v14
	s_delay_alu instid0(VALU_DEP_3) | instskip(SKIP_1) | instid1(VALU_DEP_3)
	v_fma_f32 v5, v138, v8, -v5
	v_dual_mul_f32 v176, v148, v19 :: v_dual_mul_f32 v177, v150, v21
	v_add_f32_e32 v2, v3, v2
	v_dual_mul_f32 v4, v141, v11 :: v_dual_mul_f32 v3, v143, v13
	s_delay_alu instid0(VALU_DEP_3) | instskip(SKIP_1) | instid1(VALU_DEP_4)
	v_fmac_f32_e32 v176, v149, v18
	v_dual_mul_f32 v178, v152, v25 :: v_dual_mul_f32 v179, v154, v27
	v_add_f32_e32 v2, v2, v5
	v_add_f32_e32 v1, 0, v1
	v_fma_f32 v4, v140, v10, -v4
	v_fma_f32 v3, v142, v12, -v3
	v_dual_fmac_f32 v175, v147, v16 :: v_dual_mul_f32 v180, v156, v121
	v_mul_f32_e32 v181, v158, v123
	s_delay_alu instid0(VALU_DEP_4) | instskip(SKIP_3) | instid1(VALU_DEP_4)
	v_dual_add_f32 v1, v1, v22 :: v_dual_add_f32 v2, v2, v4
	v_mul_f32_e32 v4, v147, v17
	v_fmac_f32_e32 v171, v139, v8
	v_dual_mul_f32 v183, v162, v127 :: v_dual_mul_f32 v184, v164, v129
	v_add_f32_e32 v1, v1, v170
	s_delay_alu instid0(VALU_DEP_4) | instskip(SKIP_2) | instid1(VALU_DEP_4)
	v_fma_f32 v4, v146, v16, -v4
	v_mul_f32_e32 v5, v145, v15
	v_dual_add_f32 v2, v2, v3 :: v_dual_fmac_f32 v181, v159, v122
	v_add_f32_e32 v1, v1, v171
	v_dual_fmac_f32 v179, v155, v26 :: v_dual_fmac_f32 v182, v161, v124
	s_delay_alu instid0(VALU_DEP_4) | instskip(SKIP_3) | instid1(VALU_DEP_4)
	v_fma_f32 v5, v144, v14, -v5
	v_fmac_f32_e32 v173, v143, v12
	v_dual_fmac_f32 v178, v153, v24 :: v_dual_fmac_f32 v185, v167, v130
	v_fmac_f32_e32 v180, v157, v120
	v_add_f32_e32 v2, v2, v5
	v_dual_mul_f32 v5, v151, v21 :: v_dual_fmac_f32 v184, v165, v128
	s_delay_alu instid0(VALU_DEP_2) | instskip(NEXT) | instid1(VALU_DEP_2)
	v_add_f32_e32 v2, v2, v4
	v_fma_f32 v5, v150, v20, -v5
	v_mul_f32_e32 v3, v149, v19
	v_mul_f32_e32 v4, v153, v25
	s_delay_alu instid0(VALU_DEP_2) | instskip(SKIP_1) | instid1(VALU_DEP_3)
	v_fma_f32 v3, v148, v18, -v3
	v_add_f32_e32 v1, v1, v172
	v_fma_f32 v4, v152, v24, -v4
	s_delay_alu instid0(VALU_DEP_3) | instskip(NEXT) | instid1(VALU_DEP_1)
	v_add_f32_e32 v2, v2, v3
	v_dual_mul_f32 v3, v155, v27 :: v_dual_add_f32 v2, v2, v5
	s_delay_alu instid0(VALU_DEP_4) | instskip(NEXT) | instid1(VALU_DEP_2)
	v_add_f32_e32 v1, v1, v173
	v_fma_f32 v3, v154, v26, -v3
	s_delay_alu instid0(VALU_DEP_2) | instskip(SKIP_1) | instid1(VALU_DEP_2)
	v_dual_add_f32 v2, v2, v4 :: v_dual_add_f32 v1, v1, v174
	v_mul_f32_e32 v4, v159, v123
	v_dual_fmac_f32 v177, v151, v20 :: v_dual_add_f32 v2, v2, v3
	v_mul_f32_e32 v3, v161, v125
	s_delay_alu instid0(VALU_DEP_3) | instskip(SKIP_1) | instid1(VALU_DEP_3)
	v_fma_f32 v4, v158, v122, -v4
	v_mul_f32_e32 v5, v157, v121
	v_fma_f32 v3, v160, v124, -v3
	s_delay_alu instid0(VALU_DEP_2) | instskip(NEXT) | instid1(VALU_DEP_1)
	v_fma_f32 v5, v156, v120, -v5
	v_dual_add_f32 v1, v1, v175 :: v_dual_add_f32 v2, v2, v5
	s_delay_alu instid0(VALU_DEP_1) | instskip(NEXT) | instid1(VALU_DEP_2)
	v_dual_mul_f32 v5, v163, v127 :: v_dual_add_f32 v2, v2, v4
	v_add_f32_e32 v1, v1, v176
	v_mul_f32_e32 v4, v165, v129
	s_delay_alu instid0(VALU_DEP_3) | instskip(NEXT) | instid1(VALU_DEP_4)
	v_fma_f32 v5, v162, v126, -v5
	v_dual_add_f32 v2, v2, v3 :: v_dual_fmac_f32 v183, v163, v126
	v_mul_f32_e32 v3, v167, v131
	s_delay_alu instid0(VALU_DEP_4) | instskip(NEXT) | instid1(VALU_DEP_3)
	v_fma_f32 v4, v164, v128, -v4
	v_add_f32_e32 v2, v2, v5
	v_add_f32_e32 v1, v1, v177
	s_delay_alu instid0(VALU_DEP_4) | instskip(NEXT) | instid1(VALU_DEP_2)
	v_fma_f32 v3, v166, v130, -v3
	v_dual_add_f32 v2, v2, v4 :: v_dual_add_f32 v1, v1, v178
	s_delay_alu instid0(VALU_DEP_1) | instskip(NEXT) | instid1(VALU_DEP_2)
	v_add_f32_e32 v2, v2, v3
	v_add_f32_e32 v1, v1, v179
	s_delay_alu instid0(VALU_DEP_1) | instskip(NEXT) | instid1(VALU_DEP_1)
	v_add_f32_e32 v1, v1, v180
	v_add_f32_e32 v1, v1, v181
	s_delay_alu instid0(VALU_DEP_1) | instskip(NEXT) | instid1(VALU_DEP_1)
	;; [unrolled: 3-line block ×3, first 2 shown]
	v_add_f32_e32 v1, v1, v184
	v_add_f32_e32 v3, v1, v185
	s_wait_loadcnt 0x0
	s_delay_alu instid0(VALU_DEP_1)
	v_dual_sub_f32 v1, v168, v2 :: v_dual_sub_f32 v2, v169, v3
	scratch_store_b64 off, v[1:2], off offset:216
	v_cmpx_lt_u32_e32 26, v0
	s_cbranch_execz .LBB45_237
; %bb.236:
	scratch_load_b64 v[1:2], off, off offset:208
	v_mov_b32_e32 v3, 0
	s_delay_alu instid0(VALU_DEP_1)
	v_mov_b32_e32 v4, v3
	scratch_store_b64 off, v[3:4], off offset:208
	s_wait_loadcnt 0x0
	ds_store_b64 v23, v[1:2]
.LBB45_237:
	s_wait_alu 0xfffe
	s_or_b32 exec_lo, exec_lo, s0
	s_wait_storecnt_dscnt 0x0
	s_barrier_signal -1
	s_barrier_wait -1
	global_inv scope:SCOPE_SE
	s_clause 0xa
	scratch_load_b128 v[2:5], off, off offset:216
	scratch_load_b128 v[6:9], off, off offset:232
	;; [unrolled: 1-line block ×9, first 2 shown]
	scratch_load_b64 v[168:169], off, off offset:360
	scratch_load_b64 v[170:171], off, off offset:208
	v_mov_b32_e32 v1, 0
	ds_load_2addr_b64 v[132:135], v1 offset0:73 offset1:74
	ds_load_2addr_b64 v[136:139], v1 offset0:75 offset1:76
	;; [unrolled: 1-line block ×9, first 2 shown]
	ds_load_b64 v[172:173], v1 offset:728
	s_mov_b32 s0, exec_lo
	s_wait_loadcnt_dscnt 0xa09
	v_mul_f32_e32 v22, v132, v3
	v_dual_mul_f32 v3, v133, v3 :: v_dual_mul_f32 v174, v134, v5
	s_wait_loadcnt_dscnt 0x605
	v_dual_mul_f32 v175, v136, v7 :: v_dual_mul_f32 v182, v150, v21
	v_mul_f32_e32 v5, v135, v5
	s_delay_alu instid0(VALU_DEP_3)
	v_fma_f32 v3, v132, v2, -v3
	v_dual_mul_f32 v176, v138, v9 :: v_dual_mul_f32 v177, v140, v11
	s_wait_loadcnt_dscnt 0x100
	v_dual_mul_f32 v191, v172, v169 :: v_dual_fmac_f32 v22, v133, v2
	v_mul_f32_e32 v2, v137, v7
	v_dual_fmac_f32 v174, v135, v4 :: v_dual_add_f32 v3, 0, v3
	v_fma_f32 v4, v134, v4, -v5
	s_delay_alu instid0(VALU_DEP_4) | instskip(SKIP_2) | instid1(VALU_DEP_4)
	v_dual_add_f32 v5, 0, v22 :: v_dual_fmac_f32 v176, v139, v8
	v_mul_f32_e32 v7, v139, v9
	v_fma_f32 v2, v136, v6, -v2
	v_add_f32_e32 v3, v3, v4
	v_fmac_f32_e32 v175, v137, v6
	v_add_f32_e32 v4, v5, v174
	v_mul_f32_e32 v5, v141, v11
	v_fma_f32 v6, v138, v8, -v7
	v_add_f32_e32 v2, v3, v2
	v_dual_mul_f32 v178, v142, v13 :: v_dual_mul_f32 v179, v144, v15
	v_dual_add_f32 v3, v4, v175 :: v_dual_mul_f32 v4, v143, v13
	v_fma_f32 v5, v140, v10, -v5
	s_delay_alu instid0(VALU_DEP_4)
	v_add_f32_e32 v2, v2, v6
	v_fmac_f32_e32 v177, v141, v10
	v_mul_f32_e32 v6, v145, v15
	v_fmac_f32_e32 v178, v143, v12
	v_add_f32_e32 v3, v3, v176
	v_fma_f32 v4, v142, v12, -v4
	v_add_f32_e32 v2, v2, v5
	v_dual_mul_f32 v180, v146, v17 :: v_dual_mul_f32 v181, v148, v19
	s_delay_alu instid0(VALU_DEP_4)
	v_add_f32_e32 v3, v3, v177
	v_mul_f32_e32 v5, v147, v17
	v_fma_f32 v6, v144, v14, -v6
	v_dual_add_f32 v2, v2, v4 :: v_dual_fmac_f32 v179, v145, v14
	v_fmac_f32_e32 v180, v147, v16
	v_mul_f32_e32 v4, v149, v19
	v_fma_f32 v5, v146, v16, -v5
	s_delay_alu instid0(VALU_DEP_4) | instskip(SKIP_3) | instid1(VALU_DEP_3)
	v_add_f32_e32 v2, v2, v6
	v_add_f32_e32 v3, v3, v178
	v_dual_mul_f32 v6, v151, v21 :: v_dual_fmac_f32 v181, v149, v18
	v_fma_f32 v4, v148, v18, -v4
	v_dual_add_f32 v2, v2, v5 :: v_dual_add_f32 v3, v3, v179
	s_delay_alu instid0(VALU_DEP_3) | instskip(SKIP_1) | instid1(VALU_DEP_3)
	v_fma_f32 v6, v150, v20, -v6
	v_dual_mul_f32 v183, v152, v25 :: v_dual_mul_f32 v184, v154, v27
	v_add_f32_e32 v2, v2, v4
	s_delay_alu instid0(VALU_DEP_4) | instskip(SKIP_1) | instid1(VALU_DEP_4)
	v_add_f32_e32 v3, v3, v180
	v_dual_mul_f32 v5, v153, v25 :: v_dual_fmac_f32 v182, v151, v20
	v_dual_mul_f32 v4, v155, v27 :: v_dual_fmac_f32 v183, v153, v24
	s_delay_alu instid0(VALU_DEP_3) | instskip(NEXT) | instid1(VALU_DEP_3)
	v_dual_add_f32 v2, v2, v6 :: v_dual_add_f32 v3, v3, v181
	v_fma_f32 v5, v152, v24, -v5
	v_dual_mul_f32 v185, v156, v121 :: v_dual_mul_f32 v186, v158, v123
	s_delay_alu instid0(VALU_DEP_3) | instskip(NEXT) | instid1(VALU_DEP_2)
	v_dual_mul_f32 v6, v157, v121 :: v_dual_add_f32 v3, v3, v182
	v_dual_fmac_f32 v184, v155, v26 :: v_dual_fmac_f32 v185, v157, v120
	v_fma_f32 v4, v154, v26, -v4
	s_delay_alu instid0(VALU_DEP_3) | instskip(SKIP_3) | instid1(VALU_DEP_4)
	v_dual_add_f32 v2, v2, v5 :: v_dual_add_f32 v3, v3, v183
	v_mul_f32_e32 v5, v159, v123
	v_fma_f32 v6, v156, v120, -v6
	v_dual_mul_f32 v187, v160, v125 :: v_dual_mul_f32 v188, v162, v127
	v_add_f32_e32 v2, v2, v4
	v_dual_add_f32 v3, v3, v184 :: v_dual_mul_f32 v4, v161, v125
	s_delay_alu instid0(VALU_DEP_3) | instskip(SKIP_1) | instid1(VALU_DEP_3)
	v_dual_fmac_f32 v186, v159, v122 :: v_dual_fmac_f32 v187, v161, v124
	v_fma_f32 v5, v158, v122, -v5
	v_dual_add_f32 v2, v2, v6 :: v_dual_add_f32 v3, v3, v185
	v_mul_f32_e32 v6, v163, v127
	v_fma_f32 v4, v160, v124, -v4
	v_dual_mul_f32 v189, v164, v129 :: v_dual_mul_f32 v190, v166, v131
	s_delay_alu instid0(VALU_DEP_4) | instskip(SKIP_1) | instid1(VALU_DEP_3)
	v_dual_add_f32 v2, v2, v5 :: v_dual_add_f32 v3, v3, v186
	v_dual_mul_f32 v5, v165, v129 :: v_dual_fmac_f32 v188, v163, v126
	v_fmac_f32_e32 v189, v165, v128
	v_fma_f32 v6, v162, v126, -v6
	s_delay_alu instid0(VALU_DEP_4) | instskip(SKIP_2) | instid1(VALU_DEP_3)
	v_dual_add_f32 v2, v2, v4 :: v_dual_add_f32 v3, v3, v187
	v_dual_mul_f32 v4, v167, v131 :: v_dual_fmac_f32 v191, v173, v168
	v_fma_f32 v5, v164, v128, -v5
	v_dual_add_f32 v2, v2, v6 :: v_dual_add_f32 v3, v3, v188
	v_fmac_f32_e32 v190, v167, v130
	s_delay_alu instid0(VALU_DEP_4) | instskip(NEXT) | instid1(VALU_DEP_3)
	v_fma_f32 v4, v166, v130, -v4
	v_add_f32_e32 v3, v3, v189
	s_delay_alu instid0(VALU_DEP_1) | instskip(SKIP_1) | instid1(VALU_DEP_2)
	v_dual_mul_f32 v6, v173, v169 :: v_dual_add_f32 v3, v3, v190
	v_add_f32_e32 v2, v2, v5
	v_fma_f32 v5, v172, v168, -v6
	s_delay_alu instid0(VALU_DEP_2) | instskip(SKIP_1) | instid1(VALU_DEP_1)
	v_dual_add_f32 v3, v3, v191 :: v_dual_add_f32 v2, v2, v4
	s_wait_loadcnt 0x0
	v_dual_sub_f32 v3, v171, v3 :: v_dual_add_f32 v2, v2, v5
	s_delay_alu instid0(VALU_DEP_1)
	v_sub_f32_e32 v2, v170, v2
	scratch_store_b64 off, v[2:3], off offset:208
	v_cmpx_lt_u32_e32 25, v0
	s_cbranch_execz .LBB45_239
; %bb.238:
	scratch_load_b64 v[3:4], off, off offset:200
	v_mov_b32_e32 v2, v1
	scratch_store_b64 off, v[1:2], off offset:200
	s_wait_loadcnt 0x0
	ds_store_b64 v23, v[3:4]
.LBB45_239:
	s_wait_alu 0xfffe
	s_or_b32 exec_lo, exec_lo, s0
	s_wait_storecnt_dscnt 0x0
	s_barrier_signal -1
	s_barrier_wait -1
	global_inv scope:SCOPE_SE
	s_clause 0xa
	scratch_load_b128 v[2:5], off, off offset:208
	scratch_load_b128 v[6:9], off, off offset:224
	;; [unrolled: 1-line block ×10, first 2 shown]
	scratch_load_b64 v[176:177], off, off offset:200
	ds_load_b128 v[136:139], v1 offset:576
	ds_load_b128 v[140:143], v1 offset:592
	ds_load_b128 v[144:147], v1 offset:608
	ds_load_b128 v[148:151], v1 offset:624
	ds_load_b128 v[152:155], v1 offset:640
	ds_load_b128 v[156:159], v1 offset:656
	ds_load_b128 v[160:163], v1 offset:672
	ds_load_b128 v[164:167], v1 offset:688
	ds_load_b128 v[168:171], v1 offset:704
	ds_load_b128 v[172:175], v1 offset:720
	s_mov_b32 s0, exec_lo
	s_wait_loadcnt_dscnt 0xa09
	v_dual_mul_f32 v1, v136, v3 :: v_dual_mul_f32 v22, v138, v5
	s_wait_loadcnt_dscnt 0x908
	v_dual_mul_f32 v5, v139, v5 :: v_dual_mul_f32 v178, v140, v7
	v_mul_f32_e32 v179, v142, v9
	v_mul_f32_e32 v3, v137, v3
	v_dual_fmac_f32 v1, v137, v2 :: v_dual_fmac_f32 v22, v139, v4
	s_wait_loadcnt_dscnt 0x100
	v_dual_mul_f32 v192, v168, v129 :: v_dual_mul_f32 v195, v174, v135
	s_delay_alu instid0(VALU_DEP_3) | instskip(SKIP_3) | instid1(VALU_DEP_4)
	v_fma_f32 v3, v136, v2, -v3
	v_mul_f32_e32 v2, v141, v7
	v_fma_f32 v4, v138, v4, -v5
	v_dual_mul_f32 v180, v144, v11 :: v_dual_mul_f32 v181, v146, v13
	v_dual_add_f32 v3, 0, v3 :: v_dual_fmac_f32 v178, v141, v6
	v_dual_mul_f32 v182, v148, v15 :: v_dual_mul_f32 v183, v150, v17
	s_delay_alu instid0(VALU_DEP_3) | instskip(SKIP_1) | instid1(VALU_DEP_3)
	v_dual_mul_f32 v5, v143, v9 :: v_dual_fmac_f32 v180, v145, v10
	v_fma_f32 v2, v140, v6, -v2
	v_dual_add_f32 v3, v3, v4 :: v_dual_fmac_f32 v182, v149, v14
	s_delay_alu instid0(VALU_DEP_3) | instskip(SKIP_1) | instid1(VALU_DEP_3)
	v_fma_f32 v5, v142, v8, -v5
	v_dual_mul_f32 v184, v152, v19 :: v_dual_mul_f32 v185, v154, v21
	v_add_f32_e32 v2, v3, v2
	v_dual_mul_f32 v3, v147, v13 :: v_dual_mul_f32 v4, v145, v11
	s_delay_alu instid0(VALU_DEP_3) | instskip(SKIP_1) | instid1(VALU_DEP_4)
	v_fmac_f32_e32 v184, v153, v18
	v_dual_mul_f32 v186, v156, v25 :: v_dual_mul_f32 v187, v158, v27
	v_add_f32_e32 v2, v2, v5
	v_add_f32_e32 v1, 0, v1
	v_fma_f32 v4, v144, v10, -v4
	v_fma_f32 v3, v146, v12, -v3
	v_dual_fmac_f32 v183, v151, v16 :: v_dual_mul_f32 v188, v160, v121
	v_mul_f32_e32 v189, v162, v123
	s_delay_alu instid0(VALU_DEP_4) | instskip(SKIP_3) | instid1(VALU_DEP_4)
	v_dual_add_f32 v1, v1, v22 :: v_dual_add_f32 v2, v2, v4
	v_mul_f32_e32 v4, v151, v17
	v_dual_fmac_f32 v179, v143, v8 :: v_dual_mul_f32 v190, v164, v125
	v_mul_f32_e32 v191, v166, v127
	v_add_f32_e32 v1, v1, v178
	s_delay_alu instid0(VALU_DEP_4) | instskip(SKIP_2) | instid1(VALU_DEP_4)
	v_fma_f32 v4, v150, v16, -v4
	v_mul_f32_e32 v5, v149, v15
	v_dual_add_f32 v2, v2, v3 :: v_dual_fmac_f32 v189, v163, v122
	v_add_f32_e32 v1, v1, v179
	v_dual_mul_f32 v193, v170, v131 :: v_dual_mul_f32 v194, v172, v133
	s_delay_alu instid0(VALU_DEP_4) | instskip(SKIP_3) | instid1(VALU_DEP_4)
	v_fma_f32 v5, v148, v14, -v5
	v_fmac_f32_e32 v181, v147, v12
	v_dual_fmac_f32 v186, v157, v24 :: v_dual_fmac_f32 v187, v159, v26
	v_fmac_f32_e32 v190, v165, v124
	v_add_f32_e32 v2, v2, v5
	v_mul_f32_e32 v5, v155, v21
	v_fmac_f32_e32 v193, v171, v130
	v_dual_fmac_f32 v195, v175, v134 :: v_dual_fmac_f32 v188, v161, v120
	s_delay_alu instid0(VALU_DEP_4) | instskip(NEXT) | instid1(VALU_DEP_4)
	v_add_f32_e32 v2, v2, v4
	v_fma_f32 v5, v154, v20, -v5
	v_mul_f32_e32 v3, v153, v19
	v_mul_f32_e32 v4, v157, v25
	v_fmac_f32_e32 v192, v169, v128
	v_fmac_f32_e32 v194, v173, v132
	s_delay_alu instid0(VALU_DEP_4) | instskip(SKIP_2) | instid1(VALU_DEP_3)
	v_fma_f32 v3, v152, v18, -v3
	v_add_f32_e32 v1, v1, v180
	v_fma_f32 v4, v156, v24, -v4
	v_add_f32_e32 v2, v2, v3
	s_delay_alu instid0(VALU_DEP_1) | instskip(NEXT) | instid1(VALU_DEP_4)
	v_dual_mul_f32 v3, v159, v27 :: v_dual_add_f32 v2, v2, v5
	v_add_f32_e32 v1, v1, v181
	s_delay_alu instid0(VALU_DEP_2) | instskip(NEXT) | instid1(VALU_DEP_2)
	v_fma_f32 v3, v158, v26, -v3
	v_dual_add_f32 v2, v2, v4 :: v_dual_add_f32 v1, v1, v182
	v_mul_f32_e32 v4, v163, v123
	s_delay_alu instid0(VALU_DEP_2) | instskip(SKIP_1) | instid1(VALU_DEP_3)
	v_dual_fmac_f32 v185, v155, v20 :: v_dual_add_f32 v2, v2, v3
	v_mul_f32_e32 v3, v165, v125
	v_fma_f32 v4, v162, v122, -v4
	v_mul_f32_e32 v5, v161, v121
	s_delay_alu instid0(VALU_DEP_3) | instskip(NEXT) | instid1(VALU_DEP_2)
	v_fma_f32 v3, v164, v124, -v3
	v_fma_f32 v5, v160, v120, -v5
	s_delay_alu instid0(VALU_DEP_1) | instskip(NEXT) | instid1(VALU_DEP_1)
	v_dual_add_f32 v1, v1, v183 :: v_dual_add_f32 v2, v2, v5
	v_dual_mul_f32 v5, v167, v127 :: v_dual_add_f32 v2, v2, v4
	s_delay_alu instid0(VALU_DEP_2) | instskip(SKIP_1) | instid1(VALU_DEP_3)
	v_add_f32_e32 v1, v1, v184
	v_mul_f32_e32 v4, v169, v129
	v_fma_f32 v5, v166, v126, -v5
	s_delay_alu instid0(VALU_DEP_4) | instskip(SKIP_1) | instid1(VALU_DEP_4)
	v_dual_add_f32 v2, v2, v3 :: v_dual_fmac_f32 v191, v167, v126
	v_mul_f32_e32 v3, v171, v131
	v_fma_f32 v4, v168, v128, -v4
	s_delay_alu instid0(VALU_DEP_3) | instskip(SKIP_1) | instid1(VALU_DEP_4)
	v_add_f32_e32 v2, v2, v5
	v_add_f32_e32 v1, v1, v185
	v_fma_f32 v3, v170, v130, -v3
	s_delay_alu instid0(VALU_DEP_2) | instskip(SKIP_1) | instid1(VALU_DEP_2)
	v_dual_add_f32 v2, v2, v4 :: v_dual_add_f32 v1, v1, v186
	v_dual_mul_f32 v4, v175, v135 :: v_dual_mul_f32 v5, v173, v133
	v_add_f32_e32 v2, v2, v3
	s_delay_alu instid0(VALU_DEP_2) | instskip(NEXT) | instid1(VALU_DEP_3)
	v_fma_f32 v3, v174, v134, -v4
	v_fma_f32 v5, v172, v132, -v5
	s_delay_alu instid0(VALU_DEP_1) | instskip(NEXT) | instid1(VALU_DEP_1)
	v_dual_add_f32 v1, v1, v187 :: v_dual_add_f32 v2, v2, v5
	v_dual_add_f32 v1, v1, v188 :: v_dual_add_f32 v2, v2, v3
	s_delay_alu instid0(VALU_DEP_1) | instskip(NEXT) | instid1(VALU_DEP_1)
	v_add_f32_e32 v1, v1, v189
	v_add_f32_e32 v1, v1, v190
	s_delay_alu instid0(VALU_DEP_1) | instskip(NEXT) | instid1(VALU_DEP_1)
	v_add_f32_e32 v1, v1, v191
	v_add_f32_e32 v1, v1, v192
	;; [unrolled: 3-line block ×3, first 2 shown]
	s_delay_alu instid0(VALU_DEP_1) | instskip(SKIP_1) | instid1(VALU_DEP_1)
	v_add_f32_e32 v3, v1, v195
	s_wait_loadcnt 0x0
	v_dual_sub_f32 v1, v176, v2 :: v_dual_sub_f32 v2, v177, v3
	scratch_store_b64 off, v[1:2], off offset:200
	v_cmpx_lt_u32_e32 24, v0
	s_cbranch_execz .LBB45_241
; %bb.240:
	scratch_load_b64 v[1:2], off, off offset:192
	v_mov_b32_e32 v3, 0
	s_delay_alu instid0(VALU_DEP_1)
	v_mov_b32_e32 v4, v3
	scratch_store_b64 off, v[3:4], off offset:192
	s_wait_loadcnt 0x0
	ds_store_b64 v23, v[1:2]
.LBB45_241:
	s_wait_alu 0xfffe
	s_or_b32 exec_lo, exec_lo, s0
	s_wait_storecnt_dscnt 0x0
	s_barrier_signal -1
	s_barrier_wait -1
	global_inv scope:SCOPE_SE
	s_clause 0xb
	scratch_load_b128 v[2:5], off, off offset:200
	scratch_load_b128 v[6:9], off, off offset:216
	;; [unrolled: 1-line block ×10, first 2 shown]
	scratch_load_b64 v[176:177], off, off offset:360
	scratch_load_b64 v[178:179], off, off offset:192
	v_mov_b32_e32 v1, 0
	ds_load_2addr_b64 v[136:139], v1 offset0:71 offset1:72
	ds_load_2addr_b64 v[140:143], v1 offset0:73 offset1:74
	;; [unrolled: 1-line block ×10, first 2 shown]
	ds_load_b64 v[180:181], v1 offset:728
	s_mov_b32 s0, exec_lo
	s_wait_loadcnt_dscnt 0xb0a
	v_mul_f32_e32 v22, v136, v3
	v_dual_mul_f32 v3, v137, v3 :: v_dual_mul_f32 v182, v138, v5
	s_wait_loadcnt_dscnt 0x706
	v_dual_mul_f32 v183, v140, v7 :: v_dual_mul_f32 v190, v154, v21
	v_mul_f32_e32 v5, v139, v5
	s_delay_alu instid0(VALU_DEP_3)
	v_fma_f32 v3, v136, v2, -v3
	v_dual_mul_f32 v184, v142, v9 :: v_dual_mul_f32 v185, v144, v11
	s_wait_loadcnt_dscnt 0x100
	v_dual_fmac_f32 v22, v137, v2 :: v_dual_mul_f32 v201, v180, v177
	v_mul_f32_e32 v2, v141, v7
	v_dual_fmac_f32 v182, v139, v4 :: v_dual_add_f32 v3, 0, v3
	v_fma_f32 v4, v138, v4, -v5
	s_delay_alu instid0(VALU_DEP_4) | instskip(SKIP_2) | instid1(VALU_DEP_4)
	v_dual_add_f32 v5, 0, v22 :: v_dual_fmac_f32 v184, v143, v8
	v_mul_f32_e32 v7, v143, v9
	v_fma_f32 v2, v140, v6, -v2
	v_add_f32_e32 v3, v3, v4
	v_fmac_f32_e32 v183, v141, v6
	v_add_f32_e32 v4, v5, v182
	v_mul_f32_e32 v5, v145, v11
	v_fma_f32 v6, v142, v8, -v7
	v_add_f32_e32 v2, v3, v2
	v_dual_mul_f32 v186, v146, v13 :: v_dual_mul_f32 v187, v148, v15
	v_dual_add_f32 v3, v4, v183 :: v_dual_mul_f32 v4, v147, v13
	v_fma_f32 v5, v144, v10, -v5
	s_delay_alu instid0(VALU_DEP_4)
	v_add_f32_e32 v2, v2, v6
	v_fmac_f32_e32 v185, v145, v10
	v_mul_f32_e32 v6, v149, v15
	v_fmac_f32_e32 v186, v147, v12
	v_add_f32_e32 v3, v3, v184
	v_fma_f32 v4, v146, v12, -v4
	v_add_f32_e32 v2, v2, v5
	v_dual_mul_f32 v188, v150, v17 :: v_dual_mul_f32 v189, v152, v19
	s_delay_alu instid0(VALU_DEP_4)
	v_add_f32_e32 v3, v3, v185
	v_mul_f32_e32 v5, v151, v17
	v_fma_f32 v6, v148, v14, -v6
	v_dual_add_f32 v2, v2, v4 :: v_dual_fmac_f32 v187, v149, v14
	v_fmac_f32_e32 v188, v151, v16
	v_mul_f32_e32 v4, v153, v19
	v_fma_f32 v5, v150, v16, -v5
	s_delay_alu instid0(VALU_DEP_4) | instskip(SKIP_3) | instid1(VALU_DEP_3)
	v_add_f32_e32 v2, v2, v6
	v_add_f32_e32 v3, v3, v186
	v_dual_mul_f32 v6, v155, v21 :: v_dual_fmac_f32 v189, v153, v18
	v_fma_f32 v4, v152, v18, -v4
	v_dual_add_f32 v2, v2, v5 :: v_dual_add_f32 v3, v3, v187
	s_delay_alu instid0(VALU_DEP_3) | instskip(SKIP_1) | instid1(VALU_DEP_3)
	v_fma_f32 v6, v154, v20, -v6
	v_dual_mul_f32 v191, v156, v25 :: v_dual_mul_f32 v192, v158, v27
	v_add_f32_e32 v2, v2, v4
	s_delay_alu instid0(VALU_DEP_4) | instskip(SKIP_1) | instid1(VALU_DEP_4)
	v_add_f32_e32 v3, v3, v188
	v_dual_mul_f32 v5, v157, v25 :: v_dual_fmac_f32 v190, v155, v20
	v_dual_mul_f32 v4, v159, v27 :: v_dual_fmac_f32 v191, v157, v24
	s_delay_alu instid0(VALU_DEP_3) | instskip(NEXT) | instid1(VALU_DEP_3)
	v_dual_add_f32 v2, v2, v6 :: v_dual_add_f32 v3, v3, v189
	v_fma_f32 v5, v156, v24, -v5
	v_dual_mul_f32 v193, v160, v121 :: v_dual_mul_f32 v194, v162, v123
	s_delay_alu instid0(VALU_DEP_3) | instskip(NEXT) | instid1(VALU_DEP_2)
	v_dual_mul_f32 v6, v161, v121 :: v_dual_add_f32 v3, v3, v190
	v_dual_fmac_f32 v192, v159, v26 :: v_dual_fmac_f32 v193, v161, v120
	v_fma_f32 v4, v158, v26, -v4
	s_delay_alu instid0(VALU_DEP_3) | instskip(SKIP_3) | instid1(VALU_DEP_4)
	v_dual_add_f32 v2, v2, v5 :: v_dual_add_f32 v3, v3, v191
	v_mul_f32_e32 v5, v163, v123
	v_fma_f32 v6, v160, v120, -v6
	v_dual_mul_f32 v195, v164, v125 :: v_dual_mul_f32 v196, v166, v127
	v_add_f32_e32 v2, v2, v4
	v_dual_add_f32 v3, v3, v192 :: v_dual_mul_f32 v4, v165, v125
	s_delay_alu instid0(VALU_DEP_3) | instskip(SKIP_1) | instid1(VALU_DEP_3)
	v_dual_fmac_f32 v194, v163, v122 :: v_dual_fmac_f32 v195, v165, v124
	v_fma_f32 v5, v162, v122, -v5
	v_dual_add_f32 v2, v2, v6 :: v_dual_add_f32 v3, v3, v193
	v_mul_f32_e32 v6, v167, v127
	v_fma_f32 v4, v164, v124, -v4
	v_dual_mul_f32 v197, v168, v129 :: v_dual_mul_f32 v198, v170, v131
	s_delay_alu instid0(VALU_DEP_4) | instskip(SKIP_1) | instid1(VALU_DEP_3)
	v_dual_add_f32 v2, v2, v5 :: v_dual_add_f32 v3, v3, v194
	v_dual_mul_f32 v5, v169, v129 :: v_dual_fmac_f32 v196, v167, v126
	v_fmac_f32_e32 v197, v169, v128
	v_fma_f32 v6, v166, v126, -v6
	s_delay_alu instid0(VALU_DEP_4) | instskip(SKIP_2) | instid1(VALU_DEP_3)
	v_dual_add_f32 v2, v2, v4 :: v_dual_add_f32 v3, v3, v195
	v_dual_mul_f32 v199, v172, v133 :: v_dual_mul_f32 v200, v174, v135
	v_mul_f32_e32 v4, v171, v131
	v_dual_add_f32 v2, v2, v6 :: v_dual_add_f32 v3, v3, v196
	v_fma_f32 v5, v168, v128, -v5
	v_dual_fmac_f32 v198, v171, v130 :: v_dual_fmac_f32 v201, v181, v176
	v_fmac_f32_e32 v199, v173, v132
	v_fma_f32 v4, v170, v130, -v4
	v_add_f32_e32 v3, v3, v197
	v_mul_f32_e32 v6, v173, v133
	v_dual_add_f32 v2, v2, v5 :: v_dual_mul_f32 v5, v175, v135
	v_fmac_f32_e32 v200, v175, v134
	s_delay_alu instid0(VALU_DEP_4) | instskip(NEXT) | instid1(VALU_DEP_4)
	v_add_f32_e32 v3, v3, v198
	v_fma_f32 v6, v172, v132, -v6
	s_delay_alu instid0(VALU_DEP_4) | instskip(SKIP_2) | instid1(VALU_DEP_3)
	v_add_f32_e32 v2, v2, v4
	v_mul_f32_e32 v4, v181, v177
	v_fma_f32 v5, v174, v134, -v5
	v_dual_add_f32 v3, v3, v199 :: v_dual_add_f32 v2, v2, v6
	s_delay_alu instid0(VALU_DEP_3) | instskip(NEXT) | instid1(VALU_DEP_2)
	v_fma_f32 v4, v180, v176, -v4
	v_add_f32_e32 v3, v3, v200
	s_delay_alu instid0(VALU_DEP_1) | instskip(SKIP_1) | instid1(VALU_DEP_1)
	v_add_f32_e32 v3, v3, v201
	s_wait_loadcnt 0x0
	v_dual_add_f32 v2, v2, v5 :: v_dual_sub_f32 v3, v179, v3
	s_delay_alu instid0(VALU_DEP_1) | instskip(NEXT) | instid1(VALU_DEP_1)
	v_add_f32_e32 v2, v2, v4
	v_sub_f32_e32 v2, v178, v2
	scratch_store_b64 off, v[2:3], off offset:192
	v_cmpx_lt_u32_e32 23, v0
	s_cbranch_execz .LBB45_243
; %bb.242:
	scratch_load_b64 v[3:4], off, off offset:184
	v_mov_b32_e32 v2, v1
	scratch_store_b64 off, v[1:2], off offset:184
	s_wait_loadcnt 0x0
	ds_store_b64 v23, v[3:4]
.LBB45_243:
	s_wait_alu 0xfffe
	s_or_b32 exec_lo, exec_lo, s0
	s_wait_storecnt_dscnt 0x0
	s_barrier_signal -1
	s_barrier_wait -1
	global_inv scope:SCOPE_SE
	s_clause 0xb
	scratch_load_b128 v[2:5], off, off offset:192
	scratch_load_b128 v[6:9], off, off offset:208
	;; [unrolled: 1-line block ×11, first 2 shown]
	scratch_load_b64 v[184:185], off, off offset:184
	ds_load_b128 v[140:143], v1 offset:560
	ds_load_b128 v[144:147], v1 offset:576
	;; [unrolled: 1-line block ×11, first 2 shown]
	s_mov_b32 s0, exec_lo
	s_wait_loadcnt_dscnt 0xb0a
	v_dual_mul_f32 v1, v140, v3 :: v_dual_mul_f32 v22, v142, v5
	s_wait_loadcnt_dscnt 0xa09
	v_dual_mul_f32 v5, v143, v5 :: v_dual_mul_f32 v186, v144, v7
	v_mul_f32_e32 v187, v146, v9
	v_mul_f32_e32 v3, v141, v3
	v_dual_fmac_f32 v1, v141, v2 :: v_dual_fmac_f32 v22, v143, v4
	s_wait_loadcnt_dscnt 0x908
	v_dual_mul_f32 v188, v148, v11 :: v_dual_mul_f32 v189, v150, v13
	s_wait_loadcnt_dscnt 0x201
	v_mul_f32_e32 v202, v176, v133
	v_fma_f32 v3, v140, v2, -v3
	s_wait_loadcnt_dscnt 0x100
	v_mul_f32_e32 v205, v182, v139
	v_mul_f32_e32 v2, v145, v7
	v_fma_f32 v4, v142, v4, -v5
	v_dual_mul_f32 v190, v152, v15 :: v_dual_mul_f32 v191, v154, v17
	v_dual_add_f32 v3, 0, v3 :: v_dual_fmac_f32 v186, v145, v6
	v_dual_mul_f32 v5, v147, v9 :: v_dual_fmac_f32 v188, v149, v10
	v_fma_f32 v2, v144, v6, -v2
	s_delay_alu instid0(VALU_DEP_3) | instskip(NEXT) | instid1(VALU_DEP_3)
	v_dual_add_f32 v3, v3, v4 :: v_dual_fmac_f32 v190, v153, v14
	v_fma_f32 v5, v146, v8, -v5
	v_dual_mul_f32 v192, v156, v19 :: v_dual_mul_f32 v193, v158, v21
	s_delay_alu instid0(VALU_DEP_3) | instskip(SKIP_3) | instid1(VALU_DEP_4)
	v_add_f32_e32 v2, v3, v2
	v_mul_f32_e32 v3, v151, v13
	v_dual_mul_f32 v194, v160, v25 :: v_dual_mul_f32 v195, v162, v27
	v_mul_f32_e32 v4, v149, v11
	v_add_f32_e32 v2, v2, v5
	v_dual_add_f32 v1, 0, v1 :: v_dual_fmac_f32 v192, v157, v18
	v_fma_f32 v3, v150, v12, -v3
	s_delay_alu instid0(VALU_DEP_4) | instskip(SKIP_1) | instid1(VALU_DEP_4)
	v_fma_f32 v4, v148, v10, -v4
	v_fmac_f32_e32 v191, v155, v16
	v_dual_add_f32 v1, v1, v22 :: v_dual_mul_f32 v196, v164, v121
	v_mul_f32_e32 v197, v166, v123
	s_delay_alu instid0(VALU_DEP_4) | instskip(NEXT) | instid1(VALU_DEP_3)
	v_add_f32_e32 v2, v2, v4
	v_dual_mul_f32 v4, v155, v17 :: v_dual_add_f32 v1, v1, v186
	v_dual_fmac_f32 v187, v147, v8 :: v_dual_mul_f32 v200, v172, v129
	v_mul_f32_e32 v201, v174, v131
	s_delay_alu instid0(VALU_DEP_3) | instskip(SKIP_4) | instid1(VALU_DEP_4)
	v_fma_f32 v4, v154, v16, -v4
	v_mul_f32_e32 v5, v153, v15
	v_add_f32_e32 v2, v2, v3
	v_dual_add_f32 v1, v1, v187 :: v_dual_mul_f32 v198, v168, v125
	v_mul_f32_e32 v199, v170, v127
	v_fma_f32 v5, v152, v14, -v5
	v_fmac_f32_e32 v189, v151, v12
	v_dual_fmac_f32 v194, v161, v24 :: v_dual_fmac_f32 v197, v167, v122
	v_dual_fmac_f32 v195, v163, v26 :: v_dual_fmac_f32 v198, v169, v124
	s_delay_alu instid0(VALU_DEP_4) | instskip(SKIP_2) | instid1(VALU_DEP_3)
	v_add_f32_e32 v2, v2, v5
	v_mul_f32_e32 v5, v159, v21
	v_dual_mul_f32 v203, v178, v135 :: v_dual_mul_f32 v204, v180, v137
	v_dual_fmac_f32 v201, v175, v130 :: v_dual_add_f32 v2, v2, v4
	s_delay_alu instid0(VALU_DEP_3) | instskip(SKIP_4) | instid1(VALU_DEP_4)
	v_fma_f32 v5, v158, v20, -v5
	v_mul_f32_e32 v3, v157, v19
	v_mul_f32_e32 v4, v161, v25
	v_dual_fmac_f32 v204, v181, v136 :: v_dual_fmac_f32 v203, v179, v134
	v_fmac_f32_e32 v196, v165, v120
	v_fma_f32 v3, v156, v18, -v3
	v_add_f32_e32 v1, v1, v188
	v_fma_f32 v4, v160, v24, -v4
	v_dual_fmac_f32 v205, v183, v138 :: v_dual_fmac_f32 v200, v173, v128
	s_delay_alu instid0(VALU_DEP_4) | instskip(SKIP_1) | instid1(VALU_DEP_2)
	v_add_f32_e32 v2, v2, v3
	v_dual_mul_f32 v3, v163, v27 :: v_dual_fmac_f32 v202, v177, v132
	v_add_f32_e32 v2, v2, v5
	v_add_f32_e32 v1, v1, v189
	s_delay_alu instid0(VALU_DEP_3) | instskip(NEXT) | instid1(VALU_DEP_2)
	v_fma_f32 v3, v162, v26, -v3
	v_dual_add_f32 v2, v2, v4 :: v_dual_add_f32 v1, v1, v190
	v_mul_f32_e32 v4, v167, v123
	s_delay_alu instid0(VALU_DEP_2) | instskip(SKIP_1) | instid1(VALU_DEP_3)
	v_dual_fmac_f32 v193, v159, v20 :: v_dual_add_f32 v2, v2, v3
	v_mul_f32_e32 v3, v169, v125
	v_fma_f32 v4, v166, v122, -v4
	v_mul_f32_e32 v5, v165, v121
	s_delay_alu instid0(VALU_DEP_3) | instskip(NEXT) | instid1(VALU_DEP_2)
	v_fma_f32 v3, v168, v124, -v3
	v_fma_f32 v5, v164, v120, -v5
	s_delay_alu instid0(VALU_DEP_1) | instskip(NEXT) | instid1(VALU_DEP_1)
	v_dual_add_f32 v1, v1, v191 :: v_dual_add_f32 v2, v2, v5
	v_dual_mul_f32 v5, v171, v127 :: v_dual_add_f32 v2, v2, v4
	s_delay_alu instid0(VALU_DEP_2) | instskip(SKIP_1) | instid1(VALU_DEP_3)
	v_add_f32_e32 v1, v1, v192
	v_mul_f32_e32 v4, v173, v129
	v_fma_f32 v5, v170, v126, -v5
	s_delay_alu instid0(VALU_DEP_4) | instskip(SKIP_1) | instid1(VALU_DEP_4)
	v_dual_add_f32 v2, v2, v3 :: v_dual_fmac_f32 v199, v171, v126
	v_mul_f32_e32 v3, v175, v131
	v_fma_f32 v4, v172, v128, -v4
	s_delay_alu instid0(VALU_DEP_3) | instskip(SKIP_1) | instid1(VALU_DEP_4)
	v_add_f32_e32 v2, v2, v5
	v_add_f32_e32 v1, v1, v193
	v_fma_f32 v3, v174, v130, -v3
	s_delay_alu instid0(VALU_DEP_3) | instskip(NEXT) | instid1(VALU_DEP_3)
	v_dual_add_f32 v2, v2, v4 :: v_dual_mul_f32 v5, v177, v133
	v_dual_add_f32 v1, v1, v194 :: v_dual_mul_f32 v4, v179, v135
	s_delay_alu instid0(VALU_DEP_2) | instskip(NEXT) | instid1(VALU_DEP_3)
	v_add_f32_e32 v2, v2, v3
	v_fma_f32 v5, v176, v132, -v5
	s_delay_alu instid0(VALU_DEP_3) | instskip(SKIP_2) | instid1(VALU_DEP_4)
	v_add_f32_e32 v1, v1, v195
	v_mul_f32_e32 v3, v181, v137
	v_fma_f32 v4, v178, v134, -v4
	v_dual_add_f32 v2, v2, v5 :: v_dual_mul_f32 v5, v183, v139
	s_delay_alu instid0(VALU_DEP_3) | instskip(NEXT) | instid1(VALU_DEP_2)
	v_fma_f32 v3, v180, v136, -v3
	v_add_f32_e32 v2, v2, v4
	v_add_f32_e32 v1, v1, v196
	s_delay_alu instid0(VALU_DEP_4) | instskip(NEXT) | instid1(VALU_DEP_2)
	v_fma_f32 v4, v182, v138, -v5
	v_dual_add_f32 v2, v2, v3 :: v_dual_add_f32 v1, v1, v197
	s_delay_alu instid0(VALU_DEP_1) | instskip(NEXT) | instid1(VALU_DEP_1)
	v_dual_add_f32 v2, v2, v4 :: v_dual_add_f32 v1, v1, v198
	v_add_f32_e32 v1, v1, v199
	s_delay_alu instid0(VALU_DEP_1) | instskip(NEXT) | instid1(VALU_DEP_1)
	v_add_f32_e32 v1, v1, v200
	v_add_f32_e32 v1, v1, v201
	s_delay_alu instid0(VALU_DEP_1) | instskip(NEXT) | instid1(VALU_DEP_1)
	v_add_f32_e32 v1, v1, v202
	;; [unrolled: 3-line block ×3, first 2 shown]
	v_add_f32_e32 v3, v1, v205
	s_wait_loadcnt 0x0
	s_delay_alu instid0(VALU_DEP_1)
	v_dual_sub_f32 v1, v184, v2 :: v_dual_sub_f32 v2, v185, v3
	scratch_store_b64 off, v[1:2], off offset:184
	v_cmpx_lt_u32_e32 22, v0
	s_cbranch_execz .LBB45_245
; %bb.244:
	scratch_load_b64 v[1:2], off, off offset:176
	v_mov_b32_e32 v3, 0
	s_delay_alu instid0(VALU_DEP_1)
	v_mov_b32_e32 v4, v3
	scratch_store_b64 off, v[3:4], off offset:176
	s_wait_loadcnt 0x0
	ds_store_b64 v23, v[1:2]
.LBB45_245:
	s_wait_alu 0xfffe
	s_or_b32 exec_lo, exec_lo, s0
	s_wait_storecnt_dscnt 0x0
	s_barrier_signal -1
	s_barrier_wait -1
	global_inv scope:SCOPE_SE
	s_clause 0xc
	scratch_load_b128 v[2:5], off, off offset:184
	scratch_load_b128 v[6:9], off, off offset:200
	scratch_load_b128 v[10:13], off, off offset:216
	scratch_load_b128 v[14:17], off, off offset:232
	scratch_load_b128 v[18:21], off, off offset:248
	scratch_load_b128 v[24:27], off, off offset:264
	scratch_load_b128 v[120:123], off, off offset:280
	scratch_load_b128 v[124:127], off, off offset:296
	scratch_load_b128 v[128:131], off, off offset:312
	scratch_load_b128 v[132:135], off, off offset:328
	scratch_load_b128 v[136:139], off, off offset:344
	scratch_load_b64 v[184:185], off, off offset:360
	scratch_load_b64 v[186:187], off, off offset:176
	v_mov_b32_e32 v1, 0
	ds_load_2addr_b64 v[140:143], v1 offset0:69 offset1:70
	ds_load_2addr_b64 v[144:147], v1 offset0:71 offset1:72
	;; [unrolled: 1-line block ×11, first 2 shown]
	ds_load_b64 v[188:189], v1 offset:728
	s_mov_b32 s0, exec_lo
	s_wait_loadcnt_dscnt 0xc0b
	v_mul_f32_e32 v22, v140, v3
	v_dual_mul_f32 v3, v141, v3 :: v_dual_mul_f32 v190, v142, v5
	s_wait_loadcnt_dscnt 0x807
	v_dual_mul_f32 v191, v144, v7 :: v_dual_mul_f32 v198, v158, v21
	v_mul_f32_e32 v5, v143, v5
	s_delay_alu instid0(VALU_DEP_3)
	v_fma_f32 v3, v140, v2, -v3
	v_dual_mul_f32 v192, v146, v9 :: v_dual_mul_f32 v193, v148, v11
	v_fmac_f32_e32 v22, v141, v2
	s_wait_loadcnt_dscnt 0x100
	v_dual_mul_f32 v2, v145, v7 :: v_dual_mul_f32 v211, v188, v185
	v_dual_fmac_f32 v190, v143, v4 :: v_dual_add_f32 v3, 0, v3
	v_fma_f32 v4, v142, v4, -v5
	v_dual_add_f32 v5, 0, v22 :: v_dual_fmac_f32 v192, v147, v8
	v_mul_f32_e32 v7, v147, v9
	v_fma_f32 v2, v144, v6, -v2
	s_delay_alu instid0(VALU_DEP_4)
	v_add_f32_e32 v3, v3, v4
	v_fmac_f32_e32 v191, v145, v6
	v_add_f32_e32 v4, v5, v190
	v_mul_f32_e32 v5, v149, v11
	v_fma_f32 v6, v146, v8, -v7
	v_add_f32_e32 v2, v3, v2
	v_dual_mul_f32 v194, v150, v13 :: v_dual_mul_f32 v195, v152, v15
	v_dual_add_f32 v3, v4, v191 :: v_dual_mul_f32 v4, v151, v13
	v_fma_f32 v5, v148, v10, -v5
	s_delay_alu instid0(VALU_DEP_4)
	v_add_f32_e32 v2, v2, v6
	v_fmac_f32_e32 v193, v149, v10
	v_mul_f32_e32 v6, v153, v15
	v_fmac_f32_e32 v194, v151, v12
	v_add_f32_e32 v3, v3, v192
	v_fma_f32 v4, v150, v12, -v4
	v_add_f32_e32 v2, v2, v5
	v_dual_mul_f32 v196, v154, v17 :: v_dual_mul_f32 v197, v156, v19
	s_delay_alu instid0(VALU_DEP_4)
	v_add_f32_e32 v3, v3, v193
	v_mul_f32_e32 v5, v155, v17
	v_fma_f32 v6, v152, v14, -v6
	v_dual_add_f32 v2, v2, v4 :: v_dual_fmac_f32 v195, v153, v14
	v_fmac_f32_e32 v196, v155, v16
	v_mul_f32_e32 v4, v157, v19
	v_fma_f32 v5, v154, v16, -v5
	s_delay_alu instid0(VALU_DEP_4) | instskip(SKIP_3) | instid1(VALU_DEP_3)
	v_add_f32_e32 v2, v2, v6
	v_add_f32_e32 v3, v3, v194
	v_dual_mul_f32 v6, v159, v21 :: v_dual_fmac_f32 v197, v157, v18
	v_fma_f32 v4, v156, v18, -v4
	v_dual_add_f32 v2, v2, v5 :: v_dual_add_f32 v3, v3, v195
	s_delay_alu instid0(VALU_DEP_3) | instskip(SKIP_1) | instid1(VALU_DEP_3)
	v_fma_f32 v6, v158, v20, -v6
	v_dual_mul_f32 v199, v160, v25 :: v_dual_mul_f32 v200, v162, v27
	v_add_f32_e32 v2, v2, v4
	s_delay_alu instid0(VALU_DEP_4) | instskip(SKIP_1) | instid1(VALU_DEP_4)
	v_add_f32_e32 v3, v3, v196
	v_dual_mul_f32 v5, v161, v25 :: v_dual_fmac_f32 v198, v159, v20
	v_dual_mul_f32 v4, v163, v27 :: v_dual_fmac_f32 v199, v161, v24
	s_delay_alu instid0(VALU_DEP_3) | instskip(NEXT) | instid1(VALU_DEP_3)
	v_dual_add_f32 v2, v2, v6 :: v_dual_add_f32 v3, v3, v197
	v_fma_f32 v5, v160, v24, -v5
	v_dual_mul_f32 v201, v164, v121 :: v_dual_mul_f32 v202, v166, v123
	s_delay_alu instid0(VALU_DEP_3) | instskip(NEXT) | instid1(VALU_DEP_2)
	v_dual_mul_f32 v6, v165, v121 :: v_dual_add_f32 v3, v3, v198
	v_dual_fmac_f32 v200, v163, v26 :: v_dual_fmac_f32 v201, v165, v120
	v_fma_f32 v4, v162, v26, -v4
	s_delay_alu instid0(VALU_DEP_3) | instskip(SKIP_3) | instid1(VALU_DEP_4)
	v_dual_add_f32 v2, v2, v5 :: v_dual_add_f32 v3, v3, v199
	v_mul_f32_e32 v5, v167, v123
	v_fma_f32 v6, v164, v120, -v6
	v_dual_mul_f32 v203, v168, v125 :: v_dual_mul_f32 v204, v170, v127
	v_add_f32_e32 v2, v2, v4
	v_dual_add_f32 v3, v3, v200 :: v_dual_mul_f32 v4, v169, v125
	s_delay_alu instid0(VALU_DEP_3) | instskip(SKIP_1) | instid1(VALU_DEP_3)
	v_dual_fmac_f32 v202, v167, v122 :: v_dual_fmac_f32 v203, v169, v124
	v_fma_f32 v5, v166, v122, -v5
	v_dual_add_f32 v2, v2, v6 :: v_dual_add_f32 v3, v3, v201
	v_mul_f32_e32 v6, v171, v127
	v_fma_f32 v4, v168, v124, -v4
	v_dual_mul_f32 v205, v172, v129 :: v_dual_mul_f32 v206, v174, v131
	s_delay_alu instid0(VALU_DEP_4) | instskip(SKIP_1) | instid1(VALU_DEP_3)
	v_dual_add_f32 v2, v2, v5 :: v_dual_add_f32 v3, v3, v202
	v_dual_mul_f32 v5, v173, v129 :: v_dual_fmac_f32 v204, v171, v126
	v_fmac_f32_e32 v205, v173, v128
	v_fma_f32 v6, v170, v126, -v6
	s_delay_alu instid0(VALU_DEP_4) | instskip(SKIP_2) | instid1(VALU_DEP_2)
	v_dual_add_f32 v2, v2, v4 :: v_dual_add_f32 v3, v3, v203
	v_dual_mul_f32 v207, v176, v133 :: v_dual_mul_f32 v208, v178, v135
	v_dual_mul_f32 v209, v180, v137 :: v_dual_mul_f32 v210, v182, v139
	v_dual_mul_f32 v4, v175, v131 :: v_dual_fmac_f32 v207, v177, v132
	v_fma_f32 v5, v172, v128, -v5
	v_dual_add_f32 v2, v2, v6 :: v_dual_add_f32 v3, v3, v204
	v_mul_f32_e32 v6, v177, v133
	v_dual_fmac_f32 v206, v175, v130 :: v_dual_fmac_f32 v209, v181, v136
	v_fma_f32 v4, v174, v130, -v4
	s_delay_alu instid0(VALU_DEP_4) | instskip(SKIP_3) | instid1(VALU_DEP_3)
	v_add_f32_e32 v3, v3, v205
	v_dual_add_f32 v2, v2, v5 :: v_dual_mul_f32 v5, v179, v135
	v_fma_f32 v6, v176, v132, -v6
	v_fmac_f32_e32 v208, v179, v134
	v_dual_add_f32 v3, v3, v206 :: v_dual_add_f32 v2, v2, v4
	v_mul_f32_e32 v4, v181, v137
	v_fma_f32 v5, v178, v134, -v5
	v_fmac_f32_e32 v210, v183, v138
	s_delay_alu instid0(VALU_DEP_4) | instskip(SKIP_2) | instid1(VALU_DEP_3)
	v_dual_add_f32 v3, v3, v207 :: v_dual_add_f32 v2, v2, v6
	v_dual_mul_f32 v6, v183, v139 :: v_dual_fmac_f32 v211, v189, v184
	v_fma_f32 v4, v180, v136, -v4
	v_add_f32_e32 v2, v2, v5
	v_mul_f32_e32 v5, v189, v185
	v_add_f32_e32 v3, v3, v208
	v_fma_f32 v6, v182, v138, -v6
	s_delay_alu instid0(VALU_DEP_2) | instskip(NEXT) | instid1(VALU_DEP_1)
	v_add_f32_e32 v3, v3, v209
	v_dual_add_f32 v3, v3, v210 :: v_dual_add_f32 v2, v2, v4
	v_fma_f32 v4, v188, v184, -v5
	s_delay_alu instid0(VALU_DEP_2) | instskip(SKIP_1) | instid1(VALU_DEP_1)
	v_dual_add_f32 v3, v3, v211 :: v_dual_add_f32 v2, v2, v6
	s_wait_loadcnt 0x0
	v_dual_sub_f32 v3, v187, v3 :: v_dual_add_f32 v2, v2, v4
	s_delay_alu instid0(VALU_DEP_1)
	v_sub_f32_e32 v2, v186, v2
	scratch_store_b64 off, v[2:3], off offset:176
	v_cmpx_lt_u32_e32 21, v0
	s_cbranch_execz .LBB45_247
; %bb.246:
	scratch_load_b64 v[3:4], off, off offset:168
	v_mov_b32_e32 v2, v1
	scratch_store_b64 off, v[1:2], off offset:168
	s_wait_loadcnt 0x0
	ds_store_b64 v23, v[3:4]
.LBB45_247:
	s_wait_alu 0xfffe
	s_or_b32 exec_lo, exec_lo, s0
	s_wait_storecnt_dscnt 0x0
	s_barrier_signal -1
	s_barrier_wait -1
	global_inv scope:SCOPE_SE
	s_clause 0xc
	scratch_load_b128 v[2:5], off, off offset:176
	scratch_load_b128 v[6:9], off, off offset:192
	scratch_load_b128 v[10:13], off, off offset:208
	scratch_load_b128 v[14:17], off, off offset:224
	scratch_load_b128 v[18:21], off, off offset:240
	scratch_load_b128 v[24:27], off, off offset:256
	scratch_load_b128 v[120:123], off, off offset:272
	scratch_load_b128 v[124:127], off, off offset:288
	scratch_load_b128 v[128:131], off, off offset:304
	scratch_load_b128 v[132:135], off, off offset:320
	scratch_load_b128 v[136:139], off, off offset:336
	scratch_load_b128 v[140:143], off, off offset:352
	scratch_load_b64 v[192:193], off, off offset:168
	ds_load_b128 v[144:147], v1 offset:544
	ds_load_b128 v[148:151], v1 offset:560
	;; [unrolled: 1-line block ×12, first 2 shown]
	s_mov_b32 s0, exec_lo
	s_wait_loadcnt_dscnt 0xc0b
	v_dual_mul_f32 v1, v144, v3 :: v_dual_mul_f32 v22, v146, v5
	s_wait_loadcnt_dscnt 0xb0a
	v_dual_mul_f32 v5, v147, v5 :: v_dual_mul_f32 v194, v148, v7
	v_mul_f32_e32 v195, v150, v9
	s_delay_alu instid0(VALU_DEP_3)
	v_fmac_f32_e32 v1, v145, v2
	v_dual_mul_f32 v3, v145, v3 :: v_dual_fmac_f32 v22, v147, v4
	s_wait_loadcnt_dscnt 0xa09
	v_dual_mul_f32 v196, v152, v11 :: v_dual_mul_f32 v197, v154, v13
	s_wait_loadcnt_dscnt 0x201
	v_mul_f32_e32 v212, v184, v137
	v_fma_f32 v3, v144, v2, -v3
	s_wait_loadcnt_dscnt 0x100
	v_mul_f32_e32 v215, v190, v143
	v_mul_f32_e32 v2, v149, v7
	v_fma_f32 v4, v146, v4, -v5
	v_dual_mul_f32 v198, v156, v15 :: v_dual_mul_f32 v199, v158, v17
	v_dual_add_f32 v3, 0, v3 :: v_dual_fmac_f32 v194, v149, v6
	v_dual_mul_f32 v5, v151, v9 :: v_dual_fmac_f32 v196, v153, v10
	v_fma_f32 v2, v148, v6, -v2
	s_delay_alu instid0(VALU_DEP_3) | instskip(NEXT) | instid1(VALU_DEP_3)
	v_dual_add_f32 v3, v3, v4 :: v_dual_fmac_f32 v198, v157, v14
	v_fma_f32 v5, v150, v8, -v5
	v_dual_mul_f32 v200, v160, v19 :: v_dual_mul_f32 v201, v162, v21
	s_delay_alu instid0(VALU_DEP_3) | instskip(SKIP_3) | instid1(VALU_DEP_4)
	v_add_f32_e32 v2, v3, v2
	v_mul_f32_e32 v3, v155, v13
	v_dual_mul_f32 v202, v164, v25 :: v_dual_mul_f32 v203, v166, v27
	v_mul_f32_e32 v4, v153, v11
	v_add_f32_e32 v2, v2, v5
	v_dual_add_f32 v1, 0, v1 :: v_dual_fmac_f32 v200, v161, v18
	v_fma_f32 v3, v154, v12, -v3
	s_delay_alu instid0(VALU_DEP_4) | instskip(SKIP_1) | instid1(VALU_DEP_4)
	v_fma_f32 v4, v152, v10, -v4
	v_fmac_f32_e32 v199, v159, v16
	v_dual_add_f32 v1, v1, v22 :: v_dual_mul_f32 v204, v168, v121
	v_mul_f32_e32 v205, v170, v123
	s_delay_alu instid0(VALU_DEP_4) | instskip(NEXT) | instid1(VALU_DEP_3)
	v_add_f32_e32 v2, v2, v4
	v_dual_mul_f32 v4, v159, v17 :: v_dual_add_f32 v1, v1, v194
	v_dual_fmac_f32 v195, v151, v8 :: v_dual_mul_f32 v208, v176, v129
	v_mul_f32_e32 v209, v178, v131
	s_delay_alu instid0(VALU_DEP_3) | instskip(SKIP_4) | instid1(VALU_DEP_4)
	v_fma_f32 v4, v158, v16, -v4
	v_mul_f32_e32 v5, v157, v15
	v_add_f32_e32 v2, v2, v3
	v_dual_add_f32 v1, v1, v195 :: v_dual_mul_f32 v206, v172, v125
	v_mul_f32_e32 v207, v174, v127
	v_fma_f32 v5, v156, v14, -v5
	v_fmac_f32_e32 v197, v155, v12
	v_dual_fmac_f32 v205, v171, v122 :: v_dual_fmac_f32 v202, v165, v24
	v_dual_mul_f32 v210, v180, v133 :: v_dual_mul_f32 v211, v182, v135
	s_delay_alu instid0(VALU_DEP_4) | instskip(SKIP_3) | instid1(VALU_DEP_3)
	v_add_f32_e32 v2, v2, v5
	v_mul_f32_e32 v5, v163, v21
	v_dual_fmac_f32 v203, v167, v26 :: v_dual_fmac_f32 v206, v173, v124
	v_dual_mul_f32 v213, v186, v139 :: v_dual_mul_f32 v214, v188, v141
	v_fma_f32 v5, v162, v20, -v5
	v_dual_mul_f32 v3, v161, v19 :: v_dual_add_f32 v2, v2, v4
	v_dual_mul_f32 v4, v165, v25 :: v_dual_fmac_f32 v211, v183, v134
	v_dual_fmac_f32 v209, v179, v130 :: v_dual_fmac_f32 v212, v185, v136
	s_delay_alu instid0(VALU_DEP_3) | instskip(SKIP_1) | instid1(VALU_DEP_4)
	v_fma_f32 v3, v160, v18, -v3
	v_add_f32_e32 v1, v1, v196
	v_fma_f32 v4, v164, v24, -v4
	v_dual_fmac_f32 v204, v169, v120 :: v_dual_fmac_f32 v215, v191, v142
	s_delay_alu instid0(VALU_DEP_4) | instskip(SKIP_3) | instid1(VALU_DEP_4)
	v_add_f32_e32 v2, v2, v3
	v_dual_mul_f32 v3, v167, v27 :: v_dual_fmac_f32 v208, v177, v128
	v_fmac_f32_e32 v210, v181, v132
	v_fmac_f32_e32 v214, v189, v140
	v_add_f32_e32 v2, v2, v5
	v_add_f32_e32 v1, v1, v197
	v_fma_f32 v3, v166, v26, -v3
	s_delay_alu instid0(VALU_DEP_2) | instskip(SKIP_1) | instid1(VALU_DEP_2)
	v_dual_add_f32 v2, v2, v4 :: v_dual_add_f32 v1, v1, v198
	v_mul_f32_e32 v4, v171, v123
	v_dual_fmac_f32 v201, v163, v20 :: v_dual_add_f32 v2, v2, v3
	v_mul_f32_e32 v3, v173, v125
	s_delay_alu instid0(VALU_DEP_3) | instskip(SKIP_1) | instid1(VALU_DEP_3)
	v_fma_f32 v4, v170, v122, -v4
	v_mul_f32_e32 v5, v169, v121
	v_fma_f32 v3, v172, v124, -v3
	s_delay_alu instid0(VALU_DEP_2) | instskip(NEXT) | instid1(VALU_DEP_1)
	v_fma_f32 v5, v168, v120, -v5
	v_dual_add_f32 v1, v1, v199 :: v_dual_add_f32 v2, v2, v5
	s_delay_alu instid0(VALU_DEP_1) | instskip(NEXT) | instid1(VALU_DEP_2)
	v_dual_mul_f32 v5, v175, v127 :: v_dual_add_f32 v2, v2, v4
	v_add_f32_e32 v1, v1, v200
	v_mul_f32_e32 v4, v177, v129
	s_delay_alu instid0(VALU_DEP_3) | instskip(NEXT) | instid1(VALU_DEP_4)
	v_fma_f32 v5, v174, v126, -v5
	v_dual_add_f32 v2, v2, v3 :: v_dual_fmac_f32 v207, v175, v126
	v_mul_f32_e32 v3, v179, v131
	s_delay_alu instid0(VALU_DEP_4) | instskip(NEXT) | instid1(VALU_DEP_3)
	v_fma_f32 v4, v176, v128, -v4
	v_add_f32_e32 v2, v2, v5
	v_add_f32_e32 v1, v1, v201
	s_delay_alu instid0(VALU_DEP_4) | instskip(NEXT) | instid1(VALU_DEP_3)
	v_fma_f32 v3, v178, v130, -v3
	v_dual_add_f32 v2, v2, v4 :: v_dual_mul_f32 v5, v181, v133
	s_delay_alu instid0(VALU_DEP_3) | instskip(NEXT) | instid1(VALU_DEP_2)
	v_dual_add_f32 v1, v1, v202 :: v_dual_mul_f32 v4, v183, v135
	v_add_f32_e32 v2, v2, v3
	s_delay_alu instid0(VALU_DEP_3) | instskip(NEXT) | instid1(VALU_DEP_3)
	v_fma_f32 v5, v180, v132, -v5
	v_add_f32_e32 v1, v1, v203
	v_mul_f32_e32 v3, v185, v137
	v_fma_f32 v4, v182, v134, -v4
	s_delay_alu instid0(VALU_DEP_4) | instskip(NEXT) | instid1(VALU_DEP_3)
	v_dual_add_f32 v2, v2, v5 :: v_dual_mul_f32 v5, v187, v139
	v_fma_f32 v3, v184, v136, -v3
	s_delay_alu instid0(VALU_DEP_2) | instskip(SKIP_3) | instid1(VALU_DEP_4)
	v_add_f32_e32 v2, v2, v4
	v_add_f32_e32 v1, v1, v204
	v_mul_f32_e32 v4, v189, v141
	v_fma_f32 v5, v186, v138, -v5
	v_dual_add_f32 v2, v2, v3 :: v_dual_fmac_f32 v213, v187, v138
	v_mul_f32_e32 v3, v191, v143
	s_delay_alu instid0(VALU_DEP_4) | instskip(NEXT) | instid1(VALU_DEP_3)
	v_fma_f32 v4, v188, v140, -v4
	v_add_f32_e32 v2, v2, v5
	v_add_f32_e32 v1, v1, v205
	s_delay_alu instid0(VALU_DEP_4) | instskip(NEXT) | instid1(VALU_DEP_2)
	v_fma_f32 v3, v190, v142, -v3
	v_dual_add_f32 v2, v2, v4 :: v_dual_add_f32 v1, v1, v206
	s_delay_alu instid0(VALU_DEP_1) | instskip(NEXT) | instid1(VALU_DEP_2)
	v_add_f32_e32 v2, v2, v3
	v_add_f32_e32 v1, v1, v207
	s_delay_alu instid0(VALU_DEP_1) | instskip(NEXT) | instid1(VALU_DEP_1)
	v_add_f32_e32 v1, v1, v208
	v_add_f32_e32 v1, v1, v209
	s_delay_alu instid0(VALU_DEP_1) | instskip(NEXT) | instid1(VALU_DEP_1)
	;; [unrolled: 3-line block ×4, first 2 shown]
	v_add_f32_e32 v1, v1, v214
	v_add_f32_e32 v3, v1, v215
	s_wait_loadcnt 0x0
	s_delay_alu instid0(VALU_DEP_1)
	v_dual_sub_f32 v1, v192, v2 :: v_dual_sub_f32 v2, v193, v3
	scratch_store_b64 off, v[1:2], off offset:168
	v_cmpx_lt_u32_e32 20, v0
	s_cbranch_execz .LBB45_249
; %bb.248:
	scratch_load_b64 v[1:2], off, off offset:160
	v_mov_b32_e32 v3, 0
	s_delay_alu instid0(VALU_DEP_1)
	v_mov_b32_e32 v4, v3
	scratch_store_b64 off, v[3:4], off offset:160
	s_wait_loadcnt 0x0
	ds_store_b64 v23, v[1:2]
.LBB45_249:
	s_wait_alu 0xfffe
	s_or_b32 exec_lo, exec_lo, s0
	s_wait_storecnt_dscnt 0x0
	s_barrier_signal -1
	s_barrier_wait -1
	global_inv scope:SCOPE_SE
	s_clause 0xd
	scratch_load_b128 v[2:5], off, off offset:168
	scratch_load_b128 v[6:9], off, off offset:184
	;; [unrolled: 1-line block ×12, first 2 shown]
	scratch_load_b64 v[192:193], off, off offset:360
	scratch_load_b64 v[194:195], off, off offset:160
	v_mov_b32_e32 v1, 0
	ds_load_2addr_b64 v[144:147], v1 offset0:67 offset1:68
	ds_load_2addr_b64 v[148:151], v1 offset0:69 offset1:70
	;; [unrolled: 1-line block ×12, first 2 shown]
	ds_load_b64 v[196:197], v1 offset:728
	s_mov_b32 s0, exec_lo
	s_wait_loadcnt_dscnt 0xd0c
	v_mul_f32_e32 v22, v144, v3
	v_dual_mul_f32 v3, v145, v3 :: v_dual_mul_f32 v198, v146, v5
	s_wait_loadcnt_dscnt 0x908
	v_dual_mul_f32 v199, v148, v7 :: v_dual_mul_f32 v206, v162, v21
	v_mul_f32_e32 v5, v147, v5
	s_delay_alu instid0(VALU_DEP_3) | instskip(SKIP_3) | instid1(VALU_DEP_4)
	v_fma_f32 v3, v144, v2, -v3
	v_dual_mul_f32 v200, v150, v9 :: v_dual_mul_f32 v201, v152, v11
	v_fmac_f32_e32 v22, v145, v2
	v_mul_f32_e32 v2, v149, v7
	v_dual_fmac_f32 v198, v147, v4 :: v_dual_add_f32 v3, 0, v3
	s_wait_loadcnt_dscnt 0x100
	v_mul_f32_e32 v221, v196, v193
	v_fma_f32 v4, v146, v4, -v5
	v_dual_add_f32 v5, 0, v22 :: v_dual_fmac_f32 v200, v151, v8
	v_mul_f32_e32 v7, v151, v9
	v_fma_f32 v2, v148, v6, -v2
	s_delay_alu instid0(VALU_DEP_4)
	v_add_f32_e32 v3, v3, v4
	v_fmac_f32_e32 v199, v149, v6
	v_add_f32_e32 v4, v5, v198
	v_mul_f32_e32 v5, v153, v11
	v_fma_f32 v6, v150, v8, -v7
	v_add_f32_e32 v2, v3, v2
	v_dual_mul_f32 v202, v154, v13 :: v_dual_mul_f32 v203, v156, v15
	v_dual_add_f32 v3, v4, v199 :: v_dual_mul_f32 v4, v155, v13
	v_fma_f32 v5, v152, v10, -v5
	s_delay_alu instid0(VALU_DEP_4)
	v_add_f32_e32 v2, v2, v6
	v_fmac_f32_e32 v201, v153, v10
	v_mul_f32_e32 v6, v157, v15
	v_fmac_f32_e32 v202, v155, v12
	v_add_f32_e32 v3, v3, v200
	v_fma_f32 v4, v154, v12, -v4
	v_add_f32_e32 v2, v2, v5
	v_dual_mul_f32 v204, v158, v17 :: v_dual_mul_f32 v205, v160, v19
	s_delay_alu instid0(VALU_DEP_4)
	v_add_f32_e32 v3, v3, v201
	v_mul_f32_e32 v5, v159, v17
	v_fma_f32 v6, v156, v14, -v6
	v_dual_add_f32 v2, v2, v4 :: v_dual_fmac_f32 v203, v157, v14
	v_fmac_f32_e32 v204, v159, v16
	v_mul_f32_e32 v4, v161, v19
	v_fma_f32 v5, v158, v16, -v5
	s_delay_alu instid0(VALU_DEP_4) | instskip(SKIP_3) | instid1(VALU_DEP_3)
	v_add_f32_e32 v2, v2, v6
	v_add_f32_e32 v3, v3, v202
	v_dual_mul_f32 v6, v163, v21 :: v_dual_fmac_f32 v205, v161, v18
	v_fma_f32 v4, v160, v18, -v4
	v_dual_add_f32 v2, v2, v5 :: v_dual_add_f32 v3, v3, v203
	s_delay_alu instid0(VALU_DEP_3) | instskip(SKIP_1) | instid1(VALU_DEP_3)
	v_fma_f32 v6, v162, v20, -v6
	v_dual_mul_f32 v207, v164, v25 :: v_dual_mul_f32 v208, v166, v27
	v_add_f32_e32 v2, v2, v4
	s_delay_alu instid0(VALU_DEP_4) | instskip(SKIP_1) | instid1(VALU_DEP_4)
	v_add_f32_e32 v3, v3, v204
	v_dual_mul_f32 v5, v165, v25 :: v_dual_fmac_f32 v206, v163, v20
	v_dual_mul_f32 v4, v167, v27 :: v_dual_fmac_f32 v207, v165, v24
	s_delay_alu instid0(VALU_DEP_3) | instskip(NEXT) | instid1(VALU_DEP_3)
	v_dual_add_f32 v2, v2, v6 :: v_dual_add_f32 v3, v3, v205
	v_fma_f32 v5, v164, v24, -v5
	v_dual_mul_f32 v209, v168, v121 :: v_dual_mul_f32 v210, v170, v123
	s_delay_alu instid0(VALU_DEP_3) | instskip(NEXT) | instid1(VALU_DEP_2)
	v_dual_mul_f32 v6, v169, v121 :: v_dual_add_f32 v3, v3, v206
	v_dual_fmac_f32 v208, v167, v26 :: v_dual_fmac_f32 v209, v169, v120
	v_fma_f32 v4, v166, v26, -v4
	s_delay_alu instid0(VALU_DEP_3) | instskip(SKIP_3) | instid1(VALU_DEP_4)
	v_dual_add_f32 v2, v2, v5 :: v_dual_add_f32 v3, v3, v207
	v_mul_f32_e32 v5, v171, v123
	v_fma_f32 v6, v168, v120, -v6
	v_dual_mul_f32 v211, v172, v125 :: v_dual_mul_f32 v212, v174, v127
	v_add_f32_e32 v2, v2, v4
	v_dual_add_f32 v3, v3, v208 :: v_dual_mul_f32 v4, v173, v125
	s_delay_alu instid0(VALU_DEP_3) | instskip(SKIP_1) | instid1(VALU_DEP_3)
	v_dual_fmac_f32 v210, v171, v122 :: v_dual_fmac_f32 v211, v173, v124
	v_fma_f32 v5, v170, v122, -v5
	v_dual_add_f32 v2, v2, v6 :: v_dual_add_f32 v3, v3, v209
	v_mul_f32_e32 v6, v175, v127
	v_fma_f32 v4, v172, v124, -v4
	v_dual_mul_f32 v213, v176, v129 :: v_dual_mul_f32 v214, v178, v131
	s_delay_alu instid0(VALU_DEP_4) | instskip(SKIP_1) | instid1(VALU_DEP_3)
	v_dual_add_f32 v2, v2, v5 :: v_dual_add_f32 v3, v3, v210
	v_dual_mul_f32 v5, v177, v129 :: v_dual_fmac_f32 v212, v175, v126
	v_fmac_f32_e32 v213, v177, v128
	v_fma_f32 v6, v174, v126, -v6
	s_delay_alu instid0(VALU_DEP_4) | instskip(SKIP_2) | instid1(VALU_DEP_2)
	v_dual_add_f32 v2, v2, v4 :: v_dual_add_f32 v3, v3, v211
	v_dual_mul_f32 v215, v180, v133 :: v_dual_mul_f32 v216, v182, v135
	v_dual_mul_f32 v217, v184, v137 :: v_dual_mul_f32 v218, v186, v139
	v_dual_mul_f32 v4, v179, v131 :: v_dual_fmac_f32 v215, v181, v132
	v_fma_f32 v5, v176, v128, -v5
	v_dual_add_f32 v2, v2, v6 :: v_dual_add_f32 v3, v3, v212
	v_mul_f32_e32 v6, v181, v133
	v_dual_fmac_f32 v214, v179, v130 :: v_dual_fmac_f32 v217, v185, v136
	v_fma_f32 v4, v178, v130, -v4
	s_delay_alu instid0(VALU_DEP_4) | instskip(SKIP_3) | instid1(VALU_DEP_3)
	v_add_f32_e32 v3, v3, v213
	v_dual_add_f32 v2, v2, v5 :: v_dual_mul_f32 v5, v183, v135
	v_fma_f32 v6, v180, v132, -v6
	v_fmac_f32_e32 v216, v183, v134
	v_dual_add_f32 v3, v3, v214 :: v_dual_add_f32 v2, v2, v4
	v_mul_f32_e32 v4, v185, v137
	v_fma_f32 v5, v182, v134, -v5
	v_dual_mul_f32 v219, v188, v141 :: v_dual_mul_f32 v220, v190, v143
	s_delay_alu instid0(VALU_DEP_4) | instskip(NEXT) | instid1(VALU_DEP_2)
	v_dual_add_f32 v3, v3, v215 :: v_dual_add_f32 v2, v2, v6
	v_dual_mul_f32 v6, v187, v139 :: v_dual_fmac_f32 v219, v189, v140
	v_dual_fmac_f32 v218, v187, v138 :: v_dual_fmac_f32 v221, v197, v192
	s_delay_alu instid0(VALU_DEP_3)
	v_add_f32_e32 v2, v2, v5
	v_mul_f32_e32 v5, v189, v141
	v_add_f32_e32 v3, v3, v216
	v_fma_f32 v6, v186, v138, -v6
	v_fma_f32 v4, v184, v136, -v4
	v_fmac_f32_e32 v220, v191, v142
	v_fma_f32 v5, v188, v140, -v5
	v_add_f32_e32 v3, v3, v217
	s_delay_alu instid0(VALU_DEP_1) | instskip(SKIP_1) | instid1(VALU_DEP_2)
	v_dual_add_f32 v3, v3, v218 :: v_dual_add_f32 v2, v2, v4
	v_mul_f32_e32 v4, v191, v143
	v_dual_add_f32 v3, v3, v219 :: v_dual_add_f32 v2, v2, v6
	v_mul_f32_e32 v6, v197, v193
	s_delay_alu instid0(VALU_DEP_3) | instskip(NEXT) | instid1(VALU_DEP_3)
	v_fma_f32 v4, v190, v142, -v4
	v_add_f32_e32 v3, v3, v220
	s_delay_alu instid0(VALU_DEP_1) | instskip(SKIP_3) | instid1(VALU_DEP_2)
	v_add_f32_e32 v3, v3, v221
	v_add_f32_e32 v2, v2, v5
	v_fma_f32 v5, v196, v192, -v6
	s_wait_loadcnt 0x0
	v_dual_sub_f32 v3, v195, v3 :: v_dual_add_f32 v2, v2, v4
	s_delay_alu instid0(VALU_DEP_1) | instskip(NEXT) | instid1(VALU_DEP_1)
	v_add_f32_e32 v2, v2, v5
	v_sub_f32_e32 v2, v194, v2
	scratch_store_b64 off, v[2:3], off offset:160
	v_cmpx_lt_u32_e32 19, v0
	s_cbranch_execz .LBB45_251
; %bb.250:
	scratch_load_b64 v[3:4], off, off offset:152
	v_mov_b32_e32 v2, v1
	scratch_store_b64 off, v[1:2], off offset:152
	s_wait_loadcnt 0x0
	ds_store_b64 v23, v[3:4]
.LBB45_251:
	s_wait_alu 0xfffe
	s_or_b32 exec_lo, exec_lo, s0
	s_wait_storecnt_dscnt 0x0
	s_barrier_signal -1
	s_barrier_wait -1
	global_inv scope:SCOPE_SE
	s_clause 0xd
	scratch_load_b128 v[2:5], off, off offset:160
	scratch_load_b128 v[6:9], off, off offset:176
	;; [unrolled: 1-line block ×13, first 2 shown]
	scratch_load_b64 v[200:201], off, off offset:152
	ds_load_b128 v[148:151], v1 offset:528
	ds_load_b128 v[152:155], v1 offset:544
	;; [unrolled: 1-line block ×13, first 2 shown]
	s_mov_b32 s0, exec_lo
	s_wait_loadcnt_dscnt 0xd0c
	v_dual_mul_f32 v1, v148, v3 :: v_dual_mul_f32 v22, v150, v5
	s_wait_loadcnt_dscnt 0xc0b
	v_dual_mul_f32 v5, v151, v5 :: v_dual_mul_f32 v202, v152, v7
	v_mul_f32_e32 v203, v154, v9
	s_wait_loadcnt_dscnt 0xb0a
	v_dual_fmac_f32 v1, v149, v2 :: v_dual_mul_f32 v204, v156, v11
	v_mul_f32_e32 v205, v158, v13
	v_dual_mul_f32 v3, v149, v3 :: v_dual_fmac_f32 v22, v151, v4
	s_wait_loadcnt_dscnt 0xa09
	v_dual_mul_f32 v206, v160, v15 :: v_dual_mul_f32 v207, v162, v17
	s_wait_loadcnt_dscnt 0x201
	v_mul_f32_e32 v222, v192, v141
	v_fma_f32 v3, v148, v2, -v3
	s_wait_loadcnt_dscnt 0x100
	v_mul_f32_e32 v225, v198, v147
	v_mul_f32_e32 v2, v153, v7
	v_fma_f32 v4, v150, v4, -v5
	v_dual_mul_f32 v5, v155, v9 :: v_dual_fmac_f32 v204, v157, v10
	v_dual_add_f32 v3, 0, v3 :: v_dual_fmac_f32 v202, v153, v6
	s_delay_alu instid0(VALU_DEP_4) | instskip(NEXT) | instid1(VALU_DEP_3)
	v_fma_f32 v2, v152, v6, -v2
	v_fma_f32 v5, v154, v8, -v5
	s_delay_alu instid0(VALU_DEP_3) | instskip(SKIP_2) | instid1(VALU_DEP_3)
	v_dual_fmac_f32 v206, v161, v14 :: v_dual_add_f32 v3, v3, v4
	v_dual_mul_f32 v208, v164, v19 :: v_dual_mul_f32 v209, v166, v21
	v_dual_mul_f32 v210, v168, v25 :: v_dual_mul_f32 v211, v170, v27
	v_add_f32_e32 v2, v3, v2
	s_delay_alu instid0(VALU_DEP_3) | instskip(SKIP_1) | instid1(VALU_DEP_3)
	v_dual_mul_f32 v3, v159, v13 :: v_dual_fmac_f32 v208, v165, v18
	v_dual_mul_f32 v4, v157, v11 :: v_dual_fmac_f32 v207, v163, v16
	v_add_f32_e32 v2, v2, v5
	v_add_f32_e32 v1, 0, v1
	s_delay_alu instid0(VALU_DEP_4) | instskip(NEXT) | instid1(VALU_DEP_4)
	v_fma_f32 v3, v158, v12, -v3
	v_fma_f32 v4, v156, v10, -v4
	v_dual_mul_f32 v212, v172, v121 :: v_dual_mul_f32 v213, v174, v123
	s_delay_alu instid0(VALU_DEP_4) | instskip(SKIP_1) | instid1(VALU_DEP_4)
	v_dual_add_f32 v1, v1, v22 :: v_dual_mul_f32 v216, v180, v129
	v_mul_f32_e32 v217, v182, v131
	v_add_f32_e32 v2, v2, v4
	s_delay_alu instid0(VALU_DEP_3) | instskip(SKIP_2) | instid1(VALU_DEP_3)
	v_dual_mul_f32 v4, v163, v17 :: v_dual_add_f32 v1, v1, v202
	v_dual_fmac_f32 v203, v155, v8 :: v_dual_mul_f32 v214, v176, v125
	v_mul_f32_e32 v215, v178, v127
	v_fma_f32 v4, v162, v16, -v4
	v_mul_f32_e32 v5, v161, v15
	v_add_f32_e32 v2, v2, v3
	v_add_f32_e32 v1, v1, v203
	v_dual_fmac_f32 v213, v175, v122 :: v_dual_mul_f32 v218, v184, v133
	v_mul_f32_e32 v219, v186, v135
	v_fma_f32 v5, v160, v14, -v5
	v_fmac_f32_e32 v205, v159, v12
	v_dual_fmac_f32 v210, v169, v24 :: v_dual_fmac_f32 v211, v171, v26
	v_fmac_f32_e32 v214, v177, v124
	s_delay_alu instid0(VALU_DEP_4) | instskip(SKIP_2) | instid1(VALU_DEP_3)
	v_add_f32_e32 v2, v2, v5
	v_mul_f32_e32 v5, v167, v21
	v_dual_mul_f32 v220, v188, v137 :: v_dual_mul_f32 v221, v190, v139
	v_dual_fmac_f32 v219, v187, v134 :: v_dual_add_f32 v2, v2, v4
	s_delay_alu instid0(VALU_DEP_3) | instskip(SKIP_4) | instid1(VALU_DEP_4)
	v_fma_f32 v5, v166, v20, -v5
	v_mul_f32_e32 v3, v165, v19
	v_dual_mul_f32 v4, v169, v25 :: v_dual_mul_f32 v223, v194, v143
	v_mul_f32_e32 v224, v196, v145
	v_fmac_f32_e32 v212, v173, v120
	v_fma_f32 v3, v164, v18, -v3
	v_add_f32_e32 v1, v1, v204
	v_fma_f32 v4, v168, v24, -v4
	v_dual_fmac_f32 v217, v183, v130 :: v_dual_fmac_f32 v220, v189, v136
	s_delay_alu instid0(VALU_DEP_4) | instskip(SKIP_3) | instid1(VALU_DEP_4)
	v_add_f32_e32 v2, v2, v3
	v_mul_f32_e32 v3, v171, v27
	v_fmac_f32_e32 v223, v195, v142
	v_dual_fmac_f32 v225, v199, v146 :: v_dual_fmac_f32 v216, v181, v128
	v_add_f32_e32 v2, v2, v5
	v_add_f32_e32 v1, v1, v205
	v_fma_f32 v3, v170, v26, -v3
	v_fmac_f32_e32 v218, v185, v132
	v_fmac_f32_e32 v222, v193, v140
	s_delay_alu instid0(VALU_DEP_4) | instskip(SKIP_3) | instid1(VALU_DEP_4)
	v_dual_add_f32 v2, v2, v4 :: v_dual_add_f32 v1, v1, v206
	v_mul_f32_e32 v4, v175, v123
	v_fmac_f32_e32 v209, v167, v20
	v_fmac_f32_e32 v224, v197, v144
	v_dual_add_f32 v2, v2, v3 :: v_dual_mul_f32 v3, v177, v125
	s_delay_alu instid0(VALU_DEP_4) | instskip(SKIP_1) | instid1(VALU_DEP_3)
	v_fma_f32 v4, v174, v122, -v4
	v_mul_f32_e32 v5, v173, v121
	v_fma_f32 v3, v176, v124, -v3
	s_delay_alu instid0(VALU_DEP_2) | instskip(NEXT) | instid1(VALU_DEP_1)
	v_fma_f32 v5, v172, v120, -v5
	v_dual_add_f32 v1, v1, v207 :: v_dual_add_f32 v2, v2, v5
	s_delay_alu instid0(VALU_DEP_1) | instskip(NEXT) | instid1(VALU_DEP_2)
	v_dual_mul_f32 v5, v179, v127 :: v_dual_add_f32 v2, v2, v4
	v_add_f32_e32 v1, v1, v208
	v_mul_f32_e32 v4, v181, v129
	s_delay_alu instid0(VALU_DEP_3) | instskip(NEXT) | instid1(VALU_DEP_4)
	v_fma_f32 v5, v178, v126, -v5
	v_dual_add_f32 v2, v2, v3 :: v_dual_fmac_f32 v215, v179, v126
	v_mul_f32_e32 v3, v183, v131
	s_delay_alu instid0(VALU_DEP_4) | instskip(NEXT) | instid1(VALU_DEP_3)
	v_fma_f32 v4, v180, v128, -v4
	v_add_f32_e32 v2, v2, v5
	v_add_f32_e32 v1, v1, v209
	s_delay_alu instid0(VALU_DEP_4) | instskip(NEXT) | instid1(VALU_DEP_3)
	v_fma_f32 v3, v182, v130, -v3
	v_dual_add_f32 v2, v2, v4 :: v_dual_mul_f32 v5, v185, v133
	s_delay_alu instid0(VALU_DEP_3) | instskip(NEXT) | instid1(VALU_DEP_2)
	v_dual_add_f32 v1, v1, v210 :: v_dual_mul_f32 v4, v187, v135
	v_add_f32_e32 v2, v2, v3
	s_delay_alu instid0(VALU_DEP_3) | instskip(NEXT) | instid1(VALU_DEP_3)
	v_fma_f32 v5, v184, v132, -v5
	v_add_f32_e32 v1, v1, v211
	v_mul_f32_e32 v3, v189, v137
	v_fma_f32 v4, v186, v134, -v4
	s_delay_alu instid0(VALU_DEP_4) | instskip(NEXT) | instid1(VALU_DEP_3)
	v_dual_add_f32 v2, v2, v5 :: v_dual_mul_f32 v5, v191, v139
	v_fma_f32 v3, v188, v136, -v3
	s_delay_alu instid0(VALU_DEP_2) | instskip(SKIP_3) | instid1(VALU_DEP_4)
	v_add_f32_e32 v2, v2, v4
	v_add_f32_e32 v1, v1, v212
	v_mul_f32_e32 v4, v193, v141
	v_fma_f32 v5, v190, v138, -v5
	v_dual_add_f32 v2, v2, v3 :: v_dual_fmac_f32 v221, v191, v138
	v_mul_f32_e32 v3, v195, v143
	s_delay_alu instid0(VALU_DEP_4) | instskip(NEXT) | instid1(VALU_DEP_3)
	v_fma_f32 v4, v192, v140, -v4
	v_add_f32_e32 v2, v2, v5
	v_add_f32_e32 v1, v1, v213
	s_delay_alu instid0(VALU_DEP_4) | instskip(NEXT) | instid1(VALU_DEP_2)
	v_fma_f32 v3, v194, v142, -v3
	v_dual_add_f32 v2, v2, v4 :: v_dual_add_f32 v1, v1, v214
	v_dual_mul_f32 v4, v199, v147 :: v_dual_mul_f32 v5, v197, v145
	s_delay_alu instid0(VALU_DEP_2) | instskip(NEXT) | instid1(VALU_DEP_2)
	v_add_f32_e32 v2, v2, v3
	v_fma_f32 v3, v198, v146, -v4
	s_delay_alu instid0(VALU_DEP_3) | instskip(NEXT) | instid1(VALU_DEP_1)
	v_fma_f32 v5, v196, v144, -v5
	v_dual_add_f32 v1, v1, v215 :: v_dual_add_f32 v2, v2, v5
	s_delay_alu instid0(VALU_DEP_1) | instskip(NEXT) | instid1(VALU_DEP_1)
	v_dual_add_f32 v1, v1, v216 :: v_dual_add_f32 v2, v2, v3
	v_add_f32_e32 v1, v1, v217
	s_delay_alu instid0(VALU_DEP_1) | instskip(NEXT) | instid1(VALU_DEP_1)
	v_add_f32_e32 v1, v1, v218
	v_add_f32_e32 v1, v1, v219
	s_delay_alu instid0(VALU_DEP_1) | instskip(NEXT) | instid1(VALU_DEP_1)
	v_add_f32_e32 v1, v1, v220
	;; [unrolled: 3-line block ×4, first 2 shown]
	v_add_f32_e32 v3, v1, v225
	s_wait_loadcnt 0x0
	s_delay_alu instid0(VALU_DEP_1)
	v_dual_sub_f32 v1, v200, v2 :: v_dual_sub_f32 v2, v201, v3
	scratch_store_b64 off, v[1:2], off offset:152
	v_cmpx_lt_u32_e32 18, v0
	s_cbranch_execz .LBB45_253
; %bb.252:
	scratch_load_b64 v[1:2], off, off offset:144
	v_mov_b32_e32 v3, 0
	s_delay_alu instid0(VALU_DEP_1)
	v_mov_b32_e32 v4, v3
	scratch_store_b64 off, v[3:4], off offset:144
	s_wait_loadcnt 0x0
	ds_store_b64 v23, v[1:2]
.LBB45_253:
	s_wait_alu 0xfffe
	s_or_b32 exec_lo, exec_lo, s0
	s_wait_storecnt_dscnt 0x0
	s_barrier_signal -1
	s_barrier_wait -1
	global_inv scope:SCOPE_SE
	s_clause 0xe
	scratch_load_b128 v[2:5], off, off offset:152
	scratch_load_b128 v[6:9], off, off offset:168
	;; [unrolled: 1-line block ×13, first 2 shown]
	scratch_load_b64 v[200:201], off, off offset:360
	scratch_load_b64 v[202:203], off, off offset:144
	v_mov_b32_e32 v1, 0
	ds_load_2addr_b64 v[148:151], v1 offset0:65 offset1:66
	ds_load_2addr_b64 v[152:155], v1 offset0:67 offset1:68
	;; [unrolled: 1-line block ×13, first 2 shown]
	ds_load_b64 v[204:205], v1 offset:728
	s_mov_b32 s0, exec_lo
	s_wait_loadcnt_dscnt 0xe0d
	v_mul_f32_e32 v22, v148, v3
	v_dual_mul_f32 v3, v149, v3 :: v_dual_mul_f32 v206, v150, v5
	s_wait_loadcnt_dscnt 0xa09
	v_dual_mul_f32 v207, v152, v7 :: v_dual_mul_f32 v214, v166, v21
	v_mul_f32_e32 v5, v151, v5
	s_delay_alu instid0(VALU_DEP_3) | instskip(SKIP_3) | instid1(VALU_DEP_4)
	v_fma_f32 v3, v148, v2, -v3
	v_dual_mul_f32 v208, v154, v9 :: v_dual_mul_f32 v209, v156, v11
	v_fmac_f32_e32 v22, v149, v2
	v_mul_f32_e32 v2, v153, v7
	v_dual_fmac_f32 v206, v151, v4 :: v_dual_add_f32 v3, 0, v3
	s_wait_loadcnt_dscnt 0x100
	v_mul_f32_e32 v231, v204, v201
	v_fma_f32 v4, v150, v4, -v5
	v_dual_add_f32 v5, 0, v22 :: v_dual_fmac_f32 v208, v155, v8
	v_mul_f32_e32 v7, v155, v9
	v_fma_f32 v2, v152, v6, -v2
	s_delay_alu instid0(VALU_DEP_4)
	v_add_f32_e32 v3, v3, v4
	v_fmac_f32_e32 v207, v153, v6
	v_add_f32_e32 v4, v5, v206
	v_mul_f32_e32 v5, v157, v11
	v_fma_f32 v6, v154, v8, -v7
	v_add_f32_e32 v2, v3, v2
	v_dual_mul_f32 v210, v158, v13 :: v_dual_mul_f32 v211, v160, v15
	v_dual_add_f32 v3, v4, v207 :: v_dual_mul_f32 v4, v159, v13
	v_fma_f32 v5, v156, v10, -v5
	s_delay_alu instid0(VALU_DEP_4)
	v_add_f32_e32 v2, v2, v6
	v_fmac_f32_e32 v209, v157, v10
	v_mul_f32_e32 v6, v161, v15
	v_fmac_f32_e32 v210, v159, v12
	v_add_f32_e32 v3, v3, v208
	v_fma_f32 v4, v158, v12, -v4
	v_add_f32_e32 v2, v2, v5
	v_dual_mul_f32 v212, v162, v17 :: v_dual_mul_f32 v213, v164, v19
	s_delay_alu instid0(VALU_DEP_4)
	v_add_f32_e32 v3, v3, v209
	v_mul_f32_e32 v5, v163, v17
	v_fma_f32 v6, v160, v14, -v6
	v_dual_add_f32 v2, v2, v4 :: v_dual_fmac_f32 v211, v161, v14
	v_fmac_f32_e32 v212, v163, v16
	v_mul_f32_e32 v4, v165, v19
	v_fma_f32 v5, v162, v16, -v5
	s_delay_alu instid0(VALU_DEP_4) | instskip(SKIP_3) | instid1(VALU_DEP_3)
	v_add_f32_e32 v2, v2, v6
	v_add_f32_e32 v3, v3, v210
	v_dual_mul_f32 v6, v167, v21 :: v_dual_fmac_f32 v213, v165, v18
	v_fma_f32 v4, v164, v18, -v4
	v_dual_add_f32 v2, v2, v5 :: v_dual_add_f32 v3, v3, v211
	s_delay_alu instid0(VALU_DEP_3) | instskip(SKIP_1) | instid1(VALU_DEP_3)
	v_fma_f32 v6, v166, v20, -v6
	v_dual_mul_f32 v215, v168, v25 :: v_dual_mul_f32 v216, v170, v27
	v_add_f32_e32 v2, v2, v4
	s_delay_alu instid0(VALU_DEP_4) | instskip(SKIP_1) | instid1(VALU_DEP_4)
	v_add_f32_e32 v3, v3, v212
	v_dual_mul_f32 v5, v169, v25 :: v_dual_fmac_f32 v214, v167, v20
	v_dual_mul_f32 v4, v171, v27 :: v_dual_fmac_f32 v215, v169, v24
	s_delay_alu instid0(VALU_DEP_3) | instskip(NEXT) | instid1(VALU_DEP_3)
	v_dual_add_f32 v2, v2, v6 :: v_dual_add_f32 v3, v3, v213
	v_fma_f32 v5, v168, v24, -v5
	v_dual_mul_f32 v217, v172, v121 :: v_dual_mul_f32 v218, v174, v123
	s_delay_alu instid0(VALU_DEP_3) | instskip(NEXT) | instid1(VALU_DEP_2)
	v_dual_mul_f32 v6, v173, v121 :: v_dual_add_f32 v3, v3, v214
	v_dual_fmac_f32 v216, v171, v26 :: v_dual_fmac_f32 v217, v173, v120
	v_fma_f32 v4, v170, v26, -v4
	s_delay_alu instid0(VALU_DEP_3) | instskip(SKIP_3) | instid1(VALU_DEP_4)
	v_dual_add_f32 v2, v2, v5 :: v_dual_add_f32 v3, v3, v215
	v_mul_f32_e32 v5, v175, v123
	v_fma_f32 v6, v172, v120, -v6
	v_dual_mul_f32 v219, v176, v125 :: v_dual_mul_f32 v220, v178, v127
	v_add_f32_e32 v2, v2, v4
	v_dual_add_f32 v3, v3, v216 :: v_dual_mul_f32 v4, v177, v125
	s_delay_alu instid0(VALU_DEP_3) | instskip(SKIP_1) | instid1(VALU_DEP_3)
	v_dual_fmac_f32 v218, v175, v122 :: v_dual_fmac_f32 v219, v177, v124
	v_fma_f32 v5, v174, v122, -v5
	v_dual_add_f32 v2, v2, v6 :: v_dual_add_f32 v3, v3, v217
	v_mul_f32_e32 v6, v179, v127
	v_fma_f32 v4, v176, v124, -v4
	v_dual_mul_f32 v221, v180, v129 :: v_dual_mul_f32 v222, v182, v131
	s_delay_alu instid0(VALU_DEP_4) | instskip(SKIP_1) | instid1(VALU_DEP_3)
	v_dual_add_f32 v2, v2, v5 :: v_dual_add_f32 v3, v3, v218
	v_dual_mul_f32 v5, v181, v129 :: v_dual_fmac_f32 v220, v179, v126
	v_fmac_f32_e32 v221, v181, v128
	v_fma_f32 v6, v178, v126, -v6
	s_delay_alu instid0(VALU_DEP_4) | instskip(SKIP_2) | instid1(VALU_DEP_2)
	v_dual_add_f32 v2, v2, v4 :: v_dual_add_f32 v3, v3, v219
	v_dual_mul_f32 v223, v184, v133 :: v_dual_mul_f32 v224, v186, v135
	v_dual_mul_f32 v225, v188, v137 :: v_dual_mul_f32 v226, v190, v139
	v_dual_mul_f32 v4, v183, v131 :: v_dual_fmac_f32 v223, v185, v132
	v_fma_f32 v5, v180, v128, -v5
	v_dual_add_f32 v2, v2, v6 :: v_dual_add_f32 v3, v3, v220
	v_mul_f32_e32 v6, v185, v133
	v_dual_fmac_f32 v222, v183, v130 :: v_dual_fmac_f32 v225, v189, v136
	v_fma_f32 v4, v182, v130, -v4
	s_delay_alu instid0(VALU_DEP_4) | instskip(SKIP_3) | instid1(VALU_DEP_3)
	v_add_f32_e32 v3, v3, v221
	v_dual_add_f32 v2, v2, v5 :: v_dual_mul_f32 v5, v187, v135
	v_fma_f32 v6, v184, v132, -v6
	v_dual_mul_f32 v229, v196, v145 :: v_dual_mul_f32 v230, v198, v147
	v_dual_add_f32 v3, v3, v222 :: v_dual_add_f32 v2, v2, v4
	v_mul_f32_e32 v4, v189, v137
	v_fmac_f32_e32 v224, v187, v134
	v_fma_f32 v5, v186, v134, -v5
	s_delay_alu instid0(VALU_DEP_4) | instskip(SKIP_3) | instid1(VALU_DEP_4)
	v_dual_add_f32 v3, v3, v223 :: v_dual_add_f32 v2, v2, v6
	v_dual_mul_f32 v227, v192, v141 :: v_dual_mul_f32 v228, v194, v143
	v_mul_f32_e32 v6, v191, v139
	v_dual_fmac_f32 v226, v191, v138 :: v_dual_fmac_f32 v229, v197, v144
	v_add_f32_e32 v2, v2, v5
	v_mul_f32_e32 v5, v193, v141
	v_add_f32_e32 v3, v3, v224
	v_fma_f32 v4, v188, v136, -v4
	v_fmac_f32_e32 v227, v193, v140
	v_fma_f32 v6, v190, v138, -v6
	v_fma_f32 v5, v192, v140, -v5
	v_add_f32_e32 v3, v3, v225
	v_dual_fmac_f32 v228, v195, v142 :: v_dual_fmac_f32 v231, v205, v200
	v_fmac_f32_e32 v230, v199, v146
	s_delay_alu instid0(VALU_DEP_3) | instskip(SKIP_1) | instid1(VALU_DEP_2)
	v_dual_add_f32 v3, v3, v226 :: v_dual_add_f32 v2, v2, v4
	v_mul_f32_e32 v4, v195, v143
	v_dual_add_f32 v3, v3, v227 :: v_dual_add_f32 v2, v2, v6
	v_mul_f32_e32 v6, v197, v145
	s_delay_alu instid0(VALU_DEP_3) | instskip(NEXT) | instid1(VALU_DEP_3)
	v_fma_f32 v4, v194, v142, -v4
	v_dual_add_f32 v3, v3, v228 :: v_dual_add_f32 v2, v2, v5
	v_mul_f32_e32 v5, v199, v147
	s_delay_alu instid0(VALU_DEP_4) | instskip(NEXT) | instid1(VALU_DEP_3)
	v_fma_f32 v6, v196, v144, -v6
	v_dual_add_f32 v3, v3, v229 :: v_dual_add_f32 v2, v2, v4
	v_mul_f32_e32 v4, v205, v201
	s_delay_alu instid0(VALU_DEP_4) | instskip(NEXT) | instid1(VALU_DEP_3)
	v_fma_f32 v5, v198, v146, -v5
	v_add_f32_e32 v3, v3, v230
	s_delay_alu instid0(VALU_DEP_4) | instskip(NEXT) | instid1(VALU_DEP_4)
	v_add_f32_e32 v2, v2, v6
	v_fma_f32 v4, v204, v200, -v4
	s_delay_alu instid0(VALU_DEP_2) | instskip(SKIP_1) | instid1(VALU_DEP_1)
	v_dual_add_f32 v3, v3, v231 :: v_dual_add_f32 v2, v2, v5
	s_wait_loadcnt 0x0
	v_dual_sub_f32 v3, v203, v3 :: v_dual_add_f32 v2, v2, v4
	s_delay_alu instid0(VALU_DEP_1)
	v_sub_f32_e32 v2, v202, v2
	scratch_store_b64 off, v[2:3], off offset:144
	v_cmpx_lt_u32_e32 17, v0
	s_cbranch_execz .LBB45_255
; %bb.254:
	scratch_load_b64 v[3:4], off, off offset:136
	v_mov_b32_e32 v2, v1
	scratch_store_b64 off, v[1:2], off offset:136
	s_wait_loadcnt 0x0
	ds_store_b64 v23, v[3:4]
.LBB45_255:
	s_wait_alu 0xfffe
	s_or_b32 exec_lo, exec_lo, s0
	s_wait_storecnt_dscnt 0x0
	s_barrier_signal -1
	s_barrier_wait -1
	global_inv scope:SCOPE_SE
	s_clause 0xe
	scratch_load_b128 v[2:5], off, off offset:144
	scratch_load_b128 v[6:9], off, off offset:160
	;; [unrolled: 1-line block ×14, first 2 shown]
	scratch_load_b64 v[208:209], off, off offset:136
	ds_load_b128 v[152:155], v1 offset:512
	ds_load_b128 v[156:159], v1 offset:528
	;; [unrolled: 1-line block ×14, first 2 shown]
	s_mov_b32 s0, exec_lo
	s_wait_loadcnt_dscnt 0xe0d
	v_dual_mul_f32 v1, v152, v3 :: v_dual_mul_f32 v22, v154, v5
	s_wait_loadcnt_dscnt 0xd0c
	v_dual_mul_f32 v5, v155, v5 :: v_dual_mul_f32 v210, v156, v7
	v_mul_f32_e32 v211, v158, v9
	s_wait_loadcnt_dscnt 0xc0b
	v_dual_fmac_f32 v1, v153, v2 :: v_dual_mul_f32 v212, v160, v11
	v_mul_f32_e32 v213, v162, v13
	v_dual_mul_f32 v3, v153, v3 :: v_dual_fmac_f32 v22, v155, v4
	s_wait_loadcnt_dscnt 0xb0a
	v_dual_mul_f32 v214, v164, v15 :: v_dual_mul_f32 v215, v166, v17
	s_wait_loadcnt_dscnt 0x201
	v_mul_f32_e32 v232, v200, v145
	v_fma_f32 v3, v152, v2, -v3
	s_wait_loadcnt_dscnt 0x100
	v_mul_f32_e32 v235, v206, v151
	v_mul_f32_e32 v2, v157, v7
	v_fma_f32 v4, v154, v4, -v5
	v_dual_mul_f32 v5, v159, v9 :: v_dual_fmac_f32 v212, v161, v10
	v_dual_add_f32 v3, 0, v3 :: v_dual_fmac_f32 v210, v157, v6
	s_delay_alu instid0(VALU_DEP_4) | instskip(NEXT) | instid1(VALU_DEP_3)
	v_fma_f32 v2, v156, v6, -v2
	v_fma_f32 v5, v158, v8, -v5
	s_delay_alu instid0(VALU_DEP_3) | instskip(SKIP_2) | instid1(VALU_DEP_3)
	v_dual_fmac_f32 v214, v165, v14 :: v_dual_add_f32 v3, v3, v4
	v_dual_mul_f32 v216, v168, v19 :: v_dual_mul_f32 v217, v170, v21
	v_dual_mul_f32 v218, v172, v25 :: v_dual_mul_f32 v219, v174, v27
	v_add_f32_e32 v2, v3, v2
	s_delay_alu instid0(VALU_DEP_3) | instskip(SKIP_1) | instid1(VALU_DEP_3)
	v_dual_mul_f32 v3, v163, v13 :: v_dual_fmac_f32 v216, v169, v18
	v_dual_fmac_f32 v215, v167, v16 :: v_dual_mul_f32 v4, v161, v11
	v_add_f32_e32 v2, v2, v5
	v_add_f32_e32 v1, 0, v1
	s_delay_alu instid0(VALU_DEP_4) | instskip(SKIP_2) | instid1(VALU_DEP_4)
	v_fma_f32 v3, v162, v12, -v3
	v_dual_mul_f32 v220, v176, v121 :: v_dual_mul_f32 v221, v178, v123
	v_fma_f32 v4, v160, v10, -v4
	v_dual_add_f32 v1, v1, v22 :: v_dual_mul_f32 v224, v184, v129
	v_dual_mul_f32 v225, v186, v131 :: v_dual_mul_f32 v222, v180, v125
	v_mul_f32_e32 v223, v182, v127
	s_delay_alu instid0(VALU_DEP_3) | instskip(SKIP_2) | instid1(VALU_DEP_3)
	v_dual_add_f32 v2, v2, v4 :: v_dual_add_f32 v1, v1, v210
	v_mul_f32_e32 v4, v167, v17
	v_fmac_f32_e32 v211, v159, v8
	v_dual_fmac_f32 v221, v179, v122 :: v_dual_add_f32 v2, v2, v3
	v_dual_mul_f32 v226, v188, v133 :: v_dual_mul_f32 v227, v190, v135
	s_delay_alu instid0(VALU_DEP_4) | instskip(SKIP_4) | instid1(VALU_DEP_4)
	v_fma_f32 v4, v166, v16, -v4
	v_mul_f32_e32 v5, v165, v15
	v_add_f32_e32 v1, v1, v211
	v_dual_fmac_f32 v219, v175, v26 :: v_dual_fmac_f32 v222, v181, v124
	v_fmac_f32_e32 v218, v173, v24
	v_fma_f32 v5, v164, v14, -v5
	v_dual_fmac_f32 v213, v163, v12 :: v_dual_mul_f32 v230, v196, v141
	v_dual_mul_f32 v231, v198, v143 :: v_dual_mul_f32 v228, v192, v137
	v_mul_f32_e32 v229, v194, v139
	s_delay_alu instid0(VALU_DEP_4) | instskip(SKIP_3) | instid1(VALU_DEP_4)
	v_add_f32_e32 v2, v2, v5
	v_mul_f32_e32 v5, v171, v21
	v_fmac_f32_e32 v227, v191, v134
	v_dual_fmac_f32 v225, v187, v130 :: v_dual_fmac_f32 v228, v193, v136
	v_add_f32_e32 v2, v2, v4
	s_delay_alu instid0(VALU_DEP_4) | instskip(SKIP_4) | instid1(VALU_DEP_4)
	v_fma_f32 v5, v170, v20, -v5
	v_mul_f32_e32 v3, v169, v19
	v_mul_f32_e32 v4, v173, v25
	v_dual_fmac_f32 v220, v177, v120 :: v_dual_mul_f32 v233, v202, v147
	v_mul_f32_e32 v234, v204, v149
	v_fma_f32 v3, v168, v18, -v3
	v_add_f32_e32 v1, v1, v212
	v_fma_f32 v4, v172, v24, -v4
	s_delay_alu instid0(VALU_DEP_4) | instskip(NEXT) | instid1(VALU_DEP_4)
	v_dual_fmac_f32 v231, v199, v142 :: v_dual_fmac_f32 v234, v205, v148
	v_add_f32_e32 v2, v2, v3
	v_mul_f32_e32 v3, v175, v27
	v_fmac_f32_e32 v233, v203, v146
	v_dual_fmac_f32 v235, v207, v150 :: v_dual_fmac_f32 v224, v185, v128
	s_delay_alu instid0(VALU_DEP_4) | instskip(SKIP_4) | instid1(VALU_DEP_4)
	v_add_f32_e32 v2, v2, v5
	v_add_f32_e32 v1, v1, v213
	v_fma_f32 v3, v174, v26, -v3
	v_fmac_f32_e32 v226, v189, v132
	v_fmac_f32_e32 v230, v197, v140
	v_dual_add_f32 v2, v2, v4 :: v_dual_add_f32 v1, v1, v214
	v_mul_f32_e32 v4, v179, v123
	v_fmac_f32_e32 v217, v171, v20
	v_fmac_f32_e32 v232, v201, v144
	s_delay_alu instid0(VALU_DEP_4) | instskip(NEXT) | instid1(VALU_DEP_4)
	v_dual_add_f32 v2, v2, v3 :: v_dual_mul_f32 v3, v181, v125
	v_fma_f32 v4, v178, v122, -v4
	v_mul_f32_e32 v5, v177, v121
	s_delay_alu instid0(VALU_DEP_3) | instskip(NEXT) | instid1(VALU_DEP_2)
	v_fma_f32 v3, v180, v124, -v3
	v_fma_f32 v5, v176, v120, -v5
	s_delay_alu instid0(VALU_DEP_1) | instskip(NEXT) | instid1(VALU_DEP_1)
	v_dual_add_f32 v1, v1, v215 :: v_dual_add_f32 v2, v2, v5
	v_dual_mul_f32 v5, v183, v127 :: v_dual_add_f32 v2, v2, v4
	s_delay_alu instid0(VALU_DEP_2) | instskip(SKIP_1) | instid1(VALU_DEP_3)
	v_add_f32_e32 v1, v1, v216
	v_mul_f32_e32 v4, v185, v129
	v_fma_f32 v5, v182, v126, -v5
	s_delay_alu instid0(VALU_DEP_4) | instskip(SKIP_1) | instid1(VALU_DEP_4)
	v_dual_add_f32 v2, v2, v3 :: v_dual_fmac_f32 v223, v183, v126
	v_mul_f32_e32 v3, v187, v131
	v_fma_f32 v4, v184, v128, -v4
	s_delay_alu instid0(VALU_DEP_3) | instskip(SKIP_1) | instid1(VALU_DEP_4)
	v_add_f32_e32 v2, v2, v5
	v_add_f32_e32 v1, v1, v217
	v_fma_f32 v3, v186, v130, -v3
	s_delay_alu instid0(VALU_DEP_3) | instskip(NEXT) | instid1(VALU_DEP_3)
	v_dual_add_f32 v2, v2, v4 :: v_dual_mul_f32 v5, v189, v133
	v_dual_add_f32 v1, v1, v218 :: v_dual_mul_f32 v4, v191, v135
	s_delay_alu instid0(VALU_DEP_2) | instskip(NEXT) | instid1(VALU_DEP_3)
	v_add_f32_e32 v2, v2, v3
	v_fma_f32 v5, v188, v132, -v5
	s_delay_alu instid0(VALU_DEP_3) | instskip(SKIP_2) | instid1(VALU_DEP_4)
	v_add_f32_e32 v1, v1, v219
	v_mul_f32_e32 v3, v193, v137
	v_fma_f32 v4, v190, v134, -v4
	v_dual_add_f32 v2, v2, v5 :: v_dual_mul_f32 v5, v195, v139
	s_delay_alu instid0(VALU_DEP_3) | instskip(NEXT) | instid1(VALU_DEP_2)
	v_fma_f32 v3, v192, v136, -v3
	v_add_f32_e32 v2, v2, v4
	v_add_f32_e32 v1, v1, v220
	v_mul_f32_e32 v4, v197, v141
	v_fma_f32 v5, v194, v138, -v5
	s_delay_alu instid0(VALU_DEP_4) | instskip(SKIP_1) | instid1(VALU_DEP_4)
	v_dual_add_f32 v2, v2, v3 :: v_dual_fmac_f32 v229, v195, v138
	v_mul_f32_e32 v3, v199, v143
	v_fma_f32 v4, v196, v140, -v4
	s_delay_alu instid0(VALU_DEP_3) | instskip(SKIP_1) | instid1(VALU_DEP_4)
	v_add_f32_e32 v2, v2, v5
	v_add_f32_e32 v1, v1, v221
	v_fma_f32 v3, v198, v142, -v3
	s_delay_alu instid0(VALU_DEP_3) | instskip(NEXT) | instid1(VALU_DEP_3)
	v_dual_add_f32 v2, v2, v4 :: v_dual_mul_f32 v5, v201, v145
	v_dual_add_f32 v1, v1, v222 :: v_dual_mul_f32 v4, v203, v147
	s_delay_alu instid0(VALU_DEP_2) | instskip(NEXT) | instid1(VALU_DEP_3)
	v_add_f32_e32 v2, v2, v3
	v_fma_f32 v5, v200, v144, -v5
	s_delay_alu instid0(VALU_DEP_3) | instskip(SKIP_2) | instid1(VALU_DEP_4)
	v_add_f32_e32 v1, v1, v223
	v_mul_f32_e32 v3, v205, v149
	v_fma_f32 v4, v202, v146, -v4
	v_dual_add_f32 v2, v2, v5 :: v_dual_mul_f32 v5, v207, v151
	s_delay_alu instid0(VALU_DEP_3) | instskip(NEXT) | instid1(VALU_DEP_2)
	v_fma_f32 v3, v204, v148, -v3
	v_add_f32_e32 v2, v2, v4
	v_add_f32_e32 v1, v1, v224
	s_delay_alu instid0(VALU_DEP_4) | instskip(NEXT) | instid1(VALU_DEP_2)
	v_fma_f32 v4, v206, v150, -v5
	v_dual_add_f32 v2, v2, v3 :: v_dual_add_f32 v1, v1, v225
	s_delay_alu instid0(VALU_DEP_1) | instskip(NEXT) | instid1(VALU_DEP_1)
	v_dual_add_f32 v2, v2, v4 :: v_dual_add_f32 v1, v1, v226
	v_add_f32_e32 v1, v1, v227
	s_delay_alu instid0(VALU_DEP_1) | instskip(NEXT) | instid1(VALU_DEP_1)
	v_add_f32_e32 v1, v1, v228
	v_add_f32_e32 v1, v1, v229
	s_delay_alu instid0(VALU_DEP_1) | instskip(NEXT) | instid1(VALU_DEP_1)
	v_add_f32_e32 v1, v1, v230
	;; [unrolled: 3-line block ×4, first 2 shown]
	v_add_f32_e32 v3, v1, v235
	s_wait_loadcnt 0x0
	s_delay_alu instid0(VALU_DEP_1)
	v_dual_sub_f32 v1, v208, v2 :: v_dual_sub_f32 v2, v209, v3
	scratch_store_b64 off, v[1:2], off offset:136
	v_cmpx_lt_u32_e32 16, v0
	s_cbranch_execz .LBB45_257
; %bb.256:
	scratch_load_b64 v[1:2], off, off offset:128
	v_mov_b32_e32 v3, 0
	s_delay_alu instid0(VALU_DEP_1)
	v_mov_b32_e32 v4, v3
	scratch_store_b64 off, v[3:4], off offset:128
	s_wait_loadcnt 0x0
	ds_store_b64 v23, v[1:2]
.LBB45_257:
	s_wait_alu 0xfffe
	s_or_b32 exec_lo, exec_lo, s0
	s_wait_storecnt_dscnt 0x0
	s_barrier_signal -1
	s_barrier_wait -1
	global_inv scope:SCOPE_SE
	s_clause 0xf
	scratch_load_b128 v[2:5], off, off offset:136
	scratch_load_b128 v[6:9], off, off offset:152
	;; [unrolled: 1-line block ×14, first 2 shown]
	scratch_load_b64 v[208:209], off, off offset:360
	scratch_load_b64 v[210:211], off, off offset:128
	v_mov_b32_e32 v1, 0
	ds_load_2addr_b64 v[152:155], v1 offset0:63 offset1:64
	ds_load_2addr_b64 v[156:159], v1 offset0:65 offset1:66
	;; [unrolled: 1-line block ×14, first 2 shown]
	ds_load_b64 v[212:213], v1 offset:728
	s_mov_b32 s0, exec_lo
	s_wait_loadcnt_dscnt 0xf0e
	v_mul_f32_e32 v22, v152, v3
	v_dual_mul_f32 v3, v153, v3 :: v_dual_mul_f32 v214, v154, v5
	s_wait_loadcnt_dscnt 0xb0a
	v_dual_mul_f32 v215, v156, v7 :: v_dual_mul_f32 v222, v170, v21
	v_mul_f32_e32 v5, v155, v5
	s_delay_alu instid0(VALU_DEP_3)
	v_fma_f32 v3, v152, v2, -v3
	v_dual_mul_f32 v216, v158, v9 :: v_dual_mul_f32 v217, v160, v11
	v_fmac_f32_e32 v214, v155, v4
	v_fmac_f32_e32 v22, v153, v2
	v_mul_f32_e32 v2, v157, v7
	v_fma_f32 v4, v154, v4, -v5
	v_add_f32_e32 v3, 0, v3
	s_wait_loadcnt_dscnt 0x100
	v_mul_f32_e32 v241, v212, v209
	v_dual_add_f32 v5, 0, v22 :: v_dual_fmac_f32 v216, v159, v8
	v_mul_f32_e32 v7, v159, v9
	v_fma_f32 v2, v156, v6, -v2
	v_add_f32_e32 v3, v3, v4
	v_fmac_f32_e32 v215, v157, v6
	v_add_f32_e32 v4, v5, v214
	v_mul_f32_e32 v5, v161, v11
	v_fma_f32 v6, v158, v8, -v7
	v_add_f32_e32 v2, v3, v2
	v_dual_mul_f32 v218, v162, v13 :: v_dual_mul_f32 v219, v164, v15
	v_dual_add_f32 v3, v4, v215 :: v_dual_mul_f32 v4, v163, v13
	v_fma_f32 v5, v160, v10, -v5
	s_delay_alu instid0(VALU_DEP_4)
	v_add_f32_e32 v2, v2, v6
	v_fmac_f32_e32 v217, v161, v10
	v_mul_f32_e32 v6, v165, v15
	v_fmac_f32_e32 v218, v163, v12
	v_add_f32_e32 v3, v3, v216
	v_fma_f32 v4, v162, v12, -v4
	v_add_f32_e32 v2, v2, v5
	v_dual_mul_f32 v220, v166, v17 :: v_dual_mul_f32 v221, v168, v19
	s_delay_alu instid0(VALU_DEP_4)
	v_add_f32_e32 v3, v3, v217
	v_mul_f32_e32 v5, v167, v17
	v_fma_f32 v6, v164, v14, -v6
	v_dual_add_f32 v2, v2, v4 :: v_dual_fmac_f32 v219, v165, v14
	v_fmac_f32_e32 v220, v167, v16
	v_mul_f32_e32 v4, v169, v19
	v_fma_f32 v5, v166, v16, -v5
	s_delay_alu instid0(VALU_DEP_4) | instskip(SKIP_3) | instid1(VALU_DEP_3)
	v_add_f32_e32 v2, v2, v6
	v_add_f32_e32 v3, v3, v218
	v_dual_mul_f32 v6, v171, v21 :: v_dual_fmac_f32 v221, v169, v18
	v_fma_f32 v4, v168, v18, -v4
	v_dual_add_f32 v2, v2, v5 :: v_dual_add_f32 v3, v3, v219
	s_delay_alu instid0(VALU_DEP_3) | instskip(SKIP_1) | instid1(VALU_DEP_3)
	v_fma_f32 v6, v170, v20, -v6
	v_dual_mul_f32 v223, v172, v25 :: v_dual_mul_f32 v224, v174, v27
	v_add_f32_e32 v2, v2, v4
	s_delay_alu instid0(VALU_DEP_4) | instskip(SKIP_1) | instid1(VALU_DEP_4)
	v_add_f32_e32 v3, v3, v220
	v_dual_mul_f32 v5, v173, v25 :: v_dual_fmac_f32 v222, v171, v20
	v_dual_mul_f32 v4, v175, v27 :: v_dual_fmac_f32 v223, v173, v24
	s_delay_alu instid0(VALU_DEP_3) | instskip(NEXT) | instid1(VALU_DEP_3)
	v_dual_add_f32 v2, v2, v6 :: v_dual_add_f32 v3, v3, v221
	v_fma_f32 v5, v172, v24, -v5
	v_dual_mul_f32 v225, v176, v121 :: v_dual_mul_f32 v226, v178, v123
	s_delay_alu instid0(VALU_DEP_3) | instskip(NEXT) | instid1(VALU_DEP_2)
	v_dual_mul_f32 v6, v177, v121 :: v_dual_add_f32 v3, v3, v222
	v_dual_fmac_f32 v224, v175, v26 :: v_dual_fmac_f32 v225, v177, v120
	v_fma_f32 v4, v174, v26, -v4
	s_delay_alu instid0(VALU_DEP_3) | instskip(SKIP_3) | instid1(VALU_DEP_4)
	v_dual_add_f32 v2, v2, v5 :: v_dual_add_f32 v3, v3, v223
	v_mul_f32_e32 v5, v179, v123
	v_fma_f32 v6, v176, v120, -v6
	v_dual_mul_f32 v227, v180, v125 :: v_dual_mul_f32 v228, v182, v127
	v_add_f32_e32 v2, v2, v4
	v_dual_add_f32 v3, v3, v224 :: v_dual_mul_f32 v4, v181, v125
	s_delay_alu instid0(VALU_DEP_3) | instskip(SKIP_1) | instid1(VALU_DEP_3)
	v_dual_fmac_f32 v226, v179, v122 :: v_dual_fmac_f32 v227, v181, v124
	v_fma_f32 v5, v178, v122, -v5
	v_dual_add_f32 v2, v2, v6 :: v_dual_add_f32 v3, v3, v225
	v_mul_f32_e32 v6, v183, v127
	v_fma_f32 v4, v180, v124, -v4
	v_dual_mul_f32 v229, v184, v129 :: v_dual_mul_f32 v230, v186, v131
	s_delay_alu instid0(VALU_DEP_4) | instskip(SKIP_1) | instid1(VALU_DEP_3)
	v_dual_add_f32 v2, v2, v5 :: v_dual_add_f32 v3, v3, v226
	v_dual_mul_f32 v5, v185, v129 :: v_dual_fmac_f32 v228, v183, v126
	v_fmac_f32_e32 v229, v185, v128
	v_fma_f32 v6, v182, v126, -v6
	s_delay_alu instid0(VALU_DEP_4) | instskip(SKIP_2) | instid1(VALU_DEP_2)
	v_dual_add_f32 v2, v2, v4 :: v_dual_add_f32 v3, v3, v227
	v_dual_mul_f32 v231, v188, v133 :: v_dual_mul_f32 v232, v190, v135
	v_dual_mul_f32 v233, v192, v137 :: v_dual_mul_f32 v234, v194, v139
	v_dual_mul_f32 v4, v187, v131 :: v_dual_fmac_f32 v231, v189, v132
	v_fma_f32 v5, v184, v128, -v5
	v_dual_add_f32 v2, v2, v6 :: v_dual_add_f32 v3, v3, v228
	v_mul_f32_e32 v6, v189, v133
	v_dual_fmac_f32 v230, v187, v130 :: v_dual_fmac_f32 v233, v193, v136
	v_fma_f32 v4, v186, v130, -v4
	s_delay_alu instid0(VALU_DEP_4) | instskip(SKIP_3) | instid1(VALU_DEP_3)
	v_add_f32_e32 v3, v3, v229
	v_dual_add_f32 v2, v2, v5 :: v_dual_mul_f32 v5, v191, v135
	v_fma_f32 v6, v188, v132, -v6
	v_dual_mul_f32 v237, v200, v145 :: v_dual_mul_f32 v238, v202, v147
	v_dual_add_f32 v3, v3, v230 :: v_dual_add_f32 v2, v2, v4
	v_mul_f32_e32 v4, v193, v137
	v_fmac_f32_e32 v232, v191, v134
	v_fma_f32 v5, v190, v134, -v5
	s_delay_alu instid0(VALU_DEP_4) | instskip(SKIP_3) | instid1(VALU_DEP_4)
	v_dual_add_f32 v3, v3, v231 :: v_dual_add_f32 v2, v2, v6
	v_dual_mul_f32 v235, v196, v141 :: v_dual_mul_f32 v236, v198, v143
	v_mul_f32_e32 v6, v195, v139
	v_dual_fmac_f32 v234, v195, v138 :: v_dual_fmac_f32 v237, v201, v144
	v_add_f32_e32 v2, v2, v5
	v_mul_f32_e32 v5, v197, v141
	v_add_f32_e32 v3, v3, v232
	v_fma_f32 v4, v192, v136, -v4
	v_fmac_f32_e32 v235, v197, v140
	v_fma_f32 v6, v194, v138, -v6
	v_dual_mul_f32 v239, v204, v149 :: v_dual_mul_f32 v240, v206, v151
	v_add_f32_e32 v3, v3, v233
	v_fma_f32 v5, v196, v140, -v5
	s_delay_alu instid0(VALU_DEP_3) | instskip(NEXT) | instid1(VALU_DEP_4)
	v_dual_fmac_f32 v236, v199, v142 :: v_dual_fmac_f32 v239, v205, v148
	v_fmac_f32_e32 v240, v207, v150
	s_delay_alu instid0(VALU_DEP_4) | instskip(SKIP_2) | instid1(VALU_DEP_3)
	v_dual_add_f32 v3, v3, v234 :: v_dual_add_f32 v2, v2, v4
	v_mul_f32_e32 v4, v199, v143
	v_dual_fmac_f32 v238, v203, v146 :: v_dual_fmac_f32 v241, v213, v208
	v_dual_add_f32 v3, v3, v235 :: v_dual_add_f32 v2, v2, v6
	v_mul_f32_e32 v6, v201, v145
	s_delay_alu instid0(VALU_DEP_4) | instskip(NEXT) | instid1(VALU_DEP_3)
	v_fma_f32 v4, v198, v142, -v4
	v_dual_add_f32 v2, v2, v5 :: v_dual_mul_f32 v5, v203, v147
	s_delay_alu instid0(VALU_DEP_3) | instskip(NEXT) | instid1(VALU_DEP_2)
	v_fma_f32 v6, v200, v144, -v6
	v_add_f32_e32 v2, v2, v4
	s_delay_alu instid0(VALU_DEP_3) | instskip(NEXT) | instid1(VALU_DEP_2)
	v_fma_f32 v5, v202, v146, -v5
	v_add_f32_e32 v2, v2, v6
	v_mul_f32_e32 v6, v207, v151
	s_delay_alu instid0(VALU_DEP_2) | instskip(SKIP_2) | instid1(VALU_DEP_4)
	v_add_f32_e32 v2, v2, v5
	v_mul_f32_e32 v5, v213, v209
	v_add_f32_e32 v3, v3, v236
	v_fma_f32 v6, v206, v150, -v6
	s_delay_alu instid0(VALU_DEP_2) | instskip(NEXT) | instid1(VALU_DEP_1)
	v_add_f32_e32 v3, v3, v237
	v_dual_mul_f32 v4, v205, v149 :: v_dual_add_f32 v3, v3, v238
	s_delay_alu instid0(VALU_DEP_1) | instskip(NEXT) | instid1(VALU_DEP_2)
	v_fma_f32 v4, v204, v148, -v4
	v_add_f32_e32 v3, v3, v239
	s_delay_alu instid0(VALU_DEP_1) | instskip(NEXT) | instid1(VALU_DEP_3)
	v_add_f32_e32 v3, v3, v240
	v_add_f32_e32 v2, v2, v4
	v_fma_f32 v4, v212, v208, -v5
	s_delay_alu instid0(VALU_DEP_2) | instskip(SKIP_1) | instid1(VALU_DEP_1)
	v_dual_add_f32 v3, v3, v241 :: v_dual_add_f32 v2, v2, v6
	s_wait_loadcnt 0x0
	v_dual_sub_f32 v3, v211, v3 :: v_dual_add_f32 v2, v2, v4
	s_delay_alu instid0(VALU_DEP_1)
	v_sub_f32_e32 v2, v210, v2
	scratch_store_b64 off, v[2:3], off offset:128
	v_cmpx_lt_u32_e32 15, v0
	s_cbranch_execz .LBB45_259
; %bb.258:
	scratch_load_b64 v[3:4], off, off offset:120
	v_mov_b32_e32 v2, v1
	scratch_store_b64 off, v[1:2], off offset:120
	s_wait_loadcnt 0x0
	ds_store_b64 v23, v[3:4]
.LBB45_259:
	s_wait_alu 0xfffe
	s_or_b32 exec_lo, exec_lo, s0
	s_wait_storecnt_dscnt 0x0
	s_barrier_signal -1
	s_barrier_wait -1
	global_inv scope:SCOPE_SE
	s_clause 0xf
	scratch_load_b128 v[2:5], off, off offset:128
	scratch_load_b128 v[6:9], off, off offset:144
	scratch_load_b128 v[10:13], off, off offset:160
	scratch_load_b128 v[14:17], off, off offset:176
	scratch_load_b128 v[18:21], off, off offset:192
	scratch_load_b128 v[24:27], off, off offset:208
	scratch_load_b128 v[120:123], off, off offset:224
	scratch_load_b128 v[124:127], off, off offset:240
	scratch_load_b128 v[128:131], off, off offset:256
	scratch_load_b128 v[132:135], off, off offset:272
	scratch_load_b128 v[136:139], off, off offset:288
	scratch_load_b128 v[140:143], off, off offset:304
	scratch_load_b128 v[144:147], off, off offset:320
	scratch_load_b128 v[148:151], off, off offset:336
	scratch_load_b128 v[152:155], off, off offset:352
	scratch_load_b64 v[216:217], off, off offset:120
	ds_load_b128 v[156:159], v1 offset:496
	ds_load_b128 v[160:163], v1 offset:512
	;; [unrolled: 1-line block ×15, first 2 shown]
	s_mov_b32 s0, exec_lo
	s_wait_loadcnt_dscnt 0xf0e
	v_dual_mul_f32 v1, v156, v3 :: v_dual_mul_f32 v22, v158, v5
	s_wait_loadcnt_dscnt 0xe0d
	v_dual_mul_f32 v5, v159, v5 :: v_dual_mul_f32 v218, v160, v7
	v_mul_f32_e32 v219, v162, v9
	s_wait_loadcnt_dscnt 0xd0c
	v_dual_fmac_f32 v1, v157, v2 :: v_dual_mul_f32 v220, v164, v11
	s_wait_loadcnt_dscnt 0xc0b
	v_dual_mul_f32 v221, v166, v13 :: v_dual_mul_f32 v222, v168, v15
	v_mul_f32_e32 v223, v170, v17
	v_dual_mul_f32 v3, v157, v3 :: v_dual_fmac_f32 v22, v159, v4
	s_wait_loadcnt_dscnt 0xb0a
	v_dual_mul_f32 v224, v172, v19 :: v_dual_mul_f32 v225, v174, v21
	s_wait_loadcnt_dscnt 0x201
	v_mul_f32_e32 v242, v208, v149
	v_fma_f32 v3, v156, v2, -v3
	s_wait_loadcnt_dscnt 0x100
	v_mul_f32_e32 v245, v214, v155
	v_mul_f32_e32 v2, v161, v7
	v_fma_f32 v4, v158, v4, -v5
	v_dual_mul_f32 v5, v163, v9 :: v_dual_fmac_f32 v220, v165, v10
	v_dual_add_f32 v3, 0, v3 :: v_dual_fmac_f32 v218, v161, v6
	s_delay_alu instid0(VALU_DEP_4) | instskip(NEXT) | instid1(VALU_DEP_3)
	v_fma_f32 v2, v160, v6, -v2
	v_fma_f32 v5, v162, v8, -v5
	s_delay_alu instid0(VALU_DEP_3) | instskip(SKIP_2) | instid1(VALU_DEP_3)
	v_dual_fmac_f32 v222, v169, v14 :: v_dual_add_f32 v3, v3, v4
	v_dual_mul_f32 v226, v176, v25 :: v_dual_mul_f32 v227, v178, v27
	v_dual_fmac_f32 v224, v173, v18 :: v_dual_fmac_f32 v223, v171, v16
	v_add_f32_e32 v2, v3, v2
	v_mul_f32_e32 v3, v167, v13
	v_dual_mul_f32 v228, v180, v121 :: v_dual_mul_f32 v229, v182, v123
	v_mul_f32_e32 v4, v165, v11
	s_delay_alu instid0(VALU_DEP_4) | instskip(SKIP_4) | instid1(VALU_DEP_4)
	v_add_f32_e32 v2, v2, v5
	v_add_f32_e32 v1, 0, v1
	v_fma_f32 v3, v166, v12, -v3
	v_dual_mul_f32 v232, v188, v129 :: v_dual_mul_f32 v233, v190, v131
	v_fma_f32 v4, v164, v10, -v4
	v_dual_add_f32 v1, v1, v22 :: v_dual_mul_f32 v230, v184, v125
	v_mul_f32_e32 v231, v186, v127
	s_delay_alu instid0(VALU_DEP_3) | instskip(NEXT) | instid1(VALU_DEP_3)
	v_dual_fmac_f32 v229, v183, v122 :: v_dual_add_f32 v2, v2, v4
	v_dual_add_f32 v1, v1, v218 :: v_dual_mul_f32 v4, v171, v17
	v_dual_fmac_f32 v219, v163, v8 :: v_dual_mul_f32 v234, v192, v133
	v_mul_f32_e32 v235, v194, v135
	s_delay_alu instid0(VALU_DEP_4) | instskip(NEXT) | instid1(VALU_DEP_4)
	v_add_f32_e32 v2, v2, v3
	v_fma_f32 v4, v170, v16, -v4
	v_mul_f32_e32 v5, v169, v15
	v_add_f32_e32 v1, v1, v219
	v_dual_fmac_f32 v227, v179, v26 :: v_dual_fmac_f32 v230, v185, v124
	v_dual_mul_f32 v238, v200, v141 :: v_dual_mul_f32 v239, v202, v143
	s_delay_alu instid0(VALU_DEP_4) | instskip(SKIP_3) | instid1(VALU_DEP_4)
	v_fma_f32 v5, v168, v14, -v5
	v_fmac_f32_e32 v221, v167, v12
	v_fmac_f32_e32 v226, v177, v24
	v_dual_mul_f32 v236, v196, v137 :: v_dual_mul_f32 v237, v198, v139
	v_add_f32_e32 v2, v2, v5
	v_mul_f32_e32 v5, v175, v21
	v_dual_fmac_f32 v235, v195, v134 :: v_dual_mul_f32 v240, v204, v145
	v_mul_f32_e32 v241, v206, v147
	s_delay_alu instid0(VALU_DEP_4) | instskip(NEXT) | instid1(VALU_DEP_4)
	v_add_f32_e32 v2, v2, v4
	v_fma_f32 v5, v174, v20, -v5
	v_mul_f32_e32 v3, v173, v19
	v_mul_f32_e32 v4, v177, v25
	v_dual_fmac_f32 v228, v181, v120 :: v_dual_mul_f32 v243, v210, v151
	v_mul_f32_e32 v244, v212, v153
	s_delay_alu instid0(VALU_DEP_4) | instskip(SKIP_3) | instid1(VALU_DEP_4)
	v_fma_f32 v3, v172, v18, -v3
	v_add_f32_e32 v1, v1, v220
	v_fma_f32 v4, v176, v24, -v4
	v_dual_fmac_f32 v233, v191, v130 :: v_dual_fmac_f32 v236, v197, v136
	v_add_f32_e32 v2, v2, v3
	v_mul_f32_e32 v3, v179, v27
	v_fmac_f32_e32 v241, v207, v146
	v_dual_fmac_f32 v239, v203, v142 :: v_dual_fmac_f32 v242, v209, v148
	s_delay_alu instid0(VALU_DEP_4) | instskip(SKIP_3) | instid1(VALU_DEP_3)
	v_add_f32_e32 v2, v2, v5
	v_add_f32_e32 v1, v1, v221
	v_fma_f32 v3, v178, v26, -v3
	v_dual_fmac_f32 v245, v215, v154 :: v_dual_fmac_f32 v232, v189, v128
	v_dual_add_f32 v2, v2, v4 :: v_dual_add_f32 v1, v1, v222
	v_mul_f32_e32 v4, v183, v123
	v_fmac_f32_e32 v225, v175, v20
	v_fmac_f32_e32 v234, v193, v132
	s_delay_alu instid0(VALU_DEP_4) | instskip(NEXT) | instid1(VALU_DEP_4)
	v_dual_add_f32 v2, v2, v3 :: v_dual_mul_f32 v3, v185, v125
	v_fma_f32 v4, v182, v122, -v4
	v_mul_f32_e32 v5, v181, v121
	v_fmac_f32_e32 v238, v201, v140
	v_fmac_f32_e32 v240, v205, v144
	v_fma_f32 v3, v184, v124, -v3
	v_fmac_f32_e32 v244, v213, v152
	v_fma_f32 v5, v180, v120, -v5
	s_delay_alu instid0(VALU_DEP_1) | instskip(NEXT) | instid1(VALU_DEP_1)
	v_dual_add_f32 v1, v1, v223 :: v_dual_add_f32 v2, v2, v5
	v_dual_mul_f32 v5, v187, v127 :: v_dual_add_f32 v2, v2, v4
	s_delay_alu instid0(VALU_DEP_2) | instskip(SKIP_1) | instid1(VALU_DEP_3)
	v_add_f32_e32 v1, v1, v224
	v_mul_f32_e32 v4, v189, v129
	v_fma_f32 v5, v186, v126, -v5
	s_delay_alu instid0(VALU_DEP_4) | instskip(SKIP_1) | instid1(VALU_DEP_4)
	v_dual_add_f32 v2, v2, v3 :: v_dual_fmac_f32 v231, v187, v126
	v_mul_f32_e32 v3, v191, v131
	v_fma_f32 v4, v188, v128, -v4
	s_delay_alu instid0(VALU_DEP_3) | instskip(SKIP_1) | instid1(VALU_DEP_4)
	v_add_f32_e32 v2, v2, v5
	v_add_f32_e32 v1, v1, v225
	v_fma_f32 v3, v190, v130, -v3
	s_delay_alu instid0(VALU_DEP_3) | instskip(NEXT) | instid1(VALU_DEP_3)
	v_dual_add_f32 v2, v2, v4 :: v_dual_mul_f32 v5, v193, v133
	v_dual_add_f32 v1, v1, v226 :: v_dual_mul_f32 v4, v195, v135
	s_delay_alu instid0(VALU_DEP_2) | instskip(NEXT) | instid1(VALU_DEP_3)
	v_add_f32_e32 v2, v2, v3
	v_fma_f32 v5, v192, v132, -v5
	s_delay_alu instid0(VALU_DEP_3) | instskip(SKIP_2) | instid1(VALU_DEP_4)
	v_add_f32_e32 v1, v1, v227
	v_mul_f32_e32 v3, v197, v137
	v_fma_f32 v4, v194, v134, -v4
	v_dual_add_f32 v2, v2, v5 :: v_dual_mul_f32 v5, v199, v139
	s_delay_alu instid0(VALU_DEP_3) | instskip(NEXT) | instid1(VALU_DEP_2)
	v_fma_f32 v3, v196, v136, -v3
	v_add_f32_e32 v2, v2, v4
	v_add_f32_e32 v1, v1, v228
	v_mul_f32_e32 v4, v201, v141
	v_fma_f32 v5, v198, v138, -v5
	s_delay_alu instid0(VALU_DEP_4) | instskip(SKIP_1) | instid1(VALU_DEP_4)
	v_dual_add_f32 v2, v2, v3 :: v_dual_fmac_f32 v237, v199, v138
	v_mul_f32_e32 v3, v203, v143
	v_fma_f32 v4, v200, v140, -v4
	s_delay_alu instid0(VALU_DEP_3) | instskip(SKIP_1) | instid1(VALU_DEP_4)
	v_add_f32_e32 v2, v2, v5
	v_add_f32_e32 v1, v1, v229
	v_fma_f32 v3, v202, v142, -v3
	s_delay_alu instid0(VALU_DEP_3) | instskip(NEXT) | instid1(VALU_DEP_3)
	v_dual_add_f32 v2, v2, v4 :: v_dual_mul_f32 v5, v205, v145
	v_dual_add_f32 v1, v1, v230 :: v_dual_mul_f32 v4, v207, v147
	s_delay_alu instid0(VALU_DEP_2) | instskip(NEXT) | instid1(VALU_DEP_3)
	v_add_f32_e32 v2, v2, v3
	v_fma_f32 v5, v204, v144, -v5
	s_delay_alu instid0(VALU_DEP_3) | instskip(SKIP_2) | instid1(VALU_DEP_4)
	v_add_f32_e32 v1, v1, v231
	v_mul_f32_e32 v3, v209, v149
	v_fma_f32 v4, v206, v146, -v4
	v_dual_add_f32 v2, v2, v5 :: v_dual_mul_f32 v5, v211, v151
	s_delay_alu instid0(VALU_DEP_3) | instskip(NEXT) | instid1(VALU_DEP_2)
	v_fma_f32 v3, v208, v148, -v3
	v_add_f32_e32 v2, v2, v4
	v_add_f32_e32 v1, v1, v232
	v_mul_f32_e32 v4, v213, v153
	v_fma_f32 v5, v210, v150, -v5
	s_delay_alu instid0(VALU_DEP_4) | instskip(SKIP_1) | instid1(VALU_DEP_4)
	v_dual_add_f32 v2, v2, v3 :: v_dual_fmac_f32 v243, v211, v150
	v_mul_f32_e32 v3, v215, v155
	v_fma_f32 v4, v212, v152, -v4
	s_delay_alu instid0(VALU_DEP_3) | instskip(SKIP_1) | instid1(VALU_DEP_4)
	v_add_f32_e32 v2, v2, v5
	v_add_f32_e32 v1, v1, v233
	v_fma_f32 v3, v214, v154, -v3
	s_delay_alu instid0(VALU_DEP_2) | instskip(NEXT) | instid1(VALU_DEP_1)
	v_dual_add_f32 v2, v2, v4 :: v_dual_add_f32 v1, v1, v234
	v_add_f32_e32 v2, v2, v3
	s_delay_alu instid0(VALU_DEP_2) | instskip(NEXT) | instid1(VALU_DEP_1)
	v_add_f32_e32 v1, v1, v235
	v_add_f32_e32 v1, v1, v236
	s_delay_alu instid0(VALU_DEP_1) | instskip(NEXT) | instid1(VALU_DEP_1)
	v_add_f32_e32 v1, v1, v237
	v_add_f32_e32 v1, v1, v238
	s_delay_alu instid0(VALU_DEP_1) | instskip(NEXT) | instid1(VALU_DEP_1)
	v_add_f32_e32 v1, v1, v239
	v_add_f32_e32 v1, v1, v240
	s_delay_alu instid0(VALU_DEP_1) | instskip(NEXT) | instid1(VALU_DEP_1)
	v_add_f32_e32 v1, v1, v241
	v_add_f32_e32 v1, v1, v242
	s_delay_alu instid0(VALU_DEP_1) | instskip(NEXT) | instid1(VALU_DEP_1)
	v_add_f32_e32 v1, v1, v243
	v_add_f32_e32 v1, v1, v244
	s_delay_alu instid0(VALU_DEP_1) | instskip(SKIP_1) | instid1(VALU_DEP_1)
	v_add_f32_e32 v3, v1, v245
	s_wait_loadcnt 0x0
	v_dual_sub_f32 v1, v216, v2 :: v_dual_sub_f32 v2, v217, v3
	scratch_store_b64 off, v[1:2], off offset:120
	v_cmpx_lt_u32_e32 14, v0
	s_cbranch_execz .LBB45_261
; %bb.260:
	scratch_load_b64 v[1:2], off, off offset:112
	v_mov_b32_e32 v3, 0
	s_delay_alu instid0(VALU_DEP_1)
	v_mov_b32_e32 v4, v3
	scratch_store_b64 off, v[3:4], off offset:112
	s_wait_loadcnt 0x0
	ds_store_b64 v23, v[1:2]
.LBB45_261:
	s_wait_alu 0xfffe
	s_or_b32 exec_lo, exec_lo, s0
	s_wait_storecnt_dscnt 0x0
	s_barrier_signal -1
	s_barrier_wait -1
	global_inv scope:SCOPE_SE
	s_clause 0x10
	scratch_load_b128 v[1:4], off, off offset:120
	scratch_load_b128 v[5:8], off, off offset:136
	;; [unrolled: 1-line block ×15, first 2 shown]
	scratch_load_b64 v[216:217], off, off offset:360
	scratch_load_b64 v[218:219], off, off offset:112
	v_mov_b32_e32 v21, 0
	ds_load_2addr_b64 v[156:159], v21 offset0:61 offset1:62
	ds_load_2addr_b64 v[160:163], v21 offset0:63 offset1:64
	;; [unrolled: 1-line block ×15, first 2 shown]
	ds_load_b64 v[220:221], v21 offset:728
	s_mov_b32 s0, exec_lo
	s_wait_loadcnt_dscnt 0x100f
	v_mul_f32_e32 v22, v156, v2
	v_mul_f32_e32 v2, v157, v2
	s_wait_loadcnt_dscnt 0xf0e
	v_dual_mul_f32 v222, v158, v4 :: v_dual_mul_f32 v223, v160, v6
	v_mul_f32_e32 v4, v159, v4
	s_wait_loadcnt_dscnt 0xe0d
	v_dual_mul_f32 v224, v162, v8 :: v_dual_mul_f32 v225, v164, v10
	s_delay_alu instid0(VALU_DEP_3)
	v_fmac_f32_e32 v222, v159, v3
	v_fmac_f32_e32 v22, v157, v1
	;; [unrolled: 1-line block ×3, first 2 shown]
	v_fma_f32 v3, v158, v3, -v4
	v_dual_fmac_f32 v225, v165, v9 :: v_dual_mul_f32 v226, v166, v12
	s_wait_loadcnt_dscnt 0x201
	v_dual_mul_f32 v227, v168, v14 :: v_dual_mul_f32 v250, v214, v155
	s_wait_loadcnt_dscnt 0x100
	v_mul_f32_e32 v251, v220, v217
	v_fma_f32 v2, v156, v1, -v2
	v_mul_f32_e32 v1, v161, v6
	v_add_f32_e32 v4, 0, v22
	v_fmac_f32_e32 v226, v167, v11
	v_dual_mul_f32 v228, v170, v16 :: v_dual_mul_f32 v229, v172, v18
	v_add_f32_e32 v2, 0, v2
	v_fma_f32 v1, v160, v5, -v1
	v_dual_mul_f32 v230, v174, v20 :: v_dual_mul_f32 v231, v176, v25
	s_delay_alu instid0(VALU_DEP_4) | instskip(NEXT) | instid1(VALU_DEP_4)
	v_fmac_f32_e32 v228, v171, v15
	v_add_f32_e32 v2, v2, v3
	v_dual_mul_f32 v232, v178, v27 :: v_dual_mul_f32 v233, v180, v121
	s_delay_alu instid0(VALU_DEP_4) | instskip(SKIP_1) | instid1(VALU_DEP_4)
	v_fmac_f32_e32 v231, v177, v24
	v_fmac_f32_e32 v227, v169, v13
	v_dual_add_f32 v1, v2, v1 :: v_dual_mul_f32 v6, v163, v8
	v_add_f32_e32 v3, v4, v222
	v_mul_f32_e32 v4, v165, v10
	v_fmac_f32_e32 v230, v175, v19
	v_dual_fmac_f32 v232, v179, v26 :: v_dual_fmac_f32 v233, v181, v120
	v_fma_f32 v5, v162, v7, -v6
	v_add_f32_e32 v2, v3, v223
	v_mul_f32_e32 v3, v167, v12
	v_fma_f32 v4, v164, v9, -v4
	v_dual_mul_f32 v234, v182, v123 :: v_dual_mul_f32 v235, v184, v125
	v_dual_add_f32 v1, v1, v5 :: v_dual_fmac_f32 v224, v163, v7
	v_mul_f32_e32 v5, v169, v14
	v_fma_f32 v3, v166, v11, -v3
	s_delay_alu instid0(VALU_DEP_4) | instskip(NEXT) | instid1(VALU_DEP_4)
	v_dual_fmac_f32 v234, v183, v122 :: v_dual_fmac_f32 v235, v185, v124
	v_add_f32_e32 v1, v1, v4
	v_add_f32_e32 v2, v2, v224
	v_fma_f32 v5, v168, v13, -v5
	v_dual_mul_f32 v236, v186, v127 :: v_dual_mul_f32 v237, v188, v129
	s_delay_alu instid0(VALU_DEP_4) | instskip(SKIP_1) | instid1(VALU_DEP_3)
	v_dual_add_f32 v1, v1, v3 :: v_dual_mul_f32 v4, v171, v16
	v_mul_f32_e32 v3, v173, v18
	v_dual_fmac_f32 v229, v173, v17 :: v_dual_fmac_f32 v236, v187, v126
	s_delay_alu instid0(VALU_DEP_4) | instskip(NEXT) | instid1(VALU_DEP_4)
	v_fmac_f32_e32 v237, v189, v128
	v_add_f32_e32 v1, v1, v5
	v_fma_f32 v4, v170, v15, -v4
	v_dual_add_f32 v2, v2, v225 :: v_dual_mul_f32 v5, v175, v20
	v_fma_f32 v3, v172, v17, -v3
	v_dual_mul_f32 v238, v190, v131 :: v_dual_mul_f32 v239, v192, v133
	s_delay_alu instid0(VALU_DEP_3) | instskip(NEXT) | instid1(VALU_DEP_4)
	v_dual_add_f32 v1, v1, v4 :: v_dual_add_f32 v2, v2, v226
	v_fma_f32 v5, v174, v19, -v5
	v_mul_f32_e32 v4, v177, v25
	v_dual_mul_f32 v240, v194, v135 :: v_dual_mul_f32 v241, v196, v137
	s_delay_alu instid0(VALU_DEP_4) | instskip(SKIP_4) | instid1(VALU_DEP_4)
	v_add_f32_e32 v1, v1, v3
	v_add_f32_e32 v2, v2, v227
	v_mul_f32_e32 v3, v179, v27
	v_fma_f32 v4, v176, v24, -v4
	v_dual_mul_f32 v242, v198, v139 :: v_dual_mul_f32 v243, v200, v141
	v_dual_add_f32 v1, v1, v5 :: v_dual_add_f32 v2, v2, v228
	v_mul_f32_e32 v5, v181, v121
	v_fma_f32 v3, v178, v26, -v3
	v_dual_mul_f32 v244, v202, v143 :: v_dual_mul_f32 v245, v204, v145
	s_delay_alu instid0(VALU_DEP_4) | instskip(NEXT) | instid1(VALU_DEP_4)
	v_dual_add_f32 v2, v2, v229 :: v_dual_add_f32 v1, v1, v4
	v_fma_f32 v5, v180, v120, -v5
	v_dual_mul_f32 v246, v206, v147 :: v_dual_mul_f32 v247, v208, v149
	s_delay_alu instid0(VALU_DEP_3) | instskip(SKIP_1) | instid1(VALU_DEP_3)
	v_dual_add_f32 v2, v2, v230 :: v_dual_fmac_f32 v245, v205, v144
	v_dual_mul_f32 v248, v210, v151 :: v_dual_mul_f32 v249, v212, v153
	v_fmac_f32_e32 v246, v207, v146
	s_delay_alu instid0(VALU_DEP_3) | instskip(SKIP_3) | instid1(VALU_DEP_4)
	v_add_f32_e32 v2, v2, v231
	v_add_f32_e32 v1, v1, v3
	v_mul_f32_e32 v3, v185, v125
	v_dual_fmac_f32 v247, v209, v148 :: v_dual_fmac_f32 v250, v215, v154
	v_add_f32_e32 v2, v2, v232
	s_delay_alu instid0(VALU_DEP_4) | instskip(SKIP_3) | instid1(VALU_DEP_4)
	v_dual_mul_f32 v4, v183, v123 :: v_dual_add_f32 v1, v1, v5
	v_mul_f32_e32 v5, v187, v127
	v_fma_f32 v3, v184, v124, -v3
	v_fmac_f32_e32 v249, v213, v152
	v_fma_f32 v4, v182, v122, -v4
	v_add_f32_e32 v2, v2, v233
	v_fma_f32 v5, v186, v126, -v5
	v_fmac_f32_e32 v239, v193, v132
	v_fmac_f32_e32 v241, v197, v136
	s_delay_alu instid0(VALU_DEP_4) | instskip(SKIP_2) | instid1(VALU_DEP_3)
	v_dual_add_f32 v1, v1, v4 :: v_dual_add_f32 v2, v2, v234
	v_mul_f32_e32 v4, v189, v129
	v_fmac_f32_e32 v242, v199, v138
	v_dual_fmac_f32 v244, v203, v142 :: v_dual_add_f32 v1, v1, v3
	s_delay_alu instid0(VALU_DEP_4) | instskip(SKIP_2) | instid1(VALU_DEP_4)
	v_add_f32_e32 v2, v2, v235
	v_mul_f32_e32 v3, v191, v131
	v_fma_f32 v4, v188, v128, -v4
	v_dual_fmac_f32 v248, v211, v150 :: v_dual_add_f32 v1, v1, v5
	s_delay_alu instid0(VALU_DEP_4) | instskip(SKIP_2) | instid1(VALU_DEP_3)
	v_dual_add_f32 v2, v2, v236 :: v_dual_mul_f32 v5, v193, v133
	v_fmac_f32_e32 v238, v191, v130
	v_fma_f32 v3, v190, v130, -v3
	v_dual_add_f32 v1, v1, v4 :: v_dual_add_f32 v2, v2, v237
	v_mul_f32_e32 v4, v195, v135
	v_fma_f32 v5, v192, v132, -v5
	v_fmac_f32_e32 v251, v221, v216
	s_delay_alu instid0(VALU_DEP_4) | instskip(SKIP_2) | instid1(VALU_DEP_3)
	v_dual_add_f32 v1, v1, v3 :: v_dual_add_f32 v2, v2, v238
	v_dual_mul_f32 v3, v197, v137 :: v_dual_fmac_f32 v240, v195, v134
	v_fma_f32 v4, v194, v134, -v4
	v_dual_add_f32 v1, v1, v5 :: v_dual_add_f32 v2, v2, v239
	v_mul_f32_e32 v5, v199, v139
	s_delay_alu instid0(VALU_DEP_4) | instskip(NEXT) | instid1(VALU_DEP_3)
	v_fma_f32 v3, v196, v136, -v3
	v_add_f32_e32 v1, v1, v4
	s_delay_alu instid0(VALU_DEP_4) | instskip(SKIP_2) | instid1(VALU_DEP_3)
	v_add_f32_e32 v2, v2, v240
	v_mul_f32_e32 v4, v201, v141
	v_fma_f32 v5, v198, v138, -v5
	v_dual_add_f32 v1, v1, v3 :: v_dual_add_f32 v2, v2, v241
	v_mul_f32_e32 v3, v203, v143
	v_fmac_f32_e32 v243, v201, v140
	v_fma_f32 v4, v200, v140, -v4
	s_delay_alu instid0(VALU_DEP_4) | instskip(SKIP_2) | instid1(VALU_DEP_3)
	v_dual_add_f32 v1, v1, v5 :: v_dual_add_f32 v2, v2, v242
	v_mul_f32_e32 v5, v205, v145
	v_fma_f32 v3, v202, v142, -v3
	v_dual_add_f32 v1, v1, v4 :: v_dual_mul_f32 v4, v207, v147
	s_delay_alu instid0(VALU_DEP_4) | instskip(NEXT) | instid1(VALU_DEP_4)
	v_add_f32_e32 v2, v2, v243
	v_fma_f32 v5, v204, v144, -v5
	s_delay_alu instid0(VALU_DEP_3) | instskip(NEXT) | instid1(VALU_DEP_4)
	v_add_f32_e32 v1, v1, v3
	v_fma_f32 v4, v206, v146, -v4
	s_delay_alu instid0(VALU_DEP_2) | instskip(NEXT) | instid1(VALU_DEP_1)
	v_dual_add_f32 v2, v2, v244 :: v_dual_add_f32 v1, v1, v5
	v_dual_mul_f32 v5, v211, v151 :: v_dual_add_f32 v2, v2, v245
	v_mul_f32_e32 v3, v209, v149
	s_delay_alu instid0(VALU_DEP_2) | instskip(NEXT) | instid1(VALU_DEP_3)
	v_fma_f32 v5, v210, v150, -v5
	v_add_f32_e32 v2, v2, v246
	s_delay_alu instid0(VALU_DEP_3) | instskip(SKIP_2) | instid1(VALU_DEP_4)
	v_fma_f32 v3, v208, v148, -v3
	v_add_f32_e32 v1, v1, v4
	v_mul_f32_e32 v4, v213, v153
	v_add_f32_e32 v2, v2, v247
	s_delay_alu instid0(VALU_DEP_3) | instskip(SKIP_1) | instid1(VALU_DEP_4)
	v_add_f32_e32 v1, v1, v3
	v_mul_f32_e32 v3, v215, v155
	v_fma_f32 v4, v212, v152, -v4
	s_delay_alu instid0(VALU_DEP_4) | instskip(NEXT) | instid1(VALU_DEP_3)
	v_add_f32_e32 v2, v2, v248
	v_fma_f32 v3, v214, v154, -v3
	s_delay_alu instid0(VALU_DEP_2) | instskip(NEXT) | instid1(VALU_DEP_1)
	v_add_f32_e32 v2, v2, v249
	v_dual_add_f32 v2, v2, v250 :: v_dual_add_f32 v1, v1, v5
	s_delay_alu instid0(VALU_DEP_1) | instskip(SKIP_1) | instid1(VALU_DEP_1)
	v_dual_add_f32 v2, v2, v251 :: v_dual_mul_f32 v5, v221, v217
	s_wait_loadcnt 0x0
	v_dual_add_f32 v1, v1, v4 :: v_dual_sub_f32 v2, v219, v2
	s_delay_alu instid0(VALU_DEP_2) | instskip(NEXT) | instid1(VALU_DEP_2)
	v_fma_f32 v4, v220, v216, -v5
	v_add_f32_e32 v1, v1, v3
	s_delay_alu instid0(VALU_DEP_1) | instskip(NEXT) | instid1(VALU_DEP_1)
	v_add_f32_e32 v1, v1, v4
	v_sub_f32_e32 v1, v218, v1
	scratch_store_b64 off, v[1:2], off offset:112
	v_cmpx_lt_u32_e32 13, v0
	s_cbranch_execz .LBB45_263
; %bb.262:
	scratch_load_b64 v[1:2], off, off offset:104
	v_mov_b32_e32 v22, v21
	scratch_store_b64 off, v[21:22], off offset:104
	s_wait_loadcnt 0x0
	ds_store_b64 v23, v[1:2]
.LBB45_263:
	s_wait_alu 0xfffe
	s_or_b32 exec_lo, exec_lo, s0
	s_wait_storecnt_dscnt 0x0
	s_barrier_signal -1
	s_barrier_wait -1
	global_inv scope:SCOPE_SE
	s_clause 0x4
	scratch_load_b128 v[5:8], off, off offset:112
	scratch_load_b128 v[1:4], off, off offset:128
	;; [unrolled: 1-line block ×5, first 2 shown]
	ds_load_b128 v[24:27], v21 offset:480
	ds_load_b128 v[120:123], v21 offset:496
	;; [unrolled: 1-line block ×3, first 2 shown]
	scratch_load_b64 v[128:129], off, off offset:104
	s_mov_b32 s0, exec_lo
	s_wait_loadcnt_dscnt 0x502
	v_dual_mul_f32 v22, v25, v6 :: v_dual_mul_f32 v131, v26, v8
	v_mul_f32_e32 v130, v24, v6
	v_mul_f32_e32 v6, v27, v8
	s_wait_loadcnt_dscnt 0x300
	v_mul_f32_e32 v132, v126, v12
	v_fma_f32 v22, v24, v5, -v22
	v_dual_fmac_f32 v131, v27, v7 :: v_dual_fmac_f32 v130, v25, v5
	v_mul_f32_e32 v27, v124, v10
	v_mul_f32_e32 v25, v120, v2
	v_fma_f32 v24, v26, v7, -v6
	ds_load_b128 v[5:8], v21 offset:528
	v_mul_f32_e32 v26, v122, v4
	v_dual_mul_f32 v4, v123, v4 :: v_dual_fmac_f32 v27, v125, v9
	v_mul_f32_e32 v10, v125, v10
	v_mul_f32_e32 v12, v127, v12
	;; [unrolled: 1-line block ×3, first 2 shown]
	v_dual_fmac_f32 v25, v121, v1 :: v_dual_fmac_f32 v26, v123, v3
	v_fma_f32 v121, v122, v3, -v4
	v_fma_f32 v122, v124, v9, -v10
	v_fmac_f32_e32 v132, v127, v11
	v_fma_f32 v123, v126, v11, -v12
	ds_load_b128 v[9:12], v21 offset:544
	s_wait_loadcnt_dscnt 0x201
	v_mul_f32_e32 v125, v7, v16
	v_fma_f32 v120, v120, v1, -v2
	scratch_load_b128 v[1:4], off, off offset:192
	v_mul_f32_e32 v124, v5, v14
	v_mul_f32_e32 v14, v6, v14
	;; [unrolled: 1-line block ×3, first 2 shown]
	s_delay_alu instid0(VALU_DEP_3) | instskip(NEXT) | instid1(VALU_DEP_3)
	v_dual_fmac_f32 v125, v8, v15 :: v_dual_fmac_f32 v124, v6, v13
	v_fma_f32 v13, v5, v13, -v14
	s_delay_alu instid0(VALU_DEP_3)
	v_fma_f32 v14, v7, v15, -v16
	ds_load_b128 v[5:8], v21 offset:560
	s_wait_loadcnt_dscnt 0x201
	v_mul_f32_e32 v15, v9, v18
	v_mul_f32_e32 v16, v10, v18
	;; [unrolled: 1-line block ×3, first 2 shown]
	s_delay_alu instid0(VALU_DEP_3) | instskip(NEXT) | instid1(VALU_DEP_3)
	v_dual_mul_f32 v20, v12, v20 :: v_dual_fmac_f32 v15, v10, v17
	v_fma_f32 v16, v9, v17, -v16
	s_delay_alu instid0(VALU_DEP_3) | instskip(NEXT) | instid1(VALU_DEP_3)
	v_fmac_f32_e32 v18, v12, v19
	v_fma_f32 v17, v11, v19, -v20
	scratch_load_b128 v[9:12], off, off offset:208
	s_wait_loadcnt_dscnt 0x100
	v_mul_f32_e32 v19, v5, v2
	v_mul_f32_e32 v2, v6, v2
	;; [unrolled: 1-line block ×3, first 2 shown]
	s_delay_alu instid0(VALU_DEP_3) | instskip(NEXT) | instid1(VALU_DEP_3)
	v_dual_mul_f32 v4, v8, v4 :: v_dual_fmac_f32 v19, v6, v1
	v_fma_f32 v126, v5, v1, -v2
	s_delay_alu instid0(VALU_DEP_3) | instskip(NEXT) | instid1(VALU_DEP_3)
	v_fmac_f32_e32 v20, v8, v3
	v_fma_f32 v127, v7, v3, -v4
	ds_load_b128 v[1:4], v21 offset:576
	ds_load_b128 v[5:8], v21 offset:592
	s_wait_loadcnt_dscnt 0x1
	v_mul_f32_e32 v133, v1, v10
	v_mul_f32_e32 v10, v2, v10
	s_delay_alu instid0(VALU_DEP_2) | instskip(NEXT) | instid1(VALU_DEP_2)
	v_dual_mul_f32 v134, v3, v12 :: v_dual_fmac_f32 v133, v2, v9
	v_fma_f32 v135, v1, v9, -v10
	v_mul_f32_e32 v1, v4, v12
	s_delay_alu instid0(VALU_DEP_3) | instskip(NEXT) | instid1(VALU_DEP_2)
	v_fmac_f32_e32 v134, v4, v11
	v_fma_f32 v136, v3, v11, -v1
	s_clause 0x1
	scratch_load_b128 v[1:4], off, off offset:224
	scratch_load_b128 v[9:12], off, off offset:240
	s_wait_loadcnt_dscnt 0x100
	v_mul_f32_e32 v137, v5, v2
	v_dual_mul_f32 v2, v6, v2 :: v_dual_mul_f32 v139, v7, v4
	s_delay_alu instid0(VALU_DEP_2) | instskip(NEXT) | instid1(VALU_DEP_2)
	v_fmac_f32_e32 v137, v6, v1
	v_fma_f32 v138, v5, v1, -v2
	v_mul_f32_e32 v1, v8, v4
	s_delay_alu instid0(VALU_DEP_4) | instskip(NEXT) | instid1(VALU_DEP_2)
	v_fmac_f32_e32 v139, v8, v3
	v_fma_f32 v140, v7, v3, -v1
	ds_load_b128 v[1:4], v21 offset:608
	ds_load_b128 v[5:8], v21 offset:624
	s_wait_loadcnt_dscnt 0x1
	v_mul_f32_e32 v141, v1, v10
	v_mul_f32_e32 v143, v3, v12
	s_delay_alu instid0(VALU_DEP_2) | instskip(NEXT) | instid1(VALU_DEP_2)
	v_fmac_f32_e32 v141, v2, v9
	v_dual_mul_f32 v2, v2, v10 :: v_dual_fmac_f32 v143, v4, v11
	s_delay_alu instid0(VALU_DEP_1) | instskip(SKIP_1) | instid1(VALU_DEP_1)
	v_fma_f32 v142, v1, v9, -v2
	v_mul_f32_e32 v1, v4, v12
	v_fma_f32 v144, v3, v11, -v1
	s_clause 0x1
	scratch_load_b128 v[1:4], off, off offset:256
	scratch_load_b128 v[9:12], off, off offset:272
	s_wait_loadcnt_dscnt 0x100
	v_mul_f32_e32 v145, v5, v2
	v_dual_mul_f32 v2, v6, v2 :: v_dual_mul_f32 v147, v7, v4
	s_delay_alu instid0(VALU_DEP_2) | instskip(NEXT) | instid1(VALU_DEP_2)
	v_fmac_f32_e32 v145, v6, v1
	v_fma_f32 v146, v5, v1, -v2
	v_mul_f32_e32 v1, v8, v4
	s_delay_alu instid0(VALU_DEP_4) | instskip(NEXT) | instid1(VALU_DEP_2)
	v_fmac_f32_e32 v147, v8, v3
	v_fma_f32 v148, v7, v3, -v1
	ds_load_b128 v[1:4], v21 offset:640
	ds_load_b128 v[5:8], v21 offset:656
	s_wait_loadcnt_dscnt 0x1
	v_mul_f32_e32 v149, v1, v10
	v_mul_f32_e32 v151, v3, v12
	s_delay_alu instid0(VALU_DEP_2) | instskip(NEXT) | instid1(VALU_DEP_2)
	v_fmac_f32_e32 v149, v2, v9
	v_dual_mul_f32 v2, v2, v10 :: v_dual_fmac_f32 v151, v4, v11
	s_delay_alu instid0(VALU_DEP_1) | instskip(SKIP_1) | instid1(VALU_DEP_1)
	v_fma_f32 v150, v1, v9, -v2
	v_mul_f32_e32 v1, v4, v12
	v_fma_f32 v152, v3, v11, -v1
	s_clause 0x1
	scratch_load_b128 v[1:4], off, off offset:288
	scratch_load_b128 v[9:12], off, off offset:304
	s_wait_loadcnt_dscnt 0x100
	v_mul_f32_e32 v153, v5, v2
	v_mul_f32_e32 v2, v6, v2
	s_delay_alu instid0(VALU_DEP_1) | instskip(SKIP_1) | instid1(VALU_DEP_1)
	v_fma_f32 v154, v5, v1, -v2
	v_add_f32_e32 v2, 0, v130
	v_add_f32_e32 v2, v2, v131
	s_delay_alu instid0(VALU_DEP_1) | instskip(NEXT) | instid1(VALU_DEP_1)
	v_dual_add_f32 v2, v2, v25 :: v_dual_mul_f32 v155, v7, v4
	v_add_f32_e32 v2, v2, v26
	s_delay_alu instid0(VALU_DEP_1) | instskip(NEXT) | instid1(VALU_DEP_1)
	v_add_f32_e32 v2, v2, v27
	v_dual_fmac_f32 v155, v8, v3 :: v_dual_add_f32 v2, v2, v132
	s_delay_alu instid0(VALU_DEP_1) | instskip(NEXT) | instid1(VALU_DEP_1)
	v_add_f32_e32 v2, v2, v124
	v_add_f32_e32 v2, v2, v125
	s_delay_alu instid0(VALU_DEP_1) | instskip(NEXT) | instid1(VALU_DEP_1)
	v_add_f32_e32 v5, v2, v15
	v_add_f32_e32 v5, v5, v18
	s_delay_alu instid0(VALU_DEP_1) | instskip(SKIP_2) | instid1(VALU_DEP_1)
	v_add_f32_e32 v5, v5, v19
	v_fmac_f32_e32 v153, v6, v1
	v_mul_f32_e32 v1, v8, v4
	v_fma_f32 v156, v7, v3, -v1
	v_add_f32_e32 v1, 0, v22
	s_delay_alu instid0(VALU_DEP_1) | instskip(NEXT) | instid1(VALU_DEP_1)
	v_add_f32_e32 v1, v1, v24
	v_add_f32_e32 v1, v1, v120
	s_delay_alu instid0(VALU_DEP_1) | instskip(NEXT) | instid1(VALU_DEP_1)
	v_add_f32_e32 v1, v1, v121
	;; [unrolled: 3-line block ×4, first 2 shown]
	v_add_f32_e32 v1, v1, v16
	s_delay_alu instid0(VALU_DEP_1) | instskip(SKIP_2) | instid1(VALU_DEP_1)
	v_add_f32_e32 v6, v1, v17
	ds_load_b128 v[1:4], v21 offset:672
	v_add_f32_e32 v6, v6, v126
	v_add_f32_e32 v13, v6, v127
	s_delay_alu instid0(VALU_DEP_1) | instskip(NEXT) | instid1(VALU_DEP_1)
	v_add_f32_e32 v13, v13, v135
	v_add_f32_e32 v13, v13, v136
	s_delay_alu instid0(VALU_DEP_1) | instskip(NEXT) | instid1(VALU_DEP_1)
	v_add_f32_e32 v13, v13, v138
	v_add_f32_e32 v18, v13, v140
	s_delay_alu instid0(VALU_DEP_1)
	v_add_f32_e32 v18, v18, v142
	v_add_f32_e32 v14, v5, v20
	ds_load_b128 v[5:8], v21 offset:688
	s_wait_loadcnt_dscnt 0x1
	v_mul_f32_e32 v22, v1, v10
	v_mul_f32_e32 v120, v3, v12
	;; [unrolled: 1-line block ×4, first 2 shown]
	v_add_f32_e32 v14, v14, v133
	v_fmac_f32_e32 v22, v2, v9
	v_fmac_f32_e32 v120, v4, v11
	v_fma_f32 v121, v1, v9, -v10
	v_fma_f32 v122, v3, v11, -v12
	s_clause 0x1
	scratch_load_b128 v[1:4], off, off offset:320
	scratch_load_b128 v[9:12], off, off offset:336
	v_add_f32_e32 v14, v14, v134
	v_add_f32_e32 v18, v18, v144
	s_delay_alu instid0(VALU_DEP_2) | instskip(SKIP_2) | instid1(VALU_DEP_1)
	v_add_f32_e32 v17, v14, v137
	scratch_load_b128 v[13:16], off, off offset:352
	v_dual_add_f32 v24, v18, v146 :: v_dual_add_f32 v17, v17, v139
	v_add_f32_e32 v123, v24, v148
	s_delay_alu instid0(VALU_DEP_2) | instskip(NEXT) | instid1(VALU_DEP_1)
	v_add_f32_e32 v17, v17, v141
	v_add_f32_e32 v17, v17, v143
	s_delay_alu instid0(VALU_DEP_1)
	v_add_f32_e32 v25, v17, v145
	ds_load_b128 v[17:20], v21 offset:704
	v_add_f32_e32 v124, v25, v147
	ds_load_b128 v[24:27], v21 offset:720
	v_add_f32_e32 v21, v123, v150
	s_wait_loadcnt_dscnt 0x202
	v_dual_add_f32 v123, v124, v149 :: v_dual_mul_f32 v124, v5, v2
	s_wait_loadcnt_dscnt 0x101
	v_mul_f32_e32 v126, v17, v10
	v_dual_add_f32 v21, v21, v152 :: v_dual_mul_f32 v2, v6, v2
	s_delay_alu instid0(VALU_DEP_3) | instskip(NEXT) | instid1(VALU_DEP_2)
	v_dual_fmac_f32 v124, v6, v1 :: v_dual_add_f32 v123, v123, v151
	v_dual_fmac_f32 v126, v18, v9 :: v_dual_add_f32 v21, v21, v154
	s_wait_loadcnt_dscnt 0x0
	v_dual_mul_f32 v130, v24, v14 :: v_dual_mul_f32 v125, v7, v4
	s_delay_alu instid0(VALU_DEP_3) | instskip(SKIP_1) | instid1(VALU_DEP_3)
	v_dual_add_f32 v123, v123, v153 :: v_dual_mul_f32 v4, v8, v4
	v_fma_f32 v2, v5, v1, -v2
	v_dual_fmac_f32 v130, v25, v13 :: v_dual_fmac_f32 v125, v8, v3
	s_delay_alu instid0(VALU_DEP_3) | instskip(NEXT) | instid1(VALU_DEP_4)
	v_add_f32_e32 v123, v123, v155
	v_fma_f32 v3, v7, v3, -v4
	v_mul_f32_e32 v4, v20, v12
	v_dual_add_f32 v21, v21, v156 :: v_dual_mul_f32 v6, v18, v10
	s_delay_alu instid0(VALU_DEP_4) | instskip(NEXT) | instid1(VALU_DEP_3)
	v_add_f32_e32 v22, v123, v22
	v_fma_f32 v4, v19, v11, -v4
	s_delay_alu instid0(VALU_DEP_3) | instskip(SKIP_1) | instid1(VALU_DEP_4)
	v_add_f32_e32 v21, v21, v121
	v_mul_f32_e32 v121, v26, v16
	v_add_f32_e32 v5, v22, v120
	s_delay_alu instid0(VALU_DEP_2) | instskip(NEXT) | instid1(VALU_DEP_4)
	v_fmac_f32_e32 v121, v27, v15
	v_add_f32_e32 v1, v21, v122
	s_delay_alu instid0(VALU_DEP_1) | instskip(NEXT) | instid1(VALU_DEP_4)
	v_add_f32_e32 v1, v1, v2
	v_add_f32_e32 v2, v5, v124
	v_mul_f32_e32 v127, v19, v12
	v_fma_f32 v5, v17, v9, -v6
	s_delay_alu instid0(VALU_DEP_3) | instskip(SKIP_1) | instid1(VALU_DEP_4)
	v_dual_add_f32 v1, v1, v3 :: v_dual_add_f32 v2, v2, v125
	v_mul_f32_e32 v3, v25, v14
	v_fmac_f32_e32 v127, v20, v11
	s_delay_alu instid0(VALU_DEP_3) | instskip(SKIP_1) | instid1(VALU_DEP_4)
	v_dual_add_f32 v1, v1, v5 :: v_dual_add_f32 v2, v2, v126
	v_mul_f32_e32 v5, v27, v16
	v_fma_f32 v3, v24, v13, -v3
	s_delay_alu instid0(VALU_DEP_3) | instskip(NEXT) | instid1(VALU_DEP_3)
	v_dual_add_f32 v1, v1, v4 :: v_dual_add_f32 v2, v2, v127
	v_fma_f32 v4, v26, v15, -v5
	s_delay_alu instid0(VALU_DEP_2) | instskip(NEXT) | instid1(VALU_DEP_1)
	v_dual_add_f32 v1, v1, v3 :: v_dual_add_f32 v2, v2, v130
	v_dual_add_f32 v1, v1, v4 :: v_dual_add_f32 v2, v2, v121
	s_delay_alu instid0(VALU_DEP_1)
	v_dual_sub_f32 v1, v128, v1 :: v_dual_sub_f32 v2, v129, v2
	scratch_store_b64 off, v[1:2], off offset:104
	v_cmpx_lt_u32_e32 12, v0
	s_cbranch_execz .LBB45_265
; %bb.264:
	scratch_load_b64 v[1:2], off, off offset:96
	v_mov_b32_e32 v3, 0
	s_delay_alu instid0(VALU_DEP_1)
	v_mov_b32_e32 v4, v3
	scratch_store_b64 off, v[3:4], off offset:96
	s_wait_loadcnt 0x0
	ds_store_b64 v23, v[1:2]
.LBB45_265:
	s_wait_alu 0xfffe
	s_or_b32 exec_lo, exec_lo, s0
	s_wait_storecnt_dscnt 0x0
	s_barrier_signal -1
	s_barrier_wait -1
	global_inv scope:SCOPE_SE
	s_clause 0x4
	scratch_load_b128 v[5:8], off, off offset:104
	scratch_load_b128 v[1:4], off, off offset:120
	;; [unrolled: 1-line block ×5, first 2 shown]
	v_mov_b32_e32 v21, 0
	ds_load_2addr_b64 v[24:27], v21 offset0:59 offset1:60
	ds_load_2addr_b64 v[120:123], v21 offset0:61 offset1:62
	;; [unrolled: 1-line block ×3, first 2 shown]
	scratch_load_b64 v[128:129], off, off offset:96
	s_mov_b32 s0, exec_lo
	s_wait_loadcnt_dscnt 0x502
	v_mul_f32_e32 v22, v25, v6
	v_dual_mul_f32 v130, v24, v6 :: v_dual_mul_f32 v131, v26, v8
	v_mul_f32_e32 v6, v27, v8
	s_delay_alu instid0(VALU_DEP_3) | instskip(NEXT) | instid1(VALU_DEP_3)
	v_fma_f32 v22, v24, v5, -v22
	v_dual_fmac_f32 v130, v25, v5 :: v_dual_fmac_f32 v131, v27, v7
	s_wait_loadcnt_dscnt 0x401
	v_mul_f32_e32 v25, v120, v2
	v_fma_f32 v24, v26, v7, -v6
	ds_load_2addr_b64 v[5:8], v21 offset0:65 offset1:66
	s_wait_loadcnt_dscnt 0x301
	v_dual_mul_f32 v26, v122, v4 :: v_dual_mul_f32 v27, v124, v10
	v_dual_mul_f32 v4, v123, v4 :: v_dual_fmac_f32 v25, v121, v1
	v_mul_f32_e32 v10, v125, v10
	s_delay_alu instid0(VALU_DEP_3)
	v_dual_mul_f32 v132, v126, v12 :: v_dual_fmac_f32 v27, v125, v9
	v_mul_f32_e32 v12, v127, v12
	v_mul_f32_e32 v2, v121, v2
	v_fmac_f32_e32 v26, v123, v3
	v_fma_f32 v121, v122, v3, -v4
	v_fma_f32 v122, v124, v9, -v10
	v_fmac_f32_e32 v132, v127, v11
	v_fma_f32 v123, v126, v11, -v12
	ds_load_2addr_b64 v[9:12], v21 offset0:67 offset1:68
	s_wait_loadcnt_dscnt 0x201
	v_mul_f32_e32 v125, v7, v16
	v_fma_f32 v120, v120, v1, -v2
	scratch_load_b128 v[1:4], off, off offset:184
	v_mul_f32_e32 v124, v5, v14
	v_mul_f32_e32 v14, v6, v14
	;; [unrolled: 1-line block ×3, first 2 shown]
	s_delay_alu instid0(VALU_DEP_3) | instskip(NEXT) | instid1(VALU_DEP_3)
	v_dual_fmac_f32 v125, v8, v15 :: v_dual_fmac_f32 v124, v6, v13
	v_fma_f32 v13, v5, v13, -v14
	s_delay_alu instid0(VALU_DEP_3)
	v_fma_f32 v14, v7, v15, -v16
	ds_load_2addr_b64 v[5:8], v21 offset0:69 offset1:70
	s_wait_loadcnt_dscnt 0x201
	v_mul_f32_e32 v15, v9, v18
	v_mul_f32_e32 v16, v10, v18
	;; [unrolled: 1-line block ×3, first 2 shown]
	s_delay_alu instid0(VALU_DEP_3) | instskip(NEXT) | instid1(VALU_DEP_3)
	v_dual_mul_f32 v20, v12, v20 :: v_dual_fmac_f32 v15, v10, v17
	v_fma_f32 v16, v9, v17, -v16
	s_delay_alu instid0(VALU_DEP_3) | instskip(NEXT) | instid1(VALU_DEP_3)
	v_fmac_f32_e32 v18, v12, v19
	v_fma_f32 v17, v11, v19, -v20
	scratch_load_b128 v[9:12], off, off offset:200
	s_wait_loadcnt_dscnt 0x100
	v_mul_f32_e32 v19, v5, v2
	v_mul_f32_e32 v2, v6, v2
	;; [unrolled: 1-line block ×3, first 2 shown]
	s_delay_alu instid0(VALU_DEP_3) | instskip(NEXT) | instid1(VALU_DEP_3)
	v_dual_mul_f32 v4, v8, v4 :: v_dual_fmac_f32 v19, v6, v1
	v_fma_f32 v126, v5, v1, -v2
	s_delay_alu instid0(VALU_DEP_3) | instskip(NEXT) | instid1(VALU_DEP_3)
	v_fmac_f32_e32 v20, v8, v3
	v_fma_f32 v127, v7, v3, -v4
	ds_load_2addr_b64 v[1:4], v21 offset0:71 offset1:72
	ds_load_2addr_b64 v[5:8], v21 offset0:73 offset1:74
	s_wait_loadcnt_dscnt 0x1
	v_mul_f32_e32 v133, v1, v10
	v_mul_f32_e32 v10, v2, v10
	s_delay_alu instid0(VALU_DEP_2) | instskip(NEXT) | instid1(VALU_DEP_2)
	v_dual_mul_f32 v134, v3, v12 :: v_dual_fmac_f32 v133, v2, v9
	v_fma_f32 v135, v1, v9, -v10
	v_mul_f32_e32 v1, v4, v12
	s_delay_alu instid0(VALU_DEP_3) | instskip(NEXT) | instid1(VALU_DEP_2)
	v_fmac_f32_e32 v134, v4, v11
	v_fma_f32 v136, v3, v11, -v1
	s_clause 0x1
	scratch_load_b128 v[1:4], off, off offset:216
	scratch_load_b128 v[9:12], off, off offset:232
	s_wait_loadcnt_dscnt 0x100
	v_mul_f32_e32 v137, v5, v2
	v_dual_mul_f32 v2, v6, v2 :: v_dual_mul_f32 v139, v7, v4
	s_delay_alu instid0(VALU_DEP_2) | instskip(NEXT) | instid1(VALU_DEP_2)
	v_fmac_f32_e32 v137, v6, v1
	v_fma_f32 v138, v5, v1, -v2
	v_mul_f32_e32 v1, v8, v4
	s_delay_alu instid0(VALU_DEP_4) | instskip(NEXT) | instid1(VALU_DEP_2)
	v_fmac_f32_e32 v139, v8, v3
	v_fma_f32 v140, v7, v3, -v1
	ds_load_2addr_b64 v[1:4], v21 offset0:75 offset1:76
	ds_load_2addr_b64 v[5:8], v21 offset0:77 offset1:78
	s_wait_loadcnt_dscnt 0x1
	v_mul_f32_e32 v141, v1, v10
	v_mul_f32_e32 v143, v3, v12
	s_delay_alu instid0(VALU_DEP_2) | instskip(NEXT) | instid1(VALU_DEP_2)
	v_fmac_f32_e32 v141, v2, v9
	v_dual_mul_f32 v2, v2, v10 :: v_dual_fmac_f32 v143, v4, v11
	s_delay_alu instid0(VALU_DEP_1) | instskip(SKIP_1) | instid1(VALU_DEP_1)
	v_fma_f32 v142, v1, v9, -v2
	v_mul_f32_e32 v1, v4, v12
	v_fma_f32 v144, v3, v11, -v1
	s_clause 0x1
	scratch_load_b128 v[1:4], off, off offset:248
	scratch_load_b128 v[9:12], off, off offset:264
	s_wait_loadcnt_dscnt 0x100
	v_mul_f32_e32 v145, v5, v2
	v_dual_mul_f32 v147, v7, v4 :: v_dual_mul_f32 v2, v6, v2
	s_delay_alu instid0(VALU_DEP_2) | instskip(NEXT) | instid1(VALU_DEP_2)
	v_fmac_f32_e32 v145, v6, v1
	v_fmac_f32_e32 v147, v8, v3
	s_delay_alu instid0(VALU_DEP_3) | instskip(SKIP_1) | instid1(VALU_DEP_1)
	v_fma_f32 v146, v5, v1, -v2
	v_mul_f32_e32 v1, v8, v4
	v_fma_f32 v148, v7, v3, -v1
	ds_load_2addr_b64 v[1:4], v21 offset0:79 offset1:80
	ds_load_2addr_b64 v[5:8], v21 offset0:81 offset1:82
	s_wait_loadcnt_dscnt 0x1
	v_mul_f32_e32 v149, v1, v10
	v_mul_f32_e32 v151, v3, v12
	s_delay_alu instid0(VALU_DEP_2) | instskip(NEXT) | instid1(VALU_DEP_2)
	v_fmac_f32_e32 v149, v2, v9
	v_dual_mul_f32 v2, v2, v10 :: v_dual_fmac_f32 v151, v4, v11
	s_delay_alu instid0(VALU_DEP_1) | instskip(SKIP_1) | instid1(VALU_DEP_1)
	v_fma_f32 v150, v1, v9, -v2
	v_mul_f32_e32 v1, v4, v12
	v_fma_f32 v152, v3, v11, -v1
	s_clause 0x1
	scratch_load_b128 v[1:4], off, off offset:280
	scratch_load_b128 v[9:12], off, off offset:296
	s_wait_loadcnt_dscnt 0x100
	v_mul_f32_e32 v153, v5, v2
	v_mul_f32_e32 v2, v6, v2
	s_delay_alu instid0(VALU_DEP_1) | instskip(SKIP_1) | instid1(VALU_DEP_1)
	v_fma_f32 v154, v5, v1, -v2
	v_add_f32_e32 v2, 0, v130
	v_add_f32_e32 v2, v2, v131
	s_delay_alu instid0(VALU_DEP_1) | instskip(NEXT) | instid1(VALU_DEP_1)
	v_add_f32_e32 v2, v2, v25
	v_add_f32_e32 v2, v2, v26
	s_delay_alu instid0(VALU_DEP_1) | instskip(NEXT) | instid1(VALU_DEP_1)
	v_add_f32_e32 v2, v2, v27
	v_add_f32_e32 v2, v2, v132
	s_delay_alu instid0(VALU_DEP_1) | instskip(NEXT) | instid1(VALU_DEP_1)
	v_add_f32_e32 v2, v2, v124
	v_dual_mul_f32 v155, v7, v4 :: v_dual_add_f32 v2, v2, v125
	s_delay_alu instid0(VALU_DEP_1) | instskip(NEXT) | instid1(VALU_DEP_1)
	v_add_f32_e32 v5, v2, v15
	v_add_f32_e32 v5, v5, v18
	s_delay_alu instid0(VALU_DEP_1) | instskip(SKIP_2) | instid1(VALU_DEP_1)
	v_add_f32_e32 v5, v5, v19
	v_fmac_f32_e32 v153, v6, v1
	v_mul_f32_e32 v1, v8, v4
	v_fma_f32 v156, v7, v3, -v1
	v_add_f32_e32 v1, 0, v22
	s_delay_alu instid0(VALU_DEP_1) | instskip(NEXT) | instid1(VALU_DEP_1)
	v_add_f32_e32 v1, v1, v24
	v_add_f32_e32 v1, v1, v120
	s_delay_alu instid0(VALU_DEP_1) | instskip(SKIP_2) | instid1(VALU_DEP_1)
	v_add_f32_e32 v1, v1, v121
	scratch_load_b64 v[120:121], off, off offset:360
	v_add_f32_e32 v1, v1, v122
	v_add_f32_e32 v1, v1, v123
	s_delay_alu instid0(VALU_DEP_1) | instskip(NEXT) | instid1(VALU_DEP_1)
	v_add_f32_e32 v1, v1, v13
	v_add_f32_e32 v1, v1, v14
	s_delay_alu instid0(VALU_DEP_1) | instskip(NEXT) | instid1(VALU_DEP_1)
	v_add_f32_e32 v1, v1, v16
	v_dual_fmac_f32 v155, v8, v3 :: v_dual_add_f32 v6, v1, v17
	ds_load_2addr_b64 v[1:4], v21 offset0:83 offset1:84
	v_add_f32_e32 v6, v6, v126
	s_delay_alu instid0(VALU_DEP_1) | instskip(NEXT) | instid1(VALU_DEP_1)
	v_add_f32_e32 v13, v6, v127
	v_add_f32_e32 v13, v13, v135
	s_delay_alu instid0(VALU_DEP_1) | instskip(NEXT) | instid1(VALU_DEP_1)
	v_add_f32_e32 v13, v13, v136
	v_add_f32_e32 v13, v13, v138
	s_delay_alu instid0(VALU_DEP_1) | instskip(NEXT) | instid1(VALU_DEP_1)
	v_add_f32_e32 v18, v13, v140
	v_add_f32_e32 v18, v18, v142
	v_add_f32_e32 v14, v5, v20
	ds_load_2addr_b64 v[5:8], v21 offset0:85 offset1:86
	s_wait_loadcnt_dscnt 0x101
	v_mul_f32_e32 v22, v1, v10
	v_mul_f32_e32 v10, v2, v10
	;; [unrolled: 1-line block ×4, first 2 shown]
	v_add_f32_e32 v14, v14, v133
	v_fmac_f32_e32 v22, v2, v9
	v_fma_f32 v125, v1, v9, -v10
	v_fmac_f32_e32 v124, v4, v11
	v_fma_f32 v126, v3, v11, -v12
	s_clause 0x1
	scratch_load_b128 v[1:4], off, off offset:312
	scratch_load_b128 v[9:12], off, off offset:328
	v_add_f32_e32 v14, v14, v134
	v_add_f32_e32 v18, v18, v144
	s_delay_alu instid0(VALU_DEP_2) | instskip(SKIP_2) | instid1(VALU_DEP_1)
	v_add_f32_e32 v17, v14, v137
	scratch_load_b128 v[13:16], off, off offset:344
	v_dual_add_f32 v18, v18, v146 :: v_dual_add_f32 v17, v17, v139
	v_dual_add_f32 v18, v18, v148 :: v_dual_add_f32 v17, v17, v141
	s_delay_alu instid0(VALU_DEP_1) | instskip(NEXT) | instid1(VALU_DEP_1)
	v_add_f32_e32 v122, v18, v150
	v_add_f32_e32 v127, v122, v152
	s_wait_loadcnt_dscnt 0x200
	v_mul_f32_e32 v131, v5, v2
	v_dual_mul_f32 v2, v6, v2 :: v_dual_add_f32 v17, v17, v143
	v_mul_f32_e32 v132, v7, v4
	v_mul_f32_e32 v4, v8, v4
	s_delay_alu instid0(VALU_DEP_3) | instskip(NEXT) | instid1(VALU_DEP_3)
	v_fma_f32 v2, v5, v1, -v2
	v_dual_add_f32 v17, v17, v145 :: v_dual_fmac_f32 v132, v8, v3
	s_delay_alu instid0(VALU_DEP_1)
	v_add_f32_e32 v24, v17, v147
	ds_load_2addr_b64 v[17:20], v21 offset0:87 offset1:88
	v_add_f32_e32 v123, v24, v149
	ds_load_2addr_b64 v[24:27], v21 offset0:89 offset1:90
	v_add_f32_e32 v127, v127, v154
	v_add_f32_e32 v130, v123, v151
	ds_load_b64 v[122:123], v21 offset:728
	v_add_f32_e32 v130, v130, v153
	s_delay_alu instid0(VALU_DEP_1) | instskip(SKIP_1) | instid1(VALU_DEP_1)
	v_dual_add_f32 v130, v130, v155 :: v_dual_add_f32 v127, v127, v156
	s_wait_loadcnt_dscnt 0x102
	v_dual_mul_f32 v5, v20, v12 :: v_dual_add_f32 v22, v130, v22
	s_delay_alu instid0(VALU_DEP_2) | instskip(SKIP_1) | instid1(VALU_DEP_2)
	v_add_f32_e32 v125, v127, v125
	v_dual_mul_f32 v130, v19, v12 :: v_dual_mul_f32 v127, v17, v10
	v_dual_add_f32 v22, v22, v124 :: v_dual_add_f32 v125, v125, v126
	v_fmac_f32_e32 v131, v6, v1
	v_fma_f32 v1, v7, v3, -v4
	s_wait_loadcnt_dscnt 0x1
	v_mul_f32_e32 v126, v26, v16
	s_wait_dscnt 0x0
	v_mul_f32_e32 v124, v122, v121
	v_add_f32_e32 v2, v125, v2
	v_dual_mul_f32 v133, v24, v14 :: v_dual_add_f32 v4, v22, v131
	v_mul_f32_e32 v3, v18, v10
	v_dual_fmac_f32 v127, v18, v9 :: v_dual_fmac_f32 v130, v20, v11
	s_delay_alu instid0(VALU_DEP_4) | instskip(NEXT) | instid1(VALU_DEP_4)
	v_dual_add_f32 v1, v2, v1 :: v_dual_fmac_f32 v126, v27, v15
	v_add_f32_e32 v2, v4, v132
	s_delay_alu instid0(VALU_DEP_4)
	v_fma_f32 v3, v17, v9, -v3
	v_mul_f32_e32 v4, v25, v14
	v_fma_f32 v5, v19, v11, -v5
	v_dual_fmac_f32 v133, v25, v13 :: v_dual_fmac_f32 v124, v123, v120
	v_add_f32_e32 v2, v2, v127
	v_add_f32_e32 v1, v1, v3
	v_mul_f32_e32 v3, v27, v16
	v_fma_f32 v4, v24, v13, -v4
	s_delay_alu instid0(VALU_DEP_4) | instskip(NEXT) | instid1(VALU_DEP_3)
	v_add_f32_e32 v2, v2, v130
	v_fma_f32 v3, v26, v15, -v3
	s_delay_alu instid0(VALU_DEP_2) | instskip(NEXT) | instid1(VALU_DEP_1)
	v_add_f32_e32 v2, v2, v133
	v_dual_add_f32 v1, v1, v5 :: v_dual_add_f32 v2, v2, v126
	v_mul_f32_e32 v5, v123, v121
	s_delay_alu instid0(VALU_DEP_2) | instskip(NEXT) | instid1(VALU_DEP_3)
	v_add_f32_e32 v1, v1, v4
	v_add_f32_e32 v2, v2, v124
	s_delay_alu instid0(VALU_DEP_3) | instskip(NEXT) | instid1(VALU_DEP_3)
	v_fma_f32 v4, v122, v120, -v5
	v_add_f32_e32 v1, v1, v3
	s_delay_alu instid0(VALU_DEP_3) | instskip(NEXT) | instid1(VALU_DEP_2)
	v_sub_f32_e32 v2, v129, v2
	v_add_f32_e32 v1, v1, v4
	s_delay_alu instid0(VALU_DEP_1)
	v_sub_f32_e32 v1, v128, v1
	scratch_store_b64 off, v[1:2], off offset:96
	v_cmpx_lt_u32_e32 11, v0
	s_cbranch_execz .LBB45_267
; %bb.266:
	scratch_load_b64 v[1:2], off, off offset:88
	v_mov_b32_e32 v22, v21
	scratch_store_b64 off, v[21:22], off offset:88
	s_wait_loadcnt 0x0
	ds_store_b64 v23, v[1:2]
.LBB45_267:
	s_wait_alu 0xfffe
	s_or_b32 exec_lo, exec_lo, s0
	s_wait_storecnt_dscnt 0x0
	s_barrier_signal -1
	s_barrier_wait -1
	global_inv scope:SCOPE_SE
	s_clause 0x4
	scratch_load_b128 v[5:8], off, off offset:96
	scratch_load_b128 v[1:4], off, off offset:112
	;; [unrolled: 1-line block ×5, first 2 shown]
	ds_load_b128 v[24:27], v21 offset:464
	ds_load_b128 v[120:123], v21 offset:480
	ds_load_b128 v[124:127], v21 offset:496
	scratch_load_b64 v[128:129], off, off offset:88
	s_mov_b32 s0, exec_lo
	s_wait_loadcnt_dscnt 0x502
	v_dual_mul_f32 v22, v25, v6 :: v_dual_mul_f32 v131, v26, v8
	v_mul_f32_e32 v130, v24, v6
	v_mul_f32_e32 v6, v27, v8
	s_wait_loadcnt_dscnt 0x300
	v_mul_f32_e32 v132, v126, v12
	v_fma_f32 v22, v24, v5, -v22
	v_dual_fmac_f32 v131, v27, v7 :: v_dual_fmac_f32 v130, v25, v5
	v_mul_f32_e32 v27, v124, v10
	v_mul_f32_e32 v25, v120, v2
	v_fma_f32 v24, v26, v7, -v6
	ds_load_b128 v[5:8], v21 offset:512
	v_mul_f32_e32 v26, v122, v4
	v_dual_mul_f32 v4, v123, v4 :: v_dual_fmac_f32 v27, v125, v9
	v_mul_f32_e32 v10, v125, v10
	v_mul_f32_e32 v12, v127, v12
	;; [unrolled: 1-line block ×3, first 2 shown]
	v_dual_fmac_f32 v25, v121, v1 :: v_dual_fmac_f32 v26, v123, v3
	v_fma_f32 v121, v122, v3, -v4
	v_fma_f32 v122, v124, v9, -v10
	v_fmac_f32_e32 v132, v127, v11
	v_fma_f32 v123, v126, v11, -v12
	ds_load_b128 v[9:12], v21 offset:528
	s_wait_loadcnt_dscnt 0x201
	v_mul_f32_e32 v125, v7, v16
	v_fma_f32 v120, v120, v1, -v2
	scratch_load_b128 v[1:4], off, off offset:176
	v_mul_f32_e32 v124, v5, v14
	v_mul_f32_e32 v14, v6, v14
	;; [unrolled: 1-line block ×3, first 2 shown]
	s_delay_alu instid0(VALU_DEP_3) | instskip(NEXT) | instid1(VALU_DEP_3)
	v_dual_fmac_f32 v125, v8, v15 :: v_dual_fmac_f32 v124, v6, v13
	v_fma_f32 v13, v5, v13, -v14
	s_delay_alu instid0(VALU_DEP_3)
	v_fma_f32 v14, v7, v15, -v16
	ds_load_b128 v[5:8], v21 offset:544
	s_wait_loadcnt_dscnt 0x201
	v_mul_f32_e32 v15, v9, v18
	v_mul_f32_e32 v16, v10, v18
	;; [unrolled: 1-line block ×3, first 2 shown]
	s_delay_alu instid0(VALU_DEP_3) | instskip(NEXT) | instid1(VALU_DEP_3)
	v_dual_mul_f32 v20, v12, v20 :: v_dual_fmac_f32 v15, v10, v17
	v_fma_f32 v16, v9, v17, -v16
	s_delay_alu instid0(VALU_DEP_3) | instskip(NEXT) | instid1(VALU_DEP_3)
	v_fmac_f32_e32 v18, v12, v19
	v_fma_f32 v17, v11, v19, -v20
	scratch_load_b128 v[9:12], off, off offset:192
	s_wait_loadcnt_dscnt 0x100
	v_mul_f32_e32 v19, v5, v2
	v_mul_f32_e32 v2, v6, v2
	;; [unrolled: 1-line block ×3, first 2 shown]
	s_delay_alu instid0(VALU_DEP_3) | instskip(NEXT) | instid1(VALU_DEP_3)
	v_dual_mul_f32 v4, v8, v4 :: v_dual_fmac_f32 v19, v6, v1
	v_fma_f32 v126, v5, v1, -v2
	s_delay_alu instid0(VALU_DEP_3) | instskip(NEXT) | instid1(VALU_DEP_3)
	v_fmac_f32_e32 v20, v8, v3
	v_fma_f32 v127, v7, v3, -v4
	ds_load_b128 v[1:4], v21 offset:560
	ds_load_b128 v[5:8], v21 offset:576
	s_wait_loadcnt_dscnt 0x1
	v_mul_f32_e32 v133, v1, v10
	v_mul_f32_e32 v10, v2, v10
	s_delay_alu instid0(VALU_DEP_2) | instskip(NEXT) | instid1(VALU_DEP_2)
	v_dual_mul_f32 v134, v3, v12 :: v_dual_fmac_f32 v133, v2, v9
	v_fma_f32 v135, v1, v9, -v10
	v_mul_f32_e32 v1, v4, v12
	s_delay_alu instid0(VALU_DEP_3) | instskip(NEXT) | instid1(VALU_DEP_2)
	v_fmac_f32_e32 v134, v4, v11
	v_fma_f32 v136, v3, v11, -v1
	s_clause 0x1
	scratch_load_b128 v[1:4], off, off offset:208
	scratch_load_b128 v[9:12], off, off offset:224
	s_wait_loadcnt_dscnt 0x100
	v_mul_f32_e32 v137, v5, v2
	v_dual_mul_f32 v2, v6, v2 :: v_dual_mul_f32 v139, v7, v4
	s_delay_alu instid0(VALU_DEP_2) | instskip(NEXT) | instid1(VALU_DEP_2)
	v_fmac_f32_e32 v137, v6, v1
	v_fma_f32 v138, v5, v1, -v2
	v_mul_f32_e32 v1, v8, v4
	s_delay_alu instid0(VALU_DEP_4) | instskip(NEXT) | instid1(VALU_DEP_2)
	v_fmac_f32_e32 v139, v8, v3
	v_fma_f32 v140, v7, v3, -v1
	ds_load_b128 v[1:4], v21 offset:592
	ds_load_b128 v[5:8], v21 offset:608
	s_wait_loadcnt_dscnt 0x1
	v_mul_f32_e32 v141, v1, v10
	v_mul_f32_e32 v143, v3, v12
	s_delay_alu instid0(VALU_DEP_2) | instskip(NEXT) | instid1(VALU_DEP_2)
	v_fmac_f32_e32 v141, v2, v9
	v_dual_mul_f32 v2, v2, v10 :: v_dual_fmac_f32 v143, v4, v11
	s_delay_alu instid0(VALU_DEP_1) | instskip(SKIP_1) | instid1(VALU_DEP_1)
	v_fma_f32 v142, v1, v9, -v2
	v_mul_f32_e32 v1, v4, v12
	v_fma_f32 v144, v3, v11, -v1
	s_clause 0x1
	scratch_load_b128 v[1:4], off, off offset:240
	scratch_load_b128 v[9:12], off, off offset:256
	s_wait_loadcnt_dscnt 0x100
	v_mul_f32_e32 v145, v5, v2
	v_dual_mul_f32 v2, v6, v2 :: v_dual_mul_f32 v147, v7, v4
	s_delay_alu instid0(VALU_DEP_2) | instskip(NEXT) | instid1(VALU_DEP_2)
	v_fmac_f32_e32 v145, v6, v1
	v_fma_f32 v146, v5, v1, -v2
	v_mul_f32_e32 v1, v8, v4
	s_delay_alu instid0(VALU_DEP_4) | instskip(NEXT) | instid1(VALU_DEP_2)
	v_fmac_f32_e32 v147, v8, v3
	v_fma_f32 v148, v7, v3, -v1
	ds_load_b128 v[1:4], v21 offset:624
	ds_load_b128 v[5:8], v21 offset:640
	s_wait_loadcnt_dscnt 0x1
	v_mul_f32_e32 v149, v1, v10
	v_mul_f32_e32 v151, v3, v12
	s_delay_alu instid0(VALU_DEP_2) | instskip(NEXT) | instid1(VALU_DEP_2)
	v_fmac_f32_e32 v149, v2, v9
	v_dual_mul_f32 v2, v2, v10 :: v_dual_fmac_f32 v151, v4, v11
	s_delay_alu instid0(VALU_DEP_1) | instskip(SKIP_1) | instid1(VALU_DEP_1)
	v_fma_f32 v150, v1, v9, -v2
	v_mul_f32_e32 v1, v4, v12
	v_fma_f32 v152, v3, v11, -v1
	s_clause 0x1
	scratch_load_b128 v[1:4], off, off offset:272
	scratch_load_b128 v[9:12], off, off offset:288
	s_wait_loadcnt_dscnt 0x100
	v_mul_f32_e32 v153, v5, v2
	v_mul_f32_e32 v2, v6, v2
	s_delay_alu instid0(VALU_DEP_1) | instskip(SKIP_1) | instid1(VALU_DEP_1)
	v_fma_f32 v154, v5, v1, -v2
	v_add_f32_e32 v2, 0, v130
	v_add_f32_e32 v2, v2, v131
	s_delay_alu instid0(VALU_DEP_1) | instskip(NEXT) | instid1(VALU_DEP_1)
	v_dual_add_f32 v2, v2, v25 :: v_dual_mul_f32 v155, v7, v4
	v_add_f32_e32 v2, v2, v26
	s_delay_alu instid0(VALU_DEP_1) | instskip(NEXT) | instid1(VALU_DEP_3)
	v_add_f32_e32 v2, v2, v27
	v_fmac_f32_e32 v155, v8, v3
	v_fmac_f32_e32 v153, v6, v1
	s_delay_alu instid0(VALU_DEP_3) | instskip(NEXT) | instid1(VALU_DEP_1)
	v_add_f32_e32 v2, v2, v132
	v_add_f32_e32 v2, v2, v124
	s_delay_alu instid0(VALU_DEP_1) | instskip(NEXT) | instid1(VALU_DEP_1)
	v_dual_mul_f32 v1, v8, v4 :: v_dual_add_f32 v2, v2, v125
	v_fma_f32 v156, v7, v3, -v1
	s_delay_alu instid0(VALU_DEP_2) | instskip(NEXT) | instid1(VALU_DEP_1)
	v_dual_add_f32 v1, 0, v22 :: v_dual_add_f32 v2, v2, v15
	v_add_f32_e32 v1, v1, v24
	s_delay_alu instid0(VALU_DEP_2) | instskip(NEXT) | instid1(VALU_DEP_2)
	v_add_f32_e32 v5, v2, v18
	v_add_f32_e32 v1, v1, v120
	s_delay_alu instid0(VALU_DEP_1) | instskip(NEXT) | instid1(VALU_DEP_1)
	v_add_f32_e32 v1, v1, v121
	v_add_f32_e32 v1, v1, v122
	s_delay_alu instid0(VALU_DEP_1) | instskip(NEXT) | instid1(VALU_DEP_1)
	v_add_f32_e32 v1, v1, v123
	v_add_f32_e32 v1, v1, v13
	;; [unrolled: 1-line block ×3, first 2 shown]
	s_delay_alu instid0(VALU_DEP_2) | instskip(NEXT) | instid1(VALU_DEP_2)
	v_add_f32_e32 v1, v1, v14
	v_add_f32_e32 v13, v13, v20
	s_delay_alu instid0(VALU_DEP_2) | instskip(NEXT) | instid1(VALU_DEP_1)
	v_add_f32_e32 v1, v1, v16
	v_add_f32_e32 v1, v1, v17
	s_delay_alu instid0(VALU_DEP_1) | instskip(SKIP_4) | instid1(VALU_DEP_1)
	v_add_f32_e32 v6, v1, v126
	ds_load_b128 v[1:4], v21 offset:656
	v_add_f32_e32 v14, v6, v127
	scratch_load_b128 v[5:8], off, off offset:304
	v_dual_add_f32 v13, v13, v133 :: v_dual_add_f32 v14, v14, v135
	v_dual_add_f32 v18, v13, v134 :: v_dual_add_f32 v17, v14, v136
	ds_load_b128 v[13:16], v21 offset:672
	v_add_f32_e32 v18, v18, v137
	s_wait_loadcnt_dscnt 0x101
	v_mul_f32_e32 v22, v1, v10
	s_delay_alu instid0(VALU_DEP_2)
	v_add_f32_e32 v18, v18, v139
	v_mul_f32_e32 v10, v2, v10
	v_mul_f32_e32 v120, v3, v12
	;; [unrolled: 1-line block ×3, first 2 shown]
	v_fmac_f32_e32 v22, v2, v9
	v_add_f32_e32 v24, v18, v141
	v_fma_f32 v121, v1, v9, -v10
	v_fmac_f32_e32 v120, v4, v11
	v_fma_f32 v122, v3, v11, -v12
	scratch_load_b128 v[1:4], off, off offset:320
	v_dual_add_f32 v24, v24, v143 :: v_dual_add_f32 v17, v17, v138
	scratch_load_b128 v[9:12], off, off offset:336
	s_wait_loadcnt_dscnt 0x200
	v_dual_add_f32 v24, v24, v145 :: v_dual_mul_f32 v123, v13, v6
	v_mul_f32_e32 v124, v15, v8
	v_add_f32_e32 v17, v17, v140
	v_mul_f32_e32 v8, v16, v8
	v_mul_f32_e32 v6, v14, v6
	s_delay_alu instid0(VALU_DEP_4) | instskip(NEXT) | instid1(VALU_DEP_4)
	v_dual_fmac_f32 v123, v14, v5 :: v_dual_fmac_f32 v124, v16, v7
	v_add_f32_e32 v17, v17, v142
	s_delay_alu instid0(VALU_DEP_4) | instskip(NEXT) | instid1(VALU_DEP_4)
	v_fma_f32 v126, v15, v7, -v8
	v_fma_f32 v125, v13, v5, -v6
	ds_load_b128 v[5:8], v21 offset:688
	v_add_f32_e32 v25, v17, v144
	scratch_load_b128 v[17:20], off, off offset:352
	v_add_f32_e32 v25, v25, v146
	s_delay_alu instid0(VALU_DEP_1) | instskip(NEXT) | instid1(VALU_DEP_1)
	v_add_f32_e32 v25, v25, v148
	v_dual_add_f32 v13, v24, v147 :: v_dual_add_f32 v24, v25, v150
	s_delay_alu instid0(VALU_DEP_1)
	v_add_f32_e32 v25, v13, v149
	ds_load_b128 v[13:16], v21 offset:704
	v_dual_add_f32 v127, v24, v152 :: v_dual_add_f32 v130, v25, v151
	ds_load_b128 v[24:27], v21 offset:720
	v_add_f32_e32 v21, v127, v154
	s_wait_loadcnt_dscnt 0x202
	v_dual_add_f32 v127, v130, v153 :: v_dual_mul_f32 v130, v5, v2
	s_delay_alu instid0(VALU_DEP_1) | instskip(NEXT) | instid1(VALU_DEP_2)
	v_dual_mul_f32 v2, v6, v2 :: v_dual_add_f32 v127, v127, v155
	v_fmac_f32_e32 v130, v6, v1
	s_delay_alu instid0(VALU_DEP_2) | instskip(NEXT) | instid1(VALU_DEP_3)
	v_fma_f32 v2, v5, v1, -v2
	v_add_f32_e32 v22, v127, v22
	s_wait_loadcnt_dscnt 0x101
	v_mul_f32_e32 v127, v13, v10
	v_mul_f32_e32 v6, v14, v10
	s_delay_alu instid0(VALU_DEP_3) | instskip(NEXT) | instid1(VALU_DEP_1)
	v_add_f32_e32 v22, v22, v120
	v_dual_add_f32 v21, v21, v156 :: v_dual_add_f32 v22, v22, v123
	s_delay_alu instid0(VALU_DEP_1) | instskip(SKIP_4) | instid1(VALU_DEP_1)
	v_add_f32_e32 v21, v21, v121
	v_mul_f32_e32 v121, v7, v4
	v_mul_f32_e32 v4, v8, v4
	s_wait_loadcnt_dscnt 0x0
	v_dual_mul_f32 v120, v24, v18 :: v_dual_add_f32 v5, v22, v124
	v_dual_fmac_f32 v120, v25, v17 :: v_dual_fmac_f32 v121, v8, v3
	v_add_f32_e32 v21, v21, v122
	v_fma_f32 v3, v7, v3, -v4
	v_dual_mul_f32 v4, v16, v12 :: v_dual_fmac_f32 v127, v14, v9
	v_mul_f32_e32 v131, v15, v12
	s_delay_alu instid0(VALU_DEP_4) | instskip(NEXT) | instid1(VALU_DEP_3)
	v_dual_add_f32 v21, v21, v125 :: v_dual_mul_f32 v122, v26, v20
	v_fma_f32 v4, v15, v11, -v4
	s_delay_alu instid0(VALU_DEP_2) | instskip(NEXT) | instid1(VALU_DEP_1)
	v_dual_add_f32 v1, v21, v126 :: v_dual_fmac_f32 v122, v27, v19
	v_add_f32_e32 v1, v1, v2
	v_dual_add_f32 v2, v5, v130 :: v_dual_fmac_f32 v131, v16, v11
	v_fma_f32 v5, v13, v9, -v6
	s_delay_alu instid0(VALU_DEP_2) | instskip(NEXT) | instid1(VALU_DEP_1)
	v_add_f32_e32 v2, v2, v121
	v_add_f32_e32 v2, v2, v127
	s_delay_alu instid0(VALU_DEP_1) | instskip(NEXT) | instid1(VALU_DEP_1)
	v_add_f32_e32 v2, v2, v131
	v_dual_add_f32 v2, v2, v120 :: v_dual_add_f32 v1, v1, v3
	v_mul_f32_e32 v3, v25, v18
	s_delay_alu instid0(VALU_DEP_2) | instskip(SKIP_1) | instid1(VALU_DEP_3)
	v_dual_add_f32 v2, v2, v122 :: v_dual_add_f32 v1, v1, v5
	v_mul_f32_e32 v5, v27, v20
	v_fma_f32 v3, v24, v17, -v3
	s_delay_alu instid0(VALU_DEP_3) | instskip(NEXT) | instid1(VALU_DEP_4)
	v_sub_f32_e32 v2, v129, v2
	v_add_f32_e32 v1, v1, v4
	s_delay_alu instid0(VALU_DEP_4) | instskip(NEXT) | instid1(VALU_DEP_2)
	v_fma_f32 v4, v26, v19, -v5
	v_add_f32_e32 v1, v1, v3
	s_delay_alu instid0(VALU_DEP_1) | instskip(NEXT) | instid1(VALU_DEP_1)
	v_add_f32_e32 v1, v1, v4
	v_sub_f32_e32 v1, v128, v1
	scratch_store_b64 off, v[1:2], off offset:88
	v_cmpx_lt_u32_e32 10, v0
	s_cbranch_execz .LBB45_269
; %bb.268:
	scratch_load_b64 v[1:2], off, off offset:80
	v_mov_b32_e32 v3, 0
	s_delay_alu instid0(VALU_DEP_1)
	v_mov_b32_e32 v4, v3
	scratch_store_b64 off, v[3:4], off offset:80
	s_wait_loadcnt 0x0
	ds_store_b64 v23, v[1:2]
.LBB45_269:
	s_wait_alu 0xfffe
	s_or_b32 exec_lo, exec_lo, s0
	s_wait_storecnt_dscnt 0x0
	s_barrier_signal -1
	s_barrier_wait -1
	global_inv scope:SCOPE_SE
	s_clause 0x4
	scratch_load_b128 v[5:8], off, off offset:88
	scratch_load_b128 v[1:4], off, off offset:104
	;; [unrolled: 1-line block ×5, first 2 shown]
	v_mov_b32_e32 v21, 0
	ds_load_2addr_b64 v[24:27], v21 offset0:57 offset1:58
	ds_load_2addr_b64 v[120:123], v21 offset0:59 offset1:60
	;; [unrolled: 1-line block ×3, first 2 shown]
	scratch_load_b64 v[128:129], off, off offset:80
	s_mov_b32 s0, exec_lo
	s_wait_loadcnt_dscnt 0x502
	v_mul_f32_e32 v22, v25, v6
	v_dual_mul_f32 v130, v24, v6 :: v_dual_mul_f32 v131, v26, v8
	v_mul_f32_e32 v6, v27, v8
	s_delay_alu instid0(VALU_DEP_3) | instskip(NEXT) | instid1(VALU_DEP_3)
	v_fma_f32 v22, v24, v5, -v22
	v_dual_fmac_f32 v130, v25, v5 :: v_dual_fmac_f32 v131, v27, v7
	s_wait_loadcnt_dscnt 0x401
	v_mul_f32_e32 v25, v120, v2
	v_fma_f32 v24, v26, v7, -v6
	ds_load_2addr_b64 v[5:8], v21 offset0:63 offset1:64
	s_wait_loadcnt_dscnt 0x301
	v_dual_mul_f32 v26, v122, v4 :: v_dual_mul_f32 v27, v124, v10
	v_dual_mul_f32 v4, v123, v4 :: v_dual_fmac_f32 v25, v121, v1
	v_mul_f32_e32 v10, v125, v10
	s_delay_alu instid0(VALU_DEP_3)
	v_dual_mul_f32 v132, v126, v12 :: v_dual_fmac_f32 v27, v125, v9
	v_mul_f32_e32 v12, v127, v12
	v_mul_f32_e32 v2, v121, v2
	v_fmac_f32_e32 v26, v123, v3
	v_fma_f32 v121, v122, v3, -v4
	v_fma_f32 v122, v124, v9, -v10
	v_fmac_f32_e32 v132, v127, v11
	v_fma_f32 v123, v126, v11, -v12
	ds_load_2addr_b64 v[9:12], v21 offset0:65 offset1:66
	s_wait_loadcnt_dscnt 0x201
	v_mul_f32_e32 v125, v7, v16
	v_fma_f32 v120, v120, v1, -v2
	scratch_load_b128 v[1:4], off, off offset:168
	v_mul_f32_e32 v124, v5, v14
	v_mul_f32_e32 v14, v6, v14
	;; [unrolled: 1-line block ×3, first 2 shown]
	s_delay_alu instid0(VALU_DEP_3) | instskip(NEXT) | instid1(VALU_DEP_3)
	v_dual_fmac_f32 v125, v8, v15 :: v_dual_fmac_f32 v124, v6, v13
	v_fma_f32 v13, v5, v13, -v14
	s_delay_alu instid0(VALU_DEP_3)
	v_fma_f32 v14, v7, v15, -v16
	ds_load_2addr_b64 v[5:8], v21 offset0:67 offset1:68
	s_wait_loadcnt_dscnt 0x201
	v_mul_f32_e32 v15, v9, v18
	v_mul_f32_e32 v16, v10, v18
	;; [unrolled: 1-line block ×3, first 2 shown]
	s_delay_alu instid0(VALU_DEP_3) | instskip(NEXT) | instid1(VALU_DEP_3)
	v_dual_mul_f32 v20, v12, v20 :: v_dual_fmac_f32 v15, v10, v17
	v_fma_f32 v16, v9, v17, -v16
	s_delay_alu instid0(VALU_DEP_3) | instskip(NEXT) | instid1(VALU_DEP_3)
	v_fmac_f32_e32 v18, v12, v19
	v_fma_f32 v17, v11, v19, -v20
	scratch_load_b128 v[9:12], off, off offset:184
	s_wait_loadcnt_dscnt 0x100
	v_mul_f32_e32 v19, v5, v2
	v_mul_f32_e32 v2, v6, v2
	;; [unrolled: 1-line block ×3, first 2 shown]
	s_delay_alu instid0(VALU_DEP_3) | instskip(NEXT) | instid1(VALU_DEP_3)
	v_dual_mul_f32 v4, v8, v4 :: v_dual_fmac_f32 v19, v6, v1
	v_fma_f32 v126, v5, v1, -v2
	s_delay_alu instid0(VALU_DEP_3) | instskip(NEXT) | instid1(VALU_DEP_3)
	v_fmac_f32_e32 v20, v8, v3
	v_fma_f32 v127, v7, v3, -v4
	ds_load_2addr_b64 v[1:4], v21 offset0:69 offset1:70
	ds_load_2addr_b64 v[5:8], v21 offset0:71 offset1:72
	s_wait_loadcnt_dscnt 0x1
	v_mul_f32_e32 v133, v1, v10
	v_mul_f32_e32 v10, v2, v10
	s_delay_alu instid0(VALU_DEP_2) | instskip(NEXT) | instid1(VALU_DEP_2)
	v_dual_mul_f32 v134, v3, v12 :: v_dual_fmac_f32 v133, v2, v9
	v_fma_f32 v135, v1, v9, -v10
	v_mul_f32_e32 v1, v4, v12
	s_delay_alu instid0(VALU_DEP_3) | instskip(NEXT) | instid1(VALU_DEP_2)
	v_fmac_f32_e32 v134, v4, v11
	v_fma_f32 v136, v3, v11, -v1
	s_clause 0x1
	scratch_load_b128 v[1:4], off, off offset:200
	scratch_load_b128 v[9:12], off, off offset:216
	s_wait_loadcnt_dscnt 0x100
	v_mul_f32_e32 v137, v5, v2
	v_dual_mul_f32 v2, v6, v2 :: v_dual_mul_f32 v139, v7, v4
	s_delay_alu instid0(VALU_DEP_2) | instskip(NEXT) | instid1(VALU_DEP_2)
	v_fmac_f32_e32 v137, v6, v1
	v_fma_f32 v138, v5, v1, -v2
	v_mul_f32_e32 v1, v8, v4
	s_delay_alu instid0(VALU_DEP_4) | instskip(NEXT) | instid1(VALU_DEP_2)
	v_fmac_f32_e32 v139, v8, v3
	v_fma_f32 v140, v7, v3, -v1
	ds_load_2addr_b64 v[1:4], v21 offset0:73 offset1:74
	ds_load_2addr_b64 v[5:8], v21 offset0:75 offset1:76
	s_wait_loadcnt_dscnt 0x1
	v_mul_f32_e32 v141, v1, v10
	v_mul_f32_e32 v143, v3, v12
	s_delay_alu instid0(VALU_DEP_2) | instskip(NEXT) | instid1(VALU_DEP_2)
	v_fmac_f32_e32 v141, v2, v9
	v_dual_mul_f32 v2, v2, v10 :: v_dual_fmac_f32 v143, v4, v11
	s_delay_alu instid0(VALU_DEP_1) | instskip(SKIP_1) | instid1(VALU_DEP_1)
	v_fma_f32 v142, v1, v9, -v2
	v_mul_f32_e32 v1, v4, v12
	v_fma_f32 v144, v3, v11, -v1
	s_clause 0x1
	scratch_load_b128 v[1:4], off, off offset:232
	scratch_load_b128 v[9:12], off, off offset:248
	s_wait_loadcnt_dscnt 0x100
	v_mul_f32_e32 v145, v5, v2
	v_dual_mul_f32 v147, v7, v4 :: v_dual_mul_f32 v2, v6, v2
	s_delay_alu instid0(VALU_DEP_2) | instskip(NEXT) | instid1(VALU_DEP_2)
	v_fmac_f32_e32 v145, v6, v1
	v_fmac_f32_e32 v147, v8, v3
	s_delay_alu instid0(VALU_DEP_3) | instskip(SKIP_1) | instid1(VALU_DEP_1)
	v_fma_f32 v146, v5, v1, -v2
	v_mul_f32_e32 v1, v8, v4
	v_fma_f32 v148, v7, v3, -v1
	ds_load_2addr_b64 v[1:4], v21 offset0:77 offset1:78
	ds_load_2addr_b64 v[5:8], v21 offset0:79 offset1:80
	s_wait_loadcnt_dscnt 0x1
	v_mul_f32_e32 v149, v1, v10
	v_mul_f32_e32 v151, v3, v12
	s_delay_alu instid0(VALU_DEP_2) | instskip(NEXT) | instid1(VALU_DEP_2)
	v_fmac_f32_e32 v149, v2, v9
	v_dual_mul_f32 v2, v2, v10 :: v_dual_fmac_f32 v151, v4, v11
	s_delay_alu instid0(VALU_DEP_1) | instskip(SKIP_1) | instid1(VALU_DEP_1)
	v_fma_f32 v150, v1, v9, -v2
	v_mul_f32_e32 v1, v4, v12
	v_fma_f32 v152, v3, v11, -v1
	s_clause 0x1
	scratch_load_b128 v[1:4], off, off offset:264
	scratch_load_b128 v[9:12], off, off offset:280
	s_wait_loadcnt_dscnt 0x100
	v_mul_f32_e32 v153, v5, v2
	v_mul_f32_e32 v2, v6, v2
	s_delay_alu instid0(VALU_DEP_1) | instskip(SKIP_1) | instid1(VALU_DEP_1)
	v_fma_f32 v154, v5, v1, -v2
	v_add_f32_e32 v2, 0, v130
	v_add_f32_e32 v2, v2, v131
	s_delay_alu instid0(VALU_DEP_1) | instskip(NEXT) | instid1(VALU_DEP_1)
	v_add_f32_e32 v2, v2, v25
	v_add_f32_e32 v2, v2, v26
	s_delay_alu instid0(VALU_DEP_1) | instskip(SKIP_1) | instid1(VALU_DEP_2)
	v_add_f32_e32 v2, v2, v27
	v_fmac_f32_e32 v153, v6, v1
	v_add_f32_e32 v2, v2, v132
	s_delay_alu instid0(VALU_DEP_1) | instskip(NEXT) | instid1(VALU_DEP_1)
	v_add_f32_e32 v2, v2, v124
	v_dual_mul_f32 v155, v7, v4 :: v_dual_add_f32 v2, v2, v125
	s_delay_alu instid0(VALU_DEP_1) | instskip(NEXT) | instid1(VALU_DEP_1)
	v_dual_mul_f32 v1, v8, v4 :: v_dual_add_f32 v2, v2, v15
	v_fma_f32 v156, v7, v3, -v1
	v_add_f32_e32 v1, 0, v22
	s_delay_alu instid0(VALU_DEP_3) | instskip(NEXT) | instid1(VALU_DEP_2)
	v_add_f32_e32 v5, v2, v18
	v_add_f32_e32 v1, v1, v24
	s_delay_alu instid0(VALU_DEP_1) | instskip(NEXT) | instid1(VALU_DEP_1)
	v_add_f32_e32 v1, v1, v120
	v_add_f32_e32 v1, v1, v121
	scratch_load_b64 v[120:121], off, off offset:360
	v_add_f32_e32 v1, v1, v122
	s_delay_alu instid0(VALU_DEP_1) | instskip(NEXT) | instid1(VALU_DEP_1)
	v_add_f32_e32 v1, v1, v123
	v_add_f32_e32 v1, v1, v13
	;; [unrolled: 1-line block ×3, first 2 shown]
	s_delay_alu instid0(VALU_DEP_2) | instskip(NEXT) | instid1(VALU_DEP_2)
	v_add_f32_e32 v1, v1, v14
	v_add_f32_e32 v13, v13, v20
	s_delay_alu instid0(VALU_DEP_2) | instskip(NEXT) | instid1(VALU_DEP_2)
	v_add_f32_e32 v1, v1, v16
	v_add_f32_e32 v13, v13, v133
	v_fmac_f32_e32 v155, v8, v3
	s_delay_alu instid0(VALU_DEP_3) | instskip(NEXT) | instid1(VALU_DEP_3)
	v_add_f32_e32 v1, v1, v17
	v_add_f32_e32 v18, v13, v134
	s_delay_alu instid0(VALU_DEP_2)
	v_add_f32_e32 v6, v1, v126
	scratch_load_b128 v[1:4], off, off offset:296
	v_add_f32_e32 v18, v18, v137
	v_add_f32_e32 v14, v6, v127
	ds_load_2addr_b64 v[5:8], v21 offset0:81 offset1:82
	v_add_f32_e32 v18, v18, v139
	v_add_f32_e32 v14, v14, v135
	s_delay_alu instid0(VALU_DEP_2) | instskip(NEXT) | instid1(VALU_DEP_2)
	v_add_f32_e32 v24, v18, v141
	v_add_f32_e32 v17, v14, v136
	ds_load_2addr_b64 v[13:16], v21 offset0:83 offset1:84
	v_add_f32_e32 v24, v24, v143
	s_delay_alu instid0(VALU_DEP_1)
	v_add_f32_e32 v24, v24, v145
	s_wait_loadcnt_dscnt 0x201
	v_mul_f32_e32 v22, v5, v10
	v_mul_f32_e32 v10, v6, v10
	;; [unrolled: 1-line block ×3, first 2 shown]
	v_dual_mul_f32 v12, v8, v12 :: v_dual_add_f32 v17, v17, v138
	s_delay_alu instid0(VALU_DEP_4) | instskip(NEXT) | instid1(VALU_DEP_4)
	v_fmac_f32_e32 v22, v6, v9
	v_fma_f32 v125, v5, v9, -v10
	s_delay_alu instid0(VALU_DEP_4) | instskip(NEXT) | instid1(VALU_DEP_4)
	v_fmac_f32_e32 v124, v8, v11
	v_fma_f32 v126, v7, v11, -v12
	s_clause 0x1
	scratch_load_b128 v[5:8], off, off offset:312
	scratch_load_b128 v[9:12], off, off offset:328
	v_dual_add_f32 v17, v17, v140 :: v_dual_add_f32 v24, v24, v147
	s_wait_loadcnt_dscnt 0x200
	s_delay_alu instid0(VALU_DEP_1) | instskip(NEXT) | instid1(VALU_DEP_1)
	v_dual_add_f32 v17, v17, v142 :: v_dual_mul_f32 v130, v15, v4
	v_add_f32_e32 v25, v17, v144
	scratch_load_b128 v[17:20], off, off offset:344
	v_mul_f32_e32 v127, v13, v2
	v_mul_f32_e32 v2, v14, v2
	v_dual_fmac_f32 v130, v16, v3 :: v_dual_add_f32 v25, v25, v146
	v_mul_f32_e32 v4, v16, v4
	s_delay_alu instid0(VALU_DEP_3) | instskip(SKIP_1) | instid1(VALU_DEP_4)
	v_fma_f32 v131, v13, v1, -v2
	v_add_f32_e32 v13, v24, v149
	v_add_f32_e32 v25, v25, v148
	s_delay_alu instid0(VALU_DEP_4) | instskip(NEXT) | instid1(VALU_DEP_3)
	v_fma_f32 v132, v15, v3, -v4
	v_add_f32_e32 v24, v13, v151
	s_delay_alu instid0(VALU_DEP_1) | instskip(NEXT) | instid1(VALU_DEP_1)
	v_add_f32_e32 v123, v24, v153
	v_add_f32_e32 v134, v123, v155
	s_delay_alu instid0(VALU_DEP_1) | instskip(NEXT) | instid1(VALU_DEP_1)
	v_add_f32_e32 v22, v134, v22
	v_dual_add_f32 v25, v25, v150 :: v_dual_add_f32 v22, v22, v124
	s_delay_alu instid0(VALU_DEP_1)
	v_dual_fmac_f32 v127, v14, v1 :: v_dual_add_f32 v14, v25, v152
	ds_load_2addr_b64 v[1:4], v21 offset0:85 offset1:86
	ds_load_2addr_b64 v[24:27], v21 offset0:89 offset1:90
	v_add_f32_e32 v22, v22, v127
	v_add_f32_e32 v122, v14, v154
	ds_load_2addr_b64 v[13:16], v21 offset0:87 offset1:88
	v_add_f32_e32 v22, v22, v130
	v_add_f32_e32 v133, v122, v156
	ds_load_b64 v[122:123], v21 offset:728
	s_wait_loadcnt_dscnt 0x203
	v_dual_add_f32 v125, v133, v125 :: v_dual_mul_f32 v124, v3, v8
	s_delay_alu instid0(VALU_DEP_1)
	v_add_f32_e32 v125, v125, v126
	v_dual_mul_f32 v133, v1, v6 :: v_dual_mul_f32 v8, v4, v8
	v_mul_f32_e32 v6, v2, v6
	s_wait_loadcnt_dscnt 0x101
	v_dual_mul_f32 v126, v13, v10 :: v_dual_mul_f32 v127, v15, v12
	v_add_f32_e32 v125, v125, v131
	v_dual_fmac_f32 v133, v2, v5 :: v_dual_fmac_f32 v124, v4, v7
	v_fma_f32 v1, v1, v5, -v6
	v_fma_f32 v2, v3, v7, -v8
	s_delay_alu instid0(VALU_DEP_3) | instskip(SKIP_2) | instid1(VALU_DEP_3)
	v_dual_add_f32 v125, v125, v132 :: v_dual_add_f32 v4, v22, v133
	v_dual_mul_f32 v5, v16, v12 :: v_dual_fmac_f32 v126, v14, v9
	v_mul_f32_e32 v3, v14, v10
	v_add_f32_e32 v1, v125, v1
	s_wait_dscnt 0x0
	v_dual_fmac_f32 v127, v16, v11 :: v_dual_mul_f32 v130, v122, v121
	v_fma_f32 v5, v15, v11, -v5
	s_delay_alu instid0(VALU_DEP_3) | instskip(SKIP_1) | instid1(VALU_DEP_4)
	v_dual_add_f32 v1, v1, v2 :: v_dual_add_f32 v2, v4, v124
	v_fma_f32 v3, v13, v9, -v3
	v_fmac_f32_e32 v130, v123, v120
	s_delay_alu instid0(VALU_DEP_2) | instskip(SKIP_1) | instid1(VALU_DEP_1)
	v_dual_add_f32 v2, v2, v126 :: v_dual_add_f32 v1, v1, v3
	s_wait_loadcnt 0x0
	v_dual_add_f32 v2, v2, v127 :: v_dual_mul_f32 v3, v27, v20
	v_mul_f32_e32 v131, v24, v18
	v_mul_f32_e32 v4, v25, v18
	;; [unrolled: 1-line block ×3, first 2 shown]
	s_delay_alu instid0(VALU_DEP_4) | instskip(NEXT) | instid1(VALU_DEP_4)
	v_fma_f32 v3, v26, v19, -v3
	v_fmac_f32_e32 v131, v25, v17
	s_delay_alu instid0(VALU_DEP_4) | instskip(NEXT) | instid1(VALU_DEP_4)
	v_fma_f32 v4, v24, v17, -v4
	v_dual_fmac_f32 v132, v27, v19 :: v_dual_add_f32 v1, v1, v5
	s_delay_alu instid0(VALU_DEP_3) | instskip(NEXT) | instid1(VALU_DEP_1)
	v_dual_add_f32 v2, v2, v131 :: v_dual_mul_f32 v5, v123, v121
	v_add_f32_e32 v2, v2, v132
	s_delay_alu instid0(VALU_DEP_3) | instskip(NEXT) | instid1(VALU_DEP_3)
	v_add_f32_e32 v1, v1, v4
	v_fma_f32 v4, v122, v120, -v5
	s_delay_alu instid0(VALU_DEP_2) | instskip(NEXT) | instid1(VALU_DEP_1)
	v_dual_add_f32 v2, v2, v130 :: v_dual_add_f32 v1, v1, v3
	v_sub_f32_e32 v2, v129, v2
	s_delay_alu instid0(VALU_DEP_2) | instskip(NEXT) | instid1(VALU_DEP_1)
	v_add_f32_e32 v1, v1, v4
	v_sub_f32_e32 v1, v128, v1
	scratch_store_b64 off, v[1:2], off offset:80
	v_cmpx_lt_u32_e32 9, v0
	s_cbranch_execz .LBB45_271
; %bb.270:
	scratch_load_b64 v[1:2], off, off offset:72
	v_mov_b32_e32 v22, v21
	scratch_store_b64 off, v[21:22], off offset:72
	s_wait_loadcnt 0x0
	ds_store_b64 v23, v[1:2]
.LBB45_271:
	s_wait_alu 0xfffe
	s_or_b32 exec_lo, exec_lo, s0
	s_wait_storecnt_dscnt 0x0
	s_barrier_signal -1
	s_barrier_wait -1
	global_inv scope:SCOPE_SE
	s_clause 0x4
	scratch_load_b128 v[5:8], off, off offset:80
	scratch_load_b128 v[1:4], off, off offset:96
	;; [unrolled: 1-line block ×5, first 2 shown]
	ds_load_b128 v[24:27], v21 offset:448
	ds_load_b128 v[120:123], v21 offset:464
	;; [unrolled: 1-line block ×3, first 2 shown]
	scratch_load_b64 v[128:129], off, off offset:72
	s_mov_b32 s0, exec_lo
	s_wait_loadcnt_dscnt 0x502
	v_dual_mul_f32 v22, v25, v6 :: v_dual_mul_f32 v131, v26, v8
	v_mul_f32_e32 v130, v24, v6
	v_mul_f32_e32 v6, v27, v8
	s_wait_loadcnt_dscnt 0x300
	v_mul_f32_e32 v132, v126, v12
	v_fma_f32 v22, v24, v5, -v22
	v_dual_fmac_f32 v131, v27, v7 :: v_dual_fmac_f32 v130, v25, v5
	v_mul_f32_e32 v27, v124, v10
	v_mul_f32_e32 v25, v120, v2
	v_fma_f32 v24, v26, v7, -v6
	ds_load_b128 v[5:8], v21 offset:496
	v_mul_f32_e32 v26, v122, v4
	v_dual_mul_f32 v4, v123, v4 :: v_dual_fmac_f32 v27, v125, v9
	v_mul_f32_e32 v10, v125, v10
	v_mul_f32_e32 v12, v127, v12
	;; [unrolled: 1-line block ×3, first 2 shown]
	v_dual_fmac_f32 v25, v121, v1 :: v_dual_fmac_f32 v26, v123, v3
	v_fma_f32 v121, v122, v3, -v4
	v_fma_f32 v122, v124, v9, -v10
	v_fmac_f32_e32 v132, v127, v11
	v_fma_f32 v123, v126, v11, -v12
	ds_load_b128 v[9:12], v21 offset:512
	s_wait_loadcnt_dscnt 0x201
	v_mul_f32_e32 v125, v7, v16
	v_fma_f32 v120, v120, v1, -v2
	scratch_load_b128 v[1:4], off, off offset:160
	v_mul_f32_e32 v124, v5, v14
	v_mul_f32_e32 v14, v6, v14
	;; [unrolled: 1-line block ×3, first 2 shown]
	s_delay_alu instid0(VALU_DEP_3) | instskip(NEXT) | instid1(VALU_DEP_3)
	v_dual_fmac_f32 v125, v8, v15 :: v_dual_fmac_f32 v124, v6, v13
	v_fma_f32 v13, v5, v13, -v14
	s_delay_alu instid0(VALU_DEP_3)
	v_fma_f32 v14, v7, v15, -v16
	ds_load_b128 v[5:8], v21 offset:528
	s_wait_loadcnt_dscnt 0x201
	v_mul_f32_e32 v15, v9, v18
	v_mul_f32_e32 v16, v10, v18
	;; [unrolled: 1-line block ×3, first 2 shown]
	s_delay_alu instid0(VALU_DEP_3) | instskip(NEXT) | instid1(VALU_DEP_3)
	v_dual_mul_f32 v20, v12, v20 :: v_dual_fmac_f32 v15, v10, v17
	v_fma_f32 v16, v9, v17, -v16
	s_delay_alu instid0(VALU_DEP_3) | instskip(NEXT) | instid1(VALU_DEP_3)
	v_fmac_f32_e32 v18, v12, v19
	v_fma_f32 v17, v11, v19, -v20
	scratch_load_b128 v[9:12], off, off offset:176
	s_wait_loadcnt_dscnt 0x100
	v_mul_f32_e32 v19, v5, v2
	v_mul_f32_e32 v2, v6, v2
	;; [unrolled: 1-line block ×3, first 2 shown]
	s_delay_alu instid0(VALU_DEP_3) | instskip(NEXT) | instid1(VALU_DEP_3)
	v_dual_mul_f32 v4, v8, v4 :: v_dual_fmac_f32 v19, v6, v1
	v_fma_f32 v126, v5, v1, -v2
	s_delay_alu instid0(VALU_DEP_3) | instskip(NEXT) | instid1(VALU_DEP_3)
	v_fmac_f32_e32 v20, v8, v3
	v_fma_f32 v127, v7, v3, -v4
	ds_load_b128 v[1:4], v21 offset:544
	ds_load_b128 v[5:8], v21 offset:560
	s_wait_loadcnt_dscnt 0x1
	v_mul_f32_e32 v133, v1, v10
	v_mul_f32_e32 v10, v2, v10
	s_delay_alu instid0(VALU_DEP_2) | instskip(NEXT) | instid1(VALU_DEP_2)
	v_dual_mul_f32 v134, v3, v12 :: v_dual_fmac_f32 v133, v2, v9
	v_fma_f32 v135, v1, v9, -v10
	v_mul_f32_e32 v1, v4, v12
	s_delay_alu instid0(VALU_DEP_3) | instskip(NEXT) | instid1(VALU_DEP_2)
	v_fmac_f32_e32 v134, v4, v11
	v_fma_f32 v136, v3, v11, -v1
	s_clause 0x1
	scratch_load_b128 v[1:4], off, off offset:192
	scratch_load_b128 v[9:12], off, off offset:208
	s_wait_loadcnt_dscnt 0x100
	v_mul_f32_e32 v137, v5, v2
	v_dual_mul_f32 v2, v6, v2 :: v_dual_mul_f32 v139, v7, v4
	s_delay_alu instid0(VALU_DEP_2) | instskip(NEXT) | instid1(VALU_DEP_2)
	v_fmac_f32_e32 v137, v6, v1
	v_fma_f32 v138, v5, v1, -v2
	v_mul_f32_e32 v1, v8, v4
	s_delay_alu instid0(VALU_DEP_4) | instskip(NEXT) | instid1(VALU_DEP_2)
	v_fmac_f32_e32 v139, v8, v3
	v_fma_f32 v140, v7, v3, -v1
	ds_load_b128 v[1:4], v21 offset:576
	ds_load_b128 v[5:8], v21 offset:592
	s_wait_loadcnt_dscnt 0x1
	v_mul_f32_e32 v141, v1, v10
	v_mul_f32_e32 v143, v3, v12
	s_delay_alu instid0(VALU_DEP_2) | instskip(NEXT) | instid1(VALU_DEP_2)
	v_fmac_f32_e32 v141, v2, v9
	v_dual_mul_f32 v2, v2, v10 :: v_dual_fmac_f32 v143, v4, v11
	s_delay_alu instid0(VALU_DEP_1) | instskip(SKIP_1) | instid1(VALU_DEP_1)
	v_fma_f32 v142, v1, v9, -v2
	v_mul_f32_e32 v1, v4, v12
	v_fma_f32 v144, v3, v11, -v1
	s_clause 0x1
	scratch_load_b128 v[1:4], off, off offset:224
	scratch_load_b128 v[9:12], off, off offset:240
	s_wait_loadcnt_dscnt 0x100
	v_mul_f32_e32 v145, v5, v2
	v_dual_mul_f32 v2, v6, v2 :: v_dual_mul_f32 v147, v7, v4
	s_delay_alu instid0(VALU_DEP_2) | instskip(NEXT) | instid1(VALU_DEP_2)
	v_fmac_f32_e32 v145, v6, v1
	v_fma_f32 v146, v5, v1, -v2
	v_mul_f32_e32 v1, v8, v4
	s_delay_alu instid0(VALU_DEP_4) | instskip(NEXT) | instid1(VALU_DEP_2)
	v_fmac_f32_e32 v147, v8, v3
	v_fma_f32 v148, v7, v3, -v1
	ds_load_b128 v[1:4], v21 offset:608
	ds_load_b128 v[5:8], v21 offset:624
	s_wait_loadcnt_dscnt 0x1
	v_mul_f32_e32 v149, v1, v10
	v_mul_f32_e32 v151, v3, v12
	s_delay_alu instid0(VALU_DEP_2) | instskip(NEXT) | instid1(VALU_DEP_2)
	v_fmac_f32_e32 v149, v2, v9
	v_dual_mul_f32 v2, v2, v10 :: v_dual_fmac_f32 v151, v4, v11
	s_delay_alu instid0(VALU_DEP_1) | instskip(SKIP_1) | instid1(VALU_DEP_1)
	v_fma_f32 v150, v1, v9, -v2
	v_mul_f32_e32 v1, v4, v12
	;; [unrolled: 25-line block ×3, first 2 shown]
	v_fma_f32 v160, v3, v11, -v1
	s_clause 0x1
	scratch_load_b128 v[1:4], off, off offset:288
	scratch_load_b128 v[9:12], off, off offset:304
	s_wait_loadcnt_dscnt 0x100
	v_mul_f32_e32 v161, v5, v2
	v_mul_f32_e32 v2, v6, v2
	s_delay_alu instid0(VALU_DEP_1) | instskip(SKIP_1) | instid1(VALU_DEP_1)
	v_fma_f32 v162, v5, v1, -v2
	v_add_f32_e32 v2, 0, v130
	v_add_f32_e32 v2, v2, v131
	s_delay_alu instid0(VALU_DEP_1) | instskip(NEXT) | instid1(VALU_DEP_1)
	v_add_f32_e32 v2, v2, v25
	v_add_f32_e32 v2, v2, v26
	s_delay_alu instid0(VALU_DEP_1) | instskip(NEXT) | instid1(VALU_DEP_1)
	;; [unrolled: 3-line block ×4, first 2 shown]
	v_dual_add_f32 v2, v2, v15 :: v_dual_mul_f32 v163, v7, v4
	v_add_f32_e32 v2, v2, v18
	s_delay_alu instid0(VALU_DEP_1) | instskip(SKIP_2) | instid1(VALU_DEP_3)
	v_add_f32_e32 v2, v2, v19
	v_fmac_f32_e32 v161, v6, v1
	v_mul_f32_e32 v1, v8, v4
	v_dual_fmac_f32 v163, v8, v3 :: v_dual_add_f32 v2, v2, v20
	s_delay_alu instid0(VALU_DEP_2) | instskip(SKIP_1) | instid1(VALU_DEP_3)
	v_fma_f32 v164, v7, v3, -v1
	v_add_f32_e32 v1, 0, v22
	v_add_f32_e32 v5, v2, v133
	s_delay_alu instid0(VALU_DEP_2) | instskip(NEXT) | instid1(VALU_DEP_2)
	v_add_f32_e32 v1, v1, v24
	v_add_f32_e32 v5, v5, v134
	s_delay_alu instid0(VALU_DEP_2) | instskip(NEXT) | instid1(VALU_DEP_2)
	v_add_f32_e32 v1, v1, v120
	v_add_f32_e32 v5, v5, v137
	s_delay_alu instid0(VALU_DEP_2) | instskip(NEXT) | instid1(VALU_DEP_1)
	v_add_f32_e32 v1, v1, v121
	v_add_f32_e32 v1, v1, v122
	s_delay_alu instid0(VALU_DEP_1) | instskip(NEXT) | instid1(VALU_DEP_1)
	v_add_f32_e32 v1, v1, v123
	v_add_f32_e32 v1, v1, v13
	s_delay_alu instid0(VALU_DEP_1) | instskip(SKIP_1) | instid1(VALU_DEP_1)
	v_add_f32_e32 v1, v1, v14
	v_add_f32_e32 v14, v5, v139
	;; [unrolled: 1-line block ×3, first 2 shown]
	s_delay_alu instid0(VALU_DEP_1) | instskip(NEXT) | instid1(VALU_DEP_1)
	v_dual_add_f32 v14, v14, v143 :: v_dual_add_f32 v1, v1, v16
	v_add_f32_e32 v1, v1, v17
	s_delay_alu instid0(VALU_DEP_2) | instskip(NEXT) | instid1(VALU_DEP_2)
	v_add_f32_e32 v17, v14, v145
	v_add_f32_e32 v1, v1, v126
	s_delay_alu instid0(VALU_DEP_2) | instskip(NEXT) | instid1(VALU_DEP_2)
	v_add_f32_e32 v17, v17, v147
	;; [unrolled: 3-line block ×4, first 2 shown]
	v_add_f32_e32 v6, v1, v136
	ds_load_b128 v[1:4], v21 offset:672
	v_dual_add_f32 v25, v17, v153 :: v_dual_add_f32 v6, v6, v138
	s_delay_alu instid0(VALU_DEP_1)
	v_dual_add_f32 v124, v25, v155 :: v_dual_add_f32 v13, v6, v140
	ds_load_b128 v[5:8], v21 offset:688
	s_wait_loadcnt_dscnt 0x1
	v_mul_f32_e32 v22, v1, v10
	v_mul_f32_e32 v120, v3, v12
	v_mul_f32_e32 v10, v2, v10
	v_mul_f32_e32 v12, v4, v12
	s_delay_alu instid0(VALU_DEP_4) | instskip(NEXT) | instid1(VALU_DEP_4)
	v_fmac_f32_e32 v22, v2, v9
	v_fmac_f32_e32 v120, v4, v11
	s_delay_alu instid0(VALU_DEP_4) | instskip(NEXT) | instid1(VALU_DEP_4)
	v_fma_f32 v121, v1, v9, -v10
	v_fma_f32 v122, v3, v11, -v12
	s_clause 0x1
	scratch_load_b128 v[1:4], off, off offset:320
	scratch_load_b128 v[9:12], off, off offset:336
	v_add_f32_e32 v13, v13, v142
	s_delay_alu instid0(VALU_DEP_1) | instskip(NEXT) | instid1(VALU_DEP_1)
	v_add_f32_e32 v13, v13, v144
	v_add_f32_e32 v13, v13, v146
	s_delay_alu instid0(VALU_DEP_1) | instskip(SKIP_2) | instid1(VALU_DEP_1)
	v_add_f32_e32 v18, v13, v148
	scratch_load_b128 v[13:16], off, off offset:352
	v_add_f32_e32 v18, v18, v150
	v_add_f32_e32 v18, v18, v152
	s_delay_alu instid0(VALU_DEP_1)
	v_add_f32_e32 v24, v18, v154
	ds_load_b128 v[17:20], v21 offset:704
	v_add_f32_e32 v123, v24, v156
	ds_load_b128 v[24:27], v21 offset:720
	s_wait_loadcnt_dscnt 0x101
	v_dual_mul_f32 v125, v7, v4 :: v_dual_mul_f32 v126, v17, v10
	v_add_f32_e32 v21, v123, v158
	v_dual_add_f32 v123, v124, v157 :: v_dual_mul_f32 v124, v5, v2
	v_mul_f32_e32 v2, v6, v2
	v_mul_f32_e32 v4, v8, v4
	s_delay_alu instid0(VALU_DEP_4) | instskip(NEXT) | instid1(VALU_DEP_4)
	v_add_f32_e32 v21, v21, v160
	v_dual_fmac_f32 v125, v8, v3 :: v_dual_fmac_f32 v124, v6, v1
	s_delay_alu instid0(VALU_DEP_4) | instskip(SKIP_1) | instid1(VALU_DEP_4)
	v_fma_f32 v2, v5, v1, -v2
	v_mul_f32_e32 v6, v18, v10
	v_add_f32_e32 v21, v21, v162
	v_fma_f32 v3, v7, v3, -v4
	v_mul_f32_e32 v127, v19, v12
	v_mul_f32_e32 v4, v20, v12
	s_delay_alu instid0(VALU_DEP_4)
	v_dual_fmac_f32 v126, v18, v9 :: v_dual_add_f32 v21, v21, v164
	s_wait_loadcnt_dscnt 0x0
	v_dual_mul_f32 v130, v24, v14 :: v_dual_add_f32 v123, v123, v159
	v_fmac_f32_e32 v127, v20, v11
	v_fma_f32 v4, v19, v11, -v4
	v_add_f32_e32 v21, v21, v121
	s_delay_alu instid0(VALU_DEP_4) | instskip(SKIP_2) | instid1(VALU_DEP_4)
	v_fmac_f32_e32 v130, v25, v13
	v_add_f32_e32 v123, v123, v161
	v_mul_f32_e32 v121, v26, v16
	v_add_f32_e32 v1, v21, v122
	s_delay_alu instid0(VALU_DEP_3) | instskip(NEXT) | instid1(VALU_DEP_3)
	v_add_f32_e32 v123, v123, v163
	v_fmac_f32_e32 v121, v27, v15
	s_delay_alu instid0(VALU_DEP_3) | instskip(NEXT) | instid1(VALU_DEP_1)
	v_add_f32_e32 v1, v1, v2
	v_dual_add_f32 v22, v123, v22 :: v_dual_add_f32 v1, v1, v3
	v_mul_f32_e32 v3, v25, v14
	s_delay_alu instid0(VALU_DEP_2) | instskip(NEXT) | instid1(VALU_DEP_2)
	v_add_f32_e32 v5, v22, v120
	v_fma_f32 v3, v24, v13, -v3
	s_delay_alu instid0(VALU_DEP_2) | instskip(SKIP_1) | instid1(VALU_DEP_2)
	v_add_f32_e32 v2, v5, v124
	v_fma_f32 v5, v17, v9, -v6
	v_add_f32_e32 v2, v2, v125
	s_delay_alu instid0(VALU_DEP_2) | instskip(NEXT) | instid1(VALU_DEP_2)
	v_add_f32_e32 v1, v1, v5
	v_dual_mul_f32 v5, v27, v16 :: v_dual_add_f32 v2, v2, v126
	s_delay_alu instid0(VALU_DEP_2) | instskip(NEXT) | instid1(VALU_DEP_2)
	v_add_f32_e32 v1, v1, v4
	v_fma_f32 v4, v26, v15, -v5
	s_delay_alu instid0(VALU_DEP_3) | instskip(NEXT) | instid1(VALU_DEP_1)
	v_add_f32_e32 v2, v2, v127
	v_dual_add_f32 v1, v1, v3 :: v_dual_add_f32 v2, v2, v130
	s_delay_alu instid0(VALU_DEP_1) | instskip(NEXT) | instid1(VALU_DEP_1)
	v_dual_add_f32 v1, v1, v4 :: v_dual_add_f32 v2, v2, v121
	v_dual_sub_f32 v1, v128, v1 :: v_dual_sub_f32 v2, v129, v2
	scratch_store_b64 off, v[1:2], off offset:72
	v_cmpx_lt_u32_e32 8, v0
	s_cbranch_execz .LBB45_273
; %bb.272:
	scratch_load_b64 v[1:2], off, off offset:64
	v_mov_b32_e32 v3, 0
	s_delay_alu instid0(VALU_DEP_1)
	v_mov_b32_e32 v4, v3
	scratch_store_b64 off, v[3:4], off offset:64
	s_wait_loadcnt 0x0
	ds_store_b64 v23, v[1:2]
.LBB45_273:
	s_wait_alu 0xfffe
	s_or_b32 exec_lo, exec_lo, s0
	s_wait_storecnt_dscnt 0x0
	s_barrier_signal -1
	s_barrier_wait -1
	global_inv scope:SCOPE_SE
	s_clause 0x4
	scratch_load_b128 v[5:8], off, off offset:72
	scratch_load_b128 v[1:4], off, off offset:88
	;; [unrolled: 1-line block ×5, first 2 shown]
	v_mov_b32_e32 v21, 0
	ds_load_2addr_b64 v[24:27], v21 offset0:55 offset1:56
	ds_load_2addr_b64 v[120:123], v21 offset0:57 offset1:58
	;; [unrolled: 1-line block ×3, first 2 shown]
	scratch_load_b64 v[128:129], off, off offset:64
	s_mov_b32 s0, exec_lo
	s_wait_loadcnt_dscnt 0x502
	v_mul_f32_e32 v22, v25, v6
	v_dual_mul_f32 v130, v24, v6 :: v_dual_mul_f32 v131, v26, v8
	v_mul_f32_e32 v6, v27, v8
	s_delay_alu instid0(VALU_DEP_3) | instskip(NEXT) | instid1(VALU_DEP_3)
	v_fma_f32 v22, v24, v5, -v22
	v_dual_fmac_f32 v130, v25, v5 :: v_dual_fmac_f32 v131, v27, v7
	s_wait_loadcnt_dscnt 0x401
	v_mul_f32_e32 v25, v120, v2
	v_fma_f32 v24, v26, v7, -v6
	ds_load_2addr_b64 v[5:8], v21 offset0:61 offset1:62
	s_wait_loadcnt_dscnt 0x301
	v_dual_mul_f32 v26, v122, v4 :: v_dual_mul_f32 v27, v124, v10
	v_dual_mul_f32 v4, v123, v4 :: v_dual_fmac_f32 v25, v121, v1
	v_mul_f32_e32 v10, v125, v10
	s_delay_alu instid0(VALU_DEP_3)
	v_dual_mul_f32 v132, v126, v12 :: v_dual_fmac_f32 v27, v125, v9
	v_mul_f32_e32 v12, v127, v12
	v_mul_f32_e32 v2, v121, v2
	v_fmac_f32_e32 v26, v123, v3
	v_fma_f32 v121, v122, v3, -v4
	v_fma_f32 v122, v124, v9, -v10
	v_fmac_f32_e32 v132, v127, v11
	v_fma_f32 v123, v126, v11, -v12
	ds_load_2addr_b64 v[9:12], v21 offset0:63 offset1:64
	s_wait_loadcnt_dscnt 0x201
	v_mul_f32_e32 v125, v7, v16
	v_fma_f32 v120, v120, v1, -v2
	scratch_load_b128 v[1:4], off, off offset:152
	v_mul_f32_e32 v124, v5, v14
	v_mul_f32_e32 v14, v6, v14
	v_mul_f32_e32 v16, v8, v16
	s_delay_alu instid0(VALU_DEP_3) | instskip(NEXT) | instid1(VALU_DEP_3)
	v_dual_fmac_f32 v125, v8, v15 :: v_dual_fmac_f32 v124, v6, v13
	v_fma_f32 v13, v5, v13, -v14
	s_delay_alu instid0(VALU_DEP_3)
	v_fma_f32 v14, v7, v15, -v16
	ds_load_2addr_b64 v[5:8], v21 offset0:65 offset1:66
	s_wait_loadcnt_dscnt 0x201
	v_mul_f32_e32 v15, v9, v18
	v_mul_f32_e32 v16, v10, v18
	;; [unrolled: 1-line block ×3, first 2 shown]
	s_delay_alu instid0(VALU_DEP_3) | instskip(NEXT) | instid1(VALU_DEP_3)
	v_dual_mul_f32 v20, v12, v20 :: v_dual_fmac_f32 v15, v10, v17
	v_fma_f32 v16, v9, v17, -v16
	s_delay_alu instid0(VALU_DEP_3) | instskip(NEXT) | instid1(VALU_DEP_3)
	v_fmac_f32_e32 v18, v12, v19
	v_fma_f32 v17, v11, v19, -v20
	scratch_load_b128 v[9:12], off, off offset:168
	s_wait_loadcnt_dscnt 0x100
	v_mul_f32_e32 v19, v5, v2
	v_mul_f32_e32 v2, v6, v2
	;; [unrolled: 1-line block ×3, first 2 shown]
	s_delay_alu instid0(VALU_DEP_3) | instskip(NEXT) | instid1(VALU_DEP_3)
	v_dual_mul_f32 v4, v8, v4 :: v_dual_fmac_f32 v19, v6, v1
	v_fma_f32 v126, v5, v1, -v2
	s_delay_alu instid0(VALU_DEP_3) | instskip(NEXT) | instid1(VALU_DEP_3)
	v_fmac_f32_e32 v20, v8, v3
	v_fma_f32 v127, v7, v3, -v4
	ds_load_2addr_b64 v[1:4], v21 offset0:67 offset1:68
	ds_load_2addr_b64 v[5:8], v21 offset0:69 offset1:70
	s_wait_loadcnt_dscnt 0x1
	v_mul_f32_e32 v133, v1, v10
	v_mul_f32_e32 v10, v2, v10
	s_delay_alu instid0(VALU_DEP_2) | instskip(NEXT) | instid1(VALU_DEP_2)
	v_dual_mul_f32 v134, v3, v12 :: v_dual_fmac_f32 v133, v2, v9
	v_fma_f32 v135, v1, v9, -v10
	v_mul_f32_e32 v1, v4, v12
	s_delay_alu instid0(VALU_DEP_3) | instskip(NEXT) | instid1(VALU_DEP_2)
	v_fmac_f32_e32 v134, v4, v11
	v_fma_f32 v136, v3, v11, -v1
	s_clause 0x1
	scratch_load_b128 v[1:4], off, off offset:184
	scratch_load_b128 v[9:12], off, off offset:200
	s_wait_loadcnt_dscnt 0x100
	v_mul_f32_e32 v137, v5, v2
	v_dual_mul_f32 v2, v6, v2 :: v_dual_mul_f32 v139, v7, v4
	s_delay_alu instid0(VALU_DEP_2) | instskip(NEXT) | instid1(VALU_DEP_2)
	v_fmac_f32_e32 v137, v6, v1
	v_fma_f32 v138, v5, v1, -v2
	v_mul_f32_e32 v1, v8, v4
	s_delay_alu instid0(VALU_DEP_4) | instskip(NEXT) | instid1(VALU_DEP_2)
	v_fmac_f32_e32 v139, v8, v3
	v_fma_f32 v140, v7, v3, -v1
	ds_load_2addr_b64 v[1:4], v21 offset0:71 offset1:72
	ds_load_2addr_b64 v[5:8], v21 offset0:73 offset1:74
	s_wait_loadcnt_dscnt 0x1
	v_mul_f32_e32 v141, v1, v10
	v_mul_f32_e32 v143, v3, v12
	s_delay_alu instid0(VALU_DEP_2) | instskip(NEXT) | instid1(VALU_DEP_2)
	v_fmac_f32_e32 v141, v2, v9
	v_dual_mul_f32 v2, v2, v10 :: v_dual_fmac_f32 v143, v4, v11
	s_delay_alu instid0(VALU_DEP_1) | instskip(SKIP_1) | instid1(VALU_DEP_1)
	v_fma_f32 v142, v1, v9, -v2
	v_mul_f32_e32 v1, v4, v12
	v_fma_f32 v144, v3, v11, -v1
	s_clause 0x1
	scratch_load_b128 v[1:4], off, off offset:216
	scratch_load_b128 v[9:12], off, off offset:232
	s_wait_loadcnt_dscnt 0x100
	v_mul_f32_e32 v145, v5, v2
	v_dual_mul_f32 v147, v7, v4 :: v_dual_mul_f32 v2, v6, v2
	s_delay_alu instid0(VALU_DEP_2) | instskip(NEXT) | instid1(VALU_DEP_2)
	v_fmac_f32_e32 v145, v6, v1
	v_fmac_f32_e32 v147, v8, v3
	s_delay_alu instid0(VALU_DEP_3) | instskip(SKIP_1) | instid1(VALU_DEP_1)
	v_fma_f32 v146, v5, v1, -v2
	v_mul_f32_e32 v1, v8, v4
	v_fma_f32 v148, v7, v3, -v1
	ds_load_2addr_b64 v[1:4], v21 offset0:75 offset1:76
	ds_load_2addr_b64 v[5:8], v21 offset0:77 offset1:78
	s_wait_loadcnt_dscnt 0x1
	v_mul_f32_e32 v149, v1, v10
	v_mul_f32_e32 v151, v3, v12
	s_delay_alu instid0(VALU_DEP_2) | instskip(NEXT) | instid1(VALU_DEP_2)
	v_fmac_f32_e32 v149, v2, v9
	v_dual_mul_f32 v2, v2, v10 :: v_dual_fmac_f32 v151, v4, v11
	s_delay_alu instid0(VALU_DEP_1) | instskip(SKIP_1) | instid1(VALU_DEP_1)
	v_fma_f32 v150, v1, v9, -v2
	v_mul_f32_e32 v1, v4, v12
	v_fma_f32 v152, v3, v11, -v1
	s_clause 0x1
	scratch_load_b128 v[1:4], off, off offset:248
	scratch_load_b128 v[9:12], off, off offset:264
	s_wait_loadcnt_dscnt 0x100
	v_mul_f32_e32 v153, v5, v2
	v_dual_mul_f32 v2, v6, v2 :: v_dual_mul_f32 v155, v7, v4
	s_delay_alu instid0(VALU_DEP_2) | instskip(NEXT) | instid1(VALU_DEP_2)
	v_fmac_f32_e32 v153, v6, v1
	v_fma_f32 v154, v5, v1, -v2
	v_mul_f32_e32 v1, v8, v4
	s_delay_alu instid0(VALU_DEP_4) | instskip(NEXT) | instid1(VALU_DEP_2)
	v_fmac_f32_e32 v155, v8, v3
	v_fma_f32 v156, v7, v3, -v1
	ds_load_2addr_b64 v[1:4], v21 offset0:79 offset1:80
	ds_load_2addr_b64 v[5:8], v21 offset0:81 offset1:82
	s_wait_loadcnt_dscnt 0x1
	v_mul_f32_e32 v157, v1, v10
	v_mul_f32_e32 v159, v3, v12
	s_delay_alu instid0(VALU_DEP_2) | instskip(NEXT) | instid1(VALU_DEP_2)
	v_fmac_f32_e32 v157, v2, v9
	v_dual_mul_f32 v2, v2, v10 :: v_dual_fmac_f32 v159, v4, v11
	s_delay_alu instid0(VALU_DEP_1) | instskip(SKIP_1) | instid1(VALU_DEP_1)
	v_fma_f32 v158, v1, v9, -v2
	v_mul_f32_e32 v1, v4, v12
	v_fma_f32 v160, v3, v11, -v1
	s_clause 0x1
	scratch_load_b128 v[1:4], off, off offset:280
	scratch_load_b128 v[9:12], off, off offset:296
	s_wait_loadcnt_dscnt 0x100
	v_mul_f32_e32 v161, v5, v2
	v_mul_f32_e32 v2, v6, v2
	s_delay_alu instid0(VALU_DEP_1) | instskip(SKIP_1) | instid1(VALU_DEP_1)
	v_fma_f32 v162, v5, v1, -v2
	v_add_f32_e32 v2, 0, v130
	v_add_f32_e32 v2, v2, v131
	s_delay_alu instid0(VALU_DEP_1) | instskip(NEXT) | instid1(VALU_DEP_1)
	v_add_f32_e32 v2, v2, v25
	v_add_f32_e32 v2, v2, v26
	s_delay_alu instid0(VALU_DEP_1) | instskip(NEXT) | instid1(VALU_DEP_1)
	;; [unrolled: 3-line block ×4, first 2 shown]
	v_add_f32_e32 v2, v2, v15
	v_add_f32_e32 v2, v2, v18
	s_delay_alu instid0(VALU_DEP_1) | instskip(SKIP_2) | instid1(VALU_DEP_3)
	v_add_f32_e32 v2, v2, v19
	v_fmac_f32_e32 v161, v6, v1
	v_mul_f32_e32 v1, v8, v4
	v_add_f32_e32 v2, v2, v20
	s_delay_alu instid0(VALU_DEP_2) | instskip(SKIP_1) | instid1(VALU_DEP_1)
	v_fma_f32 v164, v7, v3, -v1
	v_add_f32_e32 v1, 0, v22
	v_add_f32_e32 v1, v1, v24
	s_delay_alu instid0(VALU_DEP_1) | instskip(NEXT) | instid1(VALU_DEP_1)
	v_add_f32_e32 v1, v1, v120
	v_add_f32_e32 v1, v1, v121
	scratch_load_b64 v[120:121], off, off offset:360
	v_add_f32_e32 v1, v1, v122
	s_delay_alu instid0(VALU_DEP_1) | instskip(NEXT) | instid1(VALU_DEP_1)
	v_add_f32_e32 v1, v1, v123
	v_add_f32_e32 v1, v1, v13
	s_delay_alu instid0(VALU_DEP_1) | instskip(NEXT) | instid1(VALU_DEP_1)
	v_add_f32_e32 v1, v1, v14
	;; [unrolled: 3-line block ×5, first 2 shown]
	v_dual_mul_f32 v163, v7, v4 :: v_dual_add_f32 v6, v6, v138
	s_delay_alu instid0(VALU_DEP_1) | instskip(NEXT) | instid1(VALU_DEP_2)
	v_fmac_f32_e32 v163, v8, v3
	v_add_f32_e32 v13, v6, v140
	s_delay_alu instid0(VALU_DEP_1) | instskip(NEXT) | instid1(VALU_DEP_1)
	v_add_f32_e32 v13, v13, v142
	v_add_f32_e32 v13, v13, v144
	s_delay_alu instid0(VALU_DEP_1) | instskip(SKIP_4) | instid1(VALU_DEP_1)
	v_add_f32_e32 v13, v13, v146
	v_add_f32_e32 v5, v2, v133
	ds_load_2addr_b64 v[1:4], v21 offset0:83 offset1:84
	v_add_f32_e32 v18, v13, v148
	v_add_f32_e32 v5, v5, v134
	v_dual_add_f32 v18, v18, v150 :: v_dual_add_f32 v5, v5, v137
	s_delay_alu instid0(VALU_DEP_1) | instskip(NEXT) | instid1(VALU_DEP_2)
	v_add_f32_e32 v18, v18, v152
	v_add_f32_e32 v14, v5, v139
	ds_load_2addr_b64 v[5:8], v21 offset0:85 offset1:86
	v_add_f32_e32 v18, v18, v154
	v_add_f32_e32 v14, v14, v141
	s_wait_loadcnt_dscnt 0x101
	v_mul_f32_e32 v22, v1, v10
	v_mul_f32_e32 v10, v2, v10
	;; [unrolled: 1-line block ×4, first 2 shown]
	v_add_f32_e32 v14, v14, v143
	v_fmac_f32_e32 v22, v2, v9
	v_fma_f32 v125, v1, v9, -v10
	v_fmac_f32_e32 v124, v4, v11
	v_fma_f32 v126, v3, v11, -v12
	s_clause 0x1
	scratch_load_b128 v[1:4], off, off offset:312
	scratch_load_b128 v[9:12], off, off offset:328
	v_add_f32_e32 v17, v14, v145
	scratch_load_b128 v[13:16], off, off offset:344
	v_dual_add_f32 v18, v18, v156 :: v_dual_add_f32 v17, v17, v147
	s_delay_alu instid0(VALU_DEP_1) | instskip(NEXT) | instid1(VALU_DEP_1)
	v_dual_add_f32 v122, v18, v158 :: v_dual_add_f32 v17, v17, v149
	v_add_f32_e32 v127, v122, v160
	s_wait_loadcnt_dscnt 0x200
	s_delay_alu instid0(VALU_DEP_2) | instskip(NEXT) | instid1(VALU_DEP_1)
	v_dual_add_f32 v17, v17, v151 :: v_dual_mul_f32 v132, v7, v4
	v_dual_add_f32 v17, v17, v153 :: v_dual_mul_f32 v4, v8, v4
	s_delay_alu instid0(VALU_DEP_2) | instskip(NEXT) | instid1(VALU_DEP_2)
	v_dual_fmac_f32 v132, v8, v3 :: v_dual_mul_f32 v131, v5, v2
	v_add_f32_e32 v24, v17, v155
	ds_load_2addr_b64 v[17:20], v21 offset0:87 offset1:88
	v_mul_f32_e32 v2, v6, v2
	v_fmac_f32_e32 v131, v6, v1
	v_add_f32_e32 v127, v127, v162
	s_delay_alu instid0(VALU_DEP_3) | instskip(SKIP_1) | instid1(VALU_DEP_3)
	v_fma_f32 v2, v5, v1, -v2
	v_fma_f32 v1, v7, v3, -v4
	v_add_f32_e32 v127, v127, v164
	s_delay_alu instid0(VALU_DEP_1) | instskip(NEXT) | instid1(VALU_DEP_1)
	v_add_f32_e32 v125, v127, v125
	v_add_f32_e32 v125, v125, v126
	;; [unrolled: 1-line block ×3, first 2 shown]
	ds_load_2addr_b64 v[24:27], v21 offset0:89 offset1:90
	s_wait_loadcnt_dscnt 0x101
	v_mul_f32_e32 v3, v18, v10
	v_add_f32_e32 v2, v125, v2
	v_add_f32_e32 v130, v123, v159
	ds_load_b64 v[122:123], v21 offset:728
	v_fma_f32 v3, v17, v9, -v3
	v_add_f32_e32 v1, v2, v1
	v_add_f32_e32 v130, v130, v161
	s_delay_alu instid0(VALU_DEP_1) | instskip(NEXT) | instid1(VALU_DEP_1)
	v_add_f32_e32 v130, v130, v163
	v_add_f32_e32 v22, v130, v22
	s_wait_loadcnt_dscnt 0x1
	v_dual_mul_f32 v126, v26, v16 :: v_dual_mul_f32 v127, v17, v10
	v_mul_f32_e32 v130, v19, v12
	s_delay_alu instid0(VALU_DEP_3) | instskip(NEXT) | instid1(VALU_DEP_3)
	v_add_f32_e32 v22, v22, v124
	v_dual_fmac_f32 v126, v27, v15 :: v_dual_fmac_f32 v127, v18, v9
	s_wait_dscnt 0x0
	v_dual_mul_f32 v124, v122, v121 :: v_dual_mul_f32 v133, v24, v14
	s_delay_alu instid0(VALU_DEP_3) | instskip(SKIP_1) | instid1(VALU_DEP_3)
	v_add_f32_e32 v4, v22, v131
	v_fmac_f32_e32 v130, v20, v11
	v_dual_fmac_f32 v124, v123, v120 :: v_dual_fmac_f32 v133, v25, v13
	s_delay_alu instid0(VALU_DEP_3) | instskip(SKIP_1) | instid1(VALU_DEP_2)
	v_add_f32_e32 v2, v4, v132
	v_mul_f32_e32 v4, v25, v14
	v_dual_add_f32 v2, v2, v127 :: v_dual_mul_f32 v5, v20, v12
	s_delay_alu instid0(VALU_DEP_2) | instskip(NEXT) | instid1(VALU_DEP_2)
	v_fma_f32 v4, v24, v13, -v4
	v_add_f32_e32 v2, v2, v130
	s_delay_alu instid0(VALU_DEP_3) | instskip(NEXT) | instid1(VALU_DEP_2)
	v_fma_f32 v5, v19, v11, -v5
	v_dual_add_f32 v2, v2, v133 :: v_dual_add_f32 v1, v1, v3
	s_delay_alu instid0(VALU_DEP_1) | instskip(NEXT) | instid1(VALU_DEP_2)
	v_dual_mul_f32 v3, v27, v16 :: v_dual_add_f32 v2, v2, v126
	v_add_f32_e32 v1, v1, v5
	v_mul_f32_e32 v5, v123, v121
	s_delay_alu instid0(VALU_DEP_3) | instskip(NEXT) | instid1(VALU_DEP_4)
	v_fma_f32 v3, v26, v15, -v3
	v_add_f32_e32 v2, v2, v124
	s_delay_alu instid0(VALU_DEP_4) | instskip(NEXT) | instid1(VALU_DEP_4)
	v_add_f32_e32 v1, v1, v4
	v_fma_f32 v4, v122, v120, -v5
	s_delay_alu instid0(VALU_DEP_3) | instskip(NEXT) | instid1(VALU_DEP_3)
	v_sub_f32_e32 v2, v129, v2
	v_add_f32_e32 v1, v1, v3
	s_delay_alu instid0(VALU_DEP_1) | instskip(NEXT) | instid1(VALU_DEP_1)
	v_add_f32_e32 v1, v1, v4
	v_sub_f32_e32 v1, v128, v1
	scratch_store_b64 off, v[1:2], off offset:64
	v_cmpx_lt_u32_e32 7, v0
	s_cbranch_execz .LBB45_275
; %bb.274:
	scratch_load_b64 v[1:2], off, off offset:56
	v_mov_b32_e32 v22, v21
	scratch_store_b64 off, v[21:22], off offset:56
	s_wait_loadcnt 0x0
	ds_store_b64 v23, v[1:2]
.LBB45_275:
	s_wait_alu 0xfffe
	s_or_b32 exec_lo, exec_lo, s0
	s_wait_storecnt_dscnt 0x0
	s_barrier_signal -1
	s_barrier_wait -1
	global_inv scope:SCOPE_SE
	s_clause 0x4
	scratch_load_b128 v[5:8], off, off offset:64
	scratch_load_b128 v[1:4], off, off offset:80
	;; [unrolled: 1-line block ×5, first 2 shown]
	ds_load_b128 v[24:27], v21 offset:432
	ds_load_b128 v[120:123], v21 offset:448
	;; [unrolled: 1-line block ×3, first 2 shown]
	scratch_load_b64 v[128:129], off, off offset:56
	s_mov_b32 s0, exec_lo
	s_wait_loadcnt_dscnt 0x502
	v_dual_mul_f32 v22, v25, v6 :: v_dual_mul_f32 v131, v26, v8
	v_mul_f32_e32 v130, v24, v6
	v_mul_f32_e32 v6, v27, v8
	s_wait_loadcnt_dscnt 0x300
	v_mul_f32_e32 v132, v126, v12
	v_fma_f32 v22, v24, v5, -v22
	v_dual_fmac_f32 v131, v27, v7 :: v_dual_fmac_f32 v130, v25, v5
	v_mul_f32_e32 v27, v124, v10
	v_mul_f32_e32 v25, v120, v2
	v_fma_f32 v24, v26, v7, -v6
	ds_load_b128 v[5:8], v21 offset:480
	v_mul_f32_e32 v26, v122, v4
	v_dual_mul_f32 v4, v123, v4 :: v_dual_fmac_f32 v27, v125, v9
	v_mul_f32_e32 v10, v125, v10
	v_mul_f32_e32 v12, v127, v12
	;; [unrolled: 1-line block ×3, first 2 shown]
	v_dual_fmac_f32 v25, v121, v1 :: v_dual_fmac_f32 v26, v123, v3
	v_fma_f32 v121, v122, v3, -v4
	v_fma_f32 v122, v124, v9, -v10
	v_fmac_f32_e32 v132, v127, v11
	v_fma_f32 v123, v126, v11, -v12
	ds_load_b128 v[9:12], v21 offset:496
	s_wait_loadcnt_dscnt 0x201
	v_mul_f32_e32 v125, v7, v16
	v_fma_f32 v120, v120, v1, -v2
	scratch_load_b128 v[1:4], off, off offset:144
	v_mul_f32_e32 v124, v5, v14
	v_mul_f32_e32 v14, v6, v14
	;; [unrolled: 1-line block ×3, first 2 shown]
	s_delay_alu instid0(VALU_DEP_3) | instskip(NEXT) | instid1(VALU_DEP_3)
	v_dual_fmac_f32 v125, v8, v15 :: v_dual_fmac_f32 v124, v6, v13
	v_fma_f32 v13, v5, v13, -v14
	s_delay_alu instid0(VALU_DEP_3)
	v_fma_f32 v14, v7, v15, -v16
	ds_load_b128 v[5:8], v21 offset:512
	s_wait_loadcnt_dscnt 0x201
	v_mul_f32_e32 v15, v9, v18
	v_mul_f32_e32 v16, v10, v18
	;; [unrolled: 1-line block ×3, first 2 shown]
	s_delay_alu instid0(VALU_DEP_3) | instskip(NEXT) | instid1(VALU_DEP_3)
	v_dual_mul_f32 v20, v12, v20 :: v_dual_fmac_f32 v15, v10, v17
	v_fma_f32 v16, v9, v17, -v16
	s_delay_alu instid0(VALU_DEP_3) | instskip(NEXT) | instid1(VALU_DEP_3)
	v_fmac_f32_e32 v18, v12, v19
	v_fma_f32 v17, v11, v19, -v20
	scratch_load_b128 v[9:12], off, off offset:160
	s_wait_loadcnt_dscnt 0x100
	v_mul_f32_e32 v19, v5, v2
	v_mul_f32_e32 v2, v6, v2
	v_mul_f32_e32 v20, v7, v4
	s_delay_alu instid0(VALU_DEP_3) | instskip(NEXT) | instid1(VALU_DEP_3)
	v_dual_mul_f32 v4, v8, v4 :: v_dual_fmac_f32 v19, v6, v1
	v_fma_f32 v126, v5, v1, -v2
	s_delay_alu instid0(VALU_DEP_3) | instskip(NEXT) | instid1(VALU_DEP_3)
	v_fmac_f32_e32 v20, v8, v3
	v_fma_f32 v127, v7, v3, -v4
	ds_load_b128 v[1:4], v21 offset:528
	ds_load_b128 v[5:8], v21 offset:544
	s_wait_loadcnt_dscnt 0x1
	v_mul_f32_e32 v133, v1, v10
	v_mul_f32_e32 v10, v2, v10
	s_delay_alu instid0(VALU_DEP_2) | instskip(NEXT) | instid1(VALU_DEP_2)
	v_dual_mul_f32 v134, v3, v12 :: v_dual_fmac_f32 v133, v2, v9
	v_fma_f32 v135, v1, v9, -v10
	v_mul_f32_e32 v1, v4, v12
	s_delay_alu instid0(VALU_DEP_3) | instskip(NEXT) | instid1(VALU_DEP_2)
	v_fmac_f32_e32 v134, v4, v11
	v_fma_f32 v136, v3, v11, -v1
	s_clause 0x1
	scratch_load_b128 v[1:4], off, off offset:176
	scratch_load_b128 v[9:12], off, off offset:192
	s_wait_loadcnt_dscnt 0x100
	v_mul_f32_e32 v137, v5, v2
	v_dual_mul_f32 v2, v6, v2 :: v_dual_mul_f32 v139, v7, v4
	s_delay_alu instid0(VALU_DEP_2) | instskip(NEXT) | instid1(VALU_DEP_2)
	v_fmac_f32_e32 v137, v6, v1
	v_fma_f32 v138, v5, v1, -v2
	v_mul_f32_e32 v1, v8, v4
	s_delay_alu instid0(VALU_DEP_4) | instskip(NEXT) | instid1(VALU_DEP_2)
	v_fmac_f32_e32 v139, v8, v3
	v_fma_f32 v140, v7, v3, -v1
	ds_load_b128 v[1:4], v21 offset:560
	ds_load_b128 v[5:8], v21 offset:576
	s_wait_loadcnt_dscnt 0x1
	v_mul_f32_e32 v141, v1, v10
	v_mul_f32_e32 v143, v3, v12
	s_delay_alu instid0(VALU_DEP_2) | instskip(NEXT) | instid1(VALU_DEP_2)
	v_fmac_f32_e32 v141, v2, v9
	v_dual_mul_f32 v2, v2, v10 :: v_dual_fmac_f32 v143, v4, v11
	s_delay_alu instid0(VALU_DEP_1) | instskip(SKIP_1) | instid1(VALU_DEP_1)
	v_fma_f32 v142, v1, v9, -v2
	v_mul_f32_e32 v1, v4, v12
	v_fma_f32 v144, v3, v11, -v1
	s_clause 0x1
	scratch_load_b128 v[1:4], off, off offset:208
	scratch_load_b128 v[9:12], off, off offset:224
	s_wait_loadcnt_dscnt 0x100
	v_mul_f32_e32 v145, v5, v2
	v_dual_mul_f32 v2, v6, v2 :: v_dual_mul_f32 v147, v7, v4
	s_delay_alu instid0(VALU_DEP_2) | instskip(NEXT) | instid1(VALU_DEP_2)
	v_fmac_f32_e32 v145, v6, v1
	v_fma_f32 v146, v5, v1, -v2
	v_mul_f32_e32 v1, v8, v4
	s_delay_alu instid0(VALU_DEP_4) | instskip(NEXT) | instid1(VALU_DEP_2)
	v_fmac_f32_e32 v147, v8, v3
	v_fma_f32 v148, v7, v3, -v1
	ds_load_b128 v[1:4], v21 offset:592
	ds_load_b128 v[5:8], v21 offset:608
	s_wait_loadcnt_dscnt 0x1
	v_mul_f32_e32 v149, v1, v10
	v_mul_f32_e32 v151, v3, v12
	s_delay_alu instid0(VALU_DEP_2) | instskip(NEXT) | instid1(VALU_DEP_2)
	v_fmac_f32_e32 v149, v2, v9
	v_dual_mul_f32 v2, v2, v10 :: v_dual_fmac_f32 v151, v4, v11
	s_delay_alu instid0(VALU_DEP_1) | instskip(SKIP_1) | instid1(VALU_DEP_1)
	v_fma_f32 v150, v1, v9, -v2
	v_mul_f32_e32 v1, v4, v12
	;; [unrolled: 25-line block ×3, first 2 shown]
	v_fma_f32 v160, v3, v11, -v1
	s_clause 0x1
	scratch_load_b128 v[1:4], off, off offset:272
	scratch_load_b128 v[9:12], off, off offset:288
	s_wait_loadcnt_dscnt 0x100
	v_mul_f32_e32 v161, v5, v2
	v_mul_f32_e32 v2, v6, v2
	s_delay_alu instid0(VALU_DEP_1) | instskip(SKIP_1) | instid1(VALU_DEP_1)
	v_fma_f32 v162, v5, v1, -v2
	v_add_f32_e32 v2, 0, v130
	v_add_f32_e32 v2, v2, v131
	s_delay_alu instid0(VALU_DEP_1) | instskip(NEXT) | instid1(VALU_DEP_1)
	v_add_f32_e32 v2, v2, v25
	v_add_f32_e32 v2, v2, v26
	s_delay_alu instid0(VALU_DEP_1) | instskip(NEXT) | instid1(VALU_DEP_1)
	;; [unrolled: 3-line block ×4, first 2 shown]
	v_dual_add_f32 v2, v2, v15 :: v_dual_mul_f32 v163, v7, v4
	v_add_f32_e32 v2, v2, v18
	s_delay_alu instid0(VALU_DEP_1) | instskip(SKIP_1) | instid1(VALU_DEP_2)
	v_add_f32_e32 v2, v2, v19
	v_fmac_f32_e32 v161, v6, v1
	v_dual_fmac_f32 v163, v8, v3 :: v_dual_add_f32 v2, v2, v20
	s_delay_alu instid0(VALU_DEP_1) | instskip(NEXT) | instid1(VALU_DEP_1)
	v_dual_mul_f32 v1, v8, v4 :: v_dual_add_f32 v2, v2, v133
	v_fma_f32 v164, v7, v3, -v1
	v_add_f32_e32 v1, 0, v22
	s_delay_alu instid0(VALU_DEP_3) | instskip(NEXT) | instid1(VALU_DEP_2)
	v_add_f32_e32 v5, v2, v134
	v_add_f32_e32 v1, v1, v24
	s_delay_alu instid0(VALU_DEP_1) | instskip(NEXT) | instid1(VALU_DEP_1)
	v_add_f32_e32 v1, v1, v120
	v_add_f32_e32 v1, v1, v121
	s_delay_alu instid0(VALU_DEP_1) | instskip(NEXT) | instid1(VALU_DEP_1)
	v_add_f32_e32 v1, v1, v122
	v_add_f32_e32 v1, v1, v123
	s_delay_alu instid0(VALU_DEP_1) | instskip(SKIP_1) | instid1(VALU_DEP_2)
	v_add_f32_e32 v1, v1, v13
	v_add_f32_e32 v13, v5, v137
	;; [unrolled: 1-line block ×3, first 2 shown]
	s_delay_alu instid0(VALU_DEP_2) | instskip(NEXT) | instid1(VALU_DEP_1)
	v_add_f32_e32 v13, v13, v139
	v_add_f32_e32 v13, v13, v141
	s_delay_alu instid0(VALU_DEP_1) | instskip(NEXT) | instid1(VALU_DEP_1)
	v_add_f32_e32 v18, v13, v143
	v_dual_add_f32 v18, v18, v145 :: v_dual_add_f32 v1, v1, v16
	s_delay_alu instid0(VALU_DEP_1) | instskip(NEXT) | instid1(VALU_DEP_1)
	v_add_f32_e32 v18, v18, v147
	v_add_f32_e32 v24, v18, v149
	s_delay_alu instid0(VALU_DEP_1) | instskip(NEXT) | instid1(VALU_DEP_1)
	v_dual_add_f32 v1, v1, v17 :: v_dual_add_f32 v24, v24, v151
	v_add_f32_e32 v1, v1, v126
	s_delay_alu instid0(VALU_DEP_1) | instskip(NEXT) | instid1(VALU_DEP_1)
	v_add_f32_e32 v1, v1, v127
	v_add_f32_e32 v1, v1, v135
	s_delay_alu instid0(VALU_DEP_1) | instskip(NEXT) | instid1(VALU_DEP_1)
	v_add_f32_e32 v1, v1, v136
	v_add_f32_e32 v6, v1, v138
	ds_load_b128 v[1:4], v21 offset:656
	v_add_f32_e32 v24, v24, v153
	v_add_f32_e32 v14, v6, v140
	scratch_load_b128 v[5:8], off, off offset:304
	v_add_f32_e32 v14, v14, v142
	s_delay_alu instid0(VALU_DEP_1)
	v_add_f32_e32 v17, v14, v144
	ds_load_b128 v[13:16], v21 offset:672
	s_wait_loadcnt_dscnt 0x101
	v_mul_f32_e32 v22, v1, v10
	v_mul_f32_e32 v10, v2, v10
	;; [unrolled: 1-line block ×4, first 2 shown]
	s_delay_alu instid0(VALU_DEP_4) | instskip(NEXT) | instid1(VALU_DEP_4)
	v_fmac_f32_e32 v22, v2, v9
	v_fma_f32 v121, v1, v9, -v10
	s_delay_alu instid0(VALU_DEP_4) | instskip(NEXT) | instid1(VALU_DEP_4)
	v_fmac_f32_e32 v120, v4, v11
	v_fma_f32 v122, v3, v11, -v12
	s_clause 0x1
	scratch_load_b128 v[1:4], off, off offset:320
	scratch_load_b128 v[9:12], off, off offset:336
	s_wait_loadcnt_dscnt 0x200
	v_mul_f32_e32 v123, v13, v6
	v_mul_f32_e32 v6, v14, v6
	;; [unrolled: 1-line block ×3, first 2 shown]
	s_delay_alu instid0(VALU_DEP_3) | instskip(NEXT) | instid1(VALU_DEP_3)
	v_dual_mul_f32 v8, v16, v8 :: v_dual_fmac_f32 v123, v14, v5
	v_fma_f32 v125, v13, v5, -v6
	s_delay_alu instid0(VALU_DEP_3) | instskip(NEXT) | instid1(VALU_DEP_3)
	v_fmac_f32_e32 v124, v16, v7
	v_fma_f32 v126, v15, v7, -v8
	ds_load_b128 v[5:8], v21 offset:688
	v_add_f32_e32 v17, v17, v146
	v_add_f32_e32 v13, v24, v155
	s_delay_alu instid0(VALU_DEP_2) | instskip(NEXT) | instid1(VALU_DEP_1)
	v_add_f32_e32 v17, v17, v148
	v_add_f32_e32 v17, v17, v150
	s_delay_alu instid0(VALU_DEP_1) | instskip(SKIP_2) | instid1(VALU_DEP_1)
	v_add_f32_e32 v25, v17, v152
	scratch_load_b128 v[17:20], off, off offset:352
	v_add_f32_e32 v25, v25, v154
	v_add_f32_e32 v25, v25, v156
	s_delay_alu instid0(VALU_DEP_1)
	v_add_f32_e32 v24, v25, v158
	v_add_f32_e32 v25, v13, v157
	ds_load_b128 v[13:16], v21 offset:704
	v_dual_add_f32 v127, v24, v160 :: v_dual_add_f32 v130, v25, v159
	ds_load_b128 v[24:27], v21 offset:720
	v_add_f32_e32 v21, v127, v162
	s_delay_alu instid0(VALU_DEP_1) | instskip(SKIP_2) | instid1(VALU_DEP_1)
	v_add_f32_e32 v21, v21, v164
	s_wait_loadcnt_dscnt 0x101
	v_mul_f32_e32 v131, v15, v12
	v_fmac_f32_e32 v131, v16, v11
	s_delay_alu instid0(VALU_DEP_3) | instskip(NEXT) | instid1(VALU_DEP_1)
	v_add_f32_e32 v21, v21, v121
	v_add_f32_e32 v21, v21, v122
	s_wait_loadcnt_dscnt 0x0
	s_delay_alu instid0(VALU_DEP_1) | instskip(SKIP_2) | instid1(VALU_DEP_3)
	v_dual_add_f32 v21, v21, v125 :: v_dual_mul_f32 v122, v26, v20
	v_dual_add_f32 v127, v130, v161 :: v_dual_mul_f32 v130, v5, v2
	v_mul_f32_e32 v2, v6, v2
	v_fmac_f32_e32 v122, v27, v19
	s_delay_alu instid0(VALU_DEP_3)
	v_add_f32_e32 v127, v127, v163
	v_mul_f32_e32 v121, v7, v4
	v_mul_f32_e32 v4, v8, v4
	v_fma_f32 v2, v5, v1, -v2
	v_fmac_f32_e32 v130, v6, v1
	v_add_f32_e32 v22, v127, v22
	v_add_f32_e32 v1, v21, v126
	v_dual_mul_f32 v6, v14, v10 :: v_dual_fmac_f32 v121, v8, v3
	v_fma_f32 v3, v7, v3, -v4
	s_delay_alu instid0(VALU_DEP_4) | instskip(SKIP_2) | instid1(VALU_DEP_3)
	v_add_f32_e32 v22, v22, v120
	v_mul_f32_e32 v120, v24, v18
	v_dual_add_f32 v1, v1, v2 :: v_dual_mul_f32 v4, v16, v12
	v_add_f32_e32 v22, v22, v123
	s_delay_alu instid0(VALU_DEP_3) | instskip(SKIP_1) | instid1(VALU_DEP_4)
	v_fmac_f32_e32 v120, v25, v17
	v_mul_f32_e32 v127, v13, v10
	v_add_f32_e32 v1, v1, v3
	v_mul_f32_e32 v3, v25, v18
	v_add_f32_e32 v5, v22, v124
	v_fma_f32 v4, v15, v11, -v4
	v_fmac_f32_e32 v127, v14, v9
	s_delay_alu instid0(VALU_DEP_4) | instskip(NEXT) | instid1(VALU_DEP_4)
	v_fma_f32 v3, v24, v17, -v3
	v_add_f32_e32 v2, v5, v130
	v_fma_f32 v5, v13, v9, -v6
	s_delay_alu instid0(VALU_DEP_2) | instskip(NEXT) | instid1(VALU_DEP_2)
	v_add_f32_e32 v2, v2, v121
	v_add_f32_e32 v1, v1, v5
	s_delay_alu instid0(VALU_DEP_2) | instskip(NEXT) | instid1(VALU_DEP_2)
	v_dual_mul_f32 v5, v27, v20 :: v_dual_add_f32 v2, v2, v127
	v_add_f32_e32 v1, v1, v4
	s_delay_alu instid0(VALU_DEP_2) | instskip(NEXT) | instid1(VALU_DEP_3)
	v_fma_f32 v4, v26, v19, -v5
	v_add_f32_e32 v2, v2, v131
	s_delay_alu instid0(VALU_DEP_1) | instskip(NEXT) | instid1(VALU_DEP_1)
	v_dual_add_f32 v1, v1, v3 :: v_dual_add_f32 v2, v2, v120
	v_dual_add_f32 v1, v1, v4 :: v_dual_add_f32 v2, v2, v122
	s_delay_alu instid0(VALU_DEP_1)
	v_dual_sub_f32 v1, v128, v1 :: v_dual_sub_f32 v2, v129, v2
	scratch_store_b64 off, v[1:2], off offset:56
	v_cmpx_lt_u32_e32 6, v0
	s_cbranch_execz .LBB45_277
; %bb.276:
	scratch_load_b64 v[1:2], off, off offset:48
	v_mov_b32_e32 v3, 0
	s_delay_alu instid0(VALU_DEP_1)
	v_mov_b32_e32 v4, v3
	scratch_store_b64 off, v[3:4], off offset:48
	s_wait_loadcnt 0x0
	ds_store_b64 v23, v[1:2]
.LBB45_277:
	s_wait_alu 0xfffe
	s_or_b32 exec_lo, exec_lo, s0
	s_wait_storecnt_dscnt 0x0
	s_barrier_signal -1
	s_barrier_wait -1
	global_inv scope:SCOPE_SE
	s_clause 0x4
	scratch_load_b128 v[5:8], off, off offset:56
	scratch_load_b128 v[1:4], off, off offset:72
	;; [unrolled: 1-line block ×5, first 2 shown]
	v_mov_b32_e32 v21, 0
	ds_load_2addr_b64 v[24:27], v21 offset0:53 offset1:54
	ds_load_2addr_b64 v[120:123], v21 offset0:55 offset1:56
	;; [unrolled: 1-line block ×3, first 2 shown]
	scratch_load_b64 v[128:129], off, off offset:48
	s_mov_b32 s0, exec_lo
	s_wait_loadcnt_dscnt 0x502
	v_mul_f32_e32 v22, v25, v6
	v_dual_mul_f32 v130, v24, v6 :: v_dual_mul_f32 v131, v26, v8
	v_mul_f32_e32 v6, v27, v8
	s_delay_alu instid0(VALU_DEP_3) | instskip(NEXT) | instid1(VALU_DEP_3)
	v_fma_f32 v22, v24, v5, -v22
	v_dual_fmac_f32 v130, v25, v5 :: v_dual_fmac_f32 v131, v27, v7
	s_wait_loadcnt_dscnt 0x401
	v_mul_f32_e32 v25, v120, v2
	v_fma_f32 v24, v26, v7, -v6
	ds_load_2addr_b64 v[5:8], v21 offset0:59 offset1:60
	s_wait_loadcnt_dscnt 0x301
	v_dual_mul_f32 v26, v122, v4 :: v_dual_mul_f32 v27, v124, v10
	v_dual_mul_f32 v4, v123, v4 :: v_dual_fmac_f32 v25, v121, v1
	v_mul_f32_e32 v10, v125, v10
	s_delay_alu instid0(VALU_DEP_3)
	v_dual_mul_f32 v132, v126, v12 :: v_dual_fmac_f32 v27, v125, v9
	v_mul_f32_e32 v12, v127, v12
	v_mul_f32_e32 v2, v121, v2
	v_fmac_f32_e32 v26, v123, v3
	v_fma_f32 v121, v122, v3, -v4
	v_fma_f32 v122, v124, v9, -v10
	v_fmac_f32_e32 v132, v127, v11
	v_fma_f32 v123, v126, v11, -v12
	ds_load_2addr_b64 v[9:12], v21 offset0:61 offset1:62
	s_wait_loadcnt_dscnt 0x201
	v_mul_f32_e32 v125, v7, v16
	v_fma_f32 v120, v120, v1, -v2
	scratch_load_b128 v[1:4], off, off offset:136
	v_mul_f32_e32 v124, v5, v14
	v_mul_f32_e32 v14, v6, v14
	;; [unrolled: 1-line block ×3, first 2 shown]
	s_delay_alu instid0(VALU_DEP_3) | instskip(NEXT) | instid1(VALU_DEP_3)
	v_dual_fmac_f32 v125, v8, v15 :: v_dual_fmac_f32 v124, v6, v13
	v_fma_f32 v13, v5, v13, -v14
	s_delay_alu instid0(VALU_DEP_3)
	v_fma_f32 v14, v7, v15, -v16
	ds_load_2addr_b64 v[5:8], v21 offset0:63 offset1:64
	s_wait_loadcnt_dscnt 0x201
	v_mul_f32_e32 v15, v9, v18
	v_mul_f32_e32 v16, v10, v18
	;; [unrolled: 1-line block ×3, first 2 shown]
	s_delay_alu instid0(VALU_DEP_3) | instskip(NEXT) | instid1(VALU_DEP_3)
	v_dual_mul_f32 v20, v12, v20 :: v_dual_fmac_f32 v15, v10, v17
	v_fma_f32 v16, v9, v17, -v16
	s_delay_alu instid0(VALU_DEP_3) | instskip(NEXT) | instid1(VALU_DEP_3)
	v_fmac_f32_e32 v18, v12, v19
	v_fma_f32 v17, v11, v19, -v20
	scratch_load_b128 v[9:12], off, off offset:152
	s_wait_loadcnt_dscnt 0x100
	v_mul_f32_e32 v19, v5, v2
	v_mul_f32_e32 v2, v6, v2
	;; [unrolled: 1-line block ×3, first 2 shown]
	s_delay_alu instid0(VALU_DEP_3) | instskip(NEXT) | instid1(VALU_DEP_3)
	v_dual_mul_f32 v4, v8, v4 :: v_dual_fmac_f32 v19, v6, v1
	v_fma_f32 v126, v5, v1, -v2
	s_delay_alu instid0(VALU_DEP_3) | instskip(NEXT) | instid1(VALU_DEP_3)
	v_fmac_f32_e32 v20, v8, v3
	v_fma_f32 v127, v7, v3, -v4
	ds_load_2addr_b64 v[1:4], v21 offset0:65 offset1:66
	ds_load_2addr_b64 v[5:8], v21 offset0:67 offset1:68
	s_wait_loadcnt_dscnt 0x1
	v_mul_f32_e32 v133, v1, v10
	v_mul_f32_e32 v10, v2, v10
	s_delay_alu instid0(VALU_DEP_2) | instskip(NEXT) | instid1(VALU_DEP_2)
	v_dual_mul_f32 v134, v3, v12 :: v_dual_fmac_f32 v133, v2, v9
	v_fma_f32 v135, v1, v9, -v10
	v_mul_f32_e32 v1, v4, v12
	s_delay_alu instid0(VALU_DEP_3) | instskip(NEXT) | instid1(VALU_DEP_2)
	v_fmac_f32_e32 v134, v4, v11
	v_fma_f32 v136, v3, v11, -v1
	s_clause 0x1
	scratch_load_b128 v[1:4], off, off offset:168
	scratch_load_b128 v[9:12], off, off offset:184
	s_wait_loadcnt_dscnt 0x100
	v_mul_f32_e32 v137, v5, v2
	v_dual_mul_f32 v2, v6, v2 :: v_dual_mul_f32 v139, v7, v4
	s_delay_alu instid0(VALU_DEP_2) | instskip(NEXT) | instid1(VALU_DEP_2)
	v_fmac_f32_e32 v137, v6, v1
	v_fma_f32 v138, v5, v1, -v2
	v_mul_f32_e32 v1, v8, v4
	s_delay_alu instid0(VALU_DEP_4) | instskip(NEXT) | instid1(VALU_DEP_2)
	v_fmac_f32_e32 v139, v8, v3
	v_fma_f32 v140, v7, v3, -v1
	ds_load_2addr_b64 v[1:4], v21 offset0:69 offset1:70
	ds_load_2addr_b64 v[5:8], v21 offset0:71 offset1:72
	s_wait_loadcnt_dscnt 0x1
	v_mul_f32_e32 v141, v1, v10
	v_mul_f32_e32 v143, v3, v12
	s_delay_alu instid0(VALU_DEP_2) | instskip(NEXT) | instid1(VALU_DEP_2)
	v_fmac_f32_e32 v141, v2, v9
	v_dual_mul_f32 v2, v2, v10 :: v_dual_fmac_f32 v143, v4, v11
	s_delay_alu instid0(VALU_DEP_1) | instskip(SKIP_1) | instid1(VALU_DEP_1)
	v_fma_f32 v142, v1, v9, -v2
	v_mul_f32_e32 v1, v4, v12
	v_fma_f32 v144, v3, v11, -v1
	s_clause 0x1
	scratch_load_b128 v[1:4], off, off offset:200
	scratch_load_b128 v[9:12], off, off offset:216
	s_wait_loadcnt_dscnt 0x100
	v_mul_f32_e32 v145, v5, v2
	v_dual_mul_f32 v147, v7, v4 :: v_dual_mul_f32 v2, v6, v2
	s_delay_alu instid0(VALU_DEP_2) | instskip(NEXT) | instid1(VALU_DEP_2)
	v_fmac_f32_e32 v145, v6, v1
	v_fmac_f32_e32 v147, v8, v3
	s_delay_alu instid0(VALU_DEP_3) | instskip(SKIP_1) | instid1(VALU_DEP_1)
	v_fma_f32 v146, v5, v1, -v2
	v_mul_f32_e32 v1, v8, v4
	v_fma_f32 v148, v7, v3, -v1
	ds_load_2addr_b64 v[1:4], v21 offset0:73 offset1:74
	ds_load_2addr_b64 v[5:8], v21 offset0:75 offset1:76
	s_wait_loadcnt_dscnt 0x1
	v_mul_f32_e32 v149, v1, v10
	v_mul_f32_e32 v151, v3, v12
	s_delay_alu instid0(VALU_DEP_2) | instskip(NEXT) | instid1(VALU_DEP_2)
	v_fmac_f32_e32 v149, v2, v9
	v_dual_mul_f32 v2, v2, v10 :: v_dual_fmac_f32 v151, v4, v11
	s_delay_alu instid0(VALU_DEP_1) | instskip(SKIP_1) | instid1(VALU_DEP_1)
	v_fma_f32 v150, v1, v9, -v2
	v_mul_f32_e32 v1, v4, v12
	v_fma_f32 v152, v3, v11, -v1
	s_clause 0x1
	scratch_load_b128 v[1:4], off, off offset:232
	scratch_load_b128 v[9:12], off, off offset:248
	s_wait_loadcnt_dscnt 0x100
	v_mul_f32_e32 v153, v5, v2
	v_dual_mul_f32 v2, v6, v2 :: v_dual_mul_f32 v155, v7, v4
	s_delay_alu instid0(VALU_DEP_2) | instskip(NEXT) | instid1(VALU_DEP_2)
	v_fmac_f32_e32 v153, v6, v1
	v_fma_f32 v154, v5, v1, -v2
	v_mul_f32_e32 v1, v8, v4
	s_delay_alu instid0(VALU_DEP_4) | instskip(NEXT) | instid1(VALU_DEP_2)
	v_fmac_f32_e32 v155, v8, v3
	v_fma_f32 v156, v7, v3, -v1
	ds_load_2addr_b64 v[1:4], v21 offset0:77 offset1:78
	ds_load_2addr_b64 v[5:8], v21 offset0:79 offset1:80
	s_wait_loadcnt_dscnt 0x1
	v_mul_f32_e32 v157, v1, v10
	v_mul_f32_e32 v159, v3, v12
	s_delay_alu instid0(VALU_DEP_2) | instskip(NEXT) | instid1(VALU_DEP_2)
	v_fmac_f32_e32 v157, v2, v9
	v_dual_mul_f32 v2, v2, v10 :: v_dual_fmac_f32 v159, v4, v11
	s_delay_alu instid0(VALU_DEP_1) | instskip(SKIP_1) | instid1(VALU_DEP_1)
	v_fma_f32 v158, v1, v9, -v2
	v_mul_f32_e32 v1, v4, v12
	v_fma_f32 v160, v3, v11, -v1
	s_clause 0x1
	scratch_load_b128 v[1:4], off, off offset:264
	scratch_load_b128 v[9:12], off, off offset:280
	s_wait_loadcnt_dscnt 0x100
	v_mul_f32_e32 v161, v5, v2
	v_mul_f32_e32 v2, v6, v2
	s_delay_alu instid0(VALU_DEP_1) | instskip(SKIP_1) | instid1(VALU_DEP_1)
	v_fma_f32 v162, v5, v1, -v2
	v_add_f32_e32 v2, 0, v130
	v_add_f32_e32 v2, v2, v131
	s_delay_alu instid0(VALU_DEP_1) | instskip(NEXT) | instid1(VALU_DEP_1)
	v_add_f32_e32 v2, v2, v25
	v_add_f32_e32 v2, v2, v26
	s_delay_alu instid0(VALU_DEP_1) | instskip(NEXT) | instid1(VALU_DEP_1)
	;; [unrolled: 3-line block ×4, first 2 shown]
	v_add_f32_e32 v2, v2, v15
	v_add_f32_e32 v2, v2, v18
	s_delay_alu instid0(VALU_DEP_1) | instskip(SKIP_2) | instid1(VALU_DEP_3)
	v_add_f32_e32 v2, v2, v19
	v_fmac_f32_e32 v161, v6, v1
	v_mul_f32_e32 v1, v8, v4
	v_add_f32_e32 v2, v2, v20
	v_mul_f32_e32 v163, v7, v4
	s_delay_alu instid0(VALU_DEP_3) | instskip(NEXT) | instid1(VALU_DEP_3)
	v_fma_f32 v164, v7, v3, -v1
	v_dual_add_f32 v1, 0, v22 :: v_dual_add_f32 v2, v2, v133
	s_delay_alu instid0(VALU_DEP_1) | instskip(NEXT) | instid1(VALU_DEP_2)
	v_add_f32_e32 v1, v1, v24
	v_add_f32_e32 v5, v2, v134
	s_delay_alu instid0(VALU_DEP_2) | instskip(NEXT) | instid1(VALU_DEP_1)
	v_add_f32_e32 v1, v1, v120
	v_add_f32_e32 v1, v1, v121
	scratch_load_b64 v[120:121], off, off offset:360
	v_add_f32_e32 v1, v1, v122
	s_delay_alu instid0(VALU_DEP_1) | instskip(NEXT) | instid1(VALU_DEP_1)
	v_add_f32_e32 v1, v1, v123
	v_add_f32_e32 v1, v1, v13
	;; [unrolled: 1-line block ×3, first 2 shown]
	s_delay_alu instid0(VALU_DEP_1) | instskip(NEXT) | instid1(VALU_DEP_1)
	v_add_f32_e32 v13, v13, v139
	v_add_f32_e32 v13, v13, v141
	s_delay_alu instid0(VALU_DEP_1) | instskip(NEXT) | instid1(VALU_DEP_1)
	v_add_f32_e32 v18, v13, v143
	v_dual_add_f32 v18, v18, v145 :: v_dual_add_f32 v1, v1, v14
	s_delay_alu instid0(VALU_DEP_1) | instskip(NEXT) | instid1(VALU_DEP_1)
	v_dual_add_f32 v18, v18, v147 :: v_dual_add_f32 v1, v1, v16
	v_add_f32_e32 v24, v18, v149
	s_delay_alu instid0(VALU_DEP_1) | instskip(NEXT) | instid1(VALU_DEP_1)
	v_dual_add_f32 v1, v1, v17 :: v_dual_add_f32 v24, v24, v151
	v_add_f32_e32 v1, v1, v126
	s_delay_alu instid0(VALU_DEP_1) | instskip(NEXT) | instid1(VALU_DEP_1)
	v_add_f32_e32 v1, v1, v127
	v_add_f32_e32 v1, v1, v135
	s_delay_alu instid0(VALU_DEP_1) | instskip(NEXT) | instid1(VALU_DEP_1)
	v_add_f32_e32 v1, v1, v136
	v_dual_add_f32 v6, v1, v138 :: v_dual_fmac_f32 v163, v8, v3
	scratch_load_b128 v[1:4], off, off offset:296
	v_add_f32_e32 v24, v24, v153
	v_add_f32_e32 v14, v6, v140
	ds_load_2addr_b64 v[5:8], v21 offset0:81 offset1:82
	v_add_f32_e32 v24, v24, v155
	v_add_f32_e32 v14, v14, v142
	s_delay_alu instid0(VALU_DEP_1)
	v_add_f32_e32 v17, v14, v144
	ds_load_2addr_b64 v[13:16], v21 offset0:83 offset1:84
	s_wait_loadcnt_dscnt 0x201
	v_mul_f32_e32 v22, v5, v10
	v_mul_f32_e32 v10, v6, v10
	;; [unrolled: 1-line block ×4, first 2 shown]
	s_delay_alu instid0(VALU_DEP_4) | instskip(NEXT) | instid1(VALU_DEP_4)
	v_fmac_f32_e32 v22, v6, v9
	v_fma_f32 v125, v5, v9, -v10
	s_delay_alu instid0(VALU_DEP_4) | instskip(NEXT) | instid1(VALU_DEP_4)
	v_fmac_f32_e32 v124, v8, v11
	v_fma_f32 v126, v7, v11, -v12
	s_clause 0x1
	scratch_load_b128 v[5:8], off, off offset:312
	scratch_load_b128 v[9:12], off, off offset:328
	s_wait_loadcnt_dscnt 0x200
	v_mul_f32_e32 v127, v13, v2
	v_mul_f32_e32 v2, v14, v2
	;; [unrolled: 1-line block ×3, first 2 shown]
	s_delay_alu instid0(VALU_DEP_3) | instskip(NEXT) | instid1(VALU_DEP_3)
	v_dual_mul_f32 v4, v16, v4 :: v_dual_fmac_f32 v127, v14, v1
	v_fma_f32 v131, v13, v1, -v2
	v_add_f32_e32 v13, v24, v157
	s_delay_alu instid0(VALU_DEP_4) | instskip(NEXT) | instid1(VALU_DEP_4)
	v_fmac_f32_e32 v130, v16, v3
	v_fma_f32 v132, v15, v3, -v4
	ds_load_2addr_b64 v[1:4], v21 offset0:85 offset1:86
	v_add_f32_e32 v24, v13, v159
	s_delay_alu instid0(VALU_DEP_1) | instskip(NEXT) | instid1(VALU_DEP_1)
	v_add_f32_e32 v123, v24, v161
	v_add_f32_e32 v134, v123, v163
	s_delay_alu instid0(VALU_DEP_1) | instskip(NEXT) | instid1(VALU_DEP_1)
	v_add_f32_e32 v22, v134, v22
	v_dual_add_f32 v17, v17, v146 :: v_dual_add_f32 v22, v22, v124
	s_delay_alu instid0(VALU_DEP_1) | instskip(NEXT) | instid1(VALU_DEP_1)
	v_dual_add_f32 v17, v17, v148 :: v_dual_add_f32 v22, v22, v127
	v_add_f32_e32 v17, v17, v150
	s_delay_alu instid0(VALU_DEP_1) | instskip(SKIP_2) | instid1(VALU_DEP_1)
	v_dual_add_f32 v22, v22, v130 :: v_dual_add_f32 v25, v17, v152
	scratch_load_b128 v[17:20], off, off offset:344
	v_add_f32_e32 v25, v25, v154
	v_add_f32_e32 v25, v25, v156
	s_delay_alu instid0(VALU_DEP_1) | instskip(NEXT) | instid1(VALU_DEP_1)
	v_add_f32_e32 v25, v25, v158
	v_add_f32_e32 v14, v25, v160
	ds_load_2addr_b64 v[24:27], v21 offset0:89 offset1:90
	v_add_f32_e32 v122, v14, v162
	ds_load_2addr_b64 v[13:16], v21 offset0:87 offset1:88
	s_wait_loadcnt_dscnt 0x202
	v_mul_f32_e32 v124, v3, v8
	v_mul_f32_e32 v8, v4, v8
	v_add_f32_e32 v133, v122, v164
	ds_load_b64 v[122:123], v21 offset:728
	v_dual_fmac_f32 v124, v4, v7 :: v_dual_add_f32 v125, v133, v125
	s_delay_alu instid0(VALU_DEP_1)
	v_add_f32_e32 v125, v125, v126
	s_wait_loadcnt_dscnt 0x101
	v_mul_f32_e32 v126, v13, v10
	v_mul_f32_e32 v133, v1, v6
	v_dual_mul_f32 v6, v2, v6 :: v_dual_mul_f32 v127, v15, v12
	s_wait_dscnt 0x0
	v_mul_f32_e32 v130, v122, v121
	v_fmac_f32_e32 v126, v14, v9
	v_fmac_f32_e32 v133, v2, v5
	v_fma_f32 v1, v1, v5, -v6
	v_fma_f32 v2, v3, v7, -v8
	v_dual_fmac_f32 v130, v123, v120 :: v_dual_mul_f32 v3, v14, v10
	s_delay_alu instid0(VALU_DEP_4) | instskip(NEXT) | instid1(VALU_DEP_2)
	v_dual_add_f32 v4, v22, v133 :: v_dual_add_f32 v125, v125, v131
	v_fma_f32 v3, v13, v9, -v3
	s_delay_alu instid0(VALU_DEP_2) | instskip(SKIP_2) | instid1(VALU_DEP_1)
	v_add_f32_e32 v125, v125, v132
	s_wait_loadcnt 0x0
	v_mul_f32_e32 v132, v26, v20
	v_dual_fmac_f32 v132, v27, v19 :: v_dual_add_f32 v1, v125, v1
	s_delay_alu instid0(VALU_DEP_1) | instskip(SKIP_1) | instid1(VALU_DEP_2)
	v_dual_add_f32 v1, v1, v2 :: v_dual_add_f32 v2, v4, v124
	v_dual_mul_f32 v4, v25, v18 :: v_dual_fmac_f32 v127, v16, v11
	v_add_f32_e32 v2, v2, v126
	v_mul_f32_e32 v131, v24, v18
	s_delay_alu instid0(VALU_DEP_3) | instskip(NEXT) | instid1(VALU_DEP_2)
	v_fma_f32 v4, v24, v17, -v4
	v_dual_add_f32 v2, v2, v127 :: v_dual_fmac_f32 v131, v25, v17
	s_delay_alu instid0(VALU_DEP_1) | instskip(NEXT) | instid1(VALU_DEP_1)
	v_add_f32_e32 v2, v2, v131
	v_add_f32_e32 v2, v2, v132
	v_mul_f32_e32 v5, v16, v12
	v_add_f32_e32 v1, v1, v3
	s_delay_alu instid0(VALU_DEP_3) | instskip(NEXT) | instid1(VALU_DEP_3)
	v_dual_mul_f32 v3, v27, v20 :: v_dual_add_f32 v2, v2, v130
	v_fma_f32 v5, v15, v11, -v5
	s_delay_alu instid0(VALU_DEP_2) | instskip(NEXT) | instid1(VALU_DEP_3)
	v_fma_f32 v3, v26, v19, -v3
	v_sub_f32_e32 v2, v129, v2
	s_delay_alu instid0(VALU_DEP_3) | instskip(SKIP_1) | instid1(VALU_DEP_2)
	v_add_f32_e32 v1, v1, v5
	v_mul_f32_e32 v5, v123, v121
	v_add_f32_e32 v1, v1, v4
	s_delay_alu instid0(VALU_DEP_2) | instskip(NEXT) | instid1(VALU_DEP_2)
	v_fma_f32 v4, v122, v120, -v5
	v_add_f32_e32 v1, v1, v3
	s_delay_alu instid0(VALU_DEP_1) | instskip(NEXT) | instid1(VALU_DEP_1)
	v_add_f32_e32 v1, v1, v4
	v_sub_f32_e32 v1, v128, v1
	scratch_store_b64 off, v[1:2], off offset:48
	v_cmpx_lt_u32_e32 5, v0
	s_cbranch_execz .LBB45_279
; %bb.278:
	scratch_load_b64 v[1:2], off, off offset:40
	v_mov_b32_e32 v22, v21
	scratch_store_b64 off, v[21:22], off offset:40
	s_wait_loadcnt 0x0
	ds_store_b64 v23, v[1:2]
.LBB45_279:
	s_wait_alu 0xfffe
	s_or_b32 exec_lo, exec_lo, s0
	s_wait_storecnt_dscnt 0x0
	s_barrier_signal -1
	s_barrier_wait -1
	global_inv scope:SCOPE_SE
	s_clause 0x4
	scratch_load_b128 v[5:8], off, off offset:48
	scratch_load_b128 v[1:4], off, off offset:64
	;; [unrolled: 1-line block ×5, first 2 shown]
	ds_load_b128 v[24:27], v21 offset:416
	ds_load_b128 v[120:123], v21 offset:432
	;; [unrolled: 1-line block ×3, first 2 shown]
	scratch_load_b64 v[128:129], off, off offset:40
	s_mov_b32 s0, exec_lo
	s_wait_loadcnt_dscnt 0x502
	v_dual_mul_f32 v22, v25, v6 :: v_dual_mul_f32 v131, v26, v8
	v_mul_f32_e32 v130, v24, v6
	v_mul_f32_e32 v6, v27, v8
	s_wait_loadcnt_dscnt 0x300
	v_mul_f32_e32 v132, v126, v12
	v_fma_f32 v22, v24, v5, -v22
	v_dual_fmac_f32 v131, v27, v7 :: v_dual_fmac_f32 v130, v25, v5
	v_mul_f32_e32 v27, v124, v10
	v_mul_f32_e32 v25, v120, v2
	v_fma_f32 v24, v26, v7, -v6
	ds_load_b128 v[5:8], v21 offset:464
	v_mul_f32_e32 v26, v122, v4
	v_dual_mul_f32 v4, v123, v4 :: v_dual_fmac_f32 v27, v125, v9
	v_mul_f32_e32 v10, v125, v10
	v_mul_f32_e32 v12, v127, v12
	;; [unrolled: 1-line block ×3, first 2 shown]
	v_dual_fmac_f32 v25, v121, v1 :: v_dual_fmac_f32 v26, v123, v3
	v_fma_f32 v121, v122, v3, -v4
	v_fma_f32 v122, v124, v9, -v10
	v_fmac_f32_e32 v132, v127, v11
	v_fma_f32 v123, v126, v11, -v12
	ds_load_b128 v[9:12], v21 offset:480
	s_wait_loadcnt_dscnt 0x201
	v_mul_f32_e32 v125, v7, v16
	v_fma_f32 v120, v120, v1, -v2
	scratch_load_b128 v[1:4], off, off offset:128
	v_mul_f32_e32 v124, v5, v14
	v_mul_f32_e32 v14, v6, v14
	;; [unrolled: 1-line block ×3, first 2 shown]
	s_delay_alu instid0(VALU_DEP_3) | instskip(NEXT) | instid1(VALU_DEP_3)
	v_dual_fmac_f32 v125, v8, v15 :: v_dual_fmac_f32 v124, v6, v13
	v_fma_f32 v13, v5, v13, -v14
	s_delay_alu instid0(VALU_DEP_3)
	v_fma_f32 v14, v7, v15, -v16
	ds_load_b128 v[5:8], v21 offset:496
	s_wait_loadcnt_dscnt 0x201
	v_mul_f32_e32 v15, v9, v18
	v_mul_f32_e32 v16, v10, v18
	v_mul_f32_e32 v18, v11, v20
	s_delay_alu instid0(VALU_DEP_3) | instskip(NEXT) | instid1(VALU_DEP_3)
	v_dual_mul_f32 v20, v12, v20 :: v_dual_fmac_f32 v15, v10, v17
	v_fma_f32 v16, v9, v17, -v16
	s_delay_alu instid0(VALU_DEP_3) | instskip(NEXT) | instid1(VALU_DEP_3)
	v_fmac_f32_e32 v18, v12, v19
	v_fma_f32 v17, v11, v19, -v20
	scratch_load_b128 v[9:12], off, off offset:144
	s_wait_loadcnt_dscnt 0x100
	v_mul_f32_e32 v19, v5, v2
	v_mul_f32_e32 v2, v6, v2
	;; [unrolled: 1-line block ×3, first 2 shown]
	s_delay_alu instid0(VALU_DEP_3) | instskip(NEXT) | instid1(VALU_DEP_3)
	v_dual_mul_f32 v4, v8, v4 :: v_dual_fmac_f32 v19, v6, v1
	v_fma_f32 v126, v5, v1, -v2
	s_delay_alu instid0(VALU_DEP_3) | instskip(NEXT) | instid1(VALU_DEP_3)
	v_fmac_f32_e32 v20, v8, v3
	v_fma_f32 v127, v7, v3, -v4
	ds_load_b128 v[1:4], v21 offset:512
	ds_load_b128 v[5:8], v21 offset:528
	s_wait_loadcnt_dscnt 0x1
	v_mul_f32_e32 v133, v1, v10
	v_mul_f32_e32 v10, v2, v10
	s_delay_alu instid0(VALU_DEP_2) | instskip(NEXT) | instid1(VALU_DEP_2)
	v_dual_mul_f32 v134, v3, v12 :: v_dual_fmac_f32 v133, v2, v9
	v_fma_f32 v135, v1, v9, -v10
	v_mul_f32_e32 v1, v4, v12
	s_delay_alu instid0(VALU_DEP_3) | instskip(NEXT) | instid1(VALU_DEP_2)
	v_fmac_f32_e32 v134, v4, v11
	v_fma_f32 v136, v3, v11, -v1
	s_clause 0x1
	scratch_load_b128 v[1:4], off, off offset:160
	scratch_load_b128 v[9:12], off, off offset:176
	s_wait_loadcnt_dscnt 0x100
	v_mul_f32_e32 v137, v5, v2
	v_dual_mul_f32 v2, v6, v2 :: v_dual_mul_f32 v139, v7, v4
	s_delay_alu instid0(VALU_DEP_2) | instskip(NEXT) | instid1(VALU_DEP_2)
	v_fmac_f32_e32 v137, v6, v1
	v_fma_f32 v138, v5, v1, -v2
	v_mul_f32_e32 v1, v8, v4
	s_delay_alu instid0(VALU_DEP_4) | instskip(NEXT) | instid1(VALU_DEP_2)
	v_fmac_f32_e32 v139, v8, v3
	v_fma_f32 v140, v7, v3, -v1
	ds_load_b128 v[1:4], v21 offset:544
	ds_load_b128 v[5:8], v21 offset:560
	s_wait_loadcnt_dscnt 0x1
	v_mul_f32_e32 v141, v1, v10
	v_mul_f32_e32 v143, v3, v12
	s_delay_alu instid0(VALU_DEP_2) | instskip(NEXT) | instid1(VALU_DEP_2)
	v_fmac_f32_e32 v141, v2, v9
	v_dual_mul_f32 v2, v2, v10 :: v_dual_fmac_f32 v143, v4, v11
	s_delay_alu instid0(VALU_DEP_1) | instskip(SKIP_1) | instid1(VALU_DEP_1)
	v_fma_f32 v142, v1, v9, -v2
	v_mul_f32_e32 v1, v4, v12
	v_fma_f32 v144, v3, v11, -v1
	s_clause 0x1
	scratch_load_b128 v[1:4], off, off offset:192
	scratch_load_b128 v[9:12], off, off offset:208
	s_wait_loadcnt_dscnt 0x100
	v_mul_f32_e32 v145, v5, v2
	v_dual_mul_f32 v2, v6, v2 :: v_dual_mul_f32 v147, v7, v4
	s_delay_alu instid0(VALU_DEP_2) | instskip(NEXT) | instid1(VALU_DEP_2)
	v_fmac_f32_e32 v145, v6, v1
	v_fma_f32 v146, v5, v1, -v2
	v_mul_f32_e32 v1, v8, v4
	s_delay_alu instid0(VALU_DEP_4) | instskip(NEXT) | instid1(VALU_DEP_2)
	v_fmac_f32_e32 v147, v8, v3
	v_fma_f32 v148, v7, v3, -v1
	ds_load_b128 v[1:4], v21 offset:576
	ds_load_b128 v[5:8], v21 offset:592
	s_wait_loadcnt_dscnt 0x1
	v_mul_f32_e32 v149, v1, v10
	v_mul_f32_e32 v151, v3, v12
	s_delay_alu instid0(VALU_DEP_2) | instskip(NEXT) | instid1(VALU_DEP_2)
	v_fmac_f32_e32 v149, v2, v9
	v_dual_mul_f32 v2, v2, v10 :: v_dual_fmac_f32 v151, v4, v11
	s_delay_alu instid0(VALU_DEP_1) | instskip(SKIP_1) | instid1(VALU_DEP_1)
	v_fma_f32 v150, v1, v9, -v2
	v_mul_f32_e32 v1, v4, v12
	;; [unrolled: 25-line block ×4, first 2 shown]
	v_fma_f32 v168, v3, v11, -v1
	s_clause 0x1
	scratch_load_b128 v[1:4], off, off offset:288
	scratch_load_b128 v[9:12], off, off offset:304
	s_wait_loadcnt_dscnt 0x100
	v_mul_f32_e32 v169, v5, v2
	v_mul_f32_e32 v2, v6, v2
	s_delay_alu instid0(VALU_DEP_1) | instskip(SKIP_1) | instid1(VALU_DEP_1)
	v_fma_f32 v170, v5, v1, -v2
	v_add_f32_e32 v2, 0, v130
	v_add_f32_e32 v2, v2, v131
	s_delay_alu instid0(VALU_DEP_1) | instskip(NEXT) | instid1(VALU_DEP_1)
	v_add_f32_e32 v2, v2, v25
	v_add_f32_e32 v2, v2, v26
	s_delay_alu instid0(VALU_DEP_1) | instskip(NEXT) | instid1(VALU_DEP_1)
	;; [unrolled: 3-line block ×7, first 2 shown]
	v_add_f32_e32 v2, v2, v137
	v_add_f32_e32 v2, v2, v139
	v_fmac_f32_e32 v169, v6, v1
	v_mul_f32_e32 v1, v8, v4
	s_delay_alu instid0(VALU_DEP_1) | instskip(SKIP_1) | instid1(VALU_DEP_1)
	v_fma_f32 v172, v7, v3, -v1
	v_add_f32_e32 v1, 0, v22
	v_add_f32_e32 v1, v1, v24
	s_delay_alu instid0(VALU_DEP_1) | instskip(NEXT) | instid1(VALU_DEP_1)
	v_add_f32_e32 v1, v1, v120
	v_add_f32_e32 v1, v1, v121
	s_delay_alu instid0(VALU_DEP_1) | instskip(NEXT) | instid1(VALU_DEP_1)
	;; [unrolled: 3-line block ×9, first 2 shown]
	v_dual_mul_f32 v171, v7, v4 :: v_dual_add_f32 v6, v6, v146
	v_add_f32_e32 v13, v6, v148
	s_delay_alu instid0(VALU_DEP_1) | instskip(NEXT) | instid1(VALU_DEP_1)
	v_add_f32_e32 v13, v13, v150
	v_add_f32_e32 v13, v13, v152
	s_delay_alu instid0(VALU_DEP_1) | instskip(NEXT) | instid1(VALU_DEP_1)
	v_add_f32_e32 v13, v13, v154
	v_dual_add_f32 v5, v2, v141 :: v_dual_add_f32 v18, v13, v156
	s_delay_alu instid0(VALU_DEP_1) | instskip(NEXT) | instid1(VALU_DEP_1)
	v_dual_add_f32 v5, v5, v143 :: v_dual_add_f32 v18, v18, v158
	v_dual_add_f32 v5, v5, v145 :: v_dual_add_f32 v18, v18, v160
	s_delay_alu instid0(VALU_DEP_1)
	v_add_f32_e32 v14, v5, v147
	v_fmac_f32_e32 v171, v8, v3
	ds_load_b128 v[1:4], v21 offset:672
	ds_load_b128 v[5:8], v21 offset:688
	v_add_f32_e32 v24, v18, v162
	v_add_f32_e32 v14, v14, v149
	s_delay_alu instid0(VALU_DEP_1)
	v_add_f32_e32 v14, v14, v151
	s_wait_loadcnt_dscnt 0x1
	v_mul_f32_e32 v22, v1, v10
	v_mul_f32_e32 v120, v3, v12
	;; [unrolled: 1-line block ×4, first 2 shown]
	s_delay_alu instid0(VALU_DEP_4) | instskip(NEXT) | instid1(VALU_DEP_4)
	v_fmac_f32_e32 v22, v2, v9
	v_fmac_f32_e32 v120, v4, v11
	s_delay_alu instid0(VALU_DEP_4) | instskip(NEXT) | instid1(VALU_DEP_4)
	v_fma_f32 v121, v1, v9, -v10
	v_fma_f32 v122, v3, v11, -v12
	s_clause 0x1
	scratch_load_b128 v[1:4], off, off offset:320
	scratch_load_b128 v[9:12], off, off offset:336
	v_add_f32_e32 v17, v14, v153
	scratch_load_b128 v[13:16], off, off offset:352
	v_add_f32_e32 v17, v17, v155
	s_delay_alu instid0(VALU_DEP_1) | instskip(NEXT) | instid1(VALU_DEP_1)
	v_add_f32_e32 v17, v17, v157
	v_add_f32_e32 v17, v17, v159
	s_delay_alu instid0(VALU_DEP_1)
	v_add_f32_e32 v25, v17, v161
	ds_load_b128 v[17:20], v21 offset:704
	v_dual_add_f32 v123, v24, v164 :: v_dual_add_f32 v124, v25, v163
	ds_load_b128 v[24:27], v21 offset:720
	s_wait_loadcnt_dscnt 0x101
	v_dual_mul_f32 v125, v7, v4 :: v_dual_mul_f32 v126, v17, v10
	v_add_f32_e32 v21, v123, v166
	v_add_f32_e32 v123, v124, v165
	s_wait_loadcnt_dscnt 0x0
	v_mul_f32_e32 v130, v24, v14
	v_mul_f32_e32 v124, v5, v2
	v_dual_mul_f32 v2, v6, v2 :: v_dual_add_f32 v21, v21, v168
	s_delay_alu instid0(VALU_DEP_3) | instskip(SKIP_1) | instid1(VALU_DEP_3)
	v_dual_add_f32 v123, v123, v167 :: v_dual_fmac_f32 v130, v25, v13
	v_mul_f32_e32 v4, v8, v4
	v_fma_f32 v2, v5, v1, -v2
	s_delay_alu instid0(VALU_DEP_4) | instskip(NEXT) | instid1(VALU_DEP_4)
	v_add_f32_e32 v21, v21, v170
	v_add_f32_e32 v123, v123, v169
	v_fmac_f32_e32 v124, v6, v1
	v_dual_mul_f32 v6, v18, v10 :: v_dual_fmac_f32 v125, v8, v3
	s_delay_alu instid0(VALU_DEP_4) | instskip(NEXT) | instid1(VALU_DEP_4)
	v_add_f32_e32 v21, v21, v172
	v_add_f32_e32 v123, v123, v171
	v_fma_f32 v3, v7, v3, -v4
	v_mul_f32_e32 v127, v19, v12
	s_delay_alu instid0(VALU_DEP_4) | instskip(NEXT) | instid1(VALU_DEP_4)
	v_dual_mul_f32 v4, v20, v12 :: v_dual_add_f32 v21, v21, v121
	v_add_f32_e32 v22, v123, v22
	s_delay_alu instid0(VALU_DEP_3) | instskip(NEXT) | instid1(VALU_DEP_3)
	v_dual_fmac_f32 v126, v18, v9 :: v_dual_fmac_f32 v127, v20, v11
	v_fma_f32 v4, v19, v11, -v4
	s_delay_alu instid0(VALU_DEP_4) | instskip(NEXT) | instid1(VALU_DEP_4)
	v_add_f32_e32 v1, v21, v122
	v_add_f32_e32 v5, v22, v120
	v_mul_f32_e32 v121, v26, v16
	s_delay_alu instid0(VALU_DEP_3) | instskip(NEXT) | instid1(VALU_DEP_3)
	v_add_f32_e32 v1, v1, v2
	v_add_f32_e32 v2, v5, v124
	v_fma_f32 v5, v17, v9, -v6
	s_delay_alu instid0(VALU_DEP_4) | instskip(NEXT) | instid1(VALU_DEP_3)
	v_fmac_f32_e32 v121, v27, v15
	v_dual_add_f32 v1, v1, v3 :: v_dual_add_f32 v2, v2, v125
	v_mul_f32_e32 v3, v25, v14
	s_delay_alu instid0(VALU_DEP_2) | instskip(SKIP_1) | instid1(VALU_DEP_3)
	v_dual_add_f32 v1, v1, v5 :: v_dual_add_f32 v2, v2, v126
	v_mul_f32_e32 v5, v27, v16
	v_fma_f32 v3, v24, v13, -v3
	s_delay_alu instid0(VALU_DEP_3) | instskip(NEXT) | instid1(VALU_DEP_3)
	v_dual_add_f32 v1, v1, v4 :: v_dual_add_f32 v2, v2, v127
	v_fma_f32 v4, v26, v15, -v5
	s_delay_alu instid0(VALU_DEP_2) | instskip(NEXT) | instid1(VALU_DEP_1)
	v_dual_add_f32 v1, v1, v3 :: v_dual_add_f32 v2, v2, v130
	v_dual_add_f32 v1, v1, v4 :: v_dual_add_f32 v2, v2, v121
	s_delay_alu instid0(VALU_DEP_1)
	v_dual_sub_f32 v1, v128, v1 :: v_dual_sub_f32 v2, v129, v2
	scratch_store_b64 off, v[1:2], off offset:40
	v_cmpx_lt_u32_e32 4, v0
	s_cbranch_execz .LBB45_281
; %bb.280:
	scratch_load_b64 v[1:2], off, off offset:32
	v_mov_b32_e32 v3, 0
	s_delay_alu instid0(VALU_DEP_1)
	v_mov_b32_e32 v4, v3
	scratch_store_b64 off, v[3:4], off offset:32
	s_wait_loadcnt 0x0
	ds_store_b64 v23, v[1:2]
.LBB45_281:
	s_wait_alu 0xfffe
	s_or_b32 exec_lo, exec_lo, s0
	s_wait_storecnt_dscnt 0x0
	s_barrier_signal -1
	s_barrier_wait -1
	global_inv scope:SCOPE_SE
	s_clause 0x4
	scratch_load_b128 v[5:8], off, off offset:40
	scratch_load_b128 v[1:4], off, off offset:56
	;; [unrolled: 1-line block ×5, first 2 shown]
	v_mov_b32_e32 v21, 0
	ds_load_2addr_b64 v[24:27], v21 offset0:51 offset1:52
	ds_load_2addr_b64 v[120:123], v21 offset0:53 offset1:54
	;; [unrolled: 1-line block ×3, first 2 shown]
	scratch_load_b64 v[128:129], off, off offset:32
	s_mov_b32 s0, exec_lo
	s_wait_loadcnt_dscnt 0x502
	v_mul_f32_e32 v22, v25, v6
	v_dual_mul_f32 v130, v24, v6 :: v_dual_mul_f32 v131, v26, v8
	v_mul_f32_e32 v6, v27, v8
	s_delay_alu instid0(VALU_DEP_3) | instskip(NEXT) | instid1(VALU_DEP_3)
	v_fma_f32 v22, v24, v5, -v22
	v_dual_fmac_f32 v130, v25, v5 :: v_dual_fmac_f32 v131, v27, v7
	s_wait_loadcnt_dscnt 0x401
	v_mul_f32_e32 v25, v120, v2
	v_fma_f32 v24, v26, v7, -v6
	ds_load_2addr_b64 v[5:8], v21 offset0:57 offset1:58
	s_wait_loadcnt_dscnt 0x301
	v_dual_mul_f32 v26, v122, v4 :: v_dual_mul_f32 v27, v124, v10
	v_dual_mul_f32 v4, v123, v4 :: v_dual_fmac_f32 v25, v121, v1
	v_mul_f32_e32 v10, v125, v10
	s_delay_alu instid0(VALU_DEP_3)
	v_dual_mul_f32 v132, v126, v12 :: v_dual_fmac_f32 v27, v125, v9
	v_mul_f32_e32 v12, v127, v12
	v_mul_f32_e32 v2, v121, v2
	v_fmac_f32_e32 v26, v123, v3
	v_fma_f32 v121, v122, v3, -v4
	v_fma_f32 v122, v124, v9, -v10
	v_fmac_f32_e32 v132, v127, v11
	v_fma_f32 v123, v126, v11, -v12
	ds_load_2addr_b64 v[9:12], v21 offset0:59 offset1:60
	s_wait_loadcnt_dscnt 0x201
	v_mul_f32_e32 v125, v7, v16
	v_fma_f32 v120, v120, v1, -v2
	scratch_load_b128 v[1:4], off, off offset:120
	v_mul_f32_e32 v124, v5, v14
	v_mul_f32_e32 v14, v6, v14
	v_mul_f32_e32 v16, v8, v16
	s_delay_alu instid0(VALU_DEP_3) | instskip(NEXT) | instid1(VALU_DEP_3)
	v_dual_fmac_f32 v125, v8, v15 :: v_dual_fmac_f32 v124, v6, v13
	v_fma_f32 v13, v5, v13, -v14
	s_delay_alu instid0(VALU_DEP_3)
	v_fma_f32 v14, v7, v15, -v16
	ds_load_2addr_b64 v[5:8], v21 offset0:61 offset1:62
	s_wait_loadcnt_dscnt 0x201
	v_mul_f32_e32 v15, v9, v18
	v_mul_f32_e32 v16, v10, v18
	;; [unrolled: 1-line block ×3, first 2 shown]
	s_delay_alu instid0(VALU_DEP_3) | instskip(NEXT) | instid1(VALU_DEP_3)
	v_dual_mul_f32 v20, v12, v20 :: v_dual_fmac_f32 v15, v10, v17
	v_fma_f32 v16, v9, v17, -v16
	s_delay_alu instid0(VALU_DEP_3) | instskip(NEXT) | instid1(VALU_DEP_3)
	v_fmac_f32_e32 v18, v12, v19
	v_fma_f32 v17, v11, v19, -v20
	scratch_load_b128 v[9:12], off, off offset:136
	s_wait_loadcnt_dscnt 0x100
	v_mul_f32_e32 v19, v5, v2
	v_mul_f32_e32 v2, v6, v2
	;; [unrolled: 1-line block ×3, first 2 shown]
	s_delay_alu instid0(VALU_DEP_3) | instskip(NEXT) | instid1(VALU_DEP_3)
	v_dual_mul_f32 v4, v8, v4 :: v_dual_fmac_f32 v19, v6, v1
	v_fma_f32 v126, v5, v1, -v2
	s_delay_alu instid0(VALU_DEP_3) | instskip(NEXT) | instid1(VALU_DEP_3)
	v_fmac_f32_e32 v20, v8, v3
	v_fma_f32 v127, v7, v3, -v4
	ds_load_2addr_b64 v[1:4], v21 offset0:63 offset1:64
	ds_load_2addr_b64 v[5:8], v21 offset0:65 offset1:66
	s_wait_loadcnt_dscnt 0x1
	v_mul_f32_e32 v133, v1, v10
	v_mul_f32_e32 v10, v2, v10
	s_delay_alu instid0(VALU_DEP_2) | instskip(NEXT) | instid1(VALU_DEP_2)
	v_dual_mul_f32 v134, v3, v12 :: v_dual_fmac_f32 v133, v2, v9
	v_fma_f32 v135, v1, v9, -v10
	v_mul_f32_e32 v1, v4, v12
	s_delay_alu instid0(VALU_DEP_3) | instskip(NEXT) | instid1(VALU_DEP_2)
	v_fmac_f32_e32 v134, v4, v11
	v_fma_f32 v136, v3, v11, -v1
	s_clause 0x1
	scratch_load_b128 v[1:4], off, off offset:152
	scratch_load_b128 v[9:12], off, off offset:168
	s_wait_loadcnt_dscnt 0x100
	v_mul_f32_e32 v137, v5, v2
	v_dual_mul_f32 v2, v6, v2 :: v_dual_mul_f32 v139, v7, v4
	s_delay_alu instid0(VALU_DEP_2) | instskip(NEXT) | instid1(VALU_DEP_2)
	v_fmac_f32_e32 v137, v6, v1
	v_fma_f32 v138, v5, v1, -v2
	v_mul_f32_e32 v1, v8, v4
	s_delay_alu instid0(VALU_DEP_4) | instskip(NEXT) | instid1(VALU_DEP_2)
	v_fmac_f32_e32 v139, v8, v3
	v_fma_f32 v140, v7, v3, -v1
	ds_load_2addr_b64 v[1:4], v21 offset0:67 offset1:68
	ds_load_2addr_b64 v[5:8], v21 offset0:69 offset1:70
	s_wait_loadcnt_dscnt 0x1
	v_mul_f32_e32 v141, v1, v10
	v_mul_f32_e32 v143, v3, v12
	s_delay_alu instid0(VALU_DEP_2) | instskip(NEXT) | instid1(VALU_DEP_2)
	v_fmac_f32_e32 v141, v2, v9
	v_dual_mul_f32 v2, v2, v10 :: v_dual_fmac_f32 v143, v4, v11
	s_delay_alu instid0(VALU_DEP_1) | instskip(SKIP_1) | instid1(VALU_DEP_1)
	v_fma_f32 v142, v1, v9, -v2
	v_mul_f32_e32 v1, v4, v12
	v_fma_f32 v144, v3, v11, -v1
	s_clause 0x1
	scratch_load_b128 v[1:4], off, off offset:184
	scratch_load_b128 v[9:12], off, off offset:200
	s_wait_loadcnt_dscnt 0x100
	v_mul_f32_e32 v145, v5, v2
	v_dual_mul_f32 v147, v7, v4 :: v_dual_mul_f32 v2, v6, v2
	s_delay_alu instid0(VALU_DEP_2) | instskip(NEXT) | instid1(VALU_DEP_2)
	v_fmac_f32_e32 v145, v6, v1
	v_fmac_f32_e32 v147, v8, v3
	s_delay_alu instid0(VALU_DEP_3) | instskip(SKIP_1) | instid1(VALU_DEP_1)
	v_fma_f32 v146, v5, v1, -v2
	v_mul_f32_e32 v1, v8, v4
	v_fma_f32 v148, v7, v3, -v1
	ds_load_2addr_b64 v[1:4], v21 offset0:71 offset1:72
	ds_load_2addr_b64 v[5:8], v21 offset0:73 offset1:74
	s_wait_loadcnt_dscnt 0x1
	v_mul_f32_e32 v149, v1, v10
	v_mul_f32_e32 v151, v3, v12
	s_delay_alu instid0(VALU_DEP_2) | instskip(NEXT) | instid1(VALU_DEP_2)
	v_fmac_f32_e32 v149, v2, v9
	v_dual_mul_f32 v2, v2, v10 :: v_dual_fmac_f32 v151, v4, v11
	s_delay_alu instid0(VALU_DEP_1) | instskip(SKIP_1) | instid1(VALU_DEP_1)
	v_fma_f32 v150, v1, v9, -v2
	v_mul_f32_e32 v1, v4, v12
	v_fma_f32 v152, v3, v11, -v1
	s_clause 0x1
	scratch_load_b128 v[1:4], off, off offset:216
	scratch_load_b128 v[9:12], off, off offset:232
	s_wait_loadcnt_dscnt 0x100
	v_mul_f32_e32 v153, v5, v2
	v_dual_mul_f32 v2, v6, v2 :: v_dual_mul_f32 v155, v7, v4
	s_delay_alu instid0(VALU_DEP_2) | instskip(NEXT) | instid1(VALU_DEP_2)
	v_fmac_f32_e32 v153, v6, v1
	v_fma_f32 v154, v5, v1, -v2
	v_mul_f32_e32 v1, v8, v4
	s_delay_alu instid0(VALU_DEP_4) | instskip(NEXT) | instid1(VALU_DEP_2)
	v_fmac_f32_e32 v155, v8, v3
	v_fma_f32 v156, v7, v3, -v1
	ds_load_2addr_b64 v[1:4], v21 offset0:75 offset1:76
	ds_load_2addr_b64 v[5:8], v21 offset0:77 offset1:78
	s_wait_loadcnt_dscnt 0x1
	v_mul_f32_e32 v157, v1, v10
	v_mul_f32_e32 v159, v3, v12
	s_delay_alu instid0(VALU_DEP_2) | instskip(NEXT) | instid1(VALU_DEP_2)
	v_fmac_f32_e32 v157, v2, v9
	v_dual_mul_f32 v2, v2, v10 :: v_dual_fmac_f32 v159, v4, v11
	s_delay_alu instid0(VALU_DEP_1) | instskip(SKIP_1) | instid1(VALU_DEP_1)
	v_fma_f32 v158, v1, v9, -v2
	v_mul_f32_e32 v1, v4, v12
	v_fma_f32 v160, v3, v11, -v1
	s_clause 0x1
	scratch_load_b128 v[1:4], off, off offset:248
	scratch_load_b128 v[9:12], off, off offset:264
	s_wait_loadcnt_dscnt 0x100
	v_mul_f32_e32 v161, v5, v2
	v_dual_mul_f32 v2, v6, v2 :: v_dual_mul_f32 v163, v7, v4
	s_delay_alu instid0(VALU_DEP_2) | instskip(NEXT) | instid1(VALU_DEP_2)
	v_fmac_f32_e32 v161, v6, v1
	v_fma_f32 v162, v5, v1, -v2
	v_mul_f32_e32 v1, v8, v4
	s_delay_alu instid0(VALU_DEP_4) | instskip(NEXT) | instid1(VALU_DEP_2)
	v_fmac_f32_e32 v163, v8, v3
	v_fma_f32 v164, v7, v3, -v1
	ds_load_2addr_b64 v[1:4], v21 offset0:79 offset1:80
	ds_load_2addr_b64 v[5:8], v21 offset0:81 offset1:82
	s_wait_loadcnt_dscnt 0x1
	v_mul_f32_e32 v165, v1, v10
	v_mul_f32_e32 v167, v3, v12
	s_delay_alu instid0(VALU_DEP_2) | instskip(NEXT) | instid1(VALU_DEP_2)
	v_fmac_f32_e32 v165, v2, v9
	v_dual_mul_f32 v2, v2, v10 :: v_dual_fmac_f32 v167, v4, v11
	s_delay_alu instid0(VALU_DEP_1) | instskip(SKIP_1) | instid1(VALU_DEP_1)
	v_fma_f32 v166, v1, v9, -v2
	v_mul_f32_e32 v1, v4, v12
	v_fma_f32 v168, v3, v11, -v1
	s_clause 0x1
	scratch_load_b128 v[1:4], off, off offset:280
	scratch_load_b128 v[9:12], off, off offset:296
	s_wait_loadcnt_dscnt 0x100
	v_mul_f32_e32 v169, v5, v2
	v_mul_f32_e32 v2, v6, v2
	s_delay_alu instid0(VALU_DEP_2) | instskip(NEXT) | instid1(VALU_DEP_2)
	v_fmac_f32_e32 v169, v6, v1
	v_fma_f32 v170, v5, v1, -v2
	v_dual_add_f32 v2, 0, v130 :: v_dual_mul_f32 v1, v8, v4
	s_delay_alu instid0(VALU_DEP_1) | instskip(NEXT) | instid1(VALU_DEP_2)
	v_add_f32_e32 v2, v2, v131
	v_fma_f32 v172, v7, v3, -v1
	s_delay_alu instid0(VALU_DEP_2) | instskip(NEXT) | instid1(VALU_DEP_1)
	v_dual_add_f32 v1, 0, v22 :: v_dual_add_f32 v2, v2, v25
	v_dual_add_f32 v1, v1, v24 :: v_dual_add_f32 v2, v2, v26
	s_delay_alu instid0(VALU_DEP_1) | instskip(NEXT) | instid1(VALU_DEP_1)
	v_dual_add_f32 v1, v1, v120 :: v_dual_add_f32 v2, v2, v27
	v_add_f32_e32 v1, v1, v121
	scratch_load_b64 v[120:121], off, off offset:360
	v_dual_add_f32 v2, v2, v132 :: v_dual_add_f32 v1, v1, v122
	s_delay_alu instid0(VALU_DEP_1) | instskip(NEXT) | instid1(VALU_DEP_1)
	v_dual_add_f32 v2, v2, v124 :: v_dual_add_f32 v1, v1, v123
	v_add_f32_e32 v2, v2, v125
	s_delay_alu instid0(VALU_DEP_1) | instskip(NEXT) | instid1(VALU_DEP_1)
	v_dual_add_f32 v1, v1, v13 :: v_dual_add_f32 v2, v2, v15
	v_add_f32_e32 v2, v2, v18
	s_delay_alu instid0(VALU_DEP_1) | instskip(NEXT) | instid1(VALU_DEP_1)
	v_add_f32_e32 v2, v2, v19
	v_add_f32_e32 v2, v2, v20
	s_delay_alu instid0(VALU_DEP_1) | instskip(NEXT) | instid1(VALU_DEP_1)
	v_add_f32_e32 v2, v2, v133
	v_add_f32_e32 v2, v2, v134
	s_delay_alu instid0(VALU_DEP_1) | instskip(NEXT) | instid1(VALU_DEP_1)
	v_dual_add_f32 v2, v2, v137 :: v_dual_add_f32 v1, v1, v14
	v_dual_add_f32 v2, v2, v139 :: v_dual_add_f32 v1, v1, v16
	s_delay_alu instid0(VALU_DEP_1) | instskip(NEXT) | instid1(VALU_DEP_1)
	v_add_f32_e32 v1, v1, v17
	v_add_f32_e32 v1, v1, v126
	s_delay_alu instid0(VALU_DEP_1) | instskip(NEXT) | instid1(VALU_DEP_1)
	v_add_f32_e32 v1, v1, v127
	v_add_f32_e32 v1, v1, v135
	;; [unrolled: 3-line block ×4, first 2 shown]
	s_delay_alu instid0(VALU_DEP_1) | instskip(NEXT) | instid1(VALU_DEP_1)
	v_add_f32_e32 v6, v1, v144
	v_dual_mul_f32 v171, v7, v4 :: v_dual_add_f32 v6, v6, v146
	s_delay_alu instid0(VALU_DEP_1) | instskip(NEXT) | instid1(VALU_DEP_2)
	v_fmac_f32_e32 v171, v8, v3
	v_add_f32_e32 v13, v6, v148
	s_delay_alu instid0(VALU_DEP_1) | instskip(NEXT) | instid1(VALU_DEP_1)
	v_add_f32_e32 v13, v13, v150
	v_add_f32_e32 v13, v13, v152
	s_delay_alu instid0(VALU_DEP_1) | instskip(SKIP_3) | instid1(VALU_DEP_1)
	v_add_f32_e32 v13, v13, v154
	v_add_f32_e32 v5, v2, v141
	ds_load_2addr_b64 v[1:4], v21 offset0:83 offset1:84
	v_add_f32_e32 v18, v13, v156
	v_dual_add_f32 v5, v5, v143 :: v_dual_add_f32 v18, v18, v158
	s_delay_alu instid0(VALU_DEP_1) | instskip(NEXT) | instid1(VALU_DEP_1)
	v_dual_add_f32 v5, v5, v145 :: v_dual_add_f32 v18, v18, v160
	v_add_f32_e32 v14, v5, v147
	ds_load_2addr_b64 v[5:8], v21 offset0:85 offset1:86
	v_add_f32_e32 v18, v18, v162
	v_add_f32_e32 v14, v14, v149
	s_wait_loadcnt_dscnt 0x101
	v_mul_f32_e32 v22, v1, v10
	v_mul_f32_e32 v10, v2, v10
	;; [unrolled: 1-line block ×4, first 2 shown]
	v_add_f32_e32 v18, v18, v164
	v_fmac_f32_e32 v22, v2, v9
	v_fma_f32 v125, v1, v9, -v10
	v_fmac_f32_e32 v124, v4, v11
	v_fma_f32 v126, v3, v11, -v12
	s_clause 0x1
	scratch_load_b128 v[1:4], off, off offset:312
	scratch_load_b128 v[9:12], off, off offset:328
	v_add_f32_e32 v122, v18, v166
	v_add_f32_e32 v14, v14, v151
	s_delay_alu instid0(VALU_DEP_2) | instskip(NEXT) | instid1(VALU_DEP_1)
	v_add_f32_e32 v127, v122, v168
	v_add_f32_e32 v127, v127, v170
	s_delay_alu instid0(VALU_DEP_1) | instskip(NEXT) | instid1(VALU_DEP_1)
	v_add_f32_e32 v127, v127, v172
	v_add_f32_e32 v125, v127, v125
	s_delay_alu instid0(VALU_DEP_1)
	v_add_f32_e32 v125, v125, v126
	s_wait_loadcnt_dscnt 0x100
	v_mul_f32_e32 v131, v5, v2
	v_mul_f32_e32 v2, v6, v2
	;; [unrolled: 1-line block ×4, first 2 shown]
	s_delay_alu instid0(VALU_DEP_3)
	v_fma_f32 v2, v5, v1, -v2
	v_add_f32_e32 v17, v14, v153
	scratch_load_b128 v[13:16], off, off offset:344
	v_fmac_f32_e32 v132, v8, v3
	v_add_f32_e32 v2, v125, v2
	v_add_f32_e32 v17, v17, v155
	s_delay_alu instid0(VALU_DEP_1) | instskip(NEXT) | instid1(VALU_DEP_1)
	v_add_f32_e32 v17, v17, v157
	v_add_f32_e32 v17, v17, v159
	s_delay_alu instid0(VALU_DEP_1) | instskip(NEXT) | instid1(VALU_DEP_1)
	v_add_f32_e32 v17, v17, v161
	v_add_f32_e32 v24, v17, v163
	ds_load_2addr_b64 v[17:20], v21 offset0:87 offset1:88
	v_add_f32_e32 v123, v24, v165
	ds_load_2addr_b64 v[24:27], v21 offset0:89 offset1:90
	v_add_f32_e32 v130, v123, v167
	ds_load_b64 v[122:123], v21 offset:728
	v_add_f32_e32 v130, v130, v169
	s_wait_loadcnt_dscnt 0x102
	s_delay_alu instid0(VALU_DEP_1) | instskip(NEXT) | instid1(VALU_DEP_1)
	v_dual_add_f32 v130, v130, v171 :: v_dual_mul_f32 v127, v17, v10
	v_dual_mul_f32 v5, v20, v12 :: v_dual_add_f32 v22, v130, v22
	s_delay_alu instid0(VALU_DEP_2) | instskip(NEXT) | instid1(VALU_DEP_2)
	v_dual_mul_f32 v130, v19, v12 :: v_dual_fmac_f32 v127, v18, v9
	v_fma_f32 v5, v19, v11, -v5
	s_delay_alu instid0(VALU_DEP_3) | instskip(NEXT) | instid1(VALU_DEP_3)
	v_add_f32_e32 v22, v22, v124
	v_fmac_f32_e32 v130, v20, v11
	s_wait_dscnt 0x0
	v_mul_f32_e32 v124, v122, v121
	s_delay_alu instid0(VALU_DEP_1) | instskip(SKIP_2) | instid1(VALU_DEP_3)
	v_dual_fmac_f32 v124, v123, v120 :: v_dual_fmac_f32 v131, v6, v1
	v_fma_f32 v1, v7, v3, -v4
	v_mul_f32_e32 v3, v18, v10
	v_add_f32_e32 v4, v22, v131
	s_delay_alu instid0(VALU_DEP_3) | instskip(NEXT) | instid1(VALU_DEP_3)
	v_add_f32_e32 v1, v2, v1
	v_fma_f32 v3, v17, v9, -v3
	s_delay_alu instid0(VALU_DEP_1) | instskip(NEXT) | instid1(VALU_DEP_1)
	v_dual_add_f32 v2, v4, v132 :: v_dual_add_f32 v1, v1, v3
	v_dual_add_f32 v2, v2, v127 :: v_dual_add_f32 v1, v1, v5
	s_delay_alu instid0(VALU_DEP_1)
	v_dual_mul_f32 v5, v123, v121 :: v_dual_add_f32 v2, v2, v130
	s_wait_loadcnt 0x0
	v_mul_f32_e32 v133, v24, v14
	v_mul_f32_e32 v4, v25, v14
	v_mul_f32_e32 v126, v26, v16
	v_mul_f32_e32 v3, v27, v16
	s_delay_alu instid0(VALU_DEP_4) | instskip(NEXT) | instid1(VALU_DEP_4)
	v_fmac_f32_e32 v133, v25, v13
	v_fma_f32 v4, v24, v13, -v4
	s_delay_alu instid0(VALU_DEP_4) | instskip(NEXT) | instid1(VALU_DEP_4)
	v_fmac_f32_e32 v126, v27, v15
	v_fma_f32 v3, v26, v15, -v3
	s_delay_alu instid0(VALU_DEP_3) | instskip(SKIP_1) | instid1(VALU_DEP_2)
	v_dual_add_f32 v2, v2, v133 :: v_dual_add_f32 v1, v1, v4
	v_fma_f32 v4, v122, v120, -v5
	v_dual_add_f32 v2, v2, v126 :: v_dual_add_f32 v1, v1, v3
	s_delay_alu instid0(VALU_DEP_1) | instskip(NEXT) | instid1(VALU_DEP_2)
	v_add_f32_e32 v2, v2, v124
	v_add_f32_e32 v1, v1, v4
	s_delay_alu instid0(VALU_DEP_1)
	v_dual_sub_f32 v2, v129, v2 :: v_dual_sub_f32 v1, v128, v1
	scratch_store_b64 off, v[1:2], off offset:32
	v_cmpx_lt_u32_e32 3, v0
	s_cbranch_execz .LBB45_283
; %bb.282:
	scratch_load_b64 v[1:2], off, off offset:24
	v_mov_b32_e32 v22, v21
	scratch_store_b64 off, v[21:22], off offset:24
	s_wait_loadcnt 0x0
	ds_store_b64 v23, v[1:2]
.LBB45_283:
	s_wait_alu 0xfffe
	s_or_b32 exec_lo, exec_lo, s0
	s_wait_storecnt_dscnt 0x0
	s_barrier_signal -1
	s_barrier_wait -1
	global_inv scope:SCOPE_SE
	s_clause 0x4
	scratch_load_b128 v[5:8], off, off offset:32
	scratch_load_b128 v[1:4], off, off offset:48
	;; [unrolled: 1-line block ×5, first 2 shown]
	ds_load_b128 v[24:27], v21 offset:400
	ds_load_b128 v[120:123], v21 offset:416
	;; [unrolled: 1-line block ×3, first 2 shown]
	scratch_load_b64 v[128:129], off, off offset:24
	s_mov_b32 s0, exec_lo
	s_wait_loadcnt_dscnt 0x502
	v_dual_mul_f32 v22, v25, v6 :: v_dual_mul_f32 v131, v26, v8
	v_mul_f32_e32 v130, v24, v6
	v_mul_f32_e32 v6, v27, v8
	s_wait_loadcnt_dscnt 0x300
	v_mul_f32_e32 v132, v126, v12
	v_fma_f32 v22, v24, v5, -v22
	v_dual_fmac_f32 v131, v27, v7 :: v_dual_fmac_f32 v130, v25, v5
	v_mul_f32_e32 v27, v124, v10
	v_mul_f32_e32 v25, v120, v2
	v_fma_f32 v24, v26, v7, -v6
	ds_load_b128 v[5:8], v21 offset:448
	v_mul_f32_e32 v26, v122, v4
	v_dual_mul_f32 v4, v123, v4 :: v_dual_fmac_f32 v27, v125, v9
	v_mul_f32_e32 v10, v125, v10
	v_mul_f32_e32 v12, v127, v12
	;; [unrolled: 1-line block ×3, first 2 shown]
	v_dual_fmac_f32 v25, v121, v1 :: v_dual_fmac_f32 v26, v123, v3
	v_fma_f32 v121, v122, v3, -v4
	v_fma_f32 v122, v124, v9, -v10
	v_fmac_f32_e32 v132, v127, v11
	v_fma_f32 v123, v126, v11, -v12
	ds_load_b128 v[9:12], v21 offset:464
	s_wait_loadcnt_dscnt 0x201
	v_mul_f32_e32 v125, v7, v16
	v_fma_f32 v120, v120, v1, -v2
	scratch_load_b128 v[1:4], off, off offset:112
	v_mul_f32_e32 v124, v5, v14
	v_mul_f32_e32 v14, v6, v14
	;; [unrolled: 1-line block ×3, first 2 shown]
	s_delay_alu instid0(VALU_DEP_3) | instskip(NEXT) | instid1(VALU_DEP_3)
	v_dual_fmac_f32 v125, v8, v15 :: v_dual_fmac_f32 v124, v6, v13
	v_fma_f32 v13, v5, v13, -v14
	s_delay_alu instid0(VALU_DEP_3)
	v_fma_f32 v14, v7, v15, -v16
	ds_load_b128 v[5:8], v21 offset:480
	s_wait_loadcnt_dscnt 0x201
	v_mul_f32_e32 v15, v9, v18
	v_mul_f32_e32 v16, v10, v18
	;; [unrolled: 1-line block ×3, first 2 shown]
	s_delay_alu instid0(VALU_DEP_3) | instskip(NEXT) | instid1(VALU_DEP_3)
	v_dual_mul_f32 v20, v12, v20 :: v_dual_fmac_f32 v15, v10, v17
	v_fma_f32 v16, v9, v17, -v16
	s_delay_alu instid0(VALU_DEP_3) | instskip(NEXT) | instid1(VALU_DEP_3)
	v_fmac_f32_e32 v18, v12, v19
	v_fma_f32 v17, v11, v19, -v20
	scratch_load_b128 v[9:12], off, off offset:128
	s_wait_loadcnt_dscnt 0x100
	v_mul_f32_e32 v19, v5, v2
	v_mul_f32_e32 v2, v6, v2
	;; [unrolled: 1-line block ×3, first 2 shown]
	s_delay_alu instid0(VALU_DEP_3) | instskip(NEXT) | instid1(VALU_DEP_3)
	v_dual_mul_f32 v4, v8, v4 :: v_dual_fmac_f32 v19, v6, v1
	v_fma_f32 v126, v5, v1, -v2
	s_delay_alu instid0(VALU_DEP_3) | instskip(NEXT) | instid1(VALU_DEP_3)
	v_fmac_f32_e32 v20, v8, v3
	v_fma_f32 v127, v7, v3, -v4
	ds_load_b128 v[1:4], v21 offset:496
	ds_load_b128 v[5:8], v21 offset:512
	s_wait_loadcnt_dscnt 0x1
	v_mul_f32_e32 v133, v1, v10
	v_mul_f32_e32 v10, v2, v10
	s_delay_alu instid0(VALU_DEP_2) | instskip(NEXT) | instid1(VALU_DEP_2)
	v_dual_mul_f32 v134, v3, v12 :: v_dual_fmac_f32 v133, v2, v9
	v_fma_f32 v135, v1, v9, -v10
	v_mul_f32_e32 v1, v4, v12
	s_delay_alu instid0(VALU_DEP_3) | instskip(NEXT) | instid1(VALU_DEP_2)
	v_fmac_f32_e32 v134, v4, v11
	v_fma_f32 v136, v3, v11, -v1
	s_clause 0x1
	scratch_load_b128 v[1:4], off, off offset:144
	scratch_load_b128 v[9:12], off, off offset:160
	s_wait_loadcnt_dscnt 0x100
	v_mul_f32_e32 v137, v5, v2
	v_dual_mul_f32 v2, v6, v2 :: v_dual_mul_f32 v139, v7, v4
	s_delay_alu instid0(VALU_DEP_2) | instskip(NEXT) | instid1(VALU_DEP_2)
	v_fmac_f32_e32 v137, v6, v1
	v_fma_f32 v138, v5, v1, -v2
	v_mul_f32_e32 v1, v8, v4
	s_delay_alu instid0(VALU_DEP_4) | instskip(NEXT) | instid1(VALU_DEP_2)
	v_fmac_f32_e32 v139, v8, v3
	v_fma_f32 v140, v7, v3, -v1
	ds_load_b128 v[1:4], v21 offset:528
	ds_load_b128 v[5:8], v21 offset:544
	s_wait_loadcnt_dscnt 0x1
	v_mul_f32_e32 v141, v1, v10
	v_mul_f32_e32 v143, v3, v12
	s_delay_alu instid0(VALU_DEP_2) | instskip(NEXT) | instid1(VALU_DEP_2)
	v_fmac_f32_e32 v141, v2, v9
	v_dual_mul_f32 v2, v2, v10 :: v_dual_fmac_f32 v143, v4, v11
	s_delay_alu instid0(VALU_DEP_1) | instskip(SKIP_1) | instid1(VALU_DEP_1)
	v_fma_f32 v142, v1, v9, -v2
	v_mul_f32_e32 v1, v4, v12
	v_fma_f32 v144, v3, v11, -v1
	s_clause 0x1
	scratch_load_b128 v[1:4], off, off offset:176
	scratch_load_b128 v[9:12], off, off offset:192
	s_wait_loadcnt_dscnt 0x100
	v_mul_f32_e32 v145, v5, v2
	v_dual_mul_f32 v2, v6, v2 :: v_dual_mul_f32 v147, v7, v4
	s_delay_alu instid0(VALU_DEP_2) | instskip(NEXT) | instid1(VALU_DEP_2)
	v_fmac_f32_e32 v145, v6, v1
	v_fma_f32 v146, v5, v1, -v2
	v_mul_f32_e32 v1, v8, v4
	s_delay_alu instid0(VALU_DEP_4) | instskip(NEXT) | instid1(VALU_DEP_2)
	v_fmac_f32_e32 v147, v8, v3
	v_fma_f32 v148, v7, v3, -v1
	ds_load_b128 v[1:4], v21 offset:560
	ds_load_b128 v[5:8], v21 offset:576
	s_wait_loadcnt_dscnt 0x1
	v_mul_f32_e32 v149, v1, v10
	v_mul_f32_e32 v151, v3, v12
	s_delay_alu instid0(VALU_DEP_2) | instskip(NEXT) | instid1(VALU_DEP_2)
	v_fmac_f32_e32 v149, v2, v9
	v_dual_mul_f32 v2, v2, v10 :: v_dual_fmac_f32 v151, v4, v11
	s_delay_alu instid0(VALU_DEP_1) | instskip(SKIP_1) | instid1(VALU_DEP_1)
	v_fma_f32 v150, v1, v9, -v2
	v_mul_f32_e32 v1, v4, v12
	;; [unrolled: 25-line block ×4, first 2 shown]
	v_fma_f32 v168, v3, v11, -v1
	s_clause 0x1
	scratch_load_b128 v[1:4], off, off offset:272
	scratch_load_b128 v[9:12], off, off offset:288
	s_wait_loadcnt_dscnt 0x100
	v_mul_f32_e32 v169, v5, v2
	v_mul_f32_e32 v2, v6, v2
	s_delay_alu instid0(VALU_DEP_1) | instskip(SKIP_1) | instid1(VALU_DEP_1)
	v_fma_f32 v170, v5, v1, -v2
	v_add_f32_e32 v2, 0, v130
	v_add_f32_e32 v2, v2, v131
	s_delay_alu instid0(VALU_DEP_1) | instskip(NEXT) | instid1(VALU_DEP_1)
	v_add_f32_e32 v2, v2, v25
	v_add_f32_e32 v2, v2, v26
	s_delay_alu instid0(VALU_DEP_1) | instskip(NEXT) | instid1(VALU_DEP_1)
	;; [unrolled: 3-line block ×7, first 2 shown]
	v_add_f32_e32 v2, v2, v137
	v_add_f32_e32 v2, v2, v139
	v_fmac_f32_e32 v169, v6, v1
	v_mul_f32_e32 v1, v8, v4
	s_delay_alu instid0(VALU_DEP_3) | instskip(NEXT) | instid1(VALU_DEP_2)
	v_dual_mul_f32 v171, v7, v4 :: v_dual_add_f32 v2, v2, v141
	v_fma_f32 v172, v7, v3, -v1
	v_add_f32_e32 v1, 0, v22
	s_delay_alu instid0(VALU_DEP_1) | instskip(NEXT) | instid1(VALU_DEP_1)
	v_add_f32_e32 v1, v1, v24
	v_add_f32_e32 v1, v1, v120
	s_delay_alu instid0(VALU_DEP_1) | instskip(NEXT) | instid1(VALU_DEP_1)
	v_add_f32_e32 v1, v1, v121
	;; [unrolled: 3-line block ×9, first 2 shown]
	v_dual_add_f32 v6, v1, v146 :: v_dual_fmac_f32 v171, v8, v3
	s_delay_alu instid0(VALU_DEP_1) | instskip(NEXT) | instid1(VALU_DEP_1)
	v_add_f32_e32 v14, v6, v148
	v_add_f32_e32 v14, v14, v150
	s_delay_alu instid0(VALU_DEP_1) | instskip(NEXT) | instid1(VALU_DEP_1)
	v_add_f32_e32 v17, v14, v152
	v_add_f32_e32 v17, v17, v154
	;; [unrolled: 3-line block ×4, first 2 shown]
	s_delay_alu instid0(VALU_DEP_1)
	v_add_f32_e32 v25, v25, v164
	v_add_f32_e32 v5, v2, v143
	ds_load_b128 v[1:4], v21 offset:656
	v_add_f32_e32 v13, v5, v145
	scratch_load_b128 v[5:8], off, off offset:304
	v_add_f32_e32 v13, v13, v147
	s_delay_alu instid0(VALU_DEP_1) | instskip(NEXT) | instid1(VALU_DEP_1)
	v_add_f32_e32 v13, v13, v149
	v_add_f32_e32 v18, v13, v151
	ds_load_b128 v[13:16], v21 offset:672
	s_wait_loadcnt_dscnt 0x101
	v_mul_f32_e32 v22, v1, v10
	v_mul_f32_e32 v10, v2, v10
	;; [unrolled: 1-line block ×4, first 2 shown]
	v_add_f32_e32 v18, v18, v153
	v_fmac_f32_e32 v22, v2, v9
	v_fma_f32 v121, v1, v9, -v10
	v_fmac_f32_e32 v120, v4, v11
	v_fma_f32 v122, v3, v11, -v12
	s_clause 0x1
	scratch_load_b128 v[1:4], off, off offset:320
	scratch_load_b128 v[9:12], off, off offset:336
	v_add_f32_e32 v18, v18, v155
	s_delay_alu instid0(VALU_DEP_1) | instskip(SKIP_3) | instid1(VALU_DEP_1)
	v_add_f32_e32 v24, v18, v157
	scratch_load_b128 v[17:20], off, off offset:352
	v_add_f32_e32 v24, v24, v159
	s_wait_loadcnt_dscnt 0x300
	v_dual_add_f32 v24, v24, v161 :: v_dual_mul_f32 v123, v13, v6
	v_mul_f32_e32 v6, v14, v6
	v_mul_f32_e32 v124, v15, v8
	s_delay_alu instid0(VALU_DEP_3) | instskip(NEXT) | instid1(VALU_DEP_3)
	v_dual_mul_f32 v8, v16, v8 :: v_dual_fmac_f32 v123, v14, v5
	v_fma_f32 v125, v13, v5, -v6
	v_dual_add_f32 v13, v24, v163 :: v_dual_add_f32 v24, v25, v166
	s_delay_alu instid0(VALU_DEP_4) | instskip(NEXT) | instid1(VALU_DEP_4)
	v_fmac_f32_e32 v124, v16, v7
	v_fma_f32 v126, v15, v7, -v8
	ds_load_b128 v[5:8], v21 offset:688
	v_add_f32_e32 v25, v13, v165
	v_add_f32_e32 v127, v24, v168
	ds_load_b128 v[13:16], v21 offset:704
	v_add_f32_e32 v130, v25, v167
	ds_load_b128 v[24:27], v21 offset:720
	v_add_f32_e32 v21, v127, v170
	v_add_f32_e32 v127, v130, v169
	s_delay_alu instid0(VALU_DEP_2) | instskip(NEXT) | instid1(VALU_DEP_2)
	v_add_f32_e32 v21, v21, v172
	v_add_f32_e32 v127, v127, v171
	s_delay_alu instid0(VALU_DEP_2) | instskip(SKIP_2) | instid1(VALU_DEP_3)
	v_add_f32_e32 v21, v21, v121
	s_wait_loadcnt_dscnt 0x202
	v_mul_f32_e32 v130, v5, v2
	v_add_f32_e32 v22, v127, v22
	v_mul_f32_e32 v2, v6, v2
	v_add_f32_e32 v21, v21, v122
	v_mul_f32_e32 v121, v7, v4
	v_mul_f32_e32 v4, v8, v4
	v_add_f32_e32 v22, v22, v120
	v_fma_f32 v2, v5, v1, -v2
	v_add_f32_e32 v21, v21, v125
	s_wait_loadcnt_dscnt 0x101
	v_dual_fmac_f32 v130, v6, v1 :: v_dual_mul_f32 v127, v13, v10
	v_add_f32_e32 v22, v22, v123
	v_mul_f32_e32 v6, v14, v10
	v_add_f32_e32 v1, v21, v126
	v_fmac_f32_e32 v121, v8, v3
	v_fma_f32 v3, v7, v3, -v4
	v_add_f32_e32 v5, v22, v124
	v_mul_f32_e32 v131, v15, v12
	v_dual_add_f32 v1, v1, v2 :: v_dual_mul_f32 v4, v16, v12
	s_delay_alu instid0(VALU_DEP_3) | instskip(SKIP_2) | instid1(VALU_DEP_3)
	v_dual_fmac_f32 v127, v14, v9 :: v_dual_add_f32 v2, v5, v130
	v_fma_f32 v5, v13, v9, -v6
	s_wait_loadcnt_dscnt 0x0
	v_dual_add_f32 v1, v1, v3 :: v_dual_mul_f32 v120, v24, v18
	s_delay_alu instid0(VALU_DEP_3) | instskip(SKIP_2) | instid1(VALU_DEP_4)
	v_dual_mul_f32 v3, v25, v18 :: v_dual_add_f32 v2, v2, v121
	v_fmac_f32_e32 v131, v16, v11
	v_fma_f32 v4, v15, v11, -v4
	v_dual_add_f32 v1, v1, v5 :: v_dual_mul_f32 v122, v26, v20
	s_delay_alu instid0(VALU_DEP_4) | instskip(SKIP_2) | instid1(VALU_DEP_3)
	v_dual_add_f32 v2, v2, v127 :: v_dual_mul_f32 v5, v27, v20
	v_fmac_f32_e32 v120, v25, v17
	v_fma_f32 v3, v24, v17, -v3
	v_dual_add_f32 v1, v1, v4 :: v_dual_add_f32 v2, v2, v131
	v_fmac_f32_e32 v122, v27, v19
	v_fma_f32 v4, v26, v19, -v5
	s_delay_alu instid0(VALU_DEP_3) | instskip(NEXT) | instid1(VALU_DEP_1)
	v_dual_add_f32 v1, v1, v3 :: v_dual_add_f32 v2, v2, v120
	v_dual_add_f32 v1, v1, v4 :: v_dual_add_f32 v2, v2, v122
	s_delay_alu instid0(VALU_DEP_1)
	v_dual_sub_f32 v1, v128, v1 :: v_dual_sub_f32 v2, v129, v2
	scratch_store_b64 off, v[1:2], off offset:24
	v_cmpx_lt_u32_e32 2, v0
	s_cbranch_execz .LBB45_285
; %bb.284:
	scratch_load_b64 v[1:2], off, off offset:16
	v_mov_b32_e32 v3, 0
	s_delay_alu instid0(VALU_DEP_1)
	v_mov_b32_e32 v4, v3
	scratch_store_b64 off, v[3:4], off offset:16
	s_wait_loadcnt 0x0
	ds_store_b64 v23, v[1:2]
.LBB45_285:
	s_wait_alu 0xfffe
	s_or_b32 exec_lo, exec_lo, s0
	s_wait_storecnt_dscnt 0x0
	s_barrier_signal -1
	s_barrier_wait -1
	global_inv scope:SCOPE_SE
	s_clause 0x4
	scratch_load_b128 v[5:8], off, off offset:24
	scratch_load_b128 v[1:4], off, off offset:40
	;; [unrolled: 1-line block ×5, first 2 shown]
	v_mov_b32_e32 v21, 0
	ds_load_2addr_b64 v[24:27], v21 offset0:49 offset1:50
	ds_load_2addr_b64 v[120:123], v21 offset0:51 offset1:52
	;; [unrolled: 1-line block ×3, first 2 shown]
	scratch_load_b64 v[128:129], off, off offset:16
	s_mov_b32 s0, exec_lo
	s_wait_loadcnt_dscnt 0x502
	v_mul_f32_e32 v22, v25, v6
	v_dual_mul_f32 v130, v24, v6 :: v_dual_mul_f32 v131, v26, v8
	v_mul_f32_e32 v6, v27, v8
	s_delay_alu instid0(VALU_DEP_3) | instskip(NEXT) | instid1(VALU_DEP_3)
	v_fma_f32 v22, v24, v5, -v22
	v_dual_fmac_f32 v130, v25, v5 :: v_dual_fmac_f32 v131, v27, v7
	s_wait_loadcnt_dscnt 0x401
	v_mul_f32_e32 v25, v120, v2
	v_fma_f32 v24, v26, v7, -v6
	ds_load_2addr_b64 v[5:8], v21 offset0:55 offset1:56
	s_wait_loadcnt_dscnt 0x301
	v_dual_mul_f32 v26, v122, v4 :: v_dual_mul_f32 v27, v124, v10
	v_dual_mul_f32 v4, v123, v4 :: v_dual_fmac_f32 v25, v121, v1
	v_mul_f32_e32 v10, v125, v10
	s_delay_alu instid0(VALU_DEP_3)
	v_dual_mul_f32 v132, v126, v12 :: v_dual_fmac_f32 v27, v125, v9
	v_mul_f32_e32 v12, v127, v12
	v_mul_f32_e32 v2, v121, v2
	v_fmac_f32_e32 v26, v123, v3
	v_fma_f32 v121, v122, v3, -v4
	v_fma_f32 v122, v124, v9, -v10
	v_fmac_f32_e32 v132, v127, v11
	v_fma_f32 v123, v126, v11, -v12
	ds_load_2addr_b64 v[9:12], v21 offset0:57 offset1:58
	s_wait_loadcnt_dscnt 0x201
	v_mul_f32_e32 v125, v7, v16
	v_fma_f32 v120, v120, v1, -v2
	scratch_load_b128 v[1:4], off, off offset:104
	v_mul_f32_e32 v124, v5, v14
	v_mul_f32_e32 v14, v6, v14
	;; [unrolled: 1-line block ×3, first 2 shown]
	s_delay_alu instid0(VALU_DEP_3) | instskip(NEXT) | instid1(VALU_DEP_3)
	v_dual_fmac_f32 v125, v8, v15 :: v_dual_fmac_f32 v124, v6, v13
	v_fma_f32 v13, v5, v13, -v14
	s_delay_alu instid0(VALU_DEP_3)
	v_fma_f32 v14, v7, v15, -v16
	ds_load_2addr_b64 v[5:8], v21 offset0:59 offset1:60
	s_wait_loadcnt_dscnt 0x201
	v_mul_f32_e32 v15, v9, v18
	v_mul_f32_e32 v16, v10, v18
	;; [unrolled: 1-line block ×3, first 2 shown]
	s_delay_alu instid0(VALU_DEP_3) | instskip(NEXT) | instid1(VALU_DEP_3)
	v_dual_mul_f32 v20, v12, v20 :: v_dual_fmac_f32 v15, v10, v17
	v_fma_f32 v16, v9, v17, -v16
	s_delay_alu instid0(VALU_DEP_3) | instskip(NEXT) | instid1(VALU_DEP_3)
	v_fmac_f32_e32 v18, v12, v19
	v_fma_f32 v17, v11, v19, -v20
	scratch_load_b128 v[9:12], off, off offset:120
	s_wait_loadcnt_dscnt 0x100
	v_mul_f32_e32 v19, v5, v2
	v_mul_f32_e32 v2, v6, v2
	v_mul_f32_e32 v20, v7, v4
	s_delay_alu instid0(VALU_DEP_3) | instskip(NEXT) | instid1(VALU_DEP_3)
	v_dual_mul_f32 v4, v8, v4 :: v_dual_fmac_f32 v19, v6, v1
	v_fma_f32 v126, v5, v1, -v2
	s_delay_alu instid0(VALU_DEP_3) | instskip(NEXT) | instid1(VALU_DEP_3)
	v_fmac_f32_e32 v20, v8, v3
	v_fma_f32 v127, v7, v3, -v4
	ds_load_2addr_b64 v[1:4], v21 offset0:61 offset1:62
	ds_load_2addr_b64 v[5:8], v21 offset0:63 offset1:64
	s_wait_loadcnt_dscnt 0x1
	v_mul_f32_e32 v133, v1, v10
	v_mul_f32_e32 v10, v2, v10
	s_delay_alu instid0(VALU_DEP_2) | instskip(NEXT) | instid1(VALU_DEP_2)
	v_dual_mul_f32 v134, v3, v12 :: v_dual_fmac_f32 v133, v2, v9
	v_fma_f32 v135, v1, v9, -v10
	v_mul_f32_e32 v1, v4, v12
	s_delay_alu instid0(VALU_DEP_3) | instskip(NEXT) | instid1(VALU_DEP_2)
	v_fmac_f32_e32 v134, v4, v11
	v_fma_f32 v136, v3, v11, -v1
	s_clause 0x1
	scratch_load_b128 v[1:4], off, off offset:136
	scratch_load_b128 v[9:12], off, off offset:152
	s_wait_loadcnt_dscnt 0x100
	v_mul_f32_e32 v137, v5, v2
	v_dual_mul_f32 v2, v6, v2 :: v_dual_mul_f32 v139, v7, v4
	s_delay_alu instid0(VALU_DEP_2) | instskip(NEXT) | instid1(VALU_DEP_2)
	v_fmac_f32_e32 v137, v6, v1
	v_fma_f32 v138, v5, v1, -v2
	v_mul_f32_e32 v1, v8, v4
	s_delay_alu instid0(VALU_DEP_4) | instskip(NEXT) | instid1(VALU_DEP_2)
	v_fmac_f32_e32 v139, v8, v3
	v_fma_f32 v140, v7, v3, -v1
	ds_load_2addr_b64 v[1:4], v21 offset0:65 offset1:66
	ds_load_2addr_b64 v[5:8], v21 offset0:67 offset1:68
	s_wait_loadcnt_dscnt 0x1
	v_mul_f32_e32 v141, v1, v10
	v_mul_f32_e32 v143, v3, v12
	s_delay_alu instid0(VALU_DEP_2) | instskip(NEXT) | instid1(VALU_DEP_2)
	v_fmac_f32_e32 v141, v2, v9
	v_dual_mul_f32 v2, v2, v10 :: v_dual_fmac_f32 v143, v4, v11
	s_delay_alu instid0(VALU_DEP_1) | instskip(SKIP_1) | instid1(VALU_DEP_1)
	v_fma_f32 v142, v1, v9, -v2
	v_mul_f32_e32 v1, v4, v12
	v_fma_f32 v144, v3, v11, -v1
	s_clause 0x1
	scratch_load_b128 v[1:4], off, off offset:168
	scratch_load_b128 v[9:12], off, off offset:184
	s_wait_loadcnt_dscnt 0x100
	v_mul_f32_e32 v145, v5, v2
	v_dual_mul_f32 v147, v7, v4 :: v_dual_mul_f32 v2, v6, v2
	s_delay_alu instid0(VALU_DEP_2) | instskip(NEXT) | instid1(VALU_DEP_2)
	v_fmac_f32_e32 v145, v6, v1
	v_fmac_f32_e32 v147, v8, v3
	s_delay_alu instid0(VALU_DEP_3) | instskip(SKIP_1) | instid1(VALU_DEP_1)
	v_fma_f32 v146, v5, v1, -v2
	v_mul_f32_e32 v1, v8, v4
	v_fma_f32 v148, v7, v3, -v1
	ds_load_2addr_b64 v[1:4], v21 offset0:69 offset1:70
	ds_load_2addr_b64 v[5:8], v21 offset0:71 offset1:72
	s_wait_loadcnt_dscnt 0x1
	v_mul_f32_e32 v149, v1, v10
	v_mul_f32_e32 v151, v3, v12
	s_delay_alu instid0(VALU_DEP_2) | instskip(NEXT) | instid1(VALU_DEP_2)
	v_fmac_f32_e32 v149, v2, v9
	v_dual_mul_f32 v2, v2, v10 :: v_dual_fmac_f32 v151, v4, v11
	s_delay_alu instid0(VALU_DEP_1) | instskip(SKIP_1) | instid1(VALU_DEP_1)
	v_fma_f32 v150, v1, v9, -v2
	v_mul_f32_e32 v1, v4, v12
	v_fma_f32 v152, v3, v11, -v1
	s_clause 0x1
	scratch_load_b128 v[1:4], off, off offset:200
	scratch_load_b128 v[9:12], off, off offset:216
	s_wait_loadcnt_dscnt 0x100
	v_mul_f32_e32 v153, v5, v2
	v_dual_mul_f32 v2, v6, v2 :: v_dual_mul_f32 v155, v7, v4
	s_delay_alu instid0(VALU_DEP_2) | instskip(NEXT) | instid1(VALU_DEP_2)
	v_fmac_f32_e32 v153, v6, v1
	v_fma_f32 v154, v5, v1, -v2
	v_mul_f32_e32 v1, v8, v4
	s_delay_alu instid0(VALU_DEP_4) | instskip(NEXT) | instid1(VALU_DEP_2)
	v_fmac_f32_e32 v155, v8, v3
	v_fma_f32 v156, v7, v3, -v1
	ds_load_2addr_b64 v[1:4], v21 offset0:73 offset1:74
	ds_load_2addr_b64 v[5:8], v21 offset0:75 offset1:76
	s_wait_loadcnt_dscnt 0x1
	v_mul_f32_e32 v157, v1, v10
	v_mul_f32_e32 v159, v3, v12
	s_delay_alu instid0(VALU_DEP_2) | instskip(NEXT) | instid1(VALU_DEP_2)
	v_fmac_f32_e32 v157, v2, v9
	v_dual_mul_f32 v2, v2, v10 :: v_dual_fmac_f32 v159, v4, v11
	s_delay_alu instid0(VALU_DEP_1) | instskip(SKIP_1) | instid1(VALU_DEP_1)
	v_fma_f32 v158, v1, v9, -v2
	v_mul_f32_e32 v1, v4, v12
	v_fma_f32 v160, v3, v11, -v1
	s_clause 0x1
	scratch_load_b128 v[1:4], off, off offset:232
	scratch_load_b128 v[9:12], off, off offset:248
	s_wait_loadcnt_dscnt 0x100
	v_mul_f32_e32 v161, v5, v2
	v_dual_mul_f32 v2, v6, v2 :: v_dual_mul_f32 v163, v7, v4
	s_delay_alu instid0(VALU_DEP_2) | instskip(NEXT) | instid1(VALU_DEP_2)
	v_fmac_f32_e32 v161, v6, v1
	v_fma_f32 v162, v5, v1, -v2
	v_mul_f32_e32 v1, v8, v4
	s_delay_alu instid0(VALU_DEP_4) | instskip(NEXT) | instid1(VALU_DEP_2)
	v_fmac_f32_e32 v163, v8, v3
	v_fma_f32 v164, v7, v3, -v1
	ds_load_2addr_b64 v[1:4], v21 offset0:77 offset1:78
	ds_load_2addr_b64 v[5:8], v21 offset0:79 offset1:80
	s_wait_loadcnt_dscnt 0x1
	v_mul_f32_e32 v165, v1, v10
	v_mul_f32_e32 v167, v3, v12
	s_delay_alu instid0(VALU_DEP_2) | instskip(NEXT) | instid1(VALU_DEP_2)
	v_fmac_f32_e32 v165, v2, v9
	v_dual_mul_f32 v2, v2, v10 :: v_dual_fmac_f32 v167, v4, v11
	s_delay_alu instid0(VALU_DEP_1) | instskip(SKIP_1) | instid1(VALU_DEP_1)
	v_fma_f32 v166, v1, v9, -v2
	v_mul_f32_e32 v1, v4, v12
	v_fma_f32 v168, v3, v11, -v1
	s_clause 0x1
	scratch_load_b128 v[1:4], off, off offset:264
	scratch_load_b128 v[9:12], off, off offset:280
	s_wait_loadcnt_dscnt 0x100
	v_mul_f32_e32 v169, v5, v2
	v_mul_f32_e32 v2, v6, v2
	s_delay_alu instid0(VALU_DEP_1) | instskip(SKIP_1) | instid1(VALU_DEP_1)
	v_fma_f32 v170, v5, v1, -v2
	v_add_f32_e32 v2, 0, v130
	v_add_f32_e32 v2, v2, v131
	s_delay_alu instid0(VALU_DEP_1) | instskip(NEXT) | instid1(VALU_DEP_1)
	v_add_f32_e32 v2, v2, v25
	v_add_f32_e32 v2, v2, v26
	s_delay_alu instid0(VALU_DEP_1) | instskip(NEXT) | instid1(VALU_DEP_1)
	v_add_f32_e32 v2, v2, v27
	v_add_f32_e32 v2, v2, v132
	s_delay_alu instid0(VALU_DEP_1) | instskip(NEXT) | instid1(VALU_DEP_1)
	v_add_f32_e32 v2, v2, v124
	v_add_f32_e32 v2, v2, v125
	s_delay_alu instid0(VALU_DEP_1) | instskip(NEXT) | instid1(VALU_DEP_1)
	v_add_f32_e32 v2, v2, v15
	v_add_f32_e32 v2, v2, v18
	s_delay_alu instid0(VALU_DEP_1) | instskip(NEXT) | instid1(VALU_DEP_1)
	v_add_f32_e32 v2, v2, v19
	v_add_f32_e32 v2, v2, v20
	s_delay_alu instid0(VALU_DEP_1) | instskip(NEXT) | instid1(VALU_DEP_1)
	v_add_f32_e32 v2, v2, v133
	v_add_f32_e32 v2, v2, v134
	s_delay_alu instid0(VALU_DEP_1) | instskip(NEXT) | instid1(VALU_DEP_1)
	v_add_f32_e32 v2, v2, v137
	v_add_f32_e32 v2, v2, v139
	s_delay_alu instid0(VALU_DEP_1) | instskip(SKIP_2) | instid1(VALU_DEP_1)
	v_add_f32_e32 v2, v2, v141
	v_fmac_f32_e32 v169, v6, v1
	v_mul_f32_e32 v1, v8, v4
	v_fma_f32 v172, v7, v3, -v1
	v_add_f32_e32 v1, 0, v22
	s_delay_alu instid0(VALU_DEP_1) | instskip(NEXT) | instid1(VALU_DEP_1)
	v_add_f32_e32 v1, v1, v24
	v_add_f32_e32 v1, v1, v120
	s_delay_alu instid0(VALU_DEP_1) | instskip(SKIP_2) | instid1(VALU_DEP_1)
	v_add_f32_e32 v1, v1, v121
	scratch_load_b64 v[120:121], off, off offset:360
	v_add_f32_e32 v1, v1, v122
	v_add_f32_e32 v1, v1, v123
	s_delay_alu instid0(VALU_DEP_1) | instskip(NEXT) | instid1(VALU_DEP_1)
	v_add_f32_e32 v1, v1, v13
	v_add_f32_e32 v1, v1, v14
	s_delay_alu instid0(VALU_DEP_1) | instskip(NEXT) | instid1(VALU_DEP_1)
	;; [unrolled: 3-line block ×8, first 2 shown]
	v_dual_mul_f32 v171, v7, v4 :: v_dual_add_f32 v14, v14, v150
	v_fmac_f32_e32 v171, v8, v3
	s_delay_alu instid0(VALU_DEP_2) | instskip(NEXT) | instid1(VALU_DEP_1)
	v_add_f32_e32 v17, v14, v152
	v_add_f32_e32 v17, v17, v154
	s_delay_alu instid0(VALU_DEP_1) | instskip(NEXT) | instid1(VALU_DEP_1)
	v_add_f32_e32 v17, v17, v156
	v_add_f32_e32 v17, v17, v158
	s_delay_alu instid0(VALU_DEP_1) | instskip(NEXT) | instid1(VALU_DEP_1)
	v_add_f32_e32 v25, v17, v160
	v_add_f32_e32 v25, v25, v162
	s_delay_alu instid0(VALU_DEP_1) | instskip(NEXT) | instid1(VALU_DEP_1)
	v_add_f32_e32 v25, v25, v164
	v_add_f32_e32 v25, v25, v166
	;; [unrolled: 1-line block ×3, first 2 shown]
	scratch_load_b128 v[1:4], off, off offset:296
	v_add_f32_e32 v13, v5, v145
	ds_load_2addr_b64 v[5:8], v21 offset0:81 offset1:82
	v_add_f32_e32 v13, v13, v147
	s_delay_alu instid0(VALU_DEP_1) | instskip(NEXT) | instid1(VALU_DEP_1)
	v_add_f32_e32 v13, v13, v149
	v_add_f32_e32 v18, v13, v151
	ds_load_2addr_b64 v[13:16], v21 offset0:83 offset1:84
	v_add_f32_e32 v18, v18, v153
	s_wait_loadcnt_dscnt 0x201
	v_mul_f32_e32 v22, v5, v10
	v_mul_f32_e32 v10, v6, v10
	;; [unrolled: 1-line block ×4, first 2 shown]
	v_add_f32_e32 v18, v18, v155
	v_fmac_f32_e32 v22, v6, v9
	v_fma_f32 v125, v5, v9, -v10
	v_fmac_f32_e32 v124, v8, v11
	v_fma_f32 v126, v7, v11, -v12
	s_clause 0x1
	scratch_load_b128 v[9:12], off, off offset:328
	scratch_load_b128 v[5:8], off, off offset:312
	v_add_f32_e32 v24, v18, v157
	scratch_load_b128 v[17:20], off, off offset:344
	v_add_f32_e32 v24, v24, v159
	s_delay_alu instid0(VALU_DEP_1) | instskip(SKIP_1) | instid1(VALU_DEP_1)
	v_add_f32_e32 v24, v24, v161
	s_wait_loadcnt_dscnt 0x300
	v_dual_add_f32 v24, v24, v163 :: v_dual_mul_f32 v127, v13, v2
	v_mul_f32_e32 v2, v14, v2
	v_mul_f32_e32 v130, v15, v4
	s_delay_alu instid0(VALU_DEP_3) | instskip(NEXT) | instid1(VALU_DEP_3)
	v_dual_mul_f32 v4, v16, v4 :: v_dual_fmac_f32 v127, v14, v1
	v_fma_f32 v131, v13, v1, -v2
	v_dual_add_f32 v13, v24, v165 :: v_dual_add_f32 v14, v25, v168
	s_delay_alu instid0(VALU_DEP_4) | instskip(NEXT) | instid1(VALU_DEP_4)
	v_fmac_f32_e32 v130, v16, v3
	v_fma_f32 v132, v15, v3, -v4
	ds_load_2addr_b64 v[1:4], v21 offset0:85 offset1:86
	v_add_f32_e32 v24, v13, v167
	v_add_f32_e32 v122, v14, v170
	ds_load_2addr_b64 v[13:16], v21 offset0:87 offset1:88
	v_add_f32_e32 v123, v24, v169
	ds_load_2addr_b64 v[24:27], v21 offset0:89 offset1:90
	v_dual_add_f32 v133, v122, v172 :: v_dual_add_f32 v134, v123, v171
	ds_load_b64 v[122:123], v21 offset:728
	v_dual_add_f32 v125, v133, v125 :: v_dual_add_f32 v22, v134, v22
	s_delay_alu instid0(VALU_DEP_1)
	v_dual_add_f32 v125, v125, v126 :: v_dual_add_f32 v22, v22, v124
	s_wait_loadcnt_dscnt 0x202
	v_mul_f32_e32 v126, v13, v10
	s_wait_loadcnt 0x1
	v_mul_f32_e32 v124, v3, v8
	v_mul_f32_e32 v8, v4, v8
	v_dual_add_f32 v22, v22, v127 :: v_dual_mul_f32 v127, v15, v12
	v_fmac_f32_e32 v126, v14, v9
	s_delay_alu instid0(VALU_DEP_4) | instskip(NEXT) | instid1(VALU_DEP_3)
	v_fmac_f32_e32 v124, v4, v7
	v_add_f32_e32 v22, v22, v130
	s_wait_dscnt 0x0
	v_dual_mul_f32 v130, v122, v121 :: v_dual_mul_f32 v133, v1, v6
	v_dual_mul_f32 v6, v2, v6 :: v_dual_fmac_f32 v127, v16, v11
	s_delay_alu instid0(VALU_DEP_2) | instskip(NEXT) | instid1(VALU_DEP_2)
	v_dual_fmac_f32 v130, v123, v120 :: v_dual_add_f32 v125, v125, v131
	v_fma_f32 v1, v1, v5, -v6
	s_delay_alu instid0(VALU_DEP_4) | instskip(SKIP_3) | instid1(VALU_DEP_4)
	v_fmac_f32_e32 v133, v2, v5
	v_fma_f32 v2, v3, v7, -v8
	v_mul_f32_e32 v3, v14, v10
	v_add_f32_e32 v125, v125, v132
	v_dual_mul_f32 v5, v16, v12 :: v_dual_add_f32 v4, v22, v133
	s_wait_loadcnt 0x0
	v_mul_f32_e32 v131, v24, v18
	v_fma_f32 v3, v13, v9, -v3
	v_add_f32_e32 v1, v125, v1
	v_fma_f32 v5, v15, v11, -v5
	s_delay_alu instid0(VALU_DEP_4) | instskip(NEXT) | instid1(VALU_DEP_3)
	v_dual_mul_f32 v132, v26, v20 :: v_dual_fmac_f32 v131, v25, v17
	v_dual_add_f32 v1, v1, v2 :: v_dual_add_f32 v2, v4, v124
	v_mul_f32_e32 v4, v25, v18
	s_delay_alu instid0(VALU_DEP_3) | instskip(NEXT) | instid1(VALU_DEP_3)
	v_fmac_f32_e32 v132, v27, v19
	v_dual_add_f32 v1, v1, v3 :: v_dual_add_f32 v2, v2, v126
	v_mul_f32_e32 v3, v27, v20
	s_delay_alu instid0(VALU_DEP_4) | instskip(NEXT) | instid1(VALU_DEP_3)
	v_fma_f32 v4, v24, v17, -v4
	v_dual_add_f32 v1, v1, v5 :: v_dual_add_f32 v2, v2, v127
	v_mul_f32_e32 v5, v123, v121
	s_delay_alu instid0(VALU_DEP_4) | instskip(NEXT) | instid1(VALU_DEP_3)
	v_fma_f32 v3, v26, v19, -v3
	v_dual_add_f32 v1, v1, v4 :: v_dual_add_f32 v2, v2, v131
	s_delay_alu instid0(VALU_DEP_3) | instskip(NEXT) | instid1(VALU_DEP_2)
	v_fma_f32 v4, v122, v120, -v5
	v_dual_add_f32 v1, v1, v3 :: v_dual_add_f32 v2, v2, v132
	s_delay_alu instid0(VALU_DEP_1) | instskip(NEXT) | instid1(VALU_DEP_1)
	v_dual_add_f32 v1, v1, v4 :: v_dual_add_f32 v2, v2, v130
	v_dual_sub_f32 v1, v128, v1 :: v_dual_sub_f32 v2, v129, v2
	scratch_store_b64 off, v[1:2], off offset:16
	v_cmpx_lt_u32_e32 1, v0
	s_cbranch_execz .LBB45_287
; %bb.286:
	scratch_load_b64 v[1:2], off, off offset:8
	v_mov_b32_e32 v22, v21
	scratch_store_b64 off, v[21:22], off offset:8
	s_wait_loadcnt 0x0
	ds_store_b64 v23, v[1:2]
.LBB45_287:
	s_wait_alu 0xfffe
	s_or_b32 exec_lo, exec_lo, s0
	s_wait_storecnt_dscnt 0x0
	s_barrier_signal -1
	s_barrier_wait -1
	global_inv scope:SCOPE_SE
	s_clause 0x4
	scratch_load_b128 v[5:8], off, off offset:16
	scratch_load_b128 v[1:4], off, off offset:32
	;; [unrolled: 1-line block ×5, first 2 shown]
	ds_load_b128 v[24:27], v21 offset:384
	ds_load_b128 v[120:123], v21 offset:400
	;; [unrolled: 1-line block ×3, first 2 shown]
	scratch_load_b64 v[128:129], off, off offset:8
	s_mov_b32 s0, exec_lo
	s_wait_loadcnt_dscnt 0x502
	v_dual_mul_f32 v22, v25, v6 :: v_dual_mul_f32 v131, v26, v8
	v_mul_f32_e32 v130, v24, v6
	v_mul_f32_e32 v6, v27, v8
	s_wait_loadcnt_dscnt 0x300
	v_mul_f32_e32 v132, v126, v12
	v_fma_f32 v22, v24, v5, -v22
	v_dual_fmac_f32 v131, v27, v7 :: v_dual_fmac_f32 v130, v25, v5
	v_mul_f32_e32 v27, v124, v10
	v_mul_f32_e32 v25, v120, v2
	v_fma_f32 v24, v26, v7, -v6
	ds_load_b128 v[5:8], v21 offset:432
	v_mul_f32_e32 v26, v122, v4
	v_dual_mul_f32 v4, v123, v4 :: v_dual_fmac_f32 v27, v125, v9
	v_mul_f32_e32 v10, v125, v10
	v_mul_f32_e32 v12, v127, v12
	;; [unrolled: 1-line block ×3, first 2 shown]
	v_dual_fmac_f32 v25, v121, v1 :: v_dual_fmac_f32 v26, v123, v3
	v_fma_f32 v121, v122, v3, -v4
	v_fma_f32 v122, v124, v9, -v10
	v_fmac_f32_e32 v132, v127, v11
	v_fma_f32 v123, v126, v11, -v12
	ds_load_b128 v[9:12], v21 offset:448
	s_wait_loadcnt_dscnt 0x201
	v_mul_f32_e32 v125, v7, v16
	v_fma_f32 v120, v120, v1, -v2
	scratch_load_b128 v[1:4], off, off offset:96
	v_mul_f32_e32 v124, v5, v14
	v_mul_f32_e32 v14, v6, v14
	;; [unrolled: 1-line block ×3, first 2 shown]
	s_delay_alu instid0(VALU_DEP_3) | instskip(NEXT) | instid1(VALU_DEP_3)
	v_dual_fmac_f32 v125, v8, v15 :: v_dual_fmac_f32 v124, v6, v13
	v_fma_f32 v13, v5, v13, -v14
	s_delay_alu instid0(VALU_DEP_3)
	v_fma_f32 v14, v7, v15, -v16
	ds_load_b128 v[5:8], v21 offset:464
	s_wait_loadcnt_dscnt 0x201
	v_mul_f32_e32 v15, v9, v18
	v_mul_f32_e32 v16, v10, v18
	;; [unrolled: 1-line block ×3, first 2 shown]
	s_delay_alu instid0(VALU_DEP_3) | instskip(NEXT) | instid1(VALU_DEP_3)
	v_dual_mul_f32 v20, v12, v20 :: v_dual_fmac_f32 v15, v10, v17
	v_fma_f32 v16, v9, v17, -v16
	s_delay_alu instid0(VALU_DEP_3) | instskip(NEXT) | instid1(VALU_DEP_3)
	v_fmac_f32_e32 v18, v12, v19
	v_fma_f32 v17, v11, v19, -v20
	scratch_load_b128 v[9:12], off, off offset:112
	s_wait_loadcnt_dscnt 0x100
	v_mul_f32_e32 v19, v5, v2
	v_mul_f32_e32 v2, v6, v2
	;; [unrolled: 1-line block ×3, first 2 shown]
	s_delay_alu instid0(VALU_DEP_3) | instskip(NEXT) | instid1(VALU_DEP_3)
	v_dual_mul_f32 v4, v8, v4 :: v_dual_fmac_f32 v19, v6, v1
	v_fma_f32 v126, v5, v1, -v2
	s_delay_alu instid0(VALU_DEP_3) | instskip(NEXT) | instid1(VALU_DEP_3)
	v_fmac_f32_e32 v20, v8, v3
	v_fma_f32 v127, v7, v3, -v4
	ds_load_b128 v[1:4], v21 offset:480
	ds_load_b128 v[5:8], v21 offset:496
	s_wait_loadcnt_dscnt 0x1
	v_mul_f32_e32 v133, v1, v10
	v_mul_f32_e32 v10, v2, v10
	s_delay_alu instid0(VALU_DEP_2) | instskip(NEXT) | instid1(VALU_DEP_2)
	v_dual_mul_f32 v134, v3, v12 :: v_dual_fmac_f32 v133, v2, v9
	v_fma_f32 v135, v1, v9, -v10
	v_mul_f32_e32 v1, v4, v12
	s_delay_alu instid0(VALU_DEP_3) | instskip(NEXT) | instid1(VALU_DEP_2)
	v_fmac_f32_e32 v134, v4, v11
	v_fma_f32 v136, v3, v11, -v1
	s_clause 0x1
	scratch_load_b128 v[1:4], off, off offset:128
	scratch_load_b128 v[9:12], off, off offset:144
	s_wait_loadcnt_dscnt 0x100
	v_mul_f32_e32 v137, v5, v2
	v_dual_mul_f32 v2, v6, v2 :: v_dual_mul_f32 v139, v7, v4
	s_delay_alu instid0(VALU_DEP_2) | instskip(NEXT) | instid1(VALU_DEP_2)
	v_fmac_f32_e32 v137, v6, v1
	v_fma_f32 v138, v5, v1, -v2
	v_mul_f32_e32 v1, v8, v4
	s_delay_alu instid0(VALU_DEP_4) | instskip(NEXT) | instid1(VALU_DEP_2)
	v_fmac_f32_e32 v139, v8, v3
	v_fma_f32 v140, v7, v3, -v1
	ds_load_b128 v[1:4], v21 offset:512
	ds_load_b128 v[5:8], v21 offset:528
	s_wait_loadcnt_dscnt 0x1
	v_mul_f32_e32 v141, v1, v10
	v_mul_f32_e32 v143, v3, v12
	s_delay_alu instid0(VALU_DEP_2) | instskip(NEXT) | instid1(VALU_DEP_2)
	v_fmac_f32_e32 v141, v2, v9
	v_dual_mul_f32 v2, v2, v10 :: v_dual_fmac_f32 v143, v4, v11
	s_delay_alu instid0(VALU_DEP_1) | instskip(SKIP_1) | instid1(VALU_DEP_1)
	v_fma_f32 v142, v1, v9, -v2
	v_mul_f32_e32 v1, v4, v12
	v_fma_f32 v144, v3, v11, -v1
	s_clause 0x1
	scratch_load_b128 v[1:4], off, off offset:160
	scratch_load_b128 v[9:12], off, off offset:176
	s_wait_loadcnt_dscnt 0x100
	v_mul_f32_e32 v145, v5, v2
	v_dual_mul_f32 v2, v6, v2 :: v_dual_mul_f32 v147, v7, v4
	s_delay_alu instid0(VALU_DEP_2) | instskip(NEXT) | instid1(VALU_DEP_2)
	v_fmac_f32_e32 v145, v6, v1
	v_fma_f32 v146, v5, v1, -v2
	v_mul_f32_e32 v1, v8, v4
	s_delay_alu instid0(VALU_DEP_4) | instskip(NEXT) | instid1(VALU_DEP_2)
	v_fmac_f32_e32 v147, v8, v3
	v_fma_f32 v148, v7, v3, -v1
	ds_load_b128 v[1:4], v21 offset:544
	ds_load_b128 v[5:8], v21 offset:560
	s_wait_loadcnt_dscnt 0x1
	v_mul_f32_e32 v149, v1, v10
	v_mul_f32_e32 v151, v3, v12
	s_delay_alu instid0(VALU_DEP_2) | instskip(NEXT) | instid1(VALU_DEP_2)
	v_fmac_f32_e32 v149, v2, v9
	v_dual_mul_f32 v2, v2, v10 :: v_dual_fmac_f32 v151, v4, v11
	s_delay_alu instid0(VALU_DEP_1) | instskip(SKIP_1) | instid1(VALU_DEP_1)
	v_fma_f32 v150, v1, v9, -v2
	v_mul_f32_e32 v1, v4, v12
	;; [unrolled: 25-line block ×5, first 2 shown]
	v_fma_f32 v176, v3, v11, -v1
	s_clause 0x1
	scratch_load_b128 v[1:4], off, off offset:288
	scratch_load_b128 v[9:12], off, off offset:304
	s_wait_loadcnt_dscnt 0x100
	v_mul_f32_e32 v177, v5, v2
	v_dual_mul_f32 v2, v6, v2 :: v_dual_mul_f32 v179, v7, v4
	s_delay_alu instid0(VALU_DEP_2) | instskip(NEXT) | instid1(VALU_DEP_2)
	v_fmac_f32_e32 v177, v6, v1
	v_fma_f32 v178, v5, v1, -v2
	v_dual_mul_f32 v1, v8, v4 :: v_dual_add_f32 v2, 0, v130
	s_delay_alu instid0(VALU_DEP_4) | instskip(NEXT) | instid1(VALU_DEP_2)
	v_fmac_f32_e32 v179, v8, v3
	v_fma_f32 v180, v7, v3, -v1
	s_delay_alu instid0(VALU_DEP_3) | instskip(NEXT) | instid1(VALU_DEP_1)
	v_dual_add_f32 v1, 0, v22 :: v_dual_add_f32 v2, v2, v131
	v_dual_add_f32 v1, v1, v24 :: v_dual_add_f32 v2, v2, v25
	s_delay_alu instid0(VALU_DEP_1) | instskip(NEXT) | instid1(VALU_DEP_1)
	v_dual_add_f32 v1, v1, v120 :: v_dual_add_f32 v2, v2, v26
	v_dual_add_f32 v1, v1, v121 :: v_dual_add_f32 v2, v2, v27
	s_delay_alu instid0(VALU_DEP_1) | instskip(NEXT) | instid1(VALU_DEP_1)
	;; [unrolled: 3-line block ×3, first 2 shown]
	v_add_f32_e32 v1, v1, v13
	v_dual_add_f32 v2, v2, v125 :: v_dual_add_f32 v1, v1, v14
	s_delay_alu instid0(VALU_DEP_1) | instskip(NEXT) | instid1(VALU_DEP_1)
	v_dual_add_f32 v2, v2, v15 :: v_dual_add_f32 v1, v1, v16
	v_dual_add_f32 v2, v2, v18 :: v_dual_add_f32 v1, v1, v17
	s_delay_alu instid0(VALU_DEP_1) | instskip(NEXT) | instid1(VALU_DEP_1)
	v_dual_add_f32 v2, v2, v19 :: v_dual_add_f32 v1, v1, v126
	;; [unrolled: 3-line block ×6, first 2 shown]
	v_dual_add_f32 v2, v2, v147 :: v_dual_add_f32 v1, v1, v148
	s_delay_alu instid0(VALU_DEP_1) | instskip(NEXT) | instid1(VALU_DEP_2)
	v_add_f32_e32 v5, v2, v149
	v_add_f32_e32 v1, v1, v150
	s_delay_alu instid0(VALU_DEP_2) | instskip(NEXT) | instid1(VALU_DEP_2)
	v_add_f32_e32 v5, v5, v151
	v_add_f32_e32 v6, v1, v152
	ds_load_b128 v[1:4], v21 offset:672
	v_dual_add_f32 v5, v5, v153 :: v_dual_add_f32 v6, v6, v154
	s_delay_alu instid0(VALU_DEP_1) | instskip(SKIP_2) | instid1(VALU_DEP_1)
	v_dual_add_f32 v14, v5, v155 :: v_dual_add_f32 v13, v6, v156
	ds_load_b128 v[5:8], v21 offset:688
	v_dual_add_f32 v14, v14, v157 :: v_dual_add_f32 v13, v13, v158
	v_dual_add_f32 v14, v14, v159 :: v_dual_add_f32 v13, v13, v160
	s_wait_loadcnt_dscnt 0x1
	v_mul_f32_e32 v22, v1, v10
	v_mul_f32_e32 v120, v3, v12
	;; [unrolled: 1-line block ×3, first 2 shown]
	v_dual_mul_f32 v12, v4, v12 :: v_dual_add_f32 v13, v13, v162
	s_delay_alu instid0(VALU_DEP_4) | instskip(NEXT) | instid1(VALU_DEP_4)
	v_fmac_f32_e32 v22, v2, v9
	v_fmac_f32_e32 v120, v4, v11
	s_delay_alu instid0(VALU_DEP_4) | instskip(NEXT) | instid1(VALU_DEP_4)
	v_fma_f32 v121, v1, v9, -v10
	v_fma_f32 v122, v3, v11, -v12
	s_clause 0x1
	scratch_load_b128 v[1:4], off, off offset:320
	scratch_load_b128 v[9:12], off, off offset:336
	v_dual_add_f32 v17, v14, v161 :: v_dual_add_f32 v18, v13, v164
	scratch_load_b128 v[13:16], off, off offset:352
	v_dual_add_f32 v17, v17, v163 :: v_dual_add_f32 v18, v18, v166
	s_delay_alu instid0(VALU_DEP_1) | instskip(NEXT) | instid1(VALU_DEP_1)
	v_dual_add_f32 v17, v17, v165 :: v_dual_add_f32 v18, v18, v168
	v_dual_add_f32 v17, v17, v167 :: v_dual_add_f32 v24, v18, v170
	s_delay_alu instid0(VALU_DEP_1)
	v_add_f32_e32 v25, v17, v169
	ds_load_b128 v[17:20], v21 offset:704
	v_dual_add_f32 v123, v24, v172 :: v_dual_add_f32 v124, v25, v171
	ds_load_b128 v[24:27], v21 offset:720
	s_wait_loadcnt_dscnt 0x101
	v_dual_mul_f32 v125, v7, v4 :: v_dual_mul_f32 v126, v17, v10
	v_mul_f32_e32 v4, v8, v4
	s_wait_loadcnt_dscnt 0x0
	v_dual_mul_f32 v127, v19, v12 :: v_dual_mul_f32 v130, v24, v14
	v_add_f32_e32 v21, v123, v174
	v_dual_add_f32 v123, v124, v173 :: v_dual_mul_f32 v124, v5, v2
	v_mul_f32_e32 v2, v6, v2
	s_delay_alu instid0(VALU_DEP_4) | instskip(NEXT) | instid1(VALU_DEP_4)
	v_fmac_f32_e32 v130, v25, v13
	v_add_f32_e32 v21, v21, v176
	s_delay_alu instid0(VALU_DEP_4) | instskip(NEXT) | instid1(VALU_DEP_4)
	v_dual_add_f32 v123, v123, v175 :: v_dual_fmac_f32 v124, v6, v1
	v_fma_f32 v2, v5, v1, -v2
	v_mul_f32_e32 v6, v18, v10
	s_delay_alu instid0(VALU_DEP_4) | instskip(NEXT) | instid1(VALU_DEP_4)
	v_add_f32_e32 v21, v21, v178
	v_add_f32_e32 v123, v123, v177
	v_fmac_f32_e32 v125, v8, v3
	v_fma_f32 v3, v7, v3, -v4
	v_mul_f32_e32 v4, v20, v12
	v_add_f32_e32 v21, v21, v180
	v_dual_add_f32 v123, v123, v179 :: v_dual_fmac_f32 v126, v18, v9
	v_fmac_f32_e32 v127, v20, v11
	s_delay_alu instid0(VALU_DEP_4) | instskip(NEXT) | instid1(VALU_DEP_3)
	v_fma_f32 v4, v19, v11, -v4
	v_dual_add_f32 v21, v21, v121 :: v_dual_add_f32 v22, v123, v22
	v_mul_f32_e32 v121, v26, v16
	s_delay_alu instid0(VALU_DEP_2) | instskip(NEXT) | instid1(VALU_DEP_3)
	v_add_f32_e32 v1, v21, v122
	v_add_f32_e32 v5, v22, v120
	s_delay_alu instid0(VALU_DEP_3) | instskip(NEXT) | instid1(VALU_DEP_3)
	v_fmac_f32_e32 v121, v27, v15
	v_add_f32_e32 v1, v1, v2
	s_delay_alu instid0(VALU_DEP_3) | instskip(SKIP_1) | instid1(VALU_DEP_2)
	v_add_f32_e32 v2, v5, v124
	v_fma_f32 v5, v17, v9, -v6
	v_dual_add_f32 v1, v1, v3 :: v_dual_add_f32 v2, v2, v125
	v_mul_f32_e32 v3, v25, v14
	s_delay_alu instid0(VALU_DEP_2) | instskip(SKIP_1) | instid1(VALU_DEP_3)
	v_dual_add_f32 v1, v1, v5 :: v_dual_add_f32 v2, v2, v126
	v_mul_f32_e32 v5, v27, v16
	v_fma_f32 v3, v24, v13, -v3
	s_delay_alu instid0(VALU_DEP_3) | instskip(NEXT) | instid1(VALU_DEP_3)
	v_dual_add_f32 v1, v1, v4 :: v_dual_add_f32 v2, v2, v127
	v_fma_f32 v4, v26, v15, -v5
	s_delay_alu instid0(VALU_DEP_2) | instskip(NEXT) | instid1(VALU_DEP_1)
	v_dual_add_f32 v1, v1, v3 :: v_dual_add_f32 v2, v2, v130
	v_dual_add_f32 v1, v1, v4 :: v_dual_add_f32 v2, v2, v121
	s_delay_alu instid0(VALU_DEP_1)
	v_dual_sub_f32 v1, v128, v1 :: v_dual_sub_f32 v2, v129, v2
	scratch_store_b64 off, v[1:2], off offset:8
	v_cmpx_ne_u32_e32 0, v0
	s_cbranch_execz .LBB45_289
; %bb.288:
	scratch_load_b64 v[0:1], off, off
	v_mov_b32_e32 v2, 0
	s_delay_alu instid0(VALU_DEP_1)
	v_mov_b32_e32 v3, v2
	scratch_store_b64 off, v[2:3], off
	s_wait_loadcnt 0x0
	ds_store_b64 v23, v[0:1]
.LBB45_289:
	s_wait_alu 0xfffe
	s_or_b32 exec_lo, exec_lo, s0
	s_wait_storecnt_dscnt 0x0
	s_barrier_signal -1
	s_barrier_wait -1
	global_inv scope:SCOPE_SE
	s_clause 0x6
	scratch_load_b128 v[0:3], off, off offset:8
	scratch_load_b128 v[4:7], off, off offset:24
	;; [unrolled: 1-line block ×7, first 2 shown]
	v_mov_b32_e32 v120, 0
	scratch_load_b64 v[129:130], off, off
	s_and_b32 vcc_lo, exec_lo, s18
	ds_load_2addr_b64 v[121:124], v120 offset0:47 offset1:48
	ds_load_2addr_b64 v[125:128], v120 offset0:49 offset1:50
	s_wait_loadcnt_dscnt 0x701
	v_mul_f32_e32 v131, v122, v1
	v_dual_mul_f32 v132, v121, v1 :: v_dual_mul_f32 v133, v123, v3
	v_mul_f32_e32 v1, v124, v3
	s_delay_alu instid0(VALU_DEP_3) | instskip(NEXT) | instid1(VALU_DEP_3)
	v_fma_f32 v121, v121, v0, -v131
	v_dual_fmac_f32 v132, v122, v0 :: v_dual_fmac_f32 v133, v124, v2
	s_wait_loadcnt_dscnt 0x600
	v_mul_f32_e32 v124, v127, v7
	v_fma_f32 v122, v123, v2, -v1
	ds_load_2addr_b64 v[0:3], v120 offset0:51 offset1:52
	v_mul_f32_e32 v123, v125, v5
	v_mul_f32_e32 v5, v126, v5
	;; [unrolled: 1-line block ×3, first 2 shown]
	s_delay_alu instid0(VALU_DEP_3) | instskip(NEXT) | instid1(VALU_DEP_3)
	v_dual_fmac_f32 v124, v128, v6 :: v_dual_fmac_f32 v123, v126, v4
	v_fma_f32 v125, v125, v4, -v5
	s_delay_alu instid0(VALU_DEP_3)
	v_fma_f32 v126, v127, v6, -v7
	ds_load_2addr_b64 v[4:7], v120 offset0:53 offset1:54
	s_wait_loadcnt_dscnt 0x501
	v_dual_mul_f32 v127, v0, v9 :: v_dual_mul_f32 v128, v2, v11
	v_mul_f32_e32 v9, v1, v9
	v_mul_f32_e32 v11, v3, v11
	s_delay_alu instid0(VALU_DEP_3) | instskip(NEXT) | instid1(VALU_DEP_3)
	v_dual_fmac_f32 v127, v1, v8 :: v_dual_fmac_f32 v128, v3, v10
	v_fma_f32 v131, v0, v8, -v9
	s_delay_alu instid0(VALU_DEP_3)
	v_fma_f32 v134, v2, v10, -v11
	ds_load_2addr_b64 v[0:3], v120 offset0:55 offset1:56
	s_wait_loadcnt_dscnt 0x401
	v_mul_f32_e32 v135, v4, v13
	v_dual_mul_f32 v8, v5, v13 :: v_dual_mul_f32 v13, v6, v15
	v_mul_f32_e32 v9, v7, v15
	s_delay_alu instid0(VALU_DEP_3) | instskip(NEXT) | instid1(VALU_DEP_3)
	v_fmac_f32_e32 v135, v5, v12
	v_fma_f32 v12, v4, v12, -v8
	s_delay_alu instid0(VALU_DEP_4) | instskip(NEXT) | instid1(VALU_DEP_4)
	v_fmac_f32_e32 v13, v7, v14
	v_fma_f32 v14, v6, v14, -v9
	ds_load_2addr_b64 v[4:7], v120 offset0:57 offset1:58
	s_wait_loadcnt_dscnt 0x301
	v_mul_f32_e32 v15, v0, v17
	v_dual_mul_f32 v8, v1, v17 :: v_dual_mul_f32 v17, v2, v19
	v_mul_f32_e32 v9, v3, v19
	s_delay_alu instid0(VALU_DEP_3) | instskip(NEXT) | instid1(VALU_DEP_3)
	v_fmac_f32_e32 v15, v1, v16
	v_fma_f32 v16, v0, v16, -v8
	s_delay_alu instid0(VALU_DEP_4) | instskip(NEXT) | instid1(VALU_DEP_4)
	v_fmac_f32_e32 v17, v3, v18
	;; [unrolled: 11-line block ×4, first 2 shown]
	v_fma_f32 v26, v2, v26, -v9
	s_clause 0x1
	scratch_load_b128 v[0:3], off, off offset:120
	scratch_load_b128 v[8:11], off, off offset:136
	s_wait_loadcnt_dscnt 0x100
	v_mul_f32_e32 v27, v4, v1
	v_mul_f32_e32 v1, v5, v1
	;; [unrolled: 1-line block ×3, first 2 shown]
	s_delay_alu instid0(VALU_DEP_3) | instskip(NEXT) | instid1(VALU_DEP_3)
	v_fmac_f32_e32 v27, v5, v0
	v_fma_f32 v136, v4, v0, -v1
	v_mul_f32_e32 v0, v7, v3
	s_delay_alu instid0(VALU_DEP_4) | instskip(NEXT) | instid1(VALU_DEP_2)
	v_fmac_f32_e32 v137, v7, v2
	v_fma_f32 v138, v6, v2, -v0
	ds_load_2addr_b64 v[0:3], v120 offset0:63 offset1:64
	ds_load_2addr_b64 v[4:7], v120 offset0:65 offset1:66
	s_wait_loadcnt_dscnt 0x1
	v_mul_f32_e32 v139, v0, v9
	s_delay_alu instid0(VALU_DEP_1) | instskip(SKIP_1) | instid1(VALU_DEP_1)
	v_fmac_f32_e32 v139, v1, v8
	v_mul_f32_e32 v1, v1, v9
	v_fma_f32 v140, v0, v8, -v1
	v_mul_f32_e32 v0, v3, v11
	s_delay_alu instid0(VALU_DEP_1) | instskip(SKIP_1) | instid1(VALU_DEP_1)
	v_fma_f32 v142, v2, v10, -v0
	v_mul_f32_e32 v141, v2, v11
	v_fmac_f32_e32 v141, v3, v10
	s_clause 0x1
	scratch_load_b128 v[0:3], off, off offset:152
	scratch_load_b128 v[8:11], off, off offset:168
	s_wait_loadcnt_dscnt 0x100
	v_mul_f32_e32 v143, v4, v1
	v_mul_f32_e32 v1, v5, v1
	v_mul_f32_e32 v145, v6, v3
	s_delay_alu instid0(VALU_DEP_3) | instskip(NEXT) | instid1(VALU_DEP_3)
	v_fmac_f32_e32 v143, v5, v0
	v_fma_f32 v144, v4, v0, -v1
	v_mul_f32_e32 v0, v7, v3
	s_delay_alu instid0(VALU_DEP_4) | instskip(NEXT) | instid1(VALU_DEP_2)
	v_fmac_f32_e32 v145, v7, v2
	v_fma_f32 v146, v6, v2, -v0
	ds_load_2addr_b64 v[0:3], v120 offset0:67 offset1:68
	ds_load_2addr_b64 v[4:7], v120 offset0:69 offset1:70
	s_wait_loadcnt_dscnt 0x1
	v_mul_f32_e32 v147, v0, v9
	v_mul_f32_e32 v149, v2, v11
	s_delay_alu instid0(VALU_DEP_2) | instskip(SKIP_1) | instid1(VALU_DEP_3)
	v_fmac_f32_e32 v147, v1, v8
	v_mul_f32_e32 v1, v1, v9
	v_fmac_f32_e32 v149, v3, v10
	s_delay_alu instid0(VALU_DEP_2) | instskip(SKIP_1) | instid1(VALU_DEP_1)
	v_fma_f32 v148, v0, v8, -v1
	v_mul_f32_e32 v0, v3, v11
	v_fma_f32 v150, v2, v10, -v0
	s_clause 0x1
	scratch_load_b128 v[0:3], off, off offset:184
	scratch_load_b128 v[8:11], off, off offset:200
	s_wait_loadcnt_dscnt 0x100
	v_mul_f32_e32 v151, v4, v1
	v_mul_f32_e32 v1, v5, v1
	v_mul_f32_e32 v153, v6, v3
	s_delay_alu instid0(VALU_DEP_3) | instskip(NEXT) | instid1(VALU_DEP_3)
	v_fmac_f32_e32 v151, v5, v0
	v_fma_f32 v152, v4, v0, -v1
	v_mul_f32_e32 v0, v7, v3
	s_delay_alu instid0(VALU_DEP_4) | instskip(NEXT) | instid1(VALU_DEP_2)
	v_fmac_f32_e32 v153, v7, v2
	v_fma_f32 v154, v6, v2, -v0
	ds_load_2addr_b64 v[0:3], v120 offset0:71 offset1:72
	ds_load_2addr_b64 v[4:7], v120 offset0:73 offset1:74
	s_wait_loadcnt_dscnt 0x1
	v_mul_f32_e32 v155, v0, v9
	v_mul_f32_e32 v157, v2, v11
	s_delay_alu instid0(VALU_DEP_2) | instskip(SKIP_1) | instid1(VALU_DEP_3)
	v_fmac_f32_e32 v155, v1, v8
	v_mul_f32_e32 v1, v1, v9
	v_fmac_f32_e32 v157, v3, v10
	s_delay_alu instid0(VALU_DEP_2) | instskip(SKIP_1) | instid1(VALU_DEP_1)
	v_fma_f32 v156, v0, v8, -v1
	v_mul_f32_e32 v0, v3, v11
	v_fma_f32 v158, v2, v10, -v0
	;; [unrolled: 27-line block ×4, first 2 shown]
	s_clause 0x1
	scratch_load_b128 v[0:3], off, off offset:280
	scratch_load_b128 v[8:11], off, off offset:296
	s_wait_loadcnt_dscnt 0x100
	v_mul_f32_e32 v175, v4, v1
	v_mul_f32_e32 v1, v5, v1
	;; [unrolled: 1-line block ×3, first 2 shown]
	s_delay_alu instid0(VALU_DEP_3) | instskip(NEXT) | instid1(VALU_DEP_3)
	v_fmac_f32_e32 v175, v5, v0
	v_fma_f32 v176, v4, v0, -v1
	v_dual_mul_f32 v0, v7, v3 :: v_dual_add_f32 v1, 0, v132
	s_delay_alu instid0(VALU_DEP_4) | instskip(NEXT) | instid1(VALU_DEP_2)
	v_fmac_f32_e32 v177, v7, v2
	v_fma_f32 v178, v6, v2, -v0
	v_add_f32_e32 v0, 0, v121
	s_delay_alu instid0(VALU_DEP_1) | instskip(NEXT) | instid1(VALU_DEP_1)
	v_dual_add_f32 v1, v1, v133 :: v_dual_add_f32 v0, v0, v122
	v_dual_add_f32 v1, v1, v123 :: v_dual_add_f32 v0, v0, v125
	s_delay_alu instid0(VALU_DEP_1) | instskip(NEXT) | instid1(VALU_DEP_1)
	v_dual_add_f32 v1, v1, v124 :: v_dual_add_f32 v0, v0, v126
	v_add_f32_e32 v1, v1, v127
	s_delay_alu instid0(VALU_DEP_1) | instskip(NEXT) | instid1(VALU_DEP_1)
	v_dual_add_f32 v0, v0, v131 :: v_dual_add_f32 v1, v1, v128
	v_dual_add_f32 v0, v0, v134 :: v_dual_add_f32 v1, v1, v135
	s_delay_alu instid0(VALU_DEP_1) | instskip(NEXT) | instid1(VALU_DEP_1)
	v_dual_add_f32 v0, v0, v12 :: v_dual_add_f32 v1, v1, v13
	v_dual_add_f32 v0, v0, v14 :: v_dual_add_f32 v1, v1, v15
	;; [unrolled: 3-line block ×4, first 2 shown]
	s_delay_alu instid0(VALU_DEP_1) | instskip(SKIP_2) | instid1(VALU_DEP_1)
	v_dual_add_f32 v0, v0, v24 :: v_dual_add_f32 v1, v1, v25
	scratch_load_b64 v[24:25], off, off offset:360
	v_dual_add_f32 v0, v0, v26 :: v_dual_add_f32 v1, v1, v27
	v_dual_add_f32 v0, v0, v136 :: v_dual_add_f32 v1, v1, v137
	s_delay_alu instid0(VALU_DEP_1) | instskip(NEXT) | instid1(VALU_DEP_1)
	v_dual_add_f32 v0, v0, v138 :: v_dual_add_f32 v1, v1, v139
	v_add_f32_e32 v0, v0, v140
	s_delay_alu instid0(VALU_DEP_1) | instskip(NEXT) | instid1(VALU_DEP_1)
	v_add_f32_e32 v0, v0, v142
	v_dual_add_f32 v0, v0, v144 :: v_dual_add_f32 v1, v1, v141
	s_delay_alu instid0(VALU_DEP_1) | instskip(NEXT) | instid1(VALU_DEP_1)
	v_dual_add_f32 v0, v0, v146 :: v_dual_add_f32 v1, v1, v143
	v_add_f32_e32 v5, v0, v148
	s_delay_alu instid0(VALU_DEP_1) | instskip(NEXT) | instid1(VALU_DEP_1)
	v_add_f32_e32 v5, v5, v150
	v_add_f32_e32 v12, v5, v152
	s_delay_alu instid0(VALU_DEP_1) | instskip(NEXT) | instid1(VALU_DEP_1)
	v_add_f32_e32 v12, v12, v154
	v_add_f32_e32 v12, v12, v156
	;; [unrolled: 1-line block ×3, first 2 shown]
	ds_load_2addr_b64 v[0:3], v120 offset0:83 offset1:84
	v_add_f32_e32 v12, v12, v158
	v_add_f32_e32 v4, v4, v147
	s_delay_alu instid0(VALU_DEP_2) | instskip(NEXT) | instid1(VALU_DEP_1)
	v_add_f32_e32 v17, v12, v160
	v_dual_add_f32 v4, v4, v149 :: v_dual_add_f32 v17, v17, v162
	s_delay_alu instid0(VALU_DEP_1)
	v_add_f32_e32 v13, v4, v151
	ds_load_2addr_b64 v[4:7], v120 offset0:85 offset1:86
	v_add_f32_e32 v17, v17, v164
	v_add_f32_e32 v13, v13, v153
	s_wait_loadcnt_dscnt 0x101
	v_mul_f32_e32 v121, v0, v9
	v_dual_mul_f32 v9, v1, v9 :: v_dual_mul_f32 v122, v2, v11
	v_mul_f32_e32 v11, v3, v11
	v_add_f32_e32 v13, v13, v155
	s_delay_alu instid0(VALU_DEP_4) | instskip(NEXT) | instid1(VALU_DEP_4)
	v_fmac_f32_e32 v121, v1, v8
	v_fma_f32 v123, v0, v8, -v9
	v_fmac_f32_e32 v122, v3, v10
	v_fma_f32 v124, v2, v10, -v11
	s_clause 0x1
	scratch_load_b128 v[0:3], off, off offset:312
	scratch_load_b128 v[8:11], off, off offset:328
	v_add_f32_e32 v16, v13, v157
	scratch_load_b128 v[12:15], off, off offset:344
	v_dual_add_f32 v17, v17, v166 :: v_dual_add_f32 v16, v16, v159
	s_delay_alu instid0(VALU_DEP_1) | instskip(NEXT) | instid1(VALU_DEP_1)
	v_dual_add_f32 v17, v17, v168 :: v_dual_add_f32 v16, v16, v161
	v_add_f32_e32 v26, v17, v170
	s_delay_alu instid0(VALU_DEP_1) | instskip(NEXT) | instid1(VALU_DEP_1)
	v_add_f32_e32 v125, v26, v172
	v_add_f32_e32 v125, v125, v174
	s_delay_alu instid0(VALU_DEP_1) | instskip(NEXT) | instid1(VALU_DEP_1)
	v_add_f32_e32 v125, v125, v176
	v_add_f32_e32 v125, v125, v178
	s_delay_alu instid0(VALU_DEP_1) | instskip(SKIP_4) | instid1(VALU_DEP_3)
	v_add_f32_e32 v123, v125, v123
	s_wait_loadcnt_dscnt 0x200
	v_mul_f32_e32 v127, v4, v1
	v_dual_mul_f32 v1, v5, v1 :: v_dual_mul_f32 v128, v6, v3
	v_mul_f32_e32 v3, v7, v3
	v_fmac_f32_e32 v127, v5, v0
	s_delay_alu instid0(VALU_DEP_3) | instskip(SKIP_3) | instid1(VALU_DEP_3)
	v_fma_f32 v0, v4, v0, -v1
	v_add_f32_e32 v1, v123, v124
	v_fmac_f32_e32 v128, v7, v2
	v_fma_f32 v2, v6, v2, -v3
	v_add_f32_e32 v0, v1, v0
	s_delay_alu instid0(VALU_DEP_1) | instskip(SKIP_1) | instid1(VALU_DEP_1)
	v_add_f32_e32 v0, v0, v2
	v_add_f32_e32 v16, v16, v163
	;; [unrolled: 1-line block ×3, first 2 shown]
	s_delay_alu instid0(VALU_DEP_1)
	v_add_f32_e32 v20, v16, v167
	ds_load_2addr_b64 v[16:19], v120 offset0:87 offset1:88
	v_add_f32_e32 v27, v20, v169
	ds_load_2addr_b64 v[20:23], v120 offset0:89 offset1:90
	v_add_f32_e32 v126, v27, v171
	ds_load_b64 v[26:27], v120 offset:728
	v_add_f32_e32 v126, v126, v173
	s_wait_loadcnt_dscnt 0x102
	s_delay_alu instid0(VALU_DEP_1) | instskip(SKIP_1) | instid1(VALU_DEP_2)
	v_dual_add_f32 v126, v126, v175 :: v_dual_mul_f32 v131, v16, v9
	v_dual_mul_f32 v5, v17, v9 :: v_dual_mul_f32 v132, v18, v11
	v_dual_mul_f32 v3, v19, v11 :: v_dual_add_f32 v126, v126, v177
	s_delay_alu instid0(VALU_DEP_3)
	v_fmac_f32_e32 v131, v17, v8
	s_wait_loadcnt_dscnt 0x1
	v_mul_f32_e32 v133, v20, v13
	v_mul_f32_e32 v2, v21, v13
	v_dual_fmac_f32 v132, v19, v10 :: v_dual_add_f32 v121, v126, v121
	v_fma_f32 v3, v18, v10, -v3
	v_mul_f32_e32 v125, v22, v15
	v_fmac_f32_e32 v133, v21, v12
	v_fma_f32 v2, v20, v12, -v2
	v_add_f32_e32 v4, v121, v122
	s_wait_dscnt 0x0
	v_dual_mul_f32 v126, v26, v25 :: v_dual_fmac_f32 v125, v23, v14
	s_delay_alu instid0(VALU_DEP_2) | instskip(SKIP_1) | instid1(VALU_DEP_3)
	v_add_f32_e32 v1, v4, v127
	v_fma_f32 v4, v16, v8, -v5
	v_fmac_f32_e32 v126, v27, v24
	s_delay_alu instid0(VALU_DEP_3) | instskip(NEXT) | instid1(VALU_DEP_3)
	v_add_f32_e32 v1, v1, v128
	v_add_f32_e32 v0, v0, v4
	v_mul_f32_e32 v4, v23, v15
	s_delay_alu instid0(VALU_DEP_3) | instskip(NEXT) | instid1(VALU_DEP_3)
	v_add_f32_e32 v1, v1, v131
	v_dual_add_f32 v0, v0, v3 :: v_dual_mul_f32 v3, v27, v25
	s_delay_alu instid0(VALU_DEP_3) | instskip(NEXT) | instid1(VALU_DEP_2)
	v_fma_f32 v4, v22, v14, -v4
	v_dual_add_f32 v1, v1, v132 :: v_dual_add_f32 v0, v0, v2
	s_delay_alu instid0(VALU_DEP_3) | instskip(NEXT) | instid1(VALU_DEP_2)
	v_fma_f32 v2, v26, v24, -v3
	v_dual_add_f32 v1, v1, v133 :: v_dual_add_f32 v0, v0, v4
	s_delay_alu instid0(VALU_DEP_1) | instskip(NEXT) | instid1(VALU_DEP_1)
	v_dual_add_f32 v1, v1, v125 :: v_dual_add_f32 v0, v0, v2
	v_add_f32_e32 v1, v1, v126
	s_delay_alu instid0(VALU_DEP_1)
	v_dual_sub_f32 v0, v129, v0 :: v_dual_sub_f32 v1, v130, v1
	scratch_store_b64 off, v[0:1], off
	s_wait_alu 0xfffe
	s_cbranch_vccz .LBB45_380
; %bb.290:
	global_load_b32 v0, v120, s[2:3] offset:176
	s_wait_loadcnt 0x0
	v_cmp_ne_u32_e32 vcc_lo, 45, v0
	s_cbranch_vccz .LBB45_292
; %bb.291:
	v_lshlrev_b32_e32 v0, 3, v0
	s_delay_alu instid0(VALU_DEP_1)
	v_mov_b32_e32 v4, v0
	scratch_load_b64 v[0:1], v4, off offset:-8
	scratch_load_b64 v[2:3], off, off offset:352
	s_wait_loadcnt 0x1
	scratch_store_b64 off, v[0:1], off offset:352
	s_wait_loadcnt 0x0
	scratch_store_b64 v4, v[2:3], off offset:-8
.LBB45_292:
	v_mov_b32_e32 v0, 0
	global_load_b32 v1, v0, s[2:3] offset:172
	s_wait_loadcnt 0x0
	v_cmp_eq_u32_e32 vcc_lo, 44, v1
	s_cbranch_vccnz .LBB45_294
; %bb.293:
	v_lshlrev_b32_e32 v1, 3, v1
	s_delay_alu instid0(VALU_DEP_1)
	v_mov_b32_e32 v5, v1
	scratch_load_b64 v[1:2], v5, off offset:-8
	scratch_load_b64 v[3:4], off, off offset:344
	s_wait_loadcnt 0x1
	scratch_store_b64 off, v[1:2], off offset:344
	s_wait_loadcnt 0x0
	scratch_store_b64 v5, v[3:4], off offset:-8
.LBB45_294:
	global_load_b32 v0, v0, s[2:3] offset:168
	s_wait_loadcnt 0x0
	v_cmp_eq_u32_e32 vcc_lo, 43, v0
	s_cbranch_vccnz .LBB45_296
; %bb.295:
	v_lshlrev_b32_e32 v0, 3, v0
	s_delay_alu instid0(VALU_DEP_1)
	v_mov_b32_e32 v4, v0
	scratch_load_b64 v[0:1], v4, off offset:-8
	scratch_load_b64 v[2:3], off, off offset:336
	s_wait_loadcnt 0x1
	scratch_store_b64 off, v[0:1], off offset:336
	s_wait_loadcnt 0x0
	scratch_store_b64 v4, v[2:3], off offset:-8
.LBB45_296:
	v_mov_b32_e32 v0, 0
	global_load_b32 v1, v0, s[2:3] offset:164
	s_wait_loadcnt 0x0
	v_cmp_eq_u32_e32 vcc_lo, 42, v1
	s_cbranch_vccnz .LBB45_298
; %bb.297:
	v_lshlrev_b32_e32 v1, 3, v1
	s_delay_alu instid0(VALU_DEP_1)
	v_mov_b32_e32 v5, v1
	scratch_load_b64 v[1:2], v5, off offset:-8
	scratch_load_b64 v[3:4], off, off offset:328
	s_wait_loadcnt 0x1
	scratch_store_b64 off, v[1:2], off offset:328
	s_wait_loadcnt 0x0
	scratch_store_b64 v5, v[3:4], off offset:-8
.LBB45_298:
	global_load_b32 v0, v0, s[2:3] offset:160
	s_wait_loadcnt 0x0
	v_cmp_eq_u32_e32 vcc_lo, 41, v0
	s_cbranch_vccnz .LBB45_300
; %bb.299:
	v_lshlrev_b32_e32 v0, 3, v0
	s_delay_alu instid0(VALU_DEP_1)
	v_mov_b32_e32 v4, v0
	scratch_load_b64 v[0:1], v4, off offset:-8
	scratch_load_b64 v[2:3], off, off offset:320
	s_wait_loadcnt 0x1
	scratch_store_b64 off, v[0:1], off offset:320
	s_wait_loadcnt 0x0
	scratch_store_b64 v4, v[2:3], off offset:-8
.LBB45_300:
	;; [unrolled: 31-line block ×21, first 2 shown]
	v_mov_b32_e32 v0, 0
	global_load_b32 v1, v0, s[2:3] offset:4
	s_wait_loadcnt 0x0
	v_cmp_eq_u32_e32 vcc_lo, 2, v1
	s_cbranch_vccnz .LBB45_378
; %bb.377:
	v_lshlrev_b32_e32 v1, 3, v1
	s_delay_alu instid0(VALU_DEP_1)
	v_mov_b32_e32 v5, v1
	scratch_load_b64 v[1:2], v5, off offset:-8
	scratch_load_b64 v[3:4], off, off offset:8
	s_wait_loadcnt 0x1
	scratch_store_b64 off, v[1:2], off offset:8
	s_wait_loadcnt 0x0
	scratch_store_b64 v5, v[3:4], off offset:-8
.LBB45_378:
	global_load_b32 v0, v0, s[2:3]
	s_wait_loadcnt 0x0
	v_cmp_eq_u32_e32 vcc_lo, 1, v0
	s_cbranch_vccnz .LBB45_380
; %bb.379:
	v_lshlrev_b32_e32 v0, 3, v0
	s_delay_alu instid0(VALU_DEP_1)
	v_mov_b32_e32 v4, v0
	scratch_load_b64 v[0:1], v4, off offset:-8
	scratch_load_b64 v[2:3], off, off
	s_wait_loadcnt 0x1
	scratch_store_b64 off, v[0:1], off
	s_wait_loadcnt 0x0
	scratch_store_b64 v4, v[2:3], off offset:-8
.LBB45_380:
	s_clause 0x16
	scratch_load_b128 v[0:3], off, off
	scratch_load_b128 v[4:7], off, off offset:16
	scratch_load_b128 v[8:11], off, off offset:32
	;; [unrolled: 1-line block ×22, first 2 shown]
	s_wait_loadcnt 0x16
	s_clause 0x1
	global_store_b64 v[28:29], v[0:1], off
	global_store_b64 v[30:31], v[2:3], off
	s_wait_loadcnt 0x15
	s_clause 0x1
	global_store_b64 v[32:33], v[4:5], off
	global_store_b64 v[34:35], v[6:7], off
	;; [unrolled: 4-line block ×23, first 2 shown]
	s_nop 0
	s_sendmsg sendmsg(MSG_DEALLOC_VGPRS)
	s_endpgm
	.section	.rodata,"a",@progbits
	.p2align	6, 0x0
	.amdhsa_kernel _ZN9rocsolver6v33100L18getri_kernel_smallILi46E19rocblas_complex_numIfEPS3_EEvT1_iilPiilS6_bb
		.amdhsa_group_segment_fixed_size 740
		.amdhsa_private_segment_fixed_size 384
		.amdhsa_kernarg_size 60
		.amdhsa_user_sgpr_count 2
		.amdhsa_user_sgpr_dispatch_ptr 0
		.amdhsa_user_sgpr_queue_ptr 0
		.amdhsa_user_sgpr_kernarg_segment_ptr 1
		.amdhsa_user_sgpr_dispatch_id 0
		.amdhsa_user_sgpr_private_segment_size 0
		.amdhsa_wavefront_size32 1
		.amdhsa_uses_dynamic_stack 0
		.amdhsa_enable_private_segment 1
		.amdhsa_system_sgpr_workgroup_id_x 1
		.amdhsa_system_sgpr_workgroup_id_y 0
		.amdhsa_system_sgpr_workgroup_id_z 0
		.amdhsa_system_sgpr_workgroup_info 0
		.amdhsa_system_vgpr_workitem_id 0
		.amdhsa_next_free_vgpr 252
		.amdhsa_next_free_sgpr 19
		.amdhsa_reserve_vcc 1
		.amdhsa_float_round_mode_32 0
		.amdhsa_float_round_mode_16_64 0
		.amdhsa_float_denorm_mode_32 3
		.amdhsa_float_denorm_mode_16_64 3
		.amdhsa_fp16_overflow 0
		.amdhsa_workgroup_processor_mode 1
		.amdhsa_memory_ordered 1
		.amdhsa_forward_progress 1
		.amdhsa_inst_pref_size 255
		.amdhsa_round_robin_scheduling 0
		.amdhsa_exception_fp_ieee_invalid_op 0
		.amdhsa_exception_fp_denorm_src 0
		.amdhsa_exception_fp_ieee_div_zero 0
		.amdhsa_exception_fp_ieee_overflow 0
		.amdhsa_exception_fp_ieee_underflow 0
		.amdhsa_exception_fp_ieee_inexact 0
		.amdhsa_exception_int_div_zero 0
	.end_amdhsa_kernel
	.section	.text._ZN9rocsolver6v33100L18getri_kernel_smallILi46E19rocblas_complex_numIfEPS3_EEvT1_iilPiilS6_bb,"axG",@progbits,_ZN9rocsolver6v33100L18getri_kernel_smallILi46E19rocblas_complex_numIfEPS3_EEvT1_iilPiilS6_bb,comdat
.Lfunc_end45:
	.size	_ZN9rocsolver6v33100L18getri_kernel_smallILi46E19rocblas_complex_numIfEPS3_EEvT1_iilPiilS6_bb, .Lfunc_end45-_ZN9rocsolver6v33100L18getri_kernel_smallILi46E19rocblas_complex_numIfEPS3_EEvT1_iilPiilS6_bb
                                        ; -- End function
	.set _ZN9rocsolver6v33100L18getri_kernel_smallILi46E19rocblas_complex_numIfEPS3_EEvT1_iilPiilS6_bb.num_vgpr, 252
	.set _ZN9rocsolver6v33100L18getri_kernel_smallILi46E19rocblas_complex_numIfEPS3_EEvT1_iilPiilS6_bb.num_agpr, 0
	.set _ZN9rocsolver6v33100L18getri_kernel_smallILi46E19rocblas_complex_numIfEPS3_EEvT1_iilPiilS6_bb.numbered_sgpr, 19
	.set _ZN9rocsolver6v33100L18getri_kernel_smallILi46E19rocblas_complex_numIfEPS3_EEvT1_iilPiilS6_bb.num_named_barrier, 0
	.set _ZN9rocsolver6v33100L18getri_kernel_smallILi46E19rocblas_complex_numIfEPS3_EEvT1_iilPiilS6_bb.private_seg_size, 384
	.set _ZN9rocsolver6v33100L18getri_kernel_smallILi46E19rocblas_complex_numIfEPS3_EEvT1_iilPiilS6_bb.uses_vcc, 1
	.set _ZN9rocsolver6v33100L18getri_kernel_smallILi46E19rocblas_complex_numIfEPS3_EEvT1_iilPiilS6_bb.uses_flat_scratch, 1
	.set _ZN9rocsolver6v33100L18getri_kernel_smallILi46E19rocblas_complex_numIfEPS3_EEvT1_iilPiilS6_bb.has_dyn_sized_stack, 0
	.set _ZN9rocsolver6v33100L18getri_kernel_smallILi46E19rocblas_complex_numIfEPS3_EEvT1_iilPiilS6_bb.has_recursion, 0
	.set _ZN9rocsolver6v33100L18getri_kernel_smallILi46E19rocblas_complex_numIfEPS3_EEvT1_iilPiilS6_bb.has_indirect_call, 0
	.section	.AMDGPU.csdata,"",@progbits
; Kernel info:
; codeLenInByte = 73468
; TotalNumSgprs: 21
; NumVgprs: 252
; ScratchSize: 384
; MemoryBound: 0
; FloatMode: 240
; IeeeMode: 1
; LDSByteSize: 740 bytes/workgroup (compile time only)
; SGPRBlocks: 0
; VGPRBlocks: 31
; NumSGPRsForWavesPerEU: 21
; NumVGPRsForWavesPerEU: 252
; Occupancy: 5
; WaveLimiterHint : 1
; COMPUTE_PGM_RSRC2:SCRATCH_EN: 1
; COMPUTE_PGM_RSRC2:USER_SGPR: 2
; COMPUTE_PGM_RSRC2:TRAP_HANDLER: 0
; COMPUTE_PGM_RSRC2:TGID_X_EN: 1
; COMPUTE_PGM_RSRC2:TGID_Y_EN: 0
; COMPUTE_PGM_RSRC2:TGID_Z_EN: 0
; COMPUTE_PGM_RSRC2:TIDIG_COMP_CNT: 0
	.section	.text._ZN9rocsolver6v33100L18getri_kernel_smallILi47E19rocblas_complex_numIfEPS3_EEvT1_iilPiilS6_bb,"axG",@progbits,_ZN9rocsolver6v33100L18getri_kernel_smallILi47E19rocblas_complex_numIfEPS3_EEvT1_iilPiilS6_bb,comdat
	.globl	_ZN9rocsolver6v33100L18getri_kernel_smallILi47E19rocblas_complex_numIfEPS3_EEvT1_iilPiilS6_bb ; -- Begin function _ZN9rocsolver6v33100L18getri_kernel_smallILi47E19rocblas_complex_numIfEPS3_EEvT1_iilPiilS6_bb
	.p2align	8
	.type	_ZN9rocsolver6v33100L18getri_kernel_smallILi47E19rocblas_complex_numIfEPS3_EEvT1_iilPiilS6_bb,@function
_ZN9rocsolver6v33100L18getri_kernel_smallILi47E19rocblas_complex_numIfEPS3_EEvT1_iilPiilS6_bb: ; @_ZN9rocsolver6v33100L18getri_kernel_smallILi47E19rocblas_complex_numIfEPS3_EEvT1_iilPiilS6_bb
; %bb.0:
	s_mov_b32 s2, exec_lo
	v_cmpx_gt_u32_e32 47, v0
	s_cbranch_execz .LBB46_202
; %bb.1:
	s_clause 0x2
	s_load_b32 s2, s[0:1], 0x38
	s_load_b128 s[12:15], s[0:1], 0x10
	s_load_b128 s[4:7], s[0:1], 0x28
	s_mov_b32 s16, ttmp9
	s_wait_kmcnt 0x0
	s_bitcmp1_b32 s2, 8
	s_cselect_b32 s18, -1, 0
	s_bfe_u32 s2, s2, 0x10008
	s_ashr_i32 s17, ttmp9, 31
	s_cmp_eq_u32 s2, 0
                                        ; implicit-def: $sgpr2_sgpr3
	s_cbranch_scc1 .LBB46_3
; %bb.2:
	s_load_b32 s2, s[0:1], 0x20
	s_mul_u64 s[4:5], s[4:5], s[16:17]
	s_delay_alu instid0(SALU_CYCLE_1) | instskip(NEXT) | instid1(SALU_CYCLE_1)
	s_lshl_b64 s[4:5], s[4:5], 2
	s_add_nc_u64 s[4:5], s[14:15], s[4:5]
	s_wait_kmcnt 0x0
	s_ashr_i32 s3, s2, 31
	s_delay_alu instid0(SALU_CYCLE_1) | instskip(NEXT) | instid1(SALU_CYCLE_1)
	s_lshl_b64 s[2:3], s[2:3], 2
	s_add_nc_u64 s[2:3], s[4:5], s[2:3]
.LBB46_3:
	s_clause 0x1
	s_load_b128 s[8:11], s[0:1], 0x0
	s_load_b32 s4, s[0:1], 0x38
	s_mul_u64 s[0:1], s[12:13], s[16:17]
	v_lshlrev_b32_e32 v13, 3, v0
	s_lshl_b64 s[0:1], s[0:1], 3
	s_wait_kmcnt 0x0
	v_add3_u32 v3, s11, s11, v0
	s_ashr_i32 s13, s10, 31
	s_mov_b32 s12, s10
	s_add_nc_u64 s[0:1], s[8:9], s[0:1]
	s_lshl_b64 s[12:13], s[12:13], 3
	v_add_nc_u32_e32 v5, s11, v3
	v_ashrrev_i32_e32 v4, 31, v3
	s_add_nc_u64 s[0:1], s[0:1], s[12:13]
	s_ashr_i32 s9, s11, 31
	v_add_co_u32 v24, s5, s0, v13
	v_add_nc_u32_e32 v7, s11, v5
	s_mov_b32 s8, s11
	v_lshlrev_b64_e32 v[3:4], 3, v[3:4]
	v_add_co_ci_u32_e64 v25, null, s1, 0, s5
	s_delay_alu instid0(VALU_DEP_3) | instskip(SKIP_3) | instid1(VALU_DEP_1)
	v_add_nc_u32_e32 v9, s11, v7
	s_lshl_b64 s[8:9], s[8:9], 3
	v_ashrrev_i32_e32 v6, 31, v5
	v_add_co_u32 v26, vcc_lo, v24, s8
	v_add_co_ci_u32_e64 v27, null, s9, v25, vcc_lo
	v_add_co_u32 v28, vcc_lo, s0, v3
	v_add_nc_u32_e32 v3, s11, v9
	v_lshlrev_b64_e32 v[5:6], 3, v[5:6]
	v_ashrrev_i32_e32 v8, 31, v7
	v_ashrrev_i32_e32 v10, 31, v9
	s_wait_alu 0xfffd
	v_add_co_ci_u32_e64 v29, null, s1, v4, vcc_lo
	v_add_nc_u32_e32 v11, s11, v3
	v_ashrrev_i32_e32 v4, 31, v3
	v_lshlrev_b64_e32 v[7:8], 3, v[7:8]
	v_add_co_u32 v30, vcc_lo, s0, v5
	s_wait_alu 0xfffd
	v_add_co_ci_u32_e64 v31, null, s1, v6, vcc_lo
	v_lshlrev_b64_e32 v[5:6], 3, v[9:10]
	v_add_nc_u32_e32 v16, s11, v11
	v_lshlrev_b64_e32 v[14:15], 3, v[3:4]
	v_ashrrev_i32_e32 v12, 31, v11
	v_add_co_u32 v32, vcc_lo, s0, v7
	s_delay_alu instid0(VALU_DEP_4)
	v_ashrrev_i32_e32 v17, 31, v16
	v_add_nc_u32_e32 v18, s11, v16
	s_wait_alu 0xfffd
	v_add_co_ci_u32_e64 v33, null, s1, v8, vcc_lo
	v_add_co_u32 v34, vcc_lo, s0, v5
	v_lshlrev_b64_e32 v[11:12], 3, v[11:12]
	s_wait_alu 0xfffd
	v_add_co_ci_u32_e64 v35, null, s1, v6, vcc_lo
	v_add_co_u32 v36, vcc_lo, s0, v14
	s_wait_alu 0xfffd
	v_add_co_ci_u32_e64 v37, null, s1, v15, vcc_lo
	v_lshlrev_b64_e32 v[14:15], 3, v[16:17]
	v_ashrrev_i32_e32 v19, 31, v18
	v_add_nc_u32_e32 v16, s11, v18
	v_add_co_u32 v38, vcc_lo, s0, v11
	s_wait_alu 0xfffd
	v_add_co_ci_u32_e64 v39, null, s1, v12, vcc_lo
	v_lshlrev_b64_e32 v[11:12], 3, v[18:19]
	v_ashrrev_i32_e32 v17, 31, v16
	v_add_nc_u32_e32 v18, s11, v16
	v_add_co_u32 v40, vcc_lo, s0, v14
	s_wait_alu 0xfffd
	v_add_co_ci_u32_e64 v41, null, s1, v15, vcc_lo
	v_lshlrev_b64_e32 v[14:15], 3, v[16:17]
	v_ashrrev_i32_e32 v19, 31, v18
	v_add_nc_u32_e32 v16, s11, v18
	v_add_co_u32 v42, vcc_lo, s0, v11
	s_wait_alu 0xfffd
	v_add_co_ci_u32_e64 v43, null, s1, v12, vcc_lo
	v_lshlrev_b64_e32 v[11:12], 3, v[18:19]
	v_ashrrev_i32_e32 v17, 31, v16
	v_add_nc_u32_e32 v18, s11, v16
	v_add_co_u32 v44, vcc_lo, s0, v14
	s_wait_alu 0xfffd
	v_add_co_ci_u32_e64 v45, null, s1, v15, vcc_lo
	v_lshlrev_b64_e32 v[14:15], 3, v[16:17]
	v_ashrrev_i32_e32 v19, 31, v18
	v_add_nc_u32_e32 v16, s11, v18
	v_add_co_u32 v46, vcc_lo, s0, v11
	s_wait_alu 0xfffd
	v_add_co_ci_u32_e64 v47, null, s1, v12, vcc_lo
	v_lshlrev_b64_e32 v[11:12], 3, v[18:19]
	v_ashrrev_i32_e32 v17, 31, v16
	v_add_nc_u32_e32 v18, s11, v16
	v_add_co_u32 v48, vcc_lo, s0, v14
	s_wait_alu 0xfffd
	v_add_co_ci_u32_e64 v49, null, s1, v15, vcc_lo
	v_lshlrev_b64_e32 v[14:15], 3, v[16:17]
	v_ashrrev_i32_e32 v19, 31, v18
	v_add_nc_u32_e32 v16, s11, v18
	v_add_co_u32 v50, vcc_lo, s0, v11
	s_wait_alu 0xfffd
	v_add_co_ci_u32_e64 v51, null, s1, v12, vcc_lo
	v_lshlrev_b64_e32 v[11:12], 3, v[18:19]
	v_ashrrev_i32_e32 v17, 31, v16
	v_add_nc_u32_e32 v18, s11, v16
	v_add_co_u32 v52, vcc_lo, s0, v14
	s_wait_alu 0xfffd
	v_add_co_ci_u32_e64 v53, null, s1, v15, vcc_lo
	v_lshlrev_b64_e32 v[14:15], 3, v[16:17]
	v_ashrrev_i32_e32 v19, 31, v18
	v_add_nc_u32_e32 v16, s11, v18
	v_add_co_u32 v54, vcc_lo, s0, v11
	s_wait_alu 0xfffd
	v_add_co_ci_u32_e64 v55, null, s1, v12, vcc_lo
	v_lshlrev_b64_e32 v[11:12], 3, v[18:19]
	v_ashrrev_i32_e32 v17, 31, v16
	v_add_nc_u32_e32 v18, s11, v16
	v_add_co_u32 v56, vcc_lo, s0, v14
	s_wait_alu 0xfffd
	v_add_co_ci_u32_e64 v57, null, s1, v15, vcc_lo
	v_lshlrev_b64_e32 v[14:15], 3, v[16:17]
	v_ashrrev_i32_e32 v19, 31, v18
	v_add_nc_u32_e32 v16, s11, v18
	v_add_co_u32 v58, vcc_lo, s0, v11
	s_wait_alu 0xfffd
	v_add_co_ci_u32_e64 v59, null, s1, v12, vcc_lo
	v_lshlrev_b64_e32 v[11:12], 3, v[18:19]
	v_ashrrev_i32_e32 v17, 31, v16
	v_add_nc_u32_e32 v18, s11, v16
	v_add_co_u32 v60, vcc_lo, s0, v14
	s_wait_alu 0xfffd
	v_add_co_ci_u32_e64 v61, null, s1, v15, vcc_lo
	v_lshlrev_b64_e32 v[14:15], 3, v[16:17]
	v_ashrrev_i32_e32 v19, 31, v18
	v_add_nc_u32_e32 v16, s11, v18
	v_add_co_u32 v62, vcc_lo, s0, v11
	s_wait_alu 0xfffd
	v_add_co_ci_u32_e64 v63, null, s1, v12, vcc_lo
	v_lshlrev_b64_e32 v[11:12], 3, v[18:19]
	v_ashrrev_i32_e32 v17, 31, v16
	v_add_nc_u32_e32 v18, s11, v16
	v_add_co_u32 v64, vcc_lo, s0, v14
	s_wait_alu 0xfffd
	v_add_co_ci_u32_e64 v65, null, s1, v15, vcc_lo
	v_lshlrev_b64_e32 v[14:15], 3, v[16:17]
	v_ashrrev_i32_e32 v19, 31, v18
	v_add_nc_u32_e32 v16, s11, v18
	v_add_co_u32 v66, vcc_lo, s0, v11
	s_wait_alu 0xfffd
	v_add_co_ci_u32_e64 v67, null, s1, v12, vcc_lo
	v_lshlrev_b64_e32 v[11:12], 3, v[18:19]
	v_ashrrev_i32_e32 v17, 31, v16
	v_add_nc_u32_e32 v18, s11, v16
	v_add_co_u32 v68, vcc_lo, s0, v14
	s_wait_alu 0xfffd
	v_add_co_ci_u32_e64 v69, null, s1, v15, vcc_lo
	v_lshlrev_b64_e32 v[14:15], 3, v[16:17]
	v_ashrrev_i32_e32 v19, 31, v18
	v_add_nc_u32_e32 v16, s11, v18
	v_add_co_u32 v70, vcc_lo, s0, v11
	s_wait_alu 0xfffd
	v_add_co_ci_u32_e64 v71, null, s1, v12, vcc_lo
	v_lshlrev_b64_e32 v[11:12], 3, v[18:19]
	v_ashrrev_i32_e32 v17, 31, v16
	v_add_nc_u32_e32 v18, s11, v16
	v_add_co_u32 v72, vcc_lo, s0, v14
	s_wait_alu 0xfffd
	v_add_co_ci_u32_e64 v73, null, s1, v15, vcc_lo
	v_lshlrev_b64_e32 v[14:15], 3, v[16:17]
	v_ashrrev_i32_e32 v19, 31, v18
	v_add_nc_u32_e32 v16, s11, v18
	v_add_co_u32 v74, vcc_lo, s0, v11
	s_wait_alu 0xfffd
	v_add_co_ci_u32_e64 v75, null, s1, v12, vcc_lo
	v_lshlrev_b64_e32 v[11:12], 3, v[18:19]
	v_ashrrev_i32_e32 v17, 31, v16
	v_add_nc_u32_e32 v18, s11, v16
	v_add_co_u32 v76, vcc_lo, s0, v14
	s_wait_alu 0xfffd
	v_add_co_ci_u32_e64 v77, null, s1, v15, vcc_lo
	v_lshlrev_b64_e32 v[14:15], 3, v[16:17]
	v_ashrrev_i32_e32 v19, 31, v18
	v_add_nc_u32_e32 v16, s11, v18
	v_add_co_u32 v78, vcc_lo, s0, v11
	s_wait_alu 0xfffd
	v_add_co_ci_u32_e64 v79, null, s1, v12, vcc_lo
	v_lshlrev_b64_e32 v[11:12], 3, v[18:19]
	v_ashrrev_i32_e32 v17, 31, v16
	v_add_nc_u32_e32 v18, s11, v16
	v_add_co_u32 v80, vcc_lo, s0, v14
	s_wait_alu 0xfffd
	v_add_co_ci_u32_e64 v81, null, s1, v15, vcc_lo
	v_lshlrev_b64_e32 v[14:15], 3, v[16:17]
	v_ashrrev_i32_e32 v19, 31, v18
	v_add_nc_u32_e32 v16, s11, v18
	v_add_co_u32 v82, vcc_lo, s0, v11
	s_wait_alu 0xfffd
	v_add_co_ci_u32_e64 v83, null, s1, v12, vcc_lo
	v_lshlrev_b64_e32 v[11:12], 3, v[18:19]
	v_ashrrev_i32_e32 v17, 31, v16
	v_add_nc_u32_e32 v18, s11, v16
	v_add_co_u32 v84, vcc_lo, s0, v14
	s_wait_alu 0xfffd
	v_add_co_ci_u32_e64 v85, null, s1, v15, vcc_lo
	v_lshlrev_b64_e32 v[14:15], 3, v[16:17]
	v_add_nc_u32_e32 v16, s11, v18
	v_ashrrev_i32_e32 v19, 31, v18
	v_add_co_u32 v86, vcc_lo, s0, v11
	s_wait_alu 0xfffd
	v_add_co_ci_u32_e64 v87, null, s1, v12, vcc_lo
	v_add_nc_u32_e32 v22, s11, v16
	v_lshlrev_b64_e32 v[11:12], 3, v[18:19]
	v_add_co_u32 v88, vcc_lo, s0, v14
	s_wait_alu 0xfffd
	v_add_co_ci_u32_e64 v89, null, s1, v15, vcc_lo
	v_ashrrev_i32_e32 v23, 31, v22
	s_delay_alu instid0(VALU_DEP_4) | instskip(SKIP_2) | instid1(VALU_DEP_3)
	v_add_co_u32 v90, vcc_lo, s0, v11
	s_wait_alu 0xfffd
	v_add_co_ci_u32_e64 v91, null, s1, v12, vcc_lo
	v_lshlrev_b64_e32 v[11:12], 3, v[22:23]
	v_add_nc_u32_e32 v22, s11, v22
	v_ashrrev_i32_e32 v17, 31, v16
	s_clause 0x4
	global_load_b64 v[1:2], v13, s[0:1]
	global_load_b64 v[3:4], v[26:27], off
	global_load_b64 v[5:6], v[28:29], off
	;; [unrolled: 1-line block ×4, first 2 shown]
	s_bitcmp0_b32 s4, 0
	v_add_nc_u32_e32 v98, s11, v22
	v_ashrrev_i32_e32 v23, 31, v22
	v_lshlrev_b64_e32 v[14:15], 3, v[16:17]
	s_delay_alu instid0(VALU_DEP_3) | instskip(NEXT) | instid1(VALU_DEP_3)
	v_add_nc_u32_e32 v100, s11, v98
	v_lshlrev_b64_e32 v[22:23], 3, v[22:23]
	v_ashrrev_i32_e32 v99, 31, v98
	s_delay_alu instid0(VALU_DEP_4)
	v_add_co_u32 v92, vcc_lo, s0, v14
	s_wait_alu 0xfffd
	v_add_co_ci_u32_e64 v93, null, s1, v15, vcc_lo
	v_add_co_u32 v94, vcc_lo, s0, v11
	v_add_nc_u32_e32 v102, s11, v100
	s_wait_alu 0xfffd
	v_add_co_ci_u32_e64 v95, null, s1, v12, vcc_lo
	v_add_co_u32 v96, vcc_lo, s0, v22
	s_wait_alu 0xfffd
	v_add_co_ci_u32_e64 v97, null, s1, v23, vcc_lo
	v_lshlrev_b64_e32 v[22:23], 3, v[98:99]
	v_ashrrev_i32_e32 v101, 31, v100
	v_add_nc_u32_e32 v104, s11, v102
	v_ashrrev_i32_e32 v103, 31, v102
	s_clause 0x13
	global_load_b64 v[11:12], v[34:35], off
	global_load_b64 v[14:15], v[36:37], off
	global_load_b64 v[16:17], v[38:39], off
	global_load_b64 v[18:19], v[40:41], off
	global_load_b64 v[20:21], v[42:43], off
	global_load_b64 v[118:119], v[44:45], off
	global_load_b64 v[120:121], v[46:47], off
	global_load_b64 v[122:123], v[48:49], off
	global_load_b64 v[124:125], v[50:51], off
	global_load_b64 v[126:127], v[52:53], off
	global_load_b64 v[128:129], v[54:55], off
	global_load_b64 v[130:131], v[56:57], off
	global_load_b64 v[132:133], v[58:59], off
	global_load_b64 v[134:135], v[60:61], off
	global_load_b64 v[136:137], v[62:63], off
	global_load_b64 v[138:139], v[64:65], off
	global_load_b64 v[140:141], v[66:67], off
	global_load_b64 v[142:143], v[68:69], off
	global_load_b64 v[144:145], v[70:71], off
	global_load_b64 v[146:147], v[72:73], off
	v_lshlrev_b64_e32 v[100:101], 3, v[100:101]
	v_add_co_u32 v98, vcc_lo, s0, v22
	v_ashrrev_i32_e32 v105, 31, v104
	s_wait_alu 0xfffd
	v_add_co_ci_u32_e64 v99, null, s1, v23, vcc_lo
	v_lshlrev_b64_e32 v[22:23], 3, v[102:103]
	v_add_nc_u32_e32 v107, s11, v104
	v_lshlrev_b64_e32 v[105:106], 3, v[104:105]
	v_add_co_u32 v100, vcc_lo, s0, v100
	s_wait_alu 0xfffd
	v_add_co_ci_u32_e64 v101, null, s1, v101, vcc_lo
	v_add_co_u32 v102, vcc_lo, s0, v22
	v_ashrrev_i32_e32 v108, 31, v107
	v_add_nc_u32_e32 v22, s11, v107
	s_wait_alu 0xfffd
	v_add_co_ci_u32_e64 v103, null, s1, v23, vcc_lo
	v_add_co_u32 v104, vcc_lo, s0, v105
	s_wait_alu 0xfffd
	v_add_co_ci_u32_e64 v105, null, s1, v106, vcc_lo
	v_lshlrev_b64_e32 v[106:107], 3, v[107:108]
	v_add_nc_u32_e32 v108, s11, v22
	v_ashrrev_i32_e32 v23, 31, v22
	s_clause 0xb
	global_load_b64 v[148:149], v[74:75], off
	global_load_b64 v[150:151], v[76:77], off
	;; [unrolled: 1-line block ×12, first 2 shown]
	v_add_nc_u32_e32 v110, s11, v108
	v_lshlrev_b64_e32 v[22:23], 3, v[22:23]
	v_ashrrev_i32_e32 v109, 31, v108
	v_add_co_u32 v106, vcc_lo, s0, v106
	s_delay_alu instid0(VALU_DEP_4)
	v_add_nc_u32_e32 v114, s11, v110
	v_ashrrev_i32_e32 v111, 31, v110
	s_wait_alu 0xfffd
	v_add_co_ci_u32_e64 v107, null, s1, v107, vcc_lo
	v_lshlrev_b64_e32 v[112:113], 3, v[108:109]
	v_add_co_u32 v108, vcc_lo, s0, v22
	v_add_nc_u32_e32 v116, s11, v114
	s_wait_alu 0xfffd
	v_add_co_ci_u32_e64 v109, null, s1, v23, vcc_lo
	v_lshlrev_b64_e32 v[22:23], 3, v[110:111]
	v_ashrrev_i32_e32 v115, 31, v114
	v_ashrrev_i32_e32 v117, 31, v116
	v_add_co_u32 v110, vcc_lo, s0, v112
	s_wait_alu 0xfffd
	v_add_co_ci_u32_e64 v111, null, s1, v113, vcc_lo
	v_lshlrev_b64_e32 v[114:115], 3, v[114:115]
	v_add_co_u32 v112, vcc_lo, s0, v22
	s_wait_alu 0xfffd
	v_add_co_ci_u32_e64 v113, null, s1, v23, vcc_lo
	v_lshlrev_b64_e32 v[22:23], 3, v[116:117]
	s_delay_alu instid0(VALU_DEP_4)
	v_add_co_u32 v114, vcc_lo, s0, v114
	s_wait_alu 0xfffd
	v_add_co_ci_u32_e64 v115, null, s1, v115, vcc_lo
	s_clause 0x3
	global_load_b64 v[172:173], v[98:99], off
	global_load_b64 v[174:175], v[100:101], off
	;; [unrolled: 1-line block ×4, first 2 shown]
	v_add_co_u32 v116, vcc_lo, s0, v22
	s_wait_alu 0xfffd
	v_add_co_ci_u32_e64 v117, null, s1, v23, vcc_lo
	s_clause 0x5
	global_load_b64 v[180:181], v[106:107], off
	global_load_b64 v[182:183], v[108:109], off
	;; [unrolled: 1-line block ×6, first 2 shown]
	s_mov_b32 s1, -1
	s_wait_loadcnt 0x2d
	scratch_store_b128 off, v[1:4], off
	s_wait_loadcnt 0x2b
	scratch_store_b128 off, v[5:8], off offset:16
	s_wait_loadcnt 0x29
	scratch_store_b128 off, v[9:12], off offset:32
	;; [unrolled: 2-line block ×22, first 2 shown]
	s_wait_loadcnt 0x0
	scratch_store_b64 off, v[22:23], off offset:368
	s_cbranch_scc1 .LBB46_200
; %bb.4:
	v_cmp_eq_u32_e64 s0, 0, v0
	s_and_saveexec_b32 s1, s0
; %bb.5:
	v_mov_b32_e32 v1, 0
	ds_store_b32 v1, v1 offset:376
; %bb.6:
	s_wait_alu 0xfffe
	s_or_b32 exec_lo, exec_lo, s1
	s_wait_storecnt_dscnt 0x0
	s_barrier_signal -1
	s_barrier_wait -1
	global_inv scope:SCOPE_SE
	scratch_load_b64 v[1:2], v13, off
	s_wait_loadcnt 0x0
	v_cmp_eq_f32_e32 vcc_lo, 0, v1
	v_cmp_eq_f32_e64 s1, 0, v2
	s_and_b32 s1, vcc_lo, s1
	s_wait_alu 0xfffe
	s_and_saveexec_b32 s4, s1
	s_cbranch_execz .LBB46_10
; %bb.7:
	v_mov_b32_e32 v1, 0
	s_mov_b32 s5, 0
	ds_load_b32 v2, v1 offset:376
	s_wait_dscnt 0x0
	v_readfirstlane_b32 s1, v2
	v_add_nc_u32_e32 v2, 1, v0
	s_cmp_eq_u32 s1, 0
	s_delay_alu instid0(VALU_DEP_1)
	v_cmp_gt_i32_e32 vcc_lo, s1, v2
	s_cselect_b32 s8, -1, 0
	s_wait_alu 0xfffe
	s_or_b32 s8, s8, vcc_lo
	s_wait_alu 0xfffe
	s_and_b32 exec_lo, exec_lo, s8
	s_cbranch_execz .LBB46_10
; %bb.8:
	v_mov_b32_e32 v3, s1
.LBB46_9:                               ; =>This Inner Loop Header: Depth=1
	ds_cmpstore_rtn_b32 v3, v1, v2, v3 offset:376
	s_wait_dscnt 0x0
	v_cmp_ne_u32_e32 vcc_lo, 0, v3
	v_cmp_le_i32_e64 s1, v3, v2
	s_and_b32 s1, vcc_lo, s1
	s_wait_alu 0xfffe
	s_and_b32 s1, exec_lo, s1
	s_wait_alu 0xfffe
	s_or_b32 s5, s1, s5
	s_wait_alu 0xfffe
	s_and_not1_b32 exec_lo, exec_lo, s5
	s_cbranch_execnz .LBB46_9
.LBB46_10:
	s_wait_alu 0xfffe
	s_or_b32 exec_lo, exec_lo, s4
	v_mov_b32_e32 v1, 0
	s_barrier_signal -1
	s_barrier_wait -1
	global_inv scope:SCOPE_SE
	ds_load_b32 v2, v1 offset:376
	s_and_saveexec_b32 s1, s0
	s_cbranch_execz .LBB46_12
; %bb.11:
	s_lshl_b64 s[4:5], s[16:17], 2
	s_wait_alu 0xfffe
	s_add_nc_u64 s[4:5], s[6:7], s[4:5]
	s_wait_dscnt 0x0
	global_store_b32 v1, v2, s[4:5]
.LBB46_12:
	s_wait_alu 0xfffe
	s_or_b32 exec_lo, exec_lo, s1
	s_wait_dscnt 0x0
	v_cmp_ne_u32_e32 vcc_lo, 0, v2
	s_mov_b32 s1, 0
	s_cbranch_vccnz .LBB46_200
; %bb.13:
	v_mov_b32_e32 v7, v13
                                        ; implicit-def: $vgpr3
                                        ; implicit-def: $vgpr5
	scratch_load_b64 v[1:2], v7, off
	s_wait_loadcnt 0x0
	v_cmp_ngt_f32_e64 s1, |v1|, |v2|
	s_wait_alu 0xfffe
	s_and_saveexec_b32 s4, s1
	s_wait_alu 0xfffe
	s_xor_b32 s1, exec_lo, s4
	s_cbranch_execz .LBB46_15
; %bb.14:
	v_div_scale_f32 v3, null, v2, v2, v1
	v_div_scale_f32 v6, vcc_lo, v1, v2, v1
	s_delay_alu instid0(VALU_DEP_2) | instskip(NEXT) | instid1(TRANS32_DEP_1)
	v_rcp_f32_e32 v4, v3
	v_fma_f32 v5, -v3, v4, 1.0
	s_delay_alu instid0(VALU_DEP_1) | instskip(NEXT) | instid1(VALU_DEP_1)
	v_fmac_f32_e32 v4, v5, v4
	v_mul_f32_e32 v5, v6, v4
	s_delay_alu instid0(VALU_DEP_1) | instskip(NEXT) | instid1(VALU_DEP_1)
	v_fma_f32 v8, -v3, v5, v6
	v_fmac_f32_e32 v5, v8, v4
	s_delay_alu instid0(VALU_DEP_1) | instskip(SKIP_1) | instid1(VALU_DEP_1)
	v_fma_f32 v3, -v3, v5, v6
	s_wait_alu 0xfffd
	v_div_fmas_f32 v3, v3, v4, v5
	s_delay_alu instid0(VALU_DEP_1) | instskip(NEXT) | instid1(VALU_DEP_1)
	v_div_fixup_f32 v3, v3, v2, v1
	v_fmac_f32_e32 v2, v1, v3
	s_delay_alu instid0(VALU_DEP_1) | instskip(NEXT) | instid1(VALU_DEP_1)
	v_div_scale_f32 v1, null, v2, v2, 1.0
	v_rcp_f32_e32 v4, v1
	s_delay_alu instid0(TRANS32_DEP_1) | instskip(NEXT) | instid1(VALU_DEP_1)
	v_fma_f32 v5, -v1, v4, 1.0
	v_fmac_f32_e32 v4, v5, v4
	v_div_scale_f32 v5, vcc_lo, 1.0, v2, 1.0
	s_delay_alu instid0(VALU_DEP_1) | instskip(NEXT) | instid1(VALU_DEP_1)
	v_mul_f32_e32 v6, v5, v4
	v_fma_f32 v8, -v1, v6, v5
	s_delay_alu instid0(VALU_DEP_1) | instskip(NEXT) | instid1(VALU_DEP_1)
	v_fmac_f32_e32 v6, v8, v4
	v_fma_f32 v1, -v1, v6, v5
	s_wait_alu 0xfffd
	s_delay_alu instid0(VALU_DEP_1) | instskip(NEXT) | instid1(VALU_DEP_1)
	v_div_fmas_f32 v1, v1, v4, v6
	v_div_fixup_f32 v1, v1, v2, 1.0
	s_delay_alu instid0(VALU_DEP_1) | instskip(SKIP_1) | instid1(VALU_DEP_2)
	v_mul_f32_e32 v3, v3, v1
	v_xor_b32_e32 v4, 0x80000000, v1
                                        ; implicit-def: $vgpr1_vgpr2
	v_xor_b32_e32 v5, 0x80000000, v3
.LBB46_15:
	s_wait_alu 0xfffe
	s_and_not1_saveexec_b32 s1, s1
	s_cbranch_execz .LBB46_17
; %bb.16:
	v_div_scale_f32 v3, null, v1, v1, v2
	v_div_scale_f32 v6, vcc_lo, v2, v1, v2
	s_delay_alu instid0(VALU_DEP_2) | instskip(NEXT) | instid1(TRANS32_DEP_1)
	v_rcp_f32_e32 v4, v3
	v_fma_f32 v5, -v3, v4, 1.0
	s_delay_alu instid0(VALU_DEP_1) | instskip(NEXT) | instid1(VALU_DEP_1)
	v_fmac_f32_e32 v4, v5, v4
	v_mul_f32_e32 v5, v6, v4
	s_delay_alu instid0(VALU_DEP_1) | instskip(NEXT) | instid1(VALU_DEP_1)
	v_fma_f32 v8, -v3, v5, v6
	v_fmac_f32_e32 v5, v8, v4
	s_delay_alu instid0(VALU_DEP_1) | instskip(SKIP_1) | instid1(VALU_DEP_1)
	v_fma_f32 v3, -v3, v5, v6
	s_wait_alu 0xfffd
	v_div_fmas_f32 v3, v3, v4, v5
	s_delay_alu instid0(VALU_DEP_1) | instskip(NEXT) | instid1(VALU_DEP_1)
	v_div_fixup_f32 v4, v3, v1, v2
	v_fmac_f32_e32 v1, v2, v4
	s_delay_alu instid0(VALU_DEP_1) | instskip(SKIP_1) | instid1(VALU_DEP_2)
	v_div_scale_f32 v2, null, v1, v1, 1.0
	v_div_scale_f32 v6, vcc_lo, 1.0, v1, 1.0
	v_rcp_f32_e32 v3, v2
	s_delay_alu instid0(TRANS32_DEP_1) | instskip(NEXT) | instid1(VALU_DEP_1)
	v_fma_f32 v5, -v2, v3, 1.0
	v_fmac_f32_e32 v3, v5, v3
	s_delay_alu instid0(VALU_DEP_1) | instskip(NEXT) | instid1(VALU_DEP_1)
	v_mul_f32_e32 v5, v6, v3
	v_fma_f32 v8, -v2, v5, v6
	s_delay_alu instid0(VALU_DEP_1) | instskip(NEXT) | instid1(VALU_DEP_1)
	v_fmac_f32_e32 v5, v8, v3
	v_fma_f32 v2, -v2, v5, v6
	s_wait_alu 0xfffd
	s_delay_alu instid0(VALU_DEP_1) | instskip(NEXT) | instid1(VALU_DEP_1)
	v_div_fmas_f32 v2, v2, v3, v5
	v_div_fixup_f32 v3, v2, v1, 1.0
	s_delay_alu instid0(VALU_DEP_1)
	v_xor_b32_e32 v5, 0x80000000, v3
	v_mul_f32_e64 v4, v4, -v3
.LBB46_17:
	s_wait_alu 0xfffe
	s_or_b32 exec_lo, exec_lo, s1
	scratch_store_b64 v7, v[3:4], off
	scratch_load_b64 v[2:3], off, off offset:8
	v_xor_b32_e32 v6, 0x80000000, v4
	v_add_nc_u32_e32 v1, 0x180, v13
	s_wait_loadcnt 0x0
	ds_store_2addr_b64 v13, v[5:6], v[2:3] offset1:48
	s_wait_storecnt_dscnt 0x0
	s_barrier_signal -1
	s_barrier_wait -1
	global_inv scope:SCOPE_SE
	s_and_saveexec_b32 s1, s0
	s_cbranch_execz .LBB46_19
; %bb.18:
	scratch_load_b64 v[2:3], v7, off
	ds_load_b64 v[4:5], v1
	v_mov_b32_e32 v6, 0
	ds_load_b64 v[8:9], v6 offset:8
	s_wait_loadcnt_dscnt 0x1
	v_mul_f32_e32 v6, v4, v3
	v_mul_f32_e32 v3, v5, v3
	s_delay_alu instid0(VALU_DEP_2) | instskip(NEXT) | instid1(VALU_DEP_2)
	v_fmac_f32_e32 v6, v5, v2
	v_fma_f32 v2, v4, v2, -v3
	s_delay_alu instid0(VALU_DEP_2) | instskip(SKIP_1) | instid1(VALU_DEP_1)
	v_add_f32_e32 v4, 0, v6
	s_wait_dscnt 0x0
	v_dual_add_f32 v2, 0, v2 :: v_dual_mul_f32 v5, v4, v9
	s_delay_alu instid0(VALU_DEP_1) | instskip(NEXT) | instid1(VALU_DEP_1)
	v_mul_f32_e32 v3, v2, v9
	v_fmac_f32_e32 v3, v4, v8
	s_delay_alu instid0(VALU_DEP_3)
	v_fma_f32 v2, v2, v8, -v5
	scratch_store_b64 off, v[2:3], off offset:8
.LBB46_19:
	s_wait_alu 0xfffe
	s_or_b32 exec_lo, exec_lo, s1
	s_wait_loadcnt 0x0
	s_wait_storecnt 0x0
	s_barrier_signal -1
	s_barrier_wait -1
	global_inv scope:SCOPE_SE
	scratch_load_b64 v[2:3], off, off offset:16
	s_mov_b32 s1, exec_lo
	s_wait_loadcnt 0x0
	ds_store_b64 v1, v[2:3]
	s_wait_dscnt 0x0
	s_barrier_signal -1
	s_barrier_wait -1
	global_inv scope:SCOPE_SE
	v_cmpx_gt_u32_e32 2, v0
	s_cbranch_execz .LBB46_23
; %bb.20:
	scratch_load_b64 v[2:3], v7, off
	ds_load_b64 v[4:5], v1
	s_wait_loadcnt_dscnt 0x0
	v_mul_f32_e32 v6, v5, v3
	v_mul_f32_e32 v8, v4, v3
	s_delay_alu instid0(VALU_DEP_2) | instskip(NEXT) | instid1(VALU_DEP_1)
	v_fma_f32 v3, v4, v2, -v6
	v_dual_fmac_f32 v8, v5, v2 :: v_dual_add_f32 v3, 0, v3
	s_delay_alu instid0(VALU_DEP_1)
	v_add_f32_e32 v2, 0, v8
	s_and_saveexec_b32 s4, s0
	s_cbranch_execz .LBB46_22
; %bb.21:
	scratch_load_b64 v[4:5], off, off offset:8
	v_mov_b32_e32 v6, 0
	ds_load_b64 v[8:9], v6 offset:392
	s_wait_loadcnt_dscnt 0x0
	v_mul_f32_e32 v6, v8, v5
	v_mul_f32_e32 v5, v9, v5
	s_delay_alu instid0(VALU_DEP_2) | instskip(NEXT) | instid1(VALU_DEP_2)
	v_fmac_f32_e32 v6, v9, v4
	v_fma_f32 v4, v8, v4, -v5
	s_delay_alu instid0(VALU_DEP_1)
	v_dual_add_f32 v2, v2, v6 :: v_dual_add_f32 v3, v3, v4
.LBB46_22:
	s_wait_alu 0xfffe
	s_or_b32 exec_lo, exec_lo, s4
	v_mov_b32_e32 v4, 0
	ds_load_b64 v[4:5], v4 offset:16
	s_wait_dscnt 0x0
	v_mul_f32_e32 v8, v2, v5
	v_mul_f32_e32 v6, v3, v5
	s_delay_alu instid0(VALU_DEP_2) | instskip(NEXT) | instid1(VALU_DEP_2)
	v_fma_f32 v5, v3, v4, -v8
	v_fmac_f32_e32 v6, v2, v4
	scratch_store_b64 off, v[5:6], off offset:16
.LBB46_23:
	s_wait_alu 0xfffe
	s_or_b32 exec_lo, exec_lo, s1
	s_wait_loadcnt 0x0
	s_wait_storecnt 0x0
	s_barrier_signal -1
	s_barrier_wait -1
	global_inv scope:SCOPE_SE
	scratch_load_b64 v[3:4], off, off offset:24
	v_add_nc_u32_e32 v2, -1, v0
	s_mov_b32 s0, exec_lo
	s_wait_loadcnt 0x0
	ds_store_b64 v1, v[3:4]
	s_wait_dscnt 0x0
	s_barrier_signal -1
	s_barrier_wait -1
	global_inv scope:SCOPE_SE
	v_cmpx_gt_u32_e32 3, v0
	s_cbranch_execz .LBB46_27
; %bb.24:
	v_dual_mov_b32 v3, 0 :: v_dual_add_nc_u32 v4, -1, v0
	v_dual_mov_b32 v6, v13 :: v_dual_add_nc_u32 v5, 0x180, v13
	v_mov_b32_e32 v8, 0
	s_mov_b32 s1, 0
.LBB46_25:                              ; =>This Inner Loop Header: Depth=1
	scratch_load_b64 v[9:10], v6, off
	ds_load_b64 v[11:12], v5
	v_add_nc_u32_e32 v6, 8, v6
	s_wait_loadcnt_dscnt 0x0
	v_dual_mul_f32 v14, v12, v10 :: v_dual_add_nc_u32 v5, 8, v5
	v_mul_f32_e32 v10, v11, v10
	s_delay_alu instid0(VALU_DEP_2) | instskip(NEXT) | instid1(VALU_DEP_2)
	v_fma_f32 v11, v11, v9, -v14
	v_fmac_f32_e32 v10, v12, v9
	v_add_nc_u32_e32 v4, 1, v4
	s_delay_alu instid0(VALU_DEP_2) | instskip(NEXT) | instid1(VALU_DEP_2)
	v_dual_add_f32 v8, v8, v11 :: v_dual_add_f32 v3, v3, v10
	v_cmp_lt_u32_e32 vcc_lo, 1, v4
	s_wait_alu 0xfffe
	s_or_b32 s1, vcc_lo, s1
	s_wait_alu 0xfffe
	s_and_not1_b32 exec_lo, exec_lo, s1
	s_cbranch_execnz .LBB46_25
; %bb.26:
	s_or_b32 exec_lo, exec_lo, s1
	v_mov_b32_e32 v4, 0
	ds_load_b64 v[4:5], v4 offset:24
	s_wait_dscnt 0x0
	v_mul_f32_e32 v9, v3, v5
	v_mul_f32_e32 v6, v8, v5
	s_delay_alu instid0(VALU_DEP_2) | instskip(NEXT) | instid1(VALU_DEP_2)
	v_fma_f32 v5, v8, v4, -v9
	v_fmac_f32_e32 v6, v3, v4
	scratch_store_b64 off, v[5:6], off offset:24
.LBB46_27:
	s_wait_alu 0xfffe
	s_or_b32 exec_lo, exec_lo, s0
	s_wait_loadcnt 0x0
	s_wait_storecnt 0x0
	s_barrier_signal -1
	s_barrier_wait -1
	global_inv scope:SCOPE_SE
	scratch_load_b64 v[3:4], off, off offset:32
	s_mov_b32 s0, exec_lo
	s_wait_loadcnt 0x0
	ds_store_b64 v1, v[3:4]
	s_wait_dscnt 0x0
	s_barrier_signal -1
	s_barrier_wait -1
	global_inv scope:SCOPE_SE
	v_cmpx_gt_u32_e32 4, v0
	s_cbranch_execz .LBB46_31
; %bb.28:
	v_dual_mov_b32 v3, 0 :: v_dual_add_nc_u32 v4, -1, v0
	v_dual_mov_b32 v6, v13 :: v_dual_add_nc_u32 v5, 0x180, v13
	v_mov_b32_e32 v8, 0
	s_mov_b32 s1, 0
.LBB46_29:                              ; =>This Inner Loop Header: Depth=1
	scratch_load_b64 v[9:10], v6, off
	ds_load_b64 v[11:12], v5
	v_add_nc_u32_e32 v6, 8, v6
	s_wait_loadcnt_dscnt 0x0
	v_dual_mul_f32 v14, v12, v10 :: v_dual_add_nc_u32 v5, 8, v5
	v_mul_f32_e32 v10, v11, v10
	s_delay_alu instid0(VALU_DEP_2) | instskip(NEXT) | instid1(VALU_DEP_2)
	v_fma_f32 v11, v11, v9, -v14
	v_fmac_f32_e32 v10, v12, v9
	v_add_nc_u32_e32 v4, 1, v4
	s_delay_alu instid0(VALU_DEP_2) | instskip(NEXT) | instid1(VALU_DEP_2)
	v_dual_add_f32 v8, v8, v11 :: v_dual_add_f32 v3, v3, v10
	v_cmp_lt_u32_e32 vcc_lo, 2, v4
	s_wait_alu 0xfffe
	s_or_b32 s1, vcc_lo, s1
	s_wait_alu 0xfffe
	s_and_not1_b32 exec_lo, exec_lo, s1
	s_cbranch_execnz .LBB46_29
; %bb.30:
	s_or_b32 exec_lo, exec_lo, s1
	v_mov_b32_e32 v4, 0
	ds_load_b64 v[4:5], v4 offset:32
	s_wait_dscnt 0x0
	v_mul_f32_e32 v9, v3, v5
	v_mul_f32_e32 v6, v8, v5
	s_delay_alu instid0(VALU_DEP_2) | instskip(NEXT) | instid1(VALU_DEP_2)
	v_fma_f32 v5, v8, v4, -v9
	v_fmac_f32_e32 v6, v3, v4
	scratch_store_b64 off, v[5:6], off offset:32
.LBB46_31:
	s_wait_alu 0xfffe
	s_or_b32 exec_lo, exec_lo, s0
	s_wait_loadcnt 0x0
	s_wait_storecnt 0x0
	s_barrier_signal -1
	s_barrier_wait -1
	global_inv scope:SCOPE_SE
	scratch_load_b64 v[3:4], off, off offset:40
	;; [unrolled: 53-line block ×19, first 2 shown]
	s_mov_b32 s0, exec_lo
	s_wait_loadcnt 0x0
	ds_store_b64 v1, v[3:4]
	s_wait_dscnt 0x0
	s_barrier_signal -1
	s_barrier_wait -1
	global_inv scope:SCOPE_SE
	v_cmpx_gt_u32_e32 22, v0
	s_cbranch_execz .LBB46_103
; %bb.100:
	v_dual_mov_b32 v3, 0 :: v_dual_add_nc_u32 v4, -1, v0
	v_dual_mov_b32 v6, v13 :: v_dual_add_nc_u32 v5, 0x180, v13
	v_mov_b32_e32 v8, 0
	s_mov_b32 s1, 0
.LBB46_101:                             ; =>This Inner Loop Header: Depth=1
	scratch_load_b64 v[9:10], v6, off
	ds_load_b64 v[11:12], v5
	v_add_nc_u32_e32 v6, 8, v6
	s_wait_loadcnt_dscnt 0x0
	v_dual_mul_f32 v14, v12, v10 :: v_dual_add_nc_u32 v5, 8, v5
	v_mul_f32_e32 v10, v11, v10
	s_delay_alu instid0(VALU_DEP_2) | instskip(NEXT) | instid1(VALU_DEP_2)
	v_fma_f32 v11, v11, v9, -v14
	v_fmac_f32_e32 v10, v12, v9
	v_add_nc_u32_e32 v4, 1, v4
	s_delay_alu instid0(VALU_DEP_2) | instskip(NEXT) | instid1(VALU_DEP_2)
	v_dual_add_f32 v8, v8, v11 :: v_dual_add_f32 v3, v3, v10
	v_cmp_lt_u32_e32 vcc_lo, 20, v4
	s_wait_alu 0xfffe
	s_or_b32 s1, vcc_lo, s1
	s_wait_alu 0xfffe
	s_and_not1_b32 exec_lo, exec_lo, s1
	s_cbranch_execnz .LBB46_101
; %bb.102:
	s_or_b32 exec_lo, exec_lo, s1
	v_mov_b32_e32 v4, 0
	ds_load_b64 v[4:5], v4 offset:176
	s_wait_dscnt 0x0
	v_mul_f32_e32 v9, v3, v5
	v_mul_f32_e32 v6, v8, v5
	s_delay_alu instid0(VALU_DEP_2) | instskip(NEXT) | instid1(VALU_DEP_2)
	v_fma_f32 v5, v8, v4, -v9
	v_fmac_f32_e32 v6, v3, v4
	scratch_store_b64 off, v[5:6], off offset:176
.LBB46_103:
	s_wait_alu 0xfffe
	s_or_b32 exec_lo, exec_lo, s0
	s_wait_loadcnt 0x0
	s_wait_storecnt 0x0
	s_barrier_signal -1
	s_barrier_wait -1
	global_inv scope:SCOPE_SE
	scratch_load_b64 v[3:4], off, off offset:184
	s_mov_b32 s0, exec_lo
	s_wait_loadcnt 0x0
	ds_store_b64 v1, v[3:4]
	s_wait_dscnt 0x0
	s_barrier_signal -1
	s_barrier_wait -1
	global_inv scope:SCOPE_SE
	v_cmpx_gt_u32_e32 23, v0
	s_cbranch_execz .LBB46_107
; %bb.104:
	v_dual_mov_b32 v3, 0 :: v_dual_add_nc_u32 v4, -1, v0
	v_dual_mov_b32 v6, v13 :: v_dual_add_nc_u32 v5, 0x180, v13
	v_mov_b32_e32 v8, 0
	s_mov_b32 s1, 0
.LBB46_105:                             ; =>This Inner Loop Header: Depth=1
	scratch_load_b64 v[9:10], v6, off
	ds_load_b64 v[11:12], v5
	v_add_nc_u32_e32 v6, 8, v6
	s_wait_loadcnt_dscnt 0x0
	v_dual_mul_f32 v14, v12, v10 :: v_dual_add_nc_u32 v5, 8, v5
	v_mul_f32_e32 v10, v11, v10
	s_delay_alu instid0(VALU_DEP_2) | instskip(NEXT) | instid1(VALU_DEP_2)
	v_fma_f32 v11, v11, v9, -v14
	v_fmac_f32_e32 v10, v12, v9
	v_add_nc_u32_e32 v4, 1, v4
	s_delay_alu instid0(VALU_DEP_2) | instskip(NEXT) | instid1(VALU_DEP_2)
	v_dual_add_f32 v8, v8, v11 :: v_dual_add_f32 v3, v3, v10
	v_cmp_lt_u32_e32 vcc_lo, 21, v4
	s_wait_alu 0xfffe
	s_or_b32 s1, vcc_lo, s1
	s_wait_alu 0xfffe
	s_and_not1_b32 exec_lo, exec_lo, s1
	s_cbranch_execnz .LBB46_105
; %bb.106:
	s_or_b32 exec_lo, exec_lo, s1
	v_mov_b32_e32 v4, 0
	ds_load_b64 v[4:5], v4 offset:184
	s_wait_dscnt 0x0
	v_mul_f32_e32 v9, v3, v5
	v_mul_f32_e32 v6, v8, v5
	s_delay_alu instid0(VALU_DEP_2) | instskip(NEXT) | instid1(VALU_DEP_2)
	v_fma_f32 v5, v8, v4, -v9
	v_fmac_f32_e32 v6, v3, v4
	scratch_store_b64 off, v[5:6], off offset:184
.LBB46_107:
	s_wait_alu 0xfffe
	s_or_b32 exec_lo, exec_lo, s0
	s_wait_loadcnt 0x0
	s_wait_storecnt 0x0
	s_barrier_signal -1
	s_barrier_wait -1
	global_inv scope:SCOPE_SE
	scratch_load_b64 v[3:4], off, off offset:192
	;; [unrolled: 53-line block ×23, first 2 shown]
	s_mov_b32 s0, exec_lo
	s_wait_loadcnt 0x0
	ds_store_b64 v1, v[3:4]
	s_wait_dscnt 0x0
	s_barrier_signal -1
	s_barrier_wait -1
	global_inv scope:SCOPE_SE
	v_cmpx_gt_u32_e32 45, v0
	s_cbranch_execz .LBB46_195
; %bb.192:
	v_dual_mov_b32 v3, 0 :: v_dual_add_nc_u32 v4, -1, v0
	v_dual_mov_b32 v6, v13 :: v_dual_add_nc_u32 v5, 0x180, v13
	v_mov_b32_e32 v8, 0
	s_mov_b32 s1, 0
.LBB46_193:                             ; =>This Inner Loop Header: Depth=1
	scratch_load_b64 v[9:10], v6, off
	ds_load_b64 v[11:12], v5
	v_add_nc_u32_e32 v6, 8, v6
	v_add_nc_u32_e32 v4, 1, v4
	;; [unrolled: 1-line block ×3, first 2 shown]
	s_delay_alu instid0(VALU_DEP_2)
	v_cmp_lt_u32_e32 vcc_lo, 43, v4
	s_wait_alu 0xfffe
	s_or_b32 s1, vcc_lo, s1
	s_wait_loadcnt_dscnt 0x0
	v_mul_f32_e32 v13, v12, v10
	v_mul_f32_e32 v10, v11, v10
	s_delay_alu instid0(VALU_DEP_2) | instskip(NEXT) | instid1(VALU_DEP_2)
	v_fma_f32 v11, v11, v9, -v13
	v_fmac_f32_e32 v10, v12, v9
	s_delay_alu instid0(VALU_DEP_1)
	v_dual_add_f32 v8, v8, v11 :: v_dual_add_f32 v3, v3, v10
	s_wait_alu 0xfffe
	s_and_not1_b32 exec_lo, exec_lo, s1
	s_cbranch_execnz .LBB46_193
; %bb.194:
	s_or_b32 exec_lo, exec_lo, s1
	v_mov_b32_e32 v4, 0
	ds_load_b64 v[4:5], v4 offset:360
	s_wait_dscnt 0x0
	v_mul_f32_e32 v9, v3, v5
	v_mul_f32_e32 v6, v8, v5
	s_delay_alu instid0(VALU_DEP_2) | instskip(NEXT) | instid1(VALU_DEP_2)
	v_fma_f32 v5, v8, v4, -v9
	v_fmac_f32_e32 v6, v3, v4
	scratch_store_b64 off, v[5:6], off offset:360
.LBB46_195:
	s_wait_alu 0xfffe
	s_or_b32 exec_lo, exec_lo, s0
	s_wait_loadcnt 0x0
	s_wait_storecnt 0x0
	s_barrier_signal -1
	s_barrier_wait -1
	global_inv scope:SCOPE_SE
	scratch_load_b64 v[3:4], off, off offset:368
	s_mov_b32 s0, exec_lo
	s_wait_loadcnt 0x0
	ds_store_b64 v1, v[3:4]
	s_wait_dscnt 0x0
	s_barrier_signal -1
	s_barrier_wait -1
	global_inv scope:SCOPE_SE
	v_cmpx_ne_u32_e32 46, v0
	s_cbranch_execz .LBB46_199
; %bb.196:
	v_dual_mov_b32 v3, 0 :: v_dual_mov_b32 v4, 0
	s_mov_b32 s1, 0
.LBB46_197:                             ; =>This Inner Loop Header: Depth=1
	scratch_load_b64 v[5:6], v7, off
	ds_load_b64 v[8:9], v1
	v_add_nc_u32_e32 v2, 1, v2
	v_add_nc_u32_e32 v1, 8, v1
	;; [unrolled: 1-line block ×3, first 2 shown]
	s_delay_alu instid0(VALU_DEP_3)
	v_cmp_lt_u32_e32 vcc_lo, 44, v2
	s_wait_alu 0xfffe
	s_or_b32 s1, vcc_lo, s1
	s_wait_loadcnt_dscnt 0x0
	v_mul_f32_e32 v10, v9, v6
	v_mul_f32_e32 v6, v8, v6
	s_delay_alu instid0(VALU_DEP_2) | instskip(NEXT) | instid1(VALU_DEP_2)
	v_fma_f32 v8, v8, v5, -v10
	v_fmac_f32_e32 v6, v9, v5
	s_delay_alu instid0(VALU_DEP_1)
	v_dual_add_f32 v4, v4, v8 :: v_dual_add_f32 v3, v3, v6
	s_wait_alu 0xfffe
	s_and_not1_b32 exec_lo, exec_lo, s1
	s_cbranch_execnz .LBB46_197
; %bb.198:
	s_or_b32 exec_lo, exec_lo, s1
	v_mov_b32_e32 v1, 0
	ds_load_b64 v[1:2], v1 offset:368
	s_wait_dscnt 0x0
	v_mul_f32_e32 v6, v3, v2
	v_mul_f32_e32 v5, v4, v2
	s_delay_alu instid0(VALU_DEP_2) | instskip(NEXT) | instid1(VALU_DEP_2)
	v_fma_f32 v4, v4, v1, -v6
	v_fmac_f32_e32 v5, v3, v1
	scratch_store_b64 off, v[4:5], off offset:368
.LBB46_199:
	s_wait_alu 0xfffe
	s_or_b32 exec_lo, exec_lo, s0
	s_mov_b32 s1, -1
	s_wait_loadcnt 0x0
	s_wait_storecnt 0x0
	s_barrier_signal -1
	s_barrier_wait -1
	global_inv scope:SCOPE_SE
.LBB46_200:
	s_wait_alu 0xfffe
	s_and_b32 vcc_lo, exec_lo, s1
	s_wait_alu 0xfffe
	s_cbranch_vccz .LBB46_202
; %bb.201:
	v_mov_b32_e32 v1, 0
	s_lshl_b64 s[0:1], s[16:17], 2
	s_wait_alu 0xfffe
	s_add_nc_u64 s[0:1], s[6:7], s[0:1]
	global_load_b32 v1, v1, s[0:1]
	s_wait_loadcnt 0x0
	v_cmp_ne_u32_e32 vcc_lo, 0, v1
	s_cbranch_vccz .LBB46_203
.LBB46_202:
	s_nop 0
	s_sendmsg sendmsg(MSG_DEALLOC_VGPRS)
	s_endpgm
.LBB46_203:
	v_lshl_add_u32 v23, v0, 3, 0x180
	s_mov_b32 s0, exec_lo
	v_cmpx_eq_u32_e32 46, v0
	s_cbranch_execz .LBB46_205
; %bb.204:
	scratch_load_b64 v[1:2], off, off offset:360
	v_mov_b32_e32 v3, 0
	s_delay_alu instid0(VALU_DEP_1)
	v_mov_b32_e32 v4, v3
	scratch_store_b64 off, v[3:4], off offset:360
	s_wait_loadcnt 0x0
	ds_store_b64 v23, v[1:2]
.LBB46_205:
	s_wait_alu 0xfffe
	s_or_b32 exec_lo, exec_lo, s0
	s_wait_storecnt_dscnt 0x0
	s_barrier_signal -1
	s_barrier_wait -1
	global_inv scope:SCOPE_SE
	s_clause 0x1
	scratch_load_b64 v[2:3], off, off offset:368
	scratch_load_b64 v[4:5], off, off offset:360
	v_mov_b32_e32 v1, 0
	s_mov_b32 s0, exec_lo
	ds_load_b64 v[6:7], v1 offset:752
	s_wait_loadcnt_dscnt 0x100
	v_mul_f32_e32 v8, v7, v3
	v_mul_f32_e32 v3, v6, v3
	s_delay_alu instid0(VALU_DEP_2) | instskip(NEXT) | instid1(VALU_DEP_2)
	v_fma_f32 v6, v6, v2, -v8
	v_fmac_f32_e32 v3, v7, v2
	s_delay_alu instid0(VALU_DEP_1) | instskip(SKIP_1) | instid1(VALU_DEP_1)
	v_dual_add_f32 v2, 0, v6 :: v_dual_add_f32 v3, 0, v3
	s_wait_loadcnt 0x0
	v_dual_sub_f32 v2, v4, v2 :: v_dual_sub_f32 v3, v5, v3
	scratch_store_b64 off, v[2:3], off offset:360
	v_cmpx_lt_u32_e32 44, v0
	s_cbranch_execz .LBB46_207
; %bb.206:
	scratch_load_b64 v[3:4], off, off offset:352
	v_mov_b32_e32 v2, v1
	scratch_store_b64 off, v[1:2], off offset:352
	s_wait_loadcnt 0x0
	ds_store_b64 v23, v[3:4]
.LBB46_207:
	s_wait_alu 0xfffe
	s_or_b32 exec_lo, exec_lo, s0
	s_wait_storecnt_dscnt 0x0
	s_barrier_signal -1
	s_barrier_wait -1
	global_inv scope:SCOPE_SE
	s_clause 0x1
	scratch_load_b128 v[2:5], off, off offset:360
	scratch_load_b64 v[10:11], off, off offset:352
	ds_load_2addr_b64 v[6:9], v1 offset0:93 offset1:94
	s_mov_b32 s0, exec_lo
	s_wait_loadcnt_dscnt 0x100
	v_dual_mul_f32 v1, v7, v3 :: v_dual_mul_f32 v12, v8, v5
	v_mul_f32_e32 v3, v6, v3
	s_delay_alu instid0(VALU_DEP_2) | instskip(NEXT) | instid1(VALU_DEP_2)
	v_fma_f32 v1, v6, v2, -v1
	v_dual_fmac_f32 v12, v9, v4 :: v_dual_fmac_f32 v3, v7, v2
	s_delay_alu instid0(VALU_DEP_2) | instskip(NEXT) | instid1(VALU_DEP_2)
	v_add_f32_e32 v1, 0, v1
	v_add_f32_e32 v3, 0, v3
	v_mul_f32_e32 v5, v9, v5
	s_delay_alu instid0(VALU_DEP_1) | instskip(NEXT) | instid1(VALU_DEP_1)
	v_fma_f32 v2, v8, v4, -v5
	v_dual_add_f32 v1, v1, v2 :: v_dual_add_f32 v2, v3, v12
	s_wait_loadcnt 0x0
	s_delay_alu instid0(VALU_DEP_1)
	v_dual_sub_f32 v1, v10, v1 :: v_dual_sub_f32 v2, v11, v2
	scratch_store_b64 off, v[1:2], off offset:352
	v_cmpx_lt_u32_e32 43, v0
	s_cbranch_execz .LBB46_209
; %bb.208:
	scratch_load_b64 v[1:2], off, off offset:344
	v_mov_b32_e32 v3, 0
	s_delay_alu instid0(VALU_DEP_1)
	v_mov_b32_e32 v4, v3
	scratch_store_b64 off, v[3:4], off offset:344
	s_wait_loadcnt 0x0
	ds_store_b64 v23, v[1:2]
.LBB46_209:
	s_wait_alu 0xfffe
	s_or_b32 exec_lo, exec_lo, s0
	s_wait_storecnt_dscnt 0x0
	s_barrier_signal -1
	s_barrier_wait -1
	global_inv scope:SCOPE_SE
	s_clause 0x2
	scratch_load_b128 v[2:5], off, off offset:352
	scratch_load_b64 v[10:11], off, off offset:368
	scratch_load_b64 v[12:13], off, off offset:344
	v_mov_b32_e32 v1, 0
	ds_load_b128 v[6:9], v1 offset:736
	ds_load_b64 v[14:15], v1 offset:752
	s_mov_b32 s0, exec_lo
	s_wait_loadcnt_dscnt 0x201
	v_dual_mul_f32 v16, v7, v3 :: v_dual_mul_f32 v17, v8, v5
	s_wait_loadcnt_dscnt 0x100
	v_mul_f32_e32 v18, v14, v11
	v_mul_f32_e32 v3, v6, v3
	;; [unrolled: 1-line block ×3, first 2 shown]
	v_fma_f32 v6, v6, v2, -v16
	s_delay_alu instid0(VALU_DEP_4) | instskip(NEXT) | instid1(VALU_DEP_4)
	v_fmac_f32_e32 v18, v15, v10
	v_fmac_f32_e32 v3, v7, v2
	v_mul_f32_e32 v2, v15, v11
	s_delay_alu instid0(VALU_DEP_1) | instskip(SKIP_3) | instid1(VALU_DEP_1)
	v_fma_f32 v2, v14, v10, -v2
	v_fmac_f32_e32 v17, v9, v4
	v_fma_f32 v4, v8, v4, -v5
	v_add_f32_e32 v5, 0, v6
	v_add_f32_e32 v4, v5, v4
	s_delay_alu instid0(VALU_DEP_1) | instskip(SKIP_1) | instid1(VALU_DEP_1)
	v_dual_add_f32 v2, v4, v2 :: v_dual_add_f32 v3, 0, v3
	s_wait_loadcnt 0x0
	v_dual_sub_f32 v2, v12, v2 :: v_dual_add_f32 v3, v3, v17
	s_delay_alu instid0(VALU_DEP_1) | instskip(NEXT) | instid1(VALU_DEP_1)
	v_add_f32_e32 v3, v3, v18
	v_sub_f32_e32 v3, v13, v3
	scratch_store_b64 off, v[2:3], off offset:344
	v_cmpx_lt_u32_e32 42, v0
	s_cbranch_execz .LBB46_211
; %bb.210:
	scratch_load_b64 v[3:4], off, off offset:336
	v_mov_b32_e32 v2, v1
	scratch_store_b64 off, v[1:2], off offset:336
	s_wait_loadcnt 0x0
	ds_store_b64 v23, v[3:4]
.LBB46_211:
	s_wait_alu 0xfffe
	s_or_b32 exec_lo, exec_lo, s0
	s_wait_storecnt_dscnt 0x0
	s_barrier_signal -1
	s_barrier_wait -1
	global_inv scope:SCOPE_SE
	s_clause 0x2
	scratch_load_b128 v[2:5], off, off offset:344
	scratch_load_b128 v[6:9], off, off offset:360
	scratch_load_b64 v[18:19], off, off offset:336
	ds_load_2addr_b64 v[10:13], v1 offset0:91 offset1:92
	ds_load_2addr_b64 v[14:17], v1 offset0:93 offset1:94
	s_mov_b32 s0, exec_lo
	s_wait_loadcnt_dscnt 0x201
	v_dual_mul_f32 v1, v10, v3 :: v_dual_mul_f32 v20, v12, v5
	s_wait_loadcnt_dscnt 0x100
	v_dual_mul_f32 v3, v11, v3 :: v_dual_mul_f32 v22, v16, v9
	v_mul_f32_e32 v5, v13, v5
	s_delay_alu instid0(VALU_DEP_3) | instskip(NEXT) | instid1(VALU_DEP_3)
	v_dual_mul_f32 v21, v14, v7 :: v_dual_fmac_f32 v20, v13, v4
	v_fma_f32 v3, v10, v2, -v3
	s_delay_alu instid0(VALU_DEP_4) | instskip(SKIP_2) | instid1(VALU_DEP_4)
	v_dual_fmac_f32 v1, v11, v2 :: v_dual_fmac_f32 v22, v17, v8
	v_mul_f32_e32 v2, v15, v7
	v_fma_f32 v4, v12, v4, -v5
	v_add_f32_e32 v3, 0, v3
	v_fmac_f32_e32 v21, v15, v6
	s_delay_alu instid0(VALU_DEP_4) | instskip(NEXT) | instid1(VALU_DEP_3)
	v_fma_f32 v2, v14, v6, -v2
	v_add_f32_e32 v3, v3, v4
	s_delay_alu instid0(VALU_DEP_1) | instskip(NEXT) | instid1(VALU_DEP_1)
	v_dual_add_f32 v1, 0, v1 :: v_dual_add_f32 v2, v3, v2
	v_add_f32_e32 v1, v1, v20
	s_delay_alu instid0(VALU_DEP_1) | instskip(NEXT) | instid1(VALU_DEP_1)
	v_add_f32_e32 v1, v1, v21
	v_add_f32_e32 v3, v1, v22
	v_mul_f32_e32 v5, v17, v9
	s_delay_alu instid0(VALU_DEP_1) | instskip(NEXT) | instid1(VALU_DEP_1)
	v_fma_f32 v4, v16, v8, -v5
	v_add_f32_e32 v2, v2, v4
	s_wait_loadcnt 0x0
	s_delay_alu instid0(VALU_DEP_1)
	v_dual_sub_f32 v1, v18, v2 :: v_dual_sub_f32 v2, v19, v3
	scratch_store_b64 off, v[1:2], off offset:336
	v_cmpx_lt_u32_e32 41, v0
	s_cbranch_execz .LBB46_213
; %bb.212:
	scratch_load_b64 v[1:2], off, off offset:328
	v_mov_b32_e32 v3, 0
	s_delay_alu instid0(VALU_DEP_1)
	v_mov_b32_e32 v4, v3
	scratch_store_b64 off, v[3:4], off offset:328
	s_wait_loadcnt 0x0
	ds_store_b64 v23, v[1:2]
.LBB46_213:
	s_wait_alu 0xfffe
	s_or_b32 exec_lo, exec_lo, s0
	s_wait_storecnt_dscnt 0x0
	s_barrier_signal -1
	s_barrier_wait -1
	global_inv scope:SCOPE_SE
	s_clause 0x3
	scratch_load_b128 v[2:5], off, off offset:336
	scratch_load_b128 v[6:9], off, off offset:352
	scratch_load_b64 v[18:19], off, off offset:368
	scratch_load_b64 v[20:21], off, off offset:328
	v_mov_b32_e32 v1, 0
	ds_load_b128 v[10:13], v1 offset:720
	ds_load_b128 v[14:17], v1 offset:736
	ds_load_b64 v[118:119], v1 offset:752
	s_mov_b32 s0, exec_lo
	s_wait_loadcnt_dscnt 0x302
	v_mul_f32_e32 v22, v10, v3
	v_dual_mul_f32 v120, v12, v5 :: v_dual_mul_f32 v3, v11, v3
	v_mul_f32_e32 v5, v13, v5
	s_wait_loadcnt_dscnt 0x100
	s_delay_alu instid0(VALU_DEP_3)
	v_dual_mul_f32 v123, v118, v19 :: v_dual_fmac_f32 v22, v11, v2
	v_dual_mul_f32 v121, v14, v7 :: v_dual_mul_f32 v122, v16, v9
	v_fma_f32 v3, v10, v2, -v3
	v_mul_f32_e32 v2, v15, v7
	v_fmac_f32_e32 v120, v13, v4
	v_fma_f32 v4, v12, v4, -v5
	v_dual_add_f32 v5, 0, v22 :: v_dual_fmac_f32 v122, v17, v8
	v_add_f32_e32 v3, 0, v3
	v_fma_f32 v2, v14, v6, -v2
	v_fmac_f32_e32 v121, v15, v6
	v_fmac_f32_e32 v123, v119, v18
	s_delay_alu instid0(VALU_DEP_4) | instskip(SKIP_2) | instid1(VALU_DEP_3)
	v_add_f32_e32 v3, v3, v4
	v_mul_f32_e32 v7, v17, v9
	v_add_f32_e32 v4, v5, v120
	v_add_f32_e32 v2, v3, v2
	s_delay_alu instid0(VALU_DEP_3) | instskip(NEXT) | instid1(VALU_DEP_1)
	v_fma_f32 v6, v16, v8, -v7
	v_dual_add_f32 v3, v4, v121 :: v_dual_add_f32 v2, v2, v6
	v_mul_f32_e32 v5, v119, v19
	s_delay_alu instid0(VALU_DEP_2) | instskip(NEXT) | instid1(VALU_DEP_2)
	v_add_f32_e32 v3, v3, v122
	v_fma_f32 v4, v118, v18, -v5
	s_delay_alu instid0(VALU_DEP_1) | instskip(SKIP_1) | instid1(VALU_DEP_1)
	v_dual_add_f32 v2, v2, v4 :: v_dual_add_f32 v3, v3, v123
	s_wait_loadcnt 0x0
	v_dual_sub_f32 v2, v20, v2 :: v_dual_sub_f32 v3, v21, v3
	scratch_store_b64 off, v[2:3], off offset:328
	v_cmpx_lt_u32_e32 40, v0
	s_cbranch_execz .LBB46_215
; %bb.214:
	scratch_load_b64 v[3:4], off, off offset:320
	v_mov_b32_e32 v2, v1
	scratch_store_b64 off, v[1:2], off offset:320
	s_wait_loadcnt 0x0
	ds_store_b64 v23, v[3:4]
.LBB46_215:
	s_wait_alu 0xfffe
	s_or_b32 exec_lo, exec_lo, s0
	s_wait_storecnt_dscnt 0x0
	s_barrier_signal -1
	s_barrier_wait -1
	global_inv scope:SCOPE_SE
	s_clause 0x3
	scratch_load_b128 v[2:5], off, off offset:328
	scratch_load_b128 v[6:9], off, off offset:344
	;; [unrolled: 1-line block ×3, first 2 shown]
	scratch_load_b64 v[122:123], off, off offset:320
	ds_load_2addr_b64 v[14:17], v1 offset0:89 offset1:90
	ds_load_2addr_b64 v[18:21], v1 offset0:91 offset1:92
	;; [unrolled: 1-line block ×3, first 2 shown]
	s_mov_b32 s0, exec_lo
	s_wait_loadcnt_dscnt 0x302
	v_dual_mul_f32 v1, v14, v3 :: v_dual_mul_f32 v22, v16, v5
	v_mul_f32_e32 v3, v15, v3
	s_wait_loadcnt_dscnt 0x201
	v_dual_mul_f32 v5, v17, v5 :: v_dual_mul_f32 v124, v18, v7
	s_delay_alu instid0(VALU_DEP_3) | instskip(NEXT) | instid1(VALU_DEP_3)
	v_dual_mul_f32 v125, v20, v9 :: v_dual_fmac_f32 v22, v17, v4
	v_fma_f32 v3, v14, v2, -v3
	v_fmac_f32_e32 v1, v15, v2
	v_mul_f32_e32 v2, v19, v7
	v_fma_f32 v4, v16, v4, -v5
	s_delay_alu instid0(VALU_DEP_4)
	v_dual_fmac_f32 v124, v19, v6 :: v_dual_add_f32 v3, 0, v3
	s_wait_loadcnt_dscnt 0x100
	v_dual_mul_f32 v126, v118, v11 :: v_dual_mul_f32 v127, v120, v13
	v_fma_f32 v2, v18, v6, -v2
	v_fmac_f32_e32 v125, v21, v8
	v_add_f32_e32 v3, v3, v4
	s_delay_alu instid0(VALU_DEP_4) | instskip(SKIP_1) | instid1(VALU_DEP_3)
	v_dual_mul_f32 v5, v21, v9 :: v_dual_fmac_f32 v126, v119, v10
	v_dual_fmac_f32 v127, v121, v12 :: v_dual_mul_f32 v4, v119, v11
	v_add_f32_e32 v2, v3, v2
	s_delay_alu instid0(VALU_DEP_3) | instskip(SKIP_1) | instid1(VALU_DEP_4)
	v_fma_f32 v5, v20, v8, -v5
	v_mul_f32_e32 v3, v121, v13
	v_fma_f32 v4, v118, v10, -v4
	s_delay_alu instid0(VALU_DEP_3) | instskip(SKIP_1) | instid1(VALU_DEP_4)
	v_add_f32_e32 v2, v2, v5
	v_add_f32_e32 v1, 0, v1
	v_fma_f32 v3, v120, v12, -v3
	s_delay_alu instid0(VALU_DEP_2) | instskip(NEXT) | instid1(VALU_DEP_1)
	v_dual_add_f32 v2, v2, v4 :: v_dual_add_f32 v1, v1, v22
	v_dual_add_f32 v2, v2, v3 :: v_dual_add_f32 v1, v1, v124
	s_delay_alu instid0(VALU_DEP_1) | instskip(NEXT) | instid1(VALU_DEP_1)
	v_add_f32_e32 v1, v1, v125
	v_add_f32_e32 v1, v1, v126
	s_delay_alu instid0(VALU_DEP_1) | instskip(SKIP_1) | instid1(VALU_DEP_1)
	v_add_f32_e32 v3, v1, v127
	s_wait_loadcnt 0x0
	v_dual_sub_f32 v1, v122, v2 :: v_dual_sub_f32 v2, v123, v3
	scratch_store_b64 off, v[1:2], off offset:320
	v_cmpx_lt_u32_e32 39, v0
	s_cbranch_execz .LBB46_217
; %bb.216:
	scratch_load_b64 v[1:2], off, off offset:312
	v_mov_b32_e32 v3, 0
	s_delay_alu instid0(VALU_DEP_1)
	v_mov_b32_e32 v4, v3
	scratch_store_b64 off, v[3:4], off offset:312
	s_wait_loadcnt 0x0
	ds_store_b64 v23, v[1:2]
.LBB46_217:
	s_wait_alu 0xfffe
	s_or_b32 exec_lo, exec_lo, s0
	s_wait_storecnt_dscnt 0x0
	s_barrier_signal -1
	s_barrier_wait -1
	global_inv scope:SCOPE_SE
	s_clause 0x4
	scratch_load_b128 v[2:5], off, off offset:320
	scratch_load_b128 v[6:9], off, off offset:336
	;; [unrolled: 1-line block ×3, first 2 shown]
	scratch_load_b64 v[122:123], off, off offset:368
	scratch_load_b64 v[124:125], off, off offset:312
	v_mov_b32_e32 v1, 0
	ds_load_b128 v[14:17], v1 offset:704
	ds_load_b128 v[18:21], v1 offset:720
	;; [unrolled: 1-line block ×3, first 2 shown]
	ds_load_b64 v[126:127], v1 offset:752
	s_mov_b32 s0, exec_lo
	s_wait_loadcnt_dscnt 0x403
	v_mul_f32_e32 v22, v14, v3
	s_wait_loadcnt_dscnt 0x302
	v_dual_mul_f32 v130, v20, v9 :: v_dual_mul_f32 v3, v15, v3
	v_dual_mul_f32 v128, v16, v5 :: v_dual_mul_f32 v129, v18, v7
	v_mul_f32_e32 v5, v17, v5
	s_wait_loadcnt_dscnt 0x100
	v_dual_mul_f32 v133, v126, v123 :: v_dual_fmac_f32 v22, v15, v2
	v_fma_f32 v3, v14, v2, -v3
	v_mul_f32_e32 v2, v19, v7
	v_fmac_f32_e32 v128, v17, v4
	v_fma_f32 v4, v16, v4, -v5
	v_dual_add_f32 v5, 0, v22 :: v_dual_fmac_f32 v130, v21, v8
	v_add_f32_e32 v3, 0, v3
	v_fma_f32 v2, v18, v6, -v2
	v_fmac_f32_e32 v129, v19, v6
	v_dual_mul_f32 v131, v118, v11 :: v_dual_mul_f32 v132, v120, v13
	s_delay_alu instid0(VALU_DEP_4) | instskip(SKIP_1) | instid1(VALU_DEP_3)
	v_add_f32_e32 v3, v3, v4
	v_mul_f32_e32 v7, v21, v9
	v_dual_add_f32 v4, v5, v128 :: v_dual_fmac_f32 v131, v119, v10
	s_delay_alu instid0(VALU_DEP_4) | instskip(NEXT) | instid1(VALU_DEP_4)
	v_fmac_f32_e32 v132, v121, v12
	v_add_f32_e32 v2, v3, v2
	s_delay_alu instid0(VALU_DEP_4) | instskip(SKIP_3) | instid1(VALU_DEP_4)
	v_fma_f32 v6, v20, v8, -v7
	v_mul_f32_e32 v5, v119, v11
	v_add_f32_e32 v3, v4, v129
	v_mul_f32_e32 v4, v121, v13
	v_add_f32_e32 v2, v2, v6
	s_delay_alu instid0(VALU_DEP_4) | instskip(SKIP_3) | instid1(VALU_DEP_4)
	v_fma_f32 v5, v118, v10, -v5
	v_mul_f32_e32 v6, v127, v123
	v_add_f32_e32 v3, v3, v130
	v_fma_f32 v4, v120, v12, -v4
	v_add_f32_e32 v2, v2, v5
	s_delay_alu instid0(VALU_DEP_4) | instskip(NEXT) | instid1(VALU_DEP_2)
	v_fma_f32 v5, v126, v122, -v6
	v_dual_add_f32 v3, v3, v131 :: v_dual_add_f32 v2, v2, v4
	s_delay_alu instid0(VALU_DEP_1) | instskip(SKIP_1) | instid1(VALU_DEP_1)
	v_dual_fmac_f32 v133, v127, v122 :: v_dual_add_f32 v2, v2, v5
	s_wait_loadcnt 0x0
	v_dual_add_f32 v3, v3, v132 :: v_dual_sub_f32 v2, v124, v2
	s_delay_alu instid0(VALU_DEP_1) | instskip(NEXT) | instid1(VALU_DEP_1)
	v_add_f32_e32 v3, v3, v133
	v_sub_f32_e32 v3, v125, v3
	scratch_store_b64 off, v[2:3], off offset:312
	v_cmpx_lt_u32_e32 38, v0
	s_cbranch_execz .LBB46_219
; %bb.218:
	scratch_load_b64 v[3:4], off, off offset:304
	v_mov_b32_e32 v2, v1
	scratch_store_b64 off, v[1:2], off offset:304
	s_wait_loadcnt 0x0
	ds_store_b64 v23, v[3:4]
.LBB46_219:
	s_wait_alu 0xfffe
	s_or_b32 exec_lo, exec_lo, s0
	s_wait_storecnt_dscnt 0x0
	s_barrier_signal -1
	s_barrier_wait -1
	global_inv scope:SCOPE_SE
	s_clause 0x4
	scratch_load_b128 v[2:5], off, off offset:312
	scratch_load_b128 v[6:9], off, off offset:328
	;; [unrolled: 1-line block ×4, first 2 shown]
	scratch_load_b64 v[130:131], off, off offset:304
	ds_load_2addr_b64 v[18:21], v1 offset0:87 offset1:88
	ds_load_2addr_b64 v[118:121], v1 offset0:89 offset1:90
	;; [unrolled: 1-line block ×4, first 2 shown]
	s_mov_b32 s0, exec_lo
	s_wait_loadcnt_dscnt 0x403
	v_dual_mul_f32 v1, v18, v3 :: v_dual_mul_f32 v22, v20, v5
	v_mul_f32_e32 v3, v19, v3
	s_wait_loadcnt_dscnt 0x302
	v_dual_mul_f32 v5, v21, v5 :: v_dual_mul_f32 v132, v118, v7
	s_delay_alu instid0(VALU_DEP_3) | instskip(NEXT) | instid1(VALU_DEP_3)
	v_dual_mul_f32 v133, v120, v9 :: v_dual_fmac_f32 v22, v21, v4
	v_fma_f32 v3, v18, v2, -v3
	v_fmac_f32_e32 v1, v19, v2
	v_mul_f32_e32 v2, v119, v7
	v_fma_f32 v4, v20, v4, -v5
	s_delay_alu instid0(VALU_DEP_4)
	v_dual_fmac_f32 v132, v119, v6 :: v_dual_add_f32 v3, 0, v3
	s_wait_loadcnt_dscnt 0x201
	v_dual_mul_f32 v134, v122, v11 :: v_dual_mul_f32 v135, v124, v13
	v_fma_f32 v2, v118, v6, -v2
	s_wait_loadcnt_dscnt 0x100
	v_dual_mul_f32 v136, v126, v15 :: v_dual_mul_f32 v137, v128, v17
	v_add_f32_e32 v3, v3, v4
	v_mul_f32_e32 v5, v121, v9
	v_dual_fmac_f32 v133, v121, v8 :: v_dual_fmac_f32 v134, v123, v10
	v_mul_f32_e32 v4, v123, v11
	s_delay_alu instid0(VALU_DEP_4) | instskip(NEXT) | instid1(VALU_DEP_4)
	v_add_f32_e32 v2, v3, v2
	v_fma_f32 v5, v120, v8, -v5
	v_mul_f32_e32 v3, v125, v13
	v_fmac_f32_e32 v137, v129, v16
	v_fma_f32 v4, v122, v10, -v4
	v_fmac_f32_e32 v136, v127, v14
	v_add_f32_e32 v2, v2, v5
	v_add_f32_e32 v1, 0, v1
	v_mul_f32_e32 v5, v127, v15
	v_fma_f32 v3, v124, v12, -v3
	s_delay_alu instid0(VALU_DEP_3) | instskip(SKIP_1) | instid1(VALU_DEP_4)
	v_dual_add_f32 v2, v2, v4 :: v_dual_add_f32 v1, v1, v22
	v_mul_f32_e32 v4, v129, v17
	v_fma_f32 v5, v126, v14, -v5
	s_delay_alu instid0(VALU_DEP_3) | instskip(SKIP_1) | instid1(VALU_DEP_4)
	v_dual_add_f32 v2, v2, v3 :: v_dual_add_f32 v1, v1, v132
	v_fmac_f32_e32 v135, v125, v12
	v_fma_f32 v3, v128, v16, -v4
	s_delay_alu instid0(VALU_DEP_3) | instskip(NEXT) | instid1(VALU_DEP_1)
	v_add_f32_e32 v2, v2, v5
	v_dual_add_f32 v1, v1, v133 :: v_dual_add_f32 v2, v2, v3
	s_delay_alu instid0(VALU_DEP_1) | instskip(NEXT) | instid1(VALU_DEP_1)
	v_add_f32_e32 v1, v1, v134
	v_add_f32_e32 v1, v1, v135
	s_delay_alu instid0(VALU_DEP_1) | instskip(NEXT) | instid1(VALU_DEP_1)
	v_add_f32_e32 v1, v1, v136
	v_add_f32_e32 v3, v1, v137
	s_wait_loadcnt 0x0
	s_delay_alu instid0(VALU_DEP_1)
	v_dual_sub_f32 v1, v130, v2 :: v_dual_sub_f32 v2, v131, v3
	scratch_store_b64 off, v[1:2], off offset:304
	v_cmpx_lt_u32_e32 37, v0
	s_cbranch_execz .LBB46_221
; %bb.220:
	scratch_load_b64 v[1:2], off, off offset:296
	v_mov_b32_e32 v3, 0
	s_delay_alu instid0(VALU_DEP_1)
	v_mov_b32_e32 v4, v3
	scratch_store_b64 off, v[3:4], off offset:296
	s_wait_loadcnt 0x0
	ds_store_b64 v23, v[1:2]
.LBB46_221:
	s_wait_alu 0xfffe
	s_or_b32 exec_lo, exec_lo, s0
	s_wait_storecnt_dscnt 0x0
	s_barrier_signal -1
	s_barrier_wait -1
	global_inv scope:SCOPE_SE
	s_clause 0x5
	scratch_load_b128 v[2:5], off, off offset:304
	scratch_load_b128 v[6:9], off, off offset:320
	;; [unrolled: 1-line block ×4, first 2 shown]
	scratch_load_b64 v[130:131], off, off offset:368
	scratch_load_b64 v[132:133], off, off offset:296
	v_mov_b32_e32 v1, 0
	ds_load_b128 v[18:21], v1 offset:688
	ds_load_b128 v[118:121], v1 offset:704
	;; [unrolled: 1-line block ×4, first 2 shown]
	ds_load_b64 v[134:135], v1 offset:752
	s_mov_b32 s0, exec_lo
	s_wait_loadcnt_dscnt 0x504
	v_mul_f32_e32 v22, v18, v3
	s_wait_loadcnt_dscnt 0x302
	v_dual_mul_f32 v3, v19, v3 :: v_dual_mul_f32 v140, v124, v13
	v_dual_mul_f32 v136, v20, v5 :: v_dual_mul_f32 v137, v118, v7
	v_mul_f32_e32 v5, v21, v5
	s_delay_alu instid0(VALU_DEP_3) | instskip(SKIP_3) | instid1(VALU_DEP_3)
	v_fma_f32 v3, v18, v2, -v3
	s_wait_loadcnt_dscnt 0x100
	v_dual_mul_f32 v143, v134, v131 :: v_dual_fmac_f32 v22, v19, v2
	v_mul_f32_e32 v2, v119, v7
	v_dual_fmac_f32 v136, v21, v4 :: v_dual_add_f32 v3, 0, v3
	v_fma_f32 v4, v20, v4, -v5
	v_dual_mul_f32 v138, v120, v9 :: v_dual_mul_f32 v139, v122, v11
	v_add_f32_e32 v5, 0, v22
	v_fma_f32 v2, v118, v6, -v2
	s_delay_alu instid0(VALU_DEP_4) | instskip(SKIP_3) | instid1(VALU_DEP_4)
	v_add_f32_e32 v3, v3, v4
	v_mul_f32_e32 v7, v121, v9
	v_dual_fmac_f32 v138, v121, v8 :: v_dual_fmac_f32 v137, v119, v6
	v_add_f32_e32 v4, v5, v136
	v_add_f32_e32 v2, v3, v2
	s_delay_alu instid0(VALU_DEP_4)
	v_fma_f32 v6, v120, v8, -v7
	v_mul_f32_e32 v5, v123, v11
	v_dual_fmac_f32 v139, v123, v10 :: v_dual_fmac_f32 v140, v125, v12
	v_add_f32_e32 v3, v4, v137
	v_mul_f32_e32 v4, v125, v13
	v_add_f32_e32 v2, v2, v6
	v_fma_f32 v5, v122, v10, -v5
	v_mul_f32_e32 v6, v127, v15
	v_add_f32_e32 v3, v3, v138
	v_fma_f32 v4, v124, v12, -v4
	v_dual_mul_f32 v141, v126, v15 :: v_dual_mul_f32 v142, v128, v17
	s_delay_alu instid0(VALU_DEP_3) | instskip(SKIP_2) | instid1(VALU_DEP_4)
	v_dual_add_f32 v2, v2, v5 :: v_dual_add_f32 v3, v3, v139
	v_mul_f32_e32 v5, v129, v17
	v_fma_f32 v6, v126, v14, -v6
	v_dual_fmac_f32 v141, v127, v14 :: v_dual_fmac_f32 v142, v129, v16
	s_delay_alu instid0(VALU_DEP_4) | instskip(SKIP_3) | instid1(VALU_DEP_4)
	v_add_f32_e32 v2, v2, v4
	v_add_f32_e32 v3, v3, v140
	v_mul_f32_e32 v4, v135, v131
	v_fma_f32 v5, v128, v16, -v5
	v_add_f32_e32 v2, v2, v6
	v_fmac_f32_e32 v143, v135, v130
	s_delay_alu instid0(VALU_DEP_4) | instskip(NEXT) | instid1(VALU_DEP_3)
	v_fma_f32 v4, v134, v130, -v4
	v_add_f32_e32 v2, v2, v5
	s_delay_alu instid0(VALU_DEP_1) | instskip(NEXT) | instid1(VALU_DEP_1)
	v_dual_add_f32 v3, v3, v141 :: v_dual_add_f32 v2, v2, v4
	v_add_f32_e32 v3, v3, v142
	s_wait_loadcnt 0x0
	s_delay_alu instid0(VALU_DEP_1) | instskip(NEXT) | instid1(VALU_DEP_1)
	v_dual_sub_f32 v2, v132, v2 :: v_dual_add_f32 v3, v3, v143
	v_sub_f32_e32 v3, v133, v3
	scratch_store_b64 off, v[2:3], off offset:296
	v_cmpx_lt_u32_e32 36, v0
	s_cbranch_execz .LBB46_223
; %bb.222:
	scratch_load_b64 v[3:4], off, off offset:288
	v_mov_b32_e32 v2, v1
	scratch_store_b64 off, v[1:2], off offset:288
	s_wait_loadcnt 0x0
	ds_store_b64 v23, v[3:4]
.LBB46_223:
	s_wait_alu 0xfffe
	s_or_b32 exec_lo, exec_lo, s0
	s_wait_storecnt_dscnt 0x0
	s_barrier_signal -1
	s_barrier_wait -1
	global_inv scope:SCOPE_SE
	s_clause 0x5
	scratch_load_b128 v[2:5], off, off offset:296
	scratch_load_b128 v[6:9], off, off offset:312
	;; [unrolled: 1-line block ×5, first 2 shown]
	scratch_load_b64 v[138:139], off, off offset:288
	ds_load_2addr_b64 v[118:121], v1 offset0:85 offset1:86
	ds_load_2addr_b64 v[122:125], v1 offset0:87 offset1:88
	ds_load_2addr_b64 v[126:129], v1 offset0:89 offset1:90
	ds_load_2addr_b64 v[130:133], v1 offset0:91 offset1:92
	ds_load_2addr_b64 v[134:137], v1 offset0:93 offset1:94
	s_mov_b32 s0, exec_lo
	s_wait_loadcnt_dscnt 0x504
	v_dual_mul_f32 v1, v118, v3 :: v_dual_mul_f32 v22, v120, v5
	v_mul_f32_e32 v3, v119, v3
	s_wait_loadcnt_dscnt 0x403
	v_dual_mul_f32 v5, v121, v5 :: v_dual_mul_f32 v140, v122, v7
	s_delay_alu instid0(VALU_DEP_3) | instskip(NEXT) | instid1(VALU_DEP_3)
	v_dual_mul_f32 v141, v124, v9 :: v_dual_fmac_f32 v22, v121, v4
	v_fma_f32 v3, v118, v2, -v3
	v_fmac_f32_e32 v1, v119, v2
	v_mul_f32_e32 v2, v123, v7
	v_fma_f32 v4, v120, v4, -v5
	s_delay_alu instid0(VALU_DEP_4)
	v_dual_fmac_f32 v140, v123, v6 :: v_dual_add_f32 v3, 0, v3
	s_wait_loadcnt_dscnt 0x100
	v_dual_mul_f32 v146, v134, v19 :: v_dual_mul_f32 v147, v136, v21
	v_fma_f32 v2, v122, v6, -v2
	v_dual_mul_f32 v142, v126, v11 :: v_dual_mul_f32 v143, v128, v13
	v_add_f32_e32 v3, v3, v4
	v_dual_mul_f32 v5, v125, v9 :: v_dual_mul_f32 v144, v130, v15
	v_dual_mul_f32 v145, v132, v17 :: v_dual_mul_f32 v4, v127, v11
	s_delay_alu instid0(VALU_DEP_3) | instskip(NEXT) | instid1(VALU_DEP_3)
	v_add_f32_e32 v2, v3, v2
	v_fma_f32 v5, v124, v8, -v5
	v_dual_mul_f32 v3, v129, v13 :: v_dual_fmac_f32 v146, v135, v18
	s_delay_alu instid0(VALU_DEP_4) | instskip(SKIP_1) | instid1(VALU_DEP_4)
	v_fma_f32 v4, v126, v10, -v4
	v_dual_fmac_f32 v141, v125, v8 :: v_dual_fmac_f32 v142, v127, v10
	v_add_f32_e32 v2, v2, v5
	v_add_f32_e32 v1, 0, v1
	v_fma_f32 v3, v128, v12, -v3
	v_dual_fmac_f32 v144, v131, v14 :: v_dual_fmac_f32 v145, v133, v16
	s_delay_alu instid0(VALU_DEP_3) | instskip(SKIP_1) | instid1(VALU_DEP_2)
	v_dual_add_f32 v2, v2, v4 :: v_dual_add_f32 v1, v1, v22
	v_mul_f32_e32 v4, v133, v17
	v_dual_fmac_f32 v147, v137, v20 :: v_dual_add_f32 v2, v2, v3
	s_delay_alu instid0(VALU_DEP_3) | instskip(NEXT) | instid1(VALU_DEP_3)
	v_add_f32_e32 v1, v1, v140
	v_fma_f32 v4, v132, v16, -v4
	v_mul_f32_e32 v5, v131, v15
	v_mul_f32_e32 v3, v135, v19
	s_delay_alu instid0(VALU_DEP_4) | instskip(NEXT) | instid1(VALU_DEP_3)
	v_add_f32_e32 v1, v1, v141
	v_fma_f32 v5, v130, v14, -v5
	v_fmac_f32_e32 v143, v129, v12
	s_delay_alu instid0(VALU_DEP_4) | instskip(NEXT) | instid1(VALU_DEP_3)
	v_fma_f32 v3, v134, v18, -v3
	v_add_f32_e32 v2, v2, v5
	s_delay_alu instid0(VALU_DEP_1) | instskip(SKIP_1) | instid1(VALU_DEP_2)
	v_dual_mul_f32 v5, v137, v21 :: v_dual_add_f32 v2, v2, v4
	v_add_f32_e32 v1, v1, v142
	v_fma_f32 v4, v136, v20, -v5
	s_delay_alu instid0(VALU_DEP_3) | instskip(NEXT) | instid1(VALU_DEP_1)
	v_add_f32_e32 v2, v2, v3
	v_dual_add_f32 v1, v1, v143 :: v_dual_add_f32 v2, v2, v4
	s_delay_alu instid0(VALU_DEP_1) | instskip(NEXT) | instid1(VALU_DEP_1)
	v_add_f32_e32 v1, v1, v144
	v_add_f32_e32 v1, v1, v145
	s_delay_alu instid0(VALU_DEP_1) | instskip(NEXT) | instid1(VALU_DEP_1)
	v_add_f32_e32 v1, v1, v146
	v_add_f32_e32 v3, v1, v147
	s_wait_loadcnt 0x0
	s_delay_alu instid0(VALU_DEP_1)
	v_dual_sub_f32 v1, v138, v2 :: v_dual_sub_f32 v2, v139, v3
	scratch_store_b64 off, v[1:2], off offset:288
	v_cmpx_lt_u32_e32 35, v0
	s_cbranch_execz .LBB46_225
; %bb.224:
	scratch_load_b64 v[1:2], off, off offset:280
	v_mov_b32_e32 v3, 0
	s_delay_alu instid0(VALU_DEP_1)
	v_mov_b32_e32 v4, v3
	scratch_store_b64 off, v[3:4], off offset:280
	s_wait_loadcnt 0x0
	ds_store_b64 v23, v[1:2]
.LBB46_225:
	s_wait_alu 0xfffe
	s_or_b32 exec_lo, exec_lo, s0
	s_wait_storecnt_dscnt 0x0
	s_barrier_signal -1
	s_barrier_wait -1
	global_inv scope:SCOPE_SE
	s_clause 0x6
	scratch_load_b128 v[2:5], off, off offset:288
	scratch_load_b128 v[6:9], off, off offset:304
	;; [unrolled: 1-line block ×5, first 2 shown]
	scratch_load_b64 v[138:139], off, off offset:368
	scratch_load_b64 v[140:141], off, off offset:280
	v_mov_b32_e32 v1, 0
	ds_load_b128 v[118:121], v1 offset:672
	ds_load_b128 v[122:125], v1 offset:688
	;; [unrolled: 1-line block ×5, first 2 shown]
	ds_load_b64 v[142:143], v1 offset:752
	s_mov_b32 s0, exec_lo
	s_wait_loadcnt_dscnt 0x605
	v_mul_f32_e32 v22, v118, v3
	v_dual_mul_f32 v3, v119, v3 :: v_dual_mul_f32 v144, v120, v5
	s_wait_loadcnt_dscnt 0x302
	v_dual_mul_f32 v145, v122, v7 :: v_dual_mul_f32 v150, v132, v17
	v_mul_f32_e32 v5, v121, v5
	s_delay_alu instid0(VALU_DEP_3) | instskip(SKIP_3) | instid1(VALU_DEP_3)
	v_fma_f32 v3, v118, v2, -v3
	s_wait_loadcnt_dscnt 0x100
	v_dual_mul_f32 v153, v142, v139 :: v_dual_fmac_f32 v22, v119, v2
	v_mul_f32_e32 v2, v123, v7
	v_dual_fmac_f32 v144, v121, v4 :: v_dual_add_f32 v3, 0, v3
	v_fma_f32 v4, v120, v4, -v5
	v_dual_mul_f32 v146, v124, v9 :: v_dual_mul_f32 v147, v126, v11
	v_add_f32_e32 v5, 0, v22
	v_fma_f32 v2, v122, v6, -v2
	s_delay_alu instid0(VALU_DEP_4) | instskip(SKIP_3) | instid1(VALU_DEP_4)
	v_add_f32_e32 v3, v3, v4
	v_mul_f32_e32 v7, v125, v9
	v_dual_fmac_f32 v146, v125, v8 :: v_dual_fmac_f32 v145, v123, v6
	v_add_f32_e32 v4, v5, v144
	v_add_f32_e32 v2, v3, v2
	s_delay_alu instid0(VALU_DEP_4)
	v_fma_f32 v6, v124, v8, -v7
	v_dual_mul_f32 v5, v127, v11 :: v_dual_mul_f32 v148, v128, v13
	v_mul_f32_e32 v149, v130, v15
	v_add_f32_e32 v3, v4, v145
	v_mul_f32_e32 v4, v129, v13
	v_add_f32_e32 v2, v2, v6
	v_fma_f32 v5, v126, v10, -v5
	v_dual_fmac_f32 v147, v127, v10 :: v_dual_fmac_f32 v148, v129, v12
	v_mul_f32_e32 v6, v131, v15
	s_delay_alu instid0(VALU_DEP_3) | instskip(SKIP_2) | instid1(VALU_DEP_4)
	v_dual_add_f32 v3, v3, v146 :: v_dual_add_f32 v2, v2, v5
	v_fma_f32 v4, v128, v12, -v4
	v_mul_f32_e32 v5, v133, v17
	v_fma_f32 v6, v130, v14, -v6
	s_delay_alu instid0(VALU_DEP_4) | instskip(SKIP_3) | instid1(VALU_DEP_4)
	v_add_f32_e32 v3, v3, v147
	v_dual_mul_f32 v151, v134, v19 :: v_dual_mul_f32 v152, v136, v21
	v_dual_add_f32 v2, v2, v4 :: v_dual_fmac_f32 v149, v131, v14
	v_fmac_f32_e32 v150, v133, v16
	v_add_f32_e32 v3, v3, v148
	v_mul_f32_e32 v4, v135, v19
	v_fma_f32 v5, v132, v16, -v5
	v_add_f32_e32 v2, v2, v6
	v_dual_mul_f32 v6, v137, v21 :: v_dual_fmac_f32 v151, v135, v18
	v_dual_add_f32 v3, v3, v149 :: v_dual_fmac_f32 v152, v137, v20
	v_fma_f32 v4, v134, v18, -v4
	s_delay_alu instid0(VALU_DEP_4) | instskip(NEXT) | instid1(VALU_DEP_4)
	v_add_f32_e32 v2, v2, v5
	v_fma_f32 v6, v136, v20, -v6
	s_delay_alu instid0(VALU_DEP_4) | instskip(NEXT) | instid1(VALU_DEP_3)
	v_add_f32_e32 v3, v3, v150
	v_dual_mul_f32 v5, v143, v139 :: v_dual_add_f32 v2, v2, v4
	s_delay_alu instid0(VALU_DEP_2) | instskip(NEXT) | instid1(VALU_DEP_2)
	v_add_f32_e32 v3, v3, v151
	v_fma_f32 v4, v142, v138, -v5
	s_delay_alu instid0(VALU_DEP_3) | instskip(NEXT) | instid1(VALU_DEP_1)
	v_add_f32_e32 v2, v2, v6
	v_dual_fmac_f32 v153, v143, v138 :: v_dual_add_f32 v2, v2, v4
	s_wait_loadcnt 0x0
	s_delay_alu instid0(VALU_DEP_1) | instskip(NEXT) | instid1(VALU_DEP_1)
	v_dual_add_f32 v3, v3, v152 :: v_dual_sub_f32 v2, v140, v2
	v_add_f32_e32 v3, v3, v153
	s_delay_alu instid0(VALU_DEP_1)
	v_sub_f32_e32 v3, v141, v3
	scratch_store_b64 off, v[2:3], off offset:280
	v_cmpx_lt_u32_e32 34, v0
	s_cbranch_execz .LBB46_227
; %bb.226:
	scratch_load_b64 v[3:4], off, off offset:272
	v_mov_b32_e32 v2, v1
	scratch_store_b64 off, v[1:2], off offset:272
	s_wait_loadcnt 0x0
	ds_store_b64 v23, v[3:4]
.LBB46_227:
	s_wait_alu 0xfffe
	s_or_b32 exec_lo, exec_lo, s0
	s_wait_storecnt_dscnt 0x0
	s_barrier_signal -1
	s_barrier_wait -1
	global_inv scope:SCOPE_SE
	s_clause 0x6
	scratch_load_b128 v[2:5], off, off offset:280
	scratch_load_b128 v[6:9], off, off offset:296
	;; [unrolled: 1-line block ×6, first 2 shown]
	scratch_load_b64 v[146:147], off, off offset:272
	ds_load_2addr_b64 v[122:125], v1 offset0:83 offset1:84
	ds_load_2addr_b64 v[126:129], v1 offset0:85 offset1:86
	;; [unrolled: 1-line block ×6, first 2 shown]
	s_mov_b32 s0, exec_lo
	s_wait_loadcnt_dscnt 0x605
	v_dual_mul_f32 v1, v122, v3 :: v_dual_mul_f32 v22, v124, v5
	v_mul_f32_e32 v3, v123, v3
	s_wait_loadcnt_dscnt 0x504
	v_dual_mul_f32 v5, v125, v5 :: v_dual_mul_f32 v148, v126, v7
	s_delay_alu instid0(VALU_DEP_3) | instskip(NEXT) | instid1(VALU_DEP_3)
	v_dual_mul_f32 v149, v128, v9 :: v_dual_fmac_f32 v22, v125, v4
	v_fma_f32 v3, v122, v2, -v3
	v_fmac_f32_e32 v1, v123, v2
	v_mul_f32_e32 v2, v127, v7
	v_fma_f32 v4, v124, v4, -v5
	s_delay_alu instid0(VALU_DEP_4)
	v_dual_fmac_f32 v148, v127, v6 :: v_dual_add_f32 v3, 0, v3
	s_wait_loadcnt_dscnt 0x201
	v_dual_mul_f32 v154, v138, v19 :: v_dual_mul_f32 v155, v140, v21
	v_fma_f32 v2, v126, v6, -v2
	v_dual_mul_f32 v150, v130, v11 :: v_dual_mul_f32 v151, v132, v13
	v_add_f32_e32 v3, v3, v4
	v_dual_mul_f32 v5, v129, v9 :: v_dual_mul_f32 v152, v134, v15
	v_dual_mul_f32 v153, v136, v17 :: v_dual_mul_f32 v4, v131, v11
	s_delay_alu instid0(VALU_DEP_3) | instskip(NEXT) | instid1(VALU_DEP_3)
	v_add_f32_e32 v2, v3, v2
	v_fma_f32 v5, v128, v8, -v5
	v_dual_mul_f32 v3, v133, v13 :: v_dual_fmac_f32 v154, v139, v18
	s_delay_alu instid0(VALU_DEP_4) | instskip(SKIP_1) | instid1(VALU_DEP_4)
	v_fma_f32 v4, v130, v10, -v4
	v_dual_fmac_f32 v149, v129, v8 :: v_dual_fmac_f32 v150, v131, v10
	v_add_f32_e32 v2, v2, v5
	v_add_f32_e32 v1, 0, v1
	v_fma_f32 v3, v132, v12, -v3
	v_fmac_f32_e32 v152, v135, v14
	s_wait_loadcnt_dscnt 0x100
	v_dual_mul_f32 v156, v142, v119 :: v_dual_mul_f32 v157, v144, v121
	v_dual_add_f32 v1, v1, v22 :: v_dual_add_f32 v2, v2, v4
	v_mul_f32_e32 v4, v137, v17
	v_fmac_f32_e32 v155, v141, v20
	s_delay_alu instid0(VALU_DEP_4) | instskip(NEXT) | instid1(VALU_DEP_4)
	v_fmac_f32_e32 v157, v145, v120
	v_dual_add_f32 v1, v1, v148 :: v_dual_add_f32 v2, v2, v3
	s_delay_alu instid0(VALU_DEP_4) | instskip(SKIP_1) | instid1(VALU_DEP_3)
	v_fma_f32 v4, v136, v16, -v4
	v_mul_f32_e32 v5, v135, v15
	v_dual_fmac_f32 v156, v143, v118 :: v_dual_add_f32 v1, v1, v149
	s_delay_alu instid0(VALU_DEP_2) | instskip(SKIP_1) | instid1(VALU_DEP_2)
	v_fma_f32 v5, v134, v14, -v5
	v_fmac_f32_e32 v151, v133, v12
	v_dual_add_f32 v1, v1, v150 :: v_dual_add_f32 v2, v2, v5
	s_delay_alu instid0(VALU_DEP_1) | instskip(SKIP_1) | instid1(VALU_DEP_3)
	v_add_f32_e32 v2, v2, v4
	v_mul_f32_e32 v4, v143, v119
	v_add_f32_e32 v1, v1, v151
	s_delay_alu instid0(VALU_DEP_2) | instskip(SKIP_1) | instid1(VALU_DEP_1)
	v_fma_f32 v4, v142, v118, -v4
	v_mul_f32_e32 v5, v141, v21
	v_fma_f32 v5, v140, v20, -v5
	v_mul_f32_e32 v3, v139, v19
	s_delay_alu instid0(VALU_DEP_1) | instskip(NEXT) | instid1(VALU_DEP_1)
	v_fma_f32 v3, v138, v18, -v3
	v_dual_fmac_f32 v153, v137, v16 :: v_dual_add_f32 v2, v2, v3
	v_mul_f32_e32 v3, v145, v121
	s_delay_alu instid0(VALU_DEP_2) | instskip(NEXT) | instid1(VALU_DEP_2)
	v_add_f32_e32 v2, v2, v5
	v_fma_f32 v3, v144, v120, -v3
	s_delay_alu instid0(VALU_DEP_2) | instskip(NEXT) | instid1(VALU_DEP_1)
	v_add_f32_e32 v2, v2, v4
	v_dual_add_f32 v1, v1, v152 :: v_dual_add_f32 v2, v2, v3
	s_delay_alu instid0(VALU_DEP_1) | instskip(NEXT) | instid1(VALU_DEP_1)
	v_add_f32_e32 v1, v1, v153
	v_add_f32_e32 v1, v1, v154
	s_delay_alu instid0(VALU_DEP_1) | instskip(NEXT) | instid1(VALU_DEP_1)
	v_add_f32_e32 v1, v1, v155
	v_add_f32_e32 v1, v1, v156
	s_delay_alu instid0(VALU_DEP_1) | instskip(SKIP_1) | instid1(VALU_DEP_1)
	v_add_f32_e32 v3, v1, v157
	s_wait_loadcnt 0x0
	v_dual_sub_f32 v1, v146, v2 :: v_dual_sub_f32 v2, v147, v3
	scratch_store_b64 off, v[1:2], off offset:272
	v_cmpx_lt_u32_e32 33, v0
	s_cbranch_execz .LBB46_229
; %bb.228:
	scratch_load_b64 v[1:2], off, off offset:264
	v_mov_b32_e32 v3, 0
	s_delay_alu instid0(VALU_DEP_1)
	v_mov_b32_e32 v4, v3
	scratch_store_b64 off, v[3:4], off offset:264
	s_wait_loadcnt 0x0
	ds_store_b64 v23, v[1:2]
.LBB46_229:
	s_wait_alu 0xfffe
	s_or_b32 exec_lo, exec_lo, s0
	s_wait_storecnt_dscnt 0x0
	s_barrier_signal -1
	s_barrier_wait -1
	global_inv scope:SCOPE_SE
	s_clause 0x7
	scratch_load_b128 v[2:5], off, off offset:272
	scratch_load_b128 v[6:9], off, off offset:288
	;; [unrolled: 1-line block ×6, first 2 shown]
	scratch_load_b64 v[146:147], off, off offset:368
	scratch_load_b64 v[148:149], off, off offset:264
	v_mov_b32_e32 v1, 0
	ds_load_b128 v[122:125], v1 offset:656
	ds_load_b128 v[126:129], v1 offset:672
	;; [unrolled: 1-line block ×6, first 2 shown]
	ds_load_b64 v[150:151], v1 offset:752
	s_mov_b32 s0, exec_lo
	s_wait_loadcnt_dscnt 0x706
	v_mul_f32_e32 v22, v122, v3
	v_dual_mul_f32 v3, v123, v3 :: v_dual_mul_f32 v152, v124, v5
	s_wait_loadcnt_dscnt 0x302
	v_dual_mul_f32 v153, v126, v7 :: v_dual_mul_f32 v160, v140, v21
	v_mul_f32_e32 v5, v125, v5
	s_wait_loadcnt_dscnt 0x100
	v_dual_mul_f32 v163, v150, v147 :: v_dual_fmac_f32 v22, v123, v2
	v_fma_f32 v3, v122, v2, -v3
	v_dual_mul_f32 v154, v128, v9 :: v_dual_mul_f32 v155, v130, v11
	v_mul_f32_e32 v2, v127, v7
	s_delay_alu instid0(VALU_DEP_3) | instskip(SKIP_1) | instid1(VALU_DEP_4)
	v_dual_fmac_f32 v152, v125, v4 :: v_dual_add_f32 v3, 0, v3
	v_fma_f32 v4, v124, v4, -v5
	v_dual_add_f32 v5, 0, v22 :: v_dual_fmac_f32 v154, v129, v8
	v_fmac_f32_e32 v153, v127, v6
	v_fma_f32 v2, v126, v6, -v2
	s_delay_alu instid0(VALU_DEP_4) | instskip(SKIP_3) | instid1(VALU_DEP_4)
	v_add_f32_e32 v3, v3, v4
	v_mul_f32_e32 v7, v129, v9
	v_add_f32_e32 v4, v5, v152
	v_dual_mul_f32 v156, v132, v13 :: v_dual_mul_f32 v157, v134, v15
	v_add_f32_e32 v2, v3, v2
	s_delay_alu instid0(VALU_DEP_4)
	v_fma_f32 v6, v128, v8, -v7
	v_mul_f32_e32 v5, v131, v11
	v_add_f32_e32 v3, v4, v153
	v_dual_mul_f32 v4, v133, v13 :: v_dual_fmac_f32 v155, v131, v10
	v_fmac_f32_e32 v156, v133, v12
	v_add_f32_e32 v2, v2, v6
	v_fma_f32 v5, v130, v10, -v5
	v_mul_f32_e32 v6, v135, v15
	v_add_f32_e32 v3, v3, v154
	v_fma_f32 v4, v132, v12, -v4
	v_dual_mul_f32 v158, v136, v17 :: v_dual_mul_f32 v159, v138, v19
	s_delay_alu instid0(VALU_DEP_3) | instskip(SKIP_1) | instid1(VALU_DEP_3)
	v_dual_add_f32 v2, v2, v5 :: v_dual_add_f32 v3, v3, v155
	v_mul_f32_e32 v5, v137, v17
	v_dual_fmac_f32 v157, v135, v14 :: v_dual_fmac_f32 v158, v137, v16
	v_fma_f32 v6, v134, v14, -v6
	s_delay_alu instid0(VALU_DEP_4) | instskip(SKIP_4) | instid1(VALU_DEP_4)
	v_add_f32_e32 v2, v2, v4
	v_add_f32_e32 v3, v3, v156
	v_mul_f32_e32 v4, v139, v19
	v_fma_f32 v5, v136, v16, -v5
	v_fmac_f32_e32 v159, v139, v18
	v_dual_add_f32 v2, v2, v6 :: v_dual_add_f32 v3, v3, v157
	v_fmac_f32_e32 v160, v141, v20
	v_mul_f32_e32 v6, v141, v21
	v_fma_f32 v4, v138, v18, -v4
	s_delay_alu instid0(VALU_DEP_4) | instskip(SKIP_1) | instid1(VALU_DEP_2)
	v_dual_add_f32 v2, v2, v5 :: v_dual_add_f32 v3, v3, v158
	v_dual_mul_f32 v161, v142, v119 :: v_dual_mul_f32 v162, v144, v121
	v_dual_mul_f32 v5, v143, v119 :: v_dual_add_f32 v2, v2, v4
	v_fma_f32 v6, v140, v20, -v6
	s_delay_alu instid0(VALU_DEP_4) | instskip(NEXT) | instid1(VALU_DEP_4)
	v_dual_add_f32 v3, v3, v159 :: v_dual_mul_f32 v4, v145, v121
	v_dual_fmac_f32 v161, v143, v118 :: v_dual_fmac_f32 v162, v145, v120
	s_delay_alu instid0(VALU_DEP_4) | instskip(NEXT) | instid1(VALU_DEP_3)
	v_fma_f32 v5, v142, v118, -v5
	v_dual_add_f32 v2, v2, v6 :: v_dual_add_f32 v3, v3, v160
	v_mul_f32_e32 v6, v151, v147
	v_fma_f32 v4, v144, v120, -v4
	s_delay_alu instid0(VALU_DEP_3) | instskip(NEXT) | instid1(VALU_DEP_4)
	v_dual_fmac_f32 v163, v151, v146 :: v_dual_add_f32 v2, v2, v5
	v_add_f32_e32 v3, v3, v161
	s_delay_alu instid0(VALU_DEP_4) | instskip(NEXT) | instid1(VALU_DEP_2)
	v_fma_f32 v5, v150, v146, -v6
	v_dual_add_f32 v2, v2, v4 :: v_dual_add_f32 v3, v3, v162
	s_delay_alu instid0(VALU_DEP_1) | instskip(SKIP_1) | instid1(VALU_DEP_1)
	v_dual_add_f32 v2, v2, v5 :: v_dual_add_f32 v3, v3, v163
	s_wait_loadcnt 0x0
	v_dual_sub_f32 v2, v148, v2 :: v_dual_sub_f32 v3, v149, v3
	scratch_store_b64 off, v[2:3], off offset:264
	v_cmpx_lt_u32_e32 32, v0
	s_cbranch_execz .LBB46_231
; %bb.230:
	scratch_load_b64 v[3:4], off, off offset:256
	v_mov_b32_e32 v2, v1
	scratch_store_b64 off, v[1:2], off offset:256
	s_wait_loadcnt 0x0
	ds_store_b64 v23, v[3:4]
.LBB46_231:
	s_wait_alu 0xfffe
	s_or_b32 exec_lo, exec_lo, s0
	s_wait_storecnt_dscnt 0x0
	s_barrier_signal -1
	s_barrier_wait -1
	global_inv scope:SCOPE_SE
	s_clause 0x7
	scratch_load_b128 v[2:5], off, off offset:264
	scratch_load_b128 v[6:9], off, off offset:280
	;; [unrolled: 1-line block ×7, first 2 shown]
	scratch_load_b64 v[154:155], off, off offset:256
	ds_load_2addr_b64 v[126:129], v1 offset0:81 offset1:82
	ds_load_2addr_b64 v[130:133], v1 offset0:83 offset1:84
	;; [unrolled: 1-line block ×7, first 2 shown]
	s_mov_b32 s0, exec_lo
	s_wait_loadcnt_dscnt 0x706
	v_dual_mul_f32 v1, v126, v3 :: v_dual_mul_f32 v22, v128, v5
	v_mul_f32_e32 v3, v127, v3
	s_wait_loadcnt_dscnt 0x605
	v_dual_mul_f32 v5, v129, v5 :: v_dual_mul_f32 v156, v130, v7
	s_delay_alu instid0(VALU_DEP_3) | instskip(NEXT) | instid1(VALU_DEP_3)
	v_dual_mul_f32 v157, v132, v9 :: v_dual_fmac_f32 v22, v129, v4
	v_fma_f32 v3, v126, v2, -v3
	v_fmac_f32_e32 v1, v127, v2
	v_mul_f32_e32 v2, v131, v7
	v_fma_f32 v4, v128, v4, -v5
	s_delay_alu instid0(VALU_DEP_4)
	v_dual_fmac_f32 v156, v131, v6 :: v_dual_add_f32 v3, 0, v3
	s_wait_loadcnt_dscnt 0x302
	v_dual_mul_f32 v162, v142, v19 :: v_dual_mul_f32 v163, v144, v21
	v_fma_f32 v2, v130, v6, -v2
	v_dual_mul_f32 v158, v134, v11 :: v_dual_mul_f32 v159, v136, v13
	v_add_f32_e32 v3, v3, v4
	v_dual_mul_f32 v5, v133, v9 :: v_dual_mul_f32 v160, v138, v15
	v_dual_mul_f32 v161, v140, v17 :: v_dual_mul_f32 v4, v135, v11
	s_delay_alu instid0(VALU_DEP_3) | instskip(NEXT) | instid1(VALU_DEP_3)
	v_add_f32_e32 v2, v3, v2
	v_fma_f32 v5, v132, v8, -v5
	v_dual_mul_f32 v3, v137, v13 :: v_dual_fmac_f32 v162, v143, v18
	s_delay_alu instid0(VALU_DEP_4) | instskip(SKIP_1) | instid1(VALU_DEP_4)
	v_fma_f32 v4, v134, v10, -v4
	v_dual_fmac_f32 v157, v133, v8 :: v_dual_fmac_f32 v158, v135, v10
	v_add_f32_e32 v2, v2, v5
	v_add_f32_e32 v1, 0, v1
	v_fma_f32 v3, v136, v12, -v3
	v_fmac_f32_e32 v160, v139, v14
	s_wait_loadcnt_dscnt 0x201
	v_dual_mul_f32 v164, v146, v119 :: v_dual_mul_f32 v165, v148, v121
	v_dual_add_f32 v1, v1, v22 :: v_dual_add_f32 v2, v2, v4
	v_mul_f32_e32 v4, v141, v17
	s_wait_loadcnt_dscnt 0x100
	v_dual_mul_f32 v166, v150, v123 :: v_dual_mul_f32 v167, v152, v125
	s_delay_alu instid0(VALU_DEP_3) | instskip(NEXT) | instid1(VALU_DEP_3)
	v_dual_add_f32 v1, v1, v156 :: v_dual_add_f32 v2, v2, v3
	v_fma_f32 v4, v140, v16, -v4
	v_mul_f32_e32 v5, v139, v15
	v_fmac_f32_e32 v165, v149, v120
	s_delay_alu instid0(VALU_DEP_4) | instskip(SKIP_1) | instid1(VALU_DEP_4)
	v_add_f32_e32 v1, v1, v157
	v_dual_fmac_f32 v167, v153, v124 :: v_dual_fmac_f32 v164, v147, v118
	v_fma_f32 v5, v138, v14, -v5
	v_fmac_f32_e32 v159, v137, v12
	s_delay_alu instid0(VALU_DEP_4) | instskip(SKIP_1) | instid1(VALU_DEP_4)
	v_add_f32_e32 v1, v1, v158
	v_fmac_f32_e32 v166, v151, v122
	v_add_f32_e32 v2, v2, v5
	s_delay_alu instid0(VALU_DEP_1) | instskip(SKIP_2) | instid1(VALU_DEP_2)
	v_add_f32_e32 v2, v2, v4
	v_mul_f32_e32 v4, v147, v119
	v_add_f32_e32 v1, v1, v159
	v_fma_f32 v4, v146, v118, -v4
	v_mul_f32_e32 v5, v145, v21
	s_delay_alu instid0(VALU_DEP_3) | instskip(NEXT) | instid1(VALU_DEP_2)
	v_add_f32_e32 v1, v1, v160
	v_fma_f32 v5, v144, v20, -v5
	v_mul_f32_e32 v3, v143, v19
	s_delay_alu instid0(VALU_DEP_1) | instskip(NEXT) | instid1(VALU_DEP_1)
	v_fma_f32 v3, v142, v18, -v3
	v_dual_fmac_f32 v161, v141, v16 :: v_dual_add_f32 v2, v2, v3
	v_mul_f32_e32 v3, v149, v121
	s_delay_alu instid0(VALU_DEP_2) | instskip(NEXT) | instid1(VALU_DEP_2)
	v_dual_add_f32 v2, v2, v5 :: v_dual_mul_f32 v5, v151, v123
	v_fma_f32 v3, v148, v120, -v3
	s_delay_alu instid0(VALU_DEP_2) | instskip(SKIP_1) | instid1(VALU_DEP_4)
	v_dual_add_f32 v2, v2, v4 :: v_dual_add_f32 v1, v1, v161
	v_mul_f32_e32 v4, v153, v125
	v_fma_f32 v5, v150, v122, -v5
	s_delay_alu instid0(VALU_DEP_3) | instskip(NEXT) | instid1(VALU_DEP_3)
	v_dual_add_f32 v2, v2, v3 :: v_dual_fmac_f32 v163, v145, v20
	v_fma_f32 v3, v152, v124, -v4
	s_delay_alu instid0(VALU_DEP_2) | instskip(NEXT) | instid1(VALU_DEP_1)
	v_dual_add_f32 v2, v2, v5 :: v_dual_add_f32 v1, v1, v162
	v_add_f32_e32 v2, v2, v3
	s_delay_alu instid0(VALU_DEP_2) | instskip(NEXT) | instid1(VALU_DEP_1)
	v_add_f32_e32 v1, v1, v163
	v_add_f32_e32 v1, v1, v164
	s_delay_alu instid0(VALU_DEP_1) | instskip(NEXT) | instid1(VALU_DEP_1)
	v_add_f32_e32 v1, v1, v165
	v_add_f32_e32 v1, v1, v166
	s_delay_alu instid0(VALU_DEP_1) | instskip(SKIP_1) | instid1(VALU_DEP_1)
	v_add_f32_e32 v3, v1, v167
	s_wait_loadcnt 0x0
	v_dual_sub_f32 v1, v154, v2 :: v_dual_sub_f32 v2, v155, v3
	scratch_store_b64 off, v[1:2], off offset:256
	v_cmpx_lt_u32_e32 31, v0
	s_cbranch_execz .LBB46_233
; %bb.232:
	scratch_load_b64 v[1:2], off, off offset:248
	v_mov_b32_e32 v3, 0
	s_delay_alu instid0(VALU_DEP_1)
	v_mov_b32_e32 v4, v3
	scratch_store_b64 off, v[3:4], off offset:248
	s_wait_loadcnt 0x0
	ds_store_b64 v23, v[1:2]
.LBB46_233:
	s_wait_alu 0xfffe
	s_or_b32 exec_lo, exec_lo, s0
	s_wait_storecnt_dscnt 0x0
	s_barrier_signal -1
	s_barrier_wait -1
	global_inv scope:SCOPE_SE
	s_clause 0x8
	scratch_load_b128 v[2:5], off, off offset:256
	scratch_load_b128 v[6:9], off, off offset:272
	;; [unrolled: 1-line block ×7, first 2 shown]
	scratch_load_b64 v[154:155], off, off offset:368
	scratch_load_b64 v[156:157], off, off offset:248
	v_mov_b32_e32 v1, 0
	ds_load_b128 v[126:129], v1 offset:640
	ds_load_b128 v[130:133], v1 offset:656
	;; [unrolled: 1-line block ×7, first 2 shown]
	ds_load_b64 v[158:159], v1 offset:752
	s_mov_b32 s0, exec_lo
	s_wait_loadcnt_dscnt 0x807
	v_mul_f32_e32 v22, v126, v3
	v_dual_mul_f32 v3, v127, v3 :: v_dual_mul_f32 v160, v128, v5
	s_wait_loadcnt_dscnt 0x706
	v_mul_f32_e32 v161, v130, v7
	v_mul_f32_e32 v5, v129, v5
	s_wait_loadcnt_dscnt 0x302
	v_mul_f32_e32 v170, v148, v121
	v_fma_f32 v3, v126, v2, -v3
	s_wait_loadcnt_dscnt 0x100
	v_dual_mul_f32 v173, v158, v155 :: v_dual_fmac_f32 v22, v127, v2
	v_mul_f32_e32 v2, v131, v7
	s_delay_alu instid0(VALU_DEP_3) | instskip(SKIP_4) | instid1(VALU_DEP_4)
	v_dual_fmac_f32 v160, v129, v4 :: v_dual_add_f32 v3, 0, v3
	v_fma_f32 v4, v128, v4, -v5
	v_dual_mul_f32 v162, v132, v9 :: v_dual_mul_f32 v163, v134, v11
	v_add_f32_e32 v5, 0, v22
	v_fma_f32 v2, v130, v6, -v2
	v_add_f32_e32 v3, v3, v4
	v_mul_f32_e32 v7, v133, v9
	v_dual_fmac_f32 v162, v133, v8 :: v_dual_fmac_f32 v161, v131, v6
	v_add_f32_e32 v4, v5, v160
	s_delay_alu instid0(VALU_DEP_4) | instskip(NEXT) | instid1(VALU_DEP_4)
	v_add_f32_e32 v2, v3, v2
	v_fma_f32 v6, v132, v8, -v7
	v_dual_mul_f32 v5, v135, v11 :: v_dual_mul_f32 v164, v136, v13
	v_mul_f32_e32 v165, v138, v15
	v_add_f32_e32 v3, v4, v161
	v_mul_f32_e32 v4, v137, v13
	v_add_f32_e32 v2, v2, v6
	v_fma_f32 v5, v134, v10, -v5
	v_dual_fmac_f32 v163, v135, v10 :: v_dual_fmac_f32 v164, v137, v12
	v_mul_f32_e32 v6, v139, v15
	s_delay_alu instid0(VALU_DEP_3) | instskip(SKIP_2) | instid1(VALU_DEP_4)
	v_dual_add_f32 v3, v3, v162 :: v_dual_add_f32 v2, v2, v5
	v_fma_f32 v4, v136, v12, -v4
	v_mul_f32_e32 v5, v141, v17
	v_fma_f32 v6, v138, v14, -v6
	s_delay_alu instid0(VALU_DEP_4) | instskip(SKIP_3) | instid1(VALU_DEP_4)
	v_dual_add_f32 v3, v3, v163 :: v_dual_mul_f32 v166, v140, v17
	v_mul_f32_e32 v167, v142, v19
	v_add_f32_e32 v2, v2, v4
	v_dual_mul_f32 v168, v144, v21 :: v_dual_mul_f32 v169, v146, v119
	v_dual_fmac_f32 v165, v139, v14 :: v_dual_fmac_f32 v166, v141, v16
	s_delay_alu instid0(VALU_DEP_3) | instskip(SKIP_3) | instid1(VALU_DEP_4)
	v_dual_add_f32 v3, v3, v164 :: v_dual_add_f32 v2, v2, v6
	v_mul_f32_e32 v4, v143, v19
	v_fma_f32 v5, v140, v16, -v5
	v_dual_mul_f32 v6, v145, v21 :: v_dual_fmac_f32 v167, v143, v18
	v_dual_add_f32 v3, v3, v165 :: v_dual_fmac_f32 v168, v145, v20
	s_delay_alu instid0(VALU_DEP_4) | instskip(NEXT) | instid1(VALU_DEP_4)
	v_fma_f32 v4, v142, v18, -v4
	v_add_f32_e32 v2, v2, v5
	s_delay_alu instid0(VALU_DEP_4) | instskip(NEXT) | instid1(VALU_DEP_4)
	v_fma_f32 v6, v144, v20, -v6
	v_add_f32_e32 v3, v3, v166
	v_mul_f32_e32 v5, v147, v119
	v_dual_mul_f32 v171, v150, v123 :: v_dual_mul_f32 v172, v152, v125
	s_delay_alu instid0(VALU_DEP_3) | instskip(SKIP_1) | instid1(VALU_DEP_4)
	v_dual_add_f32 v2, v2, v4 :: v_dual_add_f32 v3, v3, v167
	v_mul_f32_e32 v4, v149, v121
	v_fma_f32 v5, v146, v118, -v5
	v_dual_fmac_f32 v169, v147, v118 :: v_dual_fmac_f32 v170, v149, v120
	s_delay_alu instid0(VALU_DEP_4) | instskip(SKIP_2) | instid1(VALU_DEP_3)
	v_dual_add_f32 v2, v2, v6 :: v_dual_add_f32 v3, v3, v168
	v_mul_f32_e32 v6, v151, v123
	v_fma_f32 v4, v148, v120, -v4
	v_dual_fmac_f32 v171, v151, v122 :: v_dual_add_f32 v2, v2, v5
	s_delay_alu instid0(VALU_DEP_4) | instskip(SKIP_3) | instid1(VALU_DEP_4)
	v_add_f32_e32 v3, v3, v169
	v_mul_f32_e32 v5, v153, v125
	v_fma_f32 v6, v150, v122, -v6
	v_fmac_f32_e32 v172, v153, v124
	v_dual_add_f32 v2, v2, v4 :: v_dual_add_f32 v3, v3, v170
	v_mul_f32_e32 v4, v159, v155
	v_fma_f32 v5, v152, v124, -v5
	s_delay_alu instid0(VALU_DEP_3) | instskip(SKIP_1) | instid1(VALU_DEP_4)
	v_dual_add_f32 v2, v2, v6 :: v_dual_add_f32 v3, v3, v171
	v_fmac_f32_e32 v173, v159, v154
	v_fma_f32 v4, v158, v154, -v4
	s_delay_alu instid0(VALU_DEP_3) | instskip(NEXT) | instid1(VALU_DEP_1)
	v_add_f32_e32 v2, v2, v5
	v_add_f32_e32 v2, v2, v4
	s_wait_loadcnt 0x0
	s_delay_alu instid0(VALU_DEP_1) | instskip(NEXT) | instid1(VALU_DEP_1)
	v_dual_add_f32 v3, v3, v172 :: v_dual_sub_f32 v2, v156, v2
	v_add_f32_e32 v3, v3, v173
	s_delay_alu instid0(VALU_DEP_1)
	v_sub_f32_e32 v3, v157, v3
	scratch_store_b64 off, v[2:3], off offset:248
	v_cmpx_lt_u32_e32 30, v0
	s_cbranch_execz .LBB46_235
; %bb.234:
	scratch_load_b64 v[3:4], off, off offset:240
	v_mov_b32_e32 v2, v1
	scratch_store_b64 off, v[1:2], off offset:240
	s_wait_loadcnt 0x0
	ds_store_b64 v23, v[3:4]
.LBB46_235:
	s_wait_alu 0xfffe
	s_or_b32 exec_lo, exec_lo, s0
	s_wait_storecnt_dscnt 0x0
	s_barrier_signal -1
	s_barrier_wait -1
	global_inv scope:SCOPE_SE
	s_clause 0x8
	scratch_load_b128 v[2:5], off, off offset:248
	scratch_load_b128 v[6:9], off, off offset:264
	;; [unrolled: 1-line block ×8, first 2 shown]
	scratch_load_b64 v[162:163], off, off offset:240
	ds_load_2addr_b64 v[130:133], v1 offset0:79 offset1:80
	ds_load_2addr_b64 v[134:137], v1 offset0:81 offset1:82
	;; [unrolled: 1-line block ×8, first 2 shown]
	s_mov_b32 s0, exec_lo
	s_wait_loadcnt_dscnt 0x807
	v_dual_mul_f32 v1, v130, v3 :: v_dual_mul_f32 v22, v132, v5
	v_mul_f32_e32 v3, v131, v3
	s_wait_loadcnt_dscnt 0x706
	v_dual_mul_f32 v5, v133, v5 :: v_dual_mul_f32 v164, v134, v7
	s_delay_alu instid0(VALU_DEP_3) | instskip(NEXT) | instid1(VALU_DEP_3)
	v_dual_mul_f32 v165, v136, v9 :: v_dual_fmac_f32 v22, v133, v4
	v_fma_f32 v3, v130, v2, -v3
	v_fmac_f32_e32 v1, v131, v2
	v_mul_f32_e32 v2, v135, v7
	v_fma_f32 v4, v132, v4, -v5
	s_delay_alu instid0(VALU_DEP_4)
	v_dual_fmac_f32 v164, v135, v6 :: v_dual_add_f32 v3, 0, v3
	s_wait_loadcnt_dscnt 0x403
	v_dual_mul_f32 v170, v146, v19 :: v_dual_mul_f32 v171, v148, v21
	v_fma_f32 v2, v134, v6, -v2
	v_dual_mul_f32 v166, v138, v11 :: v_dual_mul_f32 v167, v140, v13
	v_add_f32_e32 v3, v3, v4
	v_dual_mul_f32 v5, v137, v9 :: v_dual_mul_f32 v168, v142, v15
	v_dual_mul_f32 v169, v144, v17 :: v_dual_mul_f32 v4, v139, v11
	s_delay_alu instid0(VALU_DEP_3) | instskip(NEXT) | instid1(VALU_DEP_3)
	v_add_f32_e32 v2, v3, v2
	v_fma_f32 v5, v136, v8, -v5
	v_dual_mul_f32 v3, v141, v13 :: v_dual_fmac_f32 v170, v147, v18
	s_delay_alu instid0(VALU_DEP_4) | instskip(SKIP_1) | instid1(VALU_DEP_4)
	v_fma_f32 v4, v138, v10, -v4
	v_dual_fmac_f32 v165, v137, v8 :: v_dual_fmac_f32 v166, v139, v10
	v_add_f32_e32 v2, v2, v5
	v_add_f32_e32 v1, 0, v1
	v_fma_f32 v3, v140, v12, -v3
	v_fmac_f32_e32 v168, v143, v14
	s_wait_loadcnt_dscnt 0x302
	v_dual_mul_f32 v172, v150, v119 :: v_dual_mul_f32 v173, v152, v121
	v_dual_add_f32 v1, v1, v22 :: v_dual_add_f32 v2, v2, v4
	v_mul_f32_e32 v4, v145, v17
	s_wait_loadcnt_dscnt 0x100
	v_dual_mul_f32 v176, v158, v127 :: v_dual_mul_f32 v177, v160, v129
	s_delay_alu instid0(VALU_DEP_3) | instskip(NEXT) | instid1(VALU_DEP_3)
	v_dual_add_f32 v1, v1, v164 :: v_dual_add_f32 v2, v2, v3
	v_fma_f32 v4, v144, v16, -v4
	v_mul_f32_e32 v5, v143, v15
	v_dual_mul_f32 v174, v154, v123 :: v_dual_mul_f32 v175, v156, v125
	s_delay_alu instid0(VALU_DEP_4) | instskip(SKIP_1) | instid1(VALU_DEP_4)
	v_add_f32_e32 v1, v1, v165
	v_fmac_f32_e32 v177, v161, v128
	v_fma_f32 v5, v142, v14, -v5
	v_dual_fmac_f32 v167, v141, v12 :: v_dual_fmac_f32 v172, v151, v118
	s_delay_alu instid0(VALU_DEP_4) | instskip(NEXT) | instid1(VALU_DEP_3)
	v_add_f32_e32 v1, v1, v166
	v_dual_fmac_f32 v175, v157, v124 :: v_dual_add_f32 v2, v2, v5
	v_fmac_f32_e32 v174, v155, v122
	v_fmac_f32_e32 v176, v159, v126
	s_delay_alu instid0(VALU_DEP_3) | instskip(SKIP_2) | instid1(VALU_DEP_2)
	v_add_f32_e32 v2, v2, v4
	v_mul_f32_e32 v4, v151, v119
	v_add_f32_e32 v1, v1, v167
	v_fma_f32 v4, v150, v118, -v4
	v_mul_f32_e32 v5, v149, v21
	s_delay_alu instid0(VALU_DEP_3) | instskip(NEXT) | instid1(VALU_DEP_2)
	v_add_f32_e32 v1, v1, v168
	v_fma_f32 v5, v148, v20, -v5
	v_mul_f32_e32 v3, v147, v19
	s_delay_alu instid0(VALU_DEP_1) | instskip(NEXT) | instid1(VALU_DEP_1)
	v_fma_f32 v3, v146, v18, -v3
	v_dual_fmac_f32 v169, v145, v16 :: v_dual_add_f32 v2, v2, v3
	v_mul_f32_e32 v3, v153, v121
	s_delay_alu instid0(VALU_DEP_2) | instskip(NEXT) | instid1(VALU_DEP_2)
	v_dual_add_f32 v2, v2, v5 :: v_dual_mul_f32 v5, v155, v123
	v_fma_f32 v3, v152, v120, -v3
	s_delay_alu instid0(VALU_DEP_2) | instskip(SKIP_1) | instid1(VALU_DEP_4)
	v_dual_add_f32 v2, v2, v4 :: v_dual_add_f32 v1, v1, v169
	v_mul_f32_e32 v4, v157, v125
	v_fma_f32 v5, v154, v122, -v5
	s_delay_alu instid0(VALU_DEP_3) | instskip(SKIP_1) | instid1(VALU_DEP_4)
	v_dual_add_f32 v2, v2, v3 :: v_dual_fmac_f32 v171, v149, v20
	v_mul_f32_e32 v3, v159, v127
	v_fma_f32 v4, v156, v124, -v4
	s_delay_alu instid0(VALU_DEP_3) | instskip(SKIP_1) | instid1(VALU_DEP_4)
	v_dual_add_f32 v2, v2, v5 :: v_dual_add_f32 v1, v1, v170
	v_mul_f32_e32 v5, v161, v129
	v_fma_f32 v3, v158, v126, -v3
	s_delay_alu instid0(VALU_DEP_3) | instskip(SKIP_1) | instid1(VALU_DEP_4)
	v_add_f32_e32 v2, v2, v4
	v_fmac_f32_e32 v173, v153, v120
	v_fma_f32 v4, v160, v128, -v5
	s_delay_alu instid0(VALU_DEP_3) | instskip(NEXT) | instid1(VALU_DEP_1)
	v_add_f32_e32 v2, v2, v3
	v_dual_add_f32 v1, v1, v171 :: v_dual_add_f32 v2, v2, v4
	s_delay_alu instid0(VALU_DEP_1) | instskip(NEXT) | instid1(VALU_DEP_1)
	v_add_f32_e32 v1, v1, v172
	v_add_f32_e32 v1, v1, v173
	s_delay_alu instid0(VALU_DEP_1) | instskip(NEXT) | instid1(VALU_DEP_1)
	v_add_f32_e32 v1, v1, v174
	v_add_f32_e32 v1, v1, v175
	;; [unrolled: 3-line block ×3, first 2 shown]
	s_wait_loadcnt 0x0
	s_delay_alu instid0(VALU_DEP_1)
	v_dual_sub_f32 v1, v162, v2 :: v_dual_sub_f32 v2, v163, v3
	scratch_store_b64 off, v[1:2], off offset:240
	v_cmpx_lt_u32_e32 29, v0
	s_cbranch_execz .LBB46_237
; %bb.236:
	scratch_load_b64 v[1:2], off, off offset:232
	v_mov_b32_e32 v3, 0
	s_delay_alu instid0(VALU_DEP_1)
	v_mov_b32_e32 v4, v3
	scratch_store_b64 off, v[3:4], off offset:232
	s_wait_loadcnt 0x0
	ds_store_b64 v23, v[1:2]
.LBB46_237:
	s_wait_alu 0xfffe
	s_or_b32 exec_lo, exec_lo, s0
	s_wait_storecnt_dscnt 0x0
	s_barrier_signal -1
	s_barrier_wait -1
	global_inv scope:SCOPE_SE
	s_clause 0x9
	scratch_load_b128 v[2:5], off, off offset:240
	scratch_load_b128 v[6:9], off, off offset:256
	;; [unrolled: 1-line block ×8, first 2 shown]
	scratch_load_b64 v[162:163], off, off offset:368
	scratch_load_b64 v[164:165], off, off offset:232
	v_mov_b32_e32 v1, 0
	ds_load_b128 v[130:133], v1 offset:624
	ds_load_b128 v[134:137], v1 offset:640
	;; [unrolled: 1-line block ×8, first 2 shown]
	ds_load_b64 v[166:167], v1 offset:752
	s_mov_b32 s0, exec_lo
	s_wait_loadcnt_dscnt 0x908
	v_mul_f32_e32 v22, v130, v3
	s_wait_loadcnt_dscnt 0x807
	v_dual_mul_f32 v168, v132, v5 :: v_dual_mul_f32 v169, v134, v7
	v_mul_f32_e32 v3, v131, v3
	s_delay_alu instid0(VALU_DEP_3)
	v_dual_mul_f32 v5, v133, v5 :: v_dual_fmac_f32 v22, v131, v2
	s_wait_loadcnt_dscnt 0x302
	v_mul_f32_e32 v180, v156, v125
	v_dual_mul_f32 v170, v136, v9 :: v_dual_mul_f32 v171, v138, v11
	s_wait_loadcnt_dscnt 0x100
	v_mul_f32_e32 v183, v166, v163
	v_fma_f32 v3, v130, v2, -v3
	v_mul_f32_e32 v2, v135, v7
	v_fmac_f32_e32 v168, v133, v4
	v_fma_f32 v4, v132, v4, -v5
	v_dual_add_f32 v5, 0, v22 :: v_dual_fmac_f32 v170, v137, v8
	v_add_f32_e32 v3, 0, v3
	v_fmac_f32_e32 v169, v135, v6
	v_fma_f32 v2, v134, v6, -v2
	v_dual_mul_f32 v172, v140, v13 :: v_dual_mul_f32 v173, v142, v15
	s_delay_alu instid0(VALU_DEP_4) | instskip(SKIP_2) | instid1(VALU_DEP_4)
	v_add_f32_e32 v3, v3, v4
	v_mul_f32_e32 v7, v137, v9
	v_dual_add_f32 v4, v5, v168 :: v_dual_fmac_f32 v171, v139, v10
	v_fmac_f32_e32 v172, v141, v12
	s_delay_alu instid0(VALU_DEP_4) | instskip(NEXT) | instid1(VALU_DEP_4)
	v_add_f32_e32 v2, v3, v2
	v_fma_f32 v6, v136, v8, -v7
	v_mul_f32_e32 v5, v139, v11
	v_add_f32_e32 v3, v4, v169
	v_mul_f32_e32 v4, v141, v13
	v_dual_mul_f32 v174, v144, v17 :: v_dual_mul_f32 v175, v146, v19
	v_add_f32_e32 v2, v2, v6
	v_fma_f32 v5, v138, v10, -v5
	v_mul_f32_e32 v6, v143, v15
	v_add_f32_e32 v3, v3, v170
	v_fma_f32 v4, v140, v12, -v4
	v_dual_fmac_f32 v173, v143, v14 :: v_dual_fmac_f32 v174, v145, v16
	s_delay_alu instid0(VALU_DEP_3) | instskip(SKIP_3) | instid1(VALU_DEP_4)
	v_dual_add_f32 v2, v2, v5 :: v_dual_add_f32 v3, v3, v171
	v_mul_f32_e32 v5, v145, v17
	v_fma_f32 v6, v142, v14, -v6
	v_dual_mul_f32 v176, v148, v21 :: v_dual_mul_f32 v177, v150, v119
	v_add_f32_e32 v2, v2, v4
	v_add_f32_e32 v3, v3, v172
	v_mul_f32_e32 v4, v147, v19
	v_fma_f32 v5, v144, v16, -v5
	v_fmac_f32_e32 v175, v147, v18
	s_delay_alu instid0(VALU_DEP_4) | instskip(SKIP_3) | instid1(VALU_DEP_4)
	v_dual_add_f32 v2, v2, v6 :: v_dual_add_f32 v3, v3, v173
	v_fmac_f32_e32 v176, v149, v20
	v_mul_f32_e32 v6, v149, v21
	v_fma_f32 v4, v146, v18, -v4
	v_dual_add_f32 v2, v2, v5 :: v_dual_add_f32 v3, v3, v174
	v_mul_f32_e32 v5, v151, v119
	s_delay_alu instid0(VALU_DEP_4) | instskip(SKIP_1) | instid1(VALU_DEP_4)
	v_fma_f32 v6, v148, v20, -v6
	v_dual_mul_f32 v178, v152, v121 :: v_dual_mul_f32 v179, v154, v123
	v_dual_add_f32 v2, v2, v4 :: v_dual_add_f32 v3, v3, v175
	v_dual_mul_f32 v4, v153, v121 :: v_dual_fmac_f32 v177, v151, v118
	s_delay_alu instid0(VALU_DEP_3) | instskip(SKIP_1) | instid1(VALU_DEP_4)
	v_fmac_f32_e32 v178, v153, v120
	v_fma_f32 v5, v150, v118, -v5
	v_dual_add_f32 v2, v2, v6 :: v_dual_add_f32 v3, v3, v176
	v_mul_f32_e32 v6, v155, v123
	v_fma_f32 v4, v152, v120, -v4
	s_delay_alu instid0(VALU_DEP_3) | instskip(NEXT) | instid1(VALU_DEP_4)
	v_dual_fmac_f32 v179, v155, v122 :: v_dual_add_f32 v2, v2, v5
	v_add_f32_e32 v3, v3, v177
	v_mul_f32_e32 v5, v157, v125
	v_fma_f32 v6, v154, v122, -v6
	v_dual_mul_f32 v181, v158, v127 :: v_dual_mul_f32 v182, v160, v129
	s_delay_alu instid0(VALU_DEP_4) | instskip(SKIP_3) | instid1(VALU_DEP_4)
	v_dual_add_f32 v2, v2, v4 :: v_dual_add_f32 v3, v3, v178
	v_fmac_f32_e32 v180, v157, v124
	v_mul_f32_e32 v4, v159, v127
	v_fma_f32 v5, v156, v124, -v5
	v_dual_add_f32 v2, v2, v6 :: v_dual_add_f32 v3, v3, v179
	v_dual_mul_f32 v6, v161, v129 :: v_dual_fmac_f32 v181, v159, v126
	s_delay_alu instid0(VALU_DEP_4) | instskip(NEXT) | instid1(VALU_DEP_3)
	v_fma_f32 v4, v158, v126, -v4
	v_dual_add_f32 v2, v2, v5 :: v_dual_add_f32 v3, v3, v180
	v_dual_mul_f32 v5, v167, v163 :: v_dual_fmac_f32 v182, v161, v128
	s_delay_alu instid0(VALU_DEP_4) | instskip(NEXT) | instid1(VALU_DEP_3)
	v_fma_f32 v6, v160, v128, -v6
	v_dual_add_f32 v2, v2, v4 :: v_dual_add_f32 v3, v3, v181
	s_delay_alu instid0(VALU_DEP_3) | instskip(NEXT) | instid1(VALU_DEP_2)
	v_fma_f32 v4, v166, v162, -v5
	v_add_f32_e32 v3, v3, v182
	s_delay_alu instid0(VALU_DEP_3) | instskip(NEXT) | instid1(VALU_DEP_1)
	v_add_f32_e32 v2, v2, v6
	v_dual_fmac_f32 v183, v167, v162 :: v_dual_add_f32 v2, v2, v4
	s_wait_loadcnt 0x0
	s_delay_alu instid0(VALU_DEP_1) | instskip(NEXT) | instid1(VALU_DEP_1)
	v_dual_add_f32 v3, v3, v183 :: v_dual_sub_f32 v2, v164, v2
	v_sub_f32_e32 v3, v165, v3
	scratch_store_b64 off, v[2:3], off offset:232
	v_cmpx_lt_u32_e32 28, v0
	s_cbranch_execz .LBB46_239
; %bb.238:
	scratch_load_b64 v[3:4], off, off offset:224
	v_mov_b32_e32 v2, v1
	scratch_store_b64 off, v[1:2], off offset:224
	s_wait_loadcnt 0x0
	ds_store_b64 v23, v[3:4]
.LBB46_239:
	s_wait_alu 0xfffe
	s_or_b32 exec_lo, exec_lo, s0
	s_wait_storecnt_dscnt 0x0
	s_barrier_signal -1
	s_barrier_wait -1
	global_inv scope:SCOPE_SE
	s_clause 0x9
	scratch_load_b128 v[2:5], off, off offset:232
	scratch_load_b128 v[6:9], off, off offset:248
	scratch_load_b128 v[10:13], off, off offset:264
	scratch_load_b128 v[14:17], off, off offset:280
	scratch_load_b128 v[18:21], off, off offset:296
	scratch_load_b128 v[118:121], off, off offset:312
	scratch_load_b128 v[122:125], off, off offset:328
	scratch_load_b128 v[126:129], off, off offset:344
	scratch_load_b128 v[130:133], off, off offset:360
	scratch_load_b64 v[170:171], off, off offset:224
	ds_load_2addr_b64 v[134:137], v1 offset0:77 offset1:78
	ds_load_2addr_b64 v[138:141], v1 offset0:79 offset1:80
	;; [unrolled: 1-line block ×9, first 2 shown]
	s_mov_b32 s0, exec_lo
	s_wait_loadcnt_dscnt 0x908
	v_dual_mul_f32 v1, v134, v3 :: v_dual_mul_f32 v22, v136, v5
	v_mul_f32_e32 v3, v135, v3
	s_wait_loadcnt_dscnt 0x807
	v_dual_mul_f32 v5, v137, v5 :: v_dual_mul_f32 v172, v138, v7
	s_delay_alu instid0(VALU_DEP_3) | instskip(NEXT) | instid1(VALU_DEP_3)
	v_dual_mul_f32 v173, v140, v9 :: v_dual_fmac_f32 v22, v137, v4
	v_fma_f32 v3, v134, v2, -v3
	v_fmac_f32_e32 v1, v135, v2
	v_mul_f32_e32 v2, v139, v7
	v_fma_f32 v4, v136, v4, -v5
	s_delay_alu instid0(VALU_DEP_4)
	v_dual_fmac_f32 v172, v139, v6 :: v_dual_add_f32 v3, 0, v3
	s_wait_loadcnt_dscnt 0x504
	v_dual_mul_f32 v178, v150, v19 :: v_dual_mul_f32 v179, v152, v21
	v_fma_f32 v2, v138, v6, -v2
	v_dual_mul_f32 v174, v142, v11 :: v_dual_mul_f32 v175, v144, v13
	v_add_f32_e32 v3, v3, v4
	v_dual_mul_f32 v5, v141, v9 :: v_dual_mul_f32 v176, v146, v15
	v_dual_mul_f32 v177, v148, v17 :: v_dual_mul_f32 v4, v143, v11
	s_delay_alu instid0(VALU_DEP_3) | instskip(NEXT) | instid1(VALU_DEP_3)
	v_add_f32_e32 v2, v3, v2
	v_fma_f32 v5, v140, v8, -v5
	v_dual_mul_f32 v3, v145, v13 :: v_dual_fmac_f32 v178, v151, v18
	s_delay_alu instid0(VALU_DEP_4) | instskip(SKIP_1) | instid1(VALU_DEP_4)
	v_fma_f32 v4, v142, v10, -v4
	v_dual_fmac_f32 v173, v141, v8 :: v_dual_fmac_f32 v174, v143, v10
	v_add_f32_e32 v2, v2, v5
	v_add_f32_e32 v1, 0, v1
	v_fma_f32 v3, v144, v12, -v3
	v_fmac_f32_e32 v176, v147, v14
	s_wait_loadcnt_dscnt 0x403
	v_dual_mul_f32 v180, v154, v119 :: v_dual_mul_f32 v181, v156, v121
	v_dual_add_f32 v1, v1, v22 :: v_dual_add_f32 v2, v2, v4
	v_mul_f32_e32 v4, v149, v17
	s_wait_loadcnt_dscnt 0x201
	v_dual_mul_f32 v184, v162, v127 :: v_dual_mul_f32 v185, v164, v129
	s_delay_alu instid0(VALU_DEP_3) | instskip(NEXT) | instid1(VALU_DEP_3)
	v_dual_add_f32 v1, v1, v172 :: v_dual_add_f32 v2, v2, v3
	v_fma_f32 v4, v148, v16, -v4
	v_mul_f32_e32 v5, v147, v15
	v_dual_mul_f32 v182, v158, v123 :: v_dual_mul_f32 v183, v160, v125
	s_wait_loadcnt_dscnt 0x100
	v_dual_add_f32 v1, v1, v173 :: v_dual_mul_f32 v186, v166, v131
	v_mul_f32_e32 v187, v168, v133
	v_fma_f32 v5, v146, v14, -v5
	v_fmac_f32_e32 v175, v145, v12
	s_delay_alu instid0(VALU_DEP_4) | instskip(SKIP_1) | instid1(VALU_DEP_4)
	v_add_f32_e32 v1, v1, v174
	v_dual_fmac_f32 v180, v155, v118 :: v_dual_fmac_f32 v181, v157, v120
	v_add_f32_e32 v2, v2, v5
	v_dual_fmac_f32 v182, v159, v122 :: v_dual_fmac_f32 v185, v165, v128
	v_dual_fmac_f32 v187, v169, v132 :: v_dual_fmac_f32 v184, v163, v126
	s_delay_alu instid0(VALU_DEP_3) | instskip(SKIP_2) | instid1(VALU_DEP_2)
	v_add_f32_e32 v2, v2, v4
	v_mul_f32_e32 v4, v155, v119
	v_dual_add_f32 v1, v1, v175 :: v_dual_fmac_f32 v186, v167, v130
	v_fma_f32 v4, v154, v118, -v4
	v_mul_f32_e32 v5, v153, v21
	s_delay_alu instid0(VALU_DEP_3) | instskip(NEXT) | instid1(VALU_DEP_2)
	v_add_f32_e32 v1, v1, v176
	v_fma_f32 v5, v152, v20, -v5
	v_mul_f32_e32 v3, v151, v19
	s_delay_alu instid0(VALU_DEP_1) | instskip(NEXT) | instid1(VALU_DEP_1)
	v_fma_f32 v3, v150, v18, -v3
	v_dual_fmac_f32 v177, v149, v16 :: v_dual_add_f32 v2, v2, v3
	v_mul_f32_e32 v3, v157, v121
	s_delay_alu instid0(VALU_DEP_2) | instskip(NEXT) | instid1(VALU_DEP_2)
	v_dual_add_f32 v2, v2, v5 :: v_dual_mul_f32 v5, v159, v123
	v_fma_f32 v3, v156, v120, -v3
	s_delay_alu instid0(VALU_DEP_2) | instskip(SKIP_1) | instid1(VALU_DEP_4)
	v_dual_add_f32 v2, v2, v4 :: v_dual_add_f32 v1, v1, v177
	v_mul_f32_e32 v4, v161, v125
	v_fma_f32 v5, v158, v122, -v5
	s_delay_alu instid0(VALU_DEP_3) | instskip(NEXT) | instid1(VALU_DEP_3)
	v_dual_add_f32 v2, v2, v3 :: v_dual_fmac_f32 v179, v153, v20
	v_fma_f32 v4, v160, v124, -v4
	s_delay_alu instid0(VALU_DEP_2) | instskip(SKIP_1) | instid1(VALU_DEP_2)
	v_add_f32_e32 v2, v2, v5
	v_mul_f32_e32 v5, v165, v129
	v_dual_add_f32 v1, v1, v178 :: v_dual_add_f32 v2, v2, v4
	s_delay_alu instid0(VALU_DEP_2) | instskip(SKIP_1) | instid1(VALU_DEP_3)
	v_fma_f32 v5, v164, v128, -v5
	v_mul_f32_e32 v3, v163, v127
	v_add_f32_e32 v1, v1, v179
	v_mul_f32_e32 v4, v167, v131
	s_delay_alu instid0(VALU_DEP_3) | instskip(NEXT) | instid1(VALU_DEP_3)
	v_fma_f32 v3, v162, v126, -v3
	v_add_f32_e32 v1, v1, v180
	s_delay_alu instid0(VALU_DEP_3) | instskip(NEXT) | instid1(VALU_DEP_3)
	v_fma_f32 v4, v166, v130, -v4
	v_dual_add_f32 v2, v2, v3 :: v_dual_mul_f32 v3, v169, v133
	s_delay_alu instid0(VALU_DEP_1) | instskip(NEXT) | instid1(VALU_DEP_4)
	v_add_f32_e32 v2, v2, v5
	v_add_f32_e32 v1, v1, v181
	s_delay_alu instid0(VALU_DEP_3) | instskip(NEXT) | instid1(VALU_DEP_3)
	v_fma_f32 v3, v168, v132, -v3
	v_add_f32_e32 v2, v2, v4
	v_fmac_f32_e32 v183, v161, v124
	s_delay_alu instid0(VALU_DEP_2) | instskip(NEXT) | instid1(VALU_DEP_1)
	v_dual_add_f32 v1, v1, v182 :: v_dual_add_f32 v2, v2, v3
	v_add_f32_e32 v1, v1, v183
	s_delay_alu instid0(VALU_DEP_1) | instskip(NEXT) | instid1(VALU_DEP_1)
	v_add_f32_e32 v1, v1, v184
	v_add_f32_e32 v1, v1, v185
	s_delay_alu instid0(VALU_DEP_1) | instskip(NEXT) | instid1(VALU_DEP_1)
	v_add_f32_e32 v1, v1, v186
	v_add_f32_e32 v3, v1, v187
	s_wait_loadcnt 0x0
	s_delay_alu instid0(VALU_DEP_1)
	v_dual_sub_f32 v1, v170, v2 :: v_dual_sub_f32 v2, v171, v3
	scratch_store_b64 off, v[1:2], off offset:224
	v_cmpx_lt_u32_e32 27, v0
	s_cbranch_execz .LBB46_241
; %bb.240:
	scratch_load_b64 v[1:2], off, off offset:216
	v_mov_b32_e32 v3, 0
	s_delay_alu instid0(VALU_DEP_1)
	v_mov_b32_e32 v4, v3
	scratch_store_b64 off, v[3:4], off offset:216
	s_wait_loadcnt 0x0
	ds_store_b64 v23, v[1:2]
.LBB46_241:
	s_wait_alu 0xfffe
	s_or_b32 exec_lo, exec_lo, s0
	s_wait_storecnt_dscnt 0x0
	s_barrier_signal -1
	s_barrier_wait -1
	global_inv scope:SCOPE_SE
	s_clause 0xa
	scratch_load_b128 v[2:5], off, off offset:224
	scratch_load_b128 v[6:9], off, off offset:240
	scratch_load_b128 v[10:13], off, off offset:256
	scratch_load_b128 v[14:17], off, off offset:272
	scratch_load_b128 v[18:21], off, off offset:288
	scratch_load_b128 v[118:121], off, off offset:304
	scratch_load_b128 v[122:125], off, off offset:320
	scratch_load_b128 v[126:129], off, off offset:336
	scratch_load_b128 v[130:133], off, off offset:352
	scratch_load_b64 v[170:171], off, off offset:368
	scratch_load_b64 v[172:173], off, off offset:216
	v_mov_b32_e32 v1, 0
	ds_load_b128 v[134:137], v1 offset:608
	ds_load_b128 v[138:141], v1 offset:624
	;; [unrolled: 1-line block ×9, first 2 shown]
	ds_load_b64 v[174:175], v1 offset:752
	s_mov_b32 s0, exec_lo
	s_wait_loadcnt_dscnt 0xa09
	v_mul_f32_e32 v22, v134, v3
	s_wait_loadcnt_dscnt 0x908
	v_dual_mul_f32 v176, v136, v5 :: v_dual_mul_f32 v177, v138, v7
	v_mul_f32_e32 v3, v135, v3
	s_delay_alu instid0(VALU_DEP_3)
	v_dual_mul_f32 v5, v137, v5 :: v_dual_fmac_f32 v22, v135, v2
	s_wait_loadcnt_dscnt 0x807
	v_dual_mul_f32 v178, v140, v9 :: v_dual_mul_f32 v179, v142, v11
	s_wait_loadcnt_dscnt 0x100
	v_dual_mul_f32 v190, v164, v129 :: v_dual_mul_f32 v193, v174, v171
	v_fma_f32 v3, v134, v2, -v3
	v_mul_f32_e32 v2, v139, v7
	v_fmac_f32_e32 v176, v137, v4
	v_fma_f32 v4, v136, v4, -v5
	v_dual_add_f32 v5, 0, v22 :: v_dual_fmac_f32 v178, v141, v8
	v_add_f32_e32 v3, 0, v3
	v_fmac_f32_e32 v177, v139, v6
	v_fma_f32 v2, v138, v6, -v2
	v_dual_mul_f32 v180, v144, v13 :: v_dual_mul_f32 v181, v146, v15
	s_delay_alu instid0(VALU_DEP_4) | instskip(SKIP_2) | instid1(VALU_DEP_4)
	v_add_f32_e32 v3, v3, v4
	v_mul_f32_e32 v7, v141, v9
	v_dual_add_f32 v4, v5, v176 :: v_dual_fmac_f32 v179, v143, v10
	v_fmac_f32_e32 v180, v145, v12
	s_delay_alu instid0(VALU_DEP_4) | instskip(NEXT) | instid1(VALU_DEP_4)
	v_add_f32_e32 v2, v3, v2
	v_fma_f32 v6, v140, v8, -v7
	v_mul_f32_e32 v5, v143, v11
	v_add_f32_e32 v3, v4, v177
	v_mul_f32_e32 v4, v145, v13
	v_dual_mul_f32 v182, v148, v17 :: v_dual_mul_f32 v183, v150, v19
	v_add_f32_e32 v2, v2, v6
	v_fma_f32 v5, v142, v10, -v5
	v_mul_f32_e32 v6, v147, v15
	v_add_f32_e32 v3, v3, v178
	v_fma_f32 v4, v144, v12, -v4
	v_dual_fmac_f32 v181, v147, v14 :: v_dual_fmac_f32 v182, v149, v16
	s_delay_alu instid0(VALU_DEP_3) | instskip(SKIP_3) | instid1(VALU_DEP_4)
	v_dual_add_f32 v2, v2, v5 :: v_dual_add_f32 v3, v3, v179
	v_mul_f32_e32 v5, v149, v17
	v_fma_f32 v6, v146, v14, -v6
	v_dual_mul_f32 v184, v152, v21 :: v_dual_mul_f32 v185, v154, v119
	v_add_f32_e32 v2, v2, v4
	v_add_f32_e32 v3, v3, v180
	v_mul_f32_e32 v4, v151, v19
	v_fma_f32 v5, v148, v16, -v5
	v_fmac_f32_e32 v183, v151, v18
	s_delay_alu instid0(VALU_DEP_4) | instskip(SKIP_3) | instid1(VALU_DEP_4)
	v_dual_add_f32 v2, v2, v6 :: v_dual_add_f32 v3, v3, v181
	v_fmac_f32_e32 v184, v153, v20
	v_mul_f32_e32 v6, v153, v21
	v_fma_f32 v4, v150, v18, -v4
	v_dual_add_f32 v2, v2, v5 :: v_dual_add_f32 v3, v3, v182
	v_mul_f32_e32 v5, v155, v119
	s_delay_alu instid0(VALU_DEP_4) | instskip(SKIP_1) | instid1(VALU_DEP_4)
	v_fma_f32 v6, v152, v20, -v6
	v_dual_mul_f32 v186, v156, v121 :: v_dual_mul_f32 v187, v158, v123
	v_dual_add_f32 v2, v2, v4 :: v_dual_add_f32 v3, v3, v183
	v_dual_mul_f32 v4, v157, v121 :: v_dual_fmac_f32 v185, v155, v118
	s_delay_alu instid0(VALU_DEP_3) | instskip(SKIP_1) | instid1(VALU_DEP_4)
	v_fmac_f32_e32 v186, v157, v120
	v_fma_f32 v5, v154, v118, -v5
	v_dual_add_f32 v2, v2, v6 :: v_dual_add_f32 v3, v3, v184
	v_mul_f32_e32 v6, v159, v123
	v_fma_f32 v4, v156, v120, -v4
	s_delay_alu instid0(VALU_DEP_3) | instskip(NEXT) | instid1(VALU_DEP_4)
	v_dual_fmac_f32 v187, v159, v122 :: v_dual_add_f32 v2, v2, v5
	v_add_f32_e32 v3, v3, v185
	v_dual_mul_f32 v188, v160, v125 :: v_dual_mul_f32 v189, v162, v127
	v_mul_f32_e32 v5, v161, v125
	v_fma_f32 v6, v158, v122, -v6
	s_delay_alu instid0(VALU_DEP_4) | instskip(NEXT) | instid1(VALU_DEP_4)
	v_dual_add_f32 v2, v2, v4 :: v_dual_add_f32 v3, v3, v186
	v_fmac_f32_e32 v188, v161, v124
	v_mul_f32_e32 v4, v163, v127
	v_fma_f32 v5, v160, v124, -v5
	s_delay_alu instid0(VALU_DEP_4) | instskip(SKIP_1) | instid1(VALU_DEP_4)
	v_dual_add_f32 v2, v2, v6 :: v_dual_add_f32 v3, v3, v187
	v_dual_mul_f32 v6, v165, v129 :: v_dual_fmac_f32 v189, v163, v126
	v_fma_f32 v4, v162, v126, -v4
	s_delay_alu instid0(VALU_DEP_3) | instskip(SKIP_3) | instid1(VALU_DEP_4)
	v_dual_add_f32 v2, v2, v5 :: v_dual_add_f32 v3, v3, v188
	v_dual_mul_f32 v191, v166, v131 :: v_dual_mul_f32 v192, v168, v133
	v_dual_mul_f32 v5, v167, v131 :: v_dual_fmac_f32 v190, v165, v128
	v_fma_f32 v6, v164, v128, -v6
	v_dual_add_f32 v2, v2, v4 :: v_dual_add_f32 v3, v3, v189
	s_delay_alu instid0(VALU_DEP_4) | instskip(NEXT) | instid1(VALU_DEP_4)
	v_dual_mul_f32 v4, v169, v133 :: v_dual_fmac_f32 v191, v167, v130
	v_fma_f32 v5, v166, v130, -v5
	s_delay_alu instid0(VALU_DEP_3) | instskip(NEXT) | instid1(VALU_DEP_4)
	v_dual_fmac_f32 v192, v169, v132 :: v_dual_add_f32 v3, v3, v190
	v_add_f32_e32 v2, v2, v6
	v_mul_f32_e32 v6, v175, v171
	v_fma_f32 v4, v168, v132, -v4
	v_fmac_f32_e32 v193, v175, v170
	s_delay_alu instid0(VALU_DEP_4) | instskip(NEXT) | instid1(VALU_DEP_4)
	v_dual_add_f32 v3, v3, v191 :: v_dual_add_f32 v2, v2, v5
	v_fma_f32 v5, v174, v170, -v6
	s_delay_alu instid0(VALU_DEP_2) | instskip(NEXT) | instid1(VALU_DEP_1)
	v_add_f32_e32 v3, v3, v192
	v_dual_add_f32 v2, v2, v4 :: v_dual_add_f32 v3, v3, v193
	s_wait_loadcnt 0x0
	s_delay_alu instid0(VALU_DEP_1) | instskip(NEXT) | instid1(VALU_DEP_1)
	v_dual_add_f32 v2, v2, v5 :: v_dual_sub_f32 v3, v173, v3
	v_sub_f32_e32 v2, v172, v2
	scratch_store_b64 off, v[2:3], off offset:216
	v_cmpx_lt_u32_e32 26, v0
	s_cbranch_execz .LBB46_243
; %bb.242:
	scratch_load_b64 v[3:4], off, off offset:208
	v_mov_b32_e32 v2, v1
	scratch_store_b64 off, v[1:2], off offset:208
	s_wait_loadcnt 0x0
	ds_store_b64 v23, v[3:4]
.LBB46_243:
	s_wait_alu 0xfffe
	s_or_b32 exec_lo, exec_lo, s0
	s_wait_storecnt_dscnt 0x0
	s_barrier_signal -1
	s_barrier_wait -1
	global_inv scope:SCOPE_SE
	s_clause 0xa
	scratch_load_b128 v[2:5], off, off offset:216
	scratch_load_b128 v[6:9], off, off offset:232
	;; [unrolled: 1-line block ×10, first 2 shown]
	scratch_load_b64 v[178:179], off, off offset:208
	ds_load_2addr_b64 v[138:141], v1 offset0:75 offset1:76
	ds_load_2addr_b64 v[142:145], v1 offset0:77 offset1:78
	;; [unrolled: 1-line block ×10, first 2 shown]
	s_mov_b32 s0, exec_lo
	s_wait_loadcnt_dscnt 0xa09
	v_dual_mul_f32 v1, v138, v3 :: v_dual_mul_f32 v22, v140, v5
	v_mul_f32_e32 v3, v139, v3
	s_wait_loadcnt_dscnt 0x908
	v_dual_mul_f32 v5, v141, v5 :: v_dual_mul_f32 v180, v142, v7
	s_delay_alu instid0(VALU_DEP_3) | instskip(NEXT) | instid1(VALU_DEP_3)
	v_dual_mul_f32 v181, v144, v9 :: v_dual_fmac_f32 v22, v141, v4
	v_fma_f32 v3, v138, v2, -v3
	v_fmac_f32_e32 v1, v139, v2
	v_mul_f32_e32 v2, v143, v7
	v_fma_f32 v4, v140, v4, -v5
	s_delay_alu instid0(VALU_DEP_4)
	v_dual_fmac_f32 v180, v143, v6 :: v_dual_add_f32 v3, 0, v3
	s_wait_loadcnt_dscnt 0x605
	v_dual_mul_f32 v186, v154, v19 :: v_dual_mul_f32 v187, v156, v21
	v_fma_f32 v2, v142, v6, -v2
	v_dual_mul_f32 v182, v146, v11 :: v_dual_mul_f32 v183, v148, v13
	v_add_f32_e32 v3, v3, v4
	v_dual_mul_f32 v5, v145, v9 :: v_dual_mul_f32 v184, v150, v15
	v_dual_mul_f32 v185, v152, v17 :: v_dual_mul_f32 v4, v147, v11
	s_delay_alu instid0(VALU_DEP_3) | instskip(NEXT) | instid1(VALU_DEP_3)
	v_add_f32_e32 v2, v3, v2
	v_fma_f32 v5, v144, v8, -v5
	v_dual_mul_f32 v3, v149, v13 :: v_dual_fmac_f32 v186, v155, v18
	s_delay_alu instid0(VALU_DEP_4) | instskip(SKIP_1) | instid1(VALU_DEP_4)
	v_fma_f32 v4, v146, v10, -v4
	v_dual_fmac_f32 v181, v145, v8 :: v_dual_fmac_f32 v182, v147, v10
	v_add_f32_e32 v2, v2, v5
	v_add_f32_e32 v1, 0, v1
	v_fma_f32 v3, v148, v12, -v3
	v_fmac_f32_e32 v184, v151, v14
	s_wait_loadcnt_dscnt 0x504
	v_dual_mul_f32 v188, v158, v119 :: v_dual_mul_f32 v189, v160, v121
	v_dual_add_f32 v1, v1, v22 :: v_dual_add_f32 v2, v2, v4
	v_mul_f32_e32 v4, v153, v17
	s_wait_loadcnt_dscnt 0x302
	v_dual_mul_f32 v192, v166, v127 :: v_dual_mul_f32 v193, v168, v129
	s_delay_alu instid0(VALU_DEP_3) | instskip(NEXT) | instid1(VALU_DEP_3)
	v_dual_add_f32 v1, v1, v180 :: v_dual_add_f32 v2, v2, v3
	v_fma_f32 v4, v152, v16, -v4
	v_mul_f32_e32 v5, v151, v15
	v_dual_mul_f32 v190, v162, v123 :: v_dual_mul_f32 v191, v164, v125
	s_wait_loadcnt_dscnt 0x201
	v_dual_add_f32 v1, v1, v181 :: v_dual_mul_f32 v194, v170, v131
	v_mul_f32_e32 v195, v172, v133
	v_fma_f32 v5, v150, v14, -v5
	v_fmac_f32_e32 v183, v149, v12
	s_delay_alu instid0(VALU_DEP_4) | instskip(SKIP_1) | instid1(VALU_DEP_4)
	v_add_f32_e32 v1, v1, v182
	v_dual_fmac_f32 v188, v159, v118 :: v_dual_fmac_f32 v189, v161, v120
	v_add_f32_e32 v2, v2, v5
	v_fmac_f32_e32 v190, v163, v122
	s_wait_loadcnt_dscnt 0x100
	v_dual_mul_f32 v196, v174, v135 :: v_dual_mul_f32 v197, v176, v137
	v_fmac_f32_e32 v191, v165, v124
	v_add_f32_e32 v2, v2, v4
	v_mul_f32_e32 v4, v159, v119
	s_delay_alu instid0(VALU_DEP_4) | instskip(SKIP_2) | instid1(VALU_DEP_4)
	v_dual_add_f32 v1, v1, v183 :: v_dual_fmac_f32 v196, v175, v134
	v_fmac_f32_e32 v193, v169, v128
	v_fmac_f32_e32 v195, v173, v132
	v_fma_f32 v4, v158, v118, -v4
	v_mul_f32_e32 v5, v157, v21
	v_add_f32_e32 v1, v1, v184
	v_dual_fmac_f32 v197, v177, v136 :: v_dual_fmac_f32 v192, v167, v126
	v_fmac_f32_e32 v194, v171, v130
	s_delay_alu instid0(VALU_DEP_4) | instskip(SKIP_1) | instid1(VALU_DEP_1)
	v_fma_f32 v5, v156, v20, -v5
	v_mul_f32_e32 v3, v155, v19
	v_fma_f32 v3, v154, v18, -v3
	s_delay_alu instid0(VALU_DEP_1) | instskip(SKIP_1) | instid1(VALU_DEP_2)
	v_dual_fmac_f32 v185, v153, v16 :: v_dual_add_f32 v2, v2, v3
	v_mul_f32_e32 v3, v161, v121
	v_dual_add_f32 v2, v2, v5 :: v_dual_mul_f32 v5, v163, v123
	s_delay_alu instid0(VALU_DEP_2) | instskip(NEXT) | instid1(VALU_DEP_2)
	v_fma_f32 v3, v160, v120, -v3
	v_dual_add_f32 v2, v2, v4 :: v_dual_add_f32 v1, v1, v185
	v_mul_f32_e32 v4, v165, v125
	s_delay_alu instid0(VALU_DEP_4) | instskip(NEXT) | instid1(VALU_DEP_3)
	v_fma_f32 v5, v162, v122, -v5
	v_dual_add_f32 v2, v2, v3 :: v_dual_fmac_f32 v187, v157, v20
	s_delay_alu instid0(VALU_DEP_3) | instskip(NEXT) | instid1(VALU_DEP_2)
	v_fma_f32 v4, v164, v124, -v4
	v_add_f32_e32 v2, v2, v5
	v_mul_f32_e32 v5, v169, v129
	s_delay_alu instid0(VALU_DEP_2) | instskip(NEXT) | instid1(VALU_DEP_2)
	v_dual_add_f32 v1, v1, v186 :: v_dual_add_f32 v2, v2, v4
	v_fma_f32 v5, v168, v128, -v5
	v_mul_f32_e32 v3, v167, v127
	s_delay_alu instid0(VALU_DEP_3) | instskip(SKIP_1) | instid1(VALU_DEP_3)
	v_add_f32_e32 v1, v1, v187
	v_mul_f32_e32 v4, v171, v131
	v_fma_f32 v3, v166, v126, -v3
	s_delay_alu instid0(VALU_DEP_3) | instskip(NEXT) | instid1(VALU_DEP_3)
	v_add_f32_e32 v1, v1, v188
	v_fma_f32 v4, v170, v130, -v4
	s_delay_alu instid0(VALU_DEP_3) | instskip(NEXT) | instid1(VALU_DEP_1)
	v_dual_add_f32 v2, v2, v3 :: v_dual_mul_f32 v3, v173, v133
	v_add_f32_e32 v2, v2, v5
	s_delay_alu instid0(VALU_DEP_4) | instskip(SKIP_1) | instid1(VALU_DEP_4)
	v_add_f32_e32 v1, v1, v189
	v_mul_f32_e32 v5, v175, v135
	v_fma_f32 v3, v172, v132, -v3
	s_delay_alu instid0(VALU_DEP_3) | instskip(SKIP_1) | instid1(VALU_DEP_4)
	v_dual_add_f32 v2, v2, v4 :: v_dual_add_f32 v1, v1, v190
	v_mul_f32_e32 v4, v177, v137
	v_fma_f32 v5, v174, v134, -v5
	s_delay_alu instid0(VALU_DEP_3) | instskip(NEXT) | instid1(VALU_DEP_4)
	v_add_f32_e32 v2, v2, v3
	v_add_f32_e32 v1, v1, v191
	s_delay_alu instid0(VALU_DEP_4) | instskip(NEXT) | instid1(VALU_DEP_2)
	v_fma_f32 v3, v176, v136, -v4
	v_dual_add_f32 v2, v2, v5 :: v_dual_add_f32 v1, v1, v192
	s_delay_alu instid0(VALU_DEP_1) | instskip(NEXT) | instid1(VALU_DEP_1)
	v_dual_add_f32 v2, v2, v3 :: v_dual_add_f32 v1, v1, v193
	v_add_f32_e32 v1, v1, v194
	s_delay_alu instid0(VALU_DEP_1) | instskip(NEXT) | instid1(VALU_DEP_1)
	v_add_f32_e32 v1, v1, v195
	v_add_f32_e32 v1, v1, v196
	s_delay_alu instid0(VALU_DEP_1) | instskip(SKIP_1) | instid1(VALU_DEP_1)
	v_add_f32_e32 v3, v1, v197
	s_wait_loadcnt 0x0
	v_dual_sub_f32 v1, v178, v2 :: v_dual_sub_f32 v2, v179, v3
	scratch_store_b64 off, v[1:2], off offset:208
	v_cmpx_lt_u32_e32 25, v0
	s_cbranch_execz .LBB46_245
; %bb.244:
	scratch_load_b64 v[1:2], off, off offset:200
	v_mov_b32_e32 v3, 0
	s_delay_alu instid0(VALU_DEP_1)
	v_mov_b32_e32 v4, v3
	scratch_store_b64 off, v[3:4], off offset:200
	s_wait_loadcnt 0x0
	ds_store_b64 v23, v[1:2]
.LBB46_245:
	s_wait_alu 0xfffe
	s_or_b32 exec_lo, exec_lo, s0
	s_wait_storecnt_dscnt 0x0
	s_barrier_signal -1
	s_barrier_wait -1
	global_inv scope:SCOPE_SE
	s_clause 0xb
	scratch_load_b128 v[2:5], off, off offset:208
	scratch_load_b128 v[6:9], off, off offset:224
	;; [unrolled: 1-line block ×10, first 2 shown]
	scratch_load_b64 v[178:179], off, off offset:368
	scratch_load_b64 v[180:181], off, off offset:200
	v_mov_b32_e32 v1, 0
	ds_load_b128 v[138:141], v1 offset:592
	ds_load_b128 v[142:145], v1 offset:608
	;; [unrolled: 1-line block ×10, first 2 shown]
	ds_load_b64 v[182:183], v1 offset:752
	s_mov_b32 s0, exec_lo
	s_wait_loadcnt_dscnt 0xb0a
	v_mul_f32_e32 v22, v138, v3
	s_wait_loadcnt_dscnt 0xa09
	v_dual_mul_f32 v184, v140, v5 :: v_dual_mul_f32 v185, v142, v7
	v_mul_f32_e32 v5, v141, v5
	v_dual_mul_f32 v3, v139, v3 :: v_dual_mul_f32 v186, v144, v9
	s_wait_loadcnt_dscnt 0x908
	v_dual_mul_f32 v187, v146, v11 :: v_dual_fmac_f32 v22, v139, v2
	s_wait_loadcnt_dscnt 0x302
	v_mul_f32_e32 v200, v172, v133
	v_fma_f32 v3, v138, v2, -v3
	s_wait_loadcnt_dscnt 0x100
	v_mul_f32_e32 v203, v182, v179
	v_mul_f32_e32 v2, v143, v7
	v_fmac_f32_e32 v184, v141, v4
	v_fma_f32 v4, v140, v4, -v5
	v_add_f32_e32 v3, 0, v3
	v_dual_add_f32 v5, 0, v22 :: v_dual_fmac_f32 v186, v145, v8
	v_fmac_f32_e32 v185, v143, v6
	v_fma_f32 v2, v142, v6, -v2
	s_delay_alu instid0(VALU_DEP_4) | instskip(SKIP_3) | instid1(VALU_DEP_4)
	v_add_f32_e32 v3, v3, v4
	v_mul_f32_e32 v7, v145, v9
	v_add_f32_e32 v4, v5, v184
	v_dual_mul_f32 v188, v148, v13 :: v_dual_mul_f32 v189, v150, v15
	v_add_f32_e32 v2, v3, v2
	s_delay_alu instid0(VALU_DEP_4)
	v_fma_f32 v6, v144, v8, -v7
	v_mul_f32_e32 v5, v147, v11
	v_add_f32_e32 v3, v4, v185
	v_dual_mul_f32 v4, v149, v13 :: v_dual_fmac_f32 v187, v147, v10
	v_fmac_f32_e32 v188, v149, v12
	v_add_f32_e32 v2, v2, v6
	v_fma_f32 v5, v146, v10, -v5
	v_mul_f32_e32 v6, v151, v15
	v_add_f32_e32 v3, v3, v186
	v_fma_f32 v4, v148, v12, -v4
	v_dual_mul_f32 v190, v152, v17 :: v_dual_mul_f32 v191, v154, v19
	s_delay_alu instid0(VALU_DEP_3) | instskip(SKIP_1) | instid1(VALU_DEP_3)
	v_dual_add_f32 v2, v2, v5 :: v_dual_add_f32 v3, v3, v187
	v_mul_f32_e32 v5, v153, v17
	v_dual_fmac_f32 v189, v151, v14 :: v_dual_fmac_f32 v190, v153, v16
	v_fma_f32 v6, v150, v14, -v6
	s_delay_alu instid0(VALU_DEP_4) | instskip(SKIP_4) | instid1(VALU_DEP_4)
	v_add_f32_e32 v2, v2, v4
	v_dual_add_f32 v3, v3, v188 :: v_dual_mul_f32 v192, v156, v21
	v_mul_f32_e32 v193, v158, v119
	v_mul_f32_e32 v4, v155, v19
	v_fma_f32 v5, v152, v16, -v5
	v_dual_add_f32 v2, v2, v6 :: v_dual_add_f32 v3, v3, v189
	v_fmac_f32_e32 v192, v157, v20
	v_dual_mul_f32 v6, v157, v21 :: v_dual_fmac_f32 v191, v155, v18
	v_fma_f32 v4, v154, v18, -v4
	s_delay_alu instid0(VALU_DEP_4) | instskip(SKIP_1) | instid1(VALU_DEP_4)
	v_dual_add_f32 v2, v2, v5 :: v_dual_add_f32 v3, v3, v190
	v_mul_f32_e32 v5, v159, v119
	v_fma_f32 v6, v156, v20, -v6
	v_dual_mul_f32 v194, v160, v121 :: v_dual_mul_f32 v195, v162, v123
	s_delay_alu instid0(VALU_DEP_4) | instskip(SKIP_1) | instid1(VALU_DEP_3)
	v_dual_add_f32 v2, v2, v4 :: v_dual_add_f32 v3, v3, v191
	v_dual_mul_f32 v4, v161, v121 :: v_dual_fmac_f32 v193, v159, v118
	v_fmac_f32_e32 v194, v161, v120
	v_fma_f32 v5, v158, v118, -v5
	s_delay_alu instid0(VALU_DEP_4) | instskip(SKIP_2) | instid1(VALU_DEP_3)
	v_dual_add_f32 v2, v2, v6 :: v_dual_add_f32 v3, v3, v192
	v_mul_f32_e32 v6, v163, v123
	v_fma_f32 v4, v160, v120, -v4
	v_dual_fmac_f32 v195, v163, v122 :: v_dual_add_f32 v2, v2, v5
	s_delay_alu instid0(VALU_DEP_4) | instskip(SKIP_3) | instid1(VALU_DEP_4)
	v_add_f32_e32 v3, v3, v193
	v_dual_mul_f32 v196, v164, v125 :: v_dual_mul_f32 v197, v166, v127
	v_mul_f32_e32 v5, v165, v125
	v_fma_f32 v6, v162, v122, -v6
	v_dual_add_f32 v2, v2, v4 :: v_dual_add_f32 v3, v3, v194
	s_delay_alu instid0(VALU_DEP_4) | instskip(SKIP_2) | instid1(VALU_DEP_4)
	v_fmac_f32_e32 v196, v165, v124
	v_mul_f32_e32 v4, v167, v127
	v_fma_f32 v5, v164, v124, -v5
	v_dual_add_f32 v2, v2, v6 :: v_dual_add_f32 v3, v3, v195
	v_dual_mul_f32 v198, v168, v129 :: v_dual_mul_f32 v199, v170, v131
	v_dual_mul_f32 v6, v169, v129 :: v_dual_fmac_f32 v197, v167, v126
	v_fma_f32 v4, v166, v126, -v4
	s_delay_alu instid0(VALU_DEP_4) | instskip(NEXT) | instid1(VALU_DEP_4)
	v_dual_add_f32 v2, v2, v5 :: v_dual_add_f32 v3, v3, v196
	v_dual_mul_f32 v5, v171, v131 :: v_dual_fmac_f32 v198, v169, v128
	s_delay_alu instid0(VALU_DEP_4) | instskip(NEXT) | instid1(VALU_DEP_3)
	v_fma_f32 v6, v168, v128, -v6
	v_dual_add_f32 v2, v2, v4 :: v_dual_add_f32 v3, v3, v197
	v_dual_mul_f32 v4, v173, v133 :: v_dual_fmac_f32 v199, v171, v130
	s_delay_alu instid0(VALU_DEP_4) | instskip(NEXT) | instid1(VALU_DEP_3)
	v_fma_f32 v5, v170, v130, -v5
	v_dual_fmac_f32 v200, v173, v132 :: v_dual_add_f32 v3, v3, v198
	s_delay_alu instid0(VALU_DEP_4) | instskip(SKIP_3) | instid1(VALU_DEP_4)
	v_add_f32_e32 v2, v2, v6
	v_dual_mul_f32 v201, v174, v135 :: v_dual_mul_f32 v202, v176, v137
	v_mul_f32_e32 v6, v175, v135
	v_fma_f32 v4, v172, v132, -v4
	v_dual_add_f32 v3, v3, v199 :: v_dual_add_f32 v2, v2, v5
	s_delay_alu instid0(VALU_DEP_4) | instskip(SKIP_2) | instid1(VALU_DEP_4)
	v_fmac_f32_e32 v201, v175, v134
	v_mul_f32_e32 v5, v177, v137
	v_fma_f32 v6, v174, v134, -v6
	v_add_f32_e32 v3, v3, v200
	v_add_f32_e32 v2, v2, v4
	v_mul_f32_e32 v4, v183, v179
	v_dual_fmac_f32 v202, v177, v136 :: v_dual_fmac_f32 v203, v183, v178
	v_fma_f32 v5, v176, v136, -v5
	s_delay_alu instid0(VALU_DEP_4) | instskip(NEXT) | instid1(VALU_DEP_4)
	v_dual_add_f32 v3, v3, v201 :: v_dual_add_f32 v2, v2, v6
	v_fma_f32 v4, v182, v178, -v4
	s_delay_alu instid0(VALU_DEP_2) | instskip(NEXT) | instid1(VALU_DEP_1)
	v_dual_add_f32 v3, v3, v202 :: v_dual_add_f32 v2, v2, v5
	v_dual_add_f32 v3, v3, v203 :: v_dual_add_f32 v2, v2, v4
	s_wait_loadcnt 0x0
	s_delay_alu instid0(VALU_DEP_1)
	v_dual_sub_f32 v3, v181, v3 :: v_dual_sub_f32 v2, v180, v2
	scratch_store_b64 off, v[2:3], off offset:200
	v_cmpx_lt_u32_e32 24, v0
	s_cbranch_execz .LBB46_247
; %bb.246:
	scratch_load_b64 v[3:4], off, off offset:192
	v_mov_b32_e32 v2, v1
	scratch_store_b64 off, v[1:2], off offset:192
	s_wait_loadcnt 0x0
	ds_store_b64 v23, v[3:4]
.LBB46_247:
	s_wait_alu 0xfffe
	s_or_b32 exec_lo, exec_lo, s0
	s_wait_storecnt_dscnt 0x0
	s_barrier_signal -1
	s_barrier_wait -1
	global_inv scope:SCOPE_SE
	s_clause 0xb
	scratch_load_b128 v[2:5], off, off offset:200
	scratch_load_b128 v[6:9], off, off offset:216
	;; [unrolled: 1-line block ×11, first 2 shown]
	scratch_load_b64 v[186:187], off, off offset:192
	ds_load_2addr_b64 v[142:145], v1 offset0:73 offset1:74
	ds_load_2addr_b64 v[146:149], v1 offset0:75 offset1:76
	;; [unrolled: 1-line block ×11, first 2 shown]
	s_mov_b32 s0, exec_lo
	s_wait_loadcnt_dscnt 0xb0a
	v_dual_mul_f32 v1, v142, v3 :: v_dual_mul_f32 v22, v144, v5
	v_mul_f32_e32 v3, v143, v3
	s_wait_loadcnt_dscnt 0xa09
	v_dual_mul_f32 v5, v145, v5 :: v_dual_mul_f32 v188, v146, v7
	s_delay_alu instid0(VALU_DEP_3) | instskip(NEXT) | instid1(VALU_DEP_3)
	v_dual_mul_f32 v189, v148, v9 :: v_dual_fmac_f32 v22, v145, v4
	v_fma_f32 v3, v142, v2, -v3
	v_fmac_f32_e32 v1, v143, v2
	v_mul_f32_e32 v2, v147, v7
	v_fma_f32 v4, v144, v4, -v5
	s_delay_alu instid0(VALU_DEP_4)
	v_dual_fmac_f32 v188, v147, v6 :: v_dual_add_f32 v3, 0, v3
	s_wait_loadcnt_dscnt 0x706
	v_dual_mul_f32 v194, v158, v19 :: v_dual_mul_f32 v195, v160, v21
	v_fma_f32 v2, v146, v6, -v2
	v_dual_mul_f32 v190, v150, v11 :: v_dual_mul_f32 v191, v152, v13
	v_add_f32_e32 v3, v3, v4
	v_dual_mul_f32 v5, v149, v9 :: v_dual_mul_f32 v192, v154, v15
	v_dual_mul_f32 v193, v156, v17 :: v_dual_mul_f32 v4, v151, v11
	s_delay_alu instid0(VALU_DEP_3) | instskip(NEXT) | instid1(VALU_DEP_3)
	v_add_f32_e32 v2, v3, v2
	v_fma_f32 v5, v148, v8, -v5
	v_dual_mul_f32 v3, v153, v13 :: v_dual_fmac_f32 v194, v159, v18
	s_delay_alu instid0(VALU_DEP_4) | instskip(SKIP_1) | instid1(VALU_DEP_4)
	v_fma_f32 v4, v150, v10, -v4
	v_dual_fmac_f32 v189, v149, v8 :: v_dual_fmac_f32 v190, v151, v10
	v_add_f32_e32 v2, v2, v5
	v_add_f32_e32 v1, 0, v1
	v_fma_f32 v3, v152, v12, -v3
	v_fmac_f32_e32 v192, v155, v14
	s_wait_loadcnt_dscnt 0x605
	v_dual_mul_f32 v196, v162, v119 :: v_dual_mul_f32 v197, v164, v121
	v_dual_add_f32 v1, v1, v22 :: v_dual_add_f32 v2, v2, v4
	v_mul_f32_e32 v4, v157, v17
	s_wait_loadcnt_dscnt 0x403
	v_dual_mul_f32 v200, v170, v127 :: v_dual_mul_f32 v201, v172, v129
	s_delay_alu instid0(VALU_DEP_3) | instskip(NEXT) | instid1(VALU_DEP_3)
	v_dual_add_f32 v1, v1, v188 :: v_dual_add_f32 v2, v2, v3
	v_fma_f32 v4, v156, v16, -v4
	v_mul_f32_e32 v5, v155, v15
	v_dual_mul_f32 v198, v166, v123 :: v_dual_mul_f32 v199, v168, v125
	s_wait_loadcnt_dscnt 0x100
	v_dual_add_f32 v1, v1, v189 :: v_dual_mul_f32 v206, v182, v139
	v_mul_f32_e32 v207, v184, v141
	v_fma_f32 v5, v154, v14, -v5
	v_fmac_f32_e32 v191, v153, v12
	s_delay_alu instid0(VALU_DEP_4)
	v_add_f32_e32 v1, v1, v190
	v_fmac_f32_e32 v196, v163, v118
	v_dual_mul_f32 v202, v174, v131 :: v_dual_mul_f32 v203, v176, v133
	v_add_f32_e32 v2, v2, v5
	v_dual_fmac_f32 v198, v167, v122 :: v_dual_fmac_f32 v197, v165, v120
	v_dual_mul_f32 v204, v178, v135 :: v_dual_mul_f32 v205, v180, v137
	s_delay_alu instid0(VALU_DEP_3) | instskip(SKIP_2) | instid1(VALU_DEP_4)
	v_add_f32_e32 v2, v2, v4
	v_mul_f32_e32 v4, v163, v119
	v_add_f32_e32 v1, v1, v191
	v_dual_fmac_f32 v199, v169, v124 :: v_dual_fmac_f32 v204, v179, v134
	v_fmac_f32_e32 v203, v177, v132
	s_delay_alu instid0(VALU_DEP_4) | instskip(SKIP_4) | instid1(VALU_DEP_4)
	v_fma_f32 v4, v162, v118, -v4
	v_mul_f32_e32 v5, v161, v21
	v_add_f32_e32 v1, v1, v192
	v_dual_fmac_f32 v205, v181, v136 :: v_dual_fmac_f32 v200, v171, v126
	v_fmac_f32_e32 v207, v185, v140
	v_fma_f32 v5, v160, v20, -v5
	v_mul_f32_e32 v3, v159, v19
	v_fmac_f32_e32 v206, v183, v138
	v_fmac_f32_e32 v202, v175, v130
	s_delay_alu instid0(VALU_DEP_3) | instskip(NEXT) | instid1(VALU_DEP_1)
	v_fma_f32 v3, v158, v18, -v3
	v_dual_fmac_f32 v193, v157, v16 :: v_dual_add_f32 v2, v2, v3
	v_mul_f32_e32 v3, v165, v121
	s_delay_alu instid0(VALU_DEP_2) | instskip(NEXT) | instid1(VALU_DEP_2)
	v_dual_add_f32 v2, v2, v5 :: v_dual_mul_f32 v5, v167, v123
	v_fma_f32 v3, v164, v120, -v3
	s_delay_alu instid0(VALU_DEP_2) | instskip(SKIP_1) | instid1(VALU_DEP_4)
	v_dual_add_f32 v2, v2, v4 :: v_dual_add_f32 v1, v1, v193
	v_mul_f32_e32 v4, v169, v125
	v_fma_f32 v5, v166, v122, -v5
	s_delay_alu instid0(VALU_DEP_3) | instskip(NEXT) | instid1(VALU_DEP_3)
	v_dual_add_f32 v2, v2, v3 :: v_dual_fmac_f32 v195, v161, v20
	v_fma_f32 v4, v168, v124, -v4
	s_delay_alu instid0(VALU_DEP_2) | instskip(SKIP_1) | instid1(VALU_DEP_2)
	v_add_f32_e32 v2, v2, v5
	v_mul_f32_e32 v5, v173, v129
	v_dual_add_f32 v1, v1, v194 :: v_dual_add_f32 v2, v2, v4
	s_delay_alu instid0(VALU_DEP_2) | instskip(SKIP_1) | instid1(VALU_DEP_3)
	v_fma_f32 v5, v172, v128, -v5
	v_mul_f32_e32 v3, v171, v127
	v_add_f32_e32 v1, v1, v195
	v_mul_f32_e32 v4, v175, v131
	s_delay_alu instid0(VALU_DEP_3) | instskip(NEXT) | instid1(VALU_DEP_3)
	v_fma_f32 v3, v170, v126, -v3
	v_add_f32_e32 v1, v1, v196
	s_delay_alu instid0(VALU_DEP_3) | instskip(NEXT) | instid1(VALU_DEP_3)
	v_fma_f32 v4, v174, v130, -v4
	v_add_f32_e32 v2, v2, v3
	s_delay_alu instid0(VALU_DEP_1) | instskip(NEXT) | instid1(VALU_DEP_4)
	v_add_f32_e32 v2, v2, v5
	v_add_f32_e32 v1, v1, v197
	s_delay_alu instid0(VALU_DEP_2) | instskip(SKIP_1) | instid1(VALU_DEP_2)
	v_dual_mul_f32 v5, v179, v135 :: v_dual_add_f32 v2, v2, v4
	v_mul_f32_e32 v4, v181, v137
	v_fma_f32 v5, v178, v134, -v5
	s_delay_alu instid0(VALU_DEP_2) | instskip(SKIP_1) | instid1(VALU_DEP_1)
	v_fma_f32 v4, v180, v136, -v4
	v_mul_f32_e32 v3, v177, v133
	v_fma_f32 v3, v176, v132, -v3
	s_delay_alu instid0(VALU_DEP_1) | instskip(NEXT) | instid1(VALU_DEP_1)
	v_dual_add_f32 v1, v1, v198 :: v_dual_add_f32 v2, v2, v3
	v_add_f32_e32 v1, v1, v199
	s_delay_alu instid0(VALU_DEP_2) | instskip(NEXT) | instid1(VALU_DEP_2)
	v_dual_mul_f32 v3, v183, v139 :: v_dual_add_f32 v2, v2, v5
	v_add_f32_e32 v1, v1, v200
	v_mul_f32_e32 v5, v185, v141
	s_delay_alu instid0(VALU_DEP_3) | instskip(NEXT) | instid1(VALU_DEP_4)
	v_fma_f32 v3, v182, v138, -v3
	v_add_f32_e32 v2, v2, v4
	v_fmac_f32_e32 v201, v173, v128
	s_delay_alu instid0(VALU_DEP_4) | instskip(NEXT) | instid1(VALU_DEP_2)
	v_fma_f32 v4, v184, v140, -v5
	v_dual_add_f32 v2, v2, v3 :: v_dual_add_f32 v1, v1, v201
	s_delay_alu instid0(VALU_DEP_1) | instskip(NEXT) | instid1(VALU_DEP_1)
	v_dual_add_f32 v2, v2, v4 :: v_dual_add_f32 v1, v1, v202
	v_add_f32_e32 v1, v1, v203
	s_delay_alu instid0(VALU_DEP_1) | instskip(NEXT) | instid1(VALU_DEP_1)
	v_add_f32_e32 v1, v1, v204
	v_add_f32_e32 v1, v1, v205
	s_delay_alu instid0(VALU_DEP_1) | instskip(NEXT) | instid1(VALU_DEP_1)
	v_add_f32_e32 v1, v1, v206
	v_add_f32_e32 v3, v1, v207
	s_wait_loadcnt 0x0
	s_delay_alu instid0(VALU_DEP_1)
	v_dual_sub_f32 v1, v186, v2 :: v_dual_sub_f32 v2, v187, v3
	scratch_store_b64 off, v[1:2], off offset:192
	v_cmpx_lt_u32_e32 23, v0
	s_cbranch_execz .LBB46_249
; %bb.248:
	scratch_load_b64 v[1:2], off, off offset:184
	v_mov_b32_e32 v3, 0
	s_delay_alu instid0(VALU_DEP_1)
	v_mov_b32_e32 v4, v3
	scratch_store_b64 off, v[3:4], off offset:184
	s_wait_loadcnt 0x0
	ds_store_b64 v23, v[1:2]
.LBB46_249:
	s_wait_alu 0xfffe
	s_or_b32 exec_lo, exec_lo, s0
	s_wait_storecnt_dscnt 0x0
	s_barrier_signal -1
	s_barrier_wait -1
	global_inv scope:SCOPE_SE
	s_clause 0xc
	scratch_load_b128 v[2:5], off, off offset:192
	scratch_load_b128 v[6:9], off, off offset:208
	;; [unrolled: 1-line block ×11, first 2 shown]
	scratch_load_b64 v[186:187], off, off offset:368
	scratch_load_b64 v[188:189], off, off offset:184
	v_mov_b32_e32 v1, 0
	ds_load_b128 v[142:145], v1 offset:576
	ds_load_b128 v[146:149], v1 offset:592
	ds_load_b128 v[150:153], v1 offset:608
	ds_load_b128 v[154:157], v1 offset:624
	ds_load_b128 v[158:161], v1 offset:640
	ds_load_b128 v[162:165], v1 offset:656
	ds_load_b128 v[166:169], v1 offset:672
	ds_load_b128 v[170:173], v1 offset:688
	ds_load_b128 v[174:177], v1 offset:704
	ds_load_b128 v[178:181], v1 offset:720
	ds_load_b128 v[182:185], v1 offset:736
	ds_load_b64 v[190:191], v1 offset:752
	s_mov_b32 s0, exec_lo
	s_wait_loadcnt_dscnt 0xc0b
	v_mul_f32_e32 v22, v142, v3
	s_wait_loadcnt_dscnt 0xb0a
	v_dual_mul_f32 v192, v144, v5 :: v_dual_mul_f32 v193, v146, v7
	v_mul_f32_e32 v5, v145, v5
	s_wait_loadcnt_dscnt 0xa09
	v_dual_mul_f32 v194, v148, v9 :: v_dual_mul_f32 v195, v150, v11
	v_mul_f32_e32 v3, v143, v3
	v_fmac_f32_e32 v22, v143, v2
	s_wait_loadcnt_dscnt 0x908
	v_dual_mul_f32 v196, v152, v13 :: v_dual_mul_f32 v197, v154, v15
	s_wait_loadcnt_dscnt 0x100
	v_dual_mul_f32 v210, v180, v137 :: v_dual_mul_f32 v213, v190, v187
	v_fma_f32 v3, v142, v2, -v3
	v_mul_f32_e32 v2, v147, v7
	v_fmac_f32_e32 v192, v145, v4
	v_fma_f32 v4, v144, v4, -v5
	v_dual_add_f32 v5, 0, v22 :: v_dual_fmac_f32 v194, v149, v8
	v_add_f32_e32 v3, 0, v3
	v_fmac_f32_e32 v193, v147, v6
	v_fma_f32 v2, v146, v6, -v2
	v_dual_fmac_f32 v195, v151, v10 :: v_dual_fmac_f32 v196, v153, v12
	s_delay_alu instid0(VALU_DEP_4) | instskip(SKIP_3) | instid1(VALU_DEP_4)
	v_add_f32_e32 v3, v3, v4
	v_mul_f32_e32 v7, v149, v9
	v_add_f32_e32 v4, v5, v192
	v_dual_mul_f32 v198, v156, v17 :: v_dual_mul_f32 v199, v158, v19
	v_add_f32_e32 v2, v3, v2
	s_delay_alu instid0(VALU_DEP_4)
	v_fma_f32 v6, v148, v8, -v7
	v_mul_f32_e32 v5, v151, v11
	v_add_f32_e32 v3, v4, v193
	v_dual_mul_f32 v4, v153, v13 :: v_dual_fmac_f32 v197, v155, v14
	v_fmac_f32_e32 v198, v157, v16
	v_add_f32_e32 v2, v2, v6
	v_fma_f32 v5, v150, v10, -v5
	v_mul_f32_e32 v6, v155, v15
	v_add_f32_e32 v3, v3, v194
	v_fma_f32 v4, v152, v12, -v4
	v_dual_mul_f32 v200, v160, v21 :: v_dual_mul_f32 v201, v162, v119
	s_delay_alu instid0(VALU_DEP_3) | instskip(SKIP_2) | instid1(VALU_DEP_3)
	v_dual_add_f32 v2, v2, v5 :: v_dual_add_f32 v3, v3, v195
	v_mul_f32_e32 v5, v157, v17
	v_fma_f32 v6, v154, v14, -v6
	v_dual_fmac_f32 v199, v159, v18 :: v_dual_add_f32 v2, v2, v4
	s_delay_alu instid0(VALU_DEP_4) | instskip(SKIP_3) | instid1(VALU_DEP_4)
	v_add_f32_e32 v3, v3, v196
	v_mul_f32_e32 v4, v159, v19
	v_fma_f32 v5, v156, v16, -v5
	v_fmac_f32_e32 v200, v161, v20
	v_dual_add_f32 v2, v2, v6 :: v_dual_add_f32 v3, v3, v197
	v_mul_f32_e32 v6, v161, v21
	v_fma_f32 v4, v158, v18, -v4
	v_dual_mul_f32 v202, v164, v121 :: v_dual_mul_f32 v203, v166, v123
	s_delay_alu instid0(VALU_DEP_4) | instskip(SKIP_2) | instid1(VALU_DEP_4)
	v_dual_add_f32 v2, v2, v5 :: v_dual_add_f32 v3, v3, v198
	v_mul_f32_e32 v5, v163, v119
	v_fma_f32 v6, v160, v20, -v6
	v_dual_fmac_f32 v201, v163, v118 :: v_dual_fmac_f32 v202, v165, v120
	s_delay_alu instid0(VALU_DEP_4) | instskip(SKIP_3) | instid1(VALU_DEP_4)
	v_dual_add_f32 v2, v2, v4 :: v_dual_add_f32 v3, v3, v199
	v_mul_f32_e32 v4, v165, v121
	v_fma_f32 v5, v162, v118, -v5
	v_fmac_f32_e32 v203, v167, v122
	v_dual_add_f32 v2, v2, v6 :: v_dual_add_f32 v3, v3, v200
	v_mul_f32_e32 v6, v167, v123
	v_fma_f32 v4, v164, v120, -v4
	v_dual_mul_f32 v204, v168, v125 :: v_dual_mul_f32 v205, v170, v127
	s_delay_alu instid0(VALU_DEP_4) | instskip(SKIP_4) | instid1(VALU_DEP_4)
	v_add_f32_e32 v2, v2, v5
	v_add_f32_e32 v3, v3, v201
	v_mul_f32_e32 v5, v169, v125
	v_fma_f32 v6, v166, v122, -v6
	v_fmac_f32_e32 v204, v169, v124
	v_dual_add_f32 v2, v2, v4 :: v_dual_add_f32 v3, v3, v202
	v_mul_f32_e32 v4, v171, v127
	v_fma_f32 v5, v168, v124, -v5
	v_dual_mul_f32 v206, v172, v129 :: v_dual_mul_f32 v207, v174, v131
	s_delay_alu instid0(VALU_DEP_4) | instskip(SKIP_2) | instid1(VALU_DEP_3)
	v_dual_add_f32 v2, v2, v6 :: v_dual_add_f32 v3, v3, v203
	v_dual_mul_f32 v6, v173, v129 :: v_dual_fmac_f32 v205, v171, v126
	v_fma_f32 v4, v170, v126, -v4
	v_dual_add_f32 v2, v2, v5 :: v_dual_add_f32 v3, v3, v204
	v_dual_mul_f32 v208, v176, v133 :: v_dual_mul_f32 v209, v178, v135
	v_dual_mul_f32 v5, v175, v131 :: v_dual_fmac_f32 v206, v173, v128
	v_fma_f32 v6, v172, v128, -v6
	s_delay_alu instid0(VALU_DEP_4) | instskip(SKIP_1) | instid1(VALU_DEP_4)
	v_dual_add_f32 v2, v2, v4 :: v_dual_add_f32 v3, v3, v205
	v_dual_mul_f32 v4, v177, v133 :: v_dual_fmac_f32 v207, v175, v130
	v_fma_f32 v5, v174, v130, -v5
	s_delay_alu instid0(VALU_DEP_3) | instskip(NEXT) | instid1(VALU_DEP_4)
	v_dual_fmac_f32 v208, v177, v132 :: v_dual_add_f32 v3, v3, v206
	v_add_f32_e32 v2, v2, v6
	v_mul_f32_e32 v6, v179, v135
	v_fma_f32 v4, v176, v132, -v4
	v_fmac_f32_e32 v209, v179, v134
	s_delay_alu instid0(VALU_DEP_4) | instskip(SKIP_3) | instid1(VALU_DEP_4)
	v_dual_add_f32 v3, v3, v207 :: v_dual_add_f32 v2, v2, v5
	v_mul_f32_e32 v5, v181, v137
	v_fma_f32 v6, v178, v134, -v6
	v_dual_mul_f32 v211, v182, v139 :: v_dual_mul_f32 v212, v184, v141
	v_add_f32_e32 v3, v3, v208
	v_add_f32_e32 v2, v2, v4
	v_mul_f32_e32 v4, v183, v139
	s_delay_alu instid0(VALU_DEP_4) | instskip(SKIP_1) | instid1(VALU_DEP_4)
	v_dual_fmac_f32 v210, v181, v136 :: v_dual_fmac_f32 v211, v183, v138
	v_fma_f32 v5, v180, v136, -v5
	v_dual_add_f32 v3, v3, v209 :: v_dual_add_f32 v2, v2, v6
	v_mul_f32_e32 v6, v185, v141
	v_fma_f32 v4, v182, v138, -v4
	v_fmac_f32_e32 v213, v191, v186
	s_delay_alu instid0(VALU_DEP_4) | instskip(SKIP_2) | instid1(VALU_DEP_3)
	v_dual_add_f32 v3, v3, v210 :: v_dual_add_f32 v2, v2, v5
	v_dual_mul_f32 v5, v191, v187 :: v_dual_fmac_f32 v212, v185, v140
	v_fma_f32 v6, v184, v140, -v6
	v_dual_add_f32 v3, v3, v211 :: v_dual_add_f32 v2, v2, v4
	s_delay_alu instid0(VALU_DEP_3) | instskip(NEXT) | instid1(VALU_DEP_2)
	v_fma_f32 v4, v190, v186, -v5
	v_dual_add_f32 v3, v3, v212 :: v_dual_add_f32 v2, v2, v6
	s_delay_alu instid0(VALU_DEP_1) | instskip(SKIP_1) | instid1(VALU_DEP_1)
	v_dual_add_f32 v3, v3, v213 :: v_dual_add_f32 v2, v2, v4
	s_wait_loadcnt 0x0
	v_dual_sub_f32 v3, v189, v3 :: v_dual_sub_f32 v2, v188, v2
	scratch_store_b64 off, v[2:3], off offset:184
	v_cmpx_lt_u32_e32 22, v0
	s_cbranch_execz .LBB46_251
; %bb.250:
	scratch_load_b64 v[3:4], off, off offset:176
	v_mov_b32_e32 v2, v1
	scratch_store_b64 off, v[1:2], off offset:176
	s_wait_loadcnt 0x0
	ds_store_b64 v23, v[3:4]
.LBB46_251:
	s_wait_alu 0xfffe
	s_or_b32 exec_lo, exec_lo, s0
	s_wait_storecnt_dscnt 0x0
	s_barrier_signal -1
	s_barrier_wait -1
	global_inv scope:SCOPE_SE
	s_clause 0xc
	scratch_load_b128 v[2:5], off, off offset:184
	scratch_load_b128 v[6:9], off, off offset:200
	;; [unrolled: 1-line block ×12, first 2 shown]
	scratch_load_b64 v[194:195], off, off offset:176
	ds_load_2addr_b64 v[146:149], v1 offset0:71 offset1:72
	ds_load_2addr_b64 v[150:153], v1 offset0:73 offset1:74
	;; [unrolled: 1-line block ×12, first 2 shown]
	s_mov_b32 s0, exec_lo
	s_wait_loadcnt_dscnt 0xc0b
	v_dual_mul_f32 v1, v146, v3 :: v_dual_mul_f32 v22, v148, v5
	v_mul_f32_e32 v3, v147, v3
	s_wait_loadcnt_dscnt 0xb0a
	v_dual_mul_f32 v5, v149, v5 :: v_dual_mul_f32 v196, v150, v7
	s_delay_alu instid0(VALU_DEP_3) | instskip(NEXT) | instid1(VALU_DEP_3)
	v_dual_mul_f32 v197, v152, v9 :: v_dual_fmac_f32 v22, v149, v4
	v_fma_f32 v3, v146, v2, -v3
	v_fmac_f32_e32 v1, v147, v2
	v_mul_f32_e32 v2, v151, v7
	v_fma_f32 v4, v148, v4, -v5
	s_delay_alu instid0(VALU_DEP_4)
	v_dual_fmac_f32 v196, v151, v6 :: v_dual_add_f32 v3, 0, v3
	s_wait_loadcnt_dscnt 0x807
	v_dual_mul_f32 v202, v162, v19 :: v_dual_mul_f32 v203, v164, v21
	v_fma_f32 v2, v150, v6, -v2
	v_dual_mul_f32 v198, v154, v11 :: v_dual_mul_f32 v199, v156, v13
	v_add_f32_e32 v3, v3, v4
	v_dual_mul_f32 v5, v153, v9 :: v_dual_mul_f32 v200, v158, v15
	v_dual_mul_f32 v201, v160, v17 :: v_dual_mul_f32 v4, v155, v11
	s_delay_alu instid0(VALU_DEP_3) | instskip(NEXT) | instid1(VALU_DEP_3)
	v_add_f32_e32 v2, v3, v2
	v_fma_f32 v5, v152, v8, -v5
	v_dual_mul_f32 v3, v157, v13 :: v_dual_fmac_f32 v202, v163, v18
	s_delay_alu instid0(VALU_DEP_4) | instskip(SKIP_1) | instid1(VALU_DEP_4)
	v_fma_f32 v4, v154, v10, -v4
	v_dual_fmac_f32 v197, v153, v8 :: v_dual_fmac_f32 v198, v155, v10
	v_add_f32_e32 v2, v2, v5
	v_add_f32_e32 v1, 0, v1
	v_fma_f32 v3, v156, v12, -v3
	v_fmac_f32_e32 v200, v159, v14
	s_wait_loadcnt_dscnt 0x706
	v_dual_mul_f32 v204, v166, v119 :: v_dual_mul_f32 v205, v168, v121
	v_dual_add_f32 v1, v1, v22 :: v_dual_add_f32 v2, v2, v4
	v_mul_f32_e32 v4, v161, v17
	s_wait_loadcnt_dscnt 0x504
	v_dual_mul_f32 v208, v174, v127 :: v_dual_mul_f32 v209, v176, v129
	s_delay_alu instid0(VALU_DEP_3) | instskip(NEXT) | instid1(VALU_DEP_3)
	v_dual_add_f32 v1, v1, v196 :: v_dual_add_f32 v2, v2, v3
	v_fma_f32 v4, v160, v16, -v4
	v_mul_f32_e32 v5, v159, v15
	v_dual_mul_f32 v206, v170, v123 :: v_dual_mul_f32 v207, v172, v125
	s_wait_loadcnt_dscnt 0x201
	v_dual_add_f32 v1, v1, v197 :: v_dual_mul_f32 v214, v186, v139
	v_mul_f32_e32 v215, v188, v141
	v_fma_f32 v5, v158, v14, -v5
	v_fmac_f32_e32 v199, v157, v12
	s_delay_alu instid0(VALU_DEP_4)
	v_add_f32_e32 v1, v1, v198
	v_fmac_f32_e32 v204, v167, v118
	v_dual_mul_f32 v210, v178, v131 :: v_dual_mul_f32 v211, v180, v133
	v_add_f32_e32 v2, v2, v5
	v_dual_fmac_f32 v206, v171, v122 :: v_dual_fmac_f32 v205, v169, v120
	v_dual_mul_f32 v212, v182, v135 :: v_dual_mul_f32 v213, v184, v137
	s_delay_alu instid0(VALU_DEP_3) | instskip(SKIP_2) | instid1(VALU_DEP_4)
	v_add_f32_e32 v2, v2, v4
	v_mul_f32_e32 v4, v167, v119
	v_add_f32_e32 v1, v1, v199
	v_dual_fmac_f32 v207, v173, v124 :: v_dual_fmac_f32 v212, v183, v134
	v_fmac_f32_e32 v209, v177, v128
	s_delay_alu instid0(VALU_DEP_4) | instskip(SKIP_4) | instid1(VALU_DEP_3)
	v_fma_f32 v4, v166, v118, -v4
	v_mul_f32_e32 v5, v165, v21
	s_wait_loadcnt_dscnt 0x100
	v_dual_add_f32 v1, v1, v200 :: v_dual_mul_f32 v216, v190, v143
	v_dual_mul_f32 v217, v192, v145 :: v_dual_fmac_f32 v208, v175, v126
	v_fma_f32 v5, v164, v20, -v5
	v_mul_f32_e32 v3, v163, v19
	v_fmac_f32_e32 v215, v189, v140
	s_delay_alu instid0(VALU_DEP_4) | instskip(SKIP_1) | instid1(VALU_DEP_4)
	v_dual_fmac_f32 v217, v193, v144 :: v_dual_fmac_f32 v214, v187, v138
	v_fmac_f32_e32 v210, v179, v130
	v_fma_f32 v3, v162, v18, -v3
	v_dual_fmac_f32 v201, v161, v16 :: v_dual_fmac_f32 v216, v191, v142
	s_delay_alu instid0(VALU_DEP_2) | instskip(NEXT) | instid1(VALU_DEP_1)
	v_dual_add_f32 v2, v2, v3 :: v_dual_mul_f32 v3, v169, v121
	v_dual_add_f32 v2, v2, v5 :: v_dual_mul_f32 v5, v171, v123
	s_delay_alu instid0(VALU_DEP_2) | instskip(NEXT) | instid1(VALU_DEP_2)
	v_fma_f32 v3, v168, v120, -v3
	v_dual_add_f32 v2, v2, v4 :: v_dual_add_f32 v1, v1, v201
	v_mul_f32_e32 v4, v173, v125
	s_delay_alu instid0(VALU_DEP_4) | instskip(NEXT) | instid1(VALU_DEP_3)
	v_fma_f32 v5, v170, v122, -v5
	v_dual_add_f32 v2, v2, v3 :: v_dual_fmac_f32 v203, v165, v20
	s_delay_alu instid0(VALU_DEP_3) | instskip(NEXT) | instid1(VALU_DEP_2)
	v_fma_f32 v4, v172, v124, -v4
	v_add_f32_e32 v2, v2, v5
	v_mul_f32_e32 v5, v177, v129
	s_delay_alu instid0(VALU_DEP_2) | instskip(NEXT) | instid1(VALU_DEP_2)
	v_dual_add_f32 v1, v1, v202 :: v_dual_add_f32 v2, v2, v4
	v_fma_f32 v5, v176, v128, -v5
	v_mul_f32_e32 v3, v175, v127
	s_delay_alu instid0(VALU_DEP_3) | instskip(SKIP_1) | instid1(VALU_DEP_3)
	v_add_f32_e32 v1, v1, v203
	v_mul_f32_e32 v4, v179, v131
	v_fma_f32 v3, v174, v126, -v3
	s_delay_alu instid0(VALU_DEP_3) | instskip(NEXT) | instid1(VALU_DEP_3)
	v_add_f32_e32 v1, v1, v204
	v_fma_f32 v4, v178, v130, -v4
	s_delay_alu instid0(VALU_DEP_3) | instskip(NEXT) | instid1(VALU_DEP_1)
	v_add_f32_e32 v2, v2, v3
	v_add_f32_e32 v2, v2, v5
	s_delay_alu instid0(VALU_DEP_4) | instskip(NEXT) | instid1(VALU_DEP_2)
	v_add_f32_e32 v1, v1, v205
	v_dual_mul_f32 v5, v183, v135 :: v_dual_add_f32 v2, v2, v4
	v_mul_f32_e32 v4, v185, v137
	s_delay_alu instid0(VALU_DEP_2) | instskip(NEXT) | instid1(VALU_DEP_2)
	v_fma_f32 v5, v182, v134, -v5
	v_fma_f32 v4, v184, v136, -v4
	v_mul_f32_e32 v3, v181, v133
	s_delay_alu instid0(VALU_DEP_1) | instskip(NEXT) | instid1(VALU_DEP_1)
	v_fma_f32 v3, v180, v132, -v3
	v_dual_add_f32 v1, v1, v206 :: v_dual_add_f32 v2, v2, v3
	s_delay_alu instid0(VALU_DEP_1) | instskip(NEXT) | instid1(VALU_DEP_2)
	v_add_f32_e32 v1, v1, v207
	v_dual_mul_f32 v3, v187, v139 :: v_dual_add_f32 v2, v2, v5
	v_mul_f32_e32 v5, v189, v141
	s_delay_alu instid0(VALU_DEP_2) | instskip(NEXT) | instid1(VALU_DEP_3)
	v_fma_f32 v3, v186, v138, -v3
	v_add_f32_e32 v2, v2, v4
	v_dual_add_f32 v1, v1, v208 :: v_dual_mul_f32 v4, v191, v143
	s_delay_alu instid0(VALU_DEP_4) | instskip(NEXT) | instid1(VALU_DEP_2)
	v_fma_f32 v5, v188, v140, -v5
	v_dual_add_f32 v2, v2, v3 :: v_dual_add_f32 v1, v1, v209
	v_fmac_f32_e32 v211, v181, v132
	s_delay_alu instid0(VALU_DEP_4) | instskip(SKIP_1) | instid1(VALU_DEP_4)
	v_fma_f32 v4, v190, v142, -v4
	v_mul_f32_e32 v3, v193, v145
	v_dual_add_f32 v2, v2, v5 :: v_dual_add_f32 v1, v1, v210
	s_delay_alu instid0(VALU_DEP_2) | instskip(NEXT) | instid1(VALU_DEP_2)
	v_fma_f32 v3, v192, v144, -v3
	v_dual_add_f32 v2, v2, v4 :: v_dual_add_f32 v1, v1, v211
	s_delay_alu instid0(VALU_DEP_1) | instskip(NEXT) | instid1(VALU_DEP_2)
	v_dual_fmac_f32 v213, v185, v136 :: v_dual_add_f32 v2, v2, v3
	v_add_f32_e32 v1, v1, v212
	s_delay_alu instid0(VALU_DEP_1) | instskip(NEXT) | instid1(VALU_DEP_1)
	v_add_f32_e32 v1, v1, v213
	v_add_f32_e32 v1, v1, v214
	s_delay_alu instid0(VALU_DEP_1) | instskip(NEXT) | instid1(VALU_DEP_1)
	v_add_f32_e32 v1, v1, v215
	v_add_f32_e32 v1, v1, v216
	s_delay_alu instid0(VALU_DEP_1) | instskip(SKIP_1) | instid1(VALU_DEP_1)
	v_add_f32_e32 v3, v1, v217
	s_wait_loadcnt 0x0
	v_dual_sub_f32 v1, v194, v2 :: v_dual_sub_f32 v2, v195, v3
	scratch_store_b64 off, v[1:2], off offset:176
	v_cmpx_lt_u32_e32 21, v0
	s_cbranch_execz .LBB46_253
; %bb.252:
	scratch_load_b64 v[1:2], off, off offset:168
	v_mov_b32_e32 v3, 0
	s_delay_alu instid0(VALU_DEP_1)
	v_mov_b32_e32 v4, v3
	scratch_store_b64 off, v[3:4], off offset:168
	s_wait_loadcnt 0x0
	ds_store_b64 v23, v[1:2]
.LBB46_253:
	s_wait_alu 0xfffe
	s_or_b32 exec_lo, exec_lo, s0
	s_wait_storecnt_dscnt 0x0
	s_barrier_signal -1
	s_barrier_wait -1
	global_inv scope:SCOPE_SE
	s_clause 0xd
	scratch_load_b128 v[2:5], off, off offset:176
	scratch_load_b128 v[6:9], off, off offset:192
	;; [unrolled: 1-line block ×12, first 2 shown]
	scratch_load_b64 v[194:195], off, off offset:368
	scratch_load_b64 v[196:197], off, off offset:168
	v_mov_b32_e32 v1, 0
	ds_load_b128 v[146:149], v1 offset:560
	ds_load_b128 v[150:153], v1 offset:576
	ds_load_b128 v[154:157], v1 offset:592
	ds_load_b128 v[158:161], v1 offset:608
	ds_load_b128 v[162:165], v1 offset:624
	ds_load_b128 v[166:169], v1 offset:640
	ds_load_b128 v[170:173], v1 offset:656
	ds_load_b128 v[174:177], v1 offset:672
	ds_load_b128 v[178:181], v1 offset:688
	ds_load_b128 v[182:185], v1 offset:704
	ds_load_b128 v[186:189], v1 offset:720
	ds_load_b128 v[190:193], v1 offset:736
	ds_load_b64 v[198:199], v1 offset:752
	s_mov_b32 s0, exec_lo
	s_wait_loadcnt_dscnt 0xd0c
	v_mul_f32_e32 v22, v146, v3
	s_wait_loadcnt_dscnt 0xc0b
	v_dual_mul_f32 v200, v148, v5 :: v_dual_mul_f32 v201, v150, v7
	v_mul_f32_e32 v5, v149, v5
	s_wait_loadcnt_dscnt 0xb0a
	v_dual_mul_f32 v202, v152, v9 :: v_dual_mul_f32 v203, v154, v11
	v_dual_mul_f32 v3, v147, v3 :: v_dual_mul_f32 v204, v156, v13
	s_wait_loadcnt_dscnt 0xa09
	v_dual_mul_f32 v205, v158, v15 :: v_dual_fmac_f32 v22, v147, v2
	s_wait_loadcnt_dscnt 0x302
	v_mul_f32_e32 v220, v188, v141
	v_fma_f32 v3, v146, v2, -v3
	s_wait_loadcnt_dscnt 0x100
	v_mul_f32_e32 v223, v198, v195
	v_mul_f32_e32 v2, v151, v7
	v_fmac_f32_e32 v200, v149, v4
	v_fma_f32 v4, v148, v4, -v5
	v_add_f32_e32 v3, 0, v3
	v_dual_add_f32 v5, 0, v22 :: v_dual_fmac_f32 v202, v153, v8
	v_fmac_f32_e32 v201, v151, v6
	v_fma_f32 v2, v150, v6, -v2
	s_delay_alu instid0(VALU_DEP_4) | instskip(SKIP_3) | instid1(VALU_DEP_4)
	v_add_f32_e32 v3, v3, v4
	v_mul_f32_e32 v7, v153, v9
	v_dual_add_f32 v4, v5, v200 :: v_dual_fmac_f32 v203, v155, v10
	v_fmac_f32_e32 v204, v157, v12
	v_add_f32_e32 v2, v3, v2
	s_delay_alu instid0(VALU_DEP_4)
	v_fma_f32 v6, v152, v8, -v7
	v_mul_f32_e32 v5, v155, v11
	v_add_f32_e32 v3, v4, v201
	v_mul_f32_e32 v4, v157, v13
	v_dual_mul_f32 v206, v160, v17 :: v_dual_mul_f32 v207, v162, v19
	v_add_f32_e32 v2, v2, v6
	v_fma_f32 v5, v154, v10, -v5
	v_mul_f32_e32 v6, v159, v15
	v_add_f32_e32 v3, v3, v202
	v_fma_f32 v4, v156, v12, -v4
	v_dual_fmac_f32 v205, v159, v14 :: v_dual_fmac_f32 v206, v161, v16
	s_delay_alu instid0(VALU_DEP_3) | instskip(SKIP_3) | instid1(VALU_DEP_4)
	v_dual_add_f32 v2, v2, v5 :: v_dual_add_f32 v3, v3, v203
	v_mul_f32_e32 v5, v161, v17
	v_fma_f32 v6, v158, v14, -v6
	v_dual_mul_f32 v208, v164, v21 :: v_dual_mul_f32 v209, v166, v119
	v_add_f32_e32 v2, v2, v4
	v_add_f32_e32 v3, v3, v204
	v_mul_f32_e32 v4, v163, v19
	v_fma_f32 v5, v160, v16, -v5
	v_fmac_f32_e32 v207, v163, v18
	s_delay_alu instid0(VALU_DEP_4) | instskip(SKIP_3) | instid1(VALU_DEP_4)
	v_dual_add_f32 v2, v2, v6 :: v_dual_add_f32 v3, v3, v205
	v_fmac_f32_e32 v208, v165, v20
	v_mul_f32_e32 v6, v165, v21
	v_fma_f32 v4, v162, v18, -v4
	v_dual_add_f32 v2, v2, v5 :: v_dual_add_f32 v3, v3, v206
	v_mul_f32_e32 v5, v167, v119
	s_delay_alu instid0(VALU_DEP_4) | instskip(SKIP_1) | instid1(VALU_DEP_4)
	v_fma_f32 v6, v164, v20, -v6
	v_dual_mul_f32 v210, v168, v121 :: v_dual_mul_f32 v211, v170, v123
	v_dual_add_f32 v2, v2, v4 :: v_dual_add_f32 v3, v3, v207
	v_dual_mul_f32 v4, v169, v121 :: v_dual_fmac_f32 v209, v167, v118
	s_delay_alu instid0(VALU_DEP_3) | instskip(SKIP_1) | instid1(VALU_DEP_4)
	v_fmac_f32_e32 v210, v169, v120
	v_fma_f32 v5, v166, v118, -v5
	v_dual_add_f32 v2, v2, v6 :: v_dual_add_f32 v3, v3, v208
	v_mul_f32_e32 v6, v171, v123
	v_fma_f32 v4, v168, v120, -v4
	s_delay_alu instid0(VALU_DEP_3) | instskip(NEXT) | instid1(VALU_DEP_4)
	v_dual_fmac_f32 v211, v171, v122 :: v_dual_add_f32 v2, v2, v5
	v_add_f32_e32 v3, v3, v209
	v_dual_mul_f32 v212, v172, v125 :: v_dual_mul_f32 v213, v174, v127
	v_mul_f32_e32 v5, v173, v125
	v_fma_f32 v6, v170, v122, -v6
	s_delay_alu instid0(VALU_DEP_4) | instskip(NEXT) | instid1(VALU_DEP_4)
	v_dual_add_f32 v2, v2, v4 :: v_dual_add_f32 v3, v3, v210
	v_fmac_f32_e32 v212, v173, v124
	v_mul_f32_e32 v4, v175, v127
	v_fma_f32 v5, v172, v124, -v5
	s_delay_alu instid0(VALU_DEP_4) | instskip(SKIP_3) | instid1(VALU_DEP_4)
	v_dual_add_f32 v2, v2, v6 :: v_dual_add_f32 v3, v3, v211
	v_dual_mul_f32 v214, v176, v129 :: v_dual_mul_f32 v215, v178, v131
	v_dual_mul_f32 v6, v177, v129 :: v_dual_fmac_f32 v213, v175, v126
	v_fma_f32 v4, v174, v126, -v4
	v_dual_add_f32 v2, v2, v5 :: v_dual_add_f32 v3, v3, v212
	v_dual_mul_f32 v216, v180, v133 :: v_dual_mul_f32 v217, v182, v135
	v_dual_mul_f32 v5, v179, v131 :: v_dual_fmac_f32 v214, v177, v128
	v_fma_f32 v6, v176, v128, -v6
	s_delay_alu instid0(VALU_DEP_4) | instskip(SKIP_1) | instid1(VALU_DEP_4)
	v_dual_add_f32 v2, v2, v4 :: v_dual_add_f32 v3, v3, v213
	v_dual_mul_f32 v4, v181, v133 :: v_dual_fmac_f32 v215, v179, v130
	v_fma_f32 v5, v178, v130, -v5
	s_delay_alu instid0(VALU_DEP_3) | instskip(NEXT) | instid1(VALU_DEP_4)
	v_dual_fmac_f32 v216, v181, v132 :: v_dual_add_f32 v3, v3, v214
	v_add_f32_e32 v2, v2, v6
	v_mul_f32_e32 v6, v183, v135
	v_fma_f32 v4, v180, v132, -v4
	v_dual_mul_f32 v218, v184, v137 :: v_dual_mul_f32 v219, v186, v139
	s_delay_alu instid0(VALU_DEP_4) | instskip(SKIP_3) | instid1(VALU_DEP_4)
	v_dual_add_f32 v3, v3, v215 :: v_dual_add_f32 v2, v2, v5
	v_fmac_f32_e32 v217, v183, v134
	v_mul_f32_e32 v5, v185, v137
	v_fma_f32 v6, v182, v134, -v6
	v_add_f32_e32 v3, v3, v216
	v_add_f32_e32 v2, v2, v4
	v_mul_f32_e32 v4, v187, v139
	v_dual_fmac_f32 v218, v185, v136 :: v_dual_fmac_f32 v219, v187, v138
	v_fma_f32 v5, v184, v136, -v5
	s_delay_alu instid0(VALU_DEP_4) | instskip(SKIP_3) | instid1(VALU_DEP_4)
	v_dual_add_f32 v3, v3, v217 :: v_dual_add_f32 v2, v2, v6
	v_mul_f32_e32 v6, v189, v141
	v_fma_f32 v4, v186, v138, -v4
	v_dual_mul_f32 v221, v190, v143 :: v_dual_mul_f32 v222, v192, v145
	v_dual_add_f32 v2, v2, v5 :: v_dual_mul_f32 v5, v191, v143
	v_dual_add_f32 v3, v3, v218 :: v_dual_fmac_f32 v220, v189, v140
	v_fma_f32 v6, v188, v140, -v6
	s_delay_alu instid0(VALU_DEP_3) | instskip(NEXT) | instid1(VALU_DEP_3)
	v_dual_add_f32 v2, v2, v4 :: v_dual_fmac_f32 v221, v191, v142
	v_dual_add_f32 v3, v3, v219 :: v_dual_mul_f32 v4, v193, v145
	v_fma_f32 v5, v190, v142, -v5
	v_dual_fmac_f32 v222, v193, v144 :: v_dual_fmac_f32 v223, v199, v194
	s_delay_alu instid0(VALU_DEP_3) | instskip(SKIP_2) | instid1(VALU_DEP_3)
	v_dual_add_f32 v3, v3, v220 :: v_dual_add_f32 v2, v2, v6
	v_mul_f32_e32 v6, v199, v195
	v_fma_f32 v4, v192, v144, -v4
	v_add_f32_e32 v3, v3, v221
	s_delay_alu instid0(VALU_DEP_4) | instskip(NEXT) | instid1(VALU_DEP_4)
	v_add_f32_e32 v2, v2, v5
	v_fma_f32 v5, v198, v194, -v6
	s_delay_alu instid0(VALU_DEP_2) | instskip(NEXT) | instid1(VALU_DEP_1)
	v_dual_add_f32 v3, v3, v222 :: v_dual_add_f32 v2, v2, v4
	v_dual_add_f32 v3, v3, v223 :: v_dual_add_f32 v2, v2, v5
	s_wait_loadcnt 0x0
	s_delay_alu instid0(VALU_DEP_1)
	v_dual_sub_f32 v3, v197, v3 :: v_dual_sub_f32 v2, v196, v2
	scratch_store_b64 off, v[2:3], off offset:168
	v_cmpx_lt_u32_e32 20, v0
	s_cbranch_execz .LBB46_255
; %bb.254:
	scratch_load_b64 v[3:4], off, off offset:160
	v_mov_b32_e32 v2, v1
	scratch_store_b64 off, v[1:2], off offset:160
	s_wait_loadcnt 0x0
	ds_store_b64 v23, v[3:4]
.LBB46_255:
	s_wait_alu 0xfffe
	s_or_b32 exec_lo, exec_lo, s0
	s_wait_storecnt_dscnt 0x0
	s_barrier_signal -1
	s_barrier_wait -1
	global_inv scope:SCOPE_SE
	s_clause 0xd
	scratch_load_b128 v[2:5], off, off offset:168
	scratch_load_b128 v[6:9], off, off offset:184
	;; [unrolled: 1-line block ×13, first 2 shown]
	scratch_load_b64 v[202:203], off, off offset:160
	ds_load_2addr_b64 v[150:153], v1 offset0:69 offset1:70
	ds_load_2addr_b64 v[154:157], v1 offset0:71 offset1:72
	;; [unrolled: 1-line block ×13, first 2 shown]
	s_mov_b32 s0, exec_lo
	s_wait_loadcnt_dscnt 0xd0c
	v_dual_mul_f32 v1, v150, v3 :: v_dual_mul_f32 v22, v152, v5
	v_mul_f32_e32 v3, v151, v3
	s_wait_loadcnt_dscnt 0xc0b
	v_dual_mul_f32 v5, v153, v5 :: v_dual_mul_f32 v204, v154, v7
	s_delay_alu instid0(VALU_DEP_3) | instskip(NEXT) | instid1(VALU_DEP_3)
	v_dual_mul_f32 v205, v156, v9 :: v_dual_fmac_f32 v22, v153, v4
	v_fma_f32 v3, v150, v2, -v3
	v_fmac_f32_e32 v1, v151, v2
	v_mul_f32_e32 v2, v155, v7
	v_fma_f32 v4, v152, v4, -v5
	s_delay_alu instid0(VALU_DEP_4)
	v_dual_fmac_f32 v204, v155, v6 :: v_dual_add_f32 v3, 0, v3
	s_wait_loadcnt_dscnt 0x908
	v_dual_mul_f32 v210, v166, v19 :: v_dual_mul_f32 v211, v168, v21
	v_fma_f32 v2, v154, v6, -v2
	v_dual_mul_f32 v206, v158, v11 :: v_dual_mul_f32 v207, v160, v13
	v_add_f32_e32 v3, v3, v4
	v_dual_mul_f32 v5, v157, v9 :: v_dual_mul_f32 v208, v162, v15
	v_dual_mul_f32 v209, v164, v17 :: v_dual_mul_f32 v4, v159, v11
	s_delay_alu instid0(VALU_DEP_3) | instskip(NEXT) | instid1(VALU_DEP_3)
	v_add_f32_e32 v2, v3, v2
	v_fma_f32 v5, v156, v8, -v5
	v_dual_mul_f32 v3, v161, v13 :: v_dual_fmac_f32 v210, v167, v18
	s_delay_alu instid0(VALU_DEP_4) | instskip(SKIP_1) | instid1(VALU_DEP_4)
	v_fma_f32 v4, v158, v10, -v4
	v_dual_fmac_f32 v205, v157, v8 :: v_dual_fmac_f32 v206, v159, v10
	v_add_f32_e32 v2, v2, v5
	v_add_f32_e32 v1, 0, v1
	v_fma_f32 v3, v160, v12, -v3
	v_fmac_f32_e32 v208, v163, v14
	s_wait_loadcnt_dscnt 0x807
	v_dual_mul_f32 v212, v170, v119 :: v_dual_mul_f32 v213, v172, v121
	v_dual_add_f32 v1, v1, v22 :: v_dual_add_f32 v2, v2, v4
	v_mul_f32_e32 v4, v165, v17
	s_wait_loadcnt_dscnt 0x605
	v_dual_mul_f32 v216, v178, v127 :: v_dual_mul_f32 v217, v180, v129
	s_delay_alu instid0(VALU_DEP_3) | instskip(NEXT) | instid1(VALU_DEP_3)
	v_dual_add_f32 v1, v1, v204 :: v_dual_add_f32 v2, v2, v3
	v_fma_f32 v4, v164, v16, -v4
	v_mul_f32_e32 v5, v163, v15
	v_dual_mul_f32 v214, v174, v123 :: v_dual_mul_f32 v215, v176, v125
	s_wait_loadcnt_dscnt 0x302
	v_dual_add_f32 v1, v1, v205 :: v_dual_mul_f32 v222, v190, v139
	v_mul_f32_e32 v223, v192, v141
	v_fma_f32 v5, v162, v14, -v5
	v_fmac_f32_e32 v207, v161, v12
	s_delay_alu instid0(VALU_DEP_4)
	v_add_f32_e32 v1, v1, v206
	v_fmac_f32_e32 v212, v171, v118
	v_dual_mul_f32 v218, v182, v131 :: v_dual_mul_f32 v219, v184, v133
	v_add_f32_e32 v2, v2, v5
	v_dual_fmac_f32 v214, v175, v122 :: v_dual_fmac_f32 v213, v173, v120
	v_dual_mul_f32 v220, v186, v135 :: v_dual_mul_f32 v221, v188, v137
	s_delay_alu instid0(VALU_DEP_3) | instskip(SKIP_2) | instid1(VALU_DEP_4)
	v_add_f32_e32 v2, v2, v4
	v_mul_f32_e32 v4, v171, v119
	v_add_f32_e32 v1, v1, v207
	v_dual_fmac_f32 v215, v177, v124 :: v_dual_fmac_f32 v220, v187, v134
	v_fmac_f32_e32 v217, v181, v128
	s_delay_alu instid0(VALU_DEP_4) | instskip(SKIP_4) | instid1(VALU_DEP_3)
	v_fma_f32 v4, v170, v118, -v4
	v_mul_f32_e32 v5, v169, v21
	s_wait_loadcnt_dscnt 0x201
	v_dual_add_f32 v1, v1, v208 :: v_dual_mul_f32 v224, v194, v143
	v_dual_mul_f32 v225, v196, v145 :: v_dual_fmac_f32 v216, v179, v126
	v_fma_f32 v5, v168, v20, -v5
	v_mul_f32_e32 v3, v167, v19
	s_wait_loadcnt_dscnt 0x100
	v_dual_mul_f32 v226, v198, v147 :: v_dual_mul_f32 v227, v200, v149
	v_fmac_f32_e32 v223, v193, v140
	v_fmac_f32_e32 v225, v197, v144
	v_fma_f32 v3, v166, v18, -v3
	v_fmac_f32_e32 v209, v165, v16
	v_dual_fmac_f32 v227, v201, v148 :: v_dual_fmac_f32 v222, v191, v138
	v_fmac_f32_e32 v218, v183, v130
	s_delay_alu instid0(VALU_DEP_4) | instskip(SKIP_2) | instid1(VALU_DEP_3)
	v_dual_add_f32 v2, v2, v3 :: v_dual_mul_f32 v3, v173, v121
	v_fmac_f32_e32 v224, v195, v142
	v_fmac_f32_e32 v226, v199, v146
	v_dual_add_f32 v2, v2, v5 :: v_dual_mul_f32 v5, v175, v123
	s_delay_alu instid0(VALU_DEP_4) | instskip(NEXT) | instid1(VALU_DEP_2)
	v_fma_f32 v3, v172, v120, -v3
	v_dual_add_f32 v2, v2, v4 :: v_dual_add_f32 v1, v1, v209
	v_mul_f32_e32 v4, v177, v125
	s_delay_alu instid0(VALU_DEP_4) | instskip(NEXT) | instid1(VALU_DEP_3)
	v_fma_f32 v5, v174, v122, -v5
	v_dual_add_f32 v2, v2, v3 :: v_dual_fmac_f32 v211, v169, v20
	s_delay_alu instid0(VALU_DEP_3) | instskip(NEXT) | instid1(VALU_DEP_2)
	v_fma_f32 v4, v176, v124, -v4
	v_add_f32_e32 v2, v2, v5
	v_mul_f32_e32 v5, v181, v129
	s_delay_alu instid0(VALU_DEP_2) | instskip(NEXT) | instid1(VALU_DEP_2)
	v_dual_add_f32 v1, v1, v210 :: v_dual_add_f32 v2, v2, v4
	v_fma_f32 v5, v180, v128, -v5
	v_mul_f32_e32 v3, v179, v127
	s_delay_alu instid0(VALU_DEP_3) | instskip(SKIP_1) | instid1(VALU_DEP_3)
	v_add_f32_e32 v1, v1, v211
	v_mul_f32_e32 v4, v183, v131
	v_fma_f32 v3, v178, v126, -v3
	s_delay_alu instid0(VALU_DEP_3) | instskip(NEXT) | instid1(VALU_DEP_3)
	v_add_f32_e32 v1, v1, v212
	v_fma_f32 v4, v182, v130, -v4
	s_delay_alu instid0(VALU_DEP_3) | instskip(NEXT) | instid1(VALU_DEP_1)
	v_add_f32_e32 v2, v2, v3
	v_add_f32_e32 v2, v2, v5
	s_delay_alu instid0(VALU_DEP_4) | instskip(NEXT) | instid1(VALU_DEP_2)
	v_add_f32_e32 v1, v1, v213
	v_dual_mul_f32 v5, v187, v135 :: v_dual_add_f32 v2, v2, v4
	v_mul_f32_e32 v4, v189, v137
	s_delay_alu instid0(VALU_DEP_2) | instskip(NEXT) | instid1(VALU_DEP_2)
	v_fma_f32 v5, v186, v134, -v5
	v_fma_f32 v4, v188, v136, -v4
	v_mul_f32_e32 v3, v185, v133
	s_delay_alu instid0(VALU_DEP_1) | instskip(NEXT) | instid1(VALU_DEP_1)
	v_fma_f32 v3, v184, v132, -v3
	v_dual_add_f32 v1, v1, v214 :: v_dual_add_f32 v2, v2, v3
	s_delay_alu instid0(VALU_DEP_1) | instskip(NEXT) | instid1(VALU_DEP_2)
	v_add_f32_e32 v1, v1, v215
	v_dual_mul_f32 v3, v191, v139 :: v_dual_add_f32 v2, v2, v5
	v_mul_f32_e32 v5, v193, v141
	s_delay_alu instid0(VALU_DEP_2) | instskip(NEXT) | instid1(VALU_DEP_3)
	v_fma_f32 v3, v190, v138, -v3
	v_add_f32_e32 v2, v2, v4
	v_dual_add_f32 v1, v1, v216 :: v_dual_mul_f32 v4, v195, v143
	s_delay_alu instid0(VALU_DEP_4) | instskip(NEXT) | instid1(VALU_DEP_2)
	v_fma_f32 v5, v192, v140, -v5
	v_dual_add_f32 v2, v2, v3 :: v_dual_add_f32 v1, v1, v217
	v_fmac_f32_e32 v219, v185, v132
	v_mul_f32_e32 v3, v197, v145
	v_fma_f32 v4, v194, v142, -v4
	s_delay_alu instid0(VALU_DEP_4) | instskip(SKIP_1) | instid1(VALU_DEP_4)
	v_dual_add_f32 v2, v2, v5 :: v_dual_add_f32 v1, v1, v218
	v_mul_f32_e32 v5, v199, v147
	v_fma_f32 v3, v196, v144, -v3
	s_delay_alu instid0(VALU_DEP_3) | instskip(SKIP_1) | instid1(VALU_DEP_4)
	v_dual_add_f32 v2, v2, v4 :: v_dual_add_f32 v1, v1, v219
	v_fmac_f32_e32 v221, v189, v136
	v_fma_f32 v5, v198, v146, -v5
	v_mul_f32_e32 v4, v201, v149
	s_delay_alu instid0(VALU_DEP_4) | instskip(NEXT) | instid1(VALU_DEP_2)
	v_dual_add_f32 v2, v2, v3 :: v_dual_add_f32 v1, v1, v220
	v_fma_f32 v3, v200, v148, -v4
	s_delay_alu instid0(VALU_DEP_2) | instskip(NEXT) | instid1(VALU_DEP_1)
	v_add_f32_e32 v2, v2, v5
	v_dual_add_f32 v1, v1, v221 :: v_dual_add_f32 v2, v2, v3
	s_delay_alu instid0(VALU_DEP_1) | instskip(NEXT) | instid1(VALU_DEP_1)
	v_add_f32_e32 v1, v1, v222
	v_add_f32_e32 v1, v1, v223
	s_delay_alu instid0(VALU_DEP_1) | instskip(NEXT) | instid1(VALU_DEP_1)
	v_add_f32_e32 v1, v1, v224
	v_add_f32_e32 v1, v1, v225
	;; [unrolled: 3-line block ×3, first 2 shown]
	s_wait_loadcnt 0x0
	s_delay_alu instid0(VALU_DEP_1)
	v_dual_sub_f32 v1, v202, v2 :: v_dual_sub_f32 v2, v203, v3
	scratch_store_b64 off, v[1:2], off offset:160
	v_cmpx_lt_u32_e32 19, v0
	s_cbranch_execz .LBB46_257
; %bb.256:
	scratch_load_b64 v[1:2], off, off offset:152
	v_mov_b32_e32 v3, 0
	s_delay_alu instid0(VALU_DEP_1)
	v_mov_b32_e32 v4, v3
	scratch_store_b64 off, v[3:4], off offset:152
	s_wait_loadcnt 0x0
	ds_store_b64 v23, v[1:2]
.LBB46_257:
	s_wait_alu 0xfffe
	s_or_b32 exec_lo, exec_lo, s0
	s_wait_storecnt_dscnt 0x0
	s_barrier_signal -1
	s_barrier_wait -1
	global_inv scope:SCOPE_SE
	s_clause 0xe
	scratch_load_b128 v[2:5], off, off offset:160
	scratch_load_b128 v[6:9], off, off offset:176
	;; [unrolled: 1-line block ×13, first 2 shown]
	scratch_load_b64 v[202:203], off, off offset:368
	scratch_load_b64 v[204:205], off, off offset:152
	v_mov_b32_e32 v1, 0
	ds_load_b128 v[150:153], v1 offset:544
	ds_load_b128 v[154:157], v1 offset:560
	ds_load_b128 v[158:161], v1 offset:576
	ds_load_b128 v[162:165], v1 offset:592
	ds_load_b128 v[166:169], v1 offset:608
	ds_load_b128 v[170:173], v1 offset:624
	ds_load_b128 v[174:177], v1 offset:640
	ds_load_b128 v[178:181], v1 offset:656
	ds_load_b128 v[182:185], v1 offset:672
	ds_load_b128 v[186:189], v1 offset:688
	ds_load_b128 v[190:193], v1 offset:704
	ds_load_b128 v[194:197], v1 offset:720
	ds_load_b128 v[198:201], v1 offset:736
	ds_load_b64 v[206:207], v1 offset:752
	s_mov_b32 s0, exec_lo
	s_wait_loadcnt_dscnt 0xe0d
	v_mul_f32_e32 v22, v150, v3
	s_wait_loadcnt_dscnt 0xd0c
	v_dual_mul_f32 v208, v152, v5 :: v_dual_mul_f32 v209, v154, v7
	v_mul_f32_e32 v5, v153, v5
	s_wait_loadcnt_dscnt 0xc0b
	v_dual_mul_f32 v210, v156, v9 :: v_dual_mul_f32 v211, v158, v11
	s_wait_loadcnt_dscnt 0xb0a
	v_dual_mul_f32 v212, v160, v13 :: v_dual_mul_f32 v213, v162, v15
	v_mul_f32_e32 v3, v151, v3
	v_fmac_f32_e32 v22, v151, v2
	s_delay_alu instid0(VALU_DEP_3)
	v_dual_fmac_f32 v211, v159, v10 :: v_dual_fmac_f32 v212, v161, v12
	s_wait_loadcnt_dscnt 0x100
	v_dual_mul_f32 v230, v196, v145 :: v_dual_mul_f32 v233, v206, v203
	v_fma_f32 v3, v150, v2, -v3
	v_mul_f32_e32 v2, v155, v7
	v_fmac_f32_e32 v208, v153, v4
	v_fma_f32 v4, v152, v4, -v5
	v_dual_add_f32 v5, 0, v22 :: v_dual_fmac_f32 v210, v157, v8
	v_add_f32_e32 v3, 0, v3
	v_fmac_f32_e32 v209, v155, v6
	v_fma_f32 v2, v154, v6, -v2
	v_dual_mul_f32 v214, v164, v17 :: v_dual_mul_f32 v215, v166, v19
	s_delay_alu instid0(VALU_DEP_4) | instskip(SKIP_2) | instid1(VALU_DEP_4)
	v_add_f32_e32 v3, v3, v4
	v_mul_f32_e32 v7, v157, v9
	v_dual_add_f32 v4, v5, v208 :: v_dual_fmac_f32 v213, v163, v14
	v_fmac_f32_e32 v214, v165, v16
	s_delay_alu instid0(VALU_DEP_4) | instskip(NEXT) | instid1(VALU_DEP_4)
	v_add_f32_e32 v2, v3, v2
	v_fma_f32 v6, v156, v8, -v7
	v_mul_f32_e32 v5, v159, v11
	v_add_f32_e32 v3, v4, v209
	v_mul_f32_e32 v4, v161, v13
	v_dual_mul_f32 v216, v168, v21 :: v_dual_mul_f32 v217, v170, v119
	v_add_f32_e32 v2, v2, v6
	v_fma_f32 v5, v158, v10, -v5
	v_mul_f32_e32 v6, v163, v15
	v_add_f32_e32 v3, v3, v210
	v_fma_f32 v4, v160, v12, -v4
	v_dual_mul_f32 v218, v172, v121 :: v_dual_mul_f32 v219, v174, v123
	s_delay_alu instid0(VALU_DEP_3) | instskip(SKIP_2) | instid1(VALU_DEP_3)
	v_dual_add_f32 v2, v2, v5 :: v_dual_add_f32 v3, v3, v211
	v_mul_f32_e32 v5, v165, v17
	v_fma_f32 v6, v162, v14, -v6
	v_dual_fmac_f32 v215, v167, v18 :: v_dual_add_f32 v2, v2, v4
	s_delay_alu instid0(VALU_DEP_4) | instskip(SKIP_3) | instid1(VALU_DEP_4)
	v_add_f32_e32 v3, v3, v212
	v_mul_f32_e32 v4, v167, v19
	v_fma_f32 v5, v164, v16, -v5
	v_fmac_f32_e32 v216, v169, v20
	v_dual_add_f32 v2, v2, v6 :: v_dual_add_f32 v3, v3, v213
	v_mul_f32_e32 v6, v169, v21
	v_fma_f32 v4, v166, v18, -v4
	v_dual_fmac_f32 v217, v171, v118 :: v_dual_fmac_f32 v218, v173, v120
	s_delay_alu instid0(VALU_DEP_4) | instskip(SKIP_3) | instid1(VALU_DEP_4)
	v_dual_add_f32 v2, v2, v5 :: v_dual_add_f32 v3, v3, v214
	v_mul_f32_e32 v5, v171, v119
	v_fma_f32 v6, v168, v20, -v6
	v_dual_mul_f32 v220, v176, v125 :: v_dual_mul_f32 v221, v178, v127
	v_dual_add_f32 v2, v2, v4 :: v_dual_add_f32 v3, v3, v215
	v_mul_f32_e32 v4, v173, v121
	v_fma_f32 v5, v170, v118, -v5
	v_fmac_f32_e32 v219, v175, v122
	s_delay_alu instid0(VALU_DEP_4) | instskip(SKIP_3) | instid1(VALU_DEP_4)
	v_dual_add_f32 v2, v2, v6 :: v_dual_add_f32 v3, v3, v216
	v_mul_f32_e32 v6, v175, v123
	v_fma_f32 v4, v172, v120, -v4
	v_fmac_f32_e32 v220, v177, v124
	v_add_f32_e32 v2, v2, v5
	v_add_f32_e32 v3, v3, v217
	v_mul_f32_e32 v5, v177, v125
	v_fma_f32 v6, v174, v122, -v6
	v_dual_mul_f32 v222, v180, v129 :: v_dual_mul_f32 v223, v182, v131
	s_delay_alu instid0(VALU_DEP_4) | instskip(SKIP_3) | instid1(VALU_DEP_4)
	v_dual_add_f32 v2, v2, v4 :: v_dual_add_f32 v3, v3, v218
	v_mul_f32_e32 v4, v179, v127
	v_fma_f32 v5, v176, v124, -v5
	v_fmac_f32_e32 v221, v179, v126
	v_dual_add_f32 v2, v2, v6 :: v_dual_add_f32 v3, v3, v219
	v_mul_f32_e32 v6, v181, v129
	v_fma_f32 v4, v178, v126, -v4
	v_fmac_f32_e32 v222, v181, v128
	s_delay_alu instid0(VALU_DEP_4) | instskip(SKIP_2) | instid1(VALU_DEP_3)
	v_dual_add_f32 v2, v2, v5 :: v_dual_add_f32 v3, v3, v220
	v_dual_mul_f32 v5, v183, v131 :: v_dual_mul_f32 v224, v184, v133
	v_mul_f32_e32 v225, v186, v135
	v_dual_add_f32 v2, v2, v4 :: v_dual_add_f32 v3, v3, v221
	v_fma_f32 v6, v180, v128, -v6
	v_dual_mul_f32 v4, v185, v133 :: v_dual_fmac_f32 v223, v183, v130
	v_fma_f32 v5, v182, v130, -v5
	s_delay_alu instid0(VALU_DEP_4) | instskip(NEXT) | instid1(VALU_DEP_4)
	v_dual_add_f32 v3, v3, v222 :: v_dual_fmac_f32 v224, v185, v132
	v_add_f32_e32 v2, v2, v6
	v_mul_f32_e32 v6, v187, v135
	v_dual_mul_f32 v226, v188, v137 :: v_dual_mul_f32 v227, v190, v139
	s_delay_alu instid0(VALU_DEP_4) | instskip(SKIP_3) | instid1(VALU_DEP_4)
	v_add_f32_e32 v3, v3, v223
	v_fma_f32 v4, v184, v132, -v4
	v_dual_add_f32 v2, v2, v5 :: v_dual_fmac_f32 v225, v187, v134
	v_fma_f32 v6, v186, v134, -v6
	v_add_f32_e32 v3, v3, v224
	s_delay_alu instid0(VALU_DEP_3) | instskip(SKIP_1) | instid1(VALU_DEP_3)
	v_dual_mul_f32 v5, v189, v137 :: v_dual_add_f32 v2, v2, v4
	v_dual_fmac_f32 v226, v189, v136 :: v_dual_fmac_f32 v227, v191, v138
	v_add_f32_e32 v3, v3, v225
	v_dual_mul_f32 v228, v192, v141 :: v_dual_mul_f32 v229, v194, v143
	v_mul_f32_e32 v4, v191, v139
	v_fma_f32 v5, v188, v136, -v5
	v_add_f32_e32 v2, v2, v6
	v_dual_mul_f32 v6, v193, v141 :: v_dual_add_f32 v3, v3, v226
	s_delay_alu instid0(VALU_DEP_4) | instskip(SKIP_1) | instid1(VALU_DEP_4)
	v_fma_f32 v4, v190, v138, -v4
	v_fmac_f32_e32 v228, v193, v140
	v_dual_add_f32 v2, v2, v5 :: v_dual_mul_f32 v5, v195, v143
	s_delay_alu instid0(VALU_DEP_4) | instskip(SKIP_1) | instid1(VALU_DEP_3)
	v_add_f32_e32 v3, v3, v227
	v_fma_f32 v6, v192, v140, -v6
	v_dual_fmac_f32 v229, v195, v142 :: v_dual_add_f32 v2, v2, v4
	s_delay_alu instid0(VALU_DEP_3) | instskip(SKIP_2) | instid1(VALU_DEP_3)
	v_dual_mul_f32 v4, v197, v145 :: v_dual_add_f32 v3, v3, v228
	v_dual_mul_f32 v231, v198, v147 :: v_dual_mul_f32 v232, v200, v149
	v_fma_f32 v5, v194, v142, -v5
	v_dual_add_f32 v2, v2, v6 :: v_dual_add_f32 v3, v3, v229
	s_delay_alu instid0(VALU_DEP_3) | instskip(SKIP_2) | instid1(VALU_DEP_3)
	v_dual_fmac_f32 v230, v197, v144 :: v_dual_fmac_f32 v231, v199, v146
	v_mul_f32_e32 v6, v199, v147
	v_fma_f32 v4, v196, v144, -v4
	v_dual_add_f32 v2, v2, v5 :: v_dual_add_f32 v3, v3, v230
	v_mul_f32_e32 v5, v201, v149
	s_delay_alu instid0(VALU_DEP_4) | instskip(SKIP_1) | instid1(VALU_DEP_4)
	v_fma_f32 v6, v198, v146, -v6
	v_dual_fmac_f32 v232, v201, v148 :: v_dual_fmac_f32 v233, v207, v202
	v_dual_add_f32 v2, v2, v4 :: v_dual_add_f32 v3, v3, v231
	v_mul_f32_e32 v4, v207, v203
	v_fma_f32 v5, v200, v148, -v5
	s_delay_alu instid0(VALU_DEP_3) | instskip(NEXT) | instid1(VALU_DEP_3)
	v_dual_add_f32 v2, v2, v6 :: v_dual_add_f32 v3, v3, v232
	v_fma_f32 v4, v206, v202, -v4
	s_delay_alu instid0(VALU_DEP_2) | instskip(SKIP_1) | instid1(VALU_DEP_1)
	v_add_f32_e32 v3, v3, v233
	s_wait_loadcnt 0x0
	v_dual_add_f32 v2, v2, v5 :: v_dual_sub_f32 v3, v205, v3
	s_delay_alu instid0(VALU_DEP_1) | instskip(NEXT) | instid1(VALU_DEP_1)
	v_add_f32_e32 v2, v2, v4
	v_sub_f32_e32 v2, v204, v2
	scratch_store_b64 off, v[2:3], off offset:152
	v_cmpx_lt_u32_e32 18, v0
	s_cbranch_execz .LBB46_259
; %bb.258:
	scratch_load_b64 v[3:4], off, off offset:144
	v_mov_b32_e32 v2, v1
	scratch_store_b64 off, v[1:2], off offset:144
	s_wait_loadcnt 0x0
	ds_store_b64 v23, v[3:4]
.LBB46_259:
	s_wait_alu 0xfffe
	s_or_b32 exec_lo, exec_lo, s0
	s_wait_storecnt_dscnt 0x0
	s_barrier_signal -1
	s_barrier_wait -1
	global_inv scope:SCOPE_SE
	s_clause 0xe
	scratch_load_b128 v[2:5], off, off offset:152
	scratch_load_b128 v[6:9], off, off offset:168
	;; [unrolled: 1-line block ×14, first 2 shown]
	scratch_load_b64 v[210:211], off, off offset:144
	ds_load_2addr_b64 v[154:157], v1 offset0:67 offset1:68
	ds_load_2addr_b64 v[158:161], v1 offset0:69 offset1:70
	;; [unrolled: 1-line block ×14, first 2 shown]
	s_mov_b32 s0, exec_lo
	s_wait_loadcnt_dscnt 0xe0d
	v_dual_mul_f32 v1, v154, v3 :: v_dual_mul_f32 v22, v156, v5
	v_mul_f32_e32 v3, v155, v3
	s_wait_loadcnt_dscnt 0xd0c
	v_dual_mul_f32 v5, v157, v5 :: v_dual_mul_f32 v212, v158, v7
	s_delay_alu instid0(VALU_DEP_3) | instskip(NEXT) | instid1(VALU_DEP_3)
	v_dual_mul_f32 v213, v160, v9 :: v_dual_fmac_f32 v22, v157, v4
	v_fma_f32 v3, v154, v2, -v3
	v_fmac_f32_e32 v1, v155, v2
	v_mul_f32_e32 v2, v159, v7
	v_fma_f32 v4, v156, v4, -v5
	s_delay_alu instid0(VALU_DEP_4)
	v_dual_fmac_f32 v212, v159, v6 :: v_dual_add_f32 v3, 0, v3
	s_wait_loadcnt_dscnt 0xa09
	v_dual_mul_f32 v218, v170, v19 :: v_dual_mul_f32 v219, v172, v21
	v_fma_f32 v2, v158, v6, -v2
	v_dual_mul_f32 v214, v162, v11 :: v_dual_mul_f32 v215, v164, v13
	v_add_f32_e32 v3, v3, v4
	v_dual_mul_f32 v5, v161, v9 :: v_dual_mul_f32 v216, v166, v15
	v_dual_mul_f32 v217, v168, v17 :: v_dual_mul_f32 v4, v163, v11
	s_delay_alu instid0(VALU_DEP_3) | instskip(NEXT) | instid1(VALU_DEP_3)
	v_add_f32_e32 v2, v3, v2
	v_fma_f32 v5, v160, v8, -v5
	v_dual_mul_f32 v3, v165, v13 :: v_dual_fmac_f32 v218, v171, v18
	s_delay_alu instid0(VALU_DEP_4) | instskip(SKIP_1) | instid1(VALU_DEP_4)
	v_fma_f32 v4, v162, v10, -v4
	v_dual_fmac_f32 v213, v161, v8 :: v_dual_fmac_f32 v214, v163, v10
	v_add_f32_e32 v2, v2, v5
	v_add_f32_e32 v1, 0, v1
	v_fma_f32 v3, v164, v12, -v3
	v_fmac_f32_e32 v216, v167, v14
	s_wait_loadcnt_dscnt 0x908
	v_dual_mul_f32 v220, v174, v119 :: v_dual_mul_f32 v221, v176, v121
	v_dual_add_f32 v1, v1, v22 :: v_dual_add_f32 v2, v2, v4
	v_mul_f32_e32 v4, v169, v17
	s_wait_loadcnt_dscnt 0x706
	v_dual_mul_f32 v224, v182, v127 :: v_dual_mul_f32 v225, v184, v129
	s_delay_alu instid0(VALU_DEP_3) | instskip(NEXT) | instid1(VALU_DEP_3)
	v_dual_add_f32 v1, v1, v212 :: v_dual_add_f32 v2, v2, v3
	v_fma_f32 v4, v168, v16, -v4
	v_mul_f32_e32 v5, v167, v15
	v_dual_mul_f32 v222, v178, v123 :: v_dual_mul_f32 v223, v180, v125
	s_wait_loadcnt_dscnt 0x403
	v_dual_add_f32 v1, v1, v213 :: v_dual_mul_f32 v230, v194, v139
	v_mul_f32_e32 v231, v196, v141
	v_fma_f32 v5, v166, v14, -v5
	v_fmac_f32_e32 v215, v165, v12
	s_delay_alu instid0(VALU_DEP_4)
	v_add_f32_e32 v1, v1, v214
	v_fmac_f32_e32 v220, v175, v118
	v_dual_mul_f32 v226, v186, v131 :: v_dual_mul_f32 v227, v188, v133
	v_add_f32_e32 v2, v2, v5
	v_dual_fmac_f32 v222, v179, v122 :: v_dual_fmac_f32 v221, v177, v120
	v_dual_mul_f32 v228, v190, v135 :: v_dual_mul_f32 v229, v192, v137
	s_delay_alu instid0(VALU_DEP_3) | instskip(SKIP_2) | instid1(VALU_DEP_4)
	v_add_f32_e32 v2, v2, v4
	v_mul_f32_e32 v4, v175, v119
	v_add_f32_e32 v1, v1, v215
	v_dual_fmac_f32 v223, v181, v124 :: v_dual_fmac_f32 v228, v191, v134
	s_wait_loadcnt_dscnt 0x100
	v_dual_mul_f32 v236, v206, v151 :: v_dual_mul_f32 v237, v208, v153
	v_fma_f32 v4, v174, v118, -v4
	v_mul_f32_e32 v5, v173, v21
	v_dual_add_f32 v1, v1, v216 :: v_dual_fmac_f32 v224, v183, v126
	v_dual_fmac_f32 v225, v185, v128 :: v_dual_mul_f32 v232, v198, v143
	v_mul_f32_e32 v233, v200, v145
	s_delay_alu instid0(VALU_DEP_4) | instskip(SKIP_2) | instid1(VALU_DEP_4)
	v_fma_f32 v5, v172, v20, -v5
	v_mul_f32_e32 v3, v171, v19
	v_dual_mul_f32 v234, v202, v147 :: v_dual_mul_f32 v235, v204, v149
	v_fmac_f32_e32 v233, v201, v144
	v_fmac_f32_e32 v237, v209, v152
	s_delay_alu instid0(VALU_DEP_4) | instskip(SKIP_3) | instid1(VALU_DEP_4)
	v_fma_f32 v3, v170, v18, -v3
	v_fmac_f32_e32 v217, v169, v16
	v_dual_fmac_f32 v235, v205, v148 :: v_dual_fmac_f32 v230, v195, v138
	v_fmac_f32_e32 v226, v187, v130
	v_dual_add_f32 v2, v2, v3 :: v_dual_mul_f32 v3, v177, v121
	v_fmac_f32_e32 v236, v207, v150
	v_fmac_f32_e32 v232, v199, v142
	;; [unrolled: 1-line block ×3, first 2 shown]
	s_delay_alu instid0(VALU_DEP_4) | instskip(SKIP_1) | instid1(VALU_DEP_2)
	v_dual_add_f32 v2, v2, v5 :: v_dual_mul_f32 v5, v179, v123
	v_fma_f32 v3, v176, v120, -v3
	v_dual_add_f32 v2, v2, v4 :: v_dual_add_f32 v1, v1, v217
	v_mul_f32_e32 v4, v181, v125
	s_delay_alu instid0(VALU_DEP_4) | instskip(NEXT) | instid1(VALU_DEP_3)
	v_fma_f32 v5, v178, v122, -v5
	v_dual_add_f32 v2, v2, v3 :: v_dual_fmac_f32 v219, v173, v20
	s_delay_alu instid0(VALU_DEP_3) | instskip(NEXT) | instid1(VALU_DEP_2)
	v_fma_f32 v4, v180, v124, -v4
	v_add_f32_e32 v2, v2, v5
	v_mul_f32_e32 v5, v185, v129
	s_delay_alu instid0(VALU_DEP_2) | instskip(NEXT) | instid1(VALU_DEP_2)
	v_dual_add_f32 v1, v1, v218 :: v_dual_add_f32 v2, v2, v4
	v_fma_f32 v5, v184, v128, -v5
	v_mul_f32_e32 v3, v183, v127
	s_delay_alu instid0(VALU_DEP_3) | instskip(SKIP_1) | instid1(VALU_DEP_3)
	v_add_f32_e32 v1, v1, v219
	v_mul_f32_e32 v4, v187, v131
	v_fma_f32 v3, v182, v126, -v3
	s_delay_alu instid0(VALU_DEP_3) | instskip(NEXT) | instid1(VALU_DEP_3)
	v_add_f32_e32 v1, v1, v220
	v_fma_f32 v4, v186, v130, -v4
	s_delay_alu instid0(VALU_DEP_3) | instskip(NEXT) | instid1(VALU_DEP_1)
	v_add_f32_e32 v2, v2, v3
	v_add_f32_e32 v2, v2, v5
	s_delay_alu instid0(VALU_DEP_4) | instskip(NEXT) | instid1(VALU_DEP_2)
	v_add_f32_e32 v1, v1, v221
	v_dual_mul_f32 v5, v191, v135 :: v_dual_add_f32 v2, v2, v4
	v_mul_f32_e32 v4, v193, v137
	s_delay_alu instid0(VALU_DEP_2) | instskip(NEXT) | instid1(VALU_DEP_2)
	v_fma_f32 v5, v190, v134, -v5
	v_fma_f32 v4, v192, v136, -v4
	v_mul_f32_e32 v3, v189, v133
	s_delay_alu instid0(VALU_DEP_1) | instskip(NEXT) | instid1(VALU_DEP_1)
	v_fma_f32 v3, v188, v132, -v3
	v_dual_add_f32 v1, v1, v222 :: v_dual_add_f32 v2, v2, v3
	s_delay_alu instid0(VALU_DEP_1) | instskip(NEXT) | instid1(VALU_DEP_2)
	v_add_f32_e32 v1, v1, v223
	v_dual_mul_f32 v3, v195, v139 :: v_dual_add_f32 v2, v2, v5
	v_mul_f32_e32 v5, v197, v141
	s_delay_alu instid0(VALU_DEP_2) | instskip(NEXT) | instid1(VALU_DEP_3)
	v_fma_f32 v3, v194, v138, -v3
	v_add_f32_e32 v2, v2, v4
	v_dual_add_f32 v1, v1, v224 :: v_dual_mul_f32 v4, v199, v143
	s_delay_alu instid0(VALU_DEP_4) | instskip(NEXT) | instid1(VALU_DEP_2)
	v_fma_f32 v5, v196, v140, -v5
	v_dual_add_f32 v2, v2, v3 :: v_dual_add_f32 v1, v1, v225
	v_fmac_f32_e32 v227, v189, v132
	v_mul_f32_e32 v3, v201, v145
	v_fma_f32 v4, v198, v142, -v4
	s_delay_alu instid0(VALU_DEP_4) | instskip(SKIP_1) | instid1(VALU_DEP_4)
	v_dual_add_f32 v2, v2, v5 :: v_dual_add_f32 v1, v1, v226
	v_mul_f32_e32 v5, v203, v147
	v_fma_f32 v3, v200, v144, -v3
	s_delay_alu instid0(VALU_DEP_3) | instskip(SKIP_3) | instid1(VALU_DEP_4)
	v_dual_add_f32 v2, v2, v4 :: v_dual_add_f32 v1, v1, v227
	v_fmac_f32_e32 v229, v193, v136
	v_mul_f32_e32 v4, v205, v149
	v_fma_f32 v5, v202, v146, -v5
	v_dual_add_f32 v2, v2, v3 :: v_dual_add_f32 v1, v1, v228
	v_mul_f32_e32 v3, v207, v151
	s_delay_alu instid0(VALU_DEP_4) | instskip(NEXT) | instid1(VALU_DEP_3)
	v_fma_f32 v4, v204, v148, -v4
	v_add_f32_e32 v2, v2, v5
	s_delay_alu instid0(VALU_DEP_4) | instskip(SKIP_2) | instid1(VALU_DEP_4)
	v_add_f32_e32 v1, v1, v229
	v_mul_f32_e32 v5, v209, v153
	v_fma_f32 v3, v206, v150, -v3
	v_add_f32_e32 v2, v2, v4
	v_fmac_f32_e32 v231, v197, v140
	s_delay_alu instid0(VALU_DEP_4) | instskip(NEXT) | instid1(VALU_DEP_3)
	v_fma_f32 v4, v208, v152, -v5
	v_dual_add_f32 v2, v2, v3 :: v_dual_add_f32 v1, v1, v230
	s_delay_alu instid0(VALU_DEP_1) | instskip(NEXT) | instid1(VALU_DEP_1)
	v_dual_add_f32 v2, v2, v4 :: v_dual_add_f32 v1, v1, v231
	v_add_f32_e32 v1, v1, v232
	s_delay_alu instid0(VALU_DEP_1) | instskip(NEXT) | instid1(VALU_DEP_1)
	v_add_f32_e32 v1, v1, v233
	v_add_f32_e32 v1, v1, v234
	s_delay_alu instid0(VALU_DEP_1) | instskip(NEXT) | instid1(VALU_DEP_1)
	v_add_f32_e32 v1, v1, v235
	v_add_f32_e32 v1, v1, v236
	s_delay_alu instid0(VALU_DEP_1) | instskip(SKIP_1) | instid1(VALU_DEP_1)
	v_add_f32_e32 v3, v1, v237
	s_wait_loadcnt 0x0
	v_dual_sub_f32 v1, v210, v2 :: v_dual_sub_f32 v2, v211, v3
	scratch_store_b64 off, v[1:2], off offset:144
	v_cmpx_lt_u32_e32 17, v0
	s_cbranch_execz .LBB46_261
; %bb.260:
	scratch_load_b64 v[1:2], off, off offset:136
	v_mov_b32_e32 v3, 0
	s_delay_alu instid0(VALU_DEP_1)
	v_mov_b32_e32 v4, v3
	scratch_store_b64 off, v[3:4], off offset:136
	s_wait_loadcnt 0x0
	ds_store_b64 v23, v[1:2]
.LBB46_261:
	s_wait_alu 0xfffe
	s_or_b32 exec_lo, exec_lo, s0
	s_wait_storecnt_dscnt 0x0
	s_barrier_signal -1
	s_barrier_wait -1
	global_inv scope:SCOPE_SE
	s_clause 0xf
	scratch_load_b128 v[2:5], off, off offset:144
	scratch_load_b128 v[6:9], off, off offset:160
	;; [unrolled: 1-line block ×14, first 2 shown]
	scratch_load_b64 v[210:211], off, off offset:368
	scratch_load_b64 v[212:213], off, off offset:136
	v_mov_b32_e32 v1, 0
	ds_load_b128 v[154:157], v1 offset:528
	ds_load_b128 v[158:161], v1 offset:544
	;; [unrolled: 1-line block ×14, first 2 shown]
	ds_load_b64 v[214:215], v1 offset:752
	s_mov_b32 s0, exec_lo
	s_wait_loadcnt_dscnt 0xf0e
	v_mul_f32_e32 v22, v154, v3
	s_wait_loadcnt_dscnt 0xe0d
	v_dual_mul_f32 v216, v156, v5 :: v_dual_mul_f32 v217, v158, v7
	v_mul_f32_e32 v5, v157, v5
	s_wait_loadcnt_dscnt 0xd0c
	v_dual_mul_f32 v218, v160, v9 :: v_dual_mul_f32 v219, v162, v11
	s_wait_loadcnt_dscnt 0xc0b
	v_dual_mul_f32 v220, v164, v13 :: v_dual_mul_f32 v221, v166, v15
	v_dual_mul_f32 v3, v155, v3 :: v_dual_mul_f32 v222, v168, v17
	s_wait_loadcnt_dscnt 0xb0a
	v_dual_mul_f32 v223, v170, v19 :: v_dual_fmac_f32 v22, v155, v2
	s_wait_loadcnt_dscnt 0x302
	v_mul_f32_e32 v240, v204, v149
	v_fma_f32 v3, v154, v2, -v3
	s_wait_loadcnt_dscnt 0x100
	v_mul_f32_e32 v243, v214, v211
	v_mul_f32_e32 v2, v159, v7
	v_fmac_f32_e32 v216, v157, v4
	v_fma_f32 v4, v156, v4, -v5
	v_add_f32_e32 v3, 0, v3
	v_dual_add_f32 v5, 0, v22 :: v_dual_fmac_f32 v218, v161, v8
	v_fmac_f32_e32 v217, v159, v6
	v_fma_f32 v2, v158, v6, -v2
	s_delay_alu instid0(VALU_DEP_4) | instskip(SKIP_3) | instid1(VALU_DEP_4)
	v_add_f32_e32 v3, v3, v4
	v_mul_f32_e32 v7, v161, v9
	v_dual_add_f32 v4, v5, v216 :: v_dual_fmac_f32 v219, v163, v10
	v_fmac_f32_e32 v220, v165, v12
	v_add_f32_e32 v2, v3, v2
	s_delay_alu instid0(VALU_DEP_4)
	v_fma_f32 v6, v160, v8, -v7
	v_mul_f32_e32 v5, v163, v11
	v_add_f32_e32 v3, v4, v217
	v_dual_mul_f32 v4, v165, v13 :: v_dual_fmac_f32 v221, v167, v14
	v_fmac_f32_e32 v222, v169, v16
	v_add_f32_e32 v2, v2, v6
	v_fma_f32 v5, v162, v10, -v5
	v_mul_f32_e32 v6, v167, v15
	v_add_f32_e32 v3, v3, v218
	v_fma_f32 v4, v164, v12, -v4
	v_dual_mul_f32 v224, v172, v21 :: v_dual_mul_f32 v225, v174, v119
	s_delay_alu instid0(VALU_DEP_3) | instskip(SKIP_3) | instid1(VALU_DEP_4)
	v_dual_add_f32 v2, v2, v5 :: v_dual_add_f32 v3, v3, v219
	v_mul_f32_e32 v5, v169, v17
	v_fma_f32 v6, v166, v14, -v6
	v_dual_mul_f32 v226, v176, v121 :: v_dual_mul_f32 v227, v178, v123
	v_add_f32_e32 v2, v2, v4
	v_add_f32_e32 v3, v3, v220
	v_mul_f32_e32 v4, v171, v19
	v_fma_f32 v5, v168, v16, -v5
	v_fmac_f32_e32 v223, v171, v18
	s_delay_alu instid0(VALU_DEP_4) | instskip(SKIP_3) | instid1(VALU_DEP_4)
	v_dual_add_f32 v2, v2, v6 :: v_dual_add_f32 v3, v3, v221
	v_fmac_f32_e32 v224, v173, v20
	v_mul_f32_e32 v6, v173, v21
	v_fma_f32 v4, v170, v18, -v4
	v_dual_add_f32 v2, v2, v5 :: v_dual_add_f32 v3, v3, v222
	v_mul_f32_e32 v5, v175, v119
	s_delay_alu instid0(VALU_DEP_4) | instskip(SKIP_1) | instid1(VALU_DEP_4)
	v_fma_f32 v6, v172, v20, -v6
	v_dual_fmac_f32 v225, v175, v118 :: v_dual_fmac_f32 v226, v177, v120
	v_dual_add_f32 v2, v2, v4 :: v_dual_add_f32 v3, v3, v223
	v_mul_f32_e32 v4, v177, v121
	v_fma_f32 v5, v174, v118, -v5
	v_fmac_f32_e32 v227, v179, v122
	s_delay_alu instid0(VALU_DEP_4) | instskip(SKIP_3) | instid1(VALU_DEP_4)
	v_dual_add_f32 v2, v2, v6 :: v_dual_add_f32 v3, v3, v224
	v_mul_f32_e32 v6, v179, v123
	v_fma_f32 v4, v176, v120, -v4
	v_dual_mul_f32 v228, v180, v125 :: v_dual_mul_f32 v229, v182, v127
	v_add_f32_e32 v2, v2, v5
	v_add_f32_e32 v3, v3, v225
	v_mul_f32_e32 v5, v181, v125
	v_fma_f32 v6, v178, v122, -v6
	v_fmac_f32_e32 v228, v181, v124
	s_delay_alu instid0(VALU_DEP_4) | instskip(SKIP_3) | instid1(VALU_DEP_4)
	v_dual_add_f32 v2, v2, v4 :: v_dual_add_f32 v3, v3, v226
	v_mul_f32_e32 v4, v183, v127
	v_fma_f32 v5, v180, v124, -v5
	v_dual_mul_f32 v230, v184, v129 :: v_dual_mul_f32 v231, v186, v131
	v_dual_add_f32 v2, v2, v6 :: v_dual_add_f32 v3, v3, v227
	v_dual_mul_f32 v6, v185, v129 :: v_dual_fmac_f32 v229, v183, v126
	v_fma_f32 v4, v182, v126, -v4
	s_delay_alu instid0(VALU_DEP_3) | instskip(SKIP_3) | instid1(VALU_DEP_4)
	v_dual_add_f32 v2, v2, v5 :: v_dual_add_f32 v3, v3, v228
	v_dual_mul_f32 v232, v188, v133 :: v_dual_mul_f32 v233, v190, v135
	v_dual_mul_f32 v5, v187, v131 :: v_dual_fmac_f32 v230, v185, v128
	v_fma_f32 v6, v184, v128, -v6
	v_dual_add_f32 v2, v2, v4 :: v_dual_add_f32 v3, v3, v229
	v_dual_mul_f32 v4, v189, v133 :: v_dual_fmac_f32 v231, v187, v130
	s_delay_alu instid0(VALU_DEP_4) | instskip(NEXT) | instid1(VALU_DEP_3)
	v_fma_f32 v5, v186, v130, -v5
	v_dual_fmac_f32 v232, v189, v132 :: v_dual_add_f32 v3, v3, v230
	s_delay_alu instid0(VALU_DEP_4) | instskip(SKIP_3) | instid1(VALU_DEP_4)
	v_add_f32_e32 v2, v2, v6
	v_mul_f32_e32 v6, v191, v135
	v_fma_f32 v4, v188, v132, -v4
	v_dual_mul_f32 v234, v192, v137 :: v_dual_mul_f32 v235, v194, v139
	v_dual_add_f32 v3, v3, v231 :: v_dual_add_f32 v2, v2, v5
	v_fmac_f32_e32 v233, v191, v134
	v_mul_f32_e32 v5, v193, v137
	v_fma_f32 v6, v190, v134, -v6
	s_delay_alu instid0(VALU_DEP_4) | instskip(SKIP_4) | instid1(VALU_DEP_4)
	v_add_f32_e32 v3, v3, v232
	v_add_f32_e32 v2, v2, v4
	v_mul_f32_e32 v4, v195, v139
	v_dual_fmac_f32 v234, v193, v136 :: v_dual_fmac_f32 v235, v195, v138
	v_fma_f32 v5, v192, v136, -v5
	v_dual_add_f32 v3, v3, v233 :: v_dual_add_f32 v2, v2, v6
	v_dual_mul_f32 v236, v196, v141 :: v_dual_mul_f32 v237, v198, v143
	s_delay_alu instid0(VALU_DEP_2) | instskip(SKIP_1) | instid1(VALU_DEP_4)
	v_dual_mul_f32 v6, v197, v141 :: v_dual_add_f32 v3, v3, v234
	v_fma_f32 v4, v194, v138, -v4
	v_dual_add_f32 v2, v2, v5 :: v_dual_mul_f32 v5, v199, v143
	s_delay_alu instid0(VALU_DEP_3) | instskip(NEXT) | instid1(VALU_DEP_4)
	v_dual_fmac_f32 v236, v197, v140 :: v_dual_add_f32 v3, v3, v235
	v_fma_f32 v6, v196, v140, -v6
	s_delay_alu instid0(VALU_DEP_3) | instskip(SKIP_1) | instid1(VALU_DEP_4)
	v_dual_add_f32 v2, v2, v4 :: v_dual_fmac_f32 v237, v199, v142
	v_dual_mul_f32 v238, v200, v145 :: v_dual_mul_f32 v239, v202, v147
	v_dual_mul_f32 v4, v201, v145 :: v_dual_add_f32 v3, v3, v236
	v_fma_f32 v5, v198, v142, -v5
	s_delay_alu instid0(VALU_DEP_4)
	v_add_f32_e32 v2, v2, v6
	v_mul_f32_e32 v6, v203, v147
	v_dual_fmac_f32 v238, v201, v144 :: v_dual_fmac_f32 v239, v203, v146
	v_fma_f32 v4, v200, v144, -v4
	v_add_f32_e32 v3, v3, v237
	v_add_f32_e32 v2, v2, v5
	v_dual_mul_f32 v241, v206, v151 :: v_dual_mul_f32 v242, v208, v153
	v_mul_f32_e32 v5, v205, v149
	v_fma_f32 v6, v202, v146, -v6
	s_delay_alu instid0(VALU_DEP_4) | instskip(SKIP_3) | instid1(VALU_DEP_4)
	v_dual_add_f32 v3, v3, v238 :: v_dual_add_f32 v2, v2, v4
	v_mul_f32_e32 v4, v207, v151
	v_dual_fmac_f32 v240, v205, v148 :: v_dual_fmac_f32 v241, v207, v150
	v_fma_f32 v5, v204, v148, -v5
	v_dual_add_f32 v3, v3, v239 :: v_dual_add_f32 v2, v2, v6
	v_mul_f32_e32 v6, v209, v153
	v_fma_f32 v4, v206, v150, -v4
	v_fmac_f32_e32 v243, v215, v210
	s_delay_alu instid0(VALU_DEP_4) | instskip(SKIP_2) | instid1(VALU_DEP_3)
	v_dual_add_f32 v3, v3, v240 :: v_dual_add_f32 v2, v2, v5
	v_dual_mul_f32 v5, v215, v211 :: v_dual_fmac_f32 v242, v209, v152
	v_fma_f32 v6, v208, v152, -v6
	v_dual_add_f32 v3, v3, v241 :: v_dual_add_f32 v2, v2, v4
	s_delay_alu instid0(VALU_DEP_3) | instskip(NEXT) | instid1(VALU_DEP_2)
	v_fma_f32 v4, v214, v210, -v5
	v_add_f32_e32 v3, v3, v242
	s_delay_alu instid0(VALU_DEP_1) | instskip(SKIP_1) | instid1(VALU_DEP_1)
	v_dual_add_f32 v2, v2, v6 :: v_dual_add_f32 v3, v3, v243
	s_wait_loadcnt 0x0
	v_dual_add_f32 v2, v2, v4 :: v_dual_sub_f32 v3, v213, v3
	s_delay_alu instid0(VALU_DEP_1)
	v_sub_f32_e32 v2, v212, v2
	scratch_store_b64 off, v[2:3], off offset:136
	v_cmpx_lt_u32_e32 16, v0
	s_cbranch_execz .LBB46_263
; %bb.262:
	scratch_load_b64 v[3:4], off, off offset:128
	v_mov_b32_e32 v2, v1
	scratch_store_b64 off, v[1:2], off offset:128
	s_wait_loadcnt 0x0
	ds_store_b64 v23, v[3:4]
.LBB46_263:
	s_wait_alu 0xfffe
	s_or_b32 exec_lo, exec_lo, s0
	s_wait_storecnt_dscnt 0x0
	s_barrier_signal -1
	s_barrier_wait -1
	global_inv scope:SCOPE_SE
	s_clause 0xf
	scratch_load_b128 v[2:5], off, off offset:136
	scratch_load_b128 v[6:9], off, off offset:152
	;; [unrolled: 1-line block ×15, first 2 shown]
	scratch_load_b64 v[218:219], off, off offset:128
	ds_load_2addr_b64 v[158:161], v1 offset0:65 offset1:66
	ds_load_2addr_b64 v[162:165], v1 offset0:67 offset1:68
	;; [unrolled: 1-line block ×15, first 2 shown]
	s_mov_b32 s0, exec_lo
	s_wait_loadcnt_dscnt 0xf0e
	v_dual_mul_f32 v1, v158, v3 :: v_dual_mul_f32 v22, v160, v5
	v_mul_f32_e32 v3, v159, v3
	s_wait_loadcnt_dscnt 0xe0d
	v_dual_mul_f32 v5, v161, v5 :: v_dual_mul_f32 v220, v162, v7
	s_delay_alu instid0(VALU_DEP_3) | instskip(NEXT) | instid1(VALU_DEP_3)
	v_dual_mul_f32 v221, v164, v9 :: v_dual_fmac_f32 v22, v161, v4
	v_fma_f32 v3, v158, v2, -v3
	v_fmac_f32_e32 v1, v159, v2
	v_mul_f32_e32 v2, v163, v7
	v_fma_f32 v4, v160, v4, -v5
	s_delay_alu instid0(VALU_DEP_4)
	v_dual_fmac_f32 v220, v163, v6 :: v_dual_add_f32 v3, 0, v3
	s_wait_loadcnt_dscnt 0xb0a
	v_dual_mul_f32 v226, v174, v19 :: v_dual_mul_f32 v227, v176, v21
	v_fma_f32 v2, v162, v6, -v2
	v_dual_mul_f32 v222, v166, v11 :: v_dual_mul_f32 v223, v168, v13
	v_add_f32_e32 v3, v3, v4
	v_dual_mul_f32 v5, v165, v9 :: v_dual_mul_f32 v224, v170, v15
	v_dual_mul_f32 v225, v172, v17 :: v_dual_mul_f32 v4, v167, v11
	s_delay_alu instid0(VALU_DEP_3) | instskip(NEXT) | instid1(VALU_DEP_3)
	v_add_f32_e32 v2, v3, v2
	v_fma_f32 v5, v164, v8, -v5
	v_dual_mul_f32 v3, v169, v13 :: v_dual_fmac_f32 v226, v175, v18
	s_delay_alu instid0(VALU_DEP_4) | instskip(SKIP_1) | instid1(VALU_DEP_4)
	v_fma_f32 v4, v166, v10, -v4
	v_dual_fmac_f32 v221, v165, v8 :: v_dual_fmac_f32 v222, v167, v10
	v_add_f32_e32 v2, v2, v5
	v_add_f32_e32 v1, 0, v1
	v_fma_f32 v3, v168, v12, -v3
	v_fmac_f32_e32 v224, v171, v14
	s_wait_loadcnt_dscnt 0xa09
	v_dual_mul_f32 v228, v178, v119 :: v_dual_mul_f32 v229, v180, v121
	v_dual_add_f32 v1, v1, v22 :: v_dual_add_f32 v2, v2, v4
	v_mul_f32_e32 v4, v173, v17
	s_wait_loadcnt_dscnt 0x807
	v_dual_mul_f32 v232, v186, v127 :: v_dual_mul_f32 v233, v188, v129
	s_delay_alu instid0(VALU_DEP_3) | instskip(NEXT) | instid1(VALU_DEP_3)
	v_dual_add_f32 v1, v1, v220 :: v_dual_add_f32 v2, v2, v3
	v_fma_f32 v4, v172, v16, -v4
	v_mul_f32_e32 v5, v171, v15
	v_dual_mul_f32 v230, v182, v123 :: v_dual_mul_f32 v231, v184, v125
	s_wait_loadcnt_dscnt 0x504
	v_dual_add_f32 v1, v1, v221 :: v_dual_mul_f32 v238, v198, v139
	v_mul_f32_e32 v239, v200, v141
	v_fma_f32 v5, v170, v14, -v5
	v_fmac_f32_e32 v223, v169, v12
	s_delay_alu instid0(VALU_DEP_4)
	v_add_f32_e32 v1, v1, v222
	v_fmac_f32_e32 v228, v179, v118
	v_dual_mul_f32 v234, v190, v131 :: v_dual_mul_f32 v235, v192, v133
	v_add_f32_e32 v2, v2, v5
	v_dual_fmac_f32 v230, v183, v122 :: v_dual_fmac_f32 v229, v181, v120
	v_dual_mul_f32 v236, v194, v135 :: v_dual_mul_f32 v237, v196, v137
	s_delay_alu instid0(VALU_DEP_3) | instskip(SKIP_2) | instid1(VALU_DEP_4)
	v_add_f32_e32 v2, v2, v4
	v_mul_f32_e32 v4, v179, v119
	v_add_f32_e32 v1, v1, v223
	v_dual_fmac_f32 v231, v185, v124 :: v_dual_fmac_f32 v236, v195, v134
	s_wait_loadcnt_dscnt 0x201
	v_dual_mul_f32 v244, v210, v151 :: v_dual_mul_f32 v245, v212, v153
	v_fma_f32 v4, v178, v118, -v4
	v_mul_f32_e32 v5, v177, v21
	v_dual_add_f32 v1, v1, v224 :: v_dual_fmac_f32 v232, v187, v126
	v_dual_fmac_f32 v233, v189, v128 :: v_dual_mul_f32 v240, v202, v143
	v_mul_f32_e32 v241, v204, v145
	s_delay_alu instid0(VALU_DEP_4) | instskip(SKIP_4) | instid1(VALU_DEP_3)
	v_fma_f32 v5, v176, v20, -v5
	v_mul_f32_e32 v3, v175, v19
	s_wait_loadcnt_dscnt 0x100
	v_dual_mul_f32 v246, v214, v155 :: v_dual_mul_f32 v247, v216, v157
	v_dual_mul_f32 v242, v206, v147 :: v_dual_mul_f32 v243, v208, v149
	v_fma_f32 v3, v174, v18, -v3
	v_fmac_f32_e32 v225, v173, v16
	v_fmac_f32_e32 v239, v201, v140
	v_fmac_f32_e32 v245, v213, v152
	s_delay_alu instid0(VALU_DEP_4) | instskip(SKIP_3) | instid1(VALU_DEP_4)
	v_dual_fmac_f32 v243, v209, v148 :: v_dual_add_f32 v2, v2, v3
	v_mul_f32_e32 v3, v181, v121
	v_dual_fmac_f32 v247, v217, v156 :: v_dual_fmac_f32 v238, v199, v138
	v_fmac_f32_e32 v234, v191, v130
	v_dual_add_f32 v2, v2, v5 :: v_dual_mul_f32 v5, v183, v123
	s_delay_alu instid0(VALU_DEP_4) | instskip(SKIP_2) | instid1(VALU_DEP_4)
	v_fma_f32 v3, v180, v120, -v3
	v_fmac_f32_e32 v244, v211, v150
	v_fmac_f32_e32 v240, v203, v142
	v_dual_add_f32 v2, v2, v4 :: v_dual_add_f32 v1, v1, v225
	v_mul_f32_e32 v4, v185, v125
	v_fma_f32 v5, v182, v122, -v5
	v_fmac_f32_e32 v246, v215, v154
	s_delay_alu instid0(VALU_DEP_4) | instskip(NEXT) | instid1(VALU_DEP_4)
	v_dual_add_f32 v2, v2, v3 :: v_dual_fmac_f32 v227, v177, v20
	v_fma_f32 v4, v184, v124, -v4
	v_fmac_f32_e32 v242, v207, v146
	s_delay_alu instid0(VALU_DEP_3) | instskip(SKIP_1) | instid1(VALU_DEP_2)
	v_add_f32_e32 v2, v2, v5
	v_mul_f32_e32 v5, v189, v129
	v_dual_add_f32 v1, v1, v226 :: v_dual_add_f32 v2, v2, v4
	s_delay_alu instid0(VALU_DEP_2) | instskip(SKIP_1) | instid1(VALU_DEP_3)
	v_fma_f32 v5, v188, v128, -v5
	v_mul_f32_e32 v3, v187, v127
	v_add_f32_e32 v1, v1, v227
	v_mul_f32_e32 v4, v191, v131
	s_delay_alu instid0(VALU_DEP_3) | instskip(NEXT) | instid1(VALU_DEP_3)
	v_fma_f32 v3, v186, v126, -v3
	v_add_f32_e32 v1, v1, v228
	s_delay_alu instid0(VALU_DEP_3) | instskip(NEXT) | instid1(VALU_DEP_3)
	v_fma_f32 v4, v190, v130, -v4
	v_add_f32_e32 v2, v2, v3
	s_delay_alu instid0(VALU_DEP_1) | instskip(NEXT) | instid1(VALU_DEP_4)
	v_add_f32_e32 v2, v2, v5
	v_add_f32_e32 v1, v1, v229
	s_delay_alu instid0(VALU_DEP_2) | instskip(SKIP_1) | instid1(VALU_DEP_2)
	v_dual_mul_f32 v5, v195, v135 :: v_dual_add_f32 v2, v2, v4
	v_mul_f32_e32 v4, v197, v137
	v_fma_f32 v5, v194, v134, -v5
	s_delay_alu instid0(VALU_DEP_2) | instskip(SKIP_1) | instid1(VALU_DEP_1)
	v_fma_f32 v4, v196, v136, -v4
	v_mul_f32_e32 v3, v193, v133
	v_fma_f32 v3, v192, v132, -v3
	s_delay_alu instid0(VALU_DEP_1) | instskip(NEXT) | instid1(VALU_DEP_1)
	v_dual_add_f32 v1, v1, v230 :: v_dual_add_f32 v2, v2, v3
	v_add_f32_e32 v1, v1, v231
	s_delay_alu instid0(VALU_DEP_2) | instskip(SKIP_1) | instid1(VALU_DEP_2)
	v_dual_mul_f32 v3, v199, v139 :: v_dual_add_f32 v2, v2, v5
	v_mul_f32_e32 v5, v201, v141
	v_fma_f32 v3, v198, v138, -v3
	s_delay_alu instid0(VALU_DEP_3) | instskip(SKIP_1) | instid1(VALU_DEP_4)
	v_add_f32_e32 v2, v2, v4
	v_dual_add_f32 v1, v1, v232 :: v_dual_mul_f32 v4, v203, v143
	v_fma_f32 v5, v200, v140, -v5
	s_delay_alu instid0(VALU_DEP_2) | instskip(SKIP_3) | instid1(VALU_DEP_4)
	v_dual_add_f32 v2, v2, v3 :: v_dual_add_f32 v1, v1, v233
	v_fmac_f32_e32 v235, v193, v132
	v_mul_f32_e32 v3, v205, v145
	v_fma_f32 v4, v202, v142, -v4
	v_dual_add_f32 v2, v2, v5 :: v_dual_add_f32 v1, v1, v234
	v_mul_f32_e32 v5, v207, v147
	s_delay_alu instid0(VALU_DEP_4) | instskip(NEXT) | instid1(VALU_DEP_3)
	v_fma_f32 v3, v204, v144, -v3
	v_dual_add_f32 v2, v2, v4 :: v_dual_add_f32 v1, v1, v235
	v_fmac_f32_e32 v237, v197, v136
	v_mul_f32_e32 v4, v209, v149
	v_fma_f32 v5, v206, v146, -v5
	s_delay_alu instid0(VALU_DEP_4) | instskip(SKIP_1) | instid1(VALU_DEP_4)
	v_dual_add_f32 v2, v2, v3 :: v_dual_add_f32 v1, v1, v236
	v_mul_f32_e32 v3, v211, v151
	v_fma_f32 v4, v208, v148, -v4
	s_delay_alu instid0(VALU_DEP_3) | instskip(NEXT) | instid1(VALU_DEP_4)
	v_add_f32_e32 v2, v2, v5
	v_add_f32_e32 v1, v1, v237
	v_mul_f32_e32 v5, v213, v153
	v_fma_f32 v3, v210, v150, -v3
	s_delay_alu instid0(VALU_DEP_3) | instskip(SKIP_1) | instid1(VALU_DEP_4)
	v_dual_add_f32 v2, v2, v4 :: v_dual_add_f32 v1, v1, v238
	v_mul_f32_e32 v4, v215, v155
	v_fma_f32 v5, v212, v152, -v5
	s_delay_alu instid0(VALU_DEP_3) | instskip(NEXT) | instid1(VALU_DEP_4)
	v_add_f32_e32 v2, v2, v3
	v_add_f32_e32 v1, v1, v239
	v_mul_f32_e32 v3, v217, v157
	v_fma_f32 v4, v214, v154, -v4
	s_delay_alu instid0(VALU_DEP_3) | instskip(NEXT) | instid1(VALU_DEP_3)
	v_dual_add_f32 v2, v2, v5 :: v_dual_add_f32 v1, v1, v240
	v_fma_f32 v3, v216, v156, -v3
	s_delay_alu instid0(VALU_DEP_2) | instskip(NEXT) | instid1(VALU_DEP_1)
	v_add_f32_e32 v2, v2, v4
	v_dual_fmac_f32 v241, v205, v144 :: v_dual_add_f32 v2, v2, v3
	s_delay_alu instid0(VALU_DEP_1) | instskip(NEXT) | instid1(VALU_DEP_1)
	v_add_f32_e32 v1, v1, v241
	v_add_f32_e32 v1, v1, v242
	s_delay_alu instid0(VALU_DEP_1) | instskip(NEXT) | instid1(VALU_DEP_1)
	v_add_f32_e32 v1, v1, v243
	v_add_f32_e32 v1, v1, v244
	;; [unrolled: 3-line block ×3, first 2 shown]
	s_delay_alu instid0(VALU_DEP_1) | instskip(SKIP_1) | instid1(VALU_DEP_1)
	v_add_f32_e32 v3, v1, v247
	s_wait_loadcnt 0x0
	v_dual_sub_f32 v1, v218, v2 :: v_dual_sub_f32 v2, v219, v3
	scratch_store_b64 off, v[1:2], off offset:128
	v_cmpx_lt_u32_e32 15, v0
	s_cbranch_execz .LBB46_265
; %bb.264:
	scratch_load_b64 v[1:2], off, off offset:120
	v_mov_b32_e32 v3, 0
	s_delay_alu instid0(VALU_DEP_1)
	v_mov_b32_e32 v4, v3
	scratch_store_b64 off, v[3:4], off offset:120
	s_wait_loadcnt 0x0
	ds_store_b64 v23, v[1:2]
.LBB46_265:
	s_wait_alu 0xfffe
	s_or_b32 exec_lo, exec_lo, s0
	s_wait_storecnt_dscnt 0x0
	s_barrier_signal -1
	s_barrier_wait -1
	global_inv scope:SCOPE_SE
	s_clause 0x10
	scratch_load_b128 v[1:4], off, off offset:128
	scratch_load_b128 v[5:8], off, off offset:144
	scratch_load_b128 v[9:12], off, off offset:160
	scratch_load_b128 v[13:16], off, off offset:176
	scratch_load_b128 v[17:20], off, off offset:192
	scratch_load_b128 v[118:121], off, off offset:208
	scratch_load_b128 v[122:125], off, off offset:224
	scratch_load_b128 v[126:129], off, off offset:240
	scratch_load_b128 v[130:133], off, off offset:256
	scratch_load_b128 v[134:137], off, off offset:272
	scratch_load_b128 v[138:141], off, off offset:288
	scratch_load_b128 v[142:145], off, off offset:304
	scratch_load_b128 v[146:149], off, off offset:320
	scratch_load_b128 v[150:153], off, off offset:336
	scratch_load_b128 v[154:157], off, off offset:352
	scratch_load_b64 v[218:219], off, off offset:368
	scratch_load_b64 v[220:221], off, off offset:120
	v_mov_b32_e32 v21, 0
	ds_load_b128 v[158:161], v21 offset:512
	ds_load_b128 v[162:165], v21 offset:528
	;; [unrolled: 1-line block ×15, first 2 shown]
	ds_load_b64 v[222:223], v21 offset:752
	s_mov_b32 s0, exec_lo
	s_wait_loadcnt_dscnt 0x100f
	v_mul_f32_e32 v22, v158, v2
	v_mul_f32_e32 v2, v159, v2
	s_wait_loadcnt_dscnt 0xf0e
	v_dual_mul_f32 v224, v160, v4 :: v_dual_mul_f32 v225, v162, v6
	v_mul_f32_e32 v4, v161, v4
	s_wait_loadcnt_dscnt 0xe0d
	v_dual_mul_f32 v226, v164, v8 :: v_dual_mul_f32 v227, v166, v10
	s_delay_alu instid0(VALU_DEP_3)
	v_fmac_f32_e32 v224, v161, v3
	v_fmac_f32_e32 v22, v159, v1
	;; [unrolled: 1-line block ×3, first 2 shown]
	v_fma_f32 v3, v160, v3, -v4
	v_dual_fmac_f32 v227, v167, v9 :: v_dual_mul_f32 v228, v168, v12
	s_wait_loadcnt_dscnt 0x201
	v_dual_mul_f32 v229, v170, v14 :: v_dual_mul_f32 v252, v216, v157
	s_wait_loadcnt_dscnt 0x100
	v_mul_f32_e32 v253, v222, v219
	v_fma_f32 v2, v158, v1, -v2
	v_dual_mul_f32 v1, v163, v6 :: v_dual_mul_f32 v6, v165, v8
	v_add_f32_e32 v4, 0, v22
	v_dual_fmac_f32 v226, v165, v7 :: v_dual_fmac_f32 v229, v171, v13
	s_delay_alu instid0(VALU_DEP_4) | instskip(NEXT) | instid1(VALU_DEP_4)
	v_add_f32_e32 v2, 0, v2
	v_fma_f32 v1, v162, v5, -v1
	v_fma_f32 v5, v164, v7, -v6
	v_dual_mul_f32 v230, v172, v16 :: v_dual_mul_f32 v231, v174, v18
	s_delay_alu instid0(VALU_DEP_4) | instskip(SKIP_2) | instid1(VALU_DEP_3)
	v_add_f32_e32 v2, v2, v3
	v_dual_mul_f32 v232, v176, v20 :: v_dual_mul_f32 v233, v178, v119
	v_fmac_f32_e32 v228, v169, v11
	v_dual_fmac_f32 v230, v173, v15 :: v_dual_add_f32 v1, v2, v1
	v_add_f32_e32 v3, v4, v224
	s_delay_alu instid0(VALU_DEP_4) | instskip(SKIP_1) | instid1(VALU_DEP_4)
	v_dual_fmac_f32 v233, v179, v118 :: v_dual_mul_f32 v234, v180, v121
	v_mul_f32_e32 v235, v182, v123
	v_add_f32_e32 v1, v1, v5
	s_delay_alu instid0(VALU_DEP_4) | instskip(SKIP_1) | instid1(VALU_DEP_4)
	v_dual_add_f32 v2, v3, v225 :: v_dual_mul_f32 v3, v169, v12
	v_dual_mul_f32 v5, v171, v14 :: v_dual_fmac_f32 v232, v177, v19
	v_dual_fmac_f32 v235, v183, v122 :: v_dual_mul_f32 v236, v184, v125
	v_mul_f32_e32 v237, v186, v127
	s_delay_alu instid0(VALU_DEP_4) | instskip(SKIP_4) | instid1(VALU_DEP_4)
	v_fma_f32 v3, v168, v11, -v3
	v_mul_f32_e32 v4, v167, v10
	v_fma_f32 v5, v170, v13, -v5
	v_dual_fmac_f32 v231, v175, v17 :: v_dual_fmac_f32 v234, v181, v120
	v_dual_mul_f32 v238, v188, v129 :: v_dual_mul_f32 v239, v190, v131
	v_fma_f32 v4, v166, v9, -v4
	v_fmac_f32_e32 v236, v185, v124
	v_dual_mul_f32 v240, v192, v133 :: v_dual_mul_f32 v241, v194, v135
	s_delay_alu instid0(VALU_DEP_4) | instskip(NEXT) | instid1(VALU_DEP_4)
	v_fmac_f32_e32 v239, v191, v130
	v_add_f32_e32 v1, v1, v4
	v_mul_f32_e32 v4, v173, v16
	v_fmac_f32_e32 v238, v189, v128
	v_dual_fmac_f32 v240, v193, v132 :: v_dual_fmac_f32 v241, v195, v134
	s_delay_alu instid0(VALU_DEP_4) | instskip(SKIP_3) | instid1(VALU_DEP_4)
	v_dual_add_f32 v1, v1, v3 :: v_dual_add_f32 v2, v2, v226
	v_mul_f32_e32 v3, v175, v18
	v_fma_f32 v4, v172, v15, -v4
	v_dual_mul_f32 v242, v196, v137 :: v_dual_mul_f32 v243, v198, v139
	v_dual_add_f32 v1, v1, v5 :: v_dual_add_f32 v2, v2, v227
	v_mul_f32_e32 v5, v177, v20
	v_fma_f32 v3, v174, v17, -v3
	s_delay_alu instid0(VALU_DEP_4) | instskip(NEXT) | instid1(VALU_DEP_4)
	v_dual_fmac_f32 v242, v197, v136 :: v_dual_fmac_f32 v243, v199, v138
	v_add_f32_e32 v1, v1, v4
	v_add_f32_e32 v2, v2, v228
	v_fma_f32 v5, v176, v19, -v5
	v_mul_f32_e32 v4, v179, v119
	v_fmac_f32_e32 v237, v187, v126
	s_delay_alu instid0(VALU_DEP_4) | instskip(SKIP_1) | instid1(VALU_DEP_4)
	v_dual_add_f32 v1, v1, v3 :: v_dual_add_f32 v2, v2, v229
	v_mul_f32_e32 v3, v181, v121
	v_fma_f32 v4, v178, v118, -v4
	v_dual_mul_f32 v244, v200, v141 :: v_dual_mul_f32 v245, v202, v143
	s_delay_alu instid0(VALU_DEP_4) | instskip(SKIP_2) | instid1(VALU_DEP_4)
	v_add_f32_e32 v1, v1, v5
	v_dual_mul_f32 v5, v183, v123 :: v_dual_add_f32 v2, v2, v230
	v_fma_f32 v3, v180, v120, -v3
	v_dual_fmac_f32 v244, v201, v140 :: v_dual_fmac_f32 v245, v203, v142
	s_delay_alu instid0(VALU_DEP_3) | instskip(SKIP_3) | instid1(VALU_DEP_4)
	v_dual_add_f32 v1, v1, v4 :: v_dual_add_f32 v2, v2, v231
	v_mul_f32_e32 v4, v185, v125
	v_fma_f32 v5, v182, v122, -v5
	v_dual_mul_f32 v246, v204, v145 :: v_dual_mul_f32 v247, v206, v147
	v_dual_add_f32 v2, v2, v232 :: v_dual_add_f32 v1, v1, v3
	v_mul_f32_e32 v3, v187, v127
	v_fma_f32 v4, v184, v124, -v4
	s_delay_alu instid0(VALU_DEP_4) | instskip(NEXT) | instid1(VALU_DEP_4)
	v_dual_fmac_f32 v246, v205, v144 :: v_dual_fmac_f32 v247, v207, v146
	v_add_f32_e32 v2, v2, v233
	v_add_f32_e32 v1, v1, v5
	v_mul_f32_e32 v5, v189, v129
	v_fma_f32 v3, v186, v126, -v3
	v_dual_mul_f32 v248, v208, v149 :: v_dual_mul_f32 v249, v210, v151
	s_delay_alu instid0(VALU_DEP_4) | instskip(SKIP_3) | instid1(VALU_DEP_4)
	v_dual_add_f32 v2, v2, v234 :: v_dual_add_f32 v1, v1, v4
	v_mul_f32_e32 v4, v191, v131
	v_fma_f32 v5, v188, v128, -v5
	v_dual_mul_f32 v250, v212, v153 :: v_dual_mul_f32 v251, v214, v155
	v_add_f32_e32 v2, v2, v235
	v_add_f32_e32 v1, v1, v3
	v_fma_f32 v4, v190, v130, -v4
	s_delay_alu instid0(VALU_DEP_4) | instskip(NEXT) | instid1(VALU_DEP_3)
	v_dual_fmac_f32 v249, v211, v150 :: v_dual_fmac_f32 v250, v213, v152
	v_dual_add_f32 v2, v2, v236 :: v_dual_add_f32 v1, v1, v5
	v_mul_f32_e32 v5, v195, v135
	v_dual_fmac_f32 v251, v215, v154 :: v_dual_fmac_f32 v252, v217, v156
	s_delay_alu instid0(VALU_DEP_3) | instskip(SKIP_3) | instid1(VALU_DEP_4)
	v_dual_add_f32 v2, v2, v237 :: v_dual_add_f32 v1, v1, v4
	v_mul_f32_e32 v3, v193, v133
	v_mul_f32_e32 v4, v197, v137
	v_fma_f32 v5, v194, v134, -v5
	v_add_f32_e32 v2, v2, v238
	v_fmac_f32_e32 v253, v223, v218
	v_fma_f32 v3, v192, v132, -v3
	v_fmac_f32_e32 v248, v209, v148
	s_delay_alu instid0(VALU_DEP_4) | instskip(NEXT) | instid1(VALU_DEP_3)
	v_add_f32_e32 v2, v2, v239
	v_add_f32_e32 v1, v1, v3
	v_mul_f32_e32 v3, v199, v139
	v_fma_f32 v4, v196, v136, -v4
	s_delay_alu instid0(VALU_DEP_4) | instskip(NEXT) | instid1(VALU_DEP_3)
	v_add_f32_e32 v2, v2, v240
	v_fma_f32 v3, v198, v138, -v3
	s_delay_alu instid0(VALU_DEP_2) | instskip(SKIP_1) | instid1(VALU_DEP_2)
	v_add_f32_e32 v2, v2, v241
	v_add_f32_e32 v1, v1, v5
	v_dual_mul_f32 v5, v201, v141 :: v_dual_add_f32 v2, v2, v242
	s_delay_alu instid0(VALU_DEP_2) | instskip(NEXT) | instid1(VALU_DEP_2)
	v_dual_add_f32 v1, v1, v4 :: v_dual_mul_f32 v4, v203, v143
	v_fma_f32 v5, v200, v140, -v5
	s_delay_alu instid0(VALU_DEP_3) | instskip(NEXT) | instid1(VALU_DEP_3)
	v_add_f32_e32 v2, v2, v243
	v_add_f32_e32 v1, v1, v3
	v_mul_f32_e32 v3, v205, v145
	v_fma_f32 v4, v202, v142, -v4
	s_delay_alu instid0(VALU_DEP_4) | instskip(NEXT) | instid1(VALU_DEP_3)
	v_add_f32_e32 v2, v2, v244
	v_fma_f32 v3, v204, v144, -v3
	s_delay_alu instid0(VALU_DEP_2) | instskip(SKIP_1) | instid1(VALU_DEP_2)
	v_add_f32_e32 v2, v2, v245
	v_add_f32_e32 v1, v1, v5
	v_dual_mul_f32 v5, v207, v147 :: v_dual_add_f32 v2, v2, v246
	s_delay_alu instid0(VALU_DEP_2) | instskip(SKIP_1) | instid1(VALU_DEP_3)
	v_add_f32_e32 v1, v1, v4
	v_mul_f32_e32 v4, v209, v149
	v_fma_f32 v5, v206, v146, -v5
	s_delay_alu instid0(VALU_DEP_4) | instskip(NEXT) | instid1(VALU_DEP_4)
	v_add_f32_e32 v2, v2, v247
	v_add_f32_e32 v1, v1, v3
	v_mul_f32_e32 v3, v211, v151
	v_fma_f32 v4, v208, v148, -v4
	s_delay_alu instid0(VALU_DEP_3) | instskip(SKIP_1) | instid1(VALU_DEP_4)
	v_dual_add_f32 v2, v2, v248 :: v_dual_add_f32 v1, v1, v5
	v_mul_f32_e32 v5, v213, v153
	v_fma_f32 v3, v210, v150, -v3
	s_delay_alu instid0(VALU_DEP_3) | instskip(SKIP_1) | instid1(VALU_DEP_4)
	v_dual_add_f32 v2, v2, v249 :: v_dual_add_f32 v1, v1, v4
	;; [unrolled: 4-line block ×3, first 2 shown]
	v_mul_f32_e32 v3, v217, v157
	v_fma_f32 v4, v214, v154, -v4
	s_delay_alu instid0(VALU_DEP_3) | instskip(NEXT) | instid1(VALU_DEP_3)
	v_dual_add_f32 v2, v2, v251 :: v_dual_add_f32 v1, v1, v5
	v_fma_f32 v3, v216, v156, -v3
	s_delay_alu instid0(VALU_DEP_2) | instskip(NEXT) | instid1(VALU_DEP_1)
	v_dual_add_f32 v2, v2, v252 :: v_dual_mul_f32 v5, v223, v219
	v_dual_add_f32 v1, v1, v4 :: v_dual_add_f32 v2, v2, v253
	s_delay_alu instid0(VALU_DEP_2) | instskip(NEXT) | instid1(VALU_DEP_2)
	v_fma_f32 v4, v222, v218, -v5
	v_add_f32_e32 v1, v1, v3
	s_wait_loadcnt 0x0
	s_delay_alu instid0(VALU_DEP_3) | instskip(NEXT) | instid1(VALU_DEP_2)
	v_sub_f32_e32 v2, v221, v2
	v_add_f32_e32 v1, v1, v4
	s_delay_alu instid0(VALU_DEP_1)
	v_sub_f32_e32 v1, v220, v1
	scratch_store_b64 off, v[1:2], off offset:120
	v_cmpx_lt_u32_e32 14, v0
	s_cbranch_execz .LBB46_267
; %bb.266:
	scratch_load_b64 v[1:2], off, off offset:112
	v_mov_b32_e32 v22, v21
	scratch_store_b64 off, v[21:22], off offset:112
	s_wait_loadcnt 0x0
	ds_store_b64 v23, v[1:2]
.LBB46_267:
	s_wait_alu 0xfffe
	s_or_b32 exec_lo, exec_lo, s0
	s_wait_storecnt_dscnt 0x0
	s_barrier_signal -1
	s_barrier_wait -1
	global_inv scope:SCOPE_SE
	s_clause 0x4
	scratch_load_b128 v[5:8], off, off offset:120
	scratch_load_b128 v[1:4], off, off offset:136
	;; [unrolled: 1-line block ×5, first 2 shown]
	ds_load_2addr_b64 v[118:121], v21 offset0:63 offset1:64
	ds_load_2addr_b64 v[122:125], v21 offset0:65 offset1:66
	;; [unrolled: 1-line block ×3, first 2 shown]
	scratch_load_b64 v[130:131], off, off offset:112
	s_mov_b32 s0, exec_lo
	s_wait_loadcnt_dscnt 0x502
	v_dual_mul_f32 v22, v119, v6 :: v_dual_mul_f32 v133, v120, v8
	v_mul_f32_e32 v132, v118, v6
	v_mul_f32_e32 v6, v121, v8
	s_wait_loadcnt_dscnt 0x300
	v_mul_f32_e32 v134, v128, v12
	v_fma_f32 v22, v118, v5, -v22
	v_dual_fmac_f32 v133, v121, v7 :: v_dual_fmac_f32 v132, v119, v5
	v_mul_f32_e32 v121, v126, v10
	v_mul_f32_e32 v119, v122, v2
	v_fma_f32 v118, v120, v7, -v6
	ds_load_2addr_b64 v[5:8], v21 offset0:69 offset1:70
	v_mul_f32_e32 v120, v124, v4
	v_dual_mul_f32 v4, v125, v4 :: v_dual_fmac_f32 v121, v127, v9
	v_mul_f32_e32 v10, v127, v10
	v_mul_f32_e32 v12, v129, v12
	;; [unrolled: 1-line block ×3, first 2 shown]
	v_dual_fmac_f32 v119, v123, v1 :: v_dual_fmac_f32 v120, v125, v3
	v_fma_f32 v123, v124, v3, -v4
	v_fma_f32 v124, v126, v9, -v10
	v_fmac_f32_e32 v134, v129, v11
	v_fma_f32 v125, v128, v11, -v12
	ds_load_2addr_b64 v[9:12], v21 offset0:71 offset1:72
	s_wait_loadcnt_dscnt 0x201
	v_dual_mul_f32 v127, v7, v16 :: v_dual_mul_f32 v126, v5, v14
	s_delay_alu instid0(VALU_DEP_1)
	v_dual_mul_f32 v14, v6, v14 :: v_dual_fmac_f32 v127, v8, v15
	v_fma_f32 v122, v122, v1, -v2
	scratch_load_b128 v[1:4], off, off offset:200
	v_mul_f32_e32 v16, v8, v16
	v_fmac_f32_e32 v126, v6, v13
	v_fma_f32 v13, v5, v13, -v14
	s_delay_alu instid0(VALU_DEP_3)
	v_fma_f32 v14, v7, v15, -v16
	s_wait_loadcnt_dscnt 0x200
	v_mul_f32_e32 v15, v9, v18
	v_mul_f32_e32 v16, v10, v18
	;; [unrolled: 1-line block ×4, first 2 shown]
	ds_load_2addr_b64 v[5:8], v21 offset0:73 offset1:74
	v_fmac_f32_e32 v15, v10, v17
	v_fma_f32 v16, v9, v17, -v16
	v_fmac_f32_e32 v18, v12, v19
	v_fma_f32 v17, v11, v19, -v20
	scratch_load_b128 v[9:12], off, off offset:216
	s_wait_loadcnt_dscnt 0x100
	v_mul_f32_e32 v19, v5, v2
	v_mul_f32_e32 v2, v6, v2
	;; [unrolled: 1-line block ×3, first 2 shown]
	s_delay_alu instid0(VALU_DEP_3) | instskip(NEXT) | instid1(VALU_DEP_3)
	v_dual_mul_f32 v4, v8, v4 :: v_dual_fmac_f32 v19, v6, v1
	v_fma_f32 v128, v5, v1, -v2
	s_delay_alu instid0(VALU_DEP_3) | instskip(NEXT) | instid1(VALU_DEP_3)
	v_fmac_f32_e32 v20, v8, v3
	v_fma_f32 v129, v7, v3, -v4
	ds_load_2addr_b64 v[1:4], v21 offset0:75 offset1:76
	ds_load_2addr_b64 v[5:8], v21 offset0:77 offset1:78
	s_wait_loadcnt_dscnt 0x1
	v_mul_f32_e32 v135, v1, v10
	v_mul_f32_e32 v10, v2, v10
	s_delay_alu instid0(VALU_DEP_2) | instskip(NEXT) | instid1(VALU_DEP_2)
	v_dual_mul_f32 v136, v3, v12 :: v_dual_fmac_f32 v135, v2, v9
	v_fma_f32 v137, v1, v9, -v10
	v_mul_f32_e32 v1, v4, v12
	s_delay_alu instid0(VALU_DEP_3) | instskip(NEXT) | instid1(VALU_DEP_2)
	v_fmac_f32_e32 v136, v4, v11
	v_fma_f32 v138, v3, v11, -v1
	s_clause 0x1
	scratch_load_b128 v[1:4], off, off offset:232
	scratch_load_b128 v[9:12], off, off offset:248
	s_wait_loadcnt_dscnt 0x100
	v_mul_f32_e32 v139, v5, v2
	v_dual_mul_f32 v2, v6, v2 :: v_dual_mul_f32 v141, v7, v4
	s_delay_alu instid0(VALU_DEP_2) | instskip(NEXT) | instid1(VALU_DEP_2)
	v_fmac_f32_e32 v139, v6, v1
	v_fma_f32 v140, v5, v1, -v2
	v_mul_f32_e32 v1, v8, v4
	s_delay_alu instid0(VALU_DEP_4) | instskip(NEXT) | instid1(VALU_DEP_2)
	v_fmac_f32_e32 v141, v8, v3
	v_fma_f32 v142, v7, v3, -v1
	ds_load_2addr_b64 v[1:4], v21 offset0:79 offset1:80
	ds_load_2addr_b64 v[5:8], v21 offset0:81 offset1:82
	s_wait_loadcnt_dscnt 0x1
	v_mul_f32_e32 v143, v1, v10
	v_mul_f32_e32 v145, v3, v12
	s_delay_alu instid0(VALU_DEP_2) | instskip(NEXT) | instid1(VALU_DEP_2)
	v_fmac_f32_e32 v143, v2, v9
	v_dual_mul_f32 v2, v2, v10 :: v_dual_fmac_f32 v145, v4, v11
	s_delay_alu instid0(VALU_DEP_1) | instskip(SKIP_1) | instid1(VALU_DEP_1)
	v_fma_f32 v144, v1, v9, -v2
	v_mul_f32_e32 v1, v4, v12
	v_fma_f32 v146, v3, v11, -v1
	s_clause 0x1
	scratch_load_b128 v[1:4], off, off offset:264
	scratch_load_b128 v[9:12], off, off offset:280
	s_wait_loadcnt_dscnt 0x100
	v_mul_f32_e32 v147, v5, v2
	v_dual_mul_f32 v2, v6, v2 :: v_dual_mul_f32 v149, v7, v4
	s_delay_alu instid0(VALU_DEP_2) | instskip(NEXT) | instid1(VALU_DEP_2)
	v_fmac_f32_e32 v147, v6, v1
	v_fma_f32 v148, v5, v1, -v2
	v_mul_f32_e32 v1, v8, v4
	s_delay_alu instid0(VALU_DEP_4) | instskip(NEXT) | instid1(VALU_DEP_2)
	v_fmac_f32_e32 v149, v8, v3
	v_fma_f32 v150, v7, v3, -v1
	ds_load_2addr_b64 v[1:4], v21 offset0:83 offset1:84
	ds_load_2addr_b64 v[5:8], v21 offset0:85 offset1:86
	s_wait_loadcnt_dscnt 0x1
	v_mul_f32_e32 v151, v1, v10
	v_mul_f32_e32 v153, v3, v12
	s_delay_alu instid0(VALU_DEP_2) | instskip(NEXT) | instid1(VALU_DEP_2)
	v_fmac_f32_e32 v151, v2, v9
	v_dual_mul_f32 v2, v2, v10 :: v_dual_fmac_f32 v153, v4, v11
	s_delay_alu instid0(VALU_DEP_1) | instskip(SKIP_1) | instid1(VALU_DEP_1)
	v_fma_f32 v152, v1, v9, -v2
	v_mul_f32_e32 v1, v4, v12
	v_fma_f32 v154, v3, v11, -v1
	s_clause 0x1
	scratch_load_b128 v[1:4], off, off offset:296
	scratch_load_b128 v[9:12], off, off offset:312
	s_wait_loadcnt_dscnt 0x100
	v_mul_f32_e32 v155, v5, v2
	v_mul_f32_e32 v2, v6, v2
	s_delay_alu instid0(VALU_DEP_1) | instskip(SKIP_1) | instid1(VALU_DEP_1)
	v_fma_f32 v156, v5, v1, -v2
	v_add_f32_e32 v2, 0, v132
	v_add_f32_e32 v2, v2, v133
	s_delay_alu instid0(VALU_DEP_1) | instskip(SKIP_1) | instid1(VALU_DEP_2)
	v_add_f32_e32 v2, v2, v119
	v_fmac_f32_e32 v155, v6, v1
	v_add_f32_e32 v2, v2, v120
	s_delay_alu instid0(VALU_DEP_1) | instskip(NEXT) | instid1(VALU_DEP_1)
	v_dual_mul_f32 v157, v7, v4 :: v_dual_add_f32 v2, v2, v121
	v_dual_fmac_f32 v157, v8, v3 :: v_dual_add_f32 v2, v2, v134
	s_delay_alu instid0(VALU_DEP_1) | instskip(NEXT) | instid1(VALU_DEP_1)
	v_dual_mul_f32 v1, v8, v4 :: v_dual_add_f32 v2, v2, v126
	v_fma_f32 v158, v7, v3, -v1
	s_delay_alu instid0(VALU_DEP_2) | instskip(NEXT) | instid1(VALU_DEP_1)
	v_dual_add_f32 v1, 0, v22 :: v_dual_add_f32 v2, v2, v127
	v_add_f32_e32 v1, v1, v118
	s_delay_alu instid0(VALU_DEP_1) | instskip(NEXT) | instid1(VALU_DEP_1)
	v_add_f32_e32 v1, v1, v122
	v_add_f32_e32 v1, v1, v123
	s_delay_alu instid0(VALU_DEP_1) | instskip(NEXT) | instid1(VALU_DEP_1)
	v_add_f32_e32 v1, v1, v124
	;; [unrolled: 3-line block ×4, first 2 shown]
	v_dual_add_f32 v5, v2, v15 :: v_dual_add_f32 v6, v1, v17
	ds_load_2addr_b64 v[1:4], v21 offset0:87 offset1:88
	v_dual_add_f32 v5, v5, v18 :: v_dual_add_f32 v6, v6, v128
	s_delay_alu instid0(VALU_DEP_1) | instskip(NEXT) | instid1(VALU_DEP_1)
	v_add_f32_e32 v13, v6, v129
	v_add_f32_e32 v13, v13, v137
	s_delay_alu instid0(VALU_DEP_1) | instskip(NEXT) | instid1(VALU_DEP_1)
	v_add_f32_e32 v13, v13, v138
	v_add_f32_e32 v13, v13, v140
	s_delay_alu instid0(VALU_DEP_1) | instskip(NEXT) | instid1(VALU_DEP_1)
	v_add_f32_e32 v18, v13, v142
	v_dual_add_f32 v5, v5, v19 :: v_dual_add_f32 v18, v18, v144
	s_delay_alu instid0(VALU_DEP_1)
	v_add_f32_e32 v14, v5, v20
	ds_load_2addr_b64 v[5:8], v21 offset0:89 offset1:90
	s_wait_loadcnt_dscnt 0x1
	v_mul_f32_e32 v22, v1, v10
	v_mul_f32_e32 v122, v3, v12
	v_mul_f32_e32 v10, v2, v10
	v_mul_f32_e32 v12, v4, v12
	v_add_f32_e32 v14, v14, v135
	v_fmac_f32_e32 v22, v2, v9
	v_fmac_f32_e32 v122, v4, v11
	v_fma_f32 v123, v1, v9, -v10
	v_fma_f32 v124, v3, v11, -v12
	s_clause 0x1
	scratch_load_b128 v[1:4], off, off offset:328
	scratch_load_b128 v[9:12], off, off offset:344
	v_add_f32_e32 v14, v14, v136
	v_add_f32_e32 v18, v18, v146
	s_delay_alu instid0(VALU_DEP_2)
	v_add_f32_e32 v17, v14, v139
	scratch_load_b128 v[13:16], off, off offset:360
	v_add_f32_e32 v118, v18, v148
	s_wait_loadcnt_dscnt 0x200
	v_mul_f32_e32 v127, v7, v4
	v_dual_mul_f32 v4, v8, v4 :: v_dual_add_f32 v17, v17, v141
	s_delay_alu instid0(VALU_DEP_1) | instskip(NEXT) | instid1(VALU_DEP_1)
	v_add_f32_e32 v17, v17, v143
	v_add_f32_e32 v17, v17, v145
	s_delay_alu instid0(VALU_DEP_1)
	v_add_f32_e32 v119, v17, v147
	ds_load_2addr_b64 v[17:20], v21 offset0:91 offset1:92
	v_dual_add_f32 v125, v118, v150 :: v_dual_add_f32 v126, v119, v149
	ds_load_2addr_b64 v[118:121], v21 offset0:93 offset1:94
	s_wait_loadcnt_dscnt 0x101
	v_dual_mul_f32 v128, v17, v10 :: v_dual_fmac_f32 v127, v8, v3
	v_fma_f32 v3, v7, v3, -v4
	v_mul_f32_e32 v4, v20, v12
	s_delay_alu instid0(VALU_DEP_3)
	v_dual_add_f32 v21, v125, v152 :: v_dual_fmac_f32 v128, v18, v9
	v_add_f32_e32 v125, v126, v151
	s_wait_loadcnt_dscnt 0x0
	v_mul_f32_e32 v132, v118, v14
	v_mul_f32_e32 v126, v5, v2
	v_add_f32_e32 v21, v21, v154
	v_mul_f32_e32 v129, v19, v12
	v_add_f32_e32 v125, v125, v153
	v_fmac_f32_e32 v132, v119, v13
	s_delay_alu instid0(VALU_DEP_4) | instskip(NEXT) | instid1(VALU_DEP_4)
	v_dual_fmac_f32 v126, v6, v1 :: v_dual_add_f32 v21, v21, v156
	v_fmac_f32_e32 v129, v20, v11
	s_delay_alu instid0(VALU_DEP_4) | instskip(SKIP_1) | instid1(VALU_DEP_4)
	v_dual_add_f32 v125, v125, v155 :: v_dual_mul_f32 v2, v6, v2
	v_mul_f32_e32 v6, v18, v10
	v_add_f32_e32 v21, v21, v158
	v_fma_f32 v4, v19, v11, -v4
	s_delay_alu instid0(VALU_DEP_4) | instskip(NEXT) | instid1(VALU_DEP_3)
	v_fma_f32 v2, v5, v1, -v2
	v_add_f32_e32 v21, v21, v123
	v_mul_f32_e32 v123, v120, v16
	s_delay_alu instid0(VALU_DEP_2) | instskip(NEXT) | instid1(VALU_DEP_2)
	v_add_f32_e32 v1, v21, v124
	v_fmac_f32_e32 v123, v121, v15
	v_add_f32_e32 v125, v125, v157
	s_delay_alu instid0(VALU_DEP_3) | instskip(NEXT) | instid1(VALU_DEP_2)
	v_add_f32_e32 v1, v1, v2
	v_add_f32_e32 v22, v125, v22
	s_delay_alu instid0(VALU_DEP_2) | instskip(SKIP_1) | instid1(VALU_DEP_3)
	v_add_f32_e32 v1, v1, v3
	v_mul_f32_e32 v3, v119, v14
	v_add_f32_e32 v5, v22, v122
	s_delay_alu instid0(VALU_DEP_2) | instskip(NEXT) | instid1(VALU_DEP_2)
	v_fma_f32 v3, v118, v13, -v3
	v_add_f32_e32 v2, v5, v126
	v_fma_f32 v5, v17, v9, -v6
	s_delay_alu instid0(VALU_DEP_1) | instskip(SKIP_1) | instid1(VALU_DEP_2)
	v_dual_add_f32 v2, v2, v127 :: v_dual_add_f32 v1, v1, v5
	v_mul_f32_e32 v5, v121, v16
	v_add_f32_e32 v2, v2, v128
	s_delay_alu instid0(VALU_DEP_3) | instskip(NEXT) | instid1(VALU_DEP_3)
	v_add_f32_e32 v1, v1, v4
	v_fma_f32 v4, v120, v15, -v5
	s_delay_alu instid0(VALU_DEP_2) | instskip(NEXT) | instid1(VALU_DEP_1)
	v_dual_add_f32 v2, v2, v129 :: v_dual_add_f32 v1, v1, v3
	v_add_f32_e32 v2, v2, v132
	s_delay_alu instid0(VALU_DEP_1) | instskip(NEXT) | instid1(VALU_DEP_1)
	v_dual_add_f32 v1, v1, v4 :: v_dual_add_f32 v2, v2, v123
	v_dual_sub_f32 v1, v130, v1 :: v_dual_sub_f32 v2, v131, v2
	scratch_store_b64 off, v[1:2], off offset:112
	v_cmpx_lt_u32_e32 13, v0
	s_cbranch_execz .LBB46_269
; %bb.268:
	scratch_load_b64 v[1:2], off, off offset:104
	v_mov_b32_e32 v3, 0
	s_delay_alu instid0(VALU_DEP_1)
	v_mov_b32_e32 v4, v3
	scratch_store_b64 off, v[3:4], off offset:104
	s_wait_loadcnt 0x0
	ds_store_b64 v23, v[1:2]
.LBB46_269:
	s_wait_alu 0xfffe
	s_or_b32 exec_lo, exec_lo, s0
	s_wait_storecnt_dscnt 0x0
	s_barrier_signal -1
	s_barrier_wait -1
	global_inv scope:SCOPE_SE
	s_clause 0x4
	scratch_load_b128 v[5:8], off, off offset:112
	scratch_load_b128 v[1:4], off, off offset:128
	;; [unrolled: 1-line block ×5, first 2 shown]
	v_mov_b32_e32 v21, 0
	ds_load_b128 v[118:121], v21 offset:496
	ds_load_b128 v[122:125], v21 offset:512
	;; [unrolled: 1-line block ×3, first 2 shown]
	scratch_load_b64 v[130:131], off, off offset:104
	s_mov_b32 s0, exec_lo
	s_wait_loadcnt_dscnt 0x502
	v_mul_f32_e32 v22, v119, v6
	v_dual_mul_f32 v132, v118, v6 :: v_dual_mul_f32 v133, v120, v8
	v_mul_f32_e32 v6, v121, v8
	s_delay_alu instid0(VALU_DEP_3) | instskip(NEXT) | instid1(VALU_DEP_3)
	v_fma_f32 v22, v118, v5, -v22
	v_dual_fmac_f32 v132, v119, v5 :: v_dual_fmac_f32 v133, v121, v7
	s_wait_loadcnt_dscnt 0x401
	v_mul_f32_e32 v119, v122, v2
	v_fma_f32 v118, v120, v7, -v6
	ds_load_b128 v[5:8], v21 offset:544
	s_wait_loadcnt_dscnt 0x301
	v_dual_mul_f32 v120, v124, v4 :: v_dual_mul_f32 v121, v126, v10
	v_dual_mul_f32 v4, v125, v4 :: v_dual_fmac_f32 v119, v123, v1
	v_mul_f32_e32 v10, v127, v10
	s_delay_alu instid0(VALU_DEP_3)
	v_dual_mul_f32 v134, v128, v12 :: v_dual_fmac_f32 v121, v127, v9
	v_mul_f32_e32 v12, v129, v12
	v_mul_f32_e32 v2, v123, v2
	v_fmac_f32_e32 v120, v125, v3
	v_fma_f32 v123, v124, v3, -v4
	v_fma_f32 v124, v126, v9, -v10
	v_fmac_f32_e32 v134, v129, v11
	v_fma_f32 v125, v128, v11, -v12
	ds_load_b128 v[9:12], v21 offset:560
	s_wait_loadcnt_dscnt 0x201
	v_dual_mul_f32 v127, v7, v16 :: v_dual_mul_f32 v126, v5, v14
	v_mul_f32_e32 v14, v6, v14
	v_mul_f32_e32 v16, v8, v16
	s_delay_alu instid0(VALU_DEP_3)
	v_fmac_f32_e32 v127, v8, v15
	v_fma_f32 v122, v122, v1, -v2
	scratch_load_b128 v[1:4], off, off offset:192
	v_fmac_f32_e32 v126, v6, v13
	v_fma_f32 v13, v5, v13, -v14
	v_fma_f32 v14, v7, v15, -v16
	ds_load_b128 v[5:8], v21 offset:576
	s_wait_loadcnt_dscnt 0x201
	v_mul_f32_e32 v15, v9, v18
	v_mul_f32_e32 v16, v10, v18
	v_mul_f32_e32 v18, v11, v20
	s_delay_alu instid0(VALU_DEP_3) | instskip(NEXT) | instid1(VALU_DEP_3)
	v_dual_mul_f32 v20, v12, v20 :: v_dual_fmac_f32 v15, v10, v17
	v_fma_f32 v16, v9, v17, -v16
	s_delay_alu instid0(VALU_DEP_3) | instskip(NEXT) | instid1(VALU_DEP_3)
	v_fmac_f32_e32 v18, v12, v19
	v_fma_f32 v17, v11, v19, -v20
	scratch_load_b128 v[9:12], off, off offset:208
	s_wait_loadcnt_dscnt 0x100
	v_mul_f32_e32 v19, v5, v2
	v_mul_f32_e32 v2, v6, v2
	;; [unrolled: 1-line block ×3, first 2 shown]
	s_delay_alu instid0(VALU_DEP_3) | instskip(NEXT) | instid1(VALU_DEP_3)
	v_dual_mul_f32 v4, v8, v4 :: v_dual_fmac_f32 v19, v6, v1
	v_fma_f32 v128, v5, v1, -v2
	s_delay_alu instid0(VALU_DEP_3) | instskip(NEXT) | instid1(VALU_DEP_3)
	v_fmac_f32_e32 v20, v8, v3
	v_fma_f32 v129, v7, v3, -v4
	ds_load_b128 v[1:4], v21 offset:592
	ds_load_b128 v[5:8], v21 offset:608
	s_wait_loadcnt_dscnt 0x1
	v_mul_f32_e32 v135, v1, v10
	v_mul_f32_e32 v10, v2, v10
	s_delay_alu instid0(VALU_DEP_2) | instskip(NEXT) | instid1(VALU_DEP_2)
	v_dual_mul_f32 v136, v3, v12 :: v_dual_fmac_f32 v135, v2, v9
	v_fma_f32 v137, v1, v9, -v10
	v_mul_f32_e32 v1, v4, v12
	s_delay_alu instid0(VALU_DEP_3) | instskip(NEXT) | instid1(VALU_DEP_2)
	v_fmac_f32_e32 v136, v4, v11
	v_fma_f32 v138, v3, v11, -v1
	s_clause 0x1
	scratch_load_b128 v[1:4], off, off offset:224
	scratch_load_b128 v[9:12], off, off offset:240
	s_wait_loadcnt_dscnt 0x100
	v_mul_f32_e32 v139, v5, v2
	v_dual_mul_f32 v2, v6, v2 :: v_dual_mul_f32 v141, v7, v4
	s_delay_alu instid0(VALU_DEP_2) | instskip(NEXT) | instid1(VALU_DEP_2)
	v_fmac_f32_e32 v139, v6, v1
	v_fma_f32 v140, v5, v1, -v2
	v_mul_f32_e32 v1, v8, v4
	s_delay_alu instid0(VALU_DEP_4) | instskip(NEXT) | instid1(VALU_DEP_2)
	v_fmac_f32_e32 v141, v8, v3
	v_fma_f32 v142, v7, v3, -v1
	ds_load_b128 v[1:4], v21 offset:624
	ds_load_b128 v[5:8], v21 offset:640
	s_wait_loadcnt_dscnt 0x1
	v_mul_f32_e32 v143, v1, v10
	v_mul_f32_e32 v145, v3, v12
	s_delay_alu instid0(VALU_DEP_2) | instskip(NEXT) | instid1(VALU_DEP_2)
	v_fmac_f32_e32 v143, v2, v9
	v_dual_mul_f32 v2, v2, v10 :: v_dual_fmac_f32 v145, v4, v11
	s_delay_alu instid0(VALU_DEP_1) | instskip(SKIP_1) | instid1(VALU_DEP_1)
	v_fma_f32 v144, v1, v9, -v2
	v_mul_f32_e32 v1, v4, v12
	v_fma_f32 v146, v3, v11, -v1
	s_clause 0x1
	scratch_load_b128 v[1:4], off, off offset:256
	scratch_load_b128 v[9:12], off, off offset:272
	s_wait_loadcnt_dscnt 0x100
	v_mul_f32_e32 v147, v5, v2
	v_dual_mul_f32 v149, v7, v4 :: v_dual_mul_f32 v2, v6, v2
	s_delay_alu instid0(VALU_DEP_2) | instskip(NEXT) | instid1(VALU_DEP_2)
	v_fmac_f32_e32 v147, v6, v1
	v_fmac_f32_e32 v149, v8, v3
	s_delay_alu instid0(VALU_DEP_3) | instskip(SKIP_1) | instid1(VALU_DEP_1)
	v_fma_f32 v148, v5, v1, -v2
	v_mul_f32_e32 v1, v8, v4
	v_fma_f32 v150, v7, v3, -v1
	ds_load_b128 v[1:4], v21 offset:656
	ds_load_b128 v[5:8], v21 offset:672
	s_wait_loadcnt_dscnt 0x1
	v_mul_f32_e32 v151, v1, v10
	v_mul_f32_e32 v153, v3, v12
	s_delay_alu instid0(VALU_DEP_2) | instskip(NEXT) | instid1(VALU_DEP_2)
	v_fmac_f32_e32 v151, v2, v9
	v_dual_mul_f32 v2, v2, v10 :: v_dual_fmac_f32 v153, v4, v11
	s_delay_alu instid0(VALU_DEP_1) | instskip(SKIP_1) | instid1(VALU_DEP_1)
	v_fma_f32 v152, v1, v9, -v2
	v_mul_f32_e32 v1, v4, v12
	v_fma_f32 v154, v3, v11, -v1
	s_clause 0x1
	scratch_load_b128 v[1:4], off, off offset:288
	scratch_load_b128 v[9:12], off, off offset:304
	s_wait_loadcnt_dscnt 0x100
	v_mul_f32_e32 v155, v5, v2
	v_mul_f32_e32 v2, v6, v2
	s_delay_alu instid0(VALU_DEP_1) | instskip(SKIP_1) | instid1(VALU_DEP_1)
	v_fma_f32 v156, v5, v1, -v2
	v_add_f32_e32 v2, 0, v132
	v_add_f32_e32 v2, v2, v133
	s_delay_alu instid0(VALU_DEP_1) | instskip(NEXT) | instid1(VALU_DEP_1)
	v_add_f32_e32 v2, v2, v119
	v_add_f32_e32 v2, v2, v120
	v_mul_f32_e32 v157, v7, v4
	v_fmac_f32_e32 v155, v6, v1
	s_delay_alu instid0(VALU_DEP_2) | instskip(NEXT) | instid1(VALU_DEP_1)
	v_dual_add_f32 v2, v2, v121 :: v_dual_fmac_f32 v157, v8, v3
	v_dual_add_f32 v2, v2, v134 :: v_dual_mul_f32 v1, v8, v4
	s_delay_alu instid0(VALU_DEP_1) | instskip(NEXT) | instid1(VALU_DEP_2)
	v_add_f32_e32 v2, v2, v126
	v_fma_f32 v158, v7, v3, -v1
	s_delay_alu instid0(VALU_DEP_2) | instskip(NEXT) | instid1(VALU_DEP_1)
	v_dual_add_f32 v1, 0, v22 :: v_dual_add_f32 v2, v2, v127
	v_add_f32_e32 v1, v1, v118
	s_delay_alu instid0(VALU_DEP_1) | instskip(NEXT) | instid1(VALU_DEP_1)
	v_add_f32_e32 v1, v1, v122
	v_add_f32_e32 v1, v1, v123
	scratch_load_b64 v[122:123], off, off offset:368
	v_add_f32_e32 v1, v1, v124
	s_delay_alu instid0(VALU_DEP_1) | instskip(NEXT) | instid1(VALU_DEP_1)
	v_add_f32_e32 v1, v1, v125
	v_add_f32_e32 v1, v1, v13
	s_delay_alu instid0(VALU_DEP_1) | instskip(NEXT) | instid1(VALU_DEP_1)
	v_add_f32_e32 v1, v1, v14
	v_add_f32_e32 v1, v1, v16
	s_delay_alu instid0(VALU_DEP_1) | instskip(SKIP_2) | instid1(VALU_DEP_1)
	v_dual_add_f32 v5, v2, v15 :: v_dual_add_f32 v6, v1, v17
	ds_load_b128 v[1:4], v21 offset:688
	v_dual_add_f32 v5, v5, v18 :: v_dual_add_f32 v6, v6, v128
	v_add_f32_e32 v13, v6, v129
	s_delay_alu instid0(VALU_DEP_1) | instskip(NEXT) | instid1(VALU_DEP_1)
	v_add_f32_e32 v13, v13, v137
	v_add_f32_e32 v13, v13, v138
	s_delay_alu instid0(VALU_DEP_1) | instskip(NEXT) | instid1(VALU_DEP_1)
	v_add_f32_e32 v13, v13, v140
	v_add_f32_e32 v18, v13, v142
	s_delay_alu instid0(VALU_DEP_1) | instskip(NEXT) | instid1(VALU_DEP_1)
	v_dual_add_f32 v5, v5, v19 :: v_dual_add_f32 v18, v18, v144
	v_add_f32_e32 v14, v5, v20
	ds_load_b128 v[5:8], v21 offset:704
	s_wait_loadcnt_dscnt 0x101
	v_mul_f32_e32 v22, v1, v10
	v_mul_f32_e32 v10, v2, v10
	;; [unrolled: 1-line block ×4, first 2 shown]
	v_add_f32_e32 v14, v14, v135
	v_fmac_f32_e32 v22, v2, v9
	v_fma_f32 v127, v1, v9, -v10
	v_fmac_f32_e32 v126, v4, v11
	v_fma_f32 v128, v3, v11, -v12
	s_clause 0x1
	scratch_load_b128 v[1:4], off, off offset:320
	scratch_load_b128 v[9:12], off, off offset:336
	v_add_f32_e32 v14, v14, v136
	v_add_f32_e32 v18, v18, v146
	s_delay_alu instid0(VALU_DEP_2) | instskip(SKIP_2) | instid1(VALU_DEP_1)
	v_add_f32_e32 v17, v14, v139
	scratch_load_b128 v[13:16], off, off offset:352
	v_dual_add_f32 v18, v18, v148 :: v_dual_add_f32 v17, v17, v141
	v_add_f32_e32 v18, v18, v150
	s_delay_alu instid0(VALU_DEP_1) | instskip(NEXT) | instid1(VALU_DEP_1)
	v_add_f32_e32 v124, v18, v152
	v_add_f32_e32 v129, v124, v154
	s_wait_loadcnt_dscnt 0x200
	v_mul_f32_e32 v133, v5, v2
	v_dual_mul_f32 v2, v6, v2 :: v_dual_add_f32 v17, v17, v143
	v_mul_f32_e32 v134, v7, v4
	v_mul_f32_e32 v4, v8, v4
	s_delay_alu instid0(VALU_DEP_3) | instskip(NEXT) | instid1(VALU_DEP_3)
	v_fma_f32 v2, v5, v1, -v2
	v_dual_add_f32 v17, v17, v145 :: v_dual_fmac_f32 v134, v8, v3
	s_delay_alu instid0(VALU_DEP_1) | instskip(NEXT) | instid1(VALU_DEP_1)
	v_add_f32_e32 v17, v17, v147
	v_add_f32_e32 v118, v17, v149
	ds_load_b128 v[17:20], v21 offset:720
	v_add_f32_e32 v125, v118, v151
	ds_load_b128 v[118:121], v21 offset:736
	v_add_f32_e32 v132, v125, v153
	ds_load_b64 v[124:125], v21 offset:752
	v_add_f32_e32 v132, v132, v155
	s_delay_alu instid0(VALU_DEP_1) | instskip(SKIP_2) | instid1(VALU_DEP_2)
	v_dual_add_f32 v132, v132, v157 :: v_dual_add_f32 v129, v129, v156
	s_wait_loadcnt_dscnt 0x102
	v_mul_f32_e32 v5, v20, v12
	v_add_f32_e32 v22, v132, v22
	s_delay_alu instid0(VALU_DEP_3) | instskip(SKIP_3) | instid1(VALU_DEP_3)
	v_dual_add_f32 v129, v129, v158 :: v_dual_mul_f32 v132, v19, v12
	v_fmac_f32_e32 v133, v6, v1
	s_wait_loadcnt_dscnt 0x1
	v_mul_f32_e32 v135, v118, v14
	v_dual_add_f32 v22, v22, v126 :: v_dual_add_f32 v127, v129, v127
	s_wait_dscnt 0x0
	v_dual_mul_f32 v129, v17, v10 :: v_dual_mul_f32 v126, v124, v123
	v_fma_f32 v1, v7, v3, -v4
	v_dual_mul_f32 v3, v18, v10 :: v_dual_fmac_f32 v132, v20, v11
	v_dual_add_f32 v127, v127, v128 :: v_dual_add_f32 v4, v22, v133
	s_delay_alu instid0(VALU_DEP_4) | instskip(NEXT) | instid1(VALU_DEP_3)
	v_dual_mul_f32 v128, v120, v16 :: v_dual_fmac_f32 v129, v18, v9
	v_fma_f32 v3, v17, v9, -v3
	s_delay_alu instid0(VALU_DEP_3) | instskip(SKIP_1) | instid1(VALU_DEP_2)
	v_add_f32_e32 v2, v127, v2
	v_fmac_f32_e32 v126, v125, v122
	v_dual_fmac_f32 v128, v121, v15 :: v_dual_add_f32 v1, v2, v1
	v_add_f32_e32 v2, v4, v134
	v_mul_f32_e32 v4, v119, v14
	v_fma_f32 v5, v19, v11, -v5
	s_delay_alu instid0(VALU_DEP_3) | instskip(SKIP_1) | instid1(VALU_DEP_4)
	v_dual_add_f32 v1, v1, v3 :: v_dual_add_f32 v2, v2, v129
	v_fmac_f32_e32 v135, v119, v13
	v_fma_f32 v4, v118, v13, -v4
	s_delay_alu instid0(VALU_DEP_3) | instskip(NEXT) | instid1(VALU_DEP_1)
	v_add_f32_e32 v2, v2, v132
	v_dual_mul_f32 v3, v121, v16 :: v_dual_add_f32 v2, v2, v135
	v_add_f32_e32 v1, v1, v5
	s_delay_alu instid0(VALU_DEP_2) | instskip(NEXT) | instid1(VALU_DEP_3)
	v_fma_f32 v3, v120, v15, -v3
	v_dual_add_f32 v2, v2, v128 :: v_dual_mul_f32 v5, v125, v123
	s_delay_alu instid0(VALU_DEP_1) | instskip(NEXT) | instid1(VALU_DEP_2)
	v_dual_add_f32 v2, v2, v126 :: v_dual_add_f32 v1, v1, v4
	v_fma_f32 v4, v124, v122, -v5
	s_delay_alu instid0(VALU_DEP_2) | instskip(NEXT) | instid1(VALU_DEP_1)
	v_dual_sub_f32 v2, v131, v2 :: v_dual_add_f32 v1, v1, v3
	v_add_f32_e32 v1, v1, v4
	s_delay_alu instid0(VALU_DEP_1)
	v_sub_f32_e32 v1, v130, v1
	scratch_store_b64 off, v[1:2], off offset:104
	v_cmpx_lt_u32_e32 12, v0
	s_cbranch_execz .LBB46_271
; %bb.270:
	scratch_load_b64 v[1:2], off, off offset:96
	v_mov_b32_e32 v22, v21
	scratch_store_b64 off, v[21:22], off offset:96
	s_wait_loadcnt 0x0
	ds_store_b64 v23, v[1:2]
.LBB46_271:
	s_wait_alu 0xfffe
	s_or_b32 exec_lo, exec_lo, s0
	s_wait_storecnt_dscnt 0x0
	s_barrier_signal -1
	s_barrier_wait -1
	global_inv scope:SCOPE_SE
	s_clause 0x4
	scratch_load_b128 v[5:8], off, off offset:104
	scratch_load_b128 v[1:4], off, off offset:120
	;; [unrolled: 1-line block ×5, first 2 shown]
	ds_load_2addr_b64 v[118:121], v21 offset0:61 offset1:62
	ds_load_2addr_b64 v[122:125], v21 offset0:63 offset1:64
	;; [unrolled: 1-line block ×3, first 2 shown]
	scratch_load_b64 v[130:131], off, off offset:96
	s_mov_b32 s0, exec_lo
	s_wait_loadcnt_dscnt 0x502
	v_dual_mul_f32 v22, v119, v6 :: v_dual_mul_f32 v133, v120, v8
	v_mul_f32_e32 v132, v118, v6
	v_mul_f32_e32 v6, v121, v8
	s_wait_loadcnt_dscnt 0x300
	v_mul_f32_e32 v134, v128, v12
	v_fma_f32 v22, v118, v5, -v22
	v_dual_fmac_f32 v133, v121, v7 :: v_dual_fmac_f32 v132, v119, v5
	v_mul_f32_e32 v121, v126, v10
	v_mul_f32_e32 v119, v122, v2
	v_fma_f32 v118, v120, v7, -v6
	ds_load_2addr_b64 v[5:8], v21 offset0:67 offset1:68
	v_mul_f32_e32 v120, v124, v4
	v_dual_mul_f32 v4, v125, v4 :: v_dual_fmac_f32 v121, v127, v9
	v_mul_f32_e32 v10, v127, v10
	v_mul_f32_e32 v12, v129, v12
	v_mul_f32_e32 v2, v123, v2
	v_dual_fmac_f32 v119, v123, v1 :: v_dual_fmac_f32 v120, v125, v3
	v_fma_f32 v123, v124, v3, -v4
	v_fma_f32 v124, v126, v9, -v10
	v_fmac_f32_e32 v134, v129, v11
	v_fma_f32 v125, v128, v11, -v12
	ds_load_2addr_b64 v[9:12], v21 offset0:69 offset1:70
	s_wait_loadcnt_dscnt 0x201
	v_dual_mul_f32 v127, v7, v16 :: v_dual_mul_f32 v126, v5, v14
	s_delay_alu instid0(VALU_DEP_1)
	v_dual_mul_f32 v14, v6, v14 :: v_dual_fmac_f32 v127, v8, v15
	v_fma_f32 v122, v122, v1, -v2
	scratch_load_b128 v[1:4], off, off offset:184
	v_mul_f32_e32 v16, v8, v16
	v_fmac_f32_e32 v126, v6, v13
	v_fma_f32 v13, v5, v13, -v14
	s_delay_alu instid0(VALU_DEP_3)
	v_fma_f32 v14, v7, v15, -v16
	s_wait_loadcnt_dscnt 0x200
	v_mul_f32_e32 v15, v9, v18
	v_mul_f32_e32 v16, v10, v18
	;; [unrolled: 1-line block ×4, first 2 shown]
	ds_load_2addr_b64 v[5:8], v21 offset0:71 offset1:72
	v_fmac_f32_e32 v15, v10, v17
	v_fma_f32 v16, v9, v17, -v16
	v_fmac_f32_e32 v18, v12, v19
	v_fma_f32 v17, v11, v19, -v20
	scratch_load_b128 v[9:12], off, off offset:200
	s_wait_loadcnt_dscnt 0x100
	v_mul_f32_e32 v19, v5, v2
	v_mul_f32_e32 v2, v6, v2
	;; [unrolled: 1-line block ×3, first 2 shown]
	s_delay_alu instid0(VALU_DEP_3) | instskip(NEXT) | instid1(VALU_DEP_3)
	v_dual_mul_f32 v4, v8, v4 :: v_dual_fmac_f32 v19, v6, v1
	v_fma_f32 v128, v5, v1, -v2
	s_delay_alu instid0(VALU_DEP_3) | instskip(NEXT) | instid1(VALU_DEP_3)
	v_fmac_f32_e32 v20, v8, v3
	v_fma_f32 v129, v7, v3, -v4
	ds_load_2addr_b64 v[1:4], v21 offset0:73 offset1:74
	ds_load_2addr_b64 v[5:8], v21 offset0:75 offset1:76
	s_wait_loadcnt_dscnt 0x1
	v_mul_f32_e32 v135, v1, v10
	v_mul_f32_e32 v10, v2, v10
	s_delay_alu instid0(VALU_DEP_2) | instskip(NEXT) | instid1(VALU_DEP_2)
	v_dual_mul_f32 v136, v3, v12 :: v_dual_fmac_f32 v135, v2, v9
	v_fma_f32 v137, v1, v9, -v10
	v_mul_f32_e32 v1, v4, v12
	s_delay_alu instid0(VALU_DEP_3) | instskip(NEXT) | instid1(VALU_DEP_2)
	v_fmac_f32_e32 v136, v4, v11
	v_fma_f32 v138, v3, v11, -v1
	s_clause 0x1
	scratch_load_b128 v[1:4], off, off offset:216
	scratch_load_b128 v[9:12], off, off offset:232
	s_wait_loadcnt_dscnt 0x100
	v_mul_f32_e32 v139, v5, v2
	v_dual_mul_f32 v2, v6, v2 :: v_dual_mul_f32 v141, v7, v4
	s_delay_alu instid0(VALU_DEP_2) | instskip(NEXT) | instid1(VALU_DEP_2)
	v_fmac_f32_e32 v139, v6, v1
	v_fma_f32 v140, v5, v1, -v2
	v_mul_f32_e32 v1, v8, v4
	s_delay_alu instid0(VALU_DEP_4) | instskip(NEXT) | instid1(VALU_DEP_2)
	v_fmac_f32_e32 v141, v8, v3
	v_fma_f32 v142, v7, v3, -v1
	ds_load_2addr_b64 v[1:4], v21 offset0:77 offset1:78
	ds_load_2addr_b64 v[5:8], v21 offset0:79 offset1:80
	s_wait_loadcnt_dscnt 0x1
	v_mul_f32_e32 v143, v1, v10
	v_mul_f32_e32 v145, v3, v12
	s_delay_alu instid0(VALU_DEP_2) | instskip(NEXT) | instid1(VALU_DEP_2)
	v_fmac_f32_e32 v143, v2, v9
	v_dual_mul_f32 v2, v2, v10 :: v_dual_fmac_f32 v145, v4, v11
	s_delay_alu instid0(VALU_DEP_1) | instskip(SKIP_1) | instid1(VALU_DEP_1)
	v_fma_f32 v144, v1, v9, -v2
	v_mul_f32_e32 v1, v4, v12
	v_fma_f32 v146, v3, v11, -v1
	s_clause 0x1
	scratch_load_b128 v[1:4], off, off offset:248
	scratch_load_b128 v[9:12], off, off offset:264
	s_wait_loadcnt_dscnt 0x100
	v_mul_f32_e32 v147, v5, v2
	v_dual_mul_f32 v2, v6, v2 :: v_dual_mul_f32 v149, v7, v4
	s_delay_alu instid0(VALU_DEP_2) | instskip(NEXT) | instid1(VALU_DEP_2)
	v_fmac_f32_e32 v147, v6, v1
	v_fma_f32 v148, v5, v1, -v2
	v_mul_f32_e32 v1, v8, v4
	s_delay_alu instid0(VALU_DEP_4) | instskip(NEXT) | instid1(VALU_DEP_2)
	v_fmac_f32_e32 v149, v8, v3
	v_fma_f32 v150, v7, v3, -v1
	ds_load_2addr_b64 v[1:4], v21 offset0:81 offset1:82
	ds_load_2addr_b64 v[5:8], v21 offset0:83 offset1:84
	s_wait_loadcnt_dscnt 0x1
	v_mul_f32_e32 v151, v1, v10
	v_mul_f32_e32 v153, v3, v12
	s_delay_alu instid0(VALU_DEP_2) | instskip(NEXT) | instid1(VALU_DEP_2)
	v_fmac_f32_e32 v151, v2, v9
	v_dual_mul_f32 v2, v2, v10 :: v_dual_fmac_f32 v153, v4, v11
	s_delay_alu instid0(VALU_DEP_1) | instskip(SKIP_1) | instid1(VALU_DEP_1)
	v_fma_f32 v152, v1, v9, -v2
	v_mul_f32_e32 v1, v4, v12
	v_fma_f32 v154, v3, v11, -v1
	s_clause 0x1
	scratch_load_b128 v[1:4], off, off offset:280
	scratch_load_b128 v[9:12], off, off offset:296
	s_wait_loadcnt_dscnt 0x100
	v_mul_f32_e32 v155, v5, v2
	v_mul_f32_e32 v2, v6, v2
	s_delay_alu instid0(VALU_DEP_1) | instskip(SKIP_1) | instid1(VALU_DEP_1)
	v_fma_f32 v156, v5, v1, -v2
	v_add_f32_e32 v2, 0, v132
	v_add_f32_e32 v2, v2, v133
	s_delay_alu instid0(VALU_DEP_1) | instskip(SKIP_1) | instid1(VALU_DEP_2)
	v_add_f32_e32 v2, v2, v119
	v_fmac_f32_e32 v155, v6, v1
	v_add_f32_e32 v2, v2, v120
	s_delay_alu instid0(VALU_DEP_1) | instskip(NEXT) | instid1(VALU_DEP_1)
	v_dual_mul_f32 v157, v7, v4 :: v_dual_add_f32 v2, v2, v121
	v_dual_fmac_f32 v157, v8, v3 :: v_dual_add_f32 v2, v2, v134
	s_delay_alu instid0(VALU_DEP_1) | instskip(NEXT) | instid1(VALU_DEP_1)
	v_dual_mul_f32 v1, v8, v4 :: v_dual_add_f32 v2, v2, v126
	v_fma_f32 v158, v7, v3, -v1
	s_delay_alu instid0(VALU_DEP_2) | instskip(NEXT) | instid1(VALU_DEP_1)
	v_dual_add_f32 v1, 0, v22 :: v_dual_add_f32 v2, v2, v127
	v_dual_add_f32 v1, v1, v118 :: v_dual_add_f32 v2, v2, v15
	s_delay_alu instid0(VALU_DEP_1) | instskip(NEXT) | instid1(VALU_DEP_2)
	v_add_f32_e32 v1, v1, v122
	v_add_f32_e32 v5, v2, v18
	s_delay_alu instid0(VALU_DEP_2) | instskip(NEXT) | instid1(VALU_DEP_1)
	v_add_f32_e32 v1, v1, v123
	v_add_f32_e32 v1, v1, v124
	s_delay_alu instid0(VALU_DEP_1) | instskip(NEXT) | instid1(VALU_DEP_1)
	v_add_f32_e32 v1, v1, v125
	v_add_f32_e32 v1, v1, v13
	;; [unrolled: 1-line block ×3, first 2 shown]
	s_delay_alu instid0(VALU_DEP_1) | instskip(NEXT) | instid1(VALU_DEP_1)
	v_add_f32_e32 v13, v13, v20
	v_add_f32_e32 v13, v13, v135
	s_delay_alu instid0(VALU_DEP_1) | instskip(NEXT) | instid1(VALU_DEP_1)
	v_add_f32_e32 v18, v13, v136
	v_dual_add_f32 v18, v18, v139 :: v_dual_add_f32 v1, v1, v14
	s_delay_alu instid0(VALU_DEP_1) | instskip(NEXT) | instid1(VALU_DEP_1)
	v_dual_add_f32 v18, v18, v141 :: v_dual_add_f32 v1, v1, v16
	v_dual_add_f32 v118, v18, v143 :: v_dual_add_f32 v1, v1, v17
	s_delay_alu instid0(VALU_DEP_1) | instskip(NEXT) | instid1(VALU_DEP_2)
	v_add_f32_e32 v118, v118, v145
	v_add_f32_e32 v6, v1, v128
	ds_load_2addr_b64 v[1:4], v21 offset0:85 offset1:86
	v_add_f32_e32 v118, v118, v147
	v_add_f32_e32 v14, v6, v129
	scratch_load_b128 v[5:8], off, off offset:312
	v_add_f32_e32 v14, v14, v137
	s_delay_alu instid0(VALU_DEP_1)
	v_add_f32_e32 v17, v14, v138
	ds_load_2addr_b64 v[13:16], v21 offset0:87 offset1:88
	s_wait_loadcnt_dscnt 0x101
	v_mul_f32_e32 v22, v1, v10
	v_mul_f32_e32 v10, v2, v10
	;; [unrolled: 1-line block ×4, first 2 shown]
	s_delay_alu instid0(VALU_DEP_4) | instskip(NEXT) | instid1(VALU_DEP_4)
	v_fmac_f32_e32 v22, v2, v9
	v_fma_f32 v123, v1, v9, -v10
	s_delay_alu instid0(VALU_DEP_4) | instskip(NEXT) | instid1(VALU_DEP_4)
	v_fmac_f32_e32 v122, v4, v11
	v_fma_f32 v124, v3, v11, -v12
	s_clause 0x1
	scratch_load_b128 v[1:4], off, off offset:328
	scratch_load_b128 v[9:12], off, off offset:344
	s_wait_loadcnt_dscnt 0x200
	v_mul_f32_e32 v126, v15, v8
	v_add_f32_e32 v17, v17, v140
	v_mul_f32_e32 v125, v13, v6
	v_mul_f32_e32 v6, v14, v6
	;; [unrolled: 1-line block ×3, first 2 shown]
	s_delay_alu instid0(VALU_DEP_4) | instskip(NEXT) | instid1(VALU_DEP_3)
	v_dual_fmac_f32 v126, v16, v7 :: v_dual_add_f32 v17, v17, v142
	v_fma_f32 v127, v13, v5, -v6
	v_add_f32_e32 v13, v118, v149
	s_delay_alu instid0(VALU_DEP_4) | instskip(NEXT) | instid1(VALU_DEP_4)
	v_fma_f32 v128, v15, v7, -v8
	v_add_f32_e32 v17, v17, v144
	s_delay_alu instid0(VALU_DEP_1) | instskip(SKIP_2) | instid1(VALU_DEP_1)
	v_add_f32_e32 v119, v17, v146
	scratch_load_b128 v[17:20], off, off offset:360
	v_add_f32_e32 v119, v119, v148
	v_add_f32_e32 v119, v119, v150
	s_delay_alu instid0(VALU_DEP_1)
	v_dual_add_f32 v118, v119, v152 :: v_dual_fmac_f32 v125, v14, v5
	ds_load_2addr_b64 v[5:8], v21 offset0:89 offset1:90
	v_add_f32_e32 v119, v13, v151
	ds_load_2addr_b64 v[13:16], v21 offset0:91 offset1:92
	v_dual_add_f32 v129, v118, v154 :: v_dual_add_f32 v132, v119, v153
	ds_load_2addr_b64 v[118:121], v21 offset0:93 offset1:94
	v_add_f32_e32 v21, v129, v156
	s_wait_loadcnt_dscnt 0x202
	v_dual_add_f32 v129, v132, v155 :: v_dual_mul_f32 v132, v5, v2
	s_delay_alu instid0(VALU_DEP_1) | instskip(NEXT) | instid1(VALU_DEP_2)
	v_dual_mul_f32 v2, v6, v2 :: v_dual_add_f32 v129, v129, v157
	v_fmac_f32_e32 v132, v6, v1
	s_wait_loadcnt_dscnt 0x101
	v_mul_f32_e32 v6, v14, v10
	s_delay_alu instid0(VALU_DEP_3) | instskip(SKIP_2) | instid1(VALU_DEP_3)
	v_add_f32_e32 v22, v129, v22
	v_mul_f32_e32 v129, v13, v10
	v_fma_f32 v2, v5, v1, -v2
	v_add_f32_e32 v22, v22, v122
	s_delay_alu instid0(VALU_DEP_1) | instskip(SKIP_2) | instid1(VALU_DEP_1)
	v_add_f32_e32 v22, v22, v125
	s_wait_loadcnt_dscnt 0x0
	v_mul_f32_e32 v122, v118, v18
	v_dual_add_f32 v21, v21, v158 :: v_dual_fmac_f32 v122, v119, v17
	s_delay_alu instid0(VALU_DEP_1) | instskip(SKIP_2) | instid1(VALU_DEP_2)
	v_add_f32_e32 v21, v21, v123
	v_mul_f32_e32 v123, v7, v4
	v_mul_f32_e32 v4, v8, v4
	v_fmac_f32_e32 v123, v8, v3
	s_delay_alu instid0(VALU_DEP_2) | instskip(SKIP_3) | instid1(VALU_DEP_3)
	v_fma_f32 v3, v7, v3, -v4
	v_dual_mul_f32 v4, v16, v12 :: v_dual_fmac_f32 v129, v14, v9
	v_add_f32_e32 v21, v21, v124
	v_dual_mul_f32 v124, v120, v20 :: v_dual_add_f32 v5, v22, v126
	v_fma_f32 v4, v15, v11, -v4
	s_delay_alu instid0(VALU_DEP_3) | instskip(NEXT) | instid1(VALU_DEP_3)
	v_add_f32_e32 v21, v21, v127
	v_fmac_f32_e32 v124, v121, v19
	s_delay_alu instid0(VALU_DEP_2) | instskip(NEXT) | instid1(VALU_DEP_1)
	v_add_f32_e32 v1, v21, v128
	v_add_f32_e32 v1, v1, v2
	;; [unrolled: 1-line block ×3, first 2 shown]
	v_mul_f32_e32 v133, v15, v12
	v_fma_f32 v5, v13, v9, -v6
	s_delay_alu instid0(VALU_DEP_3) | instskip(NEXT) | instid1(VALU_DEP_1)
	v_add_f32_e32 v2, v2, v123
	v_dual_fmac_f32 v133, v16, v11 :: v_dual_add_f32 v2, v2, v129
	s_delay_alu instid0(VALU_DEP_1) | instskip(NEXT) | instid1(VALU_DEP_1)
	v_add_f32_e32 v2, v2, v133
	v_add_f32_e32 v2, v2, v122
	s_delay_alu instid0(VALU_DEP_1) | instskip(SKIP_1) | instid1(VALU_DEP_2)
	v_dual_add_f32 v2, v2, v124 :: v_dual_add_f32 v1, v1, v3
	v_mul_f32_e32 v3, v119, v18
	v_dual_sub_f32 v2, v131, v2 :: v_dual_add_f32 v1, v1, v5
	v_mul_f32_e32 v5, v121, v20
	s_delay_alu instid0(VALU_DEP_3) | instskip(NEXT) | instid1(VALU_DEP_3)
	v_fma_f32 v3, v118, v17, -v3
	v_add_f32_e32 v1, v1, v4
	s_delay_alu instid0(VALU_DEP_3) | instskip(NEXT) | instid1(VALU_DEP_2)
	v_fma_f32 v4, v120, v19, -v5
	v_add_f32_e32 v1, v1, v3
	s_delay_alu instid0(VALU_DEP_1) | instskip(NEXT) | instid1(VALU_DEP_1)
	v_add_f32_e32 v1, v1, v4
	v_sub_f32_e32 v1, v130, v1
	scratch_store_b64 off, v[1:2], off offset:96
	v_cmpx_lt_u32_e32 11, v0
	s_cbranch_execz .LBB46_273
; %bb.272:
	scratch_load_b64 v[1:2], off, off offset:88
	v_mov_b32_e32 v3, 0
	s_delay_alu instid0(VALU_DEP_1)
	v_mov_b32_e32 v4, v3
	scratch_store_b64 off, v[3:4], off offset:88
	s_wait_loadcnt 0x0
	ds_store_b64 v23, v[1:2]
.LBB46_273:
	s_wait_alu 0xfffe
	s_or_b32 exec_lo, exec_lo, s0
	s_wait_storecnt_dscnt 0x0
	s_barrier_signal -1
	s_barrier_wait -1
	global_inv scope:SCOPE_SE
	s_clause 0x4
	scratch_load_b128 v[5:8], off, off offset:96
	scratch_load_b128 v[1:4], off, off offset:112
	;; [unrolled: 1-line block ×5, first 2 shown]
	v_mov_b32_e32 v21, 0
	ds_load_b128 v[118:121], v21 offset:480
	ds_load_b128 v[122:125], v21 offset:496
	;; [unrolled: 1-line block ×3, first 2 shown]
	scratch_load_b64 v[130:131], off, off offset:88
	s_mov_b32 s0, exec_lo
	s_wait_loadcnt_dscnt 0x502
	v_mul_f32_e32 v22, v119, v6
	v_dual_mul_f32 v132, v118, v6 :: v_dual_mul_f32 v133, v120, v8
	v_mul_f32_e32 v6, v121, v8
	s_delay_alu instid0(VALU_DEP_3) | instskip(NEXT) | instid1(VALU_DEP_3)
	v_fma_f32 v22, v118, v5, -v22
	v_dual_fmac_f32 v132, v119, v5 :: v_dual_fmac_f32 v133, v121, v7
	s_wait_loadcnt_dscnt 0x401
	v_mul_f32_e32 v119, v122, v2
	v_fma_f32 v118, v120, v7, -v6
	ds_load_b128 v[5:8], v21 offset:528
	s_wait_loadcnt_dscnt 0x301
	v_dual_mul_f32 v120, v124, v4 :: v_dual_mul_f32 v121, v126, v10
	v_dual_mul_f32 v4, v125, v4 :: v_dual_fmac_f32 v119, v123, v1
	v_mul_f32_e32 v10, v127, v10
	s_delay_alu instid0(VALU_DEP_3)
	v_dual_mul_f32 v134, v128, v12 :: v_dual_fmac_f32 v121, v127, v9
	v_mul_f32_e32 v12, v129, v12
	v_mul_f32_e32 v2, v123, v2
	v_fmac_f32_e32 v120, v125, v3
	v_fma_f32 v123, v124, v3, -v4
	v_fma_f32 v124, v126, v9, -v10
	v_fmac_f32_e32 v134, v129, v11
	v_fma_f32 v125, v128, v11, -v12
	ds_load_b128 v[9:12], v21 offset:544
	s_wait_loadcnt_dscnt 0x201
	v_dual_mul_f32 v127, v7, v16 :: v_dual_mul_f32 v126, v5, v14
	v_mul_f32_e32 v14, v6, v14
	v_mul_f32_e32 v16, v8, v16
	s_delay_alu instid0(VALU_DEP_3)
	v_fmac_f32_e32 v127, v8, v15
	v_fma_f32 v122, v122, v1, -v2
	scratch_load_b128 v[1:4], off, off offset:176
	v_fmac_f32_e32 v126, v6, v13
	v_fma_f32 v13, v5, v13, -v14
	v_fma_f32 v14, v7, v15, -v16
	ds_load_b128 v[5:8], v21 offset:560
	s_wait_loadcnt_dscnt 0x201
	v_mul_f32_e32 v15, v9, v18
	v_mul_f32_e32 v16, v10, v18
	;; [unrolled: 1-line block ×3, first 2 shown]
	s_delay_alu instid0(VALU_DEP_3) | instskip(NEXT) | instid1(VALU_DEP_3)
	v_dual_mul_f32 v20, v12, v20 :: v_dual_fmac_f32 v15, v10, v17
	v_fma_f32 v16, v9, v17, -v16
	s_delay_alu instid0(VALU_DEP_3) | instskip(NEXT) | instid1(VALU_DEP_3)
	v_fmac_f32_e32 v18, v12, v19
	v_fma_f32 v17, v11, v19, -v20
	scratch_load_b128 v[9:12], off, off offset:192
	s_wait_loadcnt_dscnt 0x100
	v_mul_f32_e32 v19, v5, v2
	v_mul_f32_e32 v2, v6, v2
	;; [unrolled: 1-line block ×3, first 2 shown]
	s_delay_alu instid0(VALU_DEP_3) | instskip(NEXT) | instid1(VALU_DEP_3)
	v_dual_mul_f32 v4, v8, v4 :: v_dual_fmac_f32 v19, v6, v1
	v_fma_f32 v128, v5, v1, -v2
	s_delay_alu instid0(VALU_DEP_3) | instskip(NEXT) | instid1(VALU_DEP_3)
	v_fmac_f32_e32 v20, v8, v3
	v_fma_f32 v129, v7, v3, -v4
	ds_load_b128 v[1:4], v21 offset:576
	ds_load_b128 v[5:8], v21 offset:592
	s_wait_loadcnt_dscnt 0x1
	v_mul_f32_e32 v135, v1, v10
	v_mul_f32_e32 v10, v2, v10
	s_delay_alu instid0(VALU_DEP_2) | instskip(NEXT) | instid1(VALU_DEP_2)
	v_dual_mul_f32 v136, v3, v12 :: v_dual_fmac_f32 v135, v2, v9
	v_fma_f32 v137, v1, v9, -v10
	v_mul_f32_e32 v1, v4, v12
	s_delay_alu instid0(VALU_DEP_3) | instskip(NEXT) | instid1(VALU_DEP_2)
	v_fmac_f32_e32 v136, v4, v11
	v_fma_f32 v138, v3, v11, -v1
	s_clause 0x1
	scratch_load_b128 v[1:4], off, off offset:208
	scratch_load_b128 v[9:12], off, off offset:224
	s_wait_loadcnt_dscnt 0x100
	v_mul_f32_e32 v139, v5, v2
	v_dual_mul_f32 v2, v6, v2 :: v_dual_mul_f32 v141, v7, v4
	s_delay_alu instid0(VALU_DEP_2) | instskip(NEXT) | instid1(VALU_DEP_2)
	v_fmac_f32_e32 v139, v6, v1
	v_fma_f32 v140, v5, v1, -v2
	v_mul_f32_e32 v1, v8, v4
	s_delay_alu instid0(VALU_DEP_4) | instskip(NEXT) | instid1(VALU_DEP_2)
	v_fmac_f32_e32 v141, v8, v3
	v_fma_f32 v142, v7, v3, -v1
	ds_load_b128 v[1:4], v21 offset:608
	ds_load_b128 v[5:8], v21 offset:624
	s_wait_loadcnt_dscnt 0x1
	v_mul_f32_e32 v143, v1, v10
	v_mul_f32_e32 v145, v3, v12
	s_delay_alu instid0(VALU_DEP_2) | instskip(NEXT) | instid1(VALU_DEP_2)
	v_fmac_f32_e32 v143, v2, v9
	v_dual_mul_f32 v2, v2, v10 :: v_dual_fmac_f32 v145, v4, v11
	s_delay_alu instid0(VALU_DEP_1) | instskip(SKIP_1) | instid1(VALU_DEP_1)
	v_fma_f32 v144, v1, v9, -v2
	v_mul_f32_e32 v1, v4, v12
	v_fma_f32 v146, v3, v11, -v1
	s_clause 0x1
	scratch_load_b128 v[1:4], off, off offset:240
	scratch_load_b128 v[9:12], off, off offset:256
	s_wait_loadcnt_dscnt 0x100
	v_mul_f32_e32 v147, v5, v2
	v_dual_mul_f32 v149, v7, v4 :: v_dual_mul_f32 v2, v6, v2
	s_delay_alu instid0(VALU_DEP_2) | instskip(NEXT) | instid1(VALU_DEP_2)
	v_fmac_f32_e32 v147, v6, v1
	v_fmac_f32_e32 v149, v8, v3
	s_delay_alu instid0(VALU_DEP_3) | instskip(SKIP_1) | instid1(VALU_DEP_1)
	v_fma_f32 v148, v5, v1, -v2
	v_mul_f32_e32 v1, v8, v4
	v_fma_f32 v150, v7, v3, -v1
	ds_load_b128 v[1:4], v21 offset:640
	ds_load_b128 v[5:8], v21 offset:656
	s_wait_loadcnt_dscnt 0x1
	v_mul_f32_e32 v151, v1, v10
	v_mul_f32_e32 v153, v3, v12
	s_delay_alu instid0(VALU_DEP_2) | instskip(NEXT) | instid1(VALU_DEP_2)
	v_fmac_f32_e32 v151, v2, v9
	v_dual_mul_f32 v2, v2, v10 :: v_dual_fmac_f32 v153, v4, v11
	s_delay_alu instid0(VALU_DEP_1) | instskip(SKIP_1) | instid1(VALU_DEP_1)
	v_fma_f32 v152, v1, v9, -v2
	v_mul_f32_e32 v1, v4, v12
	v_fma_f32 v154, v3, v11, -v1
	s_clause 0x1
	scratch_load_b128 v[1:4], off, off offset:272
	scratch_load_b128 v[9:12], off, off offset:288
	s_wait_loadcnt_dscnt 0x100
	v_mul_f32_e32 v155, v5, v2
	v_mul_f32_e32 v2, v6, v2
	s_delay_alu instid0(VALU_DEP_1) | instskip(SKIP_1) | instid1(VALU_DEP_1)
	v_fma_f32 v156, v5, v1, -v2
	v_add_f32_e32 v2, 0, v132
	v_add_f32_e32 v2, v2, v133
	s_delay_alu instid0(VALU_DEP_1) | instskip(NEXT) | instid1(VALU_DEP_1)
	v_add_f32_e32 v2, v2, v119
	v_add_f32_e32 v2, v2, v120
	v_mul_f32_e32 v157, v7, v4
	v_fmac_f32_e32 v155, v6, v1
	s_delay_alu instid0(VALU_DEP_2) | instskip(NEXT) | instid1(VALU_DEP_1)
	v_dual_add_f32 v2, v2, v121 :: v_dual_fmac_f32 v157, v8, v3
	v_dual_add_f32 v2, v2, v134 :: v_dual_mul_f32 v1, v8, v4
	s_delay_alu instid0(VALU_DEP_1) | instskip(NEXT) | instid1(VALU_DEP_2)
	v_add_f32_e32 v2, v2, v126
	v_fma_f32 v158, v7, v3, -v1
	s_delay_alu instid0(VALU_DEP_2) | instskip(NEXT) | instid1(VALU_DEP_1)
	v_dual_add_f32 v1, 0, v22 :: v_dual_add_f32 v2, v2, v127
	v_dual_add_f32 v1, v1, v118 :: v_dual_add_f32 v2, v2, v15
	s_delay_alu instid0(VALU_DEP_1) | instskip(NEXT) | instid1(VALU_DEP_2)
	v_add_f32_e32 v1, v1, v122
	v_add_f32_e32 v5, v2, v18
	s_delay_alu instid0(VALU_DEP_2) | instskip(SKIP_2) | instid1(VALU_DEP_1)
	v_add_f32_e32 v1, v1, v123
	scratch_load_b64 v[122:123], off, off offset:368
	v_add_f32_e32 v1, v1, v124
	v_add_f32_e32 v1, v1, v125
	s_delay_alu instid0(VALU_DEP_1) | instskip(SKIP_1) | instid1(VALU_DEP_2)
	v_add_f32_e32 v1, v1, v13
	v_add_f32_e32 v13, v5, v19
	;; [unrolled: 1-line block ×3, first 2 shown]
	s_delay_alu instid0(VALU_DEP_2) | instskip(NEXT) | instid1(VALU_DEP_2)
	v_add_f32_e32 v13, v13, v20
	v_add_f32_e32 v1, v1, v16
	s_delay_alu instid0(VALU_DEP_2) | instskip(NEXT) | instid1(VALU_DEP_2)
	v_add_f32_e32 v13, v13, v135
	v_add_f32_e32 v1, v1, v17
	;; [unrolled: 3-line block ×3, first 2 shown]
	scratch_load_b128 v[1:4], off, off offset:304
	v_add_f32_e32 v18, v18, v139
	v_add_f32_e32 v14, v6, v129
	ds_load_b128 v[5:8], v21 offset:672
	v_add_f32_e32 v18, v18, v141
	v_add_f32_e32 v14, v14, v137
	s_delay_alu instid0(VALU_DEP_2) | instskip(NEXT) | instid1(VALU_DEP_2)
	v_add_f32_e32 v118, v18, v143
	v_add_f32_e32 v17, v14, v138
	ds_load_b128 v[13:16], v21 offset:688
	v_add_f32_e32 v118, v118, v145
	s_delay_alu instid0(VALU_DEP_1)
	v_add_f32_e32 v118, v118, v147
	s_wait_loadcnt_dscnt 0x201
	v_mul_f32_e32 v22, v5, v10
	v_mul_f32_e32 v10, v6, v10
	;; [unrolled: 1-line block ×4, first 2 shown]
	v_add_f32_e32 v118, v118, v149
	v_fmac_f32_e32 v22, v6, v9
	v_fma_f32 v127, v5, v9, -v10
	v_fmac_f32_e32 v126, v8, v11
	v_fma_f32 v128, v7, v11, -v12
	s_clause 0x1
	scratch_load_b128 v[5:8], off, off offset:320
	scratch_load_b128 v[9:12], off, off offset:336
	s_wait_loadcnt_dscnt 0x200
	v_mul_f32_e32 v132, v15, v4
	v_mul_f32_e32 v4, v16, v4
	v_add_f32_e32 v17, v17, v140
	v_mul_f32_e32 v129, v13, v2
	v_mul_f32_e32 v2, v14, v2
	v_fmac_f32_e32 v132, v16, v3
	v_fma_f32 v134, v15, v3, -v4
	v_add_f32_e32 v17, v17, v142
	s_delay_alu instid0(VALU_DEP_4) | instskip(SKIP_1) | instid1(VALU_DEP_3)
	v_fma_f32 v133, v13, v1, -v2
	v_add_f32_e32 v13, v118, v151
	v_add_f32_e32 v17, v17, v144
	s_delay_alu instid0(VALU_DEP_2) | instskip(NEXT) | instid1(VALU_DEP_2)
	v_add_f32_e32 v118, v13, v153
	v_add_f32_e32 v119, v17, v146
	scratch_load_b128 v[17:20], off, off offset:352
	v_add_f32_e32 v125, v118, v155
	s_delay_alu instid0(VALU_DEP_1) | instskip(NEXT) | instid1(VALU_DEP_1)
	v_dual_add_f32 v119, v119, v148 :: v_dual_add_f32 v136, v125, v157
	v_add_f32_e32 v119, v119, v150
	s_delay_alu instid0(VALU_DEP_1)
	v_dual_add_f32 v22, v136, v22 :: v_dual_add_f32 v119, v119, v152
	v_fmac_f32_e32 v129, v14, v1
	ds_load_b128 v[1:4], v21 offset:704
	v_add_f32_e32 v22, v22, v126
	v_add_f32_e32 v14, v119, v154
	ds_load_b128 v[118:121], v21 offset:736
	v_add_f32_e32 v22, v22, v129
	v_add_f32_e32 v124, v14, v156
	ds_load_b128 v[13:16], v21 offset:720
	v_dual_add_f32 v22, v22, v132 :: v_dual_add_f32 v135, v124, v158
	ds_load_b64 v[124:125], v21 offset:752
	v_add_f32_e32 v127, v135, v127
	s_wait_loadcnt_dscnt 0x203
	v_mul_f32_e32 v135, v1, v6
	v_mul_f32_e32 v6, v2, v6
	;; [unrolled: 1-line block ×3, first 2 shown]
	v_add_f32_e32 v127, v127, v128
	s_delay_alu instid0(VALU_DEP_4) | instskip(NEXT) | instid1(VALU_DEP_4)
	v_dual_mul_f32 v8, v4, v8 :: v_dual_fmac_f32 v135, v2, v5
	v_fma_f32 v1, v1, v5, -v6
	s_delay_alu instid0(VALU_DEP_4)
	v_fmac_f32_e32 v126, v4, v7
	s_wait_loadcnt_dscnt 0x101
	v_dual_mul_f32 v128, v13, v10 :: v_dual_add_f32 v127, v127, v133
	v_fma_f32 v2, v3, v7, -v8
	v_dual_add_f32 v4, v22, v135 :: v_dual_mul_f32 v129, v15, v12
	s_wait_dscnt 0x0
	s_delay_alu instid0(VALU_DEP_3) | instskip(SKIP_1) | instid1(VALU_DEP_2)
	v_dual_mul_f32 v132, v124, v123 :: v_dual_add_f32 v127, v127, v134
	v_dual_mul_f32 v5, v16, v12 :: v_dual_fmac_f32 v128, v14, v9
	v_dual_fmac_f32 v129, v16, v11 :: v_dual_fmac_f32 v132, v125, v122
	s_delay_alu instid0(VALU_DEP_3) | instskip(NEXT) | instid1(VALU_DEP_3)
	v_add_f32_e32 v1, v127, v1
	v_fma_f32 v5, v15, v11, -v5
	s_delay_alu instid0(VALU_DEP_2) | instskip(SKIP_3) | instid1(VALU_DEP_2)
	v_add_f32_e32 v1, v1, v2
	s_wait_loadcnt 0x0
	v_dual_mul_f32 v133, v118, v18 :: v_dual_mul_f32 v134, v120, v20
	v_mul_f32_e32 v3, v14, v10
	v_dual_fmac_f32 v133, v119, v17 :: v_dual_fmac_f32 v134, v121, v19
	s_delay_alu instid0(VALU_DEP_2) | instskip(SKIP_2) | instid1(VALU_DEP_2)
	v_fma_f32 v3, v13, v9, -v3
	v_add_f32_e32 v2, v4, v126
	v_mul_f32_e32 v4, v119, v18
	v_dual_add_f32 v2, v2, v128 :: v_dual_add_f32 v1, v1, v3
	v_mul_f32_e32 v3, v121, v20
	s_delay_alu instid0(VALU_DEP_3) | instskip(NEXT) | instid1(VALU_DEP_3)
	v_fma_f32 v4, v118, v17, -v4
	v_add_f32_e32 v2, v2, v129
	s_delay_alu instid0(VALU_DEP_3) | instskip(NEXT) | instid1(VALU_DEP_2)
	v_fma_f32 v3, v120, v19, -v3
	v_add_f32_e32 v2, v2, v133
	s_delay_alu instid0(VALU_DEP_1) | instskip(NEXT) | instid1(VALU_DEP_1)
	v_dual_add_f32 v1, v1, v5 :: v_dual_add_f32 v2, v2, v134
	v_dual_mul_f32 v5, v125, v123 :: v_dual_add_f32 v2, v2, v132
	s_delay_alu instid0(VALU_DEP_2) | instskip(NEXT) | instid1(VALU_DEP_2)
	v_add_f32_e32 v1, v1, v4
	v_fma_f32 v4, v124, v122, -v5
	s_delay_alu instid0(VALU_DEP_2) | instskip(NEXT) | instid1(VALU_DEP_1)
	v_dual_sub_f32 v2, v131, v2 :: v_dual_add_f32 v1, v1, v3
	v_add_f32_e32 v1, v1, v4
	s_delay_alu instid0(VALU_DEP_1)
	v_sub_f32_e32 v1, v130, v1
	scratch_store_b64 off, v[1:2], off offset:88
	v_cmpx_lt_u32_e32 10, v0
	s_cbranch_execz .LBB46_275
; %bb.274:
	scratch_load_b64 v[1:2], off, off offset:80
	v_mov_b32_e32 v22, v21
	scratch_store_b64 off, v[21:22], off offset:80
	s_wait_loadcnt 0x0
	ds_store_b64 v23, v[1:2]
.LBB46_275:
	s_wait_alu 0xfffe
	s_or_b32 exec_lo, exec_lo, s0
	s_wait_storecnt_dscnt 0x0
	s_barrier_signal -1
	s_barrier_wait -1
	global_inv scope:SCOPE_SE
	s_clause 0x4
	scratch_load_b128 v[5:8], off, off offset:88
	scratch_load_b128 v[1:4], off, off offset:104
	;; [unrolled: 1-line block ×5, first 2 shown]
	ds_load_2addr_b64 v[118:121], v21 offset0:59 offset1:60
	ds_load_2addr_b64 v[122:125], v21 offset0:61 offset1:62
	;; [unrolled: 1-line block ×3, first 2 shown]
	scratch_load_b64 v[130:131], off, off offset:80
	s_mov_b32 s0, exec_lo
	s_wait_loadcnt_dscnt 0x502
	v_dual_mul_f32 v22, v119, v6 :: v_dual_mul_f32 v133, v120, v8
	v_mul_f32_e32 v132, v118, v6
	v_mul_f32_e32 v6, v121, v8
	s_wait_loadcnt_dscnt 0x300
	v_mul_f32_e32 v134, v128, v12
	v_fma_f32 v22, v118, v5, -v22
	v_dual_fmac_f32 v133, v121, v7 :: v_dual_fmac_f32 v132, v119, v5
	v_mul_f32_e32 v121, v126, v10
	v_mul_f32_e32 v119, v122, v2
	v_fma_f32 v118, v120, v7, -v6
	ds_load_2addr_b64 v[5:8], v21 offset0:65 offset1:66
	v_mul_f32_e32 v120, v124, v4
	v_dual_mul_f32 v4, v125, v4 :: v_dual_fmac_f32 v121, v127, v9
	v_mul_f32_e32 v10, v127, v10
	v_mul_f32_e32 v12, v129, v12
	;; [unrolled: 1-line block ×3, first 2 shown]
	v_dual_fmac_f32 v119, v123, v1 :: v_dual_fmac_f32 v120, v125, v3
	v_fma_f32 v123, v124, v3, -v4
	v_fma_f32 v124, v126, v9, -v10
	v_fmac_f32_e32 v134, v129, v11
	v_fma_f32 v125, v128, v11, -v12
	ds_load_2addr_b64 v[9:12], v21 offset0:67 offset1:68
	s_wait_loadcnt_dscnt 0x201
	v_dual_mul_f32 v127, v7, v16 :: v_dual_mul_f32 v126, v5, v14
	s_delay_alu instid0(VALU_DEP_1)
	v_dual_mul_f32 v14, v6, v14 :: v_dual_fmac_f32 v127, v8, v15
	v_fma_f32 v122, v122, v1, -v2
	scratch_load_b128 v[1:4], off, off offset:168
	v_mul_f32_e32 v16, v8, v16
	v_fmac_f32_e32 v126, v6, v13
	v_fma_f32 v13, v5, v13, -v14
	s_delay_alu instid0(VALU_DEP_3)
	v_fma_f32 v14, v7, v15, -v16
	s_wait_loadcnt_dscnt 0x200
	v_mul_f32_e32 v15, v9, v18
	v_mul_f32_e32 v16, v10, v18
	;; [unrolled: 1-line block ×4, first 2 shown]
	ds_load_2addr_b64 v[5:8], v21 offset0:69 offset1:70
	v_fmac_f32_e32 v15, v10, v17
	v_fma_f32 v16, v9, v17, -v16
	v_fmac_f32_e32 v18, v12, v19
	v_fma_f32 v17, v11, v19, -v20
	scratch_load_b128 v[9:12], off, off offset:184
	s_wait_loadcnt_dscnt 0x100
	v_mul_f32_e32 v19, v5, v2
	v_mul_f32_e32 v2, v6, v2
	;; [unrolled: 1-line block ×3, first 2 shown]
	s_delay_alu instid0(VALU_DEP_3) | instskip(NEXT) | instid1(VALU_DEP_3)
	v_dual_mul_f32 v4, v8, v4 :: v_dual_fmac_f32 v19, v6, v1
	v_fma_f32 v128, v5, v1, -v2
	s_delay_alu instid0(VALU_DEP_3) | instskip(NEXT) | instid1(VALU_DEP_3)
	v_fmac_f32_e32 v20, v8, v3
	v_fma_f32 v129, v7, v3, -v4
	ds_load_2addr_b64 v[1:4], v21 offset0:71 offset1:72
	ds_load_2addr_b64 v[5:8], v21 offset0:73 offset1:74
	s_wait_loadcnt_dscnt 0x1
	v_mul_f32_e32 v135, v1, v10
	v_mul_f32_e32 v10, v2, v10
	s_delay_alu instid0(VALU_DEP_2) | instskip(NEXT) | instid1(VALU_DEP_2)
	v_dual_mul_f32 v136, v3, v12 :: v_dual_fmac_f32 v135, v2, v9
	v_fma_f32 v137, v1, v9, -v10
	v_mul_f32_e32 v1, v4, v12
	s_delay_alu instid0(VALU_DEP_3) | instskip(NEXT) | instid1(VALU_DEP_2)
	v_fmac_f32_e32 v136, v4, v11
	v_fma_f32 v138, v3, v11, -v1
	s_clause 0x1
	scratch_load_b128 v[1:4], off, off offset:200
	scratch_load_b128 v[9:12], off, off offset:216
	s_wait_loadcnt_dscnt 0x100
	v_mul_f32_e32 v139, v5, v2
	v_dual_mul_f32 v2, v6, v2 :: v_dual_mul_f32 v141, v7, v4
	s_delay_alu instid0(VALU_DEP_2) | instskip(NEXT) | instid1(VALU_DEP_2)
	v_fmac_f32_e32 v139, v6, v1
	v_fma_f32 v140, v5, v1, -v2
	v_mul_f32_e32 v1, v8, v4
	s_delay_alu instid0(VALU_DEP_4) | instskip(NEXT) | instid1(VALU_DEP_2)
	v_fmac_f32_e32 v141, v8, v3
	v_fma_f32 v142, v7, v3, -v1
	ds_load_2addr_b64 v[1:4], v21 offset0:75 offset1:76
	ds_load_2addr_b64 v[5:8], v21 offset0:77 offset1:78
	s_wait_loadcnt_dscnt 0x1
	v_mul_f32_e32 v143, v1, v10
	v_mul_f32_e32 v145, v3, v12
	s_delay_alu instid0(VALU_DEP_2) | instskip(NEXT) | instid1(VALU_DEP_2)
	v_fmac_f32_e32 v143, v2, v9
	v_dual_mul_f32 v2, v2, v10 :: v_dual_fmac_f32 v145, v4, v11
	s_delay_alu instid0(VALU_DEP_1) | instskip(SKIP_1) | instid1(VALU_DEP_1)
	v_fma_f32 v144, v1, v9, -v2
	v_mul_f32_e32 v1, v4, v12
	v_fma_f32 v146, v3, v11, -v1
	s_clause 0x1
	scratch_load_b128 v[1:4], off, off offset:232
	scratch_load_b128 v[9:12], off, off offset:248
	s_wait_loadcnt_dscnt 0x100
	v_mul_f32_e32 v147, v5, v2
	v_dual_mul_f32 v2, v6, v2 :: v_dual_mul_f32 v149, v7, v4
	s_delay_alu instid0(VALU_DEP_2) | instskip(NEXT) | instid1(VALU_DEP_2)
	v_fmac_f32_e32 v147, v6, v1
	v_fma_f32 v148, v5, v1, -v2
	v_mul_f32_e32 v1, v8, v4
	s_delay_alu instid0(VALU_DEP_4) | instskip(NEXT) | instid1(VALU_DEP_2)
	v_fmac_f32_e32 v149, v8, v3
	v_fma_f32 v150, v7, v3, -v1
	ds_load_2addr_b64 v[1:4], v21 offset0:79 offset1:80
	ds_load_2addr_b64 v[5:8], v21 offset0:81 offset1:82
	s_wait_loadcnt_dscnt 0x1
	v_mul_f32_e32 v151, v1, v10
	v_mul_f32_e32 v153, v3, v12
	s_delay_alu instid0(VALU_DEP_2) | instskip(NEXT) | instid1(VALU_DEP_2)
	v_fmac_f32_e32 v151, v2, v9
	v_dual_mul_f32 v2, v2, v10 :: v_dual_fmac_f32 v153, v4, v11
	s_delay_alu instid0(VALU_DEP_1) | instskip(SKIP_1) | instid1(VALU_DEP_1)
	v_fma_f32 v152, v1, v9, -v2
	v_mul_f32_e32 v1, v4, v12
	;; [unrolled: 25-line block ×3, first 2 shown]
	v_fma_f32 v162, v3, v11, -v1
	s_clause 0x1
	scratch_load_b128 v[1:4], off, off offset:296
	scratch_load_b128 v[9:12], off, off offset:312
	s_wait_loadcnt_dscnt 0x100
	v_mul_f32_e32 v163, v5, v2
	v_mul_f32_e32 v2, v6, v2
	s_delay_alu instid0(VALU_DEP_1) | instskip(SKIP_1) | instid1(VALU_DEP_1)
	v_fma_f32 v164, v5, v1, -v2
	v_add_f32_e32 v2, 0, v132
	v_add_f32_e32 v2, v2, v133
	s_delay_alu instid0(VALU_DEP_1) | instskip(NEXT) | instid1(VALU_DEP_1)
	v_add_f32_e32 v2, v2, v119
	v_add_f32_e32 v2, v2, v120
	s_delay_alu instid0(VALU_DEP_1) | instskip(NEXT) | instid1(VALU_DEP_1)
	;; [unrolled: 3-line block ×3, first 2 shown]
	v_add_f32_e32 v2, v2, v126
	v_add_f32_e32 v2, v2, v127
	s_delay_alu instid0(VALU_DEP_1) | instskip(SKIP_1) | instid1(VALU_DEP_2)
	v_add_f32_e32 v2, v2, v15
	v_fmac_f32_e32 v163, v6, v1
	v_dual_mul_f32 v165, v7, v4 :: v_dual_add_f32 v2, v2, v18
	s_delay_alu instid0(VALU_DEP_1) | instskip(NEXT) | instid1(VALU_DEP_1)
	v_dual_mul_f32 v1, v8, v4 :: v_dual_add_f32 v2, v2, v19
	v_fma_f32 v166, v7, v3, -v1
	v_add_f32_e32 v1, 0, v22
	s_delay_alu instid0(VALU_DEP_3) | instskip(NEXT) | instid1(VALU_DEP_2)
	v_dual_fmac_f32 v165, v8, v3 :: v_dual_add_f32 v2, v2, v20
	v_add_f32_e32 v1, v1, v118
	s_delay_alu instid0(VALU_DEP_2) | instskip(NEXT) | instid1(VALU_DEP_2)
	v_add_f32_e32 v5, v2, v135
	v_add_f32_e32 v1, v1, v122
	s_delay_alu instid0(VALU_DEP_2) | instskip(NEXT) | instid1(VALU_DEP_2)
	v_add_f32_e32 v5, v5, v136
	;; [unrolled: 3-line block ×3, first 2 shown]
	v_add_f32_e32 v1, v1, v124
	s_delay_alu instid0(VALU_DEP_1) | instskip(NEXT) | instid1(VALU_DEP_1)
	v_add_f32_e32 v1, v1, v125
	v_add_f32_e32 v1, v1, v13
	s_delay_alu instid0(VALU_DEP_1) | instskip(SKIP_1) | instid1(VALU_DEP_1)
	v_add_f32_e32 v1, v1, v14
	v_add_f32_e32 v14, v5, v141
	;; [unrolled: 1-line block ×3, first 2 shown]
	s_delay_alu instid0(VALU_DEP_1) | instskip(NEXT) | instid1(VALU_DEP_1)
	v_dual_add_f32 v14, v14, v145 :: v_dual_add_f32 v1, v1, v16
	v_add_f32_e32 v1, v1, v17
	s_delay_alu instid0(VALU_DEP_1) | instskip(NEXT) | instid1(VALU_DEP_1)
	v_add_f32_e32 v1, v1, v128
	v_add_f32_e32 v1, v1, v129
	s_delay_alu instid0(VALU_DEP_1) | instskip(NEXT) | instid1(VALU_DEP_1)
	v_add_f32_e32 v1, v1, v137
	v_add_f32_e32 v6, v1, v138
	ds_load_2addr_b64 v[1:4], v21 offset0:87 offset1:88
	v_add_f32_e32 v6, v6, v140
	s_delay_alu instid0(VALU_DEP_1)
	v_add_f32_e32 v13, v6, v142
	ds_load_2addr_b64 v[5:8], v21 offset0:89 offset1:90
	s_wait_loadcnt_dscnt 0x1
	v_mul_f32_e32 v22, v1, v10
	v_mul_f32_e32 v122, v3, v12
	;; [unrolled: 1-line block ×4, first 2 shown]
	s_delay_alu instid0(VALU_DEP_4) | instskip(NEXT) | instid1(VALU_DEP_4)
	v_fmac_f32_e32 v22, v2, v9
	v_fmac_f32_e32 v122, v4, v11
	s_delay_alu instid0(VALU_DEP_4) | instskip(NEXT) | instid1(VALU_DEP_4)
	v_fma_f32 v123, v1, v9, -v10
	v_fma_f32 v124, v3, v11, -v12
	s_clause 0x1
	scratch_load_b128 v[1:4], off, off offset:328
	scratch_load_b128 v[9:12], off, off offset:344
	v_add_f32_e32 v13, v13, v144
	v_add_f32_e32 v17, v14, v147
	s_delay_alu instid0(VALU_DEP_1) | instskip(SKIP_3) | instid1(VALU_DEP_2)
	v_add_f32_e32 v17, v17, v149
	s_wait_loadcnt_dscnt 0x100
	v_mul_f32_e32 v127, v7, v4
	v_mul_f32_e32 v4, v8, v4
	v_fmac_f32_e32 v127, v8, v3
	v_add_f32_e32 v13, v13, v146
	s_delay_alu instid0(VALU_DEP_3) | instskip(NEXT) | instid1(VALU_DEP_2)
	v_fma_f32 v3, v7, v3, -v4
	v_add_f32_e32 v13, v13, v148
	s_delay_alu instid0(VALU_DEP_1) | instskip(SKIP_2) | instid1(VALU_DEP_1)
	v_add_f32_e32 v18, v13, v150
	scratch_load_b128 v[13:16], off, off offset:360
	v_dual_add_f32 v17, v17, v151 :: v_dual_add_f32 v18, v18, v152
	v_dual_add_f32 v17, v17, v153 :: v_dual_add_f32 v18, v18, v154
	s_delay_alu instid0(VALU_DEP_1)
	v_dual_add_f32 v119, v17, v155 :: v_dual_add_f32 v118, v18, v156
	ds_load_2addr_b64 v[17:20], v21 offset0:91 offset1:92
	v_dual_add_f32 v126, v119, v157 :: v_dual_add_f32 v125, v118, v158
	ds_load_2addr_b64 v[118:121], v21 offset0:93 offset1:94
	v_add_f32_e32 v21, v125, v160
	v_dual_add_f32 v125, v126, v159 :: v_dual_mul_f32 v126, v5, v2
	v_mul_f32_e32 v2, v6, v2
	s_delay_alu instid0(VALU_DEP_2) | instskip(NEXT) | instid1(VALU_DEP_2)
	v_dual_add_f32 v21, v21, v162 :: v_dual_fmac_f32 v126, v6, v1
	v_fma_f32 v2, v5, v1, -v2
	s_delay_alu instid0(VALU_DEP_2) | instskip(SKIP_3) | instid1(VALU_DEP_3)
	v_add_f32_e32 v21, v21, v164
	s_wait_loadcnt_dscnt 0x101
	v_mul_f32_e32 v128, v17, v10
	v_dual_add_f32 v125, v125, v161 :: v_dual_mul_f32 v6, v18, v10
	v_dual_mul_f32 v4, v20, v12 :: v_dual_add_f32 v21, v21, v166
	s_delay_alu instid0(VALU_DEP_2) | instskip(NEXT) | instid1(VALU_DEP_2)
	v_dual_fmac_f32 v128, v18, v9 :: v_dual_add_f32 v125, v125, v163
	v_fma_f32 v4, v19, v11, -v4
	s_delay_alu instid0(VALU_DEP_3) | instskip(NEXT) | instid1(VALU_DEP_3)
	v_add_f32_e32 v21, v21, v123
	v_add_f32_e32 v125, v125, v165
	s_delay_alu instid0(VALU_DEP_2) | instskip(NEXT) | instid1(VALU_DEP_2)
	v_add_f32_e32 v1, v21, v124
	v_add_f32_e32 v22, v125, v22
	s_delay_alu instid0(VALU_DEP_2) | instskip(NEXT) | instid1(VALU_DEP_2)
	v_add_f32_e32 v1, v1, v2
	v_add_f32_e32 v5, v22, v122
	v_mul_f32_e32 v129, v19, v12
	s_delay_alu instid0(VALU_DEP_3) | instskip(NEXT) | instid1(VALU_DEP_3)
	v_add_f32_e32 v1, v1, v3
	v_add_f32_e32 v2, v5, v126
	v_fma_f32 v5, v17, v9, -v6
	s_delay_alu instid0(VALU_DEP_4) | instskip(NEXT) | instid1(VALU_DEP_2)
	v_fmac_f32_e32 v129, v20, v11
	v_dual_add_f32 v2, v2, v127 :: v_dual_add_f32 v1, v1, v5
	s_delay_alu instid0(VALU_DEP_1) | instskip(NEXT) | instid1(VALU_DEP_1)
	v_add_f32_e32 v2, v2, v128
	v_dual_add_f32 v1, v1, v4 :: v_dual_add_f32 v2, v2, v129
	s_wait_loadcnt_dscnt 0x0
	v_mul_f32_e32 v132, v118, v14
	v_mul_f32_e32 v3, v119, v14
	;; [unrolled: 1-line block ×3, first 2 shown]
	s_delay_alu instid0(VALU_DEP_3) | instskip(NEXT) | instid1(VALU_DEP_3)
	v_dual_mul_f32 v5, v121, v16 :: v_dual_fmac_f32 v132, v119, v13
	v_fma_f32 v3, v118, v13, -v3
	s_delay_alu instid0(VALU_DEP_3) | instskip(NEXT) | instid1(VALU_DEP_3)
	v_fmac_f32_e32 v123, v121, v15
	v_fma_f32 v4, v120, v15, -v5
	s_delay_alu instid0(VALU_DEP_3) | instskip(NEXT) | instid1(VALU_DEP_1)
	v_dual_add_f32 v2, v2, v132 :: v_dual_add_f32 v1, v1, v3
	v_dual_add_f32 v2, v2, v123 :: v_dual_add_f32 v1, v1, v4
	s_delay_alu instid0(VALU_DEP_1)
	v_dual_sub_f32 v2, v131, v2 :: v_dual_sub_f32 v1, v130, v1
	scratch_store_b64 off, v[1:2], off offset:80
	v_cmpx_lt_u32_e32 9, v0
	s_cbranch_execz .LBB46_277
; %bb.276:
	scratch_load_b64 v[1:2], off, off offset:72
	v_mov_b32_e32 v3, 0
	s_delay_alu instid0(VALU_DEP_1)
	v_mov_b32_e32 v4, v3
	scratch_store_b64 off, v[3:4], off offset:72
	s_wait_loadcnt 0x0
	ds_store_b64 v23, v[1:2]
.LBB46_277:
	s_wait_alu 0xfffe
	s_or_b32 exec_lo, exec_lo, s0
	s_wait_storecnt_dscnt 0x0
	s_barrier_signal -1
	s_barrier_wait -1
	global_inv scope:SCOPE_SE
	s_clause 0x4
	scratch_load_b128 v[5:8], off, off offset:80
	scratch_load_b128 v[1:4], off, off offset:96
	scratch_load_b128 v[9:12], off, off offset:112
	scratch_load_b128 v[13:16], off, off offset:128
	scratch_load_b128 v[17:20], off, off offset:144
	v_mov_b32_e32 v21, 0
	ds_load_b128 v[118:121], v21 offset:464
	ds_load_b128 v[122:125], v21 offset:480
	;; [unrolled: 1-line block ×3, first 2 shown]
	scratch_load_b64 v[130:131], off, off offset:72
	s_mov_b32 s0, exec_lo
	s_wait_loadcnt_dscnt 0x502
	v_mul_f32_e32 v22, v119, v6
	v_dual_mul_f32 v132, v118, v6 :: v_dual_mul_f32 v133, v120, v8
	v_mul_f32_e32 v6, v121, v8
	s_delay_alu instid0(VALU_DEP_3) | instskip(NEXT) | instid1(VALU_DEP_3)
	v_fma_f32 v22, v118, v5, -v22
	v_dual_fmac_f32 v132, v119, v5 :: v_dual_fmac_f32 v133, v121, v7
	s_wait_loadcnt_dscnt 0x401
	v_mul_f32_e32 v119, v122, v2
	v_fma_f32 v118, v120, v7, -v6
	ds_load_b128 v[5:8], v21 offset:512
	s_wait_loadcnt_dscnt 0x301
	v_dual_mul_f32 v120, v124, v4 :: v_dual_mul_f32 v121, v126, v10
	v_dual_mul_f32 v4, v125, v4 :: v_dual_fmac_f32 v119, v123, v1
	v_mul_f32_e32 v10, v127, v10
	s_delay_alu instid0(VALU_DEP_3)
	v_dual_mul_f32 v134, v128, v12 :: v_dual_fmac_f32 v121, v127, v9
	v_mul_f32_e32 v12, v129, v12
	v_mul_f32_e32 v2, v123, v2
	v_fmac_f32_e32 v120, v125, v3
	v_fma_f32 v123, v124, v3, -v4
	v_fma_f32 v124, v126, v9, -v10
	v_fmac_f32_e32 v134, v129, v11
	v_fma_f32 v125, v128, v11, -v12
	ds_load_b128 v[9:12], v21 offset:528
	s_wait_loadcnt_dscnt 0x201
	v_dual_mul_f32 v127, v7, v16 :: v_dual_mul_f32 v126, v5, v14
	v_mul_f32_e32 v14, v6, v14
	v_mul_f32_e32 v16, v8, v16
	s_delay_alu instid0(VALU_DEP_3)
	v_fmac_f32_e32 v127, v8, v15
	v_fma_f32 v122, v122, v1, -v2
	scratch_load_b128 v[1:4], off, off offset:160
	v_fmac_f32_e32 v126, v6, v13
	v_fma_f32 v13, v5, v13, -v14
	v_fma_f32 v14, v7, v15, -v16
	ds_load_b128 v[5:8], v21 offset:544
	s_wait_loadcnt_dscnt 0x201
	v_mul_f32_e32 v15, v9, v18
	v_mul_f32_e32 v16, v10, v18
	;; [unrolled: 1-line block ×3, first 2 shown]
	s_delay_alu instid0(VALU_DEP_3) | instskip(NEXT) | instid1(VALU_DEP_3)
	v_dual_mul_f32 v20, v12, v20 :: v_dual_fmac_f32 v15, v10, v17
	v_fma_f32 v16, v9, v17, -v16
	s_delay_alu instid0(VALU_DEP_3) | instskip(NEXT) | instid1(VALU_DEP_3)
	v_fmac_f32_e32 v18, v12, v19
	v_fma_f32 v17, v11, v19, -v20
	scratch_load_b128 v[9:12], off, off offset:176
	s_wait_loadcnt_dscnt 0x100
	v_mul_f32_e32 v19, v5, v2
	v_mul_f32_e32 v2, v6, v2
	;; [unrolled: 1-line block ×3, first 2 shown]
	s_delay_alu instid0(VALU_DEP_3) | instskip(NEXT) | instid1(VALU_DEP_3)
	v_dual_mul_f32 v4, v8, v4 :: v_dual_fmac_f32 v19, v6, v1
	v_fma_f32 v128, v5, v1, -v2
	s_delay_alu instid0(VALU_DEP_3) | instskip(NEXT) | instid1(VALU_DEP_3)
	v_fmac_f32_e32 v20, v8, v3
	v_fma_f32 v129, v7, v3, -v4
	ds_load_b128 v[1:4], v21 offset:560
	ds_load_b128 v[5:8], v21 offset:576
	s_wait_loadcnt_dscnt 0x1
	v_mul_f32_e32 v135, v1, v10
	v_mul_f32_e32 v10, v2, v10
	s_delay_alu instid0(VALU_DEP_2) | instskip(NEXT) | instid1(VALU_DEP_2)
	v_dual_mul_f32 v136, v3, v12 :: v_dual_fmac_f32 v135, v2, v9
	v_fma_f32 v137, v1, v9, -v10
	v_mul_f32_e32 v1, v4, v12
	s_delay_alu instid0(VALU_DEP_3) | instskip(NEXT) | instid1(VALU_DEP_2)
	v_fmac_f32_e32 v136, v4, v11
	v_fma_f32 v138, v3, v11, -v1
	s_clause 0x1
	scratch_load_b128 v[1:4], off, off offset:192
	scratch_load_b128 v[9:12], off, off offset:208
	s_wait_loadcnt_dscnt 0x100
	v_mul_f32_e32 v139, v5, v2
	v_dual_mul_f32 v2, v6, v2 :: v_dual_mul_f32 v141, v7, v4
	s_delay_alu instid0(VALU_DEP_2) | instskip(NEXT) | instid1(VALU_DEP_2)
	v_fmac_f32_e32 v139, v6, v1
	v_fma_f32 v140, v5, v1, -v2
	v_mul_f32_e32 v1, v8, v4
	s_delay_alu instid0(VALU_DEP_4) | instskip(NEXT) | instid1(VALU_DEP_2)
	v_fmac_f32_e32 v141, v8, v3
	v_fma_f32 v142, v7, v3, -v1
	ds_load_b128 v[1:4], v21 offset:592
	ds_load_b128 v[5:8], v21 offset:608
	s_wait_loadcnt_dscnt 0x1
	v_mul_f32_e32 v143, v1, v10
	v_mul_f32_e32 v145, v3, v12
	s_delay_alu instid0(VALU_DEP_2) | instskip(NEXT) | instid1(VALU_DEP_2)
	v_fmac_f32_e32 v143, v2, v9
	v_dual_mul_f32 v2, v2, v10 :: v_dual_fmac_f32 v145, v4, v11
	s_delay_alu instid0(VALU_DEP_1) | instskip(SKIP_1) | instid1(VALU_DEP_1)
	v_fma_f32 v144, v1, v9, -v2
	v_mul_f32_e32 v1, v4, v12
	v_fma_f32 v146, v3, v11, -v1
	s_clause 0x1
	scratch_load_b128 v[1:4], off, off offset:224
	scratch_load_b128 v[9:12], off, off offset:240
	s_wait_loadcnt_dscnt 0x100
	v_mul_f32_e32 v147, v5, v2
	v_dual_mul_f32 v149, v7, v4 :: v_dual_mul_f32 v2, v6, v2
	s_delay_alu instid0(VALU_DEP_2) | instskip(NEXT) | instid1(VALU_DEP_2)
	v_fmac_f32_e32 v147, v6, v1
	v_fmac_f32_e32 v149, v8, v3
	s_delay_alu instid0(VALU_DEP_3) | instskip(SKIP_1) | instid1(VALU_DEP_1)
	v_fma_f32 v148, v5, v1, -v2
	v_mul_f32_e32 v1, v8, v4
	v_fma_f32 v150, v7, v3, -v1
	ds_load_b128 v[1:4], v21 offset:624
	ds_load_b128 v[5:8], v21 offset:640
	s_wait_loadcnt_dscnt 0x1
	v_mul_f32_e32 v151, v1, v10
	v_mul_f32_e32 v153, v3, v12
	s_delay_alu instid0(VALU_DEP_2) | instskip(NEXT) | instid1(VALU_DEP_2)
	v_fmac_f32_e32 v151, v2, v9
	v_dual_mul_f32 v2, v2, v10 :: v_dual_fmac_f32 v153, v4, v11
	s_delay_alu instid0(VALU_DEP_1) | instskip(SKIP_1) | instid1(VALU_DEP_1)
	v_fma_f32 v152, v1, v9, -v2
	v_mul_f32_e32 v1, v4, v12
	v_fma_f32 v154, v3, v11, -v1
	s_clause 0x1
	scratch_load_b128 v[1:4], off, off offset:256
	scratch_load_b128 v[9:12], off, off offset:272
	s_wait_loadcnt_dscnt 0x100
	v_mul_f32_e32 v155, v5, v2
	v_dual_mul_f32 v2, v6, v2 :: v_dual_mul_f32 v157, v7, v4
	s_delay_alu instid0(VALU_DEP_2) | instskip(NEXT) | instid1(VALU_DEP_2)
	v_fmac_f32_e32 v155, v6, v1
	v_fma_f32 v156, v5, v1, -v2
	v_mul_f32_e32 v1, v8, v4
	s_delay_alu instid0(VALU_DEP_4) | instskip(NEXT) | instid1(VALU_DEP_2)
	v_fmac_f32_e32 v157, v8, v3
	v_fma_f32 v158, v7, v3, -v1
	ds_load_b128 v[1:4], v21 offset:656
	ds_load_b128 v[5:8], v21 offset:672
	s_wait_loadcnt_dscnt 0x1
	v_mul_f32_e32 v159, v1, v10
	v_mul_f32_e32 v161, v3, v12
	s_delay_alu instid0(VALU_DEP_2) | instskip(NEXT) | instid1(VALU_DEP_2)
	v_fmac_f32_e32 v159, v2, v9
	v_dual_mul_f32 v2, v2, v10 :: v_dual_fmac_f32 v161, v4, v11
	s_delay_alu instid0(VALU_DEP_1) | instskip(SKIP_1) | instid1(VALU_DEP_1)
	v_fma_f32 v160, v1, v9, -v2
	v_mul_f32_e32 v1, v4, v12
	v_fma_f32 v162, v3, v11, -v1
	s_clause 0x1
	scratch_load_b128 v[1:4], off, off offset:288
	scratch_load_b128 v[9:12], off, off offset:304
	s_wait_loadcnt_dscnt 0x100
	v_mul_f32_e32 v163, v5, v2
	v_mul_f32_e32 v2, v6, v2
	s_delay_alu instid0(VALU_DEP_1) | instskip(SKIP_1) | instid1(VALU_DEP_1)
	v_fma_f32 v164, v5, v1, -v2
	v_add_f32_e32 v2, 0, v132
	v_add_f32_e32 v2, v2, v133
	s_delay_alu instid0(VALU_DEP_1) | instskip(NEXT) | instid1(VALU_DEP_1)
	v_add_f32_e32 v2, v2, v119
	v_add_f32_e32 v2, v2, v120
	s_delay_alu instid0(VALU_DEP_1) | instskip(NEXT) | instid1(VALU_DEP_1)
	;; [unrolled: 3-line block ×4, first 2 shown]
	v_dual_add_f32 v2, v2, v15 :: v_dual_mul_f32 v165, v7, v4
	v_add_f32_e32 v2, v2, v18
	s_delay_alu instid0(VALU_DEP_1) | instskip(NEXT) | instid1(VALU_DEP_3)
	v_add_f32_e32 v2, v2, v19
	v_fmac_f32_e32 v165, v8, v3
	v_fmac_f32_e32 v163, v6, v1
	s_delay_alu instid0(VALU_DEP_3) | instskip(NEXT) | instid1(VALU_DEP_1)
	v_add_f32_e32 v2, v2, v20
	v_add_f32_e32 v5, v2, v135
	s_delay_alu instid0(VALU_DEP_1) | instskip(NEXT) | instid1(VALU_DEP_1)
	v_add_f32_e32 v5, v5, v136
	v_add_f32_e32 v5, v5, v139
	v_mul_f32_e32 v1, v8, v4
	s_delay_alu instid0(VALU_DEP_1) | instskip(SKIP_1) | instid1(VALU_DEP_1)
	v_fma_f32 v166, v7, v3, -v1
	v_add_f32_e32 v1, 0, v22
	v_add_f32_e32 v1, v1, v118
	s_delay_alu instid0(VALU_DEP_1) | instskip(NEXT) | instid1(VALU_DEP_1)
	v_add_f32_e32 v1, v1, v122
	v_add_f32_e32 v1, v1, v123
	scratch_load_b64 v[122:123], off, off offset:368
	v_add_f32_e32 v1, v1, v124
	s_delay_alu instid0(VALU_DEP_1) | instskip(NEXT) | instid1(VALU_DEP_1)
	v_add_f32_e32 v1, v1, v125
	v_add_f32_e32 v1, v1, v13
	s_delay_alu instid0(VALU_DEP_1) | instskip(SKIP_1) | instid1(VALU_DEP_1)
	v_add_f32_e32 v1, v1, v14
	v_add_f32_e32 v14, v5, v141
	v_add_f32_e32 v14, v14, v143
	s_delay_alu instid0(VALU_DEP_1) | instskip(NEXT) | instid1(VALU_DEP_1)
	v_dual_add_f32 v14, v14, v145 :: v_dual_add_f32 v1, v1, v16
	v_add_f32_e32 v1, v1, v17
	s_delay_alu instid0(VALU_DEP_2) | instskip(NEXT) | instid1(VALU_DEP_2)
	v_add_f32_e32 v17, v14, v147
	v_add_f32_e32 v1, v1, v128
	s_delay_alu instid0(VALU_DEP_1) | instskip(NEXT) | instid1(VALU_DEP_1)
	v_add_f32_e32 v1, v1, v129
	v_add_f32_e32 v1, v1, v137
	s_delay_alu instid0(VALU_DEP_1) | instskip(SKIP_2) | instid1(VALU_DEP_1)
	v_add_f32_e32 v6, v1, v138
	ds_load_b128 v[1:4], v21 offset:688
	v_add_f32_e32 v6, v6, v140
	v_add_f32_e32 v13, v6, v142
	ds_load_b128 v[5:8], v21 offset:704
	s_wait_loadcnt_dscnt 0x101
	v_mul_f32_e32 v22, v1, v10
	v_mul_f32_e32 v10, v2, v10
	;; [unrolled: 1-line block ×4, first 2 shown]
	s_delay_alu instid0(VALU_DEP_4) | instskip(NEXT) | instid1(VALU_DEP_4)
	v_fmac_f32_e32 v22, v2, v9
	v_fma_f32 v127, v1, v9, -v10
	s_delay_alu instid0(VALU_DEP_4) | instskip(NEXT) | instid1(VALU_DEP_4)
	v_fmac_f32_e32 v126, v4, v11
	v_fma_f32 v128, v3, v11, -v12
	s_clause 0x1
	scratch_load_b128 v[1:4], off, off offset:320
	scratch_load_b128 v[9:12], off, off offset:336
	v_add_f32_e32 v17, v17, v149
	s_delay_alu instid0(VALU_DEP_1) | instskip(SKIP_1) | instid1(VALU_DEP_1)
	v_add_f32_e32 v17, v17, v151
	s_wait_loadcnt_dscnt 0x100
	v_dual_add_f32 v17, v17, v153 :: v_dual_mul_f32 v134, v7, v4
	v_mul_f32_e32 v133, v5, v2
	v_mul_f32_e32 v2, v6, v2
	;; [unrolled: 1-line block ×3, first 2 shown]
	s_delay_alu instid0(VALU_DEP_3) | instskip(NEXT) | instid1(VALU_DEP_3)
	v_dual_fmac_f32 v134, v8, v3 :: v_dual_fmac_f32 v133, v6, v1
	v_fma_f32 v2, v5, v1, -v2
	v_add_f32_e32 v17, v17, v155
	s_delay_alu instid0(VALU_DEP_4) | instskip(NEXT) | instid1(VALU_DEP_2)
	v_fma_f32 v1, v7, v3, -v4
	v_add_f32_e32 v118, v17, v157
	s_delay_alu instid0(VALU_DEP_1) | instskip(SKIP_2) | instid1(VALU_DEP_1)
	v_add_f32_e32 v125, v118, v159
	ds_load_b128 v[118:121], v21 offset:736
	v_add_f32_e32 v132, v125, v161
	v_add_f32_e32 v132, v132, v163
	s_delay_alu instid0(VALU_DEP_1) | instskip(NEXT) | instid1(VALU_DEP_1)
	v_dual_add_f32 v132, v132, v165 :: v_dual_add_f32 v13, v13, v144
	v_add_f32_e32 v22, v132, v22
	s_delay_alu instid0(VALU_DEP_2) | instskip(NEXT) | instid1(VALU_DEP_1)
	v_add_f32_e32 v13, v13, v146
	v_dual_add_f32 v22, v22, v126 :: v_dual_add_f32 v13, v13, v148
	s_delay_alu instid0(VALU_DEP_1) | instskip(SKIP_2) | instid1(VALU_DEP_1)
	v_add_f32_e32 v18, v13, v150
	scratch_load_b128 v[13:16], off, off offset:352
	v_add_f32_e32 v18, v18, v152
	v_add_f32_e32 v18, v18, v154
	s_delay_alu instid0(VALU_DEP_1) | instskip(NEXT) | instid1(VALU_DEP_1)
	v_add_f32_e32 v18, v18, v156
	v_add_f32_e32 v18, v18, v158
	s_delay_alu instid0(VALU_DEP_1)
	v_add_f32_e32 v124, v18, v160
	ds_load_b128 v[17:20], v21 offset:720
	v_add_f32_e32 v129, v124, v162
	ds_load_b64 v[124:125], v21 offset:752
	s_wait_loadcnt_dscnt 0x101
	v_dual_mul_f32 v132, v19, v12 :: v_dual_mul_f32 v3, v18, v10
	s_wait_dscnt 0x0
	v_mul_f32_e32 v126, v124, v123
	s_delay_alu instid0(VALU_DEP_2) | instskip(NEXT) | instid1(VALU_DEP_3)
	v_fma_f32 v3, v17, v9, -v3
	v_fmac_f32_e32 v132, v20, v11
	s_delay_alu instid0(VALU_DEP_3) | instskip(SKIP_1) | instid1(VALU_DEP_1)
	v_fmac_f32_e32 v126, v125, v122
	v_dual_add_f32 v4, v22, v133 :: v_dual_add_f32 v129, v129, v164
	v_add_f32_e32 v129, v129, v166
	s_delay_alu instid0(VALU_DEP_1) | instskip(SKIP_1) | instid1(VALU_DEP_2)
	v_add_f32_e32 v127, v129, v127
	v_mul_f32_e32 v129, v17, v10
	v_add_f32_e32 v127, v127, v128
	s_delay_alu instid0(VALU_DEP_1) | instskip(NEXT) | instid1(VALU_DEP_1)
	v_dual_fmac_f32 v129, v18, v9 :: v_dual_add_f32 v2, v127, v2
	v_dual_add_f32 v1, v2, v1 :: v_dual_add_f32 v2, v4, v134
	s_delay_alu instid0(VALU_DEP_1) | instskip(NEXT) | instid1(VALU_DEP_1)
	v_add_f32_e32 v2, v2, v129
	v_add_f32_e32 v2, v2, v132
	s_wait_loadcnt 0x0
	v_dual_mul_f32 v128, v120, v16 :: v_dual_mul_f32 v135, v118, v14
	v_mul_f32_e32 v4, v119, v14
	s_delay_alu instid0(VALU_DEP_2) | instskip(NEXT) | instid1(VALU_DEP_2)
	v_dual_fmac_f32 v128, v121, v15 :: v_dual_fmac_f32 v135, v119, v13
	v_fma_f32 v4, v118, v13, -v4
	s_delay_alu instid0(VALU_DEP_2) | instskip(SKIP_2) | instid1(VALU_DEP_3)
	v_add_f32_e32 v2, v2, v135
	v_add_f32_e32 v1, v1, v3
	v_mul_f32_e32 v3, v121, v16
	v_add_f32_e32 v2, v2, v128
	v_mul_f32_e32 v5, v20, v12
	s_delay_alu instid0(VALU_DEP_3) | instskip(NEXT) | instid1(VALU_DEP_3)
	v_fma_f32 v3, v120, v15, -v3
	v_add_f32_e32 v2, v2, v126
	s_delay_alu instid0(VALU_DEP_3) | instskip(NEXT) | instid1(VALU_DEP_1)
	v_fma_f32 v5, v19, v11, -v5
	v_dual_sub_f32 v2, v131, v2 :: v_dual_add_f32 v1, v1, v5
	v_mul_f32_e32 v5, v125, v123
	s_delay_alu instid0(VALU_DEP_2) | instskip(NEXT) | instid1(VALU_DEP_2)
	v_add_f32_e32 v1, v1, v4
	v_fma_f32 v4, v124, v122, -v5
	s_delay_alu instid0(VALU_DEP_2) | instskip(NEXT) | instid1(VALU_DEP_1)
	v_add_f32_e32 v1, v1, v3
	v_add_f32_e32 v1, v1, v4
	s_delay_alu instid0(VALU_DEP_1)
	v_sub_f32_e32 v1, v130, v1
	scratch_store_b64 off, v[1:2], off offset:72
	v_cmpx_lt_u32_e32 8, v0
	s_cbranch_execz .LBB46_279
; %bb.278:
	scratch_load_b64 v[1:2], off, off offset:64
	v_mov_b32_e32 v22, v21
	scratch_store_b64 off, v[21:22], off offset:64
	s_wait_loadcnt 0x0
	ds_store_b64 v23, v[1:2]
.LBB46_279:
	s_wait_alu 0xfffe
	s_or_b32 exec_lo, exec_lo, s0
	s_wait_storecnt_dscnt 0x0
	s_barrier_signal -1
	s_barrier_wait -1
	global_inv scope:SCOPE_SE
	s_clause 0x4
	scratch_load_b128 v[5:8], off, off offset:72
	scratch_load_b128 v[1:4], off, off offset:88
	;; [unrolled: 1-line block ×5, first 2 shown]
	ds_load_2addr_b64 v[118:121], v21 offset0:57 offset1:58
	ds_load_2addr_b64 v[122:125], v21 offset0:59 offset1:60
	;; [unrolled: 1-line block ×3, first 2 shown]
	scratch_load_b64 v[130:131], off, off offset:64
	s_mov_b32 s0, exec_lo
	s_wait_loadcnt_dscnt 0x502
	v_dual_mul_f32 v22, v119, v6 :: v_dual_mul_f32 v133, v120, v8
	v_mul_f32_e32 v132, v118, v6
	v_mul_f32_e32 v6, v121, v8
	s_wait_loadcnt_dscnt 0x300
	v_mul_f32_e32 v134, v128, v12
	v_fma_f32 v22, v118, v5, -v22
	v_dual_fmac_f32 v133, v121, v7 :: v_dual_fmac_f32 v132, v119, v5
	v_mul_f32_e32 v121, v126, v10
	v_mul_f32_e32 v119, v122, v2
	v_fma_f32 v118, v120, v7, -v6
	ds_load_2addr_b64 v[5:8], v21 offset0:63 offset1:64
	v_mul_f32_e32 v120, v124, v4
	v_dual_mul_f32 v4, v125, v4 :: v_dual_fmac_f32 v121, v127, v9
	v_mul_f32_e32 v10, v127, v10
	v_mul_f32_e32 v12, v129, v12
	;; [unrolled: 1-line block ×3, first 2 shown]
	v_dual_fmac_f32 v119, v123, v1 :: v_dual_fmac_f32 v120, v125, v3
	v_fma_f32 v123, v124, v3, -v4
	v_fma_f32 v124, v126, v9, -v10
	v_fmac_f32_e32 v134, v129, v11
	v_fma_f32 v125, v128, v11, -v12
	ds_load_2addr_b64 v[9:12], v21 offset0:65 offset1:66
	s_wait_loadcnt_dscnt 0x201
	v_dual_mul_f32 v127, v7, v16 :: v_dual_mul_f32 v126, v5, v14
	s_delay_alu instid0(VALU_DEP_1)
	v_dual_mul_f32 v14, v6, v14 :: v_dual_fmac_f32 v127, v8, v15
	v_fma_f32 v122, v122, v1, -v2
	scratch_load_b128 v[1:4], off, off offset:152
	v_mul_f32_e32 v16, v8, v16
	v_fmac_f32_e32 v126, v6, v13
	v_fma_f32 v13, v5, v13, -v14
	s_delay_alu instid0(VALU_DEP_3)
	v_fma_f32 v14, v7, v15, -v16
	s_wait_loadcnt_dscnt 0x200
	v_mul_f32_e32 v15, v9, v18
	v_mul_f32_e32 v16, v10, v18
	;; [unrolled: 1-line block ×4, first 2 shown]
	ds_load_2addr_b64 v[5:8], v21 offset0:67 offset1:68
	v_fmac_f32_e32 v15, v10, v17
	v_fma_f32 v16, v9, v17, -v16
	v_fmac_f32_e32 v18, v12, v19
	v_fma_f32 v17, v11, v19, -v20
	scratch_load_b128 v[9:12], off, off offset:168
	s_wait_loadcnt_dscnt 0x100
	v_mul_f32_e32 v19, v5, v2
	v_mul_f32_e32 v2, v6, v2
	v_mul_f32_e32 v20, v7, v4
	s_delay_alu instid0(VALU_DEP_3) | instskip(NEXT) | instid1(VALU_DEP_3)
	v_dual_mul_f32 v4, v8, v4 :: v_dual_fmac_f32 v19, v6, v1
	v_fma_f32 v128, v5, v1, -v2
	s_delay_alu instid0(VALU_DEP_3) | instskip(NEXT) | instid1(VALU_DEP_3)
	v_fmac_f32_e32 v20, v8, v3
	v_fma_f32 v129, v7, v3, -v4
	ds_load_2addr_b64 v[1:4], v21 offset0:69 offset1:70
	ds_load_2addr_b64 v[5:8], v21 offset0:71 offset1:72
	s_wait_loadcnt_dscnt 0x1
	v_mul_f32_e32 v135, v1, v10
	v_mul_f32_e32 v10, v2, v10
	s_delay_alu instid0(VALU_DEP_2) | instskip(NEXT) | instid1(VALU_DEP_2)
	v_dual_mul_f32 v136, v3, v12 :: v_dual_fmac_f32 v135, v2, v9
	v_fma_f32 v137, v1, v9, -v10
	v_mul_f32_e32 v1, v4, v12
	s_delay_alu instid0(VALU_DEP_3) | instskip(NEXT) | instid1(VALU_DEP_2)
	v_fmac_f32_e32 v136, v4, v11
	v_fma_f32 v138, v3, v11, -v1
	s_clause 0x1
	scratch_load_b128 v[1:4], off, off offset:184
	scratch_load_b128 v[9:12], off, off offset:200
	s_wait_loadcnt_dscnt 0x100
	v_mul_f32_e32 v139, v5, v2
	v_dual_mul_f32 v2, v6, v2 :: v_dual_mul_f32 v141, v7, v4
	s_delay_alu instid0(VALU_DEP_2) | instskip(NEXT) | instid1(VALU_DEP_2)
	v_fmac_f32_e32 v139, v6, v1
	v_fma_f32 v140, v5, v1, -v2
	v_mul_f32_e32 v1, v8, v4
	s_delay_alu instid0(VALU_DEP_4) | instskip(NEXT) | instid1(VALU_DEP_2)
	v_fmac_f32_e32 v141, v8, v3
	v_fma_f32 v142, v7, v3, -v1
	ds_load_2addr_b64 v[1:4], v21 offset0:73 offset1:74
	ds_load_2addr_b64 v[5:8], v21 offset0:75 offset1:76
	s_wait_loadcnt_dscnt 0x1
	v_mul_f32_e32 v143, v1, v10
	v_mul_f32_e32 v145, v3, v12
	s_delay_alu instid0(VALU_DEP_2) | instskip(NEXT) | instid1(VALU_DEP_2)
	v_fmac_f32_e32 v143, v2, v9
	v_dual_mul_f32 v2, v2, v10 :: v_dual_fmac_f32 v145, v4, v11
	s_delay_alu instid0(VALU_DEP_1) | instskip(SKIP_1) | instid1(VALU_DEP_1)
	v_fma_f32 v144, v1, v9, -v2
	v_mul_f32_e32 v1, v4, v12
	v_fma_f32 v146, v3, v11, -v1
	s_clause 0x1
	scratch_load_b128 v[1:4], off, off offset:216
	scratch_load_b128 v[9:12], off, off offset:232
	s_wait_loadcnt_dscnt 0x100
	v_mul_f32_e32 v147, v5, v2
	v_dual_mul_f32 v2, v6, v2 :: v_dual_mul_f32 v149, v7, v4
	s_delay_alu instid0(VALU_DEP_2) | instskip(NEXT) | instid1(VALU_DEP_2)
	v_fmac_f32_e32 v147, v6, v1
	v_fma_f32 v148, v5, v1, -v2
	v_mul_f32_e32 v1, v8, v4
	s_delay_alu instid0(VALU_DEP_4) | instskip(NEXT) | instid1(VALU_DEP_2)
	v_fmac_f32_e32 v149, v8, v3
	v_fma_f32 v150, v7, v3, -v1
	ds_load_2addr_b64 v[1:4], v21 offset0:77 offset1:78
	ds_load_2addr_b64 v[5:8], v21 offset0:79 offset1:80
	s_wait_loadcnt_dscnt 0x1
	v_mul_f32_e32 v151, v1, v10
	v_mul_f32_e32 v153, v3, v12
	s_delay_alu instid0(VALU_DEP_2) | instskip(NEXT) | instid1(VALU_DEP_2)
	v_fmac_f32_e32 v151, v2, v9
	v_dual_mul_f32 v2, v2, v10 :: v_dual_fmac_f32 v153, v4, v11
	s_delay_alu instid0(VALU_DEP_1) | instskip(SKIP_1) | instid1(VALU_DEP_1)
	v_fma_f32 v152, v1, v9, -v2
	v_mul_f32_e32 v1, v4, v12
	;; [unrolled: 25-line block ×3, first 2 shown]
	v_fma_f32 v162, v3, v11, -v1
	s_clause 0x1
	scratch_load_b128 v[1:4], off, off offset:280
	scratch_load_b128 v[9:12], off, off offset:296
	s_wait_loadcnt_dscnt 0x100
	v_mul_f32_e32 v163, v5, v2
	v_mul_f32_e32 v2, v6, v2
	s_delay_alu instid0(VALU_DEP_1) | instskip(SKIP_1) | instid1(VALU_DEP_1)
	v_fma_f32 v164, v5, v1, -v2
	v_add_f32_e32 v2, 0, v132
	v_add_f32_e32 v2, v2, v133
	s_delay_alu instid0(VALU_DEP_1) | instskip(NEXT) | instid1(VALU_DEP_1)
	v_add_f32_e32 v2, v2, v119
	v_add_f32_e32 v2, v2, v120
	s_delay_alu instid0(VALU_DEP_1) | instskip(NEXT) | instid1(VALU_DEP_1)
	;; [unrolled: 3-line block ×3, first 2 shown]
	v_add_f32_e32 v2, v2, v126
	v_add_f32_e32 v2, v2, v127
	s_delay_alu instid0(VALU_DEP_1) | instskip(SKIP_1) | instid1(VALU_DEP_2)
	v_dual_add_f32 v2, v2, v15 :: v_dual_mul_f32 v165, v7, v4
	v_fmac_f32_e32 v163, v6, v1
	v_dual_add_f32 v2, v2, v18 :: v_dual_mul_f32 v1, v8, v4
	s_delay_alu instid0(VALU_DEP_1) | instskip(NEXT) | instid1(VALU_DEP_4)
	v_add_f32_e32 v2, v2, v19
	v_fmac_f32_e32 v165, v8, v3
	s_delay_alu instid0(VALU_DEP_3) | instskip(NEXT) | instid1(VALU_DEP_3)
	v_fma_f32 v166, v7, v3, -v1
	v_dual_add_f32 v2, v2, v20 :: v_dual_add_f32 v1, 0, v22
	s_delay_alu instid0(VALU_DEP_1) | instskip(NEXT) | instid1(VALU_DEP_1)
	v_dual_add_f32 v2, v2, v135 :: v_dual_add_f32 v1, v1, v118
	v_add_f32_e32 v5, v2, v136
	s_delay_alu instid0(VALU_DEP_2) | instskip(NEXT) | instid1(VALU_DEP_1)
	v_add_f32_e32 v1, v1, v122
	v_add_f32_e32 v1, v1, v123
	s_delay_alu instid0(VALU_DEP_1) | instskip(NEXT) | instid1(VALU_DEP_1)
	v_add_f32_e32 v1, v1, v124
	v_add_f32_e32 v1, v1, v125
	s_delay_alu instid0(VALU_DEP_1) | instskip(SKIP_1) | instid1(VALU_DEP_2)
	v_add_f32_e32 v1, v1, v13
	v_add_f32_e32 v13, v5, v139
	;; [unrolled: 1-line block ×3, first 2 shown]
	s_delay_alu instid0(VALU_DEP_2) | instskip(NEXT) | instid1(VALU_DEP_1)
	v_add_f32_e32 v13, v13, v141
	v_add_f32_e32 v13, v13, v143
	s_delay_alu instid0(VALU_DEP_1) | instskip(NEXT) | instid1(VALU_DEP_1)
	v_add_f32_e32 v18, v13, v145
	v_dual_add_f32 v18, v18, v147 :: v_dual_add_f32 v1, v1, v16
	s_delay_alu instid0(VALU_DEP_1) | instskip(NEXT) | instid1(VALU_DEP_2)
	v_add_f32_e32 v18, v18, v149
	v_add_f32_e32 v1, v1, v17
	s_delay_alu instid0(VALU_DEP_1) | instskip(NEXT) | instid1(VALU_DEP_1)
	v_add_f32_e32 v1, v1, v128
	v_add_f32_e32 v1, v1, v129
	s_delay_alu instid0(VALU_DEP_1) | instskip(NEXT) | instid1(VALU_DEP_1)
	v_add_f32_e32 v1, v1, v137
	v_add_f32_e32 v1, v1, v138
	s_delay_alu instid0(VALU_DEP_1)
	v_add_f32_e32 v6, v1, v140
	ds_load_2addr_b64 v[1:4], v21 offset0:85 offset1:86
	v_add_f32_e32 v118, v18, v151
	v_add_f32_e32 v14, v6, v142
	scratch_load_b128 v[5:8], off, off offset:312
	v_add_f32_e32 v118, v118, v153
	v_add_f32_e32 v14, v14, v144
	s_delay_alu instid0(VALU_DEP_1)
	v_add_f32_e32 v17, v14, v146
	ds_load_2addr_b64 v[13:16], v21 offset0:87 offset1:88
	s_wait_loadcnt_dscnt 0x101
	v_mul_f32_e32 v22, v1, v10
	v_mul_f32_e32 v10, v2, v10
	;; [unrolled: 1-line block ×4, first 2 shown]
	v_add_f32_e32 v118, v118, v155
	v_fmac_f32_e32 v22, v2, v9
	v_fma_f32 v123, v1, v9, -v10
	v_fmac_f32_e32 v122, v4, v11
	v_fma_f32 v124, v3, v11, -v12
	s_clause 0x1
	scratch_load_b128 v[9:12], off, off offset:344
	scratch_load_b128 v[1:4], off, off offset:328
	v_add_f32_e32 v17, v17, v148
	s_wait_loadcnt_dscnt 0x200
	v_mul_f32_e32 v125, v13, v6
	v_mul_f32_e32 v6, v14, v6
	;; [unrolled: 1-line block ×3, first 2 shown]
	s_delay_alu instid0(VALU_DEP_3) | instskip(SKIP_1) | instid1(VALU_DEP_4)
	v_dual_mul_f32 v8, v16, v8 :: v_dual_fmac_f32 v125, v14, v5
	v_add_f32_e32 v17, v17, v150
	v_fma_f32 v127, v13, v5, -v6
	s_delay_alu instid0(VALU_DEP_4) | instskip(NEXT) | instid1(VALU_DEP_4)
	v_fmac_f32_e32 v126, v16, v7
	v_fma_f32 v128, v15, v7, -v8
	ds_load_2addr_b64 v[5:8], v21 offset0:89 offset1:90
	v_add_f32_e32 v17, v17, v152
	s_delay_alu instid0(VALU_DEP_1) | instskip(SKIP_3) | instid1(VALU_DEP_1)
	v_add_f32_e32 v119, v17, v154
	scratch_load_b128 v[17:20], off, off offset:360
	v_add_f32_e32 v13, v118, v157
	v_add_f32_e32 v119, v119, v156
	;; [unrolled: 1-line block ×3, first 2 shown]
	s_delay_alu instid0(VALU_DEP_1)
	v_dual_add_f32 v118, v119, v160 :: v_dual_add_f32 v119, v13, v159
	ds_load_2addr_b64 v[13:16], v21 offset0:91 offset1:92
	v_dual_add_f32 v129, v118, v162 :: v_dual_add_f32 v132, v119, v161
	ds_load_2addr_b64 v[118:121], v21 offset0:93 offset1:94
	v_add_f32_e32 v21, v129, v164
	s_wait_loadcnt_dscnt 0x201
	v_mul_f32_e32 v133, v15, v12
	s_delay_alu instid0(VALU_DEP_1) | instskip(SKIP_2) | instid1(VALU_DEP_1)
	v_fmac_f32_e32 v133, v16, v11
	s_wait_loadcnt 0x1
	v_dual_add_f32 v129, v132, v163 :: v_dual_mul_f32 v132, v5, v2
	v_dual_mul_f32 v2, v6, v2 :: v_dual_add_f32 v129, v129, v165
	s_delay_alu instid0(VALU_DEP_2) | instskip(SKIP_2) | instid1(VALU_DEP_4)
	v_fmac_f32_e32 v132, v6, v1
	v_mul_f32_e32 v6, v14, v10
	v_add_f32_e32 v21, v21, v166
	v_fma_f32 v2, v5, v1, -v2
	v_add_f32_e32 v22, v129, v22
	v_mul_f32_e32 v129, v13, v10
	s_delay_alu instid0(VALU_DEP_2) | instskip(NEXT) | instid1(VALU_DEP_2)
	v_add_f32_e32 v22, v22, v122
	v_fmac_f32_e32 v129, v14, v9
	s_delay_alu instid0(VALU_DEP_2) | instskip(NEXT) | instid1(VALU_DEP_1)
	v_dual_add_f32 v21, v21, v123 :: v_dual_add_f32 v22, v22, v125
	v_add_f32_e32 v21, v21, v124
	s_delay_alu instid0(VALU_DEP_2) | instskip(NEXT) | instid1(VALU_DEP_2)
	v_add_f32_e32 v5, v22, v126
	v_add_f32_e32 v21, v21, v127
	s_delay_alu instid0(VALU_DEP_1) | instskip(NEXT) | instid1(VALU_DEP_1)
	v_add_f32_e32 v1, v21, v128
	v_add_f32_e32 v1, v1, v2
	s_delay_alu instid0(VALU_DEP_4)
	v_add_f32_e32 v2, v5, v132
	v_fma_f32 v5, v13, v9, -v6
	s_wait_loadcnt_dscnt 0x0
	v_mul_f32_e32 v124, v120, v20
	v_mul_f32_e32 v123, v7, v4
	;; [unrolled: 1-line block ×4, first 2 shown]
	s_delay_alu instid0(VALU_DEP_4) | instskip(NEXT) | instid1(VALU_DEP_4)
	v_fmac_f32_e32 v124, v121, v19
	v_fmac_f32_e32 v123, v8, v3
	s_delay_alu instid0(VALU_DEP_4) | instskip(SKIP_2) | instid1(VALU_DEP_4)
	v_fma_f32 v3, v7, v3, -v4
	v_mul_f32_e32 v4, v16, v12
	v_fmac_f32_e32 v122, v119, v17
	v_add_f32_e32 v2, v2, v123
	s_delay_alu instid0(VALU_DEP_4) | instskip(SKIP_2) | instid1(VALU_DEP_4)
	v_add_f32_e32 v1, v1, v3
	v_mul_f32_e32 v3, v119, v18
	v_fma_f32 v4, v15, v11, -v4
	v_add_f32_e32 v2, v2, v129
	s_delay_alu instid0(VALU_DEP_4) | instskip(SKIP_2) | instid1(VALU_DEP_3)
	v_add_f32_e32 v1, v1, v5
	v_mul_f32_e32 v5, v121, v20
	v_fma_f32 v3, v118, v17, -v3
	v_dual_add_f32 v2, v2, v133 :: v_dual_add_f32 v1, v1, v4
	s_delay_alu instid0(VALU_DEP_3) | instskip(NEXT) | instid1(VALU_DEP_2)
	v_fma_f32 v4, v120, v19, -v5
	v_dual_add_f32 v2, v2, v122 :: v_dual_add_f32 v1, v1, v3
	s_delay_alu instid0(VALU_DEP_1) | instskip(NEXT) | instid1(VALU_DEP_1)
	v_add_f32_e32 v2, v2, v124
	v_dual_add_f32 v1, v1, v4 :: v_dual_sub_f32 v2, v131, v2
	s_delay_alu instid0(VALU_DEP_1)
	v_sub_f32_e32 v1, v130, v1
	scratch_store_b64 off, v[1:2], off offset:64
	v_cmpx_lt_u32_e32 7, v0
	s_cbranch_execz .LBB46_281
; %bb.280:
	scratch_load_b64 v[1:2], off, off offset:56
	v_mov_b32_e32 v3, 0
	s_delay_alu instid0(VALU_DEP_1)
	v_mov_b32_e32 v4, v3
	scratch_store_b64 off, v[3:4], off offset:56
	s_wait_loadcnt 0x0
	ds_store_b64 v23, v[1:2]
.LBB46_281:
	s_wait_alu 0xfffe
	s_or_b32 exec_lo, exec_lo, s0
	s_wait_storecnt_dscnt 0x0
	s_barrier_signal -1
	s_barrier_wait -1
	global_inv scope:SCOPE_SE
	s_clause 0x4
	scratch_load_b128 v[5:8], off, off offset:64
	scratch_load_b128 v[1:4], off, off offset:80
	scratch_load_b128 v[9:12], off, off offset:96
	scratch_load_b128 v[13:16], off, off offset:112
	scratch_load_b128 v[17:20], off, off offset:128
	v_mov_b32_e32 v21, 0
	ds_load_b128 v[118:121], v21 offset:448
	ds_load_b128 v[122:125], v21 offset:464
	;; [unrolled: 1-line block ×3, first 2 shown]
	scratch_load_b64 v[130:131], off, off offset:56
	s_mov_b32 s0, exec_lo
	s_wait_loadcnt_dscnt 0x502
	v_mul_f32_e32 v22, v119, v6
	v_dual_mul_f32 v132, v118, v6 :: v_dual_mul_f32 v133, v120, v8
	v_mul_f32_e32 v6, v121, v8
	s_delay_alu instid0(VALU_DEP_3) | instskip(NEXT) | instid1(VALU_DEP_3)
	v_fma_f32 v22, v118, v5, -v22
	v_dual_fmac_f32 v132, v119, v5 :: v_dual_fmac_f32 v133, v121, v7
	s_wait_loadcnt_dscnt 0x401
	v_mul_f32_e32 v119, v122, v2
	v_fma_f32 v118, v120, v7, -v6
	ds_load_b128 v[5:8], v21 offset:496
	s_wait_loadcnt_dscnt 0x301
	v_dual_mul_f32 v120, v124, v4 :: v_dual_mul_f32 v121, v126, v10
	v_dual_mul_f32 v4, v125, v4 :: v_dual_fmac_f32 v119, v123, v1
	v_mul_f32_e32 v10, v127, v10
	s_delay_alu instid0(VALU_DEP_3)
	v_dual_mul_f32 v134, v128, v12 :: v_dual_fmac_f32 v121, v127, v9
	v_mul_f32_e32 v12, v129, v12
	v_mul_f32_e32 v2, v123, v2
	v_fmac_f32_e32 v120, v125, v3
	v_fma_f32 v123, v124, v3, -v4
	v_fma_f32 v124, v126, v9, -v10
	v_fmac_f32_e32 v134, v129, v11
	v_fma_f32 v125, v128, v11, -v12
	ds_load_b128 v[9:12], v21 offset:512
	s_wait_loadcnt_dscnt 0x201
	v_dual_mul_f32 v127, v7, v16 :: v_dual_mul_f32 v126, v5, v14
	v_mul_f32_e32 v14, v6, v14
	v_mul_f32_e32 v16, v8, v16
	s_delay_alu instid0(VALU_DEP_3)
	v_fmac_f32_e32 v127, v8, v15
	v_fma_f32 v122, v122, v1, -v2
	scratch_load_b128 v[1:4], off, off offset:144
	v_fmac_f32_e32 v126, v6, v13
	v_fma_f32 v13, v5, v13, -v14
	v_fma_f32 v14, v7, v15, -v16
	ds_load_b128 v[5:8], v21 offset:528
	s_wait_loadcnt_dscnt 0x201
	v_mul_f32_e32 v15, v9, v18
	v_mul_f32_e32 v16, v10, v18
	;; [unrolled: 1-line block ×3, first 2 shown]
	s_delay_alu instid0(VALU_DEP_3) | instskip(NEXT) | instid1(VALU_DEP_3)
	v_dual_mul_f32 v20, v12, v20 :: v_dual_fmac_f32 v15, v10, v17
	v_fma_f32 v16, v9, v17, -v16
	s_delay_alu instid0(VALU_DEP_3) | instskip(NEXT) | instid1(VALU_DEP_3)
	v_fmac_f32_e32 v18, v12, v19
	v_fma_f32 v17, v11, v19, -v20
	scratch_load_b128 v[9:12], off, off offset:160
	s_wait_loadcnt_dscnt 0x100
	v_mul_f32_e32 v19, v5, v2
	v_mul_f32_e32 v2, v6, v2
	;; [unrolled: 1-line block ×3, first 2 shown]
	s_delay_alu instid0(VALU_DEP_3) | instskip(NEXT) | instid1(VALU_DEP_3)
	v_dual_mul_f32 v4, v8, v4 :: v_dual_fmac_f32 v19, v6, v1
	v_fma_f32 v128, v5, v1, -v2
	s_delay_alu instid0(VALU_DEP_3) | instskip(NEXT) | instid1(VALU_DEP_3)
	v_fmac_f32_e32 v20, v8, v3
	v_fma_f32 v129, v7, v3, -v4
	ds_load_b128 v[1:4], v21 offset:544
	ds_load_b128 v[5:8], v21 offset:560
	s_wait_loadcnt_dscnt 0x1
	v_mul_f32_e32 v135, v1, v10
	v_mul_f32_e32 v10, v2, v10
	s_delay_alu instid0(VALU_DEP_2) | instskip(NEXT) | instid1(VALU_DEP_2)
	v_dual_mul_f32 v136, v3, v12 :: v_dual_fmac_f32 v135, v2, v9
	v_fma_f32 v137, v1, v9, -v10
	v_mul_f32_e32 v1, v4, v12
	s_delay_alu instid0(VALU_DEP_3) | instskip(NEXT) | instid1(VALU_DEP_2)
	v_fmac_f32_e32 v136, v4, v11
	v_fma_f32 v138, v3, v11, -v1
	s_clause 0x1
	scratch_load_b128 v[1:4], off, off offset:176
	scratch_load_b128 v[9:12], off, off offset:192
	s_wait_loadcnt_dscnt 0x100
	v_mul_f32_e32 v139, v5, v2
	v_dual_mul_f32 v2, v6, v2 :: v_dual_mul_f32 v141, v7, v4
	s_delay_alu instid0(VALU_DEP_2) | instskip(NEXT) | instid1(VALU_DEP_2)
	v_fmac_f32_e32 v139, v6, v1
	v_fma_f32 v140, v5, v1, -v2
	v_mul_f32_e32 v1, v8, v4
	s_delay_alu instid0(VALU_DEP_4) | instskip(NEXT) | instid1(VALU_DEP_2)
	v_fmac_f32_e32 v141, v8, v3
	v_fma_f32 v142, v7, v3, -v1
	ds_load_b128 v[1:4], v21 offset:576
	ds_load_b128 v[5:8], v21 offset:592
	s_wait_loadcnt_dscnt 0x1
	v_mul_f32_e32 v143, v1, v10
	v_mul_f32_e32 v145, v3, v12
	s_delay_alu instid0(VALU_DEP_2) | instskip(NEXT) | instid1(VALU_DEP_2)
	v_fmac_f32_e32 v143, v2, v9
	v_dual_mul_f32 v2, v2, v10 :: v_dual_fmac_f32 v145, v4, v11
	s_delay_alu instid0(VALU_DEP_1) | instskip(SKIP_1) | instid1(VALU_DEP_1)
	v_fma_f32 v144, v1, v9, -v2
	v_mul_f32_e32 v1, v4, v12
	v_fma_f32 v146, v3, v11, -v1
	s_clause 0x1
	scratch_load_b128 v[1:4], off, off offset:208
	scratch_load_b128 v[9:12], off, off offset:224
	s_wait_loadcnt_dscnt 0x100
	v_mul_f32_e32 v147, v5, v2
	v_dual_mul_f32 v149, v7, v4 :: v_dual_mul_f32 v2, v6, v2
	s_delay_alu instid0(VALU_DEP_2) | instskip(NEXT) | instid1(VALU_DEP_2)
	v_fmac_f32_e32 v147, v6, v1
	v_fmac_f32_e32 v149, v8, v3
	s_delay_alu instid0(VALU_DEP_3) | instskip(SKIP_1) | instid1(VALU_DEP_1)
	v_fma_f32 v148, v5, v1, -v2
	v_mul_f32_e32 v1, v8, v4
	v_fma_f32 v150, v7, v3, -v1
	ds_load_b128 v[1:4], v21 offset:608
	ds_load_b128 v[5:8], v21 offset:624
	s_wait_loadcnt_dscnt 0x1
	v_mul_f32_e32 v151, v1, v10
	v_mul_f32_e32 v153, v3, v12
	s_delay_alu instid0(VALU_DEP_2) | instskip(NEXT) | instid1(VALU_DEP_2)
	v_fmac_f32_e32 v151, v2, v9
	v_dual_mul_f32 v2, v2, v10 :: v_dual_fmac_f32 v153, v4, v11
	s_delay_alu instid0(VALU_DEP_1) | instskip(SKIP_1) | instid1(VALU_DEP_1)
	v_fma_f32 v152, v1, v9, -v2
	v_mul_f32_e32 v1, v4, v12
	v_fma_f32 v154, v3, v11, -v1
	s_clause 0x1
	scratch_load_b128 v[1:4], off, off offset:240
	scratch_load_b128 v[9:12], off, off offset:256
	s_wait_loadcnt_dscnt 0x100
	v_mul_f32_e32 v155, v5, v2
	v_dual_mul_f32 v2, v6, v2 :: v_dual_mul_f32 v157, v7, v4
	s_delay_alu instid0(VALU_DEP_2) | instskip(NEXT) | instid1(VALU_DEP_2)
	v_fmac_f32_e32 v155, v6, v1
	v_fma_f32 v156, v5, v1, -v2
	v_mul_f32_e32 v1, v8, v4
	s_delay_alu instid0(VALU_DEP_4) | instskip(NEXT) | instid1(VALU_DEP_2)
	v_fmac_f32_e32 v157, v8, v3
	v_fma_f32 v158, v7, v3, -v1
	ds_load_b128 v[1:4], v21 offset:640
	ds_load_b128 v[5:8], v21 offset:656
	s_wait_loadcnt_dscnt 0x1
	v_mul_f32_e32 v159, v1, v10
	v_mul_f32_e32 v161, v3, v12
	s_delay_alu instid0(VALU_DEP_2) | instskip(NEXT) | instid1(VALU_DEP_2)
	v_fmac_f32_e32 v159, v2, v9
	v_dual_mul_f32 v2, v2, v10 :: v_dual_fmac_f32 v161, v4, v11
	s_delay_alu instid0(VALU_DEP_1) | instskip(SKIP_1) | instid1(VALU_DEP_1)
	v_fma_f32 v160, v1, v9, -v2
	v_mul_f32_e32 v1, v4, v12
	v_fma_f32 v162, v3, v11, -v1
	s_clause 0x1
	scratch_load_b128 v[1:4], off, off offset:272
	scratch_load_b128 v[9:12], off, off offset:288
	s_wait_loadcnt_dscnt 0x100
	v_mul_f32_e32 v163, v5, v2
	v_mul_f32_e32 v2, v6, v2
	s_delay_alu instid0(VALU_DEP_1) | instskip(SKIP_1) | instid1(VALU_DEP_1)
	v_fma_f32 v164, v5, v1, -v2
	v_add_f32_e32 v2, 0, v132
	v_add_f32_e32 v2, v2, v133
	s_delay_alu instid0(VALU_DEP_1) | instskip(NEXT) | instid1(VALU_DEP_1)
	v_add_f32_e32 v2, v2, v119
	v_add_f32_e32 v2, v2, v120
	s_delay_alu instid0(VALU_DEP_1) | instskip(NEXT) | instid1(VALU_DEP_1)
	;; [unrolled: 3-line block ×4, first 2 shown]
	v_dual_add_f32 v2, v2, v15 :: v_dual_mul_f32 v165, v7, v4
	v_add_f32_e32 v2, v2, v18
	s_delay_alu instid0(VALU_DEP_1) | instskip(SKIP_1) | instid1(VALU_DEP_2)
	v_add_f32_e32 v2, v2, v19
	v_fmac_f32_e32 v163, v6, v1
	v_dual_fmac_f32 v165, v8, v3 :: v_dual_add_f32 v2, v2, v20
	s_delay_alu instid0(VALU_DEP_1) | instskip(NEXT) | instid1(VALU_DEP_1)
	v_dual_mul_f32 v1, v8, v4 :: v_dual_add_f32 v2, v2, v135
	v_fma_f32 v166, v7, v3, -v1
	v_add_f32_e32 v1, 0, v22
	s_delay_alu instid0(VALU_DEP_3) | instskip(NEXT) | instid1(VALU_DEP_2)
	v_add_f32_e32 v5, v2, v136
	v_add_f32_e32 v1, v1, v118
	s_delay_alu instid0(VALU_DEP_1) | instskip(NEXT) | instid1(VALU_DEP_1)
	v_add_f32_e32 v1, v1, v122
	v_add_f32_e32 v1, v1, v123
	scratch_load_b64 v[122:123], off, off offset:368
	v_add_f32_e32 v1, v1, v124
	s_delay_alu instid0(VALU_DEP_1) | instskip(NEXT) | instid1(VALU_DEP_1)
	v_add_f32_e32 v1, v1, v125
	v_add_f32_e32 v1, v1, v13
	;; [unrolled: 1-line block ×3, first 2 shown]
	s_delay_alu instid0(VALU_DEP_1) | instskip(NEXT) | instid1(VALU_DEP_1)
	v_add_f32_e32 v13, v13, v141
	v_add_f32_e32 v13, v13, v143
	s_delay_alu instid0(VALU_DEP_1) | instskip(NEXT) | instid1(VALU_DEP_1)
	v_add_f32_e32 v18, v13, v145
	v_dual_add_f32 v18, v18, v147 :: v_dual_add_f32 v1, v1, v14
	s_delay_alu instid0(VALU_DEP_1) | instskip(NEXT) | instid1(VALU_DEP_1)
	v_dual_add_f32 v18, v18, v149 :: v_dual_add_f32 v1, v1, v16
	v_add_f32_e32 v1, v1, v17
	s_delay_alu instid0(VALU_DEP_1) | instskip(NEXT) | instid1(VALU_DEP_1)
	v_add_f32_e32 v1, v1, v128
	v_add_f32_e32 v1, v1, v129
	s_delay_alu instid0(VALU_DEP_1) | instskip(NEXT) | instid1(VALU_DEP_1)
	v_add_f32_e32 v1, v1, v137
	v_add_f32_e32 v1, v1, v138
	s_delay_alu instid0(VALU_DEP_1)
	v_add_f32_e32 v6, v1, v140
	scratch_load_b128 v[1:4], off, off offset:304
	v_add_f32_e32 v118, v18, v151
	v_add_f32_e32 v14, v6, v142
	ds_load_b128 v[5:8], v21 offset:672
	v_add_f32_e32 v118, v118, v153
	v_add_f32_e32 v14, v14, v144
	s_delay_alu instid0(VALU_DEP_1)
	v_add_f32_e32 v17, v14, v146
	ds_load_b128 v[13:16], v21 offset:688
	s_wait_loadcnt_dscnt 0x201
	v_mul_f32_e32 v22, v5, v10
	v_mul_f32_e32 v10, v6, v10
	;; [unrolled: 1-line block ×4, first 2 shown]
	v_add_f32_e32 v118, v118, v155
	v_fmac_f32_e32 v22, v6, v9
	v_fma_f32 v127, v5, v9, -v10
	v_fmac_f32_e32 v126, v8, v11
	v_fma_f32 v128, v7, v11, -v12
	scratch_load_b128 v[5:8], off, off offset:320
	v_add_f32_e32 v118, v118, v157
	scratch_load_b128 v[9:12], off, off offset:336
	s_wait_loadcnt_dscnt 0x200
	v_mul_f32_e32 v129, v13, v2
	v_mul_f32_e32 v2, v14, v2
	;; [unrolled: 1-line block ×3, first 2 shown]
	s_delay_alu instid0(VALU_DEP_3) | instskip(NEXT) | instid1(VALU_DEP_3)
	v_dual_mul_f32 v4, v16, v4 :: v_dual_fmac_f32 v129, v14, v1
	v_fma_f32 v133, v13, v1, -v2
	v_add_f32_e32 v13, v118, v159
	s_delay_alu instid0(VALU_DEP_4) | instskip(NEXT) | instid1(VALU_DEP_4)
	v_fmac_f32_e32 v132, v16, v3
	v_fma_f32 v134, v15, v3, -v4
	ds_load_b128 v[1:4], v21 offset:704
	v_add_f32_e32 v118, v13, v161
	s_delay_alu instid0(VALU_DEP_1) | instskip(NEXT) | instid1(VALU_DEP_1)
	v_add_f32_e32 v125, v118, v163
	v_add_f32_e32 v136, v125, v165
	s_delay_alu instid0(VALU_DEP_1) | instskip(NEXT) | instid1(VALU_DEP_1)
	v_dual_add_f32 v17, v17, v148 :: v_dual_add_f32 v22, v136, v22
	v_add_f32_e32 v17, v17, v150
	s_delay_alu instid0(VALU_DEP_1) | instskip(NEXT) | instid1(VALU_DEP_1)
	v_dual_add_f32 v22, v22, v126 :: v_dual_add_f32 v17, v17, v152
	v_dual_add_f32 v22, v22, v129 :: v_dual_add_f32 v119, v17, v154
	scratch_load_b128 v[17:20], off, off offset:352
	v_add_f32_e32 v22, v22, v132
	v_add_f32_e32 v119, v119, v156
	s_delay_alu instid0(VALU_DEP_1) | instskip(NEXT) | instid1(VALU_DEP_1)
	v_add_f32_e32 v119, v119, v158
	v_add_f32_e32 v119, v119, v160
	s_delay_alu instid0(VALU_DEP_1)
	v_add_f32_e32 v14, v119, v162
	ds_load_b128 v[118:121], v21 offset:736
	v_add_f32_e32 v124, v14, v164
	ds_load_b128 v[13:16], v21 offset:720
	s_wait_loadcnt_dscnt 0x202
	v_mul_f32_e32 v126, v3, v8
	v_mul_f32_e32 v8, v4, v8
	v_add_f32_e32 v135, v124, v166
	ds_load_b64 v[124:125], v21 offset:752
	v_fmac_f32_e32 v126, v4, v7
	v_add_f32_e32 v127, v135, v127
	v_mul_f32_e32 v135, v1, v6
	v_mul_f32_e32 v6, v2, v6
	s_delay_alu instid0(VALU_DEP_2) | instskip(NEXT) | instid1(VALU_DEP_4)
	v_fmac_f32_e32 v135, v2, v5
	v_add_f32_e32 v127, v127, v128
	s_delay_alu instid0(VALU_DEP_3)
	v_fma_f32 v1, v1, v5, -v6
	v_fma_f32 v2, v3, v7, -v8
	s_wait_loadcnt_dscnt 0x101
	v_mul_f32_e32 v128, v13, v10
	v_add_f32_e32 v4, v22, v135
	v_mul_f32_e32 v3, v14, v10
	s_delay_alu instid0(VALU_DEP_3) | instskip(SKIP_2) | instid1(VALU_DEP_3)
	v_fmac_f32_e32 v128, v14, v9
	s_wait_dscnt 0x0
	v_dual_add_f32 v127, v127, v133 :: v_dual_mul_f32 v132, v124, v123
	v_fma_f32 v3, v13, v9, -v3
	s_delay_alu instid0(VALU_DEP_2) | instskip(NEXT) | instid1(VALU_DEP_1)
	v_add_f32_e32 v127, v127, v134
	v_dual_fmac_f32 v132, v125, v122 :: v_dual_add_f32 v1, v127, v1
	s_delay_alu instid0(VALU_DEP_1) | instskip(SKIP_1) | instid1(VALU_DEP_1)
	v_add_f32_e32 v1, v1, v2
	v_add_f32_e32 v2, v4, v126
	v_add_f32_e32 v2, v2, v128
	s_wait_loadcnt 0x0
	v_mul_f32_e32 v134, v120, v20
	v_mul_f32_e32 v129, v15, v12
	;; [unrolled: 1-line block ×4, first 2 shown]
	s_delay_alu instid0(VALU_DEP_4) | instskip(NEXT) | instid1(VALU_DEP_4)
	v_fmac_f32_e32 v134, v121, v19
	v_fmac_f32_e32 v129, v16, v11
	s_delay_alu instid0(VALU_DEP_4) | instskip(NEXT) | instid1(VALU_DEP_4)
	v_fmac_f32_e32 v133, v119, v17
	v_fma_f32 v4, v118, v17, -v4
	s_delay_alu instid0(VALU_DEP_3) | instskip(NEXT) | instid1(VALU_DEP_1)
	v_dual_add_f32 v2, v2, v129 :: v_dual_mul_f32 v5, v16, v12
	v_add_f32_e32 v2, v2, v133
	s_delay_alu instid0(VALU_DEP_2) | instskip(NEXT) | instid1(VALU_DEP_2)
	v_fma_f32 v5, v15, v11, -v5
	v_add_f32_e32 v2, v2, v134
	s_delay_alu instid0(VALU_DEP_1) | instskip(NEXT) | instid1(VALU_DEP_1)
	v_dual_add_f32 v2, v2, v132 :: v_dual_add_f32 v1, v1, v3
	v_dual_mul_f32 v3, v121, v20 :: v_dual_sub_f32 v2, v131, v2
	s_delay_alu instid0(VALU_DEP_2) | instskip(SKIP_1) | instid1(VALU_DEP_3)
	v_add_f32_e32 v1, v1, v5
	v_mul_f32_e32 v5, v125, v123
	v_fma_f32 v3, v120, v19, -v3
	s_delay_alu instid0(VALU_DEP_3) | instskip(NEXT) | instid1(VALU_DEP_3)
	v_add_f32_e32 v1, v1, v4
	v_fma_f32 v4, v124, v122, -v5
	s_delay_alu instid0(VALU_DEP_2) | instskip(NEXT) | instid1(VALU_DEP_1)
	v_add_f32_e32 v1, v1, v3
	v_add_f32_e32 v1, v1, v4
	s_delay_alu instid0(VALU_DEP_1)
	v_sub_f32_e32 v1, v130, v1
	scratch_store_b64 off, v[1:2], off offset:56
	v_cmpx_lt_u32_e32 6, v0
	s_cbranch_execz .LBB46_283
; %bb.282:
	scratch_load_b64 v[1:2], off, off offset:48
	v_mov_b32_e32 v22, v21
	scratch_store_b64 off, v[21:22], off offset:48
	s_wait_loadcnt 0x0
	ds_store_b64 v23, v[1:2]
.LBB46_283:
	s_wait_alu 0xfffe
	s_or_b32 exec_lo, exec_lo, s0
	s_wait_storecnt_dscnt 0x0
	s_barrier_signal -1
	s_barrier_wait -1
	global_inv scope:SCOPE_SE
	s_clause 0x4
	scratch_load_b128 v[5:8], off, off offset:56
	scratch_load_b128 v[1:4], off, off offset:72
	;; [unrolled: 1-line block ×5, first 2 shown]
	ds_load_2addr_b64 v[118:121], v21 offset0:55 offset1:56
	ds_load_2addr_b64 v[122:125], v21 offset0:57 offset1:58
	;; [unrolled: 1-line block ×3, first 2 shown]
	scratch_load_b64 v[130:131], off, off offset:48
	s_mov_b32 s0, exec_lo
	s_wait_loadcnt_dscnt 0x502
	v_dual_mul_f32 v22, v119, v6 :: v_dual_mul_f32 v133, v120, v8
	v_mul_f32_e32 v132, v118, v6
	v_mul_f32_e32 v6, v121, v8
	s_wait_loadcnt_dscnt 0x300
	v_mul_f32_e32 v134, v128, v12
	v_fma_f32 v22, v118, v5, -v22
	v_dual_fmac_f32 v133, v121, v7 :: v_dual_fmac_f32 v132, v119, v5
	v_mul_f32_e32 v121, v126, v10
	v_mul_f32_e32 v119, v122, v2
	v_fma_f32 v118, v120, v7, -v6
	ds_load_2addr_b64 v[5:8], v21 offset0:61 offset1:62
	v_mul_f32_e32 v120, v124, v4
	v_dual_mul_f32 v4, v125, v4 :: v_dual_fmac_f32 v121, v127, v9
	v_mul_f32_e32 v10, v127, v10
	v_mul_f32_e32 v12, v129, v12
	;; [unrolled: 1-line block ×3, first 2 shown]
	v_dual_fmac_f32 v119, v123, v1 :: v_dual_fmac_f32 v120, v125, v3
	v_fma_f32 v123, v124, v3, -v4
	v_fma_f32 v124, v126, v9, -v10
	v_fmac_f32_e32 v134, v129, v11
	v_fma_f32 v125, v128, v11, -v12
	ds_load_2addr_b64 v[9:12], v21 offset0:63 offset1:64
	s_wait_loadcnt_dscnt 0x201
	v_dual_mul_f32 v127, v7, v16 :: v_dual_mul_f32 v126, v5, v14
	s_delay_alu instid0(VALU_DEP_1)
	v_dual_mul_f32 v14, v6, v14 :: v_dual_fmac_f32 v127, v8, v15
	v_fma_f32 v122, v122, v1, -v2
	scratch_load_b128 v[1:4], off, off offset:136
	v_mul_f32_e32 v16, v8, v16
	v_fmac_f32_e32 v126, v6, v13
	v_fma_f32 v13, v5, v13, -v14
	s_delay_alu instid0(VALU_DEP_3)
	v_fma_f32 v14, v7, v15, -v16
	s_wait_loadcnt_dscnt 0x200
	v_mul_f32_e32 v15, v9, v18
	v_mul_f32_e32 v16, v10, v18
	;; [unrolled: 1-line block ×4, first 2 shown]
	ds_load_2addr_b64 v[5:8], v21 offset0:65 offset1:66
	v_fmac_f32_e32 v15, v10, v17
	v_fma_f32 v16, v9, v17, -v16
	v_fmac_f32_e32 v18, v12, v19
	v_fma_f32 v17, v11, v19, -v20
	scratch_load_b128 v[9:12], off, off offset:152
	s_wait_loadcnt_dscnt 0x100
	v_mul_f32_e32 v19, v5, v2
	v_mul_f32_e32 v2, v6, v2
	;; [unrolled: 1-line block ×3, first 2 shown]
	s_delay_alu instid0(VALU_DEP_3) | instskip(NEXT) | instid1(VALU_DEP_3)
	v_dual_mul_f32 v4, v8, v4 :: v_dual_fmac_f32 v19, v6, v1
	v_fma_f32 v128, v5, v1, -v2
	s_delay_alu instid0(VALU_DEP_3) | instskip(NEXT) | instid1(VALU_DEP_3)
	v_fmac_f32_e32 v20, v8, v3
	v_fma_f32 v129, v7, v3, -v4
	ds_load_2addr_b64 v[1:4], v21 offset0:67 offset1:68
	ds_load_2addr_b64 v[5:8], v21 offset0:69 offset1:70
	s_wait_loadcnt_dscnt 0x1
	v_mul_f32_e32 v135, v1, v10
	v_mul_f32_e32 v10, v2, v10
	s_delay_alu instid0(VALU_DEP_2) | instskip(NEXT) | instid1(VALU_DEP_2)
	v_dual_mul_f32 v136, v3, v12 :: v_dual_fmac_f32 v135, v2, v9
	v_fma_f32 v137, v1, v9, -v10
	v_mul_f32_e32 v1, v4, v12
	s_delay_alu instid0(VALU_DEP_3) | instskip(NEXT) | instid1(VALU_DEP_2)
	v_fmac_f32_e32 v136, v4, v11
	v_fma_f32 v138, v3, v11, -v1
	s_clause 0x1
	scratch_load_b128 v[1:4], off, off offset:168
	scratch_load_b128 v[9:12], off, off offset:184
	s_wait_loadcnt_dscnt 0x100
	v_mul_f32_e32 v139, v5, v2
	v_dual_mul_f32 v2, v6, v2 :: v_dual_mul_f32 v141, v7, v4
	s_delay_alu instid0(VALU_DEP_2) | instskip(NEXT) | instid1(VALU_DEP_2)
	v_fmac_f32_e32 v139, v6, v1
	v_fma_f32 v140, v5, v1, -v2
	v_mul_f32_e32 v1, v8, v4
	s_delay_alu instid0(VALU_DEP_4) | instskip(NEXT) | instid1(VALU_DEP_2)
	v_fmac_f32_e32 v141, v8, v3
	v_fma_f32 v142, v7, v3, -v1
	ds_load_2addr_b64 v[1:4], v21 offset0:71 offset1:72
	ds_load_2addr_b64 v[5:8], v21 offset0:73 offset1:74
	s_wait_loadcnt_dscnt 0x1
	v_mul_f32_e32 v143, v1, v10
	v_mul_f32_e32 v145, v3, v12
	s_delay_alu instid0(VALU_DEP_2) | instskip(NEXT) | instid1(VALU_DEP_2)
	v_fmac_f32_e32 v143, v2, v9
	v_dual_mul_f32 v2, v2, v10 :: v_dual_fmac_f32 v145, v4, v11
	s_delay_alu instid0(VALU_DEP_1) | instskip(SKIP_1) | instid1(VALU_DEP_1)
	v_fma_f32 v144, v1, v9, -v2
	v_mul_f32_e32 v1, v4, v12
	v_fma_f32 v146, v3, v11, -v1
	s_clause 0x1
	scratch_load_b128 v[1:4], off, off offset:200
	scratch_load_b128 v[9:12], off, off offset:216
	s_wait_loadcnt_dscnt 0x100
	v_mul_f32_e32 v147, v5, v2
	v_dual_mul_f32 v2, v6, v2 :: v_dual_mul_f32 v149, v7, v4
	s_delay_alu instid0(VALU_DEP_2) | instskip(NEXT) | instid1(VALU_DEP_2)
	v_fmac_f32_e32 v147, v6, v1
	v_fma_f32 v148, v5, v1, -v2
	v_mul_f32_e32 v1, v8, v4
	s_delay_alu instid0(VALU_DEP_4) | instskip(NEXT) | instid1(VALU_DEP_2)
	v_fmac_f32_e32 v149, v8, v3
	v_fma_f32 v150, v7, v3, -v1
	ds_load_2addr_b64 v[1:4], v21 offset0:75 offset1:76
	ds_load_2addr_b64 v[5:8], v21 offset0:77 offset1:78
	s_wait_loadcnt_dscnt 0x1
	v_mul_f32_e32 v151, v1, v10
	v_mul_f32_e32 v153, v3, v12
	s_delay_alu instid0(VALU_DEP_2) | instskip(NEXT) | instid1(VALU_DEP_2)
	v_fmac_f32_e32 v151, v2, v9
	v_dual_mul_f32 v2, v2, v10 :: v_dual_fmac_f32 v153, v4, v11
	s_delay_alu instid0(VALU_DEP_1) | instskip(SKIP_1) | instid1(VALU_DEP_1)
	v_fma_f32 v152, v1, v9, -v2
	v_mul_f32_e32 v1, v4, v12
	;; [unrolled: 25-line block ×4, first 2 shown]
	v_fma_f32 v170, v3, v11, -v1
	s_clause 0x1
	scratch_load_b128 v[1:4], off, off offset:296
	scratch_load_b128 v[9:12], off, off offset:312
	s_wait_loadcnt_dscnt 0x100
	v_mul_f32_e32 v171, v5, v2
	v_mul_f32_e32 v2, v6, v2
	s_delay_alu instid0(VALU_DEP_1) | instskip(SKIP_1) | instid1(VALU_DEP_1)
	v_fma_f32 v172, v5, v1, -v2
	v_add_f32_e32 v2, 0, v132
	v_add_f32_e32 v2, v2, v133
	s_delay_alu instid0(VALU_DEP_1) | instskip(NEXT) | instid1(VALU_DEP_1)
	v_add_f32_e32 v2, v2, v119
	v_add_f32_e32 v2, v2, v120
	s_delay_alu instid0(VALU_DEP_1) | instskip(NEXT) | instid1(VALU_DEP_1)
	;; [unrolled: 3-line block ×6, first 2 shown]
	v_add_f32_e32 v2, v2, v135
	v_add_f32_e32 v2, v2, v136
	v_fmac_f32_e32 v171, v6, v1
	s_delay_alu instid0(VALU_DEP_2) | instskip(NEXT) | instid1(VALU_DEP_1)
	v_dual_add_f32 v2, v2, v139 :: v_dual_mul_f32 v173, v7, v4
	v_add_f32_e32 v2, v2, v141
	s_delay_alu instid0(VALU_DEP_1) | instskip(NEXT) | instid1(VALU_DEP_1)
	v_add_f32_e32 v5, v2, v143
	v_add_f32_e32 v5, v5, v145
	s_delay_alu instid0(VALU_DEP_1) | instskip(SKIP_1) | instid1(VALU_DEP_1)
	v_add_f32_e32 v5, v5, v147
	v_mul_f32_e32 v1, v8, v4
	v_fma_f32 v174, v7, v3, -v1
	v_add_f32_e32 v1, 0, v22
	s_delay_alu instid0(VALU_DEP_1) | instskip(NEXT) | instid1(VALU_DEP_1)
	v_add_f32_e32 v1, v1, v118
	v_add_f32_e32 v1, v1, v122
	s_delay_alu instid0(VALU_DEP_1) | instskip(NEXT) | instid1(VALU_DEP_1)
	v_add_f32_e32 v1, v1, v123
	;; [unrolled: 3-line block ×3, first 2 shown]
	v_add_f32_e32 v1, v1, v13
	s_delay_alu instid0(VALU_DEP_1) | instskip(SKIP_1) | instid1(VALU_DEP_2)
	v_add_f32_e32 v1, v1, v14
	v_add_f32_e32 v14, v5, v149
	;; [unrolled: 1-line block ×3, first 2 shown]
	s_delay_alu instid0(VALU_DEP_1) | instskip(NEXT) | instid1(VALU_DEP_1)
	v_add_f32_e32 v1, v1, v17
	v_add_f32_e32 v1, v1, v128
	s_delay_alu instid0(VALU_DEP_1) | instskip(NEXT) | instid1(VALU_DEP_1)
	v_add_f32_e32 v1, v1, v129
	v_add_f32_e32 v1, v1, v137
	;; [unrolled: 3-line block ×4, first 2 shown]
	s_delay_alu instid0(VALU_DEP_1) | instskip(SKIP_3) | instid1(VALU_DEP_2)
	v_dual_add_f32 v6, v1, v146 :: v_dual_fmac_f32 v173, v8, v3
	ds_load_2addr_b64 v[1:4], v21 offset0:87 offset1:88
	v_add_f32_e32 v14, v14, v151
	v_add_f32_e32 v6, v6, v148
	;; [unrolled: 1-line block ×3, first 2 shown]
	s_delay_alu instid0(VALU_DEP_2) | instskip(SKIP_2) | instid1(VALU_DEP_1)
	v_add_f32_e32 v13, v6, v150
	ds_load_2addr_b64 v[5:8], v21 offset0:89 offset1:90
	v_add_f32_e32 v13, v13, v152
	v_add_f32_e32 v13, v13, v154
	s_wait_loadcnt_dscnt 0x1
	v_mul_f32_e32 v22, v1, v10
	v_mul_f32_e32 v122, v3, v12
	;; [unrolled: 1-line block ×4, first 2 shown]
	s_delay_alu instid0(VALU_DEP_4) | instskip(NEXT) | instid1(VALU_DEP_4)
	v_dual_add_f32 v13, v13, v156 :: v_dual_fmac_f32 v22, v2, v9
	v_fmac_f32_e32 v122, v4, v11
	s_delay_alu instid0(VALU_DEP_4) | instskip(NEXT) | instid1(VALU_DEP_4)
	v_fma_f32 v123, v1, v9, -v10
	v_fma_f32 v124, v3, v11, -v12
	s_clause 0x1
	scratch_load_b128 v[1:4], off, off offset:328
	scratch_load_b128 v[9:12], off, off offset:344
	v_dual_add_f32 v17, v14, v155 :: v_dual_add_f32 v18, v13, v158
	scratch_load_b128 v[13:16], off, off offset:360
	v_dual_add_f32 v17, v17, v157 :: v_dual_add_f32 v18, v18, v160
	s_delay_alu instid0(VALU_DEP_1) | instskip(NEXT) | instid1(VALU_DEP_1)
	v_dual_add_f32 v17, v17, v159 :: v_dual_add_f32 v18, v18, v162
	v_dual_add_f32 v17, v17, v161 :: v_dual_add_f32 v118, v18, v164
	s_delay_alu instid0(VALU_DEP_1) | instskip(NEXT) | instid1(VALU_DEP_2)
	v_add_f32_e32 v119, v17, v163
	v_add_f32_e32 v125, v118, v166
	ds_load_2addr_b64 v[17:20], v21 offset0:91 offset1:92
	v_add_f32_e32 v126, v119, v165
	ds_load_2addr_b64 v[118:121], v21 offset0:93 offset1:94
	v_add_f32_e32 v21, v125, v168
	v_add_f32_e32 v125, v126, v167
	s_delay_alu instid0(VALU_DEP_2) | instskip(NEXT) | instid1(VALU_DEP_2)
	v_add_f32_e32 v21, v21, v170
	v_add_f32_e32 v125, v125, v169
	s_delay_alu instid0(VALU_DEP_2) | instskip(NEXT) | instid1(VALU_DEP_2)
	;; [unrolled: 3-line block ×3, first 2 shown]
	v_add_f32_e32 v21, v21, v174
	v_add_f32_e32 v125, v125, v173
	s_delay_alu instid0(VALU_DEP_2) | instskip(SKIP_1) | instid1(VALU_DEP_2)
	v_add_f32_e32 v21, v21, v123
	s_wait_loadcnt_dscnt 0x202
	v_dual_add_f32 v22, v125, v22 :: v_dual_mul_f32 v127, v7, v4
	v_mul_f32_e32 v126, v5, v2
	v_mul_f32_e32 v2, v6, v2
	;; [unrolled: 1-line block ×3, first 2 shown]
	s_wait_loadcnt_dscnt 0x101
	v_dual_mul_f32 v128, v17, v10 :: v_dual_fmac_f32 v127, v8, v3
	v_fmac_f32_e32 v126, v6, v1
	v_fma_f32 v2, v5, v1, -v2
	v_add_f32_e32 v1, v21, v124
	v_add_f32_e32 v5, v22, v122
	v_mul_f32_e32 v6, v18, v10
	v_fma_f32 v3, v7, v3, -v4
	v_mul_f32_e32 v129, v19, v12
	v_add_f32_e32 v1, v1, v2
	v_add_f32_e32 v2, v5, v126
	v_mul_f32_e32 v4, v20, v12
	v_fmac_f32_e32 v128, v18, v9
	v_fma_f32 v5, v17, v9, -v6
	v_add_f32_e32 v1, v1, v3
	v_add_f32_e32 v2, v2, v127
	s_wait_loadcnt_dscnt 0x0
	v_mul_f32_e32 v132, v118, v14
	v_mul_f32_e32 v3, v119, v14
	v_fmac_f32_e32 v129, v20, v11
	v_fma_f32 v4, v19, v11, -v4
	v_dual_add_f32 v1, v1, v5 :: v_dual_add_f32 v2, v2, v128
	v_mul_f32_e32 v123, v120, v16
	v_dual_mul_f32 v5, v121, v16 :: v_dual_fmac_f32 v132, v119, v13
	v_fma_f32 v3, v118, v13, -v3
	s_delay_alu instid0(VALU_DEP_4) | instskip(NEXT) | instid1(VALU_DEP_4)
	v_dual_add_f32 v1, v1, v4 :: v_dual_add_f32 v2, v2, v129
	v_fmac_f32_e32 v123, v121, v15
	s_delay_alu instid0(VALU_DEP_4) | instskip(NEXT) | instid1(VALU_DEP_3)
	v_fma_f32 v4, v120, v15, -v5
	v_dual_add_f32 v1, v1, v3 :: v_dual_add_f32 v2, v2, v132
	s_delay_alu instid0(VALU_DEP_1) | instskip(NEXT) | instid1(VALU_DEP_1)
	v_dual_add_f32 v1, v1, v4 :: v_dual_add_f32 v2, v2, v123
	v_dual_sub_f32 v1, v130, v1 :: v_dual_sub_f32 v2, v131, v2
	scratch_store_b64 off, v[1:2], off offset:48
	v_cmpx_lt_u32_e32 5, v0
	s_cbranch_execz .LBB46_285
; %bb.284:
	scratch_load_b64 v[1:2], off, off offset:40
	v_mov_b32_e32 v3, 0
	s_delay_alu instid0(VALU_DEP_1)
	v_mov_b32_e32 v4, v3
	scratch_store_b64 off, v[3:4], off offset:40
	s_wait_loadcnt 0x0
	ds_store_b64 v23, v[1:2]
.LBB46_285:
	s_wait_alu 0xfffe
	s_or_b32 exec_lo, exec_lo, s0
	s_wait_storecnt_dscnt 0x0
	s_barrier_signal -1
	s_barrier_wait -1
	global_inv scope:SCOPE_SE
	s_clause 0x4
	scratch_load_b128 v[5:8], off, off offset:48
	scratch_load_b128 v[1:4], off, off offset:64
	;; [unrolled: 1-line block ×5, first 2 shown]
	v_mov_b32_e32 v21, 0
	ds_load_b128 v[118:121], v21 offset:432
	ds_load_b128 v[122:125], v21 offset:448
	ds_load_b128 v[126:129], v21 offset:464
	scratch_load_b64 v[130:131], off, off offset:40
	s_mov_b32 s0, exec_lo
	s_wait_loadcnt_dscnt 0x502
	v_mul_f32_e32 v22, v119, v6
	v_dual_mul_f32 v132, v118, v6 :: v_dual_mul_f32 v133, v120, v8
	v_mul_f32_e32 v6, v121, v8
	s_delay_alu instid0(VALU_DEP_3) | instskip(NEXT) | instid1(VALU_DEP_3)
	v_fma_f32 v22, v118, v5, -v22
	v_dual_fmac_f32 v132, v119, v5 :: v_dual_fmac_f32 v133, v121, v7
	s_wait_loadcnt_dscnt 0x401
	v_mul_f32_e32 v119, v122, v2
	v_fma_f32 v118, v120, v7, -v6
	ds_load_b128 v[5:8], v21 offset:480
	s_wait_loadcnt_dscnt 0x301
	v_dual_mul_f32 v120, v124, v4 :: v_dual_mul_f32 v121, v126, v10
	v_dual_mul_f32 v4, v125, v4 :: v_dual_fmac_f32 v119, v123, v1
	v_mul_f32_e32 v10, v127, v10
	s_delay_alu instid0(VALU_DEP_3)
	v_dual_mul_f32 v134, v128, v12 :: v_dual_fmac_f32 v121, v127, v9
	v_mul_f32_e32 v12, v129, v12
	v_mul_f32_e32 v2, v123, v2
	v_fmac_f32_e32 v120, v125, v3
	v_fma_f32 v123, v124, v3, -v4
	v_fma_f32 v124, v126, v9, -v10
	v_fmac_f32_e32 v134, v129, v11
	v_fma_f32 v125, v128, v11, -v12
	ds_load_b128 v[9:12], v21 offset:496
	s_wait_loadcnt_dscnt 0x201
	v_dual_mul_f32 v127, v7, v16 :: v_dual_mul_f32 v126, v5, v14
	v_mul_f32_e32 v14, v6, v14
	v_mul_f32_e32 v16, v8, v16
	s_delay_alu instid0(VALU_DEP_3)
	v_fmac_f32_e32 v127, v8, v15
	v_fma_f32 v122, v122, v1, -v2
	scratch_load_b128 v[1:4], off, off offset:128
	v_fmac_f32_e32 v126, v6, v13
	v_fma_f32 v13, v5, v13, -v14
	v_fma_f32 v14, v7, v15, -v16
	ds_load_b128 v[5:8], v21 offset:512
	s_wait_loadcnt_dscnt 0x201
	v_mul_f32_e32 v15, v9, v18
	v_mul_f32_e32 v16, v10, v18
	v_mul_f32_e32 v18, v11, v20
	s_delay_alu instid0(VALU_DEP_3) | instskip(NEXT) | instid1(VALU_DEP_3)
	v_dual_mul_f32 v20, v12, v20 :: v_dual_fmac_f32 v15, v10, v17
	v_fma_f32 v16, v9, v17, -v16
	s_delay_alu instid0(VALU_DEP_3) | instskip(NEXT) | instid1(VALU_DEP_3)
	v_fmac_f32_e32 v18, v12, v19
	v_fma_f32 v17, v11, v19, -v20
	scratch_load_b128 v[9:12], off, off offset:144
	s_wait_loadcnt_dscnt 0x100
	v_mul_f32_e32 v19, v5, v2
	v_mul_f32_e32 v2, v6, v2
	;; [unrolled: 1-line block ×3, first 2 shown]
	s_delay_alu instid0(VALU_DEP_3) | instskip(NEXT) | instid1(VALU_DEP_3)
	v_dual_mul_f32 v4, v8, v4 :: v_dual_fmac_f32 v19, v6, v1
	v_fma_f32 v128, v5, v1, -v2
	s_delay_alu instid0(VALU_DEP_3) | instskip(NEXT) | instid1(VALU_DEP_3)
	v_fmac_f32_e32 v20, v8, v3
	v_fma_f32 v129, v7, v3, -v4
	ds_load_b128 v[1:4], v21 offset:528
	ds_load_b128 v[5:8], v21 offset:544
	s_wait_loadcnt_dscnt 0x1
	v_mul_f32_e32 v135, v1, v10
	v_mul_f32_e32 v10, v2, v10
	s_delay_alu instid0(VALU_DEP_2) | instskip(NEXT) | instid1(VALU_DEP_2)
	v_dual_mul_f32 v136, v3, v12 :: v_dual_fmac_f32 v135, v2, v9
	v_fma_f32 v137, v1, v9, -v10
	v_mul_f32_e32 v1, v4, v12
	s_delay_alu instid0(VALU_DEP_3) | instskip(NEXT) | instid1(VALU_DEP_2)
	v_fmac_f32_e32 v136, v4, v11
	v_fma_f32 v138, v3, v11, -v1
	s_clause 0x1
	scratch_load_b128 v[1:4], off, off offset:160
	scratch_load_b128 v[9:12], off, off offset:176
	s_wait_loadcnt_dscnt 0x100
	v_mul_f32_e32 v139, v5, v2
	v_dual_mul_f32 v2, v6, v2 :: v_dual_mul_f32 v141, v7, v4
	s_delay_alu instid0(VALU_DEP_2) | instskip(NEXT) | instid1(VALU_DEP_2)
	v_fmac_f32_e32 v139, v6, v1
	v_fma_f32 v140, v5, v1, -v2
	v_mul_f32_e32 v1, v8, v4
	s_delay_alu instid0(VALU_DEP_4) | instskip(NEXT) | instid1(VALU_DEP_2)
	v_fmac_f32_e32 v141, v8, v3
	v_fma_f32 v142, v7, v3, -v1
	ds_load_b128 v[1:4], v21 offset:560
	ds_load_b128 v[5:8], v21 offset:576
	s_wait_loadcnt_dscnt 0x1
	v_mul_f32_e32 v143, v1, v10
	v_mul_f32_e32 v145, v3, v12
	s_delay_alu instid0(VALU_DEP_2) | instskip(NEXT) | instid1(VALU_DEP_2)
	v_fmac_f32_e32 v143, v2, v9
	v_dual_mul_f32 v2, v2, v10 :: v_dual_fmac_f32 v145, v4, v11
	s_delay_alu instid0(VALU_DEP_1) | instskip(SKIP_1) | instid1(VALU_DEP_1)
	v_fma_f32 v144, v1, v9, -v2
	v_mul_f32_e32 v1, v4, v12
	v_fma_f32 v146, v3, v11, -v1
	s_clause 0x1
	scratch_load_b128 v[1:4], off, off offset:192
	scratch_load_b128 v[9:12], off, off offset:208
	s_wait_loadcnt_dscnt 0x100
	v_mul_f32_e32 v147, v5, v2
	v_dual_mul_f32 v149, v7, v4 :: v_dual_mul_f32 v2, v6, v2
	s_delay_alu instid0(VALU_DEP_2) | instskip(NEXT) | instid1(VALU_DEP_2)
	v_fmac_f32_e32 v147, v6, v1
	v_fmac_f32_e32 v149, v8, v3
	s_delay_alu instid0(VALU_DEP_3) | instskip(SKIP_1) | instid1(VALU_DEP_1)
	v_fma_f32 v148, v5, v1, -v2
	v_mul_f32_e32 v1, v8, v4
	v_fma_f32 v150, v7, v3, -v1
	ds_load_b128 v[1:4], v21 offset:592
	ds_load_b128 v[5:8], v21 offset:608
	s_wait_loadcnt_dscnt 0x1
	v_mul_f32_e32 v151, v1, v10
	v_mul_f32_e32 v153, v3, v12
	s_delay_alu instid0(VALU_DEP_2) | instskip(NEXT) | instid1(VALU_DEP_2)
	v_fmac_f32_e32 v151, v2, v9
	v_dual_mul_f32 v2, v2, v10 :: v_dual_fmac_f32 v153, v4, v11
	s_delay_alu instid0(VALU_DEP_1) | instskip(SKIP_1) | instid1(VALU_DEP_1)
	v_fma_f32 v152, v1, v9, -v2
	v_mul_f32_e32 v1, v4, v12
	v_fma_f32 v154, v3, v11, -v1
	s_clause 0x1
	scratch_load_b128 v[1:4], off, off offset:224
	scratch_load_b128 v[9:12], off, off offset:240
	s_wait_loadcnt_dscnt 0x100
	v_mul_f32_e32 v155, v5, v2
	v_dual_mul_f32 v2, v6, v2 :: v_dual_mul_f32 v157, v7, v4
	s_delay_alu instid0(VALU_DEP_2) | instskip(NEXT) | instid1(VALU_DEP_2)
	v_fmac_f32_e32 v155, v6, v1
	v_fma_f32 v156, v5, v1, -v2
	v_mul_f32_e32 v1, v8, v4
	s_delay_alu instid0(VALU_DEP_4) | instskip(NEXT) | instid1(VALU_DEP_2)
	v_fmac_f32_e32 v157, v8, v3
	v_fma_f32 v158, v7, v3, -v1
	ds_load_b128 v[1:4], v21 offset:624
	ds_load_b128 v[5:8], v21 offset:640
	s_wait_loadcnt_dscnt 0x1
	v_mul_f32_e32 v159, v1, v10
	v_mul_f32_e32 v161, v3, v12
	s_delay_alu instid0(VALU_DEP_2) | instskip(NEXT) | instid1(VALU_DEP_2)
	v_fmac_f32_e32 v159, v2, v9
	v_dual_mul_f32 v2, v2, v10 :: v_dual_fmac_f32 v161, v4, v11
	s_delay_alu instid0(VALU_DEP_1) | instskip(SKIP_1) | instid1(VALU_DEP_1)
	v_fma_f32 v160, v1, v9, -v2
	v_mul_f32_e32 v1, v4, v12
	v_fma_f32 v162, v3, v11, -v1
	s_clause 0x1
	scratch_load_b128 v[1:4], off, off offset:256
	scratch_load_b128 v[9:12], off, off offset:272
	s_wait_loadcnt_dscnt 0x100
	v_mul_f32_e32 v163, v5, v2
	v_dual_mul_f32 v2, v6, v2 :: v_dual_mul_f32 v165, v7, v4
	s_delay_alu instid0(VALU_DEP_2) | instskip(NEXT) | instid1(VALU_DEP_2)
	v_fmac_f32_e32 v163, v6, v1
	v_fma_f32 v164, v5, v1, -v2
	v_mul_f32_e32 v1, v8, v4
	s_delay_alu instid0(VALU_DEP_4) | instskip(NEXT) | instid1(VALU_DEP_2)
	v_fmac_f32_e32 v165, v8, v3
	v_fma_f32 v166, v7, v3, -v1
	ds_load_b128 v[1:4], v21 offset:656
	ds_load_b128 v[5:8], v21 offset:672
	s_wait_loadcnt_dscnt 0x1
	v_mul_f32_e32 v167, v1, v10
	v_mul_f32_e32 v169, v3, v12
	s_delay_alu instid0(VALU_DEP_2) | instskip(NEXT) | instid1(VALU_DEP_2)
	v_fmac_f32_e32 v167, v2, v9
	v_dual_mul_f32 v2, v2, v10 :: v_dual_fmac_f32 v169, v4, v11
	s_delay_alu instid0(VALU_DEP_1) | instskip(SKIP_1) | instid1(VALU_DEP_1)
	v_fma_f32 v168, v1, v9, -v2
	v_mul_f32_e32 v1, v4, v12
	v_fma_f32 v170, v3, v11, -v1
	s_clause 0x1
	scratch_load_b128 v[1:4], off, off offset:288
	scratch_load_b128 v[9:12], off, off offset:304
	s_wait_loadcnt_dscnt 0x100
	v_mul_f32_e32 v171, v5, v2
	v_mul_f32_e32 v2, v6, v2
	s_delay_alu instid0(VALU_DEP_1) | instskip(SKIP_1) | instid1(VALU_DEP_1)
	v_fma_f32 v172, v5, v1, -v2
	v_add_f32_e32 v2, 0, v132
	v_add_f32_e32 v2, v2, v133
	s_delay_alu instid0(VALU_DEP_1) | instskip(NEXT) | instid1(VALU_DEP_1)
	v_add_f32_e32 v2, v2, v119
	v_add_f32_e32 v2, v2, v120
	s_delay_alu instid0(VALU_DEP_1) | instskip(NEXT) | instid1(VALU_DEP_1)
	;; [unrolled: 3-line block ×7, first 2 shown]
	v_add_f32_e32 v2, v2, v139
	v_add_f32_e32 v2, v2, v141
	v_fmac_f32_e32 v171, v6, v1
	v_mul_f32_e32 v1, v8, v4
	s_delay_alu instid0(VALU_DEP_3) | instskip(NEXT) | instid1(VALU_DEP_2)
	v_add_f32_e32 v5, v2, v143
	v_fma_f32 v174, v7, v3, -v1
	v_add_f32_e32 v1, 0, v22
	s_delay_alu instid0(VALU_DEP_3) | instskip(NEXT) | instid1(VALU_DEP_2)
	v_add_f32_e32 v5, v5, v145
	v_add_f32_e32 v1, v1, v118
	s_delay_alu instid0(VALU_DEP_2) | instskip(SKIP_1) | instid1(VALU_DEP_3)
	v_add_f32_e32 v5, v5, v147
	v_mul_f32_e32 v173, v7, v4
	v_add_f32_e32 v1, v1, v122
	s_delay_alu instid0(VALU_DEP_1) | instskip(SKIP_2) | instid1(VALU_DEP_1)
	v_add_f32_e32 v1, v1, v123
	scratch_load_b64 v[122:123], off, off offset:368
	v_add_f32_e32 v1, v1, v124
	v_add_f32_e32 v1, v1, v125
	s_delay_alu instid0(VALU_DEP_1) | instskip(NEXT) | instid1(VALU_DEP_1)
	v_add_f32_e32 v1, v1, v13
	v_add_f32_e32 v1, v1, v14
	;; [unrolled: 1-line block ×3, first 2 shown]
	s_delay_alu instid0(VALU_DEP_2) | instskip(NEXT) | instid1(VALU_DEP_1)
	v_add_f32_e32 v1, v1, v16
	v_add_f32_e32 v1, v1, v17
	s_delay_alu instid0(VALU_DEP_1) | instskip(NEXT) | instid1(VALU_DEP_1)
	v_add_f32_e32 v1, v1, v128
	v_add_f32_e32 v1, v1, v129
	s_delay_alu instid0(VALU_DEP_1) | instskip(NEXT) | instid1(VALU_DEP_1)
	;; [unrolled: 3-line block ×4, first 2 shown]
	v_add_f32_e32 v1, v1, v144
	v_dual_add_f32 v6, v1, v146 :: v_dual_fmac_f32 v173, v8, v3
	ds_load_b128 v[1:4], v21 offset:688
	v_add_f32_e32 v14, v14, v151
	v_add_f32_e32 v6, v6, v148
	s_delay_alu instid0(VALU_DEP_2) | instskip(NEXT) | instid1(VALU_DEP_2)
	v_add_f32_e32 v14, v14, v153
	v_add_f32_e32 v13, v6, v150
	ds_load_b128 v[5:8], v21 offset:704
	s_wait_loadcnt_dscnt 0x101
	v_mul_f32_e32 v22, v1, v10
	v_mul_f32_e32 v10, v2, v10
	;; [unrolled: 1-line block ×3, first 2 shown]
	v_dual_mul_f32 v12, v4, v12 :: v_dual_add_f32 v17, v14, v155
	s_delay_alu instid0(VALU_DEP_4) | instskip(NEXT) | instid1(VALU_DEP_4)
	v_fmac_f32_e32 v22, v2, v9
	v_fma_f32 v127, v1, v9, -v10
	s_delay_alu instid0(VALU_DEP_4) | instskip(NEXT) | instid1(VALU_DEP_4)
	v_fmac_f32_e32 v126, v4, v11
	v_fma_f32 v128, v3, v11, -v12
	s_clause 0x1
	scratch_load_b128 v[1:4], off, off offset:320
	scratch_load_b128 v[9:12], off, off offset:336
	v_add_f32_e32 v17, v17, v157
	s_delay_alu instid0(VALU_DEP_1) | instskip(NEXT) | instid1(VALU_DEP_1)
	v_add_f32_e32 v17, v17, v159
	v_add_f32_e32 v17, v17, v161
	s_delay_alu instid0(VALU_DEP_1) | instskip(NEXT) | instid1(VALU_DEP_1)
	v_add_f32_e32 v17, v17, v163
	v_add_f32_e32 v118, v17, v165
	s_delay_alu instid0(VALU_DEP_1)
	v_add_f32_e32 v125, v118, v167
	ds_load_b128 v[118:121], v21 offset:736
	v_add_f32_e32 v132, v125, v169
	s_wait_loadcnt_dscnt 0x101
	v_dual_mul_f32 v133, v5, v2 :: v_dual_mul_f32 v134, v7, v4
	v_dual_add_f32 v13, v13, v152 :: v_dual_mul_f32 v2, v6, v2
	s_delay_alu instid0(VALU_DEP_2) | instskip(NEXT) | instid1(VALU_DEP_2)
	v_dual_mul_f32 v4, v8, v4 :: v_dual_fmac_f32 v133, v6, v1
	v_dual_fmac_f32 v134, v8, v3 :: v_dual_add_f32 v13, v13, v154
	s_delay_alu instid0(VALU_DEP_3) | instskip(NEXT) | instid1(VALU_DEP_3)
	v_fma_f32 v2, v5, v1, -v2
	v_fma_f32 v1, v7, v3, -v4
	s_delay_alu instid0(VALU_DEP_3) | instskip(NEXT) | instid1(VALU_DEP_1)
	v_add_f32_e32 v13, v13, v156
	v_add_f32_e32 v18, v13, v158
	scratch_load_b128 v[13:16], off, off offset:352
	v_add_f32_e32 v132, v132, v171
	v_add_f32_e32 v18, v18, v160
	s_delay_alu instid0(VALU_DEP_2) | instskip(NEXT) | instid1(VALU_DEP_2)
	v_add_f32_e32 v132, v132, v173
	v_add_f32_e32 v18, v18, v162
	s_delay_alu instid0(VALU_DEP_2) | instskip(NEXT) | instid1(VALU_DEP_2)
	;; [unrolled: 3-line block ×3, first 2 shown]
	v_add_f32_e32 v22, v22, v126
	v_add_f32_e32 v18, v18, v166
	s_delay_alu instid0(VALU_DEP_1)
	v_add_f32_e32 v124, v18, v168
	ds_load_b128 v[17:20], v21 offset:720
	v_add_f32_e32 v129, v124, v170
	ds_load_b64 v[124:125], v21 offset:752
	s_wait_loadcnt_dscnt 0x101
	v_dual_mul_f32 v3, v18, v10 :: v_dual_mul_f32 v132, v19, v12
	v_mul_f32_e32 v5, v20, v12
	s_delay_alu instid0(VALU_DEP_2) | instskip(NEXT) | instid1(VALU_DEP_3)
	v_fma_f32 v3, v17, v9, -v3
	v_fmac_f32_e32 v132, v20, v11
	s_delay_alu instid0(VALU_DEP_3) | instskip(SKIP_2) | instid1(VALU_DEP_1)
	v_fma_f32 v5, v19, v11, -v5
	s_wait_dscnt 0x0
	v_mul_f32_e32 v126, v124, v123
	v_fmac_f32_e32 v126, v125, v122
	v_add_f32_e32 v4, v22, v133
	s_wait_loadcnt 0x0
	v_mul_f32_e32 v135, v118, v14
	s_delay_alu instid0(VALU_DEP_1) | instskip(SKIP_1) | instid1(VALU_DEP_1)
	v_fmac_f32_e32 v135, v119, v13
	v_add_f32_e32 v129, v129, v172
	v_add_f32_e32 v129, v129, v174
	s_delay_alu instid0(VALU_DEP_1) | instskip(SKIP_1) | instid1(VALU_DEP_2)
	v_add_f32_e32 v127, v129, v127
	v_mul_f32_e32 v129, v17, v10
	v_add_f32_e32 v127, v127, v128
	s_delay_alu instid0(VALU_DEP_2) | instskip(NEXT) | instid1(VALU_DEP_2)
	v_dual_fmac_f32 v129, v18, v9 :: v_dual_mul_f32 v128, v120, v16
	v_add_f32_e32 v2, v127, v2
	s_delay_alu instid0(VALU_DEP_1) | instskip(SKIP_1) | instid1(VALU_DEP_2)
	v_dual_fmac_f32 v128, v121, v15 :: v_dual_add_f32 v1, v2, v1
	v_add_f32_e32 v2, v4, v134
	v_dual_mul_f32 v4, v119, v14 :: v_dual_add_f32 v1, v1, v3
	s_delay_alu instid0(VALU_DEP_2) | instskip(NEXT) | instid1(VALU_DEP_2)
	v_dual_add_f32 v2, v2, v129 :: v_dual_mul_f32 v3, v121, v16
	v_fma_f32 v4, v118, v13, -v4
	s_delay_alu instid0(VALU_DEP_2) | instskip(SKIP_1) | instid1(VALU_DEP_4)
	v_dual_add_f32 v1, v1, v5 :: v_dual_add_f32 v2, v2, v132
	v_mul_f32_e32 v5, v125, v123
	v_fma_f32 v3, v120, v15, -v3
	s_delay_alu instid0(VALU_DEP_3) | instskip(NEXT) | instid1(VALU_DEP_3)
	v_dual_add_f32 v1, v1, v4 :: v_dual_add_f32 v2, v2, v135
	v_fma_f32 v4, v124, v122, -v5
	s_delay_alu instid0(VALU_DEP_2) | instskip(NEXT) | instid1(VALU_DEP_1)
	v_dual_add_f32 v1, v1, v3 :: v_dual_add_f32 v2, v2, v128
	v_dual_add_f32 v1, v1, v4 :: v_dual_add_f32 v2, v2, v126
	s_delay_alu instid0(VALU_DEP_1)
	v_dual_sub_f32 v1, v130, v1 :: v_dual_sub_f32 v2, v131, v2
	scratch_store_b64 off, v[1:2], off offset:40
	v_cmpx_lt_u32_e32 4, v0
	s_cbranch_execz .LBB46_287
; %bb.286:
	scratch_load_b64 v[1:2], off, off offset:32
	v_mov_b32_e32 v22, v21
	scratch_store_b64 off, v[21:22], off offset:32
	s_wait_loadcnt 0x0
	ds_store_b64 v23, v[1:2]
.LBB46_287:
	s_wait_alu 0xfffe
	s_or_b32 exec_lo, exec_lo, s0
	s_wait_storecnt_dscnt 0x0
	s_barrier_signal -1
	s_barrier_wait -1
	global_inv scope:SCOPE_SE
	s_clause 0x4
	scratch_load_b128 v[5:8], off, off offset:40
	scratch_load_b128 v[1:4], off, off offset:56
	;; [unrolled: 1-line block ×5, first 2 shown]
	ds_load_2addr_b64 v[118:121], v21 offset0:53 offset1:54
	ds_load_2addr_b64 v[122:125], v21 offset0:55 offset1:56
	;; [unrolled: 1-line block ×3, first 2 shown]
	scratch_load_b64 v[130:131], off, off offset:32
	s_mov_b32 s0, exec_lo
	s_wait_loadcnt_dscnt 0x502
	v_dual_mul_f32 v22, v119, v6 :: v_dual_mul_f32 v133, v120, v8
	v_mul_f32_e32 v132, v118, v6
	v_mul_f32_e32 v6, v121, v8
	s_wait_loadcnt_dscnt 0x300
	v_mul_f32_e32 v134, v128, v12
	v_fma_f32 v22, v118, v5, -v22
	v_dual_fmac_f32 v133, v121, v7 :: v_dual_fmac_f32 v132, v119, v5
	v_mul_f32_e32 v121, v126, v10
	v_mul_f32_e32 v119, v122, v2
	v_fma_f32 v118, v120, v7, -v6
	ds_load_2addr_b64 v[5:8], v21 offset0:59 offset1:60
	v_mul_f32_e32 v120, v124, v4
	v_dual_mul_f32 v4, v125, v4 :: v_dual_fmac_f32 v121, v127, v9
	v_mul_f32_e32 v10, v127, v10
	v_mul_f32_e32 v12, v129, v12
	;; [unrolled: 1-line block ×3, first 2 shown]
	v_dual_fmac_f32 v119, v123, v1 :: v_dual_fmac_f32 v120, v125, v3
	v_fma_f32 v123, v124, v3, -v4
	v_fma_f32 v124, v126, v9, -v10
	v_fmac_f32_e32 v134, v129, v11
	v_fma_f32 v125, v128, v11, -v12
	ds_load_2addr_b64 v[9:12], v21 offset0:61 offset1:62
	s_wait_loadcnt_dscnt 0x201
	v_dual_mul_f32 v127, v7, v16 :: v_dual_mul_f32 v126, v5, v14
	s_delay_alu instid0(VALU_DEP_1)
	v_dual_mul_f32 v14, v6, v14 :: v_dual_fmac_f32 v127, v8, v15
	v_fma_f32 v122, v122, v1, -v2
	scratch_load_b128 v[1:4], off, off offset:120
	v_mul_f32_e32 v16, v8, v16
	v_fmac_f32_e32 v126, v6, v13
	v_fma_f32 v13, v5, v13, -v14
	s_delay_alu instid0(VALU_DEP_3)
	v_fma_f32 v14, v7, v15, -v16
	s_wait_loadcnt_dscnt 0x200
	v_mul_f32_e32 v15, v9, v18
	v_mul_f32_e32 v16, v10, v18
	;; [unrolled: 1-line block ×4, first 2 shown]
	ds_load_2addr_b64 v[5:8], v21 offset0:63 offset1:64
	v_fmac_f32_e32 v15, v10, v17
	v_fma_f32 v16, v9, v17, -v16
	v_fmac_f32_e32 v18, v12, v19
	v_fma_f32 v17, v11, v19, -v20
	scratch_load_b128 v[9:12], off, off offset:136
	s_wait_loadcnt_dscnt 0x100
	v_mul_f32_e32 v19, v5, v2
	v_mul_f32_e32 v2, v6, v2
	;; [unrolled: 1-line block ×3, first 2 shown]
	s_delay_alu instid0(VALU_DEP_3) | instskip(NEXT) | instid1(VALU_DEP_3)
	v_dual_mul_f32 v4, v8, v4 :: v_dual_fmac_f32 v19, v6, v1
	v_fma_f32 v128, v5, v1, -v2
	s_delay_alu instid0(VALU_DEP_3) | instskip(NEXT) | instid1(VALU_DEP_3)
	v_fmac_f32_e32 v20, v8, v3
	v_fma_f32 v129, v7, v3, -v4
	ds_load_2addr_b64 v[1:4], v21 offset0:65 offset1:66
	ds_load_2addr_b64 v[5:8], v21 offset0:67 offset1:68
	s_wait_loadcnt_dscnt 0x1
	v_mul_f32_e32 v135, v1, v10
	v_mul_f32_e32 v10, v2, v10
	s_delay_alu instid0(VALU_DEP_2) | instskip(NEXT) | instid1(VALU_DEP_2)
	v_dual_mul_f32 v136, v3, v12 :: v_dual_fmac_f32 v135, v2, v9
	v_fma_f32 v137, v1, v9, -v10
	v_mul_f32_e32 v1, v4, v12
	s_delay_alu instid0(VALU_DEP_3) | instskip(NEXT) | instid1(VALU_DEP_2)
	v_fmac_f32_e32 v136, v4, v11
	v_fma_f32 v138, v3, v11, -v1
	s_clause 0x1
	scratch_load_b128 v[1:4], off, off offset:152
	scratch_load_b128 v[9:12], off, off offset:168
	s_wait_loadcnt_dscnt 0x100
	v_mul_f32_e32 v139, v5, v2
	v_dual_mul_f32 v2, v6, v2 :: v_dual_mul_f32 v141, v7, v4
	s_delay_alu instid0(VALU_DEP_2) | instskip(NEXT) | instid1(VALU_DEP_2)
	v_fmac_f32_e32 v139, v6, v1
	v_fma_f32 v140, v5, v1, -v2
	v_mul_f32_e32 v1, v8, v4
	s_delay_alu instid0(VALU_DEP_4) | instskip(NEXT) | instid1(VALU_DEP_2)
	v_fmac_f32_e32 v141, v8, v3
	v_fma_f32 v142, v7, v3, -v1
	ds_load_2addr_b64 v[1:4], v21 offset0:69 offset1:70
	ds_load_2addr_b64 v[5:8], v21 offset0:71 offset1:72
	s_wait_loadcnt_dscnt 0x1
	v_mul_f32_e32 v143, v1, v10
	v_mul_f32_e32 v145, v3, v12
	s_delay_alu instid0(VALU_DEP_2) | instskip(NEXT) | instid1(VALU_DEP_2)
	v_fmac_f32_e32 v143, v2, v9
	v_dual_mul_f32 v2, v2, v10 :: v_dual_fmac_f32 v145, v4, v11
	s_delay_alu instid0(VALU_DEP_1) | instskip(SKIP_1) | instid1(VALU_DEP_1)
	v_fma_f32 v144, v1, v9, -v2
	v_mul_f32_e32 v1, v4, v12
	v_fma_f32 v146, v3, v11, -v1
	s_clause 0x1
	scratch_load_b128 v[1:4], off, off offset:184
	scratch_load_b128 v[9:12], off, off offset:200
	s_wait_loadcnt_dscnt 0x100
	v_mul_f32_e32 v147, v5, v2
	v_dual_mul_f32 v2, v6, v2 :: v_dual_mul_f32 v149, v7, v4
	s_delay_alu instid0(VALU_DEP_2) | instskip(NEXT) | instid1(VALU_DEP_2)
	v_fmac_f32_e32 v147, v6, v1
	v_fma_f32 v148, v5, v1, -v2
	v_mul_f32_e32 v1, v8, v4
	s_delay_alu instid0(VALU_DEP_4) | instskip(NEXT) | instid1(VALU_DEP_2)
	v_fmac_f32_e32 v149, v8, v3
	v_fma_f32 v150, v7, v3, -v1
	ds_load_2addr_b64 v[1:4], v21 offset0:73 offset1:74
	ds_load_2addr_b64 v[5:8], v21 offset0:75 offset1:76
	s_wait_loadcnt_dscnt 0x1
	v_mul_f32_e32 v151, v1, v10
	v_mul_f32_e32 v153, v3, v12
	s_delay_alu instid0(VALU_DEP_2) | instskip(NEXT) | instid1(VALU_DEP_2)
	v_fmac_f32_e32 v151, v2, v9
	v_dual_mul_f32 v2, v2, v10 :: v_dual_fmac_f32 v153, v4, v11
	s_delay_alu instid0(VALU_DEP_1) | instskip(SKIP_1) | instid1(VALU_DEP_1)
	v_fma_f32 v152, v1, v9, -v2
	v_mul_f32_e32 v1, v4, v12
	;; [unrolled: 25-line block ×4, first 2 shown]
	v_fma_f32 v170, v3, v11, -v1
	s_clause 0x1
	scratch_load_b128 v[1:4], off, off offset:280
	scratch_load_b128 v[9:12], off, off offset:296
	s_wait_loadcnt_dscnt 0x100
	v_mul_f32_e32 v171, v5, v2
	v_mul_f32_e32 v2, v6, v2
	s_delay_alu instid0(VALU_DEP_1) | instskip(SKIP_1) | instid1(VALU_DEP_1)
	v_fma_f32 v172, v5, v1, -v2
	v_add_f32_e32 v2, 0, v132
	v_add_f32_e32 v2, v2, v133
	s_delay_alu instid0(VALU_DEP_1) | instskip(NEXT) | instid1(VALU_DEP_1)
	v_add_f32_e32 v2, v2, v119
	v_add_f32_e32 v2, v2, v120
	s_delay_alu instid0(VALU_DEP_1) | instskip(NEXT) | instid1(VALU_DEP_1)
	;; [unrolled: 3-line block ×6, first 2 shown]
	v_add_f32_e32 v2, v2, v135
	v_add_f32_e32 v2, v2, v136
	v_fmac_f32_e32 v171, v6, v1
	s_delay_alu instid0(VALU_DEP_2) | instskip(NEXT) | instid1(VALU_DEP_1)
	v_dual_add_f32 v2, v2, v139 :: v_dual_mul_f32 v173, v7, v4
	v_dual_add_f32 v2, v2, v141 :: v_dual_mul_f32 v1, v8, v4
	s_delay_alu instid0(VALU_DEP_1) | instskip(NEXT) | instid1(VALU_DEP_2)
	v_add_f32_e32 v2, v2, v143
	v_fma_f32 v174, v7, v3, -v1
	v_add_f32_e32 v1, 0, v22
	s_delay_alu instid0(VALU_DEP_3) | instskip(NEXT) | instid1(VALU_DEP_2)
	v_add_f32_e32 v5, v2, v145
	v_add_f32_e32 v1, v1, v118
	s_delay_alu instid0(VALU_DEP_1) | instskip(NEXT) | instid1(VALU_DEP_1)
	v_add_f32_e32 v1, v1, v122
	v_add_f32_e32 v1, v1, v123
	s_delay_alu instid0(VALU_DEP_1) | instskip(NEXT) | instid1(VALU_DEP_1)
	v_add_f32_e32 v1, v1, v124
	v_add_f32_e32 v1, v1, v125
	s_delay_alu instid0(VALU_DEP_1) | instskip(SKIP_1) | instid1(VALU_DEP_2)
	v_add_f32_e32 v1, v1, v13
	v_add_f32_e32 v13, v5, v147
	;; [unrolled: 1-line block ×3, first 2 shown]
	s_delay_alu instid0(VALU_DEP_2) | instskip(NEXT) | instid1(VALU_DEP_2)
	v_add_f32_e32 v13, v13, v149
	v_add_f32_e32 v1, v1, v16
	s_delay_alu instid0(VALU_DEP_1) | instskip(NEXT) | instid1(VALU_DEP_1)
	v_add_f32_e32 v1, v1, v17
	v_add_f32_e32 v1, v1, v128
	s_delay_alu instid0(VALU_DEP_1) | instskip(NEXT) | instid1(VALU_DEP_1)
	;; [unrolled: 3-line block ×5, first 2 shown]
	v_add_f32_e32 v1, v1, v146
	v_dual_add_f32 v6, v1, v148 :: v_dual_fmac_f32 v173, v8, v3
	ds_load_2addr_b64 v[1:4], v21 offset0:85 offset1:86
	v_dual_add_f32 v13, v13, v151 :: v_dual_add_f32 v14, v6, v150
	scratch_load_b128 v[5:8], off, off offset:312
	v_add_f32_e32 v18, v13, v153
	v_add_f32_e32 v14, v14, v152
	s_delay_alu instid0(VALU_DEP_1)
	v_add_f32_e32 v17, v14, v154
	ds_load_2addr_b64 v[13:16], v21 offset0:87 offset1:88
	v_add_f32_e32 v17, v17, v156
	s_wait_loadcnt_dscnt 0x101
	v_mul_f32_e32 v22, v1, v10
	v_mul_f32_e32 v10, v2, v10
	;; [unrolled: 1-line block ×4, first 2 shown]
	v_add_f32_e32 v18, v18, v155
	v_fmac_f32_e32 v22, v2, v9
	v_fma_f32 v123, v1, v9, -v10
	v_fmac_f32_e32 v122, v4, v11
	v_fma_f32 v124, v3, v11, -v12
	scratch_load_b128 v[9:12], off, off offset:344
	v_dual_add_f32 v17, v17, v158 :: v_dual_add_f32 v18, v18, v157
	scratch_load_b128 v[1:4], off, off offset:328
	v_dual_add_f32 v17, v17, v160 :: v_dual_add_f32 v118, v18, v159
	s_delay_alu instid0(VALU_DEP_1) | instskip(SKIP_3) | instid1(VALU_DEP_1)
	v_add_f32_e32 v119, v17, v162
	scratch_load_b128 v[17:20], off, off offset:360
	v_add_f32_e32 v118, v118, v161
	s_wait_loadcnt_dscnt 0x300
	v_dual_add_f32 v118, v118, v163 :: v_dual_mul_f32 v125, v13, v6
	v_mul_f32_e32 v6, v14, v6
	v_mul_f32_e32 v126, v15, v8
	s_delay_alu instid0(VALU_DEP_3) | instskip(NEXT) | instid1(VALU_DEP_3)
	v_dual_mul_f32 v8, v16, v8 :: v_dual_fmac_f32 v125, v14, v5
	v_fma_f32 v127, v13, v5, -v6
	s_delay_alu instid0(VALU_DEP_3) | instskip(NEXT) | instid1(VALU_DEP_3)
	v_fmac_f32_e32 v126, v16, v7
	v_fma_f32 v128, v15, v7, -v8
	ds_load_2addr_b64 v[5:8], v21 offset0:89 offset1:90
	v_add_f32_e32 v119, v119, v164
	v_add_f32_e32 v13, v118, v165
	s_delay_alu instid0(VALU_DEP_2) | instskip(NEXT) | instid1(VALU_DEP_1)
	v_add_f32_e32 v119, v119, v166
	v_dual_add_f32 v118, v119, v168 :: v_dual_add_f32 v119, v13, v167
	ds_load_2addr_b64 v[13:16], v21 offset0:91 offset1:92
	v_dual_add_f32 v129, v118, v170 :: v_dual_add_f32 v132, v119, v169
	ds_load_2addr_b64 v[118:121], v21 offset0:93 offset1:94
	v_add_f32_e32 v21, v129, v172
	s_delay_alu instid0(VALU_DEP_1) | instskip(NEXT) | instid1(VALU_DEP_1)
	v_add_f32_e32 v21, v21, v174
	v_add_f32_e32 v21, v21, v123
	s_wait_loadcnt_dscnt 0x102
	v_mul_f32_e32 v123, v7, v4
	v_mul_f32_e32 v4, v8, v4
	s_wait_dscnt 0x1
	v_mul_f32_e32 v133, v15, v12
	v_add_f32_e32 v21, v21, v124
	v_fmac_f32_e32 v123, v8, v3
	s_wait_loadcnt_dscnt 0x0
	v_mul_f32_e32 v124, v120, v20
	v_fma_f32 v3, v7, v3, -v4
	v_dual_mul_f32 v4, v16, v12 :: v_dual_add_f32 v21, v21, v127
	v_fmac_f32_e32 v133, v16, v11
	s_delay_alu instid0(VALU_DEP_4) | instskip(SKIP_3) | instid1(VALU_DEP_3)
	v_fmac_f32_e32 v124, v121, v19
	v_dual_add_f32 v129, v132, v171 :: v_dual_mul_f32 v132, v5, v2
	v_mul_f32_e32 v2, v6, v2
	v_fma_f32 v4, v15, v11, -v4
	v_add_f32_e32 v129, v129, v173
	s_delay_alu instid0(VALU_DEP_4) | instskip(NEXT) | instid1(VALU_DEP_4)
	v_fmac_f32_e32 v132, v6, v1
	v_fma_f32 v2, v5, v1, -v2
	v_dual_add_f32 v1, v21, v128 :: v_dual_mul_f32 v6, v14, v10
	s_delay_alu instid0(VALU_DEP_4) | instskip(SKIP_1) | instid1(VALU_DEP_3)
	v_add_f32_e32 v22, v129, v22
	v_mul_f32_e32 v129, v13, v10
	v_add_f32_e32 v1, v1, v2
	s_delay_alu instid0(VALU_DEP_3) | instskip(NEXT) | instid1(VALU_DEP_3)
	v_add_f32_e32 v22, v22, v122
	v_fmac_f32_e32 v129, v14, v9
	s_delay_alu instid0(VALU_DEP_3) | instskip(NEXT) | instid1(VALU_DEP_3)
	v_dual_mul_f32 v122, v118, v18 :: v_dual_add_f32 v1, v1, v3
	v_dual_mul_f32 v3, v119, v18 :: v_dual_add_f32 v22, v22, v125
	s_delay_alu instid0(VALU_DEP_2) | instskip(NEXT) | instid1(VALU_DEP_2)
	v_fmac_f32_e32 v122, v119, v17
	v_fma_f32 v3, v118, v17, -v3
	s_delay_alu instid0(VALU_DEP_3) | instskip(NEXT) | instid1(VALU_DEP_1)
	v_add_f32_e32 v5, v22, v126
	v_add_f32_e32 v2, v5, v132
	v_fma_f32 v5, v13, v9, -v6
	s_delay_alu instid0(VALU_DEP_1) | instskip(NEXT) | instid1(VALU_DEP_1)
	v_dual_add_f32 v2, v2, v123 :: v_dual_add_f32 v1, v1, v5
	v_dual_mul_f32 v5, v121, v20 :: v_dual_add_f32 v2, v2, v129
	s_delay_alu instid0(VALU_DEP_2) | instskip(NEXT) | instid1(VALU_DEP_2)
	v_add_f32_e32 v1, v1, v4
	v_fma_f32 v4, v120, v19, -v5
	s_delay_alu instid0(VALU_DEP_2) | instskip(NEXT) | instid1(VALU_DEP_1)
	v_dual_add_f32 v2, v2, v133 :: v_dual_add_f32 v1, v1, v3
	v_dual_add_f32 v2, v2, v122 :: v_dual_add_f32 v1, v1, v4
	s_delay_alu instid0(VALU_DEP_1) | instskip(NEXT) | instid1(VALU_DEP_1)
	v_add_f32_e32 v2, v2, v124
	v_dual_sub_f32 v1, v130, v1 :: v_dual_sub_f32 v2, v131, v2
	scratch_store_b64 off, v[1:2], off offset:32
	v_cmpx_lt_u32_e32 3, v0
	s_cbranch_execz .LBB46_289
; %bb.288:
	scratch_load_b64 v[1:2], off, off offset:24
	v_mov_b32_e32 v3, 0
	s_delay_alu instid0(VALU_DEP_1)
	v_mov_b32_e32 v4, v3
	scratch_store_b64 off, v[3:4], off offset:24
	s_wait_loadcnt 0x0
	ds_store_b64 v23, v[1:2]
.LBB46_289:
	s_wait_alu 0xfffe
	s_or_b32 exec_lo, exec_lo, s0
	s_wait_storecnt_dscnt 0x0
	s_barrier_signal -1
	s_barrier_wait -1
	global_inv scope:SCOPE_SE
	s_clause 0x4
	scratch_load_b128 v[5:8], off, off offset:32
	scratch_load_b128 v[1:4], off, off offset:48
	scratch_load_b128 v[9:12], off, off offset:64
	scratch_load_b128 v[13:16], off, off offset:80
	scratch_load_b128 v[17:20], off, off offset:96
	v_mov_b32_e32 v21, 0
	ds_load_b128 v[118:121], v21 offset:416
	ds_load_b128 v[122:125], v21 offset:432
	;; [unrolled: 1-line block ×3, first 2 shown]
	scratch_load_b64 v[130:131], off, off offset:24
	s_mov_b32 s0, exec_lo
	s_wait_loadcnt_dscnt 0x502
	v_mul_f32_e32 v22, v119, v6
	v_dual_mul_f32 v132, v118, v6 :: v_dual_mul_f32 v133, v120, v8
	v_mul_f32_e32 v6, v121, v8
	s_delay_alu instid0(VALU_DEP_3) | instskip(NEXT) | instid1(VALU_DEP_3)
	v_fma_f32 v22, v118, v5, -v22
	v_dual_fmac_f32 v132, v119, v5 :: v_dual_fmac_f32 v133, v121, v7
	s_wait_loadcnt_dscnt 0x401
	v_mul_f32_e32 v119, v122, v2
	v_fma_f32 v118, v120, v7, -v6
	ds_load_b128 v[5:8], v21 offset:464
	s_wait_loadcnt_dscnt 0x301
	v_dual_mul_f32 v120, v124, v4 :: v_dual_mul_f32 v121, v126, v10
	v_dual_mul_f32 v4, v125, v4 :: v_dual_fmac_f32 v119, v123, v1
	v_mul_f32_e32 v10, v127, v10
	s_delay_alu instid0(VALU_DEP_3)
	v_dual_mul_f32 v134, v128, v12 :: v_dual_fmac_f32 v121, v127, v9
	v_mul_f32_e32 v12, v129, v12
	v_mul_f32_e32 v2, v123, v2
	v_fmac_f32_e32 v120, v125, v3
	v_fma_f32 v123, v124, v3, -v4
	v_fma_f32 v124, v126, v9, -v10
	v_fmac_f32_e32 v134, v129, v11
	v_fma_f32 v125, v128, v11, -v12
	ds_load_b128 v[9:12], v21 offset:480
	s_wait_loadcnt_dscnt 0x201
	v_dual_mul_f32 v127, v7, v16 :: v_dual_mul_f32 v126, v5, v14
	v_mul_f32_e32 v14, v6, v14
	v_mul_f32_e32 v16, v8, v16
	s_delay_alu instid0(VALU_DEP_3)
	v_fmac_f32_e32 v127, v8, v15
	v_fma_f32 v122, v122, v1, -v2
	scratch_load_b128 v[1:4], off, off offset:112
	v_fmac_f32_e32 v126, v6, v13
	v_fma_f32 v13, v5, v13, -v14
	v_fma_f32 v14, v7, v15, -v16
	ds_load_b128 v[5:8], v21 offset:496
	s_wait_loadcnt_dscnt 0x201
	v_mul_f32_e32 v15, v9, v18
	v_mul_f32_e32 v16, v10, v18
	;; [unrolled: 1-line block ×3, first 2 shown]
	s_delay_alu instid0(VALU_DEP_3) | instskip(NEXT) | instid1(VALU_DEP_3)
	v_dual_mul_f32 v20, v12, v20 :: v_dual_fmac_f32 v15, v10, v17
	v_fma_f32 v16, v9, v17, -v16
	s_delay_alu instid0(VALU_DEP_3) | instskip(NEXT) | instid1(VALU_DEP_3)
	v_fmac_f32_e32 v18, v12, v19
	v_fma_f32 v17, v11, v19, -v20
	scratch_load_b128 v[9:12], off, off offset:128
	s_wait_loadcnt_dscnt 0x100
	v_mul_f32_e32 v19, v5, v2
	v_mul_f32_e32 v2, v6, v2
	v_mul_f32_e32 v20, v7, v4
	s_delay_alu instid0(VALU_DEP_3) | instskip(NEXT) | instid1(VALU_DEP_3)
	v_dual_mul_f32 v4, v8, v4 :: v_dual_fmac_f32 v19, v6, v1
	v_fma_f32 v128, v5, v1, -v2
	s_delay_alu instid0(VALU_DEP_3) | instskip(NEXT) | instid1(VALU_DEP_3)
	v_fmac_f32_e32 v20, v8, v3
	v_fma_f32 v129, v7, v3, -v4
	ds_load_b128 v[1:4], v21 offset:512
	ds_load_b128 v[5:8], v21 offset:528
	s_wait_loadcnt_dscnt 0x1
	v_mul_f32_e32 v135, v1, v10
	v_mul_f32_e32 v10, v2, v10
	s_delay_alu instid0(VALU_DEP_2) | instskip(NEXT) | instid1(VALU_DEP_2)
	v_dual_mul_f32 v136, v3, v12 :: v_dual_fmac_f32 v135, v2, v9
	v_fma_f32 v137, v1, v9, -v10
	v_mul_f32_e32 v1, v4, v12
	s_delay_alu instid0(VALU_DEP_3) | instskip(NEXT) | instid1(VALU_DEP_2)
	v_fmac_f32_e32 v136, v4, v11
	v_fma_f32 v138, v3, v11, -v1
	s_clause 0x1
	scratch_load_b128 v[1:4], off, off offset:144
	scratch_load_b128 v[9:12], off, off offset:160
	s_wait_loadcnt_dscnt 0x100
	v_mul_f32_e32 v139, v5, v2
	v_dual_mul_f32 v2, v6, v2 :: v_dual_mul_f32 v141, v7, v4
	s_delay_alu instid0(VALU_DEP_2) | instskip(NEXT) | instid1(VALU_DEP_2)
	v_fmac_f32_e32 v139, v6, v1
	v_fma_f32 v140, v5, v1, -v2
	v_mul_f32_e32 v1, v8, v4
	s_delay_alu instid0(VALU_DEP_4) | instskip(NEXT) | instid1(VALU_DEP_2)
	v_fmac_f32_e32 v141, v8, v3
	v_fma_f32 v142, v7, v3, -v1
	ds_load_b128 v[1:4], v21 offset:544
	ds_load_b128 v[5:8], v21 offset:560
	s_wait_loadcnt_dscnt 0x1
	v_mul_f32_e32 v143, v1, v10
	v_mul_f32_e32 v145, v3, v12
	s_delay_alu instid0(VALU_DEP_2) | instskip(NEXT) | instid1(VALU_DEP_2)
	v_fmac_f32_e32 v143, v2, v9
	v_dual_mul_f32 v2, v2, v10 :: v_dual_fmac_f32 v145, v4, v11
	s_delay_alu instid0(VALU_DEP_1) | instskip(SKIP_1) | instid1(VALU_DEP_1)
	v_fma_f32 v144, v1, v9, -v2
	v_mul_f32_e32 v1, v4, v12
	v_fma_f32 v146, v3, v11, -v1
	s_clause 0x1
	scratch_load_b128 v[1:4], off, off offset:176
	scratch_load_b128 v[9:12], off, off offset:192
	s_wait_loadcnt_dscnt 0x100
	v_mul_f32_e32 v147, v5, v2
	v_dual_mul_f32 v149, v7, v4 :: v_dual_mul_f32 v2, v6, v2
	s_delay_alu instid0(VALU_DEP_2) | instskip(NEXT) | instid1(VALU_DEP_2)
	v_fmac_f32_e32 v147, v6, v1
	v_fmac_f32_e32 v149, v8, v3
	s_delay_alu instid0(VALU_DEP_3) | instskip(SKIP_1) | instid1(VALU_DEP_1)
	v_fma_f32 v148, v5, v1, -v2
	v_mul_f32_e32 v1, v8, v4
	v_fma_f32 v150, v7, v3, -v1
	ds_load_b128 v[1:4], v21 offset:576
	ds_load_b128 v[5:8], v21 offset:592
	s_wait_loadcnt_dscnt 0x1
	v_mul_f32_e32 v151, v1, v10
	v_mul_f32_e32 v153, v3, v12
	s_delay_alu instid0(VALU_DEP_2) | instskip(NEXT) | instid1(VALU_DEP_2)
	v_fmac_f32_e32 v151, v2, v9
	v_dual_mul_f32 v2, v2, v10 :: v_dual_fmac_f32 v153, v4, v11
	s_delay_alu instid0(VALU_DEP_1) | instskip(SKIP_1) | instid1(VALU_DEP_1)
	v_fma_f32 v152, v1, v9, -v2
	v_mul_f32_e32 v1, v4, v12
	v_fma_f32 v154, v3, v11, -v1
	s_clause 0x1
	scratch_load_b128 v[1:4], off, off offset:208
	scratch_load_b128 v[9:12], off, off offset:224
	s_wait_loadcnt_dscnt 0x100
	v_mul_f32_e32 v155, v5, v2
	v_dual_mul_f32 v2, v6, v2 :: v_dual_mul_f32 v157, v7, v4
	s_delay_alu instid0(VALU_DEP_2) | instskip(NEXT) | instid1(VALU_DEP_2)
	v_fmac_f32_e32 v155, v6, v1
	v_fma_f32 v156, v5, v1, -v2
	v_mul_f32_e32 v1, v8, v4
	s_delay_alu instid0(VALU_DEP_4) | instskip(NEXT) | instid1(VALU_DEP_2)
	v_fmac_f32_e32 v157, v8, v3
	v_fma_f32 v158, v7, v3, -v1
	ds_load_b128 v[1:4], v21 offset:608
	ds_load_b128 v[5:8], v21 offset:624
	s_wait_loadcnt_dscnt 0x1
	v_mul_f32_e32 v159, v1, v10
	v_mul_f32_e32 v161, v3, v12
	s_delay_alu instid0(VALU_DEP_2) | instskip(NEXT) | instid1(VALU_DEP_2)
	v_fmac_f32_e32 v159, v2, v9
	v_dual_mul_f32 v2, v2, v10 :: v_dual_fmac_f32 v161, v4, v11
	s_delay_alu instid0(VALU_DEP_1) | instskip(SKIP_1) | instid1(VALU_DEP_1)
	v_fma_f32 v160, v1, v9, -v2
	v_mul_f32_e32 v1, v4, v12
	v_fma_f32 v162, v3, v11, -v1
	s_clause 0x1
	scratch_load_b128 v[1:4], off, off offset:240
	scratch_load_b128 v[9:12], off, off offset:256
	s_wait_loadcnt_dscnt 0x100
	v_mul_f32_e32 v163, v5, v2
	v_dual_mul_f32 v2, v6, v2 :: v_dual_mul_f32 v165, v7, v4
	s_delay_alu instid0(VALU_DEP_2) | instskip(NEXT) | instid1(VALU_DEP_2)
	v_fmac_f32_e32 v163, v6, v1
	v_fma_f32 v164, v5, v1, -v2
	v_mul_f32_e32 v1, v8, v4
	s_delay_alu instid0(VALU_DEP_4) | instskip(NEXT) | instid1(VALU_DEP_2)
	v_fmac_f32_e32 v165, v8, v3
	v_fma_f32 v166, v7, v3, -v1
	ds_load_b128 v[1:4], v21 offset:640
	ds_load_b128 v[5:8], v21 offset:656
	s_wait_loadcnt_dscnt 0x1
	v_mul_f32_e32 v167, v1, v10
	v_mul_f32_e32 v169, v3, v12
	s_delay_alu instid0(VALU_DEP_2) | instskip(NEXT) | instid1(VALU_DEP_2)
	v_fmac_f32_e32 v167, v2, v9
	v_dual_mul_f32 v2, v2, v10 :: v_dual_fmac_f32 v169, v4, v11
	s_delay_alu instid0(VALU_DEP_1) | instskip(SKIP_1) | instid1(VALU_DEP_1)
	v_fma_f32 v168, v1, v9, -v2
	v_mul_f32_e32 v1, v4, v12
	v_fma_f32 v170, v3, v11, -v1
	s_clause 0x1
	scratch_load_b128 v[1:4], off, off offset:272
	scratch_load_b128 v[9:12], off, off offset:288
	s_wait_loadcnt_dscnt 0x100
	v_mul_f32_e32 v171, v5, v2
	v_mul_f32_e32 v2, v6, v2
	s_delay_alu instid0(VALU_DEP_1) | instskip(SKIP_1) | instid1(VALU_DEP_1)
	v_fma_f32 v172, v5, v1, -v2
	v_add_f32_e32 v2, 0, v132
	v_add_f32_e32 v2, v2, v133
	s_delay_alu instid0(VALU_DEP_1) | instskip(NEXT) | instid1(VALU_DEP_1)
	v_add_f32_e32 v2, v2, v119
	v_add_f32_e32 v2, v2, v120
	s_delay_alu instid0(VALU_DEP_1) | instskip(NEXT) | instid1(VALU_DEP_1)
	;; [unrolled: 3-line block ×7, first 2 shown]
	v_add_f32_e32 v2, v2, v139
	v_add_f32_e32 v2, v2, v141
	v_fmac_f32_e32 v171, v6, v1
	v_mul_f32_e32 v1, v8, v4
	s_delay_alu instid0(VALU_DEP_3) | instskip(NEXT) | instid1(VALU_DEP_2)
	v_dual_mul_f32 v173, v7, v4 :: v_dual_add_f32 v2, v2, v143
	v_fma_f32 v174, v7, v3, -v1
	v_add_f32_e32 v1, 0, v22
	s_delay_alu instid0(VALU_DEP_3) | instskip(NEXT) | instid1(VALU_DEP_2)
	v_add_f32_e32 v5, v2, v145
	v_add_f32_e32 v1, v1, v118
	s_delay_alu instid0(VALU_DEP_1) | instskip(NEXT) | instid1(VALU_DEP_1)
	v_add_f32_e32 v1, v1, v122
	v_add_f32_e32 v1, v1, v123
	scratch_load_b64 v[122:123], off, off offset:368
	v_add_f32_e32 v1, v1, v124
	s_delay_alu instid0(VALU_DEP_1) | instskip(NEXT) | instid1(VALU_DEP_1)
	v_add_f32_e32 v1, v1, v125
	v_add_f32_e32 v1, v1, v13
	;; [unrolled: 1-line block ×3, first 2 shown]
	s_delay_alu instid0(VALU_DEP_2) | instskip(NEXT) | instid1(VALU_DEP_2)
	v_add_f32_e32 v1, v1, v14
	v_add_f32_e32 v13, v13, v149
	s_delay_alu instid0(VALU_DEP_2) | instskip(NEXT) | instid1(VALU_DEP_1)
	v_add_f32_e32 v1, v1, v16
	v_add_f32_e32 v1, v1, v17
	s_delay_alu instid0(VALU_DEP_1) | instskip(NEXT) | instid1(VALU_DEP_1)
	v_add_f32_e32 v1, v1, v128
	v_add_f32_e32 v1, v1, v129
	s_delay_alu instid0(VALU_DEP_1) | instskip(NEXT) | instid1(VALU_DEP_1)
	;; [unrolled: 3-line block ×4, first 2 shown]
	v_add_f32_e32 v1, v1, v144
	v_add_f32_e32 v1, v1, v146
	s_delay_alu instid0(VALU_DEP_1)
	v_dual_add_f32 v6, v1, v148 :: v_dual_fmac_f32 v173, v8, v3
	scratch_load_b128 v[1:4], off, off offset:304
	v_dual_add_f32 v13, v13, v151 :: v_dual_add_f32 v14, v6, v150
	ds_load_b128 v[5:8], v21 offset:672
	v_add_f32_e32 v18, v13, v153
	v_add_f32_e32 v14, v14, v152
	s_delay_alu instid0(VALU_DEP_1)
	v_add_f32_e32 v17, v14, v154
	ds_load_b128 v[13:16], v21 offset:688
	s_wait_loadcnt_dscnt 0x201
	v_mul_f32_e32 v22, v5, v10
	v_add_f32_e32 v18, v18, v155
	v_mul_f32_e32 v10, v6, v10
	v_mul_f32_e32 v126, v7, v12
	;; [unrolled: 1-line block ×3, first 2 shown]
	v_fmac_f32_e32 v22, v6, v9
	v_add_f32_e32 v18, v18, v157
	v_fma_f32 v127, v5, v9, -v10
	v_fmac_f32_e32 v126, v8, v11
	v_fma_f32 v128, v7, v11, -v12
	scratch_load_b128 v[9:12], off, off offset:336
	v_add_f32_e32 v118, v18, v159
	scratch_load_b128 v[5:8], off, off offset:320
	v_add_f32_e32 v118, v118, v161
	s_delay_alu instid0(VALU_DEP_1) | instskip(SKIP_1) | instid1(VALU_DEP_1)
	v_add_f32_e32 v118, v118, v163
	s_wait_loadcnt_dscnt 0x200
	v_dual_add_f32 v118, v118, v165 :: v_dual_mul_f32 v129, v13, v2
	v_mul_f32_e32 v2, v14, v2
	v_mul_f32_e32 v132, v15, v4
	s_delay_alu instid0(VALU_DEP_3) | instskip(NEXT) | instid1(VALU_DEP_3)
	v_dual_mul_f32 v4, v16, v4 :: v_dual_fmac_f32 v129, v14, v1
	v_fma_f32 v133, v13, v1, -v2
	v_add_f32_e32 v13, v118, v167
	s_delay_alu instid0(VALU_DEP_4) | instskip(NEXT) | instid1(VALU_DEP_4)
	v_fmac_f32_e32 v132, v16, v3
	v_fma_f32 v134, v15, v3, -v4
	ds_load_b128 v[1:4], v21 offset:704
	v_add_f32_e32 v118, v13, v169
	v_add_f32_e32 v17, v17, v156
	s_delay_alu instid0(VALU_DEP_2) | instskip(NEXT) | instid1(VALU_DEP_1)
	v_add_f32_e32 v125, v118, v171
	v_add_f32_e32 v136, v125, v173
	s_delay_alu instid0(VALU_DEP_1) | instskip(NEXT) | instid1(VALU_DEP_1)
	v_add_f32_e32 v22, v136, v22
	v_add_f32_e32 v22, v22, v126
	s_delay_alu instid0(VALU_DEP_1) | instskip(NEXT) | instid1(VALU_DEP_1)
	v_dual_add_f32 v22, v22, v129 :: v_dual_add_f32 v17, v17, v158
	v_add_f32_e32 v22, v22, v132
	s_delay_alu instid0(VALU_DEP_2) | instskip(NEXT) | instid1(VALU_DEP_1)
	v_add_f32_e32 v17, v17, v160
	v_add_f32_e32 v119, v17, v162
	scratch_load_b128 v[17:20], off, off offset:352
	v_add_f32_e32 v119, v119, v164
	s_delay_alu instid0(VALU_DEP_1) | instskip(NEXT) | instid1(VALU_DEP_1)
	v_add_f32_e32 v119, v119, v166
	v_add_f32_e32 v119, v119, v168
	s_delay_alu instid0(VALU_DEP_1)
	v_add_f32_e32 v14, v119, v170
	ds_load_b128 v[118:121], v21 offset:736
	v_add_f32_e32 v124, v14, v172
	ds_load_b128 v[13:16], v21 offset:720
	s_wait_loadcnt_dscnt 0x102
	v_mul_f32_e32 v126, v3, v8
	v_mul_f32_e32 v8, v4, v8
	s_wait_dscnt 0x0
	s_delay_alu instid0(VALU_DEP_2) | instskip(NEXT) | instid1(VALU_DEP_1)
	v_dual_fmac_f32 v126, v4, v7 :: v_dual_mul_f32 v129, v15, v12
	v_fmac_f32_e32 v129, v16, v11
	v_add_f32_e32 v135, v124, v174
	ds_load_b64 v[124:125], v21 offset:752
	s_wait_dscnt 0x0
	v_mul_f32_e32 v132, v124, v123
	s_delay_alu instid0(VALU_DEP_1) | instskip(NEXT) | instid1(VALU_DEP_1)
	v_dual_add_f32 v127, v135, v127 :: v_dual_fmac_f32 v132, v125, v122
	v_add_f32_e32 v127, v127, v128
	v_mul_f32_e32 v135, v1, v6
	v_mul_f32_e32 v6, v2, v6
	s_delay_alu instid0(VALU_DEP_3) | instskip(NEXT) | instid1(VALU_DEP_3)
	v_dual_mul_f32 v128, v13, v10 :: v_dual_add_f32 v127, v127, v133
	v_fmac_f32_e32 v135, v2, v5
	s_delay_alu instid0(VALU_DEP_3) | instskip(SKIP_2) | instid1(VALU_DEP_4)
	v_fma_f32 v1, v1, v5, -v6
	v_fma_f32 v2, v3, v7, -v8
	v_mul_f32_e32 v3, v14, v10
	v_dual_add_f32 v127, v127, v134 :: v_dual_add_f32 v4, v22, v135
	v_dual_mul_f32 v5, v16, v12 :: v_dual_fmac_f32 v128, v14, v9
	s_delay_alu instid0(VALU_DEP_3) | instskip(NEXT) | instid1(VALU_DEP_3)
	v_fma_f32 v3, v13, v9, -v3
	v_add_f32_e32 v1, v127, v1
	s_delay_alu instid0(VALU_DEP_3) | instskip(NEXT) | instid1(VALU_DEP_2)
	v_fma_f32 v5, v15, v11, -v5
	v_add_f32_e32 v1, v1, v2
	s_delay_alu instid0(VALU_DEP_1) | instskip(NEXT) | instid1(VALU_DEP_1)
	v_dual_add_f32 v2, v4, v126 :: v_dual_add_f32 v1, v1, v3
	v_dual_add_f32 v2, v2, v128 :: v_dual_add_f32 v1, v1, v5
	s_delay_alu instid0(VALU_DEP_1)
	v_dual_add_f32 v2, v2, v129 :: v_dual_mul_f32 v5, v125, v123
	s_wait_loadcnt 0x0
	v_mul_f32_e32 v133, v118, v18
	v_mul_f32_e32 v4, v119, v18
	;; [unrolled: 1-line block ×4, first 2 shown]
	s_delay_alu instid0(VALU_DEP_4) | instskip(NEXT) | instid1(VALU_DEP_4)
	v_fmac_f32_e32 v133, v119, v17
	v_fma_f32 v4, v118, v17, -v4
	s_delay_alu instid0(VALU_DEP_4) | instskip(NEXT) | instid1(VALU_DEP_4)
	v_fmac_f32_e32 v134, v121, v19
	v_fma_f32 v3, v120, v19, -v3
	s_delay_alu instid0(VALU_DEP_3) | instskip(SKIP_1) | instid1(VALU_DEP_2)
	v_dual_add_f32 v2, v2, v133 :: v_dual_add_f32 v1, v1, v4
	v_fma_f32 v4, v124, v122, -v5
	v_dual_add_f32 v2, v2, v134 :: v_dual_add_f32 v1, v1, v3
	s_delay_alu instid0(VALU_DEP_1) | instskip(NEXT) | instid1(VALU_DEP_1)
	v_add_f32_e32 v2, v2, v132
	v_dual_add_f32 v1, v1, v4 :: v_dual_sub_f32 v2, v131, v2
	s_delay_alu instid0(VALU_DEP_1)
	v_sub_f32_e32 v1, v130, v1
	scratch_store_b64 off, v[1:2], off offset:24
	v_cmpx_lt_u32_e32 2, v0
	s_cbranch_execz .LBB46_291
; %bb.290:
	scratch_load_b64 v[1:2], off, off offset:16
	v_mov_b32_e32 v22, v21
	scratch_store_b64 off, v[21:22], off offset:16
	s_wait_loadcnt 0x0
	ds_store_b64 v23, v[1:2]
.LBB46_291:
	s_wait_alu 0xfffe
	s_or_b32 exec_lo, exec_lo, s0
	s_wait_storecnt_dscnt 0x0
	s_barrier_signal -1
	s_barrier_wait -1
	global_inv scope:SCOPE_SE
	s_clause 0x4
	scratch_load_b128 v[5:8], off, off offset:24
	scratch_load_b128 v[1:4], off, off offset:40
	;; [unrolled: 1-line block ×5, first 2 shown]
	ds_load_2addr_b64 v[118:121], v21 offset0:51 offset1:52
	ds_load_2addr_b64 v[122:125], v21 offset0:53 offset1:54
	;; [unrolled: 1-line block ×3, first 2 shown]
	scratch_load_b64 v[130:131], off, off offset:16
	s_mov_b32 s0, exec_lo
	s_wait_loadcnt_dscnt 0x502
	v_dual_mul_f32 v22, v119, v6 :: v_dual_mul_f32 v133, v120, v8
	v_mul_f32_e32 v132, v118, v6
	v_mul_f32_e32 v6, v121, v8
	s_wait_loadcnt_dscnt 0x300
	v_mul_f32_e32 v134, v128, v12
	v_fma_f32 v22, v118, v5, -v22
	v_dual_fmac_f32 v133, v121, v7 :: v_dual_fmac_f32 v132, v119, v5
	v_mul_f32_e32 v121, v126, v10
	v_mul_f32_e32 v119, v122, v2
	v_fma_f32 v118, v120, v7, -v6
	ds_load_2addr_b64 v[5:8], v21 offset0:57 offset1:58
	v_mul_f32_e32 v120, v124, v4
	v_dual_mul_f32 v4, v125, v4 :: v_dual_fmac_f32 v121, v127, v9
	v_mul_f32_e32 v10, v127, v10
	v_mul_f32_e32 v12, v129, v12
	;; [unrolled: 1-line block ×3, first 2 shown]
	v_dual_fmac_f32 v119, v123, v1 :: v_dual_fmac_f32 v120, v125, v3
	v_fma_f32 v123, v124, v3, -v4
	v_fma_f32 v124, v126, v9, -v10
	v_fmac_f32_e32 v134, v129, v11
	v_fma_f32 v125, v128, v11, -v12
	ds_load_2addr_b64 v[9:12], v21 offset0:59 offset1:60
	s_wait_loadcnt_dscnt 0x201
	v_dual_mul_f32 v127, v7, v16 :: v_dual_mul_f32 v126, v5, v14
	s_delay_alu instid0(VALU_DEP_1)
	v_dual_mul_f32 v14, v6, v14 :: v_dual_fmac_f32 v127, v8, v15
	v_fma_f32 v122, v122, v1, -v2
	scratch_load_b128 v[1:4], off, off offset:104
	v_mul_f32_e32 v16, v8, v16
	v_fmac_f32_e32 v126, v6, v13
	v_fma_f32 v13, v5, v13, -v14
	s_delay_alu instid0(VALU_DEP_3)
	v_fma_f32 v14, v7, v15, -v16
	s_wait_loadcnt_dscnt 0x200
	v_mul_f32_e32 v15, v9, v18
	v_mul_f32_e32 v16, v10, v18
	;; [unrolled: 1-line block ×4, first 2 shown]
	ds_load_2addr_b64 v[5:8], v21 offset0:61 offset1:62
	v_fmac_f32_e32 v15, v10, v17
	v_fma_f32 v16, v9, v17, -v16
	v_fmac_f32_e32 v18, v12, v19
	v_fma_f32 v17, v11, v19, -v20
	scratch_load_b128 v[9:12], off, off offset:120
	s_wait_loadcnt_dscnt 0x100
	v_mul_f32_e32 v19, v5, v2
	v_mul_f32_e32 v2, v6, v2
	v_mul_f32_e32 v20, v7, v4
	s_delay_alu instid0(VALU_DEP_3) | instskip(NEXT) | instid1(VALU_DEP_3)
	v_dual_mul_f32 v4, v8, v4 :: v_dual_fmac_f32 v19, v6, v1
	v_fma_f32 v128, v5, v1, -v2
	s_delay_alu instid0(VALU_DEP_3) | instskip(NEXT) | instid1(VALU_DEP_3)
	v_fmac_f32_e32 v20, v8, v3
	v_fma_f32 v129, v7, v3, -v4
	ds_load_2addr_b64 v[1:4], v21 offset0:63 offset1:64
	ds_load_2addr_b64 v[5:8], v21 offset0:65 offset1:66
	s_wait_loadcnt_dscnt 0x1
	v_mul_f32_e32 v135, v1, v10
	v_mul_f32_e32 v10, v2, v10
	s_delay_alu instid0(VALU_DEP_2) | instskip(NEXT) | instid1(VALU_DEP_2)
	v_dual_mul_f32 v136, v3, v12 :: v_dual_fmac_f32 v135, v2, v9
	v_fma_f32 v137, v1, v9, -v10
	v_mul_f32_e32 v1, v4, v12
	s_delay_alu instid0(VALU_DEP_3) | instskip(NEXT) | instid1(VALU_DEP_2)
	v_fmac_f32_e32 v136, v4, v11
	v_fma_f32 v138, v3, v11, -v1
	s_clause 0x1
	scratch_load_b128 v[1:4], off, off offset:136
	scratch_load_b128 v[9:12], off, off offset:152
	s_wait_loadcnt_dscnt 0x100
	v_mul_f32_e32 v139, v5, v2
	v_dual_mul_f32 v2, v6, v2 :: v_dual_mul_f32 v141, v7, v4
	s_delay_alu instid0(VALU_DEP_2) | instskip(NEXT) | instid1(VALU_DEP_2)
	v_fmac_f32_e32 v139, v6, v1
	v_fma_f32 v140, v5, v1, -v2
	v_mul_f32_e32 v1, v8, v4
	s_delay_alu instid0(VALU_DEP_4) | instskip(NEXT) | instid1(VALU_DEP_2)
	v_fmac_f32_e32 v141, v8, v3
	v_fma_f32 v142, v7, v3, -v1
	ds_load_2addr_b64 v[1:4], v21 offset0:67 offset1:68
	ds_load_2addr_b64 v[5:8], v21 offset0:69 offset1:70
	s_wait_loadcnt_dscnt 0x1
	v_mul_f32_e32 v143, v1, v10
	v_mul_f32_e32 v145, v3, v12
	s_delay_alu instid0(VALU_DEP_2) | instskip(NEXT) | instid1(VALU_DEP_2)
	v_fmac_f32_e32 v143, v2, v9
	v_dual_mul_f32 v2, v2, v10 :: v_dual_fmac_f32 v145, v4, v11
	s_delay_alu instid0(VALU_DEP_1) | instskip(SKIP_1) | instid1(VALU_DEP_1)
	v_fma_f32 v144, v1, v9, -v2
	v_mul_f32_e32 v1, v4, v12
	v_fma_f32 v146, v3, v11, -v1
	s_clause 0x1
	scratch_load_b128 v[1:4], off, off offset:168
	scratch_load_b128 v[9:12], off, off offset:184
	s_wait_loadcnt_dscnt 0x100
	v_mul_f32_e32 v147, v5, v2
	v_dual_mul_f32 v2, v6, v2 :: v_dual_mul_f32 v149, v7, v4
	s_delay_alu instid0(VALU_DEP_2) | instskip(NEXT) | instid1(VALU_DEP_2)
	v_fmac_f32_e32 v147, v6, v1
	v_fma_f32 v148, v5, v1, -v2
	v_mul_f32_e32 v1, v8, v4
	s_delay_alu instid0(VALU_DEP_4) | instskip(NEXT) | instid1(VALU_DEP_2)
	v_fmac_f32_e32 v149, v8, v3
	v_fma_f32 v150, v7, v3, -v1
	ds_load_2addr_b64 v[1:4], v21 offset0:71 offset1:72
	ds_load_2addr_b64 v[5:8], v21 offset0:73 offset1:74
	s_wait_loadcnt_dscnt 0x1
	v_mul_f32_e32 v151, v1, v10
	v_mul_f32_e32 v153, v3, v12
	s_delay_alu instid0(VALU_DEP_2) | instskip(NEXT) | instid1(VALU_DEP_2)
	v_fmac_f32_e32 v151, v2, v9
	v_dual_mul_f32 v2, v2, v10 :: v_dual_fmac_f32 v153, v4, v11
	s_delay_alu instid0(VALU_DEP_1) | instskip(SKIP_1) | instid1(VALU_DEP_1)
	v_fma_f32 v152, v1, v9, -v2
	v_mul_f32_e32 v1, v4, v12
	;; [unrolled: 25-line block ×5, first 2 shown]
	v_fma_f32 v178, v3, v11, -v1
	s_clause 0x1
	scratch_load_b128 v[1:4], off, off offset:296
	scratch_load_b128 v[9:12], off, off offset:312
	s_wait_loadcnt_dscnt 0x100
	v_mul_f32_e32 v179, v5, v2
	v_mul_f32_e32 v2, v6, v2
	s_delay_alu instid0(VALU_DEP_2) | instskip(NEXT) | instid1(VALU_DEP_2)
	v_fmac_f32_e32 v179, v6, v1
	v_fma_f32 v180, v5, v1, -v2
	v_add_f32_e32 v2, 0, v132
	s_delay_alu instid0(VALU_DEP_1) | instskip(NEXT) | instid1(VALU_DEP_1)
	v_dual_mul_f32 v1, v8, v4 :: v_dual_add_f32 v2, v2, v133
	v_fma_f32 v182, v7, v3, -v1
	s_delay_alu instid0(VALU_DEP_2) | instskip(NEXT) | instid1(VALU_DEP_1)
	v_dual_add_f32 v1, 0, v22 :: v_dual_add_f32 v2, v2, v119
	v_dual_add_f32 v1, v1, v118 :: v_dual_add_f32 v2, v2, v120
	s_delay_alu instid0(VALU_DEP_1) | instskip(NEXT) | instid1(VALU_DEP_1)
	v_dual_add_f32 v1, v1, v122 :: v_dual_add_f32 v2, v2, v121
	v_dual_add_f32 v1, v1, v123 :: v_dual_add_f32 v2, v2, v134
	s_delay_alu instid0(VALU_DEP_1) | instskip(NEXT) | instid1(VALU_DEP_1)
	v_add_f32_e32 v2, v2, v126
	v_add_f32_e32 v2, v2, v127
	s_delay_alu instid0(VALU_DEP_1) | instskip(NEXT) | instid1(VALU_DEP_1)
	v_add_f32_e32 v2, v2, v15
	v_add_f32_e32 v2, v2, v18
	;; [unrolled: 3-line block ×4, first 2 shown]
	s_delay_alu instid0(VALU_DEP_1) | instskip(NEXT) | instid1(VALU_DEP_1)
	v_dual_add_f32 v1, v1, v124 :: v_dual_add_f32 v2, v2, v139
	v_add_f32_e32 v1, v1, v125
	s_delay_alu instid0(VALU_DEP_2) | instskip(NEXT) | instid1(VALU_DEP_1)
	v_add_f32_e32 v2, v2, v141
	v_dual_add_f32 v1, v1, v13 :: v_dual_add_f32 v2, v2, v143
	s_delay_alu instid0(VALU_DEP_1) | instskip(NEXT) | instid1(VALU_DEP_1)
	v_dual_add_f32 v1, v1, v14 :: v_dual_add_f32 v2, v2, v145
	v_dual_add_f32 v1, v1, v16 :: v_dual_add_f32 v2, v2, v147
	s_delay_alu instid0(VALU_DEP_1) | instskip(NEXT) | instid1(VALU_DEP_1)
	v_add_f32_e32 v1, v1, v17
	v_dual_add_f32 v2, v2, v149 :: v_dual_add_f32 v1, v1, v128
	s_delay_alu instid0(VALU_DEP_1) | instskip(NEXT) | instid1(VALU_DEP_1)
	v_add_f32_e32 v1, v1, v129
	v_add_f32_e32 v1, v1, v137
	s_delay_alu instid0(VALU_DEP_1) | instskip(NEXT) | instid1(VALU_DEP_1)
	v_add_f32_e32 v1, v1, v138
	v_add_f32_e32 v1, v1, v140
	;; [unrolled: 3-line block ×5, first 2 shown]
	s_delay_alu instid0(VALU_DEP_1) | instskip(NEXT) | instid1(VALU_DEP_1)
	v_dual_add_f32 v6, v1, v154 :: v_dual_add_f32 v5, v2, v151
	v_dual_add_f32 v6, v6, v156 :: v_dual_add_f32 v5, v5, v153
	s_delay_alu instid0(VALU_DEP_1) | instskip(NEXT) | instid1(VALU_DEP_2)
	v_add_f32_e32 v13, v6, v158
	v_add_f32_e32 v5, v5, v155
	v_mul_f32_e32 v181, v7, v4
	s_delay_alu instid0(VALU_DEP_3) | instskip(NEXT) | instid1(VALU_DEP_2)
	v_add_f32_e32 v13, v13, v160
	v_dual_add_f32 v14, v5, v157 :: v_dual_fmac_f32 v181, v8, v3
	ds_load_2addr_b64 v[1:4], v21 offset0:87 offset1:88
	ds_load_2addr_b64 v[5:8], v21 offset0:89 offset1:90
	v_add_f32_e32 v13, v13, v162
	s_delay_alu instid0(VALU_DEP_1) | instskip(NEXT) | instid1(VALU_DEP_1)
	v_add_f32_e32 v13, v13, v164
	v_add_f32_e32 v18, v13, v166
	s_delay_alu instid0(VALU_DEP_1)
	v_add_f32_e32 v18, v18, v168
	s_wait_loadcnt_dscnt 0x1
	v_mul_f32_e32 v22, v1, v10
	v_mul_f32_e32 v122, v3, v12
	;; [unrolled: 1-line block ×4, first 2 shown]
	v_add_f32_e32 v14, v14, v159
	v_fmac_f32_e32 v22, v2, v9
	v_fmac_f32_e32 v122, v4, v11
	v_fma_f32 v123, v1, v9, -v10
	v_fma_f32 v124, v3, v11, -v12
	s_clause 0x1
	scratch_load_b128 v[1:4], off, off offset:328
	scratch_load_b128 v[9:12], off, off offset:344
	v_add_f32_e32 v14, v14, v161
	v_add_f32_e32 v18, v18, v170
	s_delay_alu instid0(VALU_DEP_2) | instskip(SKIP_2) | instid1(VALU_DEP_1)
	v_add_f32_e32 v17, v14, v163
	scratch_load_b128 v[13:16], off, off offset:360
	v_dual_add_f32 v118, v18, v172 :: v_dual_add_f32 v17, v17, v165
	v_add_f32_e32 v125, v118, v174
	s_delay_alu instid0(VALU_DEP_2) | instskip(NEXT) | instid1(VALU_DEP_1)
	v_add_f32_e32 v17, v17, v167
	v_add_f32_e32 v17, v17, v169
	s_delay_alu instid0(VALU_DEP_1)
	v_add_f32_e32 v119, v17, v171
	ds_load_2addr_b64 v[17:20], v21 offset0:91 offset1:92
	v_add_f32_e32 v126, v119, v173
	ds_load_2addr_b64 v[118:121], v21 offset0:93 offset1:94
	v_add_f32_e32 v21, v125, v176
	v_add_f32_e32 v125, v126, v175
	s_delay_alu instid0(VALU_DEP_2) | instskip(NEXT) | instid1(VALU_DEP_2)
	v_add_f32_e32 v21, v21, v178
	v_add_f32_e32 v125, v125, v177
	s_delay_alu instid0(VALU_DEP_2) | instskip(NEXT) | instid1(VALU_DEP_1)
	v_add_f32_e32 v21, v21, v180
	v_add_f32_e32 v21, v21, v182
	s_delay_alu instid0(VALU_DEP_1)
	v_add_f32_e32 v21, v21, v123
	s_wait_loadcnt_dscnt 0x202
	v_mul_f32_e32 v126, v5, v2
	s_wait_loadcnt_dscnt 0x101
	v_mul_f32_e32 v128, v17, v10
	v_dual_add_f32 v125, v125, v179 :: v_dual_mul_f32 v2, v6, v2
	v_mul_f32_e32 v127, v7, v4
	v_mul_f32_e32 v4, v8, v4
	v_fmac_f32_e32 v126, v6, v1
	s_delay_alu instid0(VALU_DEP_4) | instskip(SKIP_2) | instid1(VALU_DEP_3)
	v_add_f32_e32 v125, v125, v181
	v_fma_f32 v2, v5, v1, -v2
	v_dual_add_f32 v1, v21, v124 :: v_dual_mul_f32 v6, v18, v10
	v_dual_fmac_f32 v127, v8, v3 :: v_dual_add_f32 v22, v125, v22
	v_fma_f32 v3, v7, v3, -v4
	s_delay_alu instid0(VALU_DEP_3) | instskip(SKIP_1) | instid1(VALU_DEP_4)
	v_add_f32_e32 v1, v1, v2
	v_mul_f32_e32 v129, v19, v12
	v_dual_mul_f32 v4, v20, v12 :: v_dual_add_f32 v5, v22, v122
	s_delay_alu instid0(VALU_DEP_3)
	v_dual_fmac_f32 v128, v18, v9 :: v_dual_add_f32 v1, v1, v3
	s_wait_loadcnt_dscnt 0x0
	v_mul_f32_e32 v132, v118, v14
	v_mul_f32_e32 v3, v119, v14
	v_add_f32_e32 v2, v5, v126
	v_fma_f32 v5, v17, v9, -v6
	v_fmac_f32_e32 v129, v20, v11
	v_fma_f32 v4, v19, v11, -v4
	s_delay_alu instid0(VALU_DEP_4) | instskip(NEXT) | instid1(VALU_DEP_4)
	v_dual_mul_f32 v123, v120, v16 :: v_dual_add_f32 v2, v2, v127
	v_add_f32_e32 v1, v1, v5
	v_dual_mul_f32 v5, v121, v16 :: v_dual_fmac_f32 v132, v119, v13
	v_fma_f32 v3, v118, v13, -v3
	s_delay_alu instid0(VALU_DEP_4) | instskip(NEXT) | instid1(VALU_DEP_4)
	v_add_f32_e32 v2, v2, v128
	v_add_f32_e32 v1, v1, v4
	v_fmac_f32_e32 v123, v121, v15
	v_fma_f32 v4, v120, v15, -v5
	s_delay_alu instid0(VALU_DEP_3) | instskip(NEXT) | instid1(VALU_DEP_1)
	v_dual_add_f32 v2, v2, v129 :: v_dual_add_f32 v1, v1, v3
	v_add_f32_e32 v2, v2, v132
	s_delay_alu instid0(VALU_DEP_1) | instskip(NEXT) | instid1(VALU_DEP_1)
	v_dual_add_f32 v1, v1, v4 :: v_dual_add_f32 v2, v2, v123
	v_dual_sub_f32 v1, v130, v1 :: v_dual_sub_f32 v2, v131, v2
	scratch_store_b64 off, v[1:2], off offset:16
	v_cmpx_lt_u32_e32 1, v0
	s_cbranch_execz .LBB46_293
; %bb.292:
	scratch_load_b64 v[1:2], off, off offset:8
	v_mov_b32_e32 v3, 0
	s_delay_alu instid0(VALU_DEP_1)
	v_mov_b32_e32 v4, v3
	scratch_store_b64 off, v[3:4], off offset:8
	s_wait_loadcnt 0x0
	ds_store_b64 v23, v[1:2]
.LBB46_293:
	s_wait_alu 0xfffe
	s_or_b32 exec_lo, exec_lo, s0
	s_wait_storecnt_dscnt 0x0
	s_barrier_signal -1
	s_barrier_wait -1
	global_inv scope:SCOPE_SE
	s_clause 0x4
	scratch_load_b128 v[5:8], off, off offset:16
	scratch_load_b128 v[1:4], off, off offset:32
	;; [unrolled: 1-line block ×5, first 2 shown]
	v_mov_b32_e32 v118, 0
	ds_load_b128 v[119:122], v118 offset:400
	ds_load_b128 v[123:126], v118 offset:416
	;; [unrolled: 1-line block ×3, first 2 shown]
	scratch_load_b64 v[21:22], off, off offset:8
	s_mov_b32 s0, exec_lo
	s_wait_loadcnt_dscnt 0x502
	v_mul_f32_e32 v131, v120, v6
	v_dual_mul_f32 v132, v119, v6 :: v_dual_mul_f32 v133, v121, v8
	v_mul_f32_e32 v6, v122, v8
	s_delay_alu instid0(VALU_DEP_3) | instskip(NEXT) | instid1(VALU_DEP_3)
	v_fma_f32 v119, v119, v5, -v131
	v_dual_fmac_f32 v132, v120, v5 :: v_dual_fmac_f32 v133, v122, v7
	s_delay_alu instid0(VALU_DEP_3)
	v_fma_f32 v120, v121, v7, -v6
	ds_load_b128 v[5:8], v118 offset:448
	s_wait_loadcnt_dscnt 0x402
	v_dual_mul_f32 v121, v123, v2 :: v_dual_mul_f32 v122, v125, v4
	s_wait_loadcnt_dscnt 0x301
	v_dual_mul_f32 v131, v127, v10 :: v_dual_mul_f32 v4, v126, v4
	v_mul_f32_e32 v10, v128, v10
	v_mul_f32_e32 v134, v129, v12
	;; [unrolled: 1-line block ×4, first 2 shown]
	v_dual_fmac_f32 v121, v124, v1 :: v_dual_fmac_f32 v122, v126, v3
	v_fma_f32 v124, v125, v3, -v4
	v_fmac_f32_e32 v131, v128, v9
	v_fma_f32 v125, v127, v9, -v10
	v_fmac_f32_e32 v134, v130, v11
	v_fma_f32 v126, v129, v11, -v12
	ds_load_b128 v[9:12], v118 offset:464
	s_wait_loadcnt_dscnt 0x201
	v_mul_f32_e32 v127, v5, v14
	v_mul_f32_e32 v14, v6, v14
	;; [unrolled: 1-line block ×3, first 2 shown]
	s_delay_alu instid0(VALU_DEP_3)
	v_dual_mul_f32 v16, v8, v16 :: v_dual_fmac_f32 v127, v6, v13
	v_fma_f32 v123, v123, v1, -v2
	scratch_load_b128 v[1:4], off, off offset:96
	v_fma_f32 v13, v5, v13, -v14
	v_fmac_f32_e32 v128, v8, v15
	v_fma_f32 v14, v7, v15, -v16
	ds_load_b128 v[5:8], v118 offset:480
	s_wait_loadcnt_dscnt 0x201
	v_mul_f32_e32 v15, v9, v18
	v_mul_f32_e32 v16, v10, v18
	;; [unrolled: 1-line block ×3, first 2 shown]
	s_delay_alu instid0(VALU_DEP_3) | instskip(NEXT) | instid1(VALU_DEP_3)
	v_dual_mul_f32 v20, v12, v20 :: v_dual_fmac_f32 v15, v10, v17
	v_fma_f32 v16, v9, v17, -v16
	s_delay_alu instid0(VALU_DEP_3) | instskip(NEXT) | instid1(VALU_DEP_3)
	v_fmac_f32_e32 v18, v12, v19
	v_fma_f32 v17, v11, v19, -v20
	scratch_load_b128 v[9:12], off, off offset:112
	s_wait_loadcnt_dscnt 0x100
	v_mul_f32_e32 v19, v5, v2
	v_mul_f32_e32 v2, v6, v2
	;; [unrolled: 1-line block ×3, first 2 shown]
	s_delay_alu instid0(VALU_DEP_3) | instskip(NEXT) | instid1(VALU_DEP_3)
	v_dual_mul_f32 v4, v8, v4 :: v_dual_fmac_f32 v19, v6, v1
	v_fma_f32 v129, v5, v1, -v2
	s_delay_alu instid0(VALU_DEP_3) | instskip(NEXT) | instid1(VALU_DEP_3)
	v_fmac_f32_e32 v20, v8, v3
	v_fma_f32 v130, v7, v3, -v4
	ds_load_b128 v[1:4], v118 offset:496
	ds_load_b128 v[5:8], v118 offset:512
	s_wait_loadcnt_dscnt 0x1
	v_mul_f32_e32 v135, v1, v10
	v_mul_f32_e32 v10, v2, v10
	s_delay_alu instid0(VALU_DEP_2) | instskip(NEXT) | instid1(VALU_DEP_2)
	v_dual_mul_f32 v136, v3, v12 :: v_dual_fmac_f32 v135, v2, v9
	v_fma_f32 v137, v1, v9, -v10
	v_mul_f32_e32 v1, v4, v12
	s_delay_alu instid0(VALU_DEP_3) | instskip(NEXT) | instid1(VALU_DEP_2)
	v_fmac_f32_e32 v136, v4, v11
	v_fma_f32 v138, v3, v11, -v1
	s_clause 0x1
	scratch_load_b128 v[1:4], off, off offset:128
	scratch_load_b128 v[9:12], off, off offset:144
	s_wait_loadcnt_dscnt 0x100
	v_mul_f32_e32 v139, v5, v2
	v_dual_mul_f32 v2, v6, v2 :: v_dual_mul_f32 v141, v7, v4
	s_delay_alu instid0(VALU_DEP_2) | instskip(NEXT) | instid1(VALU_DEP_2)
	v_fmac_f32_e32 v139, v6, v1
	v_fma_f32 v140, v5, v1, -v2
	v_mul_f32_e32 v1, v8, v4
	s_delay_alu instid0(VALU_DEP_4) | instskip(NEXT) | instid1(VALU_DEP_2)
	v_fmac_f32_e32 v141, v8, v3
	v_fma_f32 v142, v7, v3, -v1
	ds_load_b128 v[1:4], v118 offset:528
	ds_load_b128 v[5:8], v118 offset:544
	s_wait_loadcnt_dscnt 0x1
	v_mul_f32_e32 v143, v1, v10
	v_mul_f32_e32 v145, v3, v12
	s_delay_alu instid0(VALU_DEP_2) | instskip(NEXT) | instid1(VALU_DEP_2)
	v_fmac_f32_e32 v143, v2, v9
	v_dual_mul_f32 v2, v2, v10 :: v_dual_fmac_f32 v145, v4, v11
	s_delay_alu instid0(VALU_DEP_1) | instskip(SKIP_1) | instid1(VALU_DEP_1)
	v_fma_f32 v144, v1, v9, -v2
	v_mul_f32_e32 v1, v4, v12
	v_fma_f32 v146, v3, v11, -v1
	s_clause 0x1
	scratch_load_b128 v[1:4], off, off offset:160
	scratch_load_b128 v[9:12], off, off offset:176
	s_wait_loadcnt_dscnt 0x100
	v_mul_f32_e32 v147, v5, v2
	v_dual_mul_f32 v149, v7, v4 :: v_dual_mul_f32 v2, v6, v2
	s_delay_alu instid0(VALU_DEP_2) | instskip(NEXT) | instid1(VALU_DEP_2)
	v_fmac_f32_e32 v147, v6, v1
	v_fmac_f32_e32 v149, v8, v3
	s_delay_alu instid0(VALU_DEP_3) | instskip(SKIP_1) | instid1(VALU_DEP_1)
	v_fma_f32 v148, v5, v1, -v2
	v_mul_f32_e32 v1, v8, v4
	v_fma_f32 v150, v7, v3, -v1
	ds_load_b128 v[1:4], v118 offset:560
	ds_load_b128 v[5:8], v118 offset:576
	s_wait_loadcnt_dscnt 0x1
	v_mul_f32_e32 v151, v1, v10
	v_mul_f32_e32 v153, v3, v12
	s_delay_alu instid0(VALU_DEP_2) | instskip(NEXT) | instid1(VALU_DEP_2)
	v_fmac_f32_e32 v151, v2, v9
	v_dual_mul_f32 v2, v2, v10 :: v_dual_fmac_f32 v153, v4, v11
	s_delay_alu instid0(VALU_DEP_1) | instskip(SKIP_1) | instid1(VALU_DEP_1)
	v_fma_f32 v152, v1, v9, -v2
	v_mul_f32_e32 v1, v4, v12
	v_fma_f32 v154, v3, v11, -v1
	s_clause 0x1
	scratch_load_b128 v[1:4], off, off offset:192
	scratch_load_b128 v[9:12], off, off offset:208
	s_wait_loadcnt_dscnt 0x100
	v_mul_f32_e32 v155, v5, v2
	v_dual_mul_f32 v2, v6, v2 :: v_dual_mul_f32 v157, v7, v4
	s_delay_alu instid0(VALU_DEP_2) | instskip(NEXT) | instid1(VALU_DEP_2)
	v_fmac_f32_e32 v155, v6, v1
	v_fma_f32 v156, v5, v1, -v2
	v_mul_f32_e32 v1, v8, v4
	s_delay_alu instid0(VALU_DEP_4) | instskip(NEXT) | instid1(VALU_DEP_2)
	v_fmac_f32_e32 v157, v8, v3
	v_fma_f32 v158, v7, v3, -v1
	ds_load_b128 v[1:4], v118 offset:592
	ds_load_b128 v[5:8], v118 offset:608
	s_wait_loadcnt_dscnt 0x1
	v_mul_f32_e32 v159, v1, v10
	v_mul_f32_e32 v161, v3, v12
	s_delay_alu instid0(VALU_DEP_2) | instskip(NEXT) | instid1(VALU_DEP_2)
	v_fmac_f32_e32 v159, v2, v9
	v_dual_mul_f32 v2, v2, v10 :: v_dual_fmac_f32 v161, v4, v11
	s_delay_alu instid0(VALU_DEP_1) | instskip(SKIP_1) | instid1(VALU_DEP_1)
	v_fma_f32 v160, v1, v9, -v2
	v_mul_f32_e32 v1, v4, v12
	v_fma_f32 v162, v3, v11, -v1
	s_clause 0x1
	scratch_load_b128 v[1:4], off, off offset:224
	scratch_load_b128 v[9:12], off, off offset:240
	s_wait_loadcnt_dscnt 0x100
	v_mul_f32_e32 v163, v5, v2
	v_dual_mul_f32 v2, v6, v2 :: v_dual_mul_f32 v165, v7, v4
	s_delay_alu instid0(VALU_DEP_2) | instskip(NEXT) | instid1(VALU_DEP_2)
	v_fmac_f32_e32 v163, v6, v1
	v_fma_f32 v164, v5, v1, -v2
	v_mul_f32_e32 v1, v8, v4
	s_delay_alu instid0(VALU_DEP_4) | instskip(NEXT) | instid1(VALU_DEP_2)
	v_fmac_f32_e32 v165, v8, v3
	;; [unrolled: 25-line block ×3, first 2 shown]
	v_fma_f32 v174, v7, v3, -v1
	ds_load_b128 v[1:4], v118 offset:656
	ds_load_b128 v[5:8], v118 offset:672
	s_wait_loadcnt_dscnt 0x1
	v_mul_f32_e32 v175, v1, v10
	v_mul_f32_e32 v177, v3, v12
	s_delay_alu instid0(VALU_DEP_2) | instskip(NEXT) | instid1(VALU_DEP_2)
	v_fmac_f32_e32 v175, v2, v9
	v_dual_mul_f32 v2, v2, v10 :: v_dual_fmac_f32 v177, v4, v11
	s_delay_alu instid0(VALU_DEP_1) | instskip(SKIP_1) | instid1(VALU_DEP_1)
	v_fma_f32 v176, v1, v9, -v2
	v_mul_f32_e32 v1, v4, v12
	v_fma_f32 v178, v3, v11, -v1
	s_clause 0x1
	scratch_load_b128 v[1:4], off, off offset:288
	scratch_load_b128 v[9:12], off, off offset:304
	s_wait_loadcnt_dscnt 0x100
	v_mul_f32_e32 v179, v5, v2
	v_dual_mul_f32 v2, v6, v2 :: v_dual_mul_f32 v181, v7, v4
	s_delay_alu instid0(VALU_DEP_2) | instskip(NEXT) | instid1(VALU_DEP_2)
	v_fmac_f32_e32 v179, v6, v1
	v_fma_f32 v180, v5, v1, -v2
	v_add_f32_e32 v2, 0, v132
	s_delay_alu instid0(VALU_DEP_1) | instskip(NEXT) | instid1(VALU_DEP_1)
	v_dual_mul_f32 v1, v8, v4 :: v_dual_add_f32 v2, v2, v133
	v_fma_f32 v182, v7, v3, -v1
	s_delay_alu instid0(VALU_DEP_2) | instskip(NEXT) | instid1(VALU_DEP_1)
	v_dual_add_f32 v1, 0, v119 :: v_dual_add_f32 v2, v2, v121
	v_dual_add_f32 v1, v1, v120 :: v_dual_add_f32 v2, v2, v122
	v_fmac_f32_e32 v181, v8, v3
	s_delay_alu instid0(VALU_DEP_2) | instskip(NEXT) | instid1(VALU_DEP_1)
	v_add_f32_e32 v1, v1, v123
	v_dual_add_f32 v2, v2, v131 :: v_dual_add_f32 v1, v1, v124
	scratch_load_b64 v[123:124], off, off offset:368
	v_dual_add_f32 v2, v2, v134 :: v_dual_add_f32 v1, v1, v125
	s_delay_alu instid0(VALU_DEP_1) | instskip(NEXT) | instid1(VALU_DEP_1)
	v_add_f32_e32 v2, v2, v127
	v_add_f32_e32 v2, v2, v128
	s_delay_alu instid0(VALU_DEP_1) | instskip(NEXT) | instid1(VALU_DEP_1)
	v_add_f32_e32 v2, v2, v15
	v_add_f32_e32 v2, v2, v18
	;; [unrolled: 3-line block ×6, first 2 shown]
	s_delay_alu instid0(VALU_DEP_1) | instskip(NEXT) | instid1(VALU_DEP_1)
	v_add_f32_e32 v2, v2, v147
	v_dual_add_f32 v2, v2, v149 :: v_dual_add_f32 v1, v1, v126
	s_delay_alu instid0(VALU_DEP_1) | instskip(NEXT) | instid1(VALU_DEP_1)
	v_add_f32_e32 v1, v1, v13
	v_add_f32_e32 v1, v1, v14
	s_delay_alu instid0(VALU_DEP_1) | instskip(NEXT) | instid1(VALU_DEP_1)
	v_add_f32_e32 v1, v1, v16
	v_add_f32_e32 v1, v1, v17
	;; [unrolled: 3-line block ×7, first 2 shown]
	s_delay_alu instid0(VALU_DEP_1) | instskip(NEXT) | instid1(VALU_DEP_1)
	v_add_f32_e32 v1, v1, v152
	v_dual_add_f32 v6, v1, v154 :: v_dual_add_f32 v5, v2, v151
	ds_load_b128 v[1:4], v118 offset:688
	v_dual_add_f32 v6, v6, v156 :: v_dual_add_f32 v5, v5, v153
	s_delay_alu instid0(VALU_DEP_1) | instskip(NEXT) | instid1(VALU_DEP_2)
	v_add_f32_e32 v13, v6, v158
	v_add_f32_e32 v5, v5, v155
	s_delay_alu instid0(VALU_DEP_2) | instskip(NEXT) | instid1(VALU_DEP_2)
	v_add_f32_e32 v13, v13, v160
	v_add_f32_e32 v14, v5, v157
	ds_load_b128 v[5:8], v118 offset:704
	v_add_f32_e32 v13, v13, v162
	s_wait_loadcnt_dscnt 0x101
	v_mul_f32_e32 v127, v1, v10
	v_mul_f32_e32 v10, v2, v10
	;; [unrolled: 1-line block ×3, first 2 shown]
	v_add_f32_e32 v13, v13, v164
	v_mul_f32_e32 v12, v4, v12
	v_add_f32_e32 v14, v14, v159
	v_fma_f32 v129, v1, v9, -v10
	v_fmac_f32_e32 v128, v4, v11
	v_add_f32_e32 v18, v13, v166
	v_fma_f32 v130, v3, v11, -v12
	v_add_f32_e32 v14, v14, v161
	s_delay_alu instid0(VALU_DEP_3) | instskip(NEXT) | instid1(VALU_DEP_2)
	v_add_f32_e32 v18, v18, v168
	v_add_f32_e32 v17, v14, v163
	scratch_load_b128 v[13:16], off, off offset:352
	v_dual_add_f32 v18, v18, v170 :: v_dual_add_f32 v17, v17, v165
	s_delay_alu instid0(VALU_DEP_1) | instskip(NEXT) | instid1(VALU_DEP_1)
	v_dual_add_f32 v18, v18, v172 :: v_dual_add_f32 v17, v17, v167
	v_dual_add_f32 v18, v18, v174 :: v_dual_add_f32 v17, v17, v169
	s_delay_alu instid0(VALU_DEP_1) | instskip(NEXT) | instid1(VALU_DEP_2)
	v_add_f32_e32 v125, v18, v176
	v_add_f32_e32 v17, v17, v171
	s_delay_alu instid0(VALU_DEP_2) | instskip(NEXT) | instid1(VALU_DEP_2)
	v_add_f32_e32 v131, v125, v178
	v_add_f32_e32 v119, v17, v173
	ds_load_b128 v[17:20], v118 offset:720
	v_add_f32_e32 v131, v131, v180
	v_add_f32_e32 v126, v119, v175
	ds_load_b128 v[119:122], v118 offset:736
	v_dual_add_f32 v131, v131, v182 :: v_dual_add_f32 v132, v126, v177
	ds_load_b64 v[125:126], v118 offset:752
	v_add_f32_e32 v129, v131, v129
	s_delay_alu instid0(VALU_DEP_1)
	v_add_f32_e32 v129, v129, v130
	v_fmac_f32_e32 v127, v2, v9
	s_clause 0x1
	scratch_load_b128 v[1:4], off, off offset:320
	scratch_load_b128 v[9:12], off, off offset:336
	s_wait_loadcnt_dscnt 0x201
	v_dual_mul_f32 v135, v119, v14 :: v_dual_mul_f32 v130, v121, v16
	s_delay_alu instid0(VALU_DEP_1)
	v_dual_fmac_f32 v135, v120, v13 :: v_dual_fmac_f32 v130, v122, v15
	s_wait_loadcnt 0x1
	v_mul_f32_e32 v133, v5, v2
	v_mul_f32_e32 v2, v6, v2
	;; [unrolled: 1-line block ×3, first 2 shown]
	v_add_f32_e32 v132, v132, v179
	s_delay_alu instid0(VALU_DEP_4) | instskip(NEXT) | instid1(VALU_DEP_4)
	v_dual_mul_f32 v4, v8, v4 :: v_dual_fmac_f32 v133, v6, v1
	v_fma_f32 v2, v5, v1, -v2
	s_wait_loadcnt 0x0
	s_delay_alu instid0(VALU_DEP_3)
	v_dual_mul_f32 v131, v17, v10 :: v_dual_add_f32 v132, v132, v181
	v_fmac_f32_e32 v134, v8, v3
	v_fma_f32 v1, v7, v3, -v4
	v_add_f32_e32 v2, v129, v2
	v_mul_f32_e32 v3, v18, v10
	v_dual_add_f32 v127, v132, v127 :: v_dual_mul_f32 v132, v19, v12
	v_mul_f32_e32 v5, v20, v12
	v_fmac_f32_e32 v131, v18, v9
	s_delay_alu instid0(VALU_DEP_4) | instskip(NEXT) | instid1(VALU_DEP_4)
	v_fma_f32 v3, v17, v9, -v3
	v_add_f32_e32 v127, v127, v128
	v_dual_add_f32 v1, v2, v1 :: v_dual_fmac_f32 v132, v20, v11
	v_fma_f32 v5, v19, v11, -v5
	s_wait_dscnt 0x0
	v_mul_f32_e32 v128, v125, v124
	s_delay_alu instid0(VALU_DEP_3) | instskip(SKIP_1) | instid1(VALU_DEP_3)
	v_dual_add_f32 v4, v127, v133 :: v_dual_add_f32 v1, v1, v3
	v_mul_f32_e32 v3, v122, v16
	v_fmac_f32_e32 v128, v126, v123
	s_delay_alu instid0(VALU_DEP_3) | instskip(NEXT) | instid1(VALU_DEP_4)
	v_add_f32_e32 v2, v4, v134
	v_dual_mul_f32 v4, v120, v14 :: v_dual_add_f32 v1, v1, v5
	v_mul_f32_e32 v5, v126, v124
	v_fma_f32 v3, v121, v15, -v3
	s_delay_alu instid0(VALU_DEP_4) | instskip(NEXT) | instid1(VALU_DEP_4)
	v_add_f32_e32 v2, v2, v131
	v_fma_f32 v4, v119, v13, -v4
	s_delay_alu instid0(VALU_DEP_2) | instskip(NEXT) | instid1(VALU_DEP_2)
	v_add_f32_e32 v2, v2, v132
	v_add_f32_e32 v1, v1, v4
	v_fma_f32 v4, v125, v123, -v5
	s_delay_alu instid0(VALU_DEP_3) | instskip(NEXT) | instid1(VALU_DEP_1)
	v_add_f32_e32 v2, v2, v135
	v_dual_add_f32 v1, v1, v3 :: v_dual_add_f32 v2, v2, v130
	s_delay_alu instid0(VALU_DEP_1) | instskip(NEXT) | instid1(VALU_DEP_1)
	v_add_f32_e32 v1, v1, v4
	v_dual_add_f32 v2, v2, v128 :: v_dual_sub_f32 v1, v21, v1
	s_delay_alu instid0(VALU_DEP_1)
	v_sub_f32_e32 v2, v22, v2
	scratch_store_b64 off, v[1:2], off offset:8
	v_cmpx_ne_u32_e32 0, v0
	s_cbranch_execz .LBB46_295
; %bb.294:
	scratch_load_b64 v[0:1], off, off
	v_mov_b32_e32 v119, v118
	scratch_store_b64 off, v[118:119], off
	s_wait_loadcnt 0x0
	ds_store_b64 v23, v[0:1]
.LBB46_295:
	s_wait_alu 0xfffe
	s_or_b32 exec_lo, exec_lo, s0
	s_wait_storecnt_dscnt 0x0
	s_barrier_signal -1
	s_barrier_wait -1
	global_inv scope:SCOPE_SE
	s_clause 0x6
	scratch_load_b128 v[0:3], off, off offset:8
	scratch_load_b128 v[4:7], off, off offset:24
	;; [unrolled: 1-line block ×7, first 2 shown]
	ds_load_2addr_b64 v[123:126], v118 offset0:49 offset1:50
	ds_load_2addr_b64 v[127:130], v118 offset0:51 offset1:52
	scratch_load_b64 v[131:132], off, off
	s_and_b32 vcc_lo, exec_lo, s18
	s_wait_loadcnt_dscnt 0x701
	v_mul_f32_e32 v133, v124, v1
	v_dual_mul_f32 v134, v123, v1 :: v_dual_mul_f32 v135, v125, v3
	s_delay_alu instid0(VALU_DEP_1) | instskip(NEXT) | instid1(VALU_DEP_2)
	v_dual_mul_f32 v1, v126, v3 :: v_dual_fmac_f32 v134, v124, v0
	v_fmac_f32_e32 v135, v126, v2
	s_delay_alu instid0(VALU_DEP_2)
	v_fma_f32 v124, v125, v2, -v1
	s_wait_loadcnt_dscnt 0x600
	v_mul_f32_e32 v126, v129, v7
	v_fma_f32 v123, v123, v0, -v133
	ds_load_2addr_b64 v[0:3], v118 offset0:53 offset1:54
	v_mul_f32_e32 v125, v127, v5
	v_mul_f32_e32 v5, v128, v5
	;; [unrolled: 1-line block ×3, first 2 shown]
	s_delay_alu instid0(VALU_DEP_3) | instskip(NEXT) | instid1(VALU_DEP_3)
	v_dual_fmac_f32 v126, v130, v6 :: v_dual_fmac_f32 v125, v128, v4
	v_fma_f32 v127, v127, v4, -v5
	s_delay_alu instid0(VALU_DEP_3)
	v_fma_f32 v128, v129, v6, -v7
	ds_load_2addr_b64 v[4:7], v118 offset0:55 offset1:56
	s_wait_loadcnt_dscnt 0x501
	v_mul_f32_e32 v129, v0, v9
	v_dual_mul_f32 v9, v1, v9 :: v_dual_mul_f32 v130, v2, v11
	v_mul_f32_e32 v11, v3, v11
	s_delay_alu instid0(VALU_DEP_3) | instskip(NEXT) | instid1(VALU_DEP_3)
	v_fmac_f32_e32 v129, v1, v8
	v_fma_f32 v133, v0, v8, -v9
	s_delay_alu instid0(VALU_DEP_4) | instskip(NEXT) | instid1(VALU_DEP_4)
	v_fmac_f32_e32 v130, v3, v10
	v_fma_f32 v136, v2, v10, -v11
	ds_load_2addr_b64 v[0:3], v118 offset0:57 offset1:58
	s_wait_loadcnt_dscnt 0x401
	v_mul_f32_e32 v137, v4, v13
	v_dual_mul_f32 v8, v5, v13 :: v_dual_mul_f32 v13, v6, v15
	v_mul_f32_e32 v9, v7, v15
	s_delay_alu instid0(VALU_DEP_3) | instskip(NEXT) | instid1(VALU_DEP_3)
	v_fmac_f32_e32 v137, v5, v12
	v_fma_f32 v12, v4, v12, -v8
	s_delay_alu instid0(VALU_DEP_4) | instskip(NEXT) | instid1(VALU_DEP_4)
	v_fmac_f32_e32 v13, v7, v14
	;; [unrolled: 11-line block ×4, first 2 shown]
	v_fma_f32 v22, v6, v22, -v9
	ds_load_2addr_b64 v[4:7], v118 offset0:63 offset1:64
	s_wait_loadcnt_dscnt 0x101
	v_mul_f32_e32 v23, v0, v120
	v_mul_f32_e32 v8, v1, v120
	;; [unrolled: 1-line block ×4, first 2 shown]
	s_delay_alu instid0(VALU_DEP_4) | instskip(NEXT) | instid1(VALU_DEP_4)
	v_fmac_f32_e32 v23, v1, v119
	v_fma_f32 v119, v0, v119, -v8
	s_delay_alu instid0(VALU_DEP_4) | instskip(NEXT) | instid1(VALU_DEP_4)
	v_fmac_f32_e32 v120, v3, v121
	v_fma_f32 v121, v2, v121, -v9
	s_clause 0x1
	scratch_load_b128 v[0:3], off, off offset:120
	scratch_load_b128 v[8:11], off, off offset:136
	s_wait_loadcnt_dscnt 0x100
	v_mul_f32_e32 v122, v4, v1
	v_mul_f32_e32 v1, v5, v1
	s_delay_alu instid0(VALU_DEP_2) | instskip(NEXT) | instid1(VALU_DEP_2)
	v_dual_mul_f32 v139, v6, v3 :: v_dual_fmac_f32 v122, v5, v0
	v_fma_f32 v138, v4, v0, -v1
	v_mul_f32_e32 v0, v7, v3
	s_delay_alu instid0(VALU_DEP_3) | instskip(NEXT) | instid1(VALU_DEP_2)
	v_fmac_f32_e32 v139, v7, v2
	v_fma_f32 v140, v6, v2, -v0
	ds_load_2addr_b64 v[0:3], v118 offset0:65 offset1:66
	ds_load_2addr_b64 v[4:7], v118 offset0:67 offset1:68
	s_wait_loadcnt_dscnt 0x1
	v_mul_f32_e32 v141, v0, v9
	v_mul_f32_e32 v143, v2, v11
	s_delay_alu instid0(VALU_DEP_2) | instskip(SKIP_1) | instid1(VALU_DEP_3)
	v_fmac_f32_e32 v141, v1, v8
	v_mul_f32_e32 v1, v1, v9
	v_fmac_f32_e32 v143, v3, v10
	s_delay_alu instid0(VALU_DEP_2) | instskip(SKIP_1) | instid1(VALU_DEP_1)
	v_fma_f32 v142, v0, v8, -v1
	v_mul_f32_e32 v0, v3, v11
	v_fma_f32 v144, v2, v10, -v0
	s_clause 0x1
	scratch_load_b128 v[0:3], off, off offset:152
	scratch_load_b128 v[8:11], off, off offset:168
	s_wait_loadcnt_dscnt 0x100
	v_mul_f32_e32 v145, v4, v1
	v_mul_f32_e32 v1, v5, v1
	v_mul_f32_e32 v147, v6, v3
	s_delay_alu instid0(VALU_DEP_3) | instskip(NEXT) | instid1(VALU_DEP_3)
	v_fmac_f32_e32 v145, v5, v0
	v_fma_f32 v146, v4, v0, -v1
	v_mul_f32_e32 v0, v7, v3
	s_delay_alu instid0(VALU_DEP_4) | instskip(NEXT) | instid1(VALU_DEP_2)
	v_fmac_f32_e32 v147, v7, v2
	v_fma_f32 v148, v6, v2, -v0
	ds_load_2addr_b64 v[0:3], v118 offset0:69 offset1:70
	ds_load_2addr_b64 v[4:7], v118 offset0:71 offset1:72
	s_wait_loadcnt_dscnt 0x1
	v_mul_f32_e32 v149, v0, v9
	s_delay_alu instid0(VALU_DEP_1) | instskip(SKIP_1) | instid1(VALU_DEP_1)
	v_fmac_f32_e32 v149, v1, v8
	v_mul_f32_e32 v1, v1, v9
	v_fma_f32 v150, v0, v8, -v1
	v_mul_f32_e32 v151, v2, v11
	v_mul_f32_e32 v0, v3, v11
	s_delay_alu instid0(VALU_DEP_1) | instskip(NEXT) | instid1(VALU_DEP_3)
	v_fma_f32 v152, v2, v10, -v0
	v_fmac_f32_e32 v151, v3, v10
	s_clause 0x1
	scratch_load_b128 v[0:3], off, off offset:184
	scratch_load_b128 v[8:11], off, off offset:200
	s_wait_loadcnt_dscnt 0x100
	v_mul_f32_e32 v155, v6, v3
	v_mul_f32_e32 v153, v4, v1
	s_delay_alu instid0(VALU_DEP_2) | instskip(SKIP_1) | instid1(VALU_DEP_1)
	v_fmac_f32_e32 v155, v7, v2
	v_mul_f32_e32 v1, v5, v1
	v_fma_f32 v154, v4, v0, -v1
	s_delay_alu instid0(VALU_DEP_4) | instskip(NEXT) | instid1(VALU_DEP_1)
	v_dual_fmac_f32 v153, v5, v0 :: v_dual_mul_f32 v0, v7, v3
	v_fma_f32 v156, v6, v2, -v0
	ds_load_2addr_b64 v[0:3], v118 offset0:73 offset1:74
	ds_load_2addr_b64 v[4:7], v118 offset0:75 offset1:76
	s_wait_loadcnt_dscnt 0x1
	v_mul_f32_e32 v157, v0, v9
	v_mul_f32_e32 v159, v2, v11
	s_delay_alu instid0(VALU_DEP_1) | instskip(NEXT) | instid1(VALU_DEP_3)
	v_fmac_f32_e32 v159, v3, v10
	v_fmac_f32_e32 v157, v1, v8
	v_mul_f32_e32 v1, v1, v9
	s_delay_alu instid0(VALU_DEP_1) | instskip(SKIP_1) | instid1(VALU_DEP_1)
	v_fma_f32 v158, v0, v8, -v1
	v_mul_f32_e32 v0, v3, v11
	v_fma_f32 v160, v2, v10, -v0
	s_clause 0x1
	scratch_load_b128 v[0:3], off, off offset:216
	scratch_load_b128 v[8:11], off, off offset:232
	s_wait_loadcnt_dscnt 0x100
	v_mul_f32_e32 v161, v4, v1
	v_mul_f32_e32 v1, v5, v1
	;; [unrolled: 1-line block ×3, first 2 shown]
	s_delay_alu instid0(VALU_DEP_3) | instskip(NEXT) | instid1(VALU_DEP_3)
	v_fmac_f32_e32 v161, v5, v0
	v_fma_f32 v162, v4, v0, -v1
	v_mul_f32_e32 v0, v7, v3
	s_delay_alu instid0(VALU_DEP_4) | instskip(NEXT) | instid1(VALU_DEP_2)
	v_fmac_f32_e32 v163, v7, v2
	v_fma_f32 v164, v6, v2, -v0
	ds_load_2addr_b64 v[0:3], v118 offset0:77 offset1:78
	ds_load_2addr_b64 v[4:7], v118 offset0:79 offset1:80
	s_wait_loadcnt_dscnt 0x1
	v_mul_f32_e32 v165, v0, v9
	v_mul_f32_e32 v167, v2, v11
	s_delay_alu instid0(VALU_DEP_2) | instskip(SKIP_1) | instid1(VALU_DEP_3)
	v_fmac_f32_e32 v165, v1, v8
	v_mul_f32_e32 v1, v1, v9
	v_fmac_f32_e32 v167, v3, v10
	s_delay_alu instid0(VALU_DEP_2) | instskip(SKIP_1) | instid1(VALU_DEP_1)
	v_fma_f32 v166, v0, v8, -v1
	v_mul_f32_e32 v0, v3, v11
	v_fma_f32 v168, v2, v10, -v0
	s_clause 0x1
	scratch_load_b128 v[0:3], off, off offset:248
	scratch_load_b128 v[8:11], off, off offset:264
	s_wait_loadcnt_dscnt 0x100
	v_mul_f32_e32 v169, v4, v1
	v_mul_f32_e32 v1, v5, v1
	;; [unrolled: 1-line block ×3, first 2 shown]
	s_delay_alu instid0(VALU_DEP_3) | instskip(NEXT) | instid1(VALU_DEP_3)
	v_fmac_f32_e32 v169, v5, v0
	v_fma_f32 v170, v4, v0, -v1
	v_mul_f32_e32 v0, v7, v3
	s_delay_alu instid0(VALU_DEP_4) | instskip(NEXT) | instid1(VALU_DEP_2)
	v_fmac_f32_e32 v171, v7, v2
	v_fma_f32 v172, v6, v2, -v0
	ds_load_2addr_b64 v[0:3], v118 offset0:81 offset1:82
	ds_load_2addr_b64 v[4:7], v118 offset0:83 offset1:84
	s_wait_loadcnt_dscnt 0x1
	v_mul_f32_e32 v173, v0, v9
	v_mul_f32_e32 v175, v2, v11
	s_delay_alu instid0(VALU_DEP_2) | instskip(SKIP_1) | instid1(VALU_DEP_3)
	v_fmac_f32_e32 v173, v1, v8
	v_mul_f32_e32 v1, v1, v9
	v_fmac_f32_e32 v175, v3, v10
	s_delay_alu instid0(VALU_DEP_2) | instskip(SKIP_1) | instid1(VALU_DEP_1)
	v_fma_f32 v174, v0, v8, -v1
	v_mul_f32_e32 v0, v3, v11
	v_fma_f32 v176, v2, v10, -v0
	s_clause 0x1
	scratch_load_b128 v[0:3], off, off offset:280
	scratch_load_b128 v[8:11], off, off offset:296
	s_wait_loadcnt_dscnt 0x100
	v_mul_f32_e32 v177, v4, v1
	v_mul_f32_e32 v1, v5, v1
	s_delay_alu instid0(VALU_DEP_2) | instskip(NEXT) | instid1(VALU_DEP_2)
	v_fmac_f32_e32 v177, v5, v0
	v_fma_f32 v178, v4, v0, -v1
	v_dual_mul_f32 v0, v7, v3 :: v_dual_add_f32 v1, 0, v134
	s_delay_alu instid0(VALU_DEP_1) | instskip(SKIP_1) | instid1(VALU_DEP_1)
	v_fma_f32 v180, v6, v2, -v0
	v_add_f32_e32 v0, 0, v123
	v_dual_add_f32 v1, v1, v135 :: v_dual_add_f32 v0, v0, v124
	s_delay_alu instid0(VALU_DEP_1) | instskip(NEXT) | instid1(VALU_DEP_1)
	v_dual_add_f32 v1, v1, v125 :: v_dual_add_f32 v0, v0, v127
	v_dual_add_f32 v1, v1, v126 :: v_dual_add_f32 v0, v0, v128
	s_delay_alu instid0(VALU_DEP_1) | instskip(NEXT) | instid1(VALU_DEP_1)
	v_add_f32_e32 v1, v1, v129
	v_dual_add_f32 v0, v0, v133 :: v_dual_add_f32 v1, v1, v130
	s_delay_alu instid0(VALU_DEP_1) | instskip(NEXT) | instid1(VALU_DEP_1)
	v_dual_add_f32 v0, v0, v136 :: v_dual_add_f32 v1, v1, v137
	v_dual_add_f32 v0, v0, v12 :: v_dual_add_f32 v1, v1, v13
	s_delay_alu instid0(VALU_DEP_1) | instskip(NEXT) | instid1(VALU_DEP_1)
	v_dual_add_f32 v0, v0, v14 :: v_dual_add_f32 v1, v1, v15
	;; [unrolled: 3-line block ×8, first 2 shown]
	v_add_f32_e32 v4, v0, v150
	s_delay_alu instid0(VALU_DEP_1) | instskip(NEXT) | instid1(VALU_DEP_1)
	v_dual_add_f32 v4, v4, v152 :: v_dual_add_f32 v5, v5, v151
	v_add_f32_e32 v4, v4, v154
	s_delay_alu instid0(VALU_DEP_1) | instskip(NEXT) | instid1(VALU_DEP_1)
	v_dual_add_f32 v12, v5, v153 :: v_dual_add_f32 v13, v4, v156
	v_dual_add_f32 v12, v12, v155 :: v_dual_add_f32 v13, v13, v158
	s_delay_alu instid0(VALU_DEP_1) | instskip(NEXT) | instid1(VALU_DEP_1)
	v_dual_add_f32 v12, v12, v157 :: v_dual_add_f32 v13, v13, v160
	v_add_f32_e32 v13, v13, v162
	s_delay_alu instid0(VALU_DEP_1) | instskip(NEXT) | instid1(VALU_DEP_1)
	v_add_f32_e32 v16, v13, v164
	v_add_f32_e32 v20, v16, v166
	s_delay_alu instid0(VALU_DEP_1) | instskip(SKIP_1) | instid1(VALU_DEP_2)
	v_add_f32_e32 v20, v20, v168
	v_add_f32_e32 v12, v12, v159
	;; [unrolled: 1-line block ×3, first 2 shown]
	s_delay_alu instid0(VALU_DEP_2) | instskip(NEXT) | instid1(VALU_DEP_2)
	v_add_f32_e32 v12, v12, v161
	v_add_f32_e32 v20, v20, v172
	s_delay_alu instid0(VALU_DEP_2) | instskip(SKIP_4) | instid1(VALU_DEP_1)
	v_add_f32_e32 v17, v12, v163
	scratch_load_b128 v[12:15], off, off offset:344
	v_dual_add_f32 v120, v20, v174 :: v_dual_add_f32 v21, v17, v165
	scratch_load_b128 v[16:19], off, off offset:360
	v_add_f32_e32 v123, v120, v176
	v_dual_add_f32 v21, v21, v167 :: v_dual_add_f32 v134, v123, v178
	ds_load_2addr_b64 v[123:126], v118 offset0:93 offset1:94
	v_mul_f32_e32 v179, v6, v3
	v_dual_add_f32 v21, v21, v169 :: v_dual_add_f32 v134, v134, v180
	s_delay_alu instid0(VALU_DEP_2)
	v_fmac_f32_e32 v179, v7, v2
	ds_load_2addr_b64 v[0:3], v118 offset0:85 offset1:86
	ds_load_2addr_b64 v[4:7], v118 offset0:87 offset1:88
	v_add_f32_e32 v119, v21, v171
	ds_load_2addr_b64 v[20:23], v118 offset0:89 offset1:90
	v_add_f32_e32 v119, v119, v173
	s_delay_alu instid0(VALU_DEP_1)
	v_add_f32_e32 v133, v119, v175
	ds_load_2addr_b64 v[119:122], v118 offset0:91 offset1:92
	v_add_f32_e32 v118, v133, v177
	s_wait_loadcnt_dscnt 0x203
	v_mul_f32_e32 v127, v0, v9
	v_dual_mul_f32 v9, v1, v9 :: v_dual_mul_f32 v128, v2, v11
	v_mul_f32_e32 v11, v3, v11
	s_delay_alu instid0(VALU_DEP_3) | instskip(NEXT) | instid1(VALU_DEP_3)
	v_dual_add_f32 v118, v118, v179 :: v_dual_fmac_f32 v127, v1, v8
	v_fma_f32 v129, v0, v8, -v9
	s_delay_alu instid0(VALU_DEP_4) | instskip(NEXT) | instid1(VALU_DEP_4)
	v_fmac_f32_e32 v128, v3, v10
	v_fma_f32 v130, v2, v10, -v11
	s_clause 0x1
	scratch_load_b128 v[0:3], off, off offset:312
	scratch_load_b128 v[8:11], off, off offset:328
	v_add_f32_e32 v129, v134, v129
	s_wait_loadcnt_dscnt 0x102
	v_dual_add_f32 v118, v118, v127 :: v_dual_mul_f32 v133, v4, v1
	v_mul_f32_e32 v1, v5, v1
	v_mul_f32_e32 v135, v6, v3
	s_wait_loadcnt_dscnt 0x1
	v_dual_mul_f32 v3, v7, v3 :: v_dual_mul_f32 v134, v20, v9
	v_fmac_f32_e32 v133, v5, v0
	v_fma_f32 v0, v4, v0, -v1
	v_dual_add_f32 v4, v129, v130 :: v_dual_add_f32 v5, v118, v128
	v_fmac_f32_e32 v135, v7, v2
	v_fma_f32 v1, v6, v2, -v3
	s_delay_alu instid0(VALU_DEP_3) | instskip(NEXT) | instid1(VALU_DEP_4)
	v_dual_mul_f32 v7, v21, v9 :: v_dual_add_f32 v0, v4, v0
	v_dual_add_f32 v4, v5, v133 :: v_dual_mul_f32 v127, v22, v11
	v_dual_mul_f32 v5, v23, v11 :: v_dual_fmac_f32 v134, v21, v8
	s_delay_alu instid0(VALU_DEP_3) | instskip(NEXT) | instid1(VALU_DEP_4)
	v_fma_f32 v7, v20, v8, -v7
	v_add_f32_e32 v0, v0, v1
	s_wait_dscnt 0x0
	v_dual_add_f32 v1, v4, v135 :: v_dual_mul_f32 v2, v119, v13
	v_dual_mul_f32 v4, v120, v13 :: v_dual_fmac_f32 v127, v23, v10
	v_fma_f32 v5, v22, v10, -v5
	s_delay_alu instid0(VALU_DEP_3) | instskip(SKIP_3) | instid1(VALU_DEP_4)
	v_dual_add_f32 v0, v0, v7 :: v_dual_add_f32 v1, v1, v134
	v_mul_f32_e32 v3, v121, v15
	v_dual_mul_f32 v7, v122, v15 :: v_dual_fmac_f32 v2, v120, v12
	v_fma_f32 v4, v119, v12, -v4
	v_dual_add_f32 v0, v0, v5 :: v_dual_add_f32 v1, v1, v127
	v_mul_f32_e32 v6, v123, v17
	v_mul_f32_e32 v5, v124, v17
	v_fmac_f32_e32 v3, v122, v14
	v_fma_f32 v7, v121, v14, -v7
	v_dual_add_f32 v0, v0, v4 :: v_dual_add_f32 v1, v1, v2
	v_mul_f32_e32 v9, v125, v19
	v_mul_f32_e32 v2, v126, v19
	v_fmac_f32_e32 v6, v124, v16
	v_fma_f32 v4, v123, v16, -v5
	v_add_f32_e32 v0, v0, v7
	v_add_f32_e32 v1, v1, v3
	v_fmac_f32_e32 v9, v126, v18
	v_fma_f32 v2, v125, v18, -v2
	s_delay_alu instid0(VALU_DEP_3) | instskip(NEXT) | instid1(VALU_DEP_1)
	v_dual_add_f32 v0, v0, v4 :: v_dual_add_f32 v1, v1, v6
	v_dual_add_f32 v0, v0, v2 :: v_dual_add_f32 v1, v1, v9
	s_delay_alu instid0(VALU_DEP_1)
	v_dual_sub_f32 v0, v131, v0 :: v_dual_sub_f32 v1, v132, v1
	scratch_store_b64 off, v[0:1], off
	s_wait_alu 0xfffe
	s_cbranch_vccz .LBB46_388
; %bb.296:
	v_mov_b32_e32 v0, 0
	global_load_b32 v1, v0, s[2:3] offset:180
	s_wait_loadcnt 0x0
	v_cmp_ne_u32_e32 vcc_lo, 46, v1
	s_cbranch_vccz .LBB46_298
; %bb.297:
	v_lshlrev_b32_e32 v1, 3, v1
	s_delay_alu instid0(VALU_DEP_1)
	v_mov_b32_e32 v5, v1
	scratch_load_b64 v[1:2], v5, off offset:-8
	scratch_load_b64 v[3:4], off, off offset:360
	s_wait_loadcnt 0x1
	scratch_store_b64 off, v[1:2], off offset:360
	s_wait_loadcnt 0x0
	scratch_store_b64 v5, v[3:4], off offset:-8
.LBB46_298:
	global_load_b32 v0, v0, s[2:3] offset:176
	s_wait_loadcnt 0x0
	v_cmp_eq_u32_e32 vcc_lo, 45, v0
	s_cbranch_vccnz .LBB46_300
; %bb.299:
	v_lshlrev_b32_e32 v0, 3, v0
	s_delay_alu instid0(VALU_DEP_1)
	v_mov_b32_e32 v4, v0
	scratch_load_b64 v[0:1], v4, off offset:-8
	scratch_load_b64 v[2:3], off, off offset:352
	s_wait_loadcnt 0x1
	scratch_store_b64 off, v[0:1], off offset:352
	s_wait_loadcnt 0x0
	scratch_store_b64 v4, v[2:3], off offset:-8
.LBB46_300:
	v_mov_b32_e32 v0, 0
	global_load_b32 v1, v0, s[2:3] offset:172
	s_wait_loadcnt 0x0
	v_cmp_eq_u32_e32 vcc_lo, 44, v1
	s_cbranch_vccnz .LBB46_302
; %bb.301:
	v_lshlrev_b32_e32 v1, 3, v1
	s_delay_alu instid0(VALU_DEP_1)
	v_mov_b32_e32 v5, v1
	scratch_load_b64 v[1:2], v5, off offset:-8
	scratch_load_b64 v[3:4], off, off offset:344
	s_wait_loadcnt 0x1
	scratch_store_b64 off, v[1:2], off offset:344
	s_wait_loadcnt 0x0
	scratch_store_b64 v5, v[3:4], off offset:-8
.LBB46_302:
	global_load_b32 v0, v0, s[2:3] offset:168
	s_wait_loadcnt 0x0
	v_cmp_eq_u32_e32 vcc_lo, 43, v0
	s_cbranch_vccnz .LBB46_304
; %bb.303:
	v_lshlrev_b32_e32 v0, 3, v0
	s_delay_alu instid0(VALU_DEP_1)
	v_mov_b32_e32 v4, v0
	scratch_load_b64 v[0:1], v4, off offset:-8
	scratch_load_b64 v[2:3], off, off offset:336
	s_wait_loadcnt 0x1
	scratch_store_b64 off, v[0:1], off offset:336
	s_wait_loadcnt 0x0
	scratch_store_b64 v4, v[2:3], off offset:-8
.LBB46_304:
	v_mov_b32_e32 v0, 0
	global_load_b32 v1, v0, s[2:3] offset:164
	s_wait_loadcnt 0x0
	v_cmp_eq_u32_e32 vcc_lo, 42, v1
	s_cbranch_vccnz .LBB46_306
; %bb.305:
	v_lshlrev_b32_e32 v1, 3, v1
	s_delay_alu instid0(VALU_DEP_1)
	v_mov_b32_e32 v5, v1
	scratch_load_b64 v[1:2], v5, off offset:-8
	scratch_load_b64 v[3:4], off, off offset:328
	s_wait_loadcnt 0x1
	scratch_store_b64 off, v[1:2], off offset:328
	s_wait_loadcnt 0x0
	scratch_store_b64 v5, v[3:4], off offset:-8
.LBB46_306:
	;; [unrolled: 31-line block ×22, first 2 shown]
	global_load_b32 v0, v0, s[2:3]
	s_wait_loadcnt 0x0
	v_cmp_eq_u32_e32 vcc_lo, 1, v0
	s_cbranch_vccnz .LBB46_388
; %bb.387:
	v_lshlrev_b32_e32 v0, 3, v0
	s_delay_alu instid0(VALU_DEP_1)
	v_mov_b32_e32 v4, v0
	scratch_load_b64 v[0:1], v4, off offset:-8
	scratch_load_b64 v[2:3], off, off
	s_wait_loadcnt 0x1
	scratch_store_b64 off, v[0:1], off
	s_wait_loadcnt 0x0
	scratch_store_b64 v4, v[2:3], off offset:-8
.LBB46_388:
	s_clause 0x17
	scratch_load_b128 v[0:3], off, off
	scratch_load_b128 v[4:7], off, off offset:16
	scratch_load_b128 v[8:11], off, off offset:32
	;; [unrolled: 1-line block ×22, first 2 shown]
	scratch_load_b64 v[186:187], off, off offset:368
	s_wait_loadcnt 0x17
	s_clause 0x1
	global_store_b64 v[24:25], v[0:1], off
	global_store_b64 v[26:27], v[2:3], off
	s_wait_loadcnt 0x16
	s_clause 0x1
	global_store_b64 v[28:29], v[4:5], off
	global_store_b64 v[30:31], v[6:7], off
	;; [unrolled: 4-line block ×23, first 2 shown]
	s_wait_loadcnt 0x0
	global_store_b64 v[116:117], v[186:187], off
	s_nop 0
	s_sendmsg sendmsg(MSG_DEALLOC_VGPRS)
	s_endpgm
	.section	.rodata,"a",@progbits
	.p2align	6, 0x0
	.amdhsa_kernel _ZN9rocsolver6v33100L18getri_kernel_smallILi47E19rocblas_complex_numIfEPS3_EEvT1_iilPiilS6_bb
		.amdhsa_group_segment_fixed_size 760
		.amdhsa_private_segment_fixed_size 384
		.amdhsa_kernarg_size 60
		.amdhsa_user_sgpr_count 2
		.amdhsa_user_sgpr_dispatch_ptr 0
		.amdhsa_user_sgpr_queue_ptr 0
		.amdhsa_user_sgpr_kernarg_segment_ptr 1
		.amdhsa_user_sgpr_dispatch_id 0
		.amdhsa_user_sgpr_private_segment_size 0
		.amdhsa_wavefront_size32 1
		.amdhsa_uses_dynamic_stack 0
		.amdhsa_enable_private_segment 1
		.amdhsa_system_sgpr_workgroup_id_x 1
		.amdhsa_system_sgpr_workgroup_id_y 0
		.amdhsa_system_sgpr_workgroup_id_z 0
		.amdhsa_system_sgpr_workgroup_info 0
		.amdhsa_system_vgpr_workitem_id 0
		.amdhsa_next_free_vgpr 254
		.amdhsa_next_free_sgpr 19
		.amdhsa_reserve_vcc 1
		.amdhsa_float_round_mode_32 0
		.amdhsa_float_round_mode_16_64 0
		.amdhsa_float_denorm_mode_32 3
		.amdhsa_float_denorm_mode_16_64 3
		.amdhsa_fp16_overflow 0
		.amdhsa_workgroup_processor_mode 1
		.amdhsa_memory_ordered 1
		.amdhsa_forward_progress 1
		.amdhsa_inst_pref_size 255
		.amdhsa_round_robin_scheduling 0
		.amdhsa_exception_fp_ieee_invalid_op 0
		.amdhsa_exception_fp_denorm_src 0
		.amdhsa_exception_fp_ieee_div_zero 0
		.amdhsa_exception_fp_ieee_overflow 0
		.amdhsa_exception_fp_ieee_underflow 0
		.amdhsa_exception_fp_ieee_inexact 0
		.amdhsa_exception_int_div_zero 0
	.end_amdhsa_kernel
	.section	.text._ZN9rocsolver6v33100L18getri_kernel_smallILi47E19rocblas_complex_numIfEPS3_EEvT1_iilPiilS6_bb,"axG",@progbits,_ZN9rocsolver6v33100L18getri_kernel_smallILi47E19rocblas_complex_numIfEPS3_EEvT1_iilPiilS6_bb,comdat
.Lfunc_end46:
	.size	_ZN9rocsolver6v33100L18getri_kernel_smallILi47E19rocblas_complex_numIfEPS3_EEvT1_iilPiilS6_bb, .Lfunc_end46-_ZN9rocsolver6v33100L18getri_kernel_smallILi47E19rocblas_complex_numIfEPS3_EEvT1_iilPiilS6_bb
                                        ; -- End function
	.set _ZN9rocsolver6v33100L18getri_kernel_smallILi47E19rocblas_complex_numIfEPS3_EEvT1_iilPiilS6_bb.num_vgpr, 254
	.set _ZN9rocsolver6v33100L18getri_kernel_smallILi47E19rocblas_complex_numIfEPS3_EEvT1_iilPiilS6_bb.num_agpr, 0
	.set _ZN9rocsolver6v33100L18getri_kernel_smallILi47E19rocblas_complex_numIfEPS3_EEvT1_iilPiilS6_bb.numbered_sgpr, 19
	.set _ZN9rocsolver6v33100L18getri_kernel_smallILi47E19rocblas_complex_numIfEPS3_EEvT1_iilPiilS6_bb.num_named_barrier, 0
	.set _ZN9rocsolver6v33100L18getri_kernel_smallILi47E19rocblas_complex_numIfEPS3_EEvT1_iilPiilS6_bb.private_seg_size, 384
	.set _ZN9rocsolver6v33100L18getri_kernel_smallILi47E19rocblas_complex_numIfEPS3_EEvT1_iilPiilS6_bb.uses_vcc, 1
	.set _ZN9rocsolver6v33100L18getri_kernel_smallILi47E19rocblas_complex_numIfEPS3_EEvT1_iilPiilS6_bb.uses_flat_scratch, 1
	.set _ZN9rocsolver6v33100L18getri_kernel_smallILi47E19rocblas_complex_numIfEPS3_EEvT1_iilPiilS6_bb.has_dyn_sized_stack, 0
	.set _ZN9rocsolver6v33100L18getri_kernel_smallILi47E19rocblas_complex_numIfEPS3_EEvT1_iilPiilS6_bb.has_recursion, 0
	.set _ZN9rocsolver6v33100L18getri_kernel_smallILi47E19rocblas_complex_numIfEPS3_EEvT1_iilPiilS6_bb.has_indirect_call, 0
	.section	.AMDGPU.csdata,"",@progbits
; Kernel info:
; codeLenInByte = 76244
; TotalNumSgprs: 21
; NumVgprs: 254
; ScratchSize: 384
; MemoryBound: 0
; FloatMode: 240
; IeeeMode: 1
; LDSByteSize: 760 bytes/workgroup (compile time only)
; SGPRBlocks: 0
; VGPRBlocks: 31
; NumSGPRsForWavesPerEU: 21
; NumVGPRsForWavesPerEU: 254
; Occupancy: 5
; WaveLimiterHint : 1
; COMPUTE_PGM_RSRC2:SCRATCH_EN: 1
; COMPUTE_PGM_RSRC2:USER_SGPR: 2
; COMPUTE_PGM_RSRC2:TRAP_HANDLER: 0
; COMPUTE_PGM_RSRC2:TGID_X_EN: 1
; COMPUTE_PGM_RSRC2:TGID_Y_EN: 0
; COMPUTE_PGM_RSRC2:TGID_Z_EN: 0
; COMPUTE_PGM_RSRC2:TIDIG_COMP_CNT: 0
	.section	.text._ZN9rocsolver6v33100L18getri_kernel_smallILi48E19rocblas_complex_numIfEPS3_EEvT1_iilPiilS6_bb,"axG",@progbits,_ZN9rocsolver6v33100L18getri_kernel_smallILi48E19rocblas_complex_numIfEPS3_EEvT1_iilPiilS6_bb,comdat
	.globl	_ZN9rocsolver6v33100L18getri_kernel_smallILi48E19rocblas_complex_numIfEPS3_EEvT1_iilPiilS6_bb ; -- Begin function _ZN9rocsolver6v33100L18getri_kernel_smallILi48E19rocblas_complex_numIfEPS3_EEvT1_iilPiilS6_bb
	.p2align	8
	.type	_ZN9rocsolver6v33100L18getri_kernel_smallILi48E19rocblas_complex_numIfEPS3_EEvT1_iilPiilS6_bb,@function
_ZN9rocsolver6v33100L18getri_kernel_smallILi48E19rocblas_complex_numIfEPS3_EEvT1_iilPiilS6_bb: ; @_ZN9rocsolver6v33100L18getri_kernel_smallILi48E19rocblas_complex_numIfEPS3_EEvT1_iilPiilS6_bb
; %bb.0:
	s_mov_b32 s2, exec_lo
	v_cmpx_gt_u32_e32 48, v0
	s_cbranch_execz .LBB47_206
; %bb.1:
	s_clause 0x2
	s_load_b32 s2, s[0:1], 0x38
	s_load_b128 s[12:15], s[0:1], 0x10
	s_load_b128 s[4:7], s[0:1], 0x28
	s_mov_b32 s16, ttmp9
	s_wait_kmcnt 0x0
	s_bitcmp1_b32 s2, 8
	s_cselect_b32 s18, -1, 0
	s_bfe_u32 s2, s2, 0x10008
	s_ashr_i32 s17, ttmp9, 31
	s_cmp_eq_u32 s2, 0
                                        ; implicit-def: $sgpr2_sgpr3
	s_cbranch_scc1 .LBB47_3
; %bb.2:
	s_load_b32 s2, s[0:1], 0x20
	s_mul_u64 s[4:5], s[4:5], s[16:17]
	s_delay_alu instid0(SALU_CYCLE_1) | instskip(NEXT) | instid1(SALU_CYCLE_1)
	s_lshl_b64 s[4:5], s[4:5], 2
	s_add_nc_u64 s[4:5], s[14:15], s[4:5]
	s_wait_kmcnt 0x0
	s_ashr_i32 s3, s2, 31
	s_delay_alu instid0(SALU_CYCLE_1) | instskip(NEXT) | instid1(SALU_CYCLE_1)
	s_lshl_b64 s[2:3], s[2:3], 2
	s_add_nc_u64 s[2:3], s[4:5], s[2:3]
.LBB47_3:
	s_clause 0x1
	s_load_b128 s[8:11], s[0:1], 0x0
	s_load_b32 s4, s[0:1], 0x38
	s_mul_u64 s[0:1], s[12:13], s[16:17]
	v_lshlrev_b32_e32 v13, 3, v0
	s_lshl_b64 s[0:1], s[0:1], 3
	s_wait_kmcnt 0x0
	v_add3_u32 v3, s11, s11, v0
	s_ashr_i32 s13, s10, 31
	s_mov_b32 s12, s10
	s_add_nc_u64 s[0:1], s[8:9], s[0:1]
	s_lshl_b64 s[12:13], s[12:13], 3
	v_add_nc_u32_e32 v5, s11, v3
	v_ashrrev_i32_e32 v4, 31, v3
	s_add_nc_u64 s[0:1], s[0:1], s[12:13]
	s_ashr_i32 s9, s11, 31
	v_add_co_u32 v28, s5, s0, v13
	v_add_nc_u32_e32 v7, s11, v5
	s_mov_b32 s8, s11
	v_lshlrev_b64_e32 v[3:4], 3, v[3:4]
	v_add_co_ci_u32_e64 v29, null, s1, 0, s5
	s_delay_alu instid0(VALU_DEP_3) | instskip(SKIP_3) | instid1(VALU_DEP_1)
	v_add_nc_u32_e32 v9, s11, v7
	s_lshl_b64 s[8:9], s[8:9], 3
	v_ashrrev_i32_e32 v6, 31, v5
	v_add_co_u32 v30, vcc_lo, v28, s8
	v_add_co_ci_u32_e64 v31, null, s9, v29, vcc_lo
	v_add_co_u32 v32, vcc_lo, s0, v3
	v_add_nc_u32_e32 v3, s11, v9
	v_lshlrev_b64_e32 v[5:6], 3, v[5:6]
	v_ashrrev_i32_e32 v8, 31, v7
	v_ashrrev_i32_e32 v10, 31, v9
	s_wait_alu 0xfffd
	v_add_co_ci_u32_e64 v33, null, s1, v4, vcc_lo
	v_add_nc_u32_e32 v11, s11, v3
	v_ashrrev_i32_e32 v4, 31, v3
	v_lshlrev_b64_e32 v[7:8], 3, v[7:8]
	v_add_co_u32 v34, vcc_lo, s0, v5
	s_wait_alu 0xfffd
	v_add_co_ci_u32_e64 v35, null, s1, v6, vcc_lo
	v_lshlrev_b64_e32 v[5:6], 3, v[9:10]
	v_add_nc_u32_e32 v16, s11, v11
	v_lshlrev_b64_e32 v[14:15], 3, v[3:4]
	v_ashrrev_i32_e32 v12, 31, v11
	v_add_co_u32 v36, vcc_lo, s0, v7
	s_delay_alu instid0(VALU_DEP_4)
	v_ashrrev_i32_e32 v17, 31, v16
	v_add_nc_u32_e32 v18, s11, v16
	s_wait_alu 0xfffd
	v_add_co_ci_u32_e64 v37, null, s1, v8, vcc_lo
	v_add_co_u32 v38, vcc_lo, s0, v5
	v_lshlrev_b64_e32 v[11:12], 3, v[11:12]
	s_wait_alu 0xfffd
	v_add_co_ci_u32_e64 v39, null, s1, v6, vcc_lo
	v_add_co_u32 v40, vcc_lo, s0, v14
	s_wait_alu 0xfffd
	v_add_co_ci_u32_e64 v41, null, s1, v15, vcc_lo
	v_lshlrev_b64_e32 v[14:15], 3, v[16:17]
	v_ashrrev_i32_e32 v19, 31, v18
	v_add_nc_u32_e32 v16, s11, v18
	v_add_co_u32 v42, vcc_lo, s0, v11
	s_wait_alu 0xfffd
	v_add_co_ci_u32_e64 v43, null, s1, v12, vcc_lo
	v_lshlrev_b64_e32 v[11:12], 3, v[18:19]
	v_ashrrev_i32_e32 v17, 31, v16
	v_add_nc_u32_e32 v18, s11, v16
	v_add_co_u32 v44, vcc_lo, s0, v14
	s_wait_alu 0xfffd
	v_add_co_ci_u32_e64 v45, null, s1, v15, vcc_lo
	v_lshlrev_b64_e32 v[14:15], 3, v[16:17]
	v_ashrrev_i32_e32 v19, 31, v18
	v_add_nc_u32_e32 v16, s11, v18
	v_add_co_u32 v46, vcc_lo, s0, v11
	s_wait_alu 0xfffd
	v_add_co_ci_u32_e64 v47, null, s1, v12, vcc_lo
	v_lshlrev_b64_e32 v[11:12], 3, v[18:19]
	v_ashrrev_i32_e32 v17, 31, v16
	v_add_nc_u32_e32 v18, s11, v16
	v_add_co_u32 v48, vcc_lo, s0, v14
	s_wait_alu 0xfffd
	v_add_co_ci_u32_e64 v49, null, s1, v15, vcc_lo
	v_lshlrev_b64_e32 v[14:15], 3, v[16:17]
	v_ashrrev_i32_e32 v19, 31, v18
	v_add_nc_u32_e32 v16, s11, v18
	v_add_co_u32 v50, vcc_lo, s0, v11
	s_wait_alu 0xfffd
	v_add_co_ci_u32_e64 v51, null, s1, v12, vcc_lo
	v_lshlrev_b64_e32 v[11:12], 3, v[18:19]
	v_ashrrev_i32_e32 v17, 31, v16
	v_add_nc_u32_e32 v18, s11, v16
	v_add_co_u32 v52, vcc_lo, s0, v14
	s_wait_alu 0xfffd
	v_add_co_ci_u32_e64 v53, null, s1, v15, vcc_lo
	v_lshlrev_b64_e32 v[14:15], 3, v[16:17]
	v_ashrrev_i32_e32 v19, 31, v18
	v_add_nc_u32_e32 v16, s11, v18
	v_add_co_u32 v54, vcc_lo, s0, v11
	s_wait_alu 0xfffd
	v_add_co_ci_u32_e64 v55, null, s1, v12, vcc_lo
	v_lshlrev_b64_e32 v[11:12], 3, v[18:19]
	v_ashrrev_i32_e32 v17, 31, v16
	v_add_nc_u32_e32 v18, s11, v16
	v_add_co_u32 v56, vcc_lo, s0, v14
	s_wait_alu 0xfffd
	v_add_co_ci_u32_e64 v57, null, s1, v15, vcc_lo
	v_lshlrev_b64_e32 v[14:15], 3, v[16:17]
	v_ashrrev_i32_e32 v19, 31, v18
	v_add_nc_u32_e32 v16, s11, v18
	v_add_co_u32 v58, vcc_lo, s0, v11
	s_wait_alu 0xfffd
	v_add_co_ci_u32_e64 v59, null, s1, v12, vcc_lo
	v_lshlrev_b64_e32 v[11:12], 3, v[18:19]
	v_ashrrev_i32_e32 v17, 31, v16
	v_add_nc_u32_e32 v18, s11, v16
	v_add_co_u32 v60, vcc_lo, s0, v14
	s_wait_alu 0xfffd
	v_add_co_ci_u32_e64 v61, null, s1, v15, vcc_lo
	v_lshlrev_b64_e32 v[14:15], 3, v[16:17]
	v_ashrrev_i32_e32 v19, 31, v18
	v_add_nc_u32_e32 v16, s11, v18
	v_add_co_u32 v62, vcc_lo, s0, v11
	s_wait_alu 0xfffd
	v_add_co_ci_u32_e64 v63, null, s1, v12, vcc_lo
	v_lshlrev_b64_e32 v[11:12], 3, v[18:19]
	v_ashrrev_i32_e32 v17, 31, v16
	v_add_nc_u32_e32 v18, s11, v16
	v_add_co_u32 v64, vcc_lo, s0, v14
	s_wait_alu 0xfffd
	v_add_co_ci_u32_e64 v65, null, s1, v15, vcc_lo
	v_lshlrev_b64_e32 v[14:15], 3, v[16:17]
	v_ashrrev_i32_e32 v19, 31, v18
	v_add_nc_u32_e32 v16, s11, v18
	v_add_co_u32 v66, vcc_lo, s0, v11
	s_wait_alu 0xfffd
	v_add_co_ci_u32_e64 v67, null, s1, v12, vcc_lo
	v_lshlrev_b64_e32 v[11:12], 3, v[18:19]
	v_ashrrev_i32_e32 v17, 31, v16
	v_add_nc_u32_e32 v18, s11, v16
	v_add_co_u32 v68, vcc_lo, s0, v14
	s_wait_alu 0xfffd
	v_add_co_ci_u32_e64 v69, null, s1, v15, vcc_lo
	v_lshlrev_b64_e32 v[14:15], 3, v[16:17]
	v_ashrrev_i32_e32 v19, 31, v18
	v_add_nc_u32_e32 v16, s11, v18
	v_add_co_u32 v70, vcc_lo, s0, v11
	s_wait_alu 0xfffd
	v_add_co_ci_u32_e64 v71, null, s1, v12, vcc_lo
	v_lshlrev_b64_e32 v[11:12], 3, v[18:19]
	v_ashrrev_i32_e32 v17, 31, v16
	v_add_nc_u32_e32 v18, s11, v16
	v_add_co_u32 v72, vcc_lo, s0, v14
	s_wait_alu 0xfffd
	v_add_co_ci_u32_e64 v73, null, s1, v15, vcc_lo
	v_lshlrev_b64_e32 v[14:15], 3, v[16:17]
	v_ashrrev_i32_e32 v19, 31, v18
	v_add_nc_u32_e32 v16, s11, v18
	v_add_co_u32 v74, vcc_lo, s0, v11
	s_wait_alu 0xfffd
	v_add_co_ci_u32_e64 v75, null, s1, v12, vcc_lo
	v_lshlrev_b64_e32 v[11:12], 3, v[18:19]
	v_ashrrev_i32_e32 v17, 31, v16
	v_add_nc_u32_e32 v18, s11, v16
	v_add_co_u32 v76, vcc_lo, s0, v14
	s_wait_alu 0xfffd
	v_add_co_ci_u32_e64 v77, null, s1, v15, vcc_lo
	v_lshlrev_b64_e32 v[14:15], 3, v[16:17]
	v_ashrrev_i32_e32 v19, 31, v18
	v_add_nc_u32_e32 v16, s11, v18
	v_add_co_u32 v78, vcc_lo, s0, v11
	s_wait_alu 0xfffd
	v_add_co_ci_u32_e64 v79, null, s1, v12, vcc_lo
	v_lshlrev_b64_e32 v[11:12], 3, v[18:19]
	v_ashrrev_i32_e32 v17, 31, v16
	v_add_nc_u32_e32 v18, s11, v16
	v_add_co_u32 v80, vcc_lo, s0, v14
	s_wait_alu 0xfffd
	v_add_co_ci_u32_e64 v81, null, s1, v15, vcc_lo
	v_lshlrev_b64_e32 v[14:15], 3, v[16:17]
	v_ashrrev_i32_e32 v19, 31, v18
	v_add_nc_u32_e32 v16, s11, v18
	v_add_co_u32 v82, vcc_lo, s0, v11
	s_wait_alu 0xfffd
	v_add_co_ci_u32_e64 v83, null, s1, v12, vcc_lo
	v_lshlrev_b64_e32 v[11:12], 3, v[18:19]
	v_ashrrev_i32_e32 v17, 31, v16
	v_add_nc_u32_e32 v18, s11, v16
	v_add_co_u32 v84, vcc_lo, s0, v14
	s_wait_alu 0xfffd
	v_add_co_ci_u32_e64 v85, null, s1, v15, vcc_lo
	v_lshlrev_b64_e32 v[14:15], 3, v[16:17]
	v_ashrrev_i32_e32 v19, 31, v18
	v_add_nc_u32_e32 v16, s11, v18
	v_add_co_u32 v86, vcc_lo, s0, v11
	s_wait_alu 0xfffd
	v_add_co_ci_u32_e64 v87, null, s1, v12, vcc_lo
	v_lshlrev_b64_e32 v[11:12], 3, v[18:19]
	v_ashrrev_i32_e32 v17, 31, v16
	v_add_nc_u32_e32 v18, s11, v16
	v_add_co_u32 v88, vcc_lo, s0, v14
	s_wait_alu 0xfffd
	v_add_co_ci_u32_e64 v89, null, s1, v15, vcc_lo
	v_lshlrev_b64_e32 v[14:15], 3, v[16:17]
	v_add_nc_u32_e32 v16, s11, v18
	v_ashrrev_i32_e32 v19, 31, v18
	v_add_co_u32 v90, vcc_lo, s0, v11
	s_wait_alu 0xfffd
	v_add_co_ci_u32_e64 v91, null, s1, v12, vcc_lo
	v_add_nc_u32_e32 v26, s11, v16
	v_lshlrev_b64_e32 v[11:12], 3, v[18:19]
	v_add_co_u32 v92, vcc_lo, s0, v14
	s_wait_alu 0xfffd
	v_add_co_ci_u32_e64 v93, null, s1, v15, vcc_lo
	v_ashrrev_i32_e32 v27, 31, v26
	s_delay_alu instid0(VALU_DEP_4) | instskip(SKIP_2) | instid1(VALU_DEP_3)
	v_add_co_u32 v94, vcc_lo, s0, v11
	s_wait_alu 0xfffd
	v_add_co_ci_u32_e64 v95, null, s1, v12, vcc_lo
	v_lshlrev_b64_e32 v[11:12], 3, v[26:27]
	v_add_nc_u32_e32 v26, s11, v26
	v_ashrrev_i32_e32 v17, 31, v16
	s_clause 0x4
	global_load_b64 v[1:2], v13, s[0:1]
	global_load_b64 v[3:4], v[30:31], off
	global_load_b64 v[5:6], v[32:33], off
	;; [unrolled: 1-line block ×4, first 2 shown]
	s_bitcmp0_b32 s4, 0
	v_add_nc_u32_e32 v102, s11, v26
	v_ashrrev_i32_e32 v27, 31, v26
	v_lshlrev_b64_e32 v[14:15], 3, v[16:17]
	s_delay_alu instid0(VALU_DEP_3) | instskip(NEXT) | instid1(VALU_DEP_3)
	v_add_nc_u32_e32 v104, s11, v102
	v_lshlrev_b64_e32 v[26:27], 3, v[26:27]
	v_ashrrev_i32_e32 v103, 31, v102
	s_delay_alu instid0(VALU_DEP_4)
	v_add_co_u32 v96, vcc_lo, s0, v14
	s_wait_alu 0xfffd
	v_add_co_ci_u32_e64 v97, null, s1, v15, vcc_lo
	v_add_co_u32 v98, vcc_lo, s0, v11
	v_add_nc_u32_e32 v106, s11, v104
	s_wait_alu 0xfffd
	v_add_co_ci_u32_e64 v99, null, s1, v12, vcc_lo
	v_add_co_u32 v100, vcc_lo, s0, v26
	s_wait_alu 0xfffd
	v_add_co_ci_u32_e64 v101, null, s1, v27, vcc_lo
	v_lshlrev_b64_e32 v[26:27], 3, v[102:103]
	v_ashrrev_i32_e32 v105, 31, v104
	v_add_nc_u32_e32 v108, s11, v106
	v_ashrrev_i32_e32 v107, 31, v106
	s_clause 0x13
	global_load_b64 v[11:12], v[38:39], off
	global_load_b64 v[14:15], v[40:41], off
	;; [unrolled: 1-line block ×20, first 2 shown]
	v_lshlrev_b64_e32 v[104:105], 3, v[104:105]
	v_add_co_u32 v102, vcc_lo, s0, v26
	v_ashrrev_i32_e32 v109, 31, v108
	s_wait_alu 0xfffd
	v_add_co_ci_u32_e64 v103, null, s1, v27, vcc_lo
	v_lshlrev_b64_e32 v[26:27], 3, v[106:107]
	v_add_nc_u32_e32 v111, s11, v108
	v_lshlrev_b64_e32 v[109:110], 3, v[108:109]
	v_add_co_u32 v104, vcc_lo, s0, v104
	s_wait_alu 0xfffd
	v_add_co_ci_u32_e64 v105, null, s1, v105, vcc_lo
	v_add_co_u32 v106, vcc_lo, s0, v26
	v_ashrrev_i32_e32 v112, 31, v111
	v_add_nc_u32_e32 v26, s11, v111
	s_wait_alu 0xfffd
	v_add_co_ci_u32_e64 v107, null, s1, v27, vcc_lo
	v_add_co_u32 v108, vcc_lo, s0, v109
	s_wait_alu 0xfffd
	v_add_co_ci_u32_e64 v109, null, s1, v110, vcc_lo
	v_lshlrev_b64_e32 v[110:111], 3, v[111:112]
	v_add_nc_u32_e32 v112, s11, v26
	v_ashrrev_i32_e32 v27, 31, v26
	s_clause 0xb
	global_load_b64 v[150:151], v[78:79], off
	global_load_b64 v[152:153], v[80:81], off
	;; [unrolled: 1-line block ×12, first 2 shown]
	v_add_nc_u32_e32 v114, s11, v112
	v_lshlrev_b64_e32 v[26:27], 3, v[26:27]
	v_ashrrev_i32_e32 v113, 31, v112
	v_add_co_u32 v110, vcc_lo, s0, v110
	s_delay_alu instid0(VALU_DEP_4)
	v_add_nc_u32_e32 v118, s11, v114
	v_ashrrev_i32_e32 v115, 31, v114
	s_wait_alu 0xfffd
	v_add_co_ci_u32_e64 v111, null, s1, v111, vcc_lo
	v_lshlrev_b64_e32 v[116:117], 3, v[112:113]
	v_add_nc_u32_e32 v120, s11, v118
	v_add_co_u32 v112, vcc_lo, s0, v26
	s_wait_alu 0xfffd
	v_add_co_ci_u32_e64 v113, null, s1, v27, vcc_lo
	v_lshlrev_b64_e32 v[26:27], 3, v[114:115]
	v_add_nc_u32_e32 v122, s11, v120
	v_ashrrev_i32_e32 v119, 31, v118
	v_ashrrev_i32_e32 v121, 31, v120
	v_add_co_u32 v114, vcc_lo, s0, v116
	s_delay_alu instid0(VALU_DEP_4)
	v_ashrrev_i32_e32 v123, 31, v122
	s_wait_alu 0xfffd
	v_add_co_ci_u32_e64 v115, null, s1, v117, vcc_lo
	v_lshlrev_b64_e32 v[118:119], 3, v[118:119]
	v_add_co_u32 v116, vcc_lo, s0, v26
	s_wait_alu 0xfffd
	v_add_co_ci_u32_e64 v117, null, s1, v27, vcc_lo
	v_lshlrev_b64_e32 v[26:27], 3, v[120:121]
	v_lshlrev_b64_e32 v[122:123], 3, v[122:123]
	v_add_co_u32 v118, vcc_lo, s0, v118
	s_wait_alu 0xfffd
	v_add_co_ci_u32_e64 v119, null, s1, v119, vcc_lo
	s_delay_alu instid0(VALU_DEP_4)
	v_add_co_u32 v120, vcc_lo, s0, v26
	s_wait_alu 0xfffd
	v_add_co_ci_u32_e64 v121, null, s1, v27, vcc_lo
	v_add_co_u32 v122, vcc_lo, s0, v122
	s_clause 0x3
	global_load_b64 v[174:175], v[102:103], off
	global_load_b64 v[176:177], v[104:105], off
	global_load_b64 v[178:179], v[106:107], off
	global_load_b64 v[180:181], v[108:109], off
	s_wait_alu 0xfffd
	v_add_co_ci_u32_e64 v123, null, s1, v123, vcc_lo
	s_clause 0x6
	global_load_b64 v[182:183], v[110:111], off
	global_load_b64 v[184:185], v[112:113], off
	;; [unrolled: 1-line block ×7, first 2 shown]
	s_mov_b32 s1, -1
	s_wait_loadcnt 0x2e
	scratch_store_b128 off, v[1:4], off
	s_wait_loadcnt 0x2c
	scratch_store_b128 off, v[5:8], off offset:16
	s_wait_loadcnt 0x2a
	scratch_store_b128 off, v[9:12], off offset:32
	;; [unrolled: 2-line block ×23, first 2 shown]
	s_cbranch_scc1 .LBB47_204
; %bb.4:
	v_cmp_eq_u32_e64 s0, 0, v0
	s_and_saveexec_b32 s1, s0
; %bb.5:
	v_mov_b32_e32 v1, 0
	ds_store_b32 v1, v1 offset:768
; %bb.6:
	s_wait_alu 0xfffe
	s_or_b32 exec_lo, exec_lo, s1
	s_wait_storecnt_dscnt 0x0
	s_barrier_signal -1
	s_barrier_wait -1
	global_inv scope:SCOPE_SE
	scratch_load_b64 v[1:2], v13, off
	s_wait_loadcnt 0x0
	v_cmp_eq_f32_e32 vcc_lo, 0, v1
	v_cmp_eq_f32_e64 s1, 0, v2
	s_and_b32 s1, vcc_lo, s1
	s_wait_alu 0xfffe
	s_and_saveexec_b32 s4, s1
	s_cbranch_execz .LBB47_10
; %bb.7:
	v_mov_b32_e32 v1, 0
	s_mov_b32 s5, 0
	ds_load_b32 v2, v1 offset:768
	s_wait_dscnt 0x0
	v_readfirstlane_b32 s1, v2
	v_add_nc_u32_e32 v2, 1, v0
	s_cmp_eq_u32 s1, 0
	s_delay_alu instid0(VALU_DEP_1)
	v_cmp_gt_i32_e32 vcc_lo, s1, v2
	s_cselect_b32 s8, -1, 0
	s_wait_alu 0xfffe
	s_or_b32 s8, s8, vcc_lo
	s_wait_alu 0xfffe
	s_and_b32 exec_lo, exec_lo, s8
	s_cbranch_execz .LBB47_10
; %bb.8:
	v_mov_b32_e32 v3, s1
.LBB47_9:                               ; =>This Inner Loop Header: Depth=1
	ds_cmpstore_rtn_b32 v3, v1, v2, v3 offset:768
	s_wait_dscnt 0x0
	v_cmp_ne_u32_e32 vcc_lo, 0, v3
	v_cmp_le_i32_e64 s1, v3, v2
	s_and_b32 s1, vcc_lo, s1
	s_wait_alu 0xfffe
	s_and_b32 s1, exec_lo, s1
	s_wait_alu 0xfffe
	s_or_b32 s5, s1, s5
	s_wait_alu 0xfffe
	s_and_not1_b32 exec_lo, exec_lo, s5
	s_cbranch_execnz .LBB47_9
.LBB47_10:
	s_wait_alu 0xfffe
	s_or_b32 exec_lo, exec_lo, s4
	v_mov_b32_e32 v1, 0
	s_barrier_signal -1
	s_barrier_wait -1
	global_inv scope:SCOPE_SE
	ds_load_b32 v2, v1 offset:768
	s_and_saveexec_b32 s1, s0
	s_cbranch_execz .LBB47_12
; %bb.11:
	s_lshl_b64 s[4:5], s[16:17], 2
	s_wait_alu 0xfffe
	s_add_nc_u64 s[4:5], s[6:7], s[4:5]
	s_wait_dscnt 0x0
	global_store_b32 v1, v2, s[4:5]
.LBB47_12:
	s_wait_alu 0xfffe
	s_or_b32 exec_lo, exec_lo, s1
	s_wait_dscnt 0x0
	v_cmp_ne_u32_e32 vcc_lo, 0, v2
	s_mov_b32 s1, 0
	s_cbranch_vccnz .LBB47_204
; %bb.13:
	v_mov_b32_e32 v7, v13
                                        ; implicit-def: $vgpr3
                                        ; implicit-def: $vgpr5
	scratch_load_b64 v[1:2], v7, off
	s_wait_loadcnt 0x0
	v_cmp_ngt_f32_e64 s1, |v1|, |v2|
	s_wait_alu 0xfffe
	s_and_saveexec_b32 s4, s1
	s_wait_alu 0xfffe
	s_xor_b32 s1, exec_lo, s4
	s_cbranch_execz .LBB47_15
; %bb.14:
	v_div_scale_f32 v3, null, v2, v2, v1
	v_div_scale_f32 v6, vcc_lo, v1, v2, v1
	s_delay_alu instid0(VALU_DEP_2) | instskip(NEXT) | instid1(TRANS32_DEP_1)
	v_rcp_f32_e32 v4, v3
	v_fma_f32 v5, -v3, v4, 1.0
	s_delay_alu instid0(VALU_DEP_1) | instskip(NEXT) | instid1(VALU_DEP_1)
	v_fmac_f32_e32 v4, v5, v4
	v_mul_f32_e32 v5, v6, v4
	s_delay_alu instid0(VALU_DEP_1) | instskip(NEXT) | instid1(VALU_DEP_1)
	v_fma_f32 v8, -v3, v5, v6
	v_fmac_f32_e32 v5, v8, v4
	s_delay_alu instid0(VALU_DEP_1) | instskip(SKIP_1) | instid1(VALU_DEP_1)
	v_fma_f32 v3, -v3, v5, v6
	s_wait_alu 0xfffd
	v_div_fmas_f32 v3, v3, v4, v5
	s_delay_alu instid0(VALU_DEP_1) | instskip(NEXT) | instid1(VALU_DEP_1)
	v_div_fixup_f32 v3, v3, v2, v1
	v_fmac_f32_e32 v2, v1, v3
	s_delay_alu instid0(VALU_DEP_1) | instskip(NEXT) | instid1(VALU_DEP_1)
	v_div_scale_f32 v1, null, v2, v2, 1.0
	v_rcp_f32_e32 v4, v1
	s_delay_alu instid0(TRANS32_DEP_1) | instskip(NEXT) | instid1(VALU_DEP_1)
	v_fma_f32 v5, -v1, v4, 1.0
	v_fmac_f32_e32 v4, v5, v4
	v_div_scale_f32 v5, vcc_lo, 1.0, v2, 1.0
	s_delay_alu instid0(VALU_DEP_1) | instskip(NEXT) | instid1(VALU_DEP_1)
	v_mul_f32_e32 v6, v5, v4
	v_fma_f32 v8, -v1, v6, v5
	s_delay_alu instid0(VALU_DEP_1) | instskip(NEXT) | instid1(VALU_DEP_1)
	v_fmac_f32_e32 v6, v8, v4
	v_fma_f32 v1, -v1, v6, v5
	s_wait_alu 0xfffd
	s_delay_alu instid0(VALU_DEP_1) | instskip(NEXT) | instid1(VALU_DEP_1)
	v_div_fmas_f32 v1, v1, v4, v6
	v_div_fixup_f32 v1, v1, v2, 1.0
	s_delay_alu instid0(VALU_DEP_1) | instskip(SKIP_1) | instid1(VALU_DEP_2)
	v_mul_f32_e32 v3, v3, v1
	v_xor_b32_e32 v4, 0x80000000, v1
                                        ; implicit-def: $vgpr1_vgpr2
	v_xor_b32_e32 v5, 0x80000000, v3
.LBB47_15:
	s_wait_alu 0xfffe
	s_and_not1_saveexec_b32 s1, s1
	s_cbranch_execz .LBB47_17
; %bb.16:
	v_div_scale_f32 v3, null, v1, v1, v2
	v_div_scale_f32 v6, vcc_lo, v2, v1, v2
	s_delay_alu instid0(VALU_DEP_2) | instskip(NEXT) | instid1(TRANS32_DEP_1)
	v_rcp_f32_e32 v4, v3
	v_fma_f32 v5, -v3, v4, 1.0
	s_delay_alu instid0(VALU_DEP_1) | instskip(NEXT) | instid1(VALU_DEP_1)
	v_fmac_f32_e32 v4, v5, v4
	v_mul_f32_e32 v5, v6, v4
	s_delay_alu instid0(VALU_DEP_1) | instskip(NEXT) | instid1(VALU_DEP_1)
	v_fma_f32 v8, -v3, v5, v6
	v_fmac_f32_e32 v5, v8, v4
	s_delay_alu instid0(VALU_DEP_1) | instskip(SKIP_1) | instid1(VALU_DEP_1)
	v_fma_f32 v3, -v3, v5, v6
	s_wait_alu 0xfffd
	v_div_fmas_f32 v3, v3, v4, v5
	s_delay_alu instid0(VALU_DEP_1) | instskip(NEXT) | instid1(VALU_DEP_1)
	v_div_fixup_f32 v4, v3, v1, v2
	v_fmac_f32_e32 v1, v2, v4
	s_delay_alu instid0(VALU_DEP_1) | instskip(SKIP_1) | instid1(VALU_DEP_2)
	v_div_scale_f32 v2, null, v1, v1, 1.0
	v_div_scale_f32 v6, vcc_lo, 1.0, v1, 1.0
	v_rcp_f32_e32 v3, v2
	s_delay_alu instid0(TRANS32_DEP_1) | instskip(NEXT) | instid1(VALU_DEP_1)
	v_fma_f32 v5, -v2, v3, 1.0
	v_fmac_f32_e32 v3, v5, v3
	s_delay_alu instid0(VALU_DEP_1) | instskip(NEXT) | instid1(VALU_DEP_1)
	v_mul_f32_e32 v5, v6, v3
	v_fma_f32 v8, -v2, v5, v6
	s_delay_alu instid0(VALU_DEP_1) | instskip(NEXT) | instid1(VALU_DEP_1)
	v_fmac_f32_e32 v5, v8, v3
	v_fma_f32 v2, -v2, v5, v6
	s_wait_alu 0xfffd
	s_delay_alu instid0(VALU_DEP_1) | instskip(NEXT) | instid1(VALU_DEP_1)
	v_div_fmas_f32 v2, v2, v3, v5
	v_div_fixup_f32 v3, v2, v1, 1.0
	s_delay_alu instid0(VALU_DEP_1)
	v_xor_b32_e32 v5, 0x80000000, v3
	v_mul_f32_e64 v4, v4, -v3
.LBB47_17:
	s_wait_alu 0xfffe
	s_or_b32 exec_lo, exec_lo, s1
	scratch_store_b64 v7, v[3:4], off
	scratch_load_b64 v[2:3], off, off offset:8
	v_xor_b32_e32 v6, 0x80000000, v4
	v_add_nc_u32_e32 v1, 0x180, v13
	s_wait_loadcnt 0x0
	ds_store_2addr_b64 v13, v[5:6], v[2:3] offset1:48
	s_wait_storecnt_dscnt 0x0
	s_barrier_signal -1
	s_barrier_wait -1
	global_inv scope:SCOPE_SE
	s_and_saveexec_b32 s1, s0
	s_cbranch_execz .LBB47_19
; %bb.18:
	scratch_load_b64 v[2:3], v7, off
	ds_load_b64 v[4:5], v1
	v_mov_b32_e32 v6, 0
	ds_load_b64 v[8:9], v6 offset:8
	s_wait_loadcnt_dscnt 0x1
	v_mul_f32_e32 v6, v4, v3
	v_mul_f32_e32 v3, v5, v3
	s_delay_alu instid0(VALU_DEP_2) | instskip(NEXT) | instid1(VALU_DEP_2)
	v_fmac_f32_e32 v6, v5, v2
	v_fma_f32 v2, v4, v2, -v3
	s_delay_alu instid0(VALU_DEP_2) | instskip(SKIP_1) | instid1(VALU_DEP_1)
	v_add_f32_e32 v4, 0, v6
	s_wait_dscnt 0x0
	v_dual_add_f32 v2, 0, v2 :: v_dual_mul_f32 v5, v4, v9
	s_delay_alu instid0(VALU_DEP_1) | instskip(NEXT) | instid1(VALU_DEP_1)
	v_mul_f32_e32 v3, v2, v9
	v_fmac_f32_e32 v3, v4, v8
	s_delay_alu instid0(VALU_DEP_3)
	v_fma_f32 v2, v2, v8, -v5
	scratch_store_b64 off, v[2:3], off offset:8
.LBB47_19:
	s_wait_alu 0xfffe
	s_or_b32 exec_lo, exec_lo, s1
	s_wait_loadcnt 0x0
	s_wait_storecnt 0x0
	s_barrier_signal -1
	s_barrier_wait -1
	global_inv scope:SCOPE_SE
	scratch_load_b64 v[2:3], off, off offset:16
	s_mov_b32 s1, exec_lo
	s_wait_loadcnt 0x0
	ds_store_b64 v1, v[2:3]
	s_wait_dscnt 0x0
	s_barrier_signal -1
	s_barrier_wait -1
	global_inv scope:SCOPE_SE
	v_cmpx_gt_u32_e32 2, v0
	s_cbranch_execz .LBB47_23
; %bb.20:
	scratch_load_b64 v[2:3], v7, off
	ds_load_b64 v[4:5], v1
	s_wait_loadcnt_dscnt 0x0
	v_mul_f32_e32 v6, v5, v3
	v_mul_f32_e32 v8, v4, v3
	s_delay_alu instid0(VALU_DEP_2) | instskip(NEXT) | instid1(VALU_DEP_1)
	v_fma_f32 v3, v4, v2, -v6
	v_dual_fmac_f32 v8, v5, v2 :: v_dual_add_f32 v3, 0, v3
	s_delay_alu instid0(VALU_DEP_1)
	v_add_f32_e32 v2, 0, v8
	s_and_saveexec_b32 s4, s0
	s_cbranch_execz .LBB47_22
; %bb.21:
	scratch_load_b64 v[4:5], off, off offset:8
	v_mov_b32_e32 v6, 0
	ds_load_b64 v[8:9], v6 offset:392
	s_wait_loadcnt_dscnt 0x0
	v_mul_f32_e32 v6, v8, v5
	v_mul_f32_e32 v5, v9, v5
	s_delay_alu instid0(VALU_DEP_2) | instskip(NEXT) | instid1(VALU_DEP_2)
	v_fmac_f32_e32 v6, v9, v4
	v_fma_f32 v4, v8, v4, -v5
	s_delay_alu instid0(VALU_DEP_1)
	v_dual_add_f32 v2, v2, v6 :: v_dual_add_f32 v3, v3, v4
.LBB47_22:
	s_wait_alu 0xfffe
	s_or_b32 exec_lo, exec_lo, s4
	v_mov_b32_e32 v4, 0
	ds_load_b64 v[4:5], v4 offset:16
	s_wait_dscnt 0x0
	v_mul_f32_e32 v8, v2, v5
	v_mul_f32_e32 v6, v3, v5
	s_delay_alu instid0(VALU_DEP_2) | instskip(NEXT) | instid1(VALU_DEP_2)
	v_fma_f32 v5, v3, v4, -v8
	v_fmac_f32_e32 v6, v2, v4
	scratch_store_b64 off, v[5:6], off offset:16
.LBB47_23:
	s_wait_alu 0xfffe
	s_or_b32 exec_lo, exec_lo, s1
	s_wait_loadcnt 0x0
	s_wait_storecnt 0x0
	s_barrier_signal -1
	s_barrier_wait -1
	global_inv scope:SCOPE_SE
	scratch_load_b64 v[3:4], off, off offset:24
	v_add_nc_u32_e32 v2, -1, v0
	s_mov_b32 s0, exec_lo
	s_wait_loadcnt 0x0
	ds_store_b64 v1, v[3:4]
	s_wait_dscnt 0x0
	s_barrier_signal -1
	s_barrier_wait -1
	global_inv scope:SCOPE_SE
	v_cmpx_gt_u32_e32 3, v0
	s_cbranch_execz .LBB47_27
; %bb.24:
	v_dual_mov_b32 v3, 0 :: v_dual_add_nc_u32 v4, -1, v0
	v_dual_mov_b32 v6, v13 :: v_dual_add_nc_u32 v5, 0x180, v13
	v_mov_b32_e32 v8, 0
	s_mov_b32 s1, 0
.LBB47_25:                              ; =>This Inner Loop Header: Depth=1
	scratch_load_b64 v[9:10], v6, off
	ds_load_b64 v[11:12], v5
	v_add_nc_u32_e32 v6, 8, v6
	s_wait_loadcnt_dscnt 0x0
	v_dual_mul_f32 v14, v12, v10 :: v_dual_add_nc_u32 v5, 8, v5
	v_mul_f32_e32 v10, v11, v10
	s_delay_alu instid0(VALU_DEP_2) | instskip(NEXT) | instid1(VALU_DEP_2)
	v_fma_f32 v11, v11, v9, -v14
	v_fmac_f32_e32 v10, v12, v9
	v_add_nc_u32_e32 v4, 1, v4
	s_delay_alu instid0(VALU_DEP_2) | instskip(NEXT) | instid1(VALU_DEP_2)
	v_dual_add_f32 v8, v8, v11 :: v_dual_add_f32 v3, v3, v10
	v_cmp_lt_u32_e32 vcc_lo, 1, v4
	s_wait_alu 0xfffe
	s_or_b32 s1, vcc_lo, s1
	s_wait_alu 0xfffe
	s_and_not1_b32 exec_lo, exec_lo, s1
	s_cbranch_execnz .LBB47_25
; %bb.26:
	s_or_b32 exec_lo, exec_lo, s1
	v_mov_b32_e32 v4, 0
	ds_load_b64 v[4:5], v4 offset:24
	s_wait_dscnt 0x0
	v_mul_f32_e32 v9, v3, v5
	v_mul_f32_e32 v6, v8, v5
	s_delay_alu instid0(VALU_DEP_2) | instskip(NEXT) | instid1(VALU_DEP_2)
	v_fma_f32 v5, v8, v4, -v9
	v_fmac_f32_e32 v6, v3, v4
	scratch_store_b64 off, v[5:6], off offset:24
.LBB47_27:
	s_wait_alu 0xfffe
	s_or_b32 exec_lo, exec_lo, s0
	s_wait_loadcnt 0x0
	s_wait_storecnt 0x0
	s_barrier_signal -1
	s_barrier_wait -1
	global_inv scope:SCOPE_SE
	scratch_load_b64 v[3:4], off, off offset:32
	s_mov_b32 s0, exec_lo
	s_wait_loadcnt 0x0
	ds_store_b64 v1, v[3:4]
	s_wait_dscnt 0x0
	s_barrier_signal -1
	s_barrier_wait -1
	global_inv scope:SCOPE_SE
	v_cmpx_gt_u32_e32 4, v0
	s_cbranch_execz .LBB47_31
; %bb.28:
	v_dual_mov_b32 v3, 0 :: v_dual_add_nc_u32 v4, -1, v0
	v_dual_mov_b32 v6, v13 :: v_dual_add_nc_u32 v5, 0x180, v13
	v_mov_b32_e32 v8, 0
	s_mov_b32 s1, 0
.LBB47_29:                              ; =>This Inner Loop Header: Depth=1
	scratch_load_b64 v[9:10], v6, off
	ds_load_b64 v[11:12], v5
	v_add_nc_u32_e32 v6, 8, v6
	s_wait_loadcnt_dscnt 0x0
	v_dual_mul_f32 v14, v12, v10 :: v_dual_add_nc_u32 v5, 8, v5
	v_mul_f32_e32 v10, v11, v10
	s_delay_alu instid0(VALU_DEP_2) | instskip(NEXT) | instid1(VALU_DEP_2)
	v_fma_f32 v11, v11, v9, -v14
	v_fmac_f32_e32 v10, v12, v9
	v_add_nc_u32_e32 v4, 1, v4
	s_delay_alu instid0(VALU_DEP_2) | instskip(NEXT) | instid1(VALU_DEP_2)
	v_dual_add_f32 v8, v8, v11 :: v_dual_add_f32 v3, v3, v10
	v_cmp_lt_u32_e32 vcc_lo, 2, v4
	s_wait_alu 0xfffe
	s_or_b32 s1, vcc_lo, s1
	s_wait_alu 0xfffe
	s_and_not1_b32 exec_lo, exec_lo, s1
	s_cbranch_execnz .LBB47_29
; %bb.30:
	s_or_b32 exec_lo, exec_lo, s1
	v_mov_b32_e32 v4, 0
	ds_load_b64 v[4:5], v4 offset:32
	s_wait_dscnt 0x0
	v_mul_f32_e32 v9, v3, v5
	v_mul_f32_e32 v6, v8, v5
	s_delay_alu instid0(VALU_DEP_2) | instskip(NEXT) | instid1(VALU_DEP_2)
	v_fma_f32 v5, v8, v4, -v9
	v_fmac_f32_e32 v6, v3, v4
	scratch_store_b64 off, v[5:6], off offset:32
.LBB47_31:
	s_wait_alu 0xfffe
	s_or_b32 exec_lo, exec_lo, s0
	s_wait_loadcnt 0x0
	s_wait_storecnt 0x0
	s_barrier_signal -1
	s_barrier_wait -1
	global_inv scope:SCOPE_SE
	scratch_load_b64 v[3:4], off, off offset:40
	;; [unrolled: 53-line block ×19, first 2 shown]
	s_mov_b32 s0, exec_lo
	s_wait_loadcnt 0x0
	ds_store_b64 v1, v[3:4]
	s_wait_dscnt 0x0
	s_barrier_signal -1
	s_barrier_wait -1
	global_inv scope:SCOPE_SE
	v_cmpx_gt_u32_e32 22, v0
	s_cbranch_execz .LBB47_103
; %bb.100:
	v_dual_mov_b32 v3, 0 :: v_dual_add_nc_u32 v4, -1, v0
	v_dual_mov_b32 v6, v13 :: v_dual_add_nc_u32 v5, 0x180, v13
	v_mov_b32_e32 v8, 0
	s_mov_b32 s1, 0
.LBB47_101:                             ; =>This Inner Loop Header: Depth=1
	scratch_load_b64 v[9:10], v6, off
	ds_load_b64 v[11:12], v5
	v_add_nc_u32_e32 v6, 8, v6
	s_wait_loadcnt_dscnt 0x0
	v_dual_mul_f32 v14, v12, v10 :: v_dual_add_nc_u32 v5, 8, v5
	v_mul_f32_e32 v10, v11, v10
	s_delay_alu instid0(VALU_DEP_2) | instskip(NEXT) | instid1(VALU_DEP_2)
	v_fma_f32 v11, v11, v9, -v14
	v_fmac_f32_e32 v10, v12, v9
	v_add_nc_u32_e32 v4, 1, v4
	s_delay_alu instid0(VALU_DEP_2) | instskip(NEXT) | instid1(VALU_DEP_2)
	v_dual_add_f32 v8, v8, v11 :: v_dual_add_f32 v3, v3, v10
	v_cmp_lt_u32_e32 vcc_lo, 20, v4
	s_wait_alu 0xfffe
	s_or_b32 s1, vcc_lo, s1
	s_wait_alu 0xfffe
	s_and_not1_b32 exec_lo, exec_lo, s1
	s_cbranch_execnz .LBB47_101
; %bb.102:
	s_or_b32 exec_lo, exec_lo, s1
	v_mov_b32_e32 v4, 0
	ds_load_b64 v[4:5], v4 offset:176
	s_wait_dscnt 0x0
	v_mul_f32_e32 v9, v3, v5
	v_mul_f32_e32 v6, v8, v5
	s_delay_alu instid0(VALU_DEP_2) | instskip(NEXT) | instid1(VALU_DEP_2)
	v_fma_f32 v5, v8, v4, -v9
	v_fmac_f32_e32 v6, v3, v4
	scratch_store_b64 off, v[5:6], off offset:176
.LBB47_103:
	s_wait_alu 0xfffe
	s_or_b32 exec_lo, exec_lo, s0
	s_wait_loadcnt 0x0
	s_wait_storecnt 0x0
	s_barrier_signal -1
	s_barrier_wait -1
	global_inv scope:SCOPE_SE
	scratch_load_b64 v[3:4], off, off offset:184
	s_mov_b32 s0, exec_lo
	s_wait_loadcnt 0x0
	ds_store_b64 v1, v[3:4]
	s_wait_dscnt 0x0
	s_barrier_signal -1
	s_barrier_wait -1
	global_inv scope:SCOPE_SE
	v_cmpx_gt_u32_e32 23, v0
	s_cbranch_execz .LBB47_107
; %bb.104:
	v_dual_mov_b32 v3, 0 :: v_dual_add_nc_u32 v4, -1, v0
	v_dual_mov_b32 v6, v13 :: v_dual_add_nc_u32 v5, 0x180, v13
	v_mov_b32_e32 v8, 0
	s_mov_b32 s1, 0
.LBB47_105:                             ; =>This Inner Loop Header: Depth=1
	scratch_load_b64 v[9:10], v6, off
	ds_load_b64 v[11:12], v5
	v_add_nc_u32_e32 v6, 8, v6
	s_wait_loadcnt_dscnt 0x0
	v_dual_mul_f32 v14, v12, v10 :: v_dual_add_nc_u32 v5, 8, v5
	v_mul_f32_e32 v10, v11, v10
	s_delay_alu instid0(VALU_DEP_2) | instskip(NEXT) | instid1(VALU_DEP_2)
	v_fma_f32 v11, v11, v9, -v14
	v_fmac_f32_e32 v10, v12, v9
	v_add_nc_u32_e32 v4, 1, v4
	s_delay_alu instid0(VALU_DEP_2) | instskip(NEXT) | instid1(VALU_DEP_2)
	v_dual_add_f32 v8, v8, v11 :: v_dual_add_f32 v3, v3, v10
	v_cmp_lt_u32_e32 vcc_lo, 21, v4
	s_wait_alu 0xfffe
	s_or_b32 s1, vcc_lo, s1
	s_wait_alu 0xfffe
	s_and_not1_b32 exec_lo, exec_lo, s1
	s_cbranch_execnz .LBB47_105
; %bb.106:
	s_or_b32 exec_lo, exec_lo, s1
	v_mov_b32_e32 v4, 0
	ds_load_b64 v[4:5], v4 offset:184
	s_wait_dscnt 0x0
	v_mul_f32_e32 v9, v3, v5
	v_mul_f32_e32 v6, v8, v5
	s_delay_alu instid0(VALU_DEP_2) | instskip(NEXT) | instid1(VALU_DEP_2)
	v_fma_f32 v5, v8, v4, -v9
	v_fmac_f32_e32 v6, v3, v4
	scratch_store_b64 off, v[5:6], off offset:184
.LBB47_107:
	s_wait_alu 0xfffe
	s_or_b32 exec_lo, exec_lo, s0
	s_wait_loadcnt 0x0
	s_wait_storecnt 0x0
	s_barrier_signal -1
	s_barrier_wait -1
	global_inv scope:SCOPE_SE
	scratch_load_b64 v[3:4], off, off offset:192
	;; [unrolled: 53-line block ×24, first 2 shown]
	s_mov_b32 s0, exec_lo
	s_wait_loadcnt 0x0
	ds_store_b64 v1, v[3:4]
	s_wait_dscnt 0x0
	s_barrier_signal -1
	s_barrier_wait -1
	global_inv scope:SCOPE_SE
	v_cmpx_gt_u32_e32 46, v0
	s_cbranch_execz .LBB47_199
; %bb.196:
	v_dual_mov_b32 v3, 0 :: v_dual_add_nc_u32 v4, -1, v0
	v_dual_mov_b32 v6, v13 :: v_dual_add_nc_u32 v5, 0x180, v13
	v_mov_b32_e32 v8, 0
	s_mov_b32 s1, 0
.LBB47_197:                             ; =>This Inner Loop Header: Depth=1
	scratch_load_b64 v[9:10], v6, off
	ds_load_b64 v[11:12], v5
	v_add_nc_u32_e32 v6, 8, v6
	v_add_nc_u32_e32 v4, 1, v4
	;; [unrolled: 1-line block ×3, first 2 shown]
	s_delay_alu instid0(VALU_DEP_2)
	v_cmp_lt_u32_e32 vcc_lo, 44, v4
	s_wait_alu 0xfffe
	s_or_b32 s1, vcc_lo, s1
	s_wait_loadcnt_dscnt 0x0
	v_mul_f32_e32 v13, v12, v10
	v_mul_f32_e32 v10, v11, v10
	s_delay_alu instid0(VALU_DEP_2) | instskip(NEXT) | instid1(VALU_DEP_2)
	v_fma_f32 v11, v11, v9, -v13
	v_fmac_f32_e32 v10, v12, v9
	s_delay_alu instid0(VALU_DEP_1)
	v_dual_add_f32 v8, v8, v11 :: v_dual_add_f32 v3, v3, v10
	s_wait_alu 0xfffe
	s_and_not1_b32 exec_lo, exec_lo, s1
	s_cbranch_execnz .LBB47_197
; %bb.198:
	s_or_b32 exec_lo, exec_lo, s1
	v_mov_b32_e32 v4, 0
	ds_load_b64 v[4:5], v4 offset:368
	s_wait_dscnt 0x0
	v_mul_f32_e32 v9, v3, v5
	v_mul_f32_e32 v6, v8, v5
	s_delay_alu instid0(VALU_DEP_2) | instskip(NEXT) | instid1(VALU_DEP_2)
	v_fma_f32 v5, v8, v4, -v9
	v_fmac_f32_e32 v6, v3, v4
	scratch_store_b64 off, v[5:6], off offset:368
.LBB47_199:
	s_wait_alu 0xfffe
	s_or_b32 exec_lo, exec_lo, s0
	s_wait_loadcnt 0x0
	s_wait_storecnt 0x0
	s_barrier_signal -1
	s_barrier_wait -1
	global_inv scope:SCOPE_SE
	scratch_load_b64 v[3:4], off, off offset:376
	s_mov_b32 s0, exec_lo
	s_wait_loadcnt 0x0
	ds_store_b64 v1, v[3:4]
	s_wait_dscnt 0x0
	s_barrier_signal -1
	s_barrier_wait -1
	global_inv scope:SCOPE_SE
	v_cmpx_ne_u32_e32 47, v0
	s_cbranch_execz .LBB47_203
; %bb.200:
	v_dual_mov_b32 v3, 0 :: v_dual_mov_b32 v4, 0
	s_mov_b32 s1, 0
.LBB47_201:                             ; =>This Inner Loop Header: Depth=1
	scratch_load_b64 v[5:6], v7, off
	ds_load_b64 v[8:9], v1
	v_add_nc_u32_e32 v2, 1, v2
	v_add_nc_u32_e32 v1, 8, v1
	;; [unrolled: 1-line block ×3, first 2 shown]
	s_delay_alu instid0(VALU_DEP_3)
	v_cmp_lt_u32_e32 vcc_lo, 45, v2
	s_wait_alu 0xfffe
	s_or_b32 s1, vcc_lo, s1
	s_wait_loadcnt_dscnt 0x0
	v_mul_f32_e32 v10, v9, v6
	v_mul_f32_e32 v6, v8, v6
	s_delay_alu instid0(VALU_DEP_2) | instskip(NEXT) | instid1(VALU_DEP_2)
	v_fma_f32 v8, v8, v5, -v10
	v_fmac_f32_e32 v6, v9, v5
	s_delay_alu instid0(VALU_DEP_1)
	v_dual_add_f32 v4, v4, v8 :: v_dual_add_f32 v3, v3, v6
	s_wait_alu 0xfffe
	s_and_not1_b32 exec_lo, exec_lo, s1
	s_cbranch_execnz .LBB47_201
; %bb.202:
	s_or_b32 exec_lo, exec_lo, s1
	v_mov_b32_e32 v1, 0
	ds_load_b64 v[1:2], v1 offset:376
	s_wait_dscnt 0x0
	v_mul_f32_e32 v6, v3, v2
	v_mul_f32_e32 v5, v4, v2
	s_delay_alu instid0(VALU_DEP_2) | instskip(NEXT) | instid1(VALU_DEP_2)
	v_fma_f32 v4, v4, v1, -v6
	v_fmac_f32_e32 v5, v3, v1
	scratch_store_b64 off, v[4:5], off offset:376
.LBB47_203:
	s_wait_alu 0xfffe
	s_or_b32 exec_lo, exec_lo, s0
	s_mov_b32 s1, -1
	s_wait_loadcnt 0x0
	s_wait_storecnt 0x0
	s_barrier_signal -1
	s_barrier_wait -1
	global_inv scope:SCOPE_SE
.LBB47_204:
	s_wait_alu 0xfffe
	s_and_b32 vcc_lo, exec_lo, s1
	s_wait_alu 0xfffe
	s_cbranch_vccz .LBB47_206
; %bb.205:
	v_mov_b32_e32 v1, 0
	s_lshl_b64 s[0:1], s[16:17], 2
	s_wait_alu 0xfffe
	s_add_nc_u64 s[0:1], s[6:7], s[0:1]
	global_load_b32 v1, v1, s[0:1]
	s_wait_loadcnt 0x0
	v_cmp_ne_u32_e32 vcc_lo, 0, v1
	s_cbranch_vccz .LBB47_207
.LBB47_206:
	s_nop 0
	s_sendmsg sendmsg(MSG_DEALLOC_VGPRS)
	s_endpgm
.LBB47_207:
	v_lshl_add_u32 v23, v0, 3, 0x180
	s_mov_b32 s0, exec_lo
	v_cmpx_eq_u32_e32 47, v0
	s_cbranch_execz .LBB47_209
; %bb.208:
	scratch_load_b64 v[1:2], off, off offset:368
	v_mov_b32_e32 v3, 0
	s_delay_alu instid0(VALU_DEP_1)
	v_mov_b32_e32 v4, v3
	scratch_store_b64 off, v[3:4], off offset:368
	s_wait_loadcnt 0x0
	ds_store_b64 v23, v[1:2]
.LBB47_209:
	s_wait_alu 0xfffe
	s_or_b32 exec_lo, exec_lo, s0
	s_wait_storecnt_dscnt 0x0
	s_barrier_signal -1
	s_barrier_wait -1
	global_inv scope:SCOPE_SE
	s_clause 0x1
	scratch_load_b64 v[2:3], off, off offset:376
	scratch_load_b64 v[4:5], off, off offset:368
	v_mov_b32_e32 v1, 0
	s_mov_b32 s0, exec_lo
	ds_load_b64 v[6:7], v1 offset:760
	s_wait_loadcnt_dscnt 0x100
	v_mul_f32_e32 v8, v7, v3
	v_mul_f32_e32 v3, v6, v3
	s_delay_alu instid0(VALU_DEP_2) | instskip(NEXT) | instid1(VALU_DEP_2)
	v_fma_f32 v6, v6, v2, -v8
	v_fmac_f32_e32 v3, v7, v2
	s_delay_alu instid0(VALU_DEP_1) | instskip(SKIP_1) | instid1(VALU_DEP_1)
	v_dual_add_f32 v2, 0, v6 :: v_dual_add_f32 v3, 0, v3
	s_wait_loadcnt 0x0
	v_dual_sub_f32 v2, v4, v2 :: v_dual_sub_f32 v3, v5, v3
	scratch_store_b64 off, v[2:3], off offset:368
	v_cmpx_lt_u32_e32 45, v0
	s_cbranch_execz .LBB47_211
; %bb.210:
	scratch_load_b64 v[3:4], off, off offset:360
	v_mov_b32_e32 v2, v1
	scratch_store_b64 off, v[1:2], off offset:360
	s_wait_loadcnt 0x0
	ds_store_b64 v23, v[3:4]
.LBB47_211:
	s_wait_alu 0xfffe
	s_or_b32 exec_lo, exec_lo, s0
	s_wait_storecnt_dscnt 0x0
	s_barrier_signal -1
	s_barrier_wait -1
	global_inv scope:SCOPE_SE
	s_clause 0x1
	scratch_load_b128 v[2:5], off, off offset:368
	scratch_load_b64 v[10:11], off, off offset:360
	ds_load_b128 v[6:9], v1 offset:752
	s_mov_b32 s0, exec_lo
	s_wait_loadcnt_dscnt 0x100
	v_dual_mul_f32 v1, v7, v3 :: v_dual_mul_f32 v12, v8, v5
	v_mul_f32_e32 v3, v6, v3
	s_delay_alu instid0(VALU_DEP_2) | instskip(NEXT) | instid1(VALU_DEP_2)
	v_fma_f32 v1, v6, v2, -v1
	v_dual_fmac_f32 v12, v9, v4 :: v_dual_fmac_f32 v3, v7, v2
	s_delay_alu instid0(VALU_DEP_2) | instskip(NEXT) | instid1(VALU_DEP_2)
	v_add_f32_e32 v1, 0, v1
	v_add_f32_e32 v3, 0, v3
	v_mul_f32_e32 v5, v9, v5
	s_delay_alu instid0(VALU_DEP_1) | instskip(NEXT) | instid1(VALU_DEP_1)
	v_fma_f32 v2, v8, v4, -v5
	v_dual_add_f32 v1, v1, v2 :: v_dual_add_f32 v2, v3, v12
	s_wait_loadcnt 0x0
	s_delay_alu instid0(VALU_DEP_1)
	v_dual_sub_f32 v1, v10, v1 :: v_dual_sub_f32 v2, v11, v2
	scratch_store_b64 off, v[1:2], off offset:360
	v_cmpx_lt_u32_e32 44, v0
	s_cbranch_execz .LBB47_213
; %bb.212:
	scratch_load_b64 v[1:2], off, off offset:352
	v_mov_b32_e32 v3, 0
	s_delay_alu instid0(VALU_DEP_1)
	v_mov_b32_e32 v4, v3
	scratch_store_b64 off, v[3:4], off offset:352
	s_wait_loadcnt 0x0
	ds_store_b64 v23, v[1:2]
.LBB47_213:
	s_wait_alu 0xfffe
	s_or_b32 exec_lo, exec_lo, s0
	s_wait_storecnt_dscnt 0x0
	s_barrier_signal -1
	s_barrier_wait -1
	global_inv scope:SCOPE_SE
	s_clause 0x2
	scratch_load_b128 v[2:5], off, off offset:360
	scratch_load_b64 v[10:11], off, off offset:376
	scratch_load_b64 v[12:13], off, off offset:352
	v_mov_b32_e32 v1, 0
	ds_load_2addr_b64 v[6:9], v1 offset0:93 offset1:94
	ds_load_b64 v[14:15], v1 offset:760
	s_mov_b32 s0, exec_lo
	s_wait_loadcnt_dscnt 0x201
	v_dual_mul_f32 v16, v7, v3 :: v_dual_mul_f32 v17, v8, v5
	s_wait_loadcnt_dscnt 0x100
	v_mul_f32_e32 v18, v14, v11
	v_mul_f32_e32 v3, v6, v3
	;; [unrolled: 1-line block ×3, first 2 shown]
	v_fma_f32 v6, v6, v2, -v16
	s_delay_alu instid0(VALU_DEP_4) | instskip(NEXT) | instid1(VALU_DEP_4)
	v_fmac_f32_e32 v18, v15, v10
	v_fmac_f32_e32 v3, v7, v2
	v_mul_f32_e32 v2, v15, v11
	s_delay_alu instid0(VALU_DEP_1) | instskip(SKIP_3) | instid1(VALU_DEP_1)
	v_fma_f32 v2, v14, v10, -v2
	v_fmac_f32_e32 v17, v9, v4
	v_fma_f32 v4, v8, v4, -v5
	v_add_f32_e32 v5, 0, v6
	v_add_f32_e32 v4, v5, v4
	s_delay_alu instid0(VALU_DEP_1) | instskip(SKIP_1) | instid1(VALU_DEP_1)
	v_dual_add_f32 v2, v4, v2 :: v_dual_add_f32 v3, 0, v3
	s_wait_loadcnt 0x0
	v_dual_sub_f32 v2, v12, v2 :: v_dual_add_f32 v3, v3, v17
	s_delay_alu instid0(VALU_DEP_1) | instskip(NEXT) | instid1(VALU_DEP_1)
	v_add_f32_e32 v3, v3, v18
	v_sub_f32_e32 v3, v13, v3
	scratch_store_b64 off, v[2:3], off offset:352
	v_cmpx_lt_u32_e32 43, v0
	s_cbranch_execz .LBB47_215
; %bb.214:
	scratch_load_b64 v[3:4], off, off offset:344
	v_mov_b32_e32 v2, v1
	scratch_store_b64 off, v[1:2], off offset:344
	s_wait_loadcnt 0x0
	ds_store_b64 v23, v[3:4]
.LBB47_215:
	s_wait_alu 0xfffe
	s_or_b32 exec_lo, exec_lo, s0
	s_wait_storecnt_dscnt 0x0
	s_barrier_signal -1
	s_barrier_wait -1
	global_inv scope:SCOPE_SE
	s_clause 0x2
	scratch_load_b128 v[2:5], off, off offset:352
	scratch_load_b128 v[6:9], off, off offset:368
	scratch_load_b64 v[18:19], off, off offset:344
	ds_load_b128 v[10:13], v1 offset:736
	ds_load_b128 v[14:17], v1 offset:752
	s_mov_b32 s0, exec_lo
	s_wait_loadcnt_dscnt 0x201
	v_dual_mul_f32 v1, v10, v3 :: v_dual_mul_f32 v20, v12, v5
	s_wait_loadcnt_dscnt 0x100
	v_dual_mul_f32 v3, v11, v3 :: v_dual_mul_f32 v22, v16, v9
	v_mul_f32_e32 v5, v13, v5
	s_delay_alu instid0(VALU_DEP_3) | instskip(NEXT) | instid1(VALU_DEP_3)
	v_dual_mul_f32 v21, v14, v7 :: v_dual_fmac_f32 v20, v13, v4
	v_fma_f32 v3, v10, v2, -v3
	s_delay_alu instid0(VALU_DEP_4) | instskip(SKIP_2) | instid1(VALU_DEP_4)
	v_dual_fmac_f32 v1, v11, v2 :: v_dual_fmac_f32 v22, v17, v8
	v_mul_f32_e32 v2, v15, v7
	v_fma_f32 v4, v12, v4, -v5
	v_add_f32_e32 v3, 0, v3
	v_fmac_f32_e32 v21, v15, v6
	s_delay_alu instid0(VALU_DEP_4) | instskip(NEXT) | instid1(VALU_DEP_3)
	v_fma_f32 v2, v14, v6, -v2
	v_add_f32_e32 v3, v3, v4
	s_delay_alu instid0(VALU_DEP_1) | instskip(NEXT) | instid1(VALU_DEP_1)
	v_dual_add_f32 v1, 0, v1 :: v_dual_add_f32 v2, v3, v2
	v_add_f32_e32 v1, v1, v20
	s_delay_alu instid0(VALU_DEP_1) | instskip(NEXT) | instid1(VALU_DEP_1)
	v_add_f32_e32 v1, v1, v21
	v_add_f32_e32 v3, v1, v22
	v_mul_f32_e32 v5, v17, v9
	s_delay_alu instid0(VALU_DEP_1) | instskip(NEXT) | instid1(VALU_DEP_1)
	v_fma_f32 v4, v16, v8, -v5
	v_add_f32_e32 v2, v2, v4
	s_wait_loadcnt 0x0
	s_delay_alu instid0(VALU_DEP_1)
	v_dual_sub_f32 v1, v18, v2 :: v_dual_sub_f32 v2, v19, v3
	scratch_store_b64 off, v[1:2], off offset:344
	v_cmpx_lt_u32_e32 42, v0
	s_cbranch_execz .LBB47_217
; %bb.216:
	scratch_load_b64 v[1:2], off, off offset:336
	v_mov_b32_e32 v3, 0
	s_delay_alu instid0(VALU_DEP_1)
	v_mov_b32_e32 v4, v3
	scratch_store_b64 off, v[3:4], off offset:336
	s_wait_loadcnt 0x0
	ds_store_b64 v23, v[1:2]
.LBB47_217:
	s_wait_alu 0xfffe
	s_or_b32 exec_lo, exec_lo, s0
	s_wait_storecnt_dscnt 0x0
	s_barrier_signal -1
	s_barrier_wait -1
	global_inv scope:SCOPE_SE
	s_clause 0x3
	scratch_load_b128 v[2:5], off, off offset:344
	scratch_load_b128 v[6:9], off, off offset:360
	scratch_load_b64 v[18:19], off, off offset:376
	scratch_load_b64 v[20:21], off, off offset:336
	v_mov_b32_e32 v1, 0
	ds_load_2addr_b64 v[10:13], v1 offset0:91 offset1:92
	ds_load_2addr_b64 v[14:17], v1 offset0:93 offset1:94
	ds_load_b64 v[24:25], v1 offset:760
	s_mov_b32 s0, exec_lo
	s_wait_loadcnt_dscnt 0x302
	v_mul_f32_e32 v22, v10, v3
	v_dual_mul_f32 v26, v12, v5 :: v_dual_mul_f32 v3, v11, v3
	s_wait_loadcnt_dscnt 0x100
	v_mul_f32_e32 v125, v24, v19
	s_delay_alu instid0(VALU_DEP_3)
	v_dual_mul_f32 v5, v13, v5 :: v_dual_fmac_f32 v22, v11, v2
	v_dual_mul_f32 v27, v14, v7 :: v_dual_mul_f32 v124, v16, v9
	v_fma_f32 v3, v10, v2, -v3
	v_mul_f32_e32 v2, v15, v7
	v_fmac_f32_e32 v26, v13, v4
	v_fma_f32 v4, v12, v4, -v5
	v_dual_add_f32 v5, 0, v22 :: v_dual_fmac_f32 v124, v17, v8
	v_add_f32_e32 v3, 0, v3
	v_fma_f32 v2, v14, v6, -v2
	v_fmac_f32_e32 v27, v15, v6
	v_fmac_f32_e32 v125, v25, v18
	s_delay_alu instid0(VALU_DEP_4) | instskip(NEXT) | instid1(VALU_DEP_1)
	v_dual_add_f32 v3, v3, v4 :: v_dual_add_f32 v4, v5, v26
	v_dual_mul_f32 v7, v17, v9 :: v_dual_add_f32 v2, v3, v2
	s_delay_alu instid0(VALU_DEP_2) | instskip(NEXT) | instid1(VALU_DEP_2)
	v_add_f32_e32 v3, v4, v27
	v_fma_f32 v6, v16, v8, -v7
	s_delay_alu instid0(VALU_DEP_1) | instskip(NEXT) | instid1(VALU_DEP_1)
	v_dual_mul_f32 v5, v25, v19 :: v_dual_add_f32 v2, v2, v6
	v_fma_f32 v4, v24, v18, -v5
	s_delay_alu instid0(VALU_DEP_1) | instskip(SKIP_1) | instid1(VALU_DEP_1)
	v_add_f32_e32 v2, v2, v4
	s_wait_loadcnt 0x0
	v_dual_add_f32 v3, v3, v124 :: v_dual_sub_f32 v2, v20, v2
	s_delay_alu instid0(VALU_DEP_1) | instskip(NEXT) | instid1(VALU_DEP_1)
	v_add_f32_e32 v3, v3, v125
	v_sub_f32_e32 v3, v21, v3
	scratch_store_b64 off, v[2:3], off offset:336
	v_cmpx_lt_u32_e32 41, v0
	s_cbranch_execz .LBB47_219
; %bb.218:
	scratch_load_b64 v[3:4], off, off offset:328
	v_mov_b32_e32 v2, v1
	scratch_store_b64 off, v[1:2], off offset:328
	s_wait_loadcnt 0x0
	ds_store_b64 v23, v[3:4]
.LBB47_219:
	s_wait_alu 0xfffe
	s_or_b32 exec_lo, exec_lo, s0
	s_wait_storecnt_dscnt 0x0
	s_barrier_signal -1
	s_barrier_wait -1
	global_inv scope:SCOPE_SE
	s_clause 0x3
	scratch_load_b128 v[2:5], off, off offset:336
	scratch_load_b128 v[6:9], off, off offset:352
	;; [unrolled: 1-line block ×3, first 2 shown]
	scratch_load_b64 v[124:125], off, off offset:328
	ds_load_b128 v[14:17], v1 offset:720
	ds_load_b128 v[18:21], v1 offset:736
	;; [unrolled: 1-line block ×3, first 2 shown]
	s_mov_b32 s0, exec_lo
	s_wait_loadcnt_dscnt 0x302
	v_dual_mul_f32 v1, v14, v3 :: v_dual_mul_f32 v22, v16, v5
	v_mul_f32_e32 v3, v15, v3
	s_wait_loadcnt_dscnt 0x201
	v_dual_mul_f32 v5, v17, v5 :: v_dual_mul_f32 v126, v18, v7
	s_delay_alu instid0(VALU_DEP_3) | instskip(NEXT) | instid1(VALU_DEP_3)
	v_dual_mul_f32 v127, v20, v9 :: v_dual_fmac_f32 v22, v17, v4
	v_fma_f32 v3, v14, v2, -v3
	v_fmac_f32_e32 v1, v15, v2
	v_mul_f32_e32 v2, v19, v7
	v_fma_f32 v4, v16, v4, -v5
	s_wait_loadcnt_dscnt 0x100
	v_dual_mul_f32 v128, v24, v11 :: v_dual_mul_f32 v129, v26, v13
	v_dual_add_f32 v3, 0, v3 :: v_dual_fmac_f32 v126, v19, v6
	v_fma_f32 v2, v18, v6, -v2
	s_delay_alu instid0(VALU_DEP_3) | instskip(NEXT) | instid1(VALU_DEP_3)
	v_dual_fmac_f32 v128, v25, v10 :: v_dual_fmac_f32 v129, v27, v12
	v_dual_add_f32 v3, v3, v4 :: v_dual_mul_f32 v4, v25, v11
	s_delay_alu instid0(VALU_DEP_1) | instskip(NEXT) | instid1(VALU_DEP_2)
	v_dual_add_f32 v1, 0, v1 :: v_dual_add_f32 v2, v3, v2
	v_fma_f32 v4, v24, v10, -v4
	v_mul_f32_e32 v5, v21, v9
	v_mul_f32_e32 v3, v27, v13
	s_delay_alu instid0(VALU_DEP_2) | instskip(SKIP_1) | instid1(VALU_DEP_3)
	v_fma_f32 v5, v20, v8, -v5
	v_add_f32_e32 v1, v1, v22
	v_fma_f32 v3, v26, v12, -v3
	s_delay_alu instid0(VALU_DEP_2) | instskip(NEXT) | instid1(VALU_DEP_1)
	v_dual_add_f32 v2, v2, v5 :: v_dual_add_f32 v1, v1, v126
	v_add_f32_e32 v2, v2, v4
	s_delay_alu instid0(VALU_DEP_1) | instskip(NEXT) | instid1(VALU_DEP_1)
	v_dual_fmac_f32 v127, v21, v8 :: v_dual_add_f32 v2, v2, v3
	v_add_f32_e32 v1, v1, v127
	s_delay_alu instid0(VALU_DEP_1) | instskip(NEXT) | instid1(VALU_DEP_1)
	v_add_f32_e32 v1, v1, v128
	v_add_f32_e32 v3, v1, v129
	s_wait_loadcnt 0x0
	s_delay_alu instid0(VALU_DEP_1)
	v_dual_sub_f32 v1, v124, v2 :: v_dual_sub_f32 v2, v125, v3
	scratch_store_b64 off, v[1:2], off offset:328
	v_cmpx_lt_u32_e32 40, v0
	s_cbranch_execz .LBB47_221
; %bb.220:
	scratch_load_b64 v[1:2], off, off offset:320
	v_mov_b32_e32 v3, 0
	s_delay_alu instid0(VALU_DEP_1)
	v_mov_b32_e32 v4, v3
	scratch_store_b64 off, v[3:4], off offset:320
	s_wait_loadcnt 0x0
	ds_store_b64 v23, v[1:2]
.LBB47_221:
	s_wait_alu 0xfffe
	s_or_b32 exec_lo, exec_lo, s0
	s_wait_storecnt_dscnt 0x0
	s_barrier_signal -1
	s_barrier_wait -1
	global_inv scope:SCOPE_SE
	s_clause 0x4
	scratch_load_b128 v[2:5], off, off offset:328
	scratch_load_b128 v[6:9], off, off offset:344
	;; [unrolled: 1-line block ×3, first 2 shown]
	scratch_load_b64 v[124:125], off, off offset:376
	scratch_load_b64 v[126:127], off, off offset:320
	v_mov_b32_e32 v1, 0
	ds_load_2addr_b64 v[14:17], v1 offset0:89 offset1:90
	ds_load_2addr_b64 v[18:21], v1 offset0:91 offset1:92
	;; [unrolled: 1-line block ×3, first 2 shown]
	ds_load_b64 v[128:129], v1 offset:760
	s_mov_b32 s0, exec_lo
	s_wait_loadcnt_dscnt 0x403
	v_mul_f32_e32 v22, v14, v3
	s_wait_loadcnt_dscnt 0x302
	v_dual_mul_f32 v132, v20, v9 :: v_dual_mul_f32 v3, v15, v3
	v_dual_mul_f32 v130, v16, v5 :: v_dual_mul_f32 v131, v18, v7
	s_wait_loadcnt_dscnt 0x100
	v_dual_mul_f32 v135, v128, v125 :: v_dual_fmac_f32 v22, v15, v2
	v_mul_f32_e32 v5, v17, v5
	v_fma_f32 v3, v14, v2, -v3
	v_mul_f32_e32 v2, v19, v7
	v_fmac_f32_e32 v130, v17, v4
	v_fmac_f32_e32 v132, v21, v8
	v_fma_f32 v4, v16, v4, -v5
	v_add_f32_e32 v3, 0, v3
	v_add_f32_e32 v5, 0, v22
	v_fma_f32 v2, v18, v6, -v2
	v_fmac_f32_e32 v131, v19, v6
	v_dual_mul_f32 v133, v24, v11 :: v_dual_mul_f32 v134, v26, v13
	s_delay_alu instid0(VALU_DEP_4) | instskip(SKIP_1) | instid1(VALU_DEP_3)
	v_dual_add_f32 v3, v3, v4 :: v_dual_add_f32 v4, v5, v130
	v_mul_f32_e32 v7, v21, v9
	v_dual_mul_f32 v5, v25, v11 :: v_dual_fmac_f32 v134, v27, v12
	s_delay_alu instid0(VALU_DEP_3) | instskip(NEXT) | instid1(VALU_DEP_3)
	v_add_f32_e32 v2, v3, v2
	v_fma_f32 v6, v20, v8, -v7
	s_delay_alu instid0(VALU_DEP_1) | instskip(SKIP_3) | instid1(VALU_DEP_3)
	v_add_f32_e32 v2, v2, v6
	v_dual_mul_f32 v6, v129, v125 :: v_dual_add_f32 v3, v4, v131
	v_mul_f32_e32 v4, v27, v13
	v_fma_f32 v5, v24, v10, -v5
	v_add_f32_e32 v3, v3, v132
	s_delay_alu instid0(VALU_DEP_2) | instskip(NEXT) | instid1(VALU_DEP_4)
	v_dual_fmac_f32 v133, v25, v10 :: v_dual_add_f32 v2, v2, v5
	v_fma_f32 v4, v26, v12, -v4
	v_fma_f32 v5, v128, v124, -v6
	s_delay_alu instid0(VALU_DEP_2) | instskip(SKIP_1) | instid1(VALU_DEP_2)
	v_dual_add_f32 v3, v3, v133 :: v_dual_add_f32 v2, v2, v4
	v_fmac_f32_e32 v135, v129, v124
	v_dual_add_f32 v3, v3, v134 :: v_dual_add_f32 v2, v2, v5
	s_wait_loadcnt 0x0
	s_delay_alu instid0(VALU_DEP_1) | instskip(NEXT) | instid1(VALU_DEP_1)
	v_dual_add_f32 v3, v3, v135 :: v_dual_sub_f32 v2, v126, v2
	v_sub_f32_e32 v3, v127, v3
	scratch_store_b64 off, v[2:3], off offset:320
	v_cmpx_lt_u32_e32 39, v0
	s_cbranch_execz .LBB47_223
; %bb.222:
	scratch_load_b64 v[3:4], off, off offset:312
	v_mov_b32_e32 v2, v1
	scratch_store_b64 off, v[1:2], off offset:312
	s_wait_loadcnt 0x0
	ds_store_b64 v23, v[3:4]
.LBB47_223:
	s_wait_alu 0xfffe
	s_or_b32 exec_lo, exec_lo, s0
	s_wait_storecnt_dscnt 0x0
	s_barrier_signal -1
	s_barrier_wait -1
	global_inv scope:SCOPE_SE
	s_clause 0x4
	scratch_load_b128 v[2:5], off, off offset:320
	scratch_load_b128 v[6:9], off, off offset:336
	;; [unrolled: 1-line block ×4, first 2 shown]
	scratch_load_b64 v[132:133], off, off offset:312
	ds_load_b128 v[18:21], v1 offset:704
	ds_load_b128 v[24:27], v1 offset:720
	;; [unrolled: 1-line block ×4, first 2 shown]
	s_mov_b32 s0, exec_lo
	s_wait_loadcnt_dscnt 0x403
	v_dual_mul_f32 v1, v18, v3 :: v_dual_mul_f32 v22, v20, v5
	v_mul_f32_e32 v3, v19, v3
	s_wait_loadcnt_dscnt 0x302
	v_dual_mul_f32 v134, v24, v7 :: v_dual_mul_f32 v135, v26, v9
	s_delay_alu instid0(VALU_DEP_3) | instskip(NEXT) | instid1(VALU_DEP_3)
	v_dual_fmac_f32 v1, v19, v2 :: v_dual_fmac_f32 v22, v21, v4
	v_fma_f32 v3, v18, v2, -v3
	v_mul_f32_e32 v2, v25, v7
	s_wait_loadcnt_dscnt 0x201
	v_dual_mul_f32 v136, v124, v11 :: v_dual_mul_f32 v137, v126, v13
	s_delay_alu instid0(VALU_DEP_3) | instskip(NEXT) | instid1(VALU_DEP_3)
	v_dual_fmac_f32 v134, v25, v6 :: v_dual_add_f32 v3, 0, v3
	v_fma_f32 v2, v24, v6, -v2
	v_mul_f32_e32 v5, v21, v5
	s_delay_alu instid0(VALU_DEP_4) | instskip(SKIP_2) | instid1(VALU_DEP_3)
	v_dual_fmac_f32 v136, v125, v10 :: v_dual_add_f32 v1, 0, v1
	s_wait_loadcnt_dscnt 0x100
	v_dual_mul_f32 v138, v128, v15 :: v_dual_mul_f32 v139, v130, v17
	v_fma_f32 v4, v20, v4, -v5
	v_mul_f32_e32 v5, v27, v9
	s_delay_alu instid0(VALU_DEP_3) | instskip(NEXT) | instid1(VALU_DEP_4)
	v_dual_fmac_f32 v135, v27, v8 :: v_dual_fmac_f32 v138, v129, v14
	v_fmac_f32_e32 v139, v131, v16
	s_delay_alu instid0(VALU_DEP_3) | instskip(SKIP_1) | instid1(VALU_DEP_1)
	v_fma_f32 v5, v26, v8, -v5
	v_dual_add_f32 v3, v3, v4 :: v_dual_mul_f32 v4, v125, v11
	v_add_f32_e32 v2, v3, v2
	v_mul_f32_e32 v3, v127, v13
	s_delay_alu instid0(VALU_DEP_3) | instskip(NEXT) | instid1(VALU_DEP_3)
	v_fma_f32 v4, v124, v10, -v4
	v_dual_add_f32 v2, v2, v5 :: v_dual_add_f32 v1, v1, v22
	v_mul_f32_e32 v5, v129, v15
	s_delay_alu instid0(VALU_DEP_4) | instskip(NEXT) | instid1(VALU_DEP_3)
	v_fma_f32 v3, v126, v12, -v3
	v_dual_add_f32 v2, v2, v4 :: v_dual_add_f32 v1, v1, v134
	v_mul_f32_e32 v4, v131, v17
	v_fmac_f32_e32 v137, v127, v12
	v_fma_f32 v5, v128, v14, -v5
	s_delay_alu instid0(VALU_DEP_4) | instskip(SKIP_2) | instid1(VALU_DEP_2)
	v_add_f32_e32 v2, v2, v3
	v_add_f32_e32 v1, v1, v135
	v_fma_f32 v3, v130, v16, -v4
	v_dual_add_f32 v2, v2, v5 :: v_dual_add_f32 v1, v1, v136
	s_delay_alu instid0(VALU_DEP_1) | instskip(NEXT) | instid1(VALU_DEP_1)
	v_dual_add_f32 v2, v2, v3 :: v_dual_add_f32 v1, v1, v137
	v_add_f32_e32 v1, v1, v138
	s_delay_alu instid0(VALU_DEP_1) | instskip(SKIP_1) | instid1(VALU_DEP_1)
	v_add_f32_e32 v3, v1, v139
	s_wait_loadcnt 0x0
	v_dual_sub_f32 v1, v132, v2 :: v_dual_sub_f32 v2, v133, v3
	scratch_store_b64 off, v[1:2], off offset:312
	v_cmpx_lt_u32_e32 38, v0
	s_cbranch_execz .LBB47_225
; %bb.224:
	scratch_load_b64 v[1:2], off, off offset:304
	v_mov_b32_e32 v3, 0
	s_delay_alu instid0(VALU_DEP_1)
	v_mov_b32_e32 v4, v3
	scratch_store_b64 off, v[3:4], off offset:304
	s_wait_loadcnt 0x0
	ds_store_b64 v23, v[1:2]
.LBB47_225:
	s_wait_alu 0xfffe
	s_or_b32 exec_lo, exec_lo, s0
	s_wait_storecnt_dscnt 0x0
	s_barrier_signal -1
	s_barrier_wait -1
	global_inv scope:SCOPE_SE
	s_clause 0x5
	scratch_load_b128 v[2:5], off, off offset:312
	scratch_load_b128 v[6:9], off, off offset:328
	;; [unrolled: 1-line block ×4, first 2 shown]
	scratch_load_b64 v[132:133], off, off offset:376
	scratch_load_b64 v[134:135], off, off offset:304
	v_mov_b32_e32 v1, 0
	ds_load_2addr_b64 v[18:21], v1 offset0:87 offset1:88
	ds_load_2addr_b64 v[24:27], v1 offset0:89 offset1:90
	;; [unrolled: 1-line block ×4, first 2 shown]
	ds_load_b64 v[136:137], v1 offset:760
	s_mov_b32 s0, exec_lo
	s_wait_loadcnt_dscnt 0x504
	v_mul_f32_e32 v22, v18, v3
	v_dual_mul_f32 v138, v20, v5 :: v_dual_mul_f32 v3, v19, v3
	s_wait_loadcnt_dscnt 0x403
	v_dual_mul_f32 v139, v24, v7 :: v_dual_mul_f32 v140, v26, v9
	v_mul_f32_e32 v5, v21, v5
	s_wait_loadcnt_dscnt 0x100
	v_dual_mul_f32 v145, v136, v133 :: v_dual_fmac_f32 v22, v19, v2
	v_fma_f32 v3, v18, v2, -v3
	v_mul_f32_e32 v2, v25, v7
	v_fmac_f32_e32 v138, v21, v4
	v_fmac_f32_e32 v140, v27, v8
	v_fma_f32 v4, v20, v4, -v5
	v_add_f32_e32 v3, 0, v3
	v_add_f32_e32 v5, 0, v22
	v_mul_f32_e32 v7, v27, v9
	v_fma_f32 v2, v24, v6, -v2
	v_fmac_f32_e32 v139, v25, v6
	s_delay_alu instid0(VALU_DEP_4) | instskip(SKIP_3) | instid1(VALU_DEP_4)
	v_dual_add_f32 v3, v3, v4 :: v_dual_add_f32 v4, v5, v138
	v_mul_f32_e32 v5, v125, v11
	v_fma_f32 v6, v26, v8, -v7
	v_dual_mul_f32 v141, v124, v11 :: v_dual_mul_f32 v142, v126, v13
	v_dual_add_f32 v2, v3, v2 :: v_dual_add_f32 v3, v4, v139
	v_mul_f32_e32 v4, v127, v13
	v_fma_f32 v5, v124, v10, -v5
	s_delay_alu instid0(VALU_DEP_4) | instskip(NEXT) | instid1(VALU_DEP_4)
	v_fmac_f32_e32 v142, v127, v12
	v_add_f32_e32 v2, v2, v6
	v_fmac_f32_e32 v141, v125, v10
	v_dual_add_f32 v3, v3, v140 :: v_dual_mul_f32 v6, v129, v15
	v_fma_f32 v4, v126, v12, -v4
	s_delay_alu instid0(VALU_DEP_4) | instskip(SKIP_1) | instid1(VALU_DEP_4)
	v_dual_add_f32 v2, v2, v5 :: v_dual_mul_f32 v143, v128, v15
	v_mul_f32_e32 v144, v130, v17
	v_add_f32_e32 v3, v3, v141
	v_fma_f32 v6, v128, v14, -v6
	s_delay_alu instid0(VALU_DEP_4) | instskip(NEXT) | instid1(VALU_DEP_4)
	v_dual_add_f32 v2, v2, v4 :: v_dual_mul_f32 v5, v131, v17
	v_dual_fmac_f32 v143, v129, v14 :: v_dual_fmac_f32 v144, v131, v16
	s_delay_alu instid0(VALU_DEP_4) | instskip(NEXT) | instid1(VALU_DEP_3)
	v_dual_add_f32 v3, v3, v142 :: v_dual_mul_f32 v4, v137, v133
	v_add_f32_e32 v2, v2, v6
	s_delay_alu instid0(VALU_DEP_4) | instskip(NEXT) | instid1(VALU_DEP_3)
	v_fma_f32 v5, v130, v16, -v5
	v_add_f32_e32 v3, v3, v143
	s_delay_alu instid0(VALU_DEP_4) | instskip(NEXT) | instid1(VALU_DEP_2)
	v_fma_f32 v4, v136, v132, -v4
	v_dual_add_f32 v2, v2, v5 :: v_dual_add_f32 v3, v3, v144
	s_delay_alu instid0(VALU_DEP_1) | instskip(SKIP_1) | instid1(VALU_DEP_1)
	v_add_f32_e32 v2, v2, v4
	s_wait_loadcnt 0x0
	v_dual_fmac_f32 v145, v137, v132 :: v_dual_sub_f32 v2, v134, v2
	s_delay_alu instid0(VALU_DEP_1) | instskip(NEXT) | instid1(VALU_DEP_1)
	v_add_f32_e32 v3, v3, v145
	v_sub_f32_e32 v3, v135, v3
	scratch_store_b64 off, v[2:3], off offset:304
	v_cmpx_lt_u32_e32 37, v0
	s_cbranch_execz .LBB47_227
; %bb.226:
	scratch_load_b64 v[3:4], off, off offset:296
	v_mov_b32_e32 v2, v1
	scratch_store_b64 off, v[1:2], off offset:296
	s_wait_loadcnt 0x0
	ds_store_b64 v23, v[3:4]
.LBB47_227:
	s_wait_alu 0xfffe
	s_or_b32 exec_lo, exec_lo, s0
	s_wait_storecnt_dscnt 0x0
	s_barrier_signal -1
	s_barrier_wait -1
	global_inv scope:SCOPE_SE
	s_clause 0x5
	scratch_load_b128 v[2:5], off, off offset:304
	scratch_load_b128 v[6:9], off, off offset:320
	;; [unrolled: 1-line block ×5, first 2 shown]
	scratch_load_b64 v[140:141], off, off offset:296
	ds_load_b128 v[24:27], v1 offset:688
	ds_load_b128 v[124:127], v1 offset:704
	;; [unrolled: 1-line block ×5, first 2 shown]
	s_mov_b32 s0, exec_lo
	s_wait_loadcnt_dscnt 0x504
	v_dual_mul_f32 v1, v24, v3 :: v_dual_mul_f32 v22, v26, v5
	v_mul_f32_e32 v3, v25, v3
	s_wait_loadcnt_dscnt 0x403
	v_dual_mul_f32 v5, v27, v5 :: v_dual_mul_f32 v142, v124, v7
	s_delay_alu instid0(VALU_DEP_3) | instskip(NEXT) | instid1(VALU_DEP_3)
	v_dual_mul_f32 v143, v126, v9 :: v_dual_fmac_f32 v22, v27, v4
	v_fma_f32 v3, v24, v2, -v3
	v_fmac_f32_e32 v1, v25, v2
	v_mul_f32_e32 v2, v125, v7
	v_fma_f32 v4, v26, v4, -v5
	s_wait_loadcnt_dscnt 0x302
	v_dual_mul_f32 v144, v128, v11 :: v_dual_mul_f32 v145, v130, v13
	v_dual_add_f32 v3, 0, v3 :: v_dual_fmac_f32 v142, v125, v6
	s_wait_loadcnt_dscnt 0x201
	v_dual_mul_f32 v146, v132, v15 :: v_dual_mul_f32 v147, v134, v17
	s_delay_alu instid0(VALU_DEP_3) | instskip(SKIP_1) | instid1(VALU_DEP_3)
	v_dual_mul_f32 v5, v127, v9 :: v_dual_fmac_f32 v144, v129, v10
	v_fma_f32 v2, v124, v6, -v2
	v_dual_add_f32 v3, v3, v4 :: v_dual_fmac_f32 v146, v133, v14
	s_delay_alu instid0(VALU_DEP_3)
	v_fma_f32 v5, v126, v8, -v5
	v_mul_f32_e32 v4, v129, v11
	s_wait_loadcnt_dscnt 0x100
	v_dual_mul_f32 v148, v136, v19 :: v_dual_mul_f32 v149, v138, v21
	v_add_f32_e32 v2, v3, v2
	v_mul_f32_e32 v3, v131, v13
	v_fma_f32 v4, v128, v10, -v4
	s_delay_alu instid0(VALU_DEP_4) | instskip(NEXT) | instid1(VALU_DEP_4)
	v_dual_fmac_f32 v148, v137, v18 :: v_dual_fmac_f32 v147, v135, v16
	v_add_f32_e32 v2, v2, v5
	v_add_f32_e32 v1, 0, v1
	v_fma_f32 v3, v130, v12, -v3
	v_fmac_f32_e32 v149, v139, v20
	s_delay_alu instid0(VALU_DEP_3) | instskip(SKIP_1) | instid1(VALU_DEP_2)
	v_dual_add_f32 v2, v2, v4 :: v_dual_add_f32 v1, v1, v22
	v_mul_f32_e32 v4, v135, v17
	v_dual_fmac_f32 v143, v127, v8 :: v_dual_add_f32 v2, v2, v3
	s_delay_alu instid0(VALU_DEP_3) | instskip(NEXT) | instid1(VALU_DEP_3)
	v_add_f32_e32 v1, v1, v142
	v_fma_f32 v4, v134, v16, -v4
	v_mul_f32_e32 v5, v133, v15
	v_mul_f32_e32 v3, v137, v19
	s_delay_alu instid0(VALU_DEP_4) | instskip(NEXT) | instid1(VALU_DEP_3)
	v_add_f32_e32 v1, v1, v143
	v_fma_f32 v5, v132, v14, -v5
	v_fmac_f32_e32 v145, v131, v12
	s_delay_alu instid0(VALU_DEP_4) | instskip(NEXT) | instid1(VALU_DEP_3)
	v_fma_f32 v3, v136, v18, -v3
	v_add_f32_e32 v2, v2, v5
	s_delay_alu instid0(VALU_DEP_1) | instskip(SKIP_1) | instid1(VALU_DEP_2)
	v_dual_mul_f32 v5, v139, v21 :: v_dual_add_f32 v2, v2, v4
	v_add_f32_e32 v1, v1, v144
	v_fma_f32 v4, v138, v20, -v5
	s_delay_alu instid0(VALU_DEP_2) | instskip(NEXT) | instid1(VALU_DEP_1)
	v_dual_add_f32 v2, v2, v3 :: v_dual_add_f32 v1, v1, v145
	v_dual_add_f32 v2, v2, v4 :: v_dual_add_f32 v1, v1, v146
	s_delay_alu instid0(VALU_DEP_1) | instskip(NEXT) | instid1(VALU_DEP_1)
	v_add_f32_e32 v1, v1, v147
	v_add_f32_e32 v1, v1, v148
	s_delay_alu instid0(VALU_DEP_1) | instskip(SKIP_1) | instid1(VALU_DEP_1)
	v_add_f32_e32 v3, v1, v149
	s_wait_loadcnt 0x0
	v_dual_sub_f32 v1, v140, v2 :: v_dual_sub_f32 v2, v141, v3
	scratch_store_b64 off, v[1:2], off offset:296
	v_cmpx_lt_u32_e32 36, v0
	s_cbranch_execz .LBB47_229
; %bb.228:
	scratch_load_b64 v[1:2], off, off offset:288
	v_mov_b32_e32 v3, 0
	s_delay_alu instid0(VALU_DEP_1)
	v_mov_b32_e32 v4, v3
	scratch_store_b64 off, v[3:4], off offset:288
	s_wait_loadcnt 0x0
	ds_store_b64 v23, v[1:2]
.LBB47_229:
	s_wait_alu 0xfffe
	s_or_b32 exec_lo, exec_lo, s0
	s_wait_storecnt_dscnt 0x0
	s_barrier_signal -1
	s_barrier_wait -1
	global_inv scope:SCOPE_SE
	s_clause 0x6
	scratch_load_b128 v[2:5], off, off offset:296
	scratch_load_b128 v[6:9], off, off offset:312
	;; [unrolled: 1-line block ×5, first 2 shown]
	scratch_load_b64 v[140:141], off, off offset:376
	scratch_load_b64 v[142:143], off, off offset:288
	v_mov_b32_e32 v1, 0
	ds_load_2addr_b64 v[24:27], v1 offset0:85 offset1:86
	ds_load_2addr_b64 v[124:127], v1 offset0:87 offset1:88
	;; [unrolled: 1-line block ×5, first 2 shown]
	ds_load_b64 v[144:145], v1 offset:760
	s_mov_b32 s0, exec_lo
	s_wait_loadcnt_dscnt 0x605
	v_mul_f32_e32 v22, v24, v3
	v_dual_mul_f32 v3, v25, v3 :: v_dual_mul_f32 v146, v26, v5
	s_wait_loadcnt_dscnt 0x302
	v_dual_mul_f32 v147, v124, v7 :: v_dual_mul_f32 v152, v134, v17
	v_mul_f32_e32 v5, v27, v5
	s_delay_alu instid0(VALU_DEP_3)
	v_fma_f32 v3, v24, v2, -v3
	v_dual_mul_f32 v148, v126, v9 :: v_dual_mul_f32 v149, v128, v11
	s_wait_loadcnt_dscnt 0x100
	v_dual_mul_f32 v155, v144, v141 :: v_dual_fmac_f32 v22, v25, v2
	v_mul_f32_e32 v2, v125, v7
	v_dual_fmac_f32 v146, v27, v4 :: v_dual_add_f32 v3, 0, v3
	v_fma_f32 v4, v26, v4, -v5
	s_delay_alu instid0(VALU_DEP_4) | instskip(SKIP_2) | instid1(VALU_DEP_4)
	v_dual_add_f32 v5, 0, v22 :: v_dual_fmac_f32 v148, v127, v8
	v_mul_f32_e32 v7, v127, v9
	v_fma_f32 v2, v124, v6, -v2
	v_add_f32_e32 v3, v3, v4
	v_fmac_f32_e32 v147, v125, v6
	v_add_f32_e32 v4, v5, v146
	v_mul_f32_e32 v5, v129, v11
	v_fma_f32 v6, v126, v8, -v7
	v_add_f32_e32 v2, v3, v2
	v_dual_mul_f32 v150, v130, v13 :: v_dual_mul_f32 v151, v132, v15
	v_dual_add_f32 v3, v4, v147 :: v_dual_mul_f32 v4, v131, v13
	v_fma_f32 v5, v128, v10, -v5
	s_delay_alu instid0(VALU_DEP_4)
	v_add_f32_e32 v2, v2, v6
	v_fmac_f32_e32 v149, v129, v10
	v_mul_f32_e32 v6, v133, v15
	v_fmac_f32_e32 v150, v131, v12
	v_add_f32_e32 v3, v3, v148
	v_fma_f32 v4, v130, v12, -v4
	v_add_f32_e32 v2, v2, v5
	v_mul_f32_e32 v5, v135, v17
	v_fma_f32 v6, v132, v14, -v6
	v_add_f32_e32 v3, v3, v149
	v_dual_fmac_f32 v151, v133, v14 :: v_dual_fmac_f32 v152, v135, v16
	v_add_f32_e32 v2, v2, v4
	v_mul_f32_e32 v4, v137, v19
	v_fma_f32 v5, v134, v16, -v5
	v_dual_mul_f32 v153, v136, v19 :: v_dual_mul_f32 v154, v138, v21
	s_delay_alu instid0(VALU_DEP_4) | instskip(SKIP_1) | instid1(VALU_DEP_3)
	v_add_f32_e32 v2, v2, v6
	v_add_f32_e32 v3, v3, v150
	v_dual_mul_f32 v6, v139, v21 :: v_dual_fmac_f32 v153, v137, v18
	v_fma_f32 v4, v136, v18, -v4
	s_delay_alu instid0(VALU_DEP_3) | instskip(SKIP_1) | instid1(VALU_DEP_4)
	v_dual_add_f32 v2, v2, v5 :: v_dual_add_f32 v3, v3, v151
	v_dual_mul_f32 v5, v145, v141 :: v_dual_fmac_f32 v154, v139, v20
	v_fma_f32 v6, v138, v20, -v6
	s_delay_alu instid0(VALU_DEP_3) | instskip(NEXT) | instid1(VALU_DEP_4)
	v_add_f32_e32 v2, v2, v4
	v_add_f32_e32 v3, v3, v152
	s_delay_alu instid0(VALU_DEP_4) | instskip(NEXT) | instid1(VALU_DEP_2)
	v_fma_f32 v4, v144, v140, -v5
	v_dual_add_f32 v2, v2, v6 :: v_dual_add_f32 v3, v3, v153
	s_delay_alu instid0(VALU_DEP_1) | instskip(SKIP_1) | instid1(VALU_DEP_1)
	v_dual_add_f32 v2, v2, v4 :: v_dual_add_f32 v3, v3, v154
	s_wait_loadcnt 0x0
	v_dual_fmac_f32 v155, v145, v140 :: v_dual_sub_f32 v2, v142, v2
	s_delay_alu instid0(VALU_DEP_1) | instskip(NEXT) | instid1(VALU_DEP_1)
	v_add_f32_e32 v3, v3, v155
	v_sub_f32_e32 v3, v143, v3
	scratch_store_b64 off, v[2:3], off offset:288
	v_cmpx_lt_u32_e32 35, v0
	s_cbranch_execz .LBB47_231
; %bb.230:
	scratch_load_b64 v[3:4], off, off offset:280
	v_mov_b32_e32 v2, v1
	scratch_store_b64 off, v[1:2], off offset:280
	s_wait_loadcnt 0x0
	ds_store_b64 v23, v[3:4]
.LBB47_231:
	s_wait_alu 0xfffe
	s_or_b32 exec_lo, exec_lo, s0
	s_wait_storecnt_dscnt 0x0
	s_barrier_signal -1
	s_barrier_wait -1
	global_inv scope:SCOPE_SE
	s_clause 0x6
	scratch_load_b128 v[2:5], off, off offset:288
	scratch_load_b128 v[6:9], off, off offset:304
	;; [unrolled: 1-line block ×6, first 2 shown]
	scratch_load_b64 v[148:149], off, off offset:280
	ds_load_b128 v[124:127], v1 offset:672
	ds_load_b128 v[128:131], v1 offset:688
	;; [unrolled: 1-line block ×6, first 2 shown]
	s_mov_b32 s0, exec_lo
	s_wait_loadcnt_dscnt 0x605
	v_dual_mul_f32 v1, v124, v3 :: v_dual_mul_f32 v22, v126, v5
	v_mul_f32_e32 v3, v125, v3
	s_wait_loadcnt_dscnt 0x504
	v_dual_mul_f32 v5, v127, v5 :: v_dual_mul_f32 v150, v128, v7
	v_mul_f32_e32 v151, v130, v9
	s_wait_loadcnt_dscnt 0x100
	v_mul_f32_e32 v158, v144, v25
	v_fma_f32 v3, v124, v2, -v3
	v_dual_mul_f32 v159, v146, v27 :: v_dual_fmac_f32 v22, v127, v4
	v_fmac_f32_e32 v1, v125, v2
	v_mul_f32_e32 v2, v129, v7
	v_fma_f32 v4, v126, v4, -v5
	v_dual_add_f32 v3, 0, v3 :: v_dual_fmac_f32 v150, v129, v6
	v_dual_mul_f32 v152, v132, v11 :: v_dual_mul_f32 v153, v134, v13
	v_dual_mul_f32 v154, v136, v15 :: v_dual_mul_f32 v155, v138, v17
	s_delay_alu instid0(VALU_DEP_2) | instskip(SKIP_1) | instid1(VALU_DEP_3)
	v_dual_mul_f32 v5, v131, v9 :: v_dual_fmac_f32 v152, v133, v10
	v_fma_f32 v2, v128, v6, -v2
	v_dual_add_f32 v3, v3, v4 :: v_dual_fmac_f32 v154, v137, v14
	s_delay_alu instid0(VALU_DEP_3) | instskip(SKIP_2) | instid1(VALU_DEP_4)
	v_fma_f32 v5, v130, v8, -v5
	v_mul_f32_e32 v4, v133, v11
	v_dual_mul_f32 v156, v140, v19 :: v_dual_mul_f32 v157, v142, v21
	v_add_f32_e32 v2, v3, v2
	v_mul_f32_e32 v3, v135, v13
	s_delay_alu instid0(VALU_DEP_4) | instskip(NEXT) | instid1(VALU_DEP_4)
	v_fma_f32 v4, v132, v10, -v4
	v_dual_fmac_f32 v156, v141, v18 :: v_dual_fmac_f32 v155, v139, v16
	s_delay_alu instid0(VALU_DEP_4) | instskip(SKIP_3) | instid1(VALU_DEP_4)
	v_add_f32_e32 v2, v2, v5
	v_add_f32_e32 v1, 0, v1
	v_fma_f32 v3, v134, v12, -v3
	v_fmac_f32_e32 v157, v143, v20
	v_dual_fmac_f32 v159, v147, v26 :: v_dual_add_f32 v2, v2, v4
	s_delay_alu instid0(VALU_DEP_4) | instskip(SKIP_2) | instid1(VALU_DEP_3)
	v_dual_add_f32 v1, v1, v22 :: v_dual_mul_f32 v4, v139, v17
	v_fmac_f32_e32 v151, v131, v8
	v_fmac_f32_e32 v158, v145, v24
	v_dual_add_f32 v2, v2, v3 :: v_dual_add_f32 v1, v1, v150
	s_delay_alu instid0(VALU_DEP_4) | instskip(SKIP_1) | instid1(VALU_DEP_3)
	v_fma_f32 v4, v138, v16, -v4
	v_mul_f32_e32 v5, v137, v15
	v_add_f32_e32 v1, v1, v151
	s_delay_alu instid0(VALU_DEP_2) | instskip(NEXT) | instid1(VALU_DEP_1)
	v_fma_f32 v5, v136, v14, -v5
	v_dual_fmac_f32 v153, v135, v12 :: v_dual_add_f32 v2, v2, v5
	s_delay_alu instid0(VALU_DEP_1) | instskip(NEXT) | instid1(VALU_DEP_1)
	v_dual_mul_f32 v5, v143, v21 :: v_dual_add_f32 v2, v2, v4
	v_fma_f32 v5, v142, v20, -v5
	v_mul_f32_e32 v3, v141, v19
	v_mul_f32_e32 v4, v145, v25
	s_delay_alu instid0(VALU_DEP_2) | instskip(SKIP_1) | instid1(VALU_DEP_3)
	v_fma_f32 v3, v140, v18, -v3
	v_add_f32_e32 v1, v1, v152
	v_fma_f32 v4, v144, v24, -v4
	s_delay_alu instid0(VALU_DEP_3) | instskip(NEXT) | instid1(VALU_DEP_1)
	v_add_f32_e32 v2, v2, v3
	v_dual_mul_f32 v3, v147, v27 :: v_dual_add_f32 v2, v2, v5
	s_delay_alu instid0(VALU_DEP_4) | instskip(NEXT) | instid1(VALU_DEP_2)
	v_add_f32_e32 v1, v1, v153
	v_fma_f32 v3, v146, v26, -v3
	s_delay_alu instid0(VALU_DEP_2) | instskip(NEXT) | instid1(VALU_DEP_1)
	v_dual_add_f32 v2, v2, v4 :: v_dual_add_f32 v1, v1, v154
	v_add_f32_e32 v2, v2, v3
	s_delay_alu instid0(VALU_DEP_2) | instskip(NEXT) | instid1(VALU_DEP_1)
	v_add_f32_e32 v1, v1, v155
	v_add_f32_e32 v1, v1, v156
	s_delay_alu instid0(VALU_DEP_1) | instskip(NEXT) | instid1(VALU_DEP_1)
	v_add_f32_e32 v1, v1, v157
	v_add_f32_e32 v1, v1, v158
	s_delay_alu instid0(VALU_DEP_1) | instskip(SKIP_1) | instid1(VALU_DEP_1)
	v_add_f32_e32 v3, v1, v159
	s_wait_loadcnt 0x0
	v_dual_sub_f32 v1, v148, v2 :: v_dual_sub_f32 v2, v149, v3
	scratch_store_b64 off, v[1:2], off offset:280
	v_cmpx_lt_u32_e32 34, v0
	s_cbranch_execz .LBB47_233
; %bb.232:
	scratch_load_b64 v[1:2], off, off offset:272
	v_mov_b32_e32 v3, 0
	s_delay_alu instid0(VALU_DEP_1)
	v_mov_b32_e32 v4, v3
	scratch_store_b64 off, v[3:4], off offset:272
	s_wait_loadcnt 0x0
	ds_store_b64 v23, v[1:2]
.LBB47_233:
	s_wait_alu 0xfffe
	s_or_b32 exec_lo, exec_lo, s0
	s_wait_storecnt_dscnt 0x0
	s_barrier_signal -1
	s_barrier_wait -1
	global_inv scope:SCOPE_SE
	s_clause 0x7
	scratch_load_b128 v[2:5], off, off offset:280
	scratch_load_b128 v[6:9], off, off offset:296
	;; [unrolled: 1-line block ×6, first 2 shown]
	scratch_load_b64 v[148:149], off, off offset:376
	scratch_load_b64 v[150:151], off, off offset:272
	v_mov_b32_e32 v1, 0
	ds_load_2addr_b64 v[124:127], v1 offset0:83 offset1:84
	ds_load_2addr_b64 v[128:131], v1 offset0:85 offset1:86
	;; [unrolled: 1-line block ×6, first 2 shown]
	ds_load_b64 v[152:153], v1 offset:760
	s_mov_b32 s0, exec_lo
	s_wait_loadcnt_dscnt 0x706
	v_mul_f32_e32 v22, v124, v3
	v_dual_mul_f32 v3, v125, v3 :: v_dual_mul_f32 v154, v126, v5
	s_wait_loadcnt_dscnt 0x302
	v_dual_mul_f32 v155, v128, v7 :: v_dual_mul_f32 v162, v142, v21
	v_mul_f32_e32 v5, v127, v5
	s_delay_alu instid0(VALU_DEP_3)
	v_fma_f32 v3, v124, v2, -v3
	v_dual_mul_f32 v156, v130, v9 :: v_dual_mul_f32 v157, v132, v11
	s_wait_loadcnt_dscnt 0x100
	v_dual_mul_f32 v165, v152, v149 :: v_dual_fmac_f32 v22, v125, v2
	v_mul_f32_e32 v2, v129, v7
	v_dual_fmac_f32 v154, v127, v4 :: v_dual_add_f32 v3, 0, v3
	v_fma_f32 v4, v126, v4, -v5
	s_delay_alu instid0(VALU_DEP_4) | instskip(SKIP_2) | instid1(VALU_DEP_4)
	v_dual_add_f32 v5, 0, v22 :: v_dual_fmac_f32 v156, v131, v8
	v_mul_f32_e32 v7, v131, v9
	v_fma_f32 v2, v128, v6, -v2
	v_add_f32_e32 v3, v3, v4
	v_fmac_f32_e32 v155, v129, v6
	v_add_f32_e32 v4, v5, v154
	v_mul_f32_e32 v5, v133, v11
	v_fma_f32 v6, v130, v8, -v7
	v_add_f32_e32 v2, v3, v2
	v_dual_mul_f32 v158, v134, v13 :: v_dual_mul_f32 v159, v136, v15
	v_dual_add_f32 v3, v4, v155 :: v_dual_mul_f32 v4, v135, v13
	v_fma_f32 v5, v132, v10, -v5
	s_delay_alu instid0(VALU_DEP_4)
	v_add_f32_e32 v2, v2, v6
	v_fmac_f32_e32 v157, v133, v10
	v_mul_f32_e32 v6, v137, v15
	v_fmac_f32_e32 v158, v135, v12
	v_add_f32_e32 v3, v3, v156
	v_fma_f32 v4, v134, v12, -v4
	v_add_f32_e32 v2, v2, v5
	v_dual_mul_f32 v160, v138, v17 :: v_dual_mul_f32 v161, v140, v19
	s_delay_alu instid0(VALU_DEP_4)
	v_add_f32_e32 v3, v3, v157
	v_mul_f32_e32 v5, v139, v17
	v_fma_f32 v6, v136, v14, -v6
	v_dual_add_f32 v2, v2, v4 :: v_dual_fmac_f32 v159, v137, v14
	v_fmac_f32_e32 v160, v139, v16
	v_mul_f32_e32 v4, v141, v19
	v_fma_f32 v5, v138, v16, -v5
	s_delay_alu instid0(VALU_DEP_4) | instskip(SKIP_3) | instid1(VALU_DEP_3)
	v_add_f32_e32 v2, v2, v6
	v_add_f32_e32 v3, v3, v158
	v_dual_mul_f32 v6, v143, v21 :: v_dual_fmac_f32 v161, v141, v18
	v_fma_f32 v4, v140, v18, -v4
	v_dual_add_f32 v2, v2, v5 :: v_dual_add_f32 v3, v3, v159
	s_delay_alu instid0(VALU_DEP_3) | instskip(SKIP_1) | instid1(VALU_DEP_3)
	v_fma_f32 v6, v142, v20, -v6
	v_dual_mul_f32 v163, v144, v25 :: v_dual_mul_f32 v164, v146, v27
	v_add_f32_e32 v2, v2, v4
	s_delay_alu instid0(VALU_DEP_4) | instskip(SKIP_1) | instid1(VALU_DEP_4)
	v_add_f32_e32 v3, v3, v160
	v_dual_mul_f32 v5, v145, v25 :: v_dual_fmac_f32 v162, v143, v20
	v_dual_mul_f32 v4, v147, v27 :: v_dual_fmac_f32 v163, v145, v24
	s_delay_alu instid0(VALU_DEP_3) | instskip(NEXT) | instid1(VALU_DEP_3)
	v_dual_add_f32 v2, v2, v6 :: v_dual_add_f32 v3, v3, v161
	v_fma_f32 v5, v144, v24, -v5
	v_mul_f32_e32 v6, v153, v149
	v_dual_fmac_f32 v164, v147, v26 :: v_dual_fmac_f32 v165, v153, v148
	s_delay_alu instid0(VALU_DEP_4) | instskip(SKIP_3) | instid1(VALU_DEP_4)
	v_add_f32_e32 v3, v3, v162
	v_fma_f32 v4, v146, v26, -v4
	v_add_f32_e32 v2, v2, v5
	v_fma_f32 v5, v152, v148, -v6
	v_add_f32_e32 v3, v3, v163
	s_delay_alu instid0(VALU_DEP_1) | instskip(NEXT) | instid1(VALU_DEP_1)
	v_add_f32_e32 v3, v3, v164
	v_dual_add_f32 v2, v2, v4 :: v_dual_add_f32 v3, v3, v165
	s_wait_loadcnt 0x0
	s_delay_alu instid0(VALU_DEP_1) | instskip(NEXT) | instid1(VALU_DEP_1)
	v_dual_add_f32 v2, v2, v5 :: v_dual_sub_f32 v3, v151, v3
	v_sub_f32_e32 v2, v150, v2
	scratch_store_b64 off, v[2:3], off offset:272
	v_cmpx_lt_u32_e32 33, v0
	s_cbranch_execz .LBB47_235
; %bb.234:
	scratch_load_b64 v[3:4], off, off offset:264
	v_mov_b32_e32 v2, v1
	scratch_store_b64 off, v[1:2], off offset:264
	s_wait_loadcnt 0x0
	ds_store_b64 v23, v[3:4]
.LBB47_235:
	s_wait_alu 0xfffe
	s_or_b32 exec_lo, exec_lo, s0
	s_wait_storecnt_dscnt 0x0
	s_barrier_signal -1
	s_barrier_wait -1
	global_inv scope:SCOPE_SE
	s_clause 0x7
	scratch_load_b128 v[2:5], off, off offset:272
	scratch_load_b128 v[6:9], off, off offset:288
	;; [unrolled: 1-line block ×7, first 2 shown]
	scratch_load_b64 v[156:157], off, off offset:264
	ds_load_b128 v[128:131], v1 offset:656
	ds_load_b128 v[132:135], v1 offset:672
	ds_load_b128 v[136:139], v1 offset:688
	ds_load_b128 v[140:143], v1 offset:704
	ds_load_b128 v[144:147], v1 offset:720
	ds_load_b128 v[148:151], v1 offset:736
	ds_load_b128 v[152:155], v1 offset:752
	s_mov_b32 s0, exec_lo
	s_wait_loadcnt_dscnt 0x706
	v_dual_mul_f32 v1, v128, v3 :: v_dual_mul_f32 v22, v130, v5
	v_mul_f32_e32 v3, v129, v3
	s_wait_loadcnt_dscnt 0x605
	v_dual_mul_f32 v5, v131, v5 :: v_dual_mul_f32 v158, v132, v7
	v_mul_f32_e32 v159, v134, v9
	s_wait_loadcnt_dscnt 0x201
	v_mul_f32_e32 v166, v148, v25
	v_fma_f32 v3, v128, v2, -v3
	s_wait_loadcnt_dscnt 0x100
	v_dual_mul_f32 v169, v154, v127 :: v_dual_fmac_f32 v22, v131, v4
	v_fmac_f32_e32 v1, v129, v2
	v_mul_f32_e32 v2, v133, v7
	v_fma_f32 v4, v130, v4, -v5
	v_dual_add_f32 v3, 0, v3 :: v_dual_fmac_f32 v158, v133, v6
	v_dual_mul_f32 v160, v136, v11 :: v_dual_mul_f32 v161, v138, v13
	v_dual_mul_f32 v162, v140, v15 :: v_dual_mul_f32 v163, v142, v17
	s_delay_alu instid0(VALU_DEP_2) | instskip(SKIP_1) | instid1(VALU_DEP_3)
	v_dual_mul_f32 v5, v135, v9 :: v_dual_fmac_f32 v160, v137, v10
	v_fma_f32 v2, v132, v6, -v2
	v_dual_add_f32 v3, v3, v4 :: v_dual_fmac_f32 v162, v141, v14
	s_delay_alu instid0(VALU_DEP_3) | instskip(SKIP_1) | instid1(VALU_DEP_3)
	v_fma_f32 v5, v134, v8, -v5
	v_dual_mul_f32 v164, v144, v19 :: v_dual_mul_f32 v165, v146, v21
	v_add_f32_e32 v2, v3, v2
	v_dual_mul_f32 v4, v137, v11 :: v_dual_mul_f32 v3, v139, v13
	s_delay_alu instid0(VALU_DEP_3) | instskip(NEXT) | instid1(VALU_DEP_3)
	v_dual_fmac_f32 v164, v145, v18 :: v_dual_fmac_f32 v163, v143, v16
	v_add_f32_e32 v2, v2, v5
	v_add_f32_e32 v1, 0, v1
	s_delay_alu instid0(VALU_DEP_4) | instskip(SKIP_2) | instid1(VALU_DEP_3)
	v_fma_f32 v4, v136, v10, -v4
	v_fma_f32 v3, v138, v12, -v3
	v_dual_mul_f32 v167, v150, v27 :: v_dual_mul_f32 v168, v152, v125
	v_dual_add_f32 v1, v1, v22 :: v_dual_add_f32 v2, v2, v4
	v_mul_f32_e32 v4, v143, v17
	v_fmac_f32_e32 v159, v135, v8
	s_delay_alu instid0(VALU_DEP_4) | instskip(NEXT) | instid1(VALU_DEP_4)
	v_fmac_f32_e32 v167, v151, v26
	v_dual_add_f32 v1, v1, v158 :: v_dual_add_f32 v2, v2, v3
	s_delay_alu instid0(VALU_DEP_4) | instskip(SKIP_2) | instid1(VALU_DEP_4)
	v_fma_f32 v4, v142, v16, -v4
	v_mul_f32_e32 v5, v141, v15
	v_fmac_f32_e32 v169, v155, v126
	v_add_f32_e32 v1, v1, v159
	v_fmac_f32_e32 v166, v149, v24
	v_fmac_f32_e32 v168, v153, v124
	v_fma_f32 v5, v140, v14, -v5
	s_delay_alu instid0(VALU_DEP_1) | instskip(NEXT) | instid1(VALU_DEP_1)
	v_dual_fmac_f32 v161, v139, v12 :: v_dual_add_f32 v2, v2, v5
	v_dual_mul_f32 v5, v147, v21 :: v_dual_add_f32 v2, v2, v4
	s_delay_alu instid0(VALU_DEP_1) | instskip(SKIP_2) | instid1(VALU_DEP_2)
	v_fma_f32 v5, v146, v20, -v5
	v_mul_f32_e32 v3, v145, v19
	v_mul_f32_e32 v4, v149, v25
	v_fma_f32 v3, v144, v18, -v3
	v_add_f32_e32 v1, v1, v160
	s_delay_alu instid0(VALU_DEP_3) | instskip(NEXT) | instid1(VALU_DEP_3)
	v_fma_f32 v4, v148, v24, -v4
	v_add_f32_e32 v2, v2, v3
	s_delay_alu instid0(VALU_DEP_1) | instskip(NEXT) | instid1(VALU_DEP_4)
	v_dual_mul_f32 v3, v151, v27 :: v_dual_add_f32 v2, v2, v5
	v_add_f32_e32 v1, v1, v161
	v_mul_f32_e32 v5, v153, v125
	s_delay_alu instid0(VALU_DEP_3) | instskip(NEXT) | instid1(VALU_DEP_3)
	v_fma_f32 v3, v150, v26, -v3
	v_dual_add_f32 v2, v2, v4 :: v_dual_add_f32 v1, v1, v162
	v_mul_f32_e32 v4, v155, v127
	v_fmac_f32_e32 v165, v147, v20
	v_fma_f32 v5, v152, v124, -v5
	s_delay_alu instid0(VALU_DEP_4) | instskip(SKIP_2) | instid1(VALU_DEP_2)
	v_add_f32_e32 v2, v2, v3
	v_add_f32_e32 v1, v1, v163
	v_fma_f32 v3, v154, v126, -v4
	v_dual_add_f32 v2, v2, v5 :: v_dual_add_f32 v1, v1, v164
	s_delay_alu instid0(VALU_DEP_1) | instskip(NEXT) | instid1(VALU_DEP_1)
	v_dual_add_f32 v2, v2, v3 :: v_dual_add_f32 v1, v1, v165
	v_add_f32_e32 v1, v1, v166
	s_delay_alu instid0(VALU_DEP_1) | instskip(NEXT) | instid1(VALU_DEP_1)
	v_add_f32_e32 v1, v1, v167
	v_add_f32_e32 v1, v1, v168
	s_delay_alu instid0(VALU_DEP_1) | instskip(SKIP_1) | instid1(VALU_DEP_1)
	v_add_f32_e32 v3, v1, v169
	s_wait_loadcnt 0x0
	v_dual_sub_f32 v1, v156, v2 :: v_dual_sub_f32 v2, v157, v3
	scratch_store_b64 off, v[1:2], off offset:264
	v_cmpx_lt_u32_e32 32, v0
	s_cbranch_execz .LBB47_237
; %bb.236:
	scratch_load_b64 v[1:2], off, off offset:256
	v_mov_b32_e32 v3, 0
	s_delay_alu instid0(VALU_DEP_1)
	v_mov_b32_e32 v4, v3
	scratch_store_b64 off, v[3:4], off offset:256
	s_wait_loadcnt 0x0
	ds_store_b64 v23, v[1:2]
.LBB47_237:
	s_wait_alu 0xfffe
	s_or_b32 exec_lo, exec_lo, s0
	s_wait_storecnt_dscnt 0x0
	s_barrier_signal -1
	s_barrier_wait -1
	global_inv scope:SCOPE_SE
	s_clause 0x8
	scratch_load_b128 v[2:5], off, off offset:264
	scratch_load_b128 v[6:9], off, off offset:280
	;; [unrolled: 1-line block ×7, first 2 shown]
	scratch_load_b64 v[156:157], off, off offset:376
	scratch_load_b64 v[158:159], off, off offset:256
	v_mov_b32_e32 v1, 0
	ds_load_2addr_b64 v[128:131], v1 offset0:81 offset1:82
	ds_load_2addr_b64 v[132:135], v1 offset0:83 offset1:84
	;; [unrolled: 1-line block ×7, first 2 shown]
	ds_load_b64 v[160:161], v1 offset:760
	s_mov_b32 s0, exec_lo
	s_wait_loadcnt_dscnt 0x807
	v_mul_f32_e32 v22, v128, v3
	v_dual_mul_f32 v3, v129, v3 :: v_dual_mul_f32 v162, v130, v5
	s_wait_loadcnt_dscnt 0x403
	v_dual_mul_f32 v163, v132, v7 :: v_dual_mul_f32 v170, v146, v21
	v_mul_f32_e32 v5, v131, v5
	s_delay_alu instid0(VALU_DEP_3)
	v_fma_f32 v3, v128, v2, -v3
	v_dual_mul_f32 v164, v134, v9 :: v_dual_mul_f32 v165, v136, v11
	s_wait_loadcnt_dscnt 0x100
	v_dual_mul_f32 v175, v160, v157 :: v_dual_fmac_f32 v22, v129, v2
	v_mul_f32_e32 v2, v133, v7
	v_dual_fmac_f32 v162, v131, v4 :: v_dual_add_f32 v3, 0, v3
	v_fma_f32 v4, v130, v4, -v5
	s_delay_alu instid0(VALU_DEP_4) | instskip(SKIP_2) | instid1(VALU_DEP_4)
	v_dual_add_f32 v5, 0, v22 :: v_dual_fmac_f32 v164, v135, v8
	v_mul_f32_e32 v7, v135, v9
	v_fma_f32 v2, v132, v6, -v2
	v_add_f32_e32 v3, v3, v4
	v_fmac_f32_e32 v163, v133, v6
	v_add_f32_e32 v4, v5, v162
	v_mul_f32_e32 v5, v137, v11
	v_fma_f32 v6, v134, v8, -v7
	v_add_f32_e32 v2, v3, v2
	v_dual_mul_f32 v166, v138, v13 :: v_dual_mul_f32 v167, v140, v15
	v_dual_add_f32 v3, v4, v163 :: v_dual_mul_f32 v4, v139, v13
	v_fma_f32 v5, v136, v10, -v5
	s_delay_alu instid0(VALU_DEP_4)
	v_add_f32_e32 v2, v2, v6
	v_fmac_f32_e32 v165, v137, v10
	v_mul_f32_e32 v6, v141, v15
	v_fmac_f32_e32 v166, v139, v12
	v_add_f32_e32 v3, v3, v164
	v_fma_f32 v4, v138, v12, -v4
	v_add_f32_e32 v2, v2, v5
	v_dual_mul_f32 v168, v142, v17 :: v_dual_mul_f32 v169, v144, v19
	s_delay_alu instid0(VALU_DEP_4)
	v_add_f32_e32 v3, v3, v165
	v_mul_f32_e32 v5, v143, v17
	v_fma_f32 v6, v140, v14, -v6
	v_dual_add_f32 v2, v2, v4 :: v_dual_fmac_f32 v167, v141, v14
	v_fmac_f32_e32 v168, v143, v16
	v_mul_f32_e32 v4, v145, v19
	v_fma_f32 v5, v142, v16, -v5
	s_delay_alu instid0(VALU_DEP_4) | instskip(SKIP_3) | instid1(VALU_DEP_3)
	v_add_f32_e32 v2, v2, v6
	v_add_f32_e32 v3, v3, v166
	v_dual_mul_f32 v6, v147, v21 :: v_dual_fmac_f32 v169, v145, v18
	v_fma_f32 v4, v144, v18, -v4
	v_dual_add_f32 v2, v2, v5 :: v_dual_add_f32 v3, v3, v167
	s_delay_alu instid0(VALU_DEP_3) | instskip(SKIP_1) | instid1(VALU_DEP_3)
	v_fma_f32 v6, v146, v20, -v6
	v_dual_mul_f32 v171, v148, v25 :: v_dual_mul_f32 v172, v150, v27
	v_add_f32_e32 v2, v2, v4
	s_delay_alu instid0(VALU_DEP_4) | instskip(SKIP_1) | instid1(VALU_DEP_4)
	v_add_f32_e32 v3, v3, v168
	v_dual_mul_f32 v5, v149, v25 :: v_dual_fmac_f32 v170, v147, v20
	v_dual_mul_f32 v4, v151, v27 :: v_dual_fmac_f32 v171, v149, v24
	s_delay_alu instid0(VALU_DEP_3) | instskip(NEXT) | instid1(VALU_DEP_3)
	v_dual_add_f32 v2, v2, v6 :: v_dual_add_f32 v3, v3, v169
	v_fma_f32 v5, v148, v24, -v5
	v_dual_mul_f32 v173, v152, v125 :: v_dual_mul_f32 v174, v154, v127
	s_delay_alu instid0(VALU_DEP_3) | instskip(NEXT) | instid1(VALU_DEP_2)
	v_dual_mul_f32 v6, v153, v125 :: v_dual_add_f32 v3, v3, v170
	v_dual_fmac_f32 v172, v151, v26 :: v_dual_fmac_f32 v173, v153, v124
	v_fma_f32 v4, v150, v26, -v4
	s_delay_alu instid0(VALU_DEP_3) | instskip(SKIP_3) | instid1(VALU_DEP_4)
	v_dual_add_f32 v2, v2, v5 :: v_dual_add_f32 v3, v3, v171
	v_mul_f32_e32 v5, v155, v127
	v_fma_f32 v6, v152, v124, -v6
	v_dual_fmac_f32 v174, v155, v126 :: v_dual_fmac_f32 v175, v161, v156
	v_add_f32_e32 v2, v2, v4
	v_dual_add_f32 v3, v3, v172 :: v_dual_mul_f32 v4, v161, v157
	v_fma_f32 v5, v154, v126, -v5
	s_delay_alu instid0(VALU_DEP_2) | instskip(NEXT) | instid1(VALU_DEP_3)
	v_dual_add_f32 v2, v2, v6 :: v_dual_add_f32 v3, v3, v173
	v_fma_f32 v4, v160, v156, -v4
	s_delay_alu instid0(VALU_DEP_2) | instskip(NEXT) | instid1(VALU_DEP_1)
	v_dual_add_f32 v2, v2, v5 :: v_dual_add_f32 v3, v3, v174
	v_dual_add_f32 v2, v2, v4 :: v_dual_add_f32 v3, v3, v175
	s_wait_loadcnt 0x0
	s_delay_alu instid0(VALU_DEP_1)
	v_dual_sub_f32 v2, v158, v2 :: v_dual_sub_f32 v3, v159, v3
	scratch_store_b64 off, v[2:3], off offset:256
	v_cmpx_lt_u32_e32 31, v0
	s_cbranch_execz .LBB47_239
; %bb.238:
	scratch_load_b64 v[3:4], off, off offset:248
	v_mov_b32_e32 v2, v1
	scratch_store_b64 off, v[1:2], off offset:248
	s_wait_loadcnt 0x0
	ds_store_b64 v23, v[3:4]
.LBB47_239:
	s_wait_alu 0xfffe
	s_or_b32 exec_lo, exec_lo, s0
	s_wait_storecnt_dscnt 0x0
	s_barrier_signal -1
	s_barrier_wait -1
	global_inv scope:SCOPE_SE
	s_clause 0x8
	scratch_load_b128 v[2:5], off, off offset:256
	scratch_load_b128 v[6:9], off, off offset:272
	scratch_load_b128 v[10:13], off, off offset:288
	scratch_load_b128 v[14:17], off, off offset:304
	scratch_load_b128 v[18:21], off, off offset:320
	scratch_load_b128 v[24:27], off, off offset:336
	scratch_load_b128 v[124:127], off, off offset:352
	scratch_load_b128 v[128:131], off, off offset:368
	scratch_load_b64 v[164:165], off, off offset:248
	ds_load_b128 v[132:135], v1 offset:640
	ds_load_b128 v[136:139], v1 offset:656
	ds_load_b128 v[140:143], v1 offset:672
	ds_load_b128 v[144:147], v1 offset:688
	ds_load_b128 v[148:151], v1 offset:704
	ds_load_b128 v[152:155], v1 offset:720
	ds_load_b128 v[156:159], v1 offset:736
	ds_load_b128 v[160:163], v1 offset:752
	s_mov_b32 s0, exec_lo
	s_wait_loadcnt_dscnt 0x807
	v_dual_mul_f32 v1, v132, v3 :: v_dual_mul_f32 v22, v134, v5
	v_mul_f32_e32 v3, v133, v3
	s_wait_loadcnt_dscnt 0x706
	v_dual_mul_f32 v5, v135, v5 :: v_dual_mul_f32 v166, v136, v7
	v_mul_f32_e32 v167, v138, v9
	s_wait_loadcnt_dscnt 0x201
	v_mul_f32_e32 v176, v156, v125
	v_fma_f32 v3, v132, v2, -v3
	s_wait_loadcnt_dscnt 0x100
	v_dual_mul_f32 v179, v162, v131 :: v_dual_fmac_f32 v22, v135, v4
	v_fmac_f32_e32 v1, v133, v2
	v_mul_f32_e32 v2, v137, v7
	v_fma_f32 v4, v134, v4, -v5
	v_dual_add_f32 v3, 0, v3 :: v_dual_fmac_f32 v166, v137, v6
	v_dual_mul_f32 v168, v140, v11 :: v_dual_mul_f32 v169, v142, v13
	v_dual_mul_f32 v170, v144, v15 :: v_dual_mul_f32 v171, v146, v17
	s_delay_alu instid0(VALU_DEP_2) | instskip(SKIP_1) | instid1(VALU_DEP_3)
	v_dual_mul_f32 v5, v139, v9 :: v_dual_fmac_f32 v168, v141, v10
	v_fma_f32 v2, v136, v6, -v2
	v_dual_add_f32 v3, v3, v4 :: v_dual_fmac_f32 v170, v145, v14
	s_delay_alu instid0(VALU_DEP_3) | instskip(SKIP_1) | instid1(VALU_DEP_3)
	v_fma_f32 v5, v138, v8, -v5
	v_dual_mul_f32 v172, v148, v19 :: v_dual_mul_f32 v173, v150, v21
	v_add_f32_e32 v2, v3, v2
	v_dual_mul_f32 v4, v141, v11 :: v_dual_mul_f32 v3, v143, v13
	s_delay_alu instid0(VALU_DEP_3) | instskip(SKIP_1) | instid1(VALU_DEP_4)
	v_fmac_f32_e32 v172, v149, v18
	v_dual_mul_f32 v174, v152, v25 :: v_dual_mul_f32 v175, v154, v27
	v_add_f32_e32 v2, v2, v5
	v_add_f32_e32 v1, 0, v1
	v_fma_f32 v4, v140, v10, -v4
	v_fma_f32 v3, v142, v12, -v3
	v_fmac_f32_e32 v171, v147, v16
	v_dual_mul_f32 v177, v158, v127 :: v_dual_mul_f32 v178, v160, v129
	s_delay_alu instid0(VALU_DEP_4) | instskip(SKIP_2) | instid1(VALU_DEP_4)
	v_dual_add_f32 v1, v1, v22 :: v_dual_add_f32 v2, v2, v4
	v_mul_f32_e32 v4, v147, v17
	v_fmac_f32_e32 v167, v139, v8
	v_dual_fmac_f32 v175, v155, v26 :: v_dual_fmac_f32 v178, v161, v128
	s_delay_alu instid0(VALU_DEP_4) | instskip(NEXT) | instid1(VALU_DEP_4)
	v_add_f32_e32 v1, v1, v166
	v_fma_f32 v4, v146, v16, -v4
	v_mul_f32_e32 v5, v145, v15
	v_dual_add_f32 v2, v2, v3 :: v_dual_fmac_f32 v177, v159, v126
	s_delay_alu instid0(VALU_DEP_4) | instskip(SKIP_1) | instid1(VALU_DEP_4)
	v_add_f32_e32 v1, v1, v167
	v_fmac_f32_e32 v174, v153, v24
	v_fma_f32 v5, v144, v14, -v5
	v_fmac_f32_e32 v169, v143, v12
	v_dual_fmac_f32 v179, v163, v130 :: v_dual_fmac_f32 v176, v157, v124
	s_delay_alu instid0(VALU_DEP_3) | instskip(NEXT) | instid1(VALU_DEP_1)
	v_add_f32_e32 v2, v2, v5
	v_dual_mul_f32 v5, v151, v21 :: v_dual_add_f32 v2, v2, v4
	s_delay_alu instid0(VALU_DEP_1) | instskip(SKIP_2) | instid1(VALU_DEP_2)
	v_fma_f32 v5, v150, v20, -v5
	v_mul_f32_e32 v3, v149, v19
	v_mul_f32_e32 v4, v153, v25
	v_fma_f32 v3, v148, v18, -v3
	v_add_f32_e32 v1, v1, v168
	s_delay_alu instid0(VALU_DEP_3) | instskip(NEXT) | instid1(VALU_DEP_3)
	v_fma_f32 v4, v152, v24, -v4
	v_add_f32_e32 v2, v2, v3
	s_delay_alu instid0(VALU_DEP_1) | instskip(NEXT) | instid1(VALU_DEP_4)
	v_dual_mul_f32 v3, v155, v27 :: v_dual_add_f32 v2, v2, v5
	v_add_f32_e32 v1, v1, v169
	s_delay_alu instid0(VALU_DEP_2) | instskip(NEXT) | instid1(VALU_DEP_2)
	v_fma_f32 v3, v154, v26, -v3
	v_dual_add_f32 v2, v2, v4 :: v_dual_add_f32 v1, v1, v170
	v_mul_f32_e32 v4, v159, v127
	s_delay_alu instid0(VALU_DEP_2) | instskip(SKIP_1) | instid1(VALU_DEP_3)
	v_dual_fmac_f32 v173, v151, v20 :: v_dual_add_f32 v2, v2, v3
	v_mul_f32_e32 v3, v161, v129
	v_fma_f32 v4, v158, v126, -v4
	v_mul_f32_e32 v5, v157, v125
	s_delay_alu instid0(VALU_DEP_3) | instskip(NEXT) | instid1(VALU_DEP_2)
	v_fma_f32 v3, v160, v128, -v3
	v_fma_f32 v5, v156, v124, -v5
	s_delay_alu instid0(VALU_DEP_1) | instskip(NEXT) | instid1(VALU_DEP_1)
	v_dual_add_f32 v1, v1, v171 :: v_dual_add_f32 v2, v2, v5
	v_dual_mul_f32 v5, v163, v131 :: v_dual_add_f32 v2, v2, v4
	s_delay_alu instid0(VALU_DEP_2) | instskip(NEXT) | instid1(VALU_DEP_2)
	v_add_f32_e32 v1, v1, v172
	v_fma_f32 v4, v162, v130, -v5
	s_delay_alu instid0(VALU_DEP_2) | instskip(NEXT) | instid1(VALU_DEP_1)
	v_dual_add_f32 v2, v2, v3 :: v_dual_add_f32 v1, v1, v173
	v_dual_add_f32 v2, v2, v4 :: v_dual_add_f32 v1, v1, v174
	s_delay_alu instid0(VALU_DEP_1) | instskip(NEXT) | instid1(VALU_DEP_1)
	v_add_f32_e32 v1, v1, v175
	v_add_f32_e32 v1, v1, v176
	s_delay_alu instid0(VALU_DEP_1) | instskip(NEXT) | instid1(VALU_DEP_1)
	v_add_f32_e32 v1, v1, v177
	v_add_f32_e32 v1, v1, v178
	s_delay_alu instid0(VALU_DEP_1) | instskip(SKIP_1) | instid1(VALU_DEP_1)
	v_add_f32_e32 v3, v1, v179
	s_wait_loadcnt 0x0
	v_dual_sub_f32 v1, v164, v2 :: v_dual_sub_f32 v2, v165, v3
	scratch_store_b64 off, v[1:2], off offset:248
	v_cmpx_lt_u32_e32 30, v0
	s_cbranch_execz .LBB47_241
; %bb.240:
	scratch_load_b64 v[1:2], off, off offset:240
	v_mov_b32_e32 v3, 0
	s_delay_alu instid0(VALU_DEP_1)
	v_mov_b32_e32 v4, v3
	scratch_store_b64 off, v[3:4], off offset:240
	s_wait_loadcnt 0x0
	ds_store_b64 v23, v[1:2]
.LBB47_241:
	s_wait_alu 0xfffe
	s_or_b32 exec_lo, exec_lo, s0
	s_wait_storecnt_dscnt 0x0
	s_barrier_signal -1
	s_barrier_wait -1
	global_inv scope:SCOPE_SE
	s_clause 0x9
	scratch_load_b128 v[2:5], off, off offset:248
	scratch_load_b128 v[6:9], off, off offset:264
	;; [unrolled: 1-line block ×8, first 2 shown]
	scratch_load_b64 v[164:165], off, off offset:376
	scratch_load_b64 v[166:167], off, off offset:240
	v_mov_b32_e32 v1, 0
	ds_load_2addr_b64 v[132:135], v1 offset0:79 offset1:80
	ds_load_2addr_b64 v[136:139], v1 offset0:81 offset1:82
	;; [unrolled: 1-line block ×8, first 2 shown]
	ds_load_b64 v[168:169], v1 offset:760
	s_mov_b32 s0, exec_lo
	s_wait_loadcnt_dscnt 0x908
	v_mul_f32_e32 v22, v132, v3
	v_dual_mul_f32 v3, v133, v3 :: v_dual_mul_f32 v170, v134, v5
	s_wait_loadcnt_dscnt 0x504
	v_dual_mul_f32 v171, v136, v7 :: v_dual_mul_f32 v178, v150, v21
	v_mul_f32_e32 v5, v135, v5
	s_delay_alu instid0(VALU_DEP_3)
	v_fma_f32 v3, v132, v2, -v3
	v_dual_mul_f32 v172, v138, v9 :: v_dual_mul_f32 v173, v140, v11
	s_wait_loadcnt_dscnt 0x100
	v_dual_mul_f32 v185, v168, v165 :: v_dual_fmac_f32 v22, v133, v2
	v_mul_f32_e32 v2, v137, v7
	v_dual_fmac_f32 v170, v135, v4 :: v_dual_add_f32 v3, 0, v3
	v_fma_f32 v4, v134, v4, -v5
	s_delay_alu instid0(VALU_DEP_4) | instskip(SKIP_2) | instid1(VALU_DEP_4)
	v_dual_add_f32 v5, 0, v22 :: v_dual_fmac_f32 v172, v139, v8
	v_mul_f32_e32 v7, v139, v9
	v_fma_f32 v2, v136, v6, -v2
	v_add_f32_e32 v3, v3, v4
	v_fmac_f32_e32 v171, v137, v6
	v_add_f32_e32 v4, v5, v170
	v_mul_f32_e32 v5, v141, v11
	v_fma_f32 v6, v138, v8, -v7
	v_add_f32_e32 v2, v3, v2
	v_dual_mul_f32 v174, v142, v13 :: v_dual_mul_f32 v175, v144, v15
	v_dual_add_f32 v3, v4, v171 :: v_dual_mul_f32 v4, v143, v13
	v_fma_f32 v5, v140, v10, -v5
	s_delay_alu instid0(VALU_DEP_4)
	v_add_f32_e32 v2, v2, v6
	v_fmac_f32_e32 v173, v141, v10
	v_mul_f32_e32 v6, v145, v15
	v_fmac_f32_e32 v174, v143, v12
	v_add_f32_e32 v3, v3, v172
	v_fma_f32 v4, v142, v12, -v4
	v_add_f32_e32 v2, v2, v5
	v_dual_mul_f32 v176, v146, v17 :: v_dual_mul_f32 v177, v148, v19
	s_delay_alu instid0(VALU_DEP_4)
	v_add_f32_e32 v3, v3, v173
	v_mul_f32_e32 v5, v147, v17
	v_fma_f32 v6, v144, v14, -v6
	v_dual_add_f32 v2, v2, v4 :: v_dual_fmac_f32 v175, v145, v14
	v_fmac_f32_e32 v176, v147, v16
	v_mul_f32_e32 v4, v149, v19
	v_fma_f32 v5, v146, v16, -v5
	s_delay_alu instid0(VALU_DEP_4) | instskip(SKIP_3) | instid1(VALU_DEP_3)
	v_add_f32_e32 v2, v2, v6
	v_add_f32_e32 v3, v3, v174
	v_dual_mul_f32 v6, v151, v21 :: v_dual_fmac_f32 v177, v149, v18
	v_fma_f32 v4, v148, v18, -v4
	v_dual_add_f32 v2, v2, v5 :: v_dual_add_f32 v3, v3, v175
	s_delay_alu instid0(VALU_DEP_3) | instskip(SKIP_1) | instid1(VALU_DEP_3)
	v_fma_f32 v6, v150, v20, -v6
	v_dual_mul_f32 v179, v152, v25 :: v_dual_mul_f32 v180, v154, v27
	v_add_f32_e32 v2, v2, v4
	s_delay_alu instid0(VALU_DEP_4) | instskip(SKIP_1) | instid1(VALU_DEP_4)
	v_add_f32_e32 v3, v3, v176
	v_dual_mul_f32 v5, v153, v25 :: v_dual_fmac_f32 v178, v151, v20
	v_dual_mul_f32 v4, v155, v27 :: v_dual_fmac_f32 v179, v153, v24
	s_delay_alu instid0(VALU_DEP_3) | instskip(NEXT) | instid1(VALU_DEP_3)
	v_dual_add_f32 v2, v2, v6 :: v_dual_add_f32 v3, v3, v177
	v_fma_f32 v5, v152, v24, -v5
	v_dual_mul_f32 v181, v156, v125 :: v_dual_mul_f32 v182, v158, v127
	s_delay_alu instid0(VALU_DEP_3) | instskip(NEXT) | instid1(VALU_DEP_2)
	v_dual_mul_f32 v6, v157, v125 :: v_dual_add_f32 v3, v3, v178
	v_dual_fmac_f32 v180, v155, v26 :: v_dual_fmac_f32 v181, v157, v124
	v_fma_f32 v4, v154, v26, -v4
	s_delay_alu instid0(VALU_DEP_3) | instskip(SKIP_3) | instid1(VALU_DEP_4)
	v_dual_add_f32 v2, v2, v5 :: v_dual_add_f32 v3, v3, v179
	v_mul_f32_e32 v5, v159, v127
	v_fma_f32 v6, v156, v124, -v6
	v_dual_mul_f32 v183, v160, v129 :: v_dual_mul_f32 v184, v162, v131
	v_add_f32_e32 v2, v2, v4
	v_dual_add_f32 v3, v3, v180 :: v_dual_mul_f32 v4, v161, v129
	s_delay_alu instid0(VALU_DEP_3) | instskip(SKIP_1) | instid1(VALU_DEP_3)
	v_dual_fmac_f32 v182, v159, v126 :: v_dual_fmac_f32 v183, v161, v128
	v_fma_f32 v5, v158, v126, -v5
	v_dual_add_f32 v2, v2, v6 :: v_dual_add_f32 v3, v3, v181
	v_mul_f32_e32 v6, v163, v131
	v_fma_f32 v4, v160, v128, -v4
	v_dual_fmac_f32 v184, v163, v130 :: v_dual_fmac_f32 v185, v169, v164
	s_delay_alu instid0(VALU_DEP_4) | instskip(SKIP_2) | instid1(VALU_DEP_3)
	v_dual_add_f32 v2, v2, v5 :: v_dual_add_f32 v3, v3, v182
	v_mul_f32_e32 v5, v169, v165
	v_fma_f32 v6, v162, v130, -v6
	v_dual_add_f32 v2, v2, v4 :: v_dual_add_f32 v3, v3, v183
	s_delay_alu instid0(VALU_DEP_3) | instskip(NEXT) | instid1(VALU_DEP_2)
	v_fma_f32 v4, v168, v164, -v5
	v_dual_add_f32 v2, v2, v6 :: v_dual_add_f32 v3, v3, v184
	s_delay_alu instid0(VALU_DEP_1) | instskip(SKIP_1) | instid1(VALU_DEP_1)
	v_dual_add_f32 v2, v2, v4 :: v_dual_add_f32 v3, v3, v185
	s_wait_loadcnt 0x0
	v_dual_sub_f32 v2, v166, v2 :: v_dual_sub_f32 v3, v167, v3
	scratch_store_b64 off, v[2:3], off offset:240
	v_cmpx_lt_u32_e32 29, v0
	s_cbranch_execz .LBB47_243
; %bb.242:
	scratch_load_b64 v[3:4], off, off offset:232
	v_mov_b32_e32 v2, v1
	scratch_store_b64 off, v[1:2], off offset:232
	s_wait_loadcnt 0x0
	ds_store_b64 v23, v[3:4]
.LBB47_243:
	s_wait_alu 0xfffe
	s_or_b32 exec_lo, exec_lo, s0
	s_wait_storecnt_dscnt 0x0
	s_barrier_signal -1
	s_barrier_wait -1
	global_inv scope:SCOPE_SE
	s_clause 0x9
	scratch_load_b128 v[2:5], off, off offset:240
	scratch_load_b128 v[6:9], off, off offset:256
	;; [unrolled: 1-line block ×9, first 2 shown]
	scratch_load_b64 v[172:173], off, off offset:232
	ds_load_b128 v[136:139], v1 offset:624
	ds_load_b128 v[140:143], v1 offset:640
	;; [unrolled: 1-line block ×9, first 2 shown]
	s_mov_b32 s0, exec_lo
	s_wait_loadcnt_dscnt 0x908
	v_dual_mul_f32 v1, v136, v3 :: v_dual_mul_f32 v22, v138, v5
	v_mul_f32_e32 v5, v139, v5
	v_mul_f32_e32 v3, v137, v3
	s_wait_loadcnt_dscnt 0x807
	v_dual_mul_f32 v174, v140, v7 :: v_dual_mul_f32 v175, v142, v9
	s_wait_loadcnt_dscnt 0x201
	v_dual_fmac_f32 v1, v137, v2 :: v_dual_mul_f32 v186, v164, v129
	v_fma_f32 v3, v136, v2, -v3
	s_wait_loadcnt_dscnt 0x100
	v_dual_mul_f32 v189, v170, v135 :: v_dual_fmac_f32 v22, v139, v4
	v_mul_f32_e32 v2, v141, v7
	v_fma_f32 v4, v138, v4, -v5
	v_dual_add_f32 v3, 0, v3 :: v_dual_fmac_f32 v174, v141, v6
	v_dual_mul_f32 v176, v144, v11 :: v_dual_mul_f32 v177, v146, v13
	v_dual_mul_f32 v178, v148, v15 :: v_dual_mul_f32 v179, v150, v17
	s_delay_alu instid0(VALU_DEP_2) | instskip(SKIP_1) | instid1(VALU_DEP_3)
	v_dual_mul_f32 v5, v143, v9 :: v_dual_fmac_f32 v176, v145, v10
	v_fma_f32 v2, v140, v6, -v2
	v_dual_add_f32 v3, v3, v4 :: v_dual_fmac_f32 v178, v149, v14
	s_delay_alu instid0(VALU_DEP_3) | instskip(SKIP_1) | instid1(VALU_DEP_3)
	v_fma_f32 v5, v142, v8, -v5
	v_dual_mul_f32 v180, v152, v19 :: v_dual_mul_f32 v181, v154, v21
	v_add_f32_e32 v2, v3, v2
	v_dual_mul_f32 v4, v145, v11 :: v_dual_mul_f32 v3, v147, v13
	s_delay_alu instid0(VALU_DEP_3) | instskip(SKIP_1) | instid1(VALU_DEP_4)
	v_fmac_f32_e32 v180, v153, v18
	v_dual_mul_f32 v182, v156, v25 :: v_dual_mul_f32 v183, v158, v27
	v_add_f32_e32 v2, v2, v5
	v_add_f32_e32 v1, 0, v1
	v_fma_f32 v4, v144, v10, -v4
	v_fma_f32 v3, v146, v12, -v3
	v_dual_fmac_f32 v179, v151, v16 :: v_dual_mul_f32 v184, v160, v125
	v_mul_f32_e32 v185, v162, v127
	s_delay_alu instid0(VALU_DEP_4) | instskip(SKIP_3) | instid1(VALU_DEP_4)
	v_dual_add_f32 v1, v1, v22 :: v_dual_add_f32 v2, v2, v4
	v_mul_f32_e32 v4, v151, v17
	v_fmac_f32_e32 v175, v143, v8
	v_dual_mul_f32 v187, v166, v131 :: v_dual_mul_f32 v188, v168, v133
	v_add_f32_e32 v1, v1, v174
	s_delay_alu instid0(VALU_DEP_4) | instskip(SKIP_2) | instid1(VALU_DEP_4)
	v_fma_f32 v4, v150, v16, -v4
	v_mul_f32_e32 v5, v149, v15
	v_dual_add_f32 v2, v2, v3 :: v_dual_fmac_f32 v185, v163, v126
	v_add_f32_e32 v1, v1, v175
	v_dual_fmac_f32 v183, v159, v26 :: v_dual_fmac_f32 v186, v165, v128
	s_delay_alu instid0(VALU_DEP_4) | instskip(SKIP_3) | instid1(VALU_DEP_4)
	v_fma_f32 v5, v148, v14, -v5
	v_fmac_f32_e32 v177, v147, v12
	v_dual_fmac_f32 v182, v157, v24 :: v_dual_fmac_f32 v189, v171, v134
	v_fmac_f32_e32 v184, v161, v124
	v_add_f32_e32 v2, v2, v5
	v_dual_mul_f32 v5, v155, v21 :: v_dual_fmac_f32 v188, v169, v132
	s_delay_alu instid0(VALU_DEP_2) | instskip(NEXT) | instid1(VALU_DEP_2)
	v_add_f32_e32 v2, v2, v4
	v_fma_f32 v5, v154, v20, -v5
	v_mul_f32_e32 v3, v153, v19
	v_mul_f32_e32 v4, v157, v25
	s_delay_alu instid0(VALU_DEP_2) | instskip(SKIP_1) | instid1(VALU_DEP_3)
	v_fma_f32 v3, v152, v18, -v3
	v_add_f32_e32 v1, v1, v176
	v_fma_f32 v4, v156, v24, -v4
	s_delay_alu instid0(VALU_DEP_3) | instskip(NEXT) | instid1(VALU_DEP_1)
	v_add_f32_e32 v2, v2, v3
	v_dual_mul_f32 v3, v159, v27 :: v_dual_add_f32 v2, v2, v5
	s_delay_alu instid0(VALU_DEP_4) | instskip(NEXT) | instid1(VALU_DEP_2)
	v_add_f32_e32 v1, v1, v177
	v_fma_f32 v3, v158, v26, -v3
	s_delay_alu instid0(VALU_DEP_2) | instskip(SKIP_1) | instid1(VALU_DEP_2)
	v_dual_add_f32 v2, v2, v4 :: v_dual_add_f32 v1, v1, v178
	v_mul_f32_e32 v4, v163, v127
	v_dual_fmac_f32 v181, v155, v20 :: v_dual_add_f32 v2, v2, v3
	v_mul_f32_e32 v3, v165, v129
	s_delay_alu instid0(VALU_DEP_3) | instskip(SKIP_1) | instid1(VALU_DEP_3)
	v_fma_f32 v4, v162, v126, -v4
	v_mul_f32_e32 v5, v161, v125
	v_fma_f32 v3, v164, v128, -v3
	s_delay_alu instid0(VALU_DEP_2) | instskip(NEXT) | instid1(VALU_DEP_1)
	v_fma_f32 v5, v160, v124, -v5
	v_dual_add_f32 v1, v1, v179 :: v_dual_add_f32 v2, v2, v5
	s_delay_alu instid0(VALU_DEP_1) | instskip(NEXT) | instid1(VALU_DEP_2)
	v_dual_mul_f32 v5, v167, v131 :: v_dual_add_f32 v2, v2, v4
	v_add_f32_e32 v1, v1, v180
	v_mul_f32_e32 v4, v169, v133
	s_delay_alu instid0(VALU_DEP_3) | instskip(NEXT) | instid1(VALU_DEP_4)
	v_fma_f32 v5, v166, v130, -v5
	v_dual_add_f32 v2, v2, v3 :: v_dual_fmac_f32 v187, v167, v130
	v_mul_f32_e32 v3, v171, v135
	s_delay_alu instid0(VALU_DEP_4) | instskip(NEXT) | instid1(VALU_DEP_3)
	v_fma_f32 v4, v168, v132, -v4
	v_add_f32_e32 v2, v2, v5
	v_add_f32_e32 v1, v1, v181
	s_delay_alu instid0(VALU_DEP_4) | instskip(NEXT) | instid1(VALU_DEP_2)
	v_fma_f32 v3, v170, v134, -v3
	v_dual_add_f32 v2, v2, v4 :: v_dual_add_f32 v1, v1, v182
	s_delay_alu instid0(VALU_DEP_1) | instskip(NEXT) | instid1(VALU_DEP_2)
	v_add_f32_e32 v2, v2, v3
	v_add_f32_e32 v1, v1, v183
	s_delay_alu instid0(VALU_DEP_1) | instskip(NEXT) | instid1(VALU_DEP_1)
	v_add_f32_e32 v1, v1, v184
	v_add_f32_e32 v1, v1, v185
	s_delay_alu instid0(VALU_DEP_1) | instskip(NEXT) | instid1(VALU_DEP_1)
	;; [unrolled: 3-line block ×3, first 2 shown]
	v_add_f32_e32 v1, v1, v188
	v_add_f32_e32 v3, v1, v189
	s_wait_loadcnt 0x0
	s_delay_alu instid0(VALU_DEP_1)
	v_dual_sub_f32 v1, v172, v2 :: v_dual_sub_f32 v2, v173, v3
	scratch_store_b64 off, v[1:2], off offset:232
	v_cmpx_lt_u32_e32 28, v0
	s_cbranch_execz .LBB47_245
; %bb.244:
	scratch_load_b64 v[1:2], off, off offset:224
	v_mov_b32_e32 v3, 0
	s_delay_alu instid0(VALU_DEP_1)
	v_mov_b32_e32 v4, v3
	scratch_store_b64 off, v[3:4], off offset:224
	s_wait_loadcnt 0x0
	ds_store_b64 v23, v[1:2]
.LBB47_245:
	s_wait_alu 0xfffe
	s_or_b32 exec_lo, exec_lo, s0
	s_wait_storecnt_dscnt 0x0
	s_barrier_signal -1
	s_barrier_wait -1
	global_inv scope:SCOPE_SE
	s_clause 0xa
	scratch_load_b128 v[2:5], off, off offset:232
	scratch_load_b128 v[6:9], off, off offset:248
	;; [unrolled: 1-line block ×9, first 2 shown]
	scratch_load_b64 v[172:173], off, off offset:376
	scratch_load_b64 v[174:175], off, off offset:224
	v_mov_b32_e32 v1, 0
	ds_load_2addr_b64 v[136:139], v1 offset0:77 offset1:78
	ds_load_2addr_b64 v[140:143], v1 offset0:79 offset1:80
	;; [unrolled: 1-line block ×9, first 2 shown]
	ds_load_b64 v[176:177], v1 offset:760
	s_mov_b32 s0, exec_lo
	s_wait_loadcnt_dscnt 0xa09
	v_mul_f32_e32 v22, v136, v3
	v_dual_mul_f32 v3, v137, v3 :: v_dual_mul_f32 v178, v138, v5
	s_wait_loadcnt_dscnt 0x605
	v_dual_mul_f32 v179, v140, v7 :: v_dual_mul_f32 v186, v154, v21
	v_mul_f32_e32 v5, v139, v5
	s_delay_alu instid0(VALU_DEP_3)
	v_fma_f32 v3, v136, v2, -v3
	v_dual_mul_f32 v180, v142, v9 :: v_dual_mul_f32 v181, v144, v11
	s_wait_loadcnt_dscnt 0x100
	v_dual_mul_f32 v195, v176, v173 :: v_dual_fmac_f32 v22, v137, v2
	v_mul_f32_e32 v2, v141, v7
	v_dual_fmac_f32 v178, v139, v4 :: v_dual_add_f32 v3, 0, v3
	v_fma_f32 v4, v138, v4, -v5
	s_delay_alu instid0(VALU_DEP_4) | instskip(SKIP_2) | instid1(VALU_DEP_4)
	v_dual_add_f32 v5, 0, v22 :: v_dual_fmac_f32 v180, v143, v8
	v_mul_f32_e32 v7, v143, v9
	v_fma_f32 v2, v140, v6, -v2
	v_add_f32_e32 v3, v3, v4
	v_fmac_f32_e32 v179, v141, v6
	v_add_f32_e32 v4, v5, v178
	v_mul_f32_e32 v5, v145, v11
	v_fma_f32 v6, v142, v8, -v7
	v_add_f32_e32 v2, v3, v2
	v_dual_mul_f32 v182, v146, v13 :: v_dual_mul_f32 v183, v148, v15
	v_dual_add_f32 v3, v4, v179 :: v_dual_mul_f32 v4, v147, v13
	v_fma_f32 v5, v144, v10, -v5
	s_delay_alu instid0(VALU_DEP_4)
	v_add_f32_e32 v2, v2, v6
	v_fmac_f32_e32 v181, v145, v10
	v_mul_f32_e32 v6, v149, v15
	v_fmac_f32_e32 v182, v147, v12
	v_add_f32_e32 v3, v3, v180
	v_fma_f32 v4, v146, v12, -v4
	v_add_f32_e32 v2, v2, v5
	v_dual_mul_f32 v184, v150, v17 :: v_dual_mul_f32 v185, v152, v19
	s_delay_alu instid0(VALU_DEP_4)
	v_add_f32_e32 v3, v3, v181
	v_mul_f32_e32 v5, v151, v17
	v_fma_f32 v6, v148, v14, -v6
	v_dual_add_f32 v2, v2, v4 :: v_dual_fmac_f32 v183, v149, v14
	v_fmac_f32_e32 v184, v151, v16
	v_mul_f32_e32 v4, v153, v19
	v_fma_f32 v5, v150, v16, -v5
	s_delay_alu instid0(VALU_DEP_4) | instskip(SKIP_3) | instid1(VALU_DEP_3)
	v_add_f32_e32 v2, v2, v6
	v_add_f32_e32 v3, v3, v182
	v_dual_mul_f32 v6, v155, v21 :: v_dual_fmac_f32 v185, v153, v18
	v_fma_f32 v4, v152, v18, -v4
	v_dual_add_f32 v2, v2, v5 :: v_dual_add_f32 v3, v3, v183
	s_delay_alu instid0(VALU_DEP_3) | instskip(SKIP_1) | instid1(VALU_DEP_3)
	v_fma_f32 v6, v154, v20, -v6
	v_dual_mul_f32 v187, v156, v25 :: v_dual_mul_f32 v188, v158, v27
	v_add_f32_e32 v2, v2, v4
	s_delay_alu instid0(VALU_DEP_4) | instskip(SKIP_1) | instid1(VALU_DEP_4)
	v_add_f32_e32 v3, v3, v184
	v_dual_mul_f32 v5, v157, v25 :: v_dual_fmac_f32 v186, v155, v20
	v_dual_mul_f32 v4, v159, v27 :: v_dual_fmac_f32 v187, v157, v24
	s_delay_alu instid0(VALU_DEP_3) | instskip(NEXT) | instid1(VALU_DEP_3)
	v_dual_add_f32 v2, v2, v6 :: v_dual_add_f32 v3, v3, v185
	v_fma_f32 v5, v156, v24, -v5
	v_dual_mul_f32 v189, v160, v125 :: v_dual_mul_f32 v190, v162, v127
	s_delay_alu instid0(VALU_DEP_3) | instskip(NEXT) | instid1(VALU_DEP_2)
	v_dual_mul_f32 v6, v161, v125 :: v_dual_add_f32 v3, v3, v186
	v_dual_fmac_f32 v188, v159, v26 :: v_dual_fmac_f32 v189, v161, v124
	v_fma_f32 v4, v158, v26, -v4
	s_delay_alu instid0(VALU_DEP_3) | instskip(SKIP_3) | instid1(VALU_DEP_4)
	v_dual_add_f32 v2, v2, v5 :: v_dual_add_f32 v3, v3, v187
	v_mul_f32_e32 v5, v163, v127
	v_fma_f32 v6, v160, v124, -v6
	v_dual_mul_f32 v191, v164, v129 :: v_dual_mul_f32 v192, v166, v131
	v_add_f32_e32 v2, v2, v4
	v_dual_add_f32 v3, v3, v188 :: v_dual_mul_f32 v4, v165, v129
	s_delay_alu instid0(VALU_DEP_3) | instskip(SKIP_1) | instid1(VALU_DEP_3)
	v_dual_fmac_f32 v190, v163, v126 :: v_dual_fmac_f32 v191, v165, v128
	v_fma_f32 v5, v162, v126, -v5
	v_dual_add_f32 v2, v2, v6 :: v_dual_add_f32 v3, v3, v189
	v_mul_f32_e32 v6, v167, v131
	v_fma_f32 v4, v164, v128, -v4
	v_dual_mul_f32 v193, v168, v133 :: v_dual_mul_f32 v194, v170, v135
	s_delay_alu instid0(VALU_DEP_4) | instskip(SKIP_1) | instid1(VALU_DEP_3)
	v_dual_add_f32 v2, v2, v5 :: v_dual_add_f32 v3, v3, v190
	v_dual_mul_f32 v5, v169, v133 :: v_dual_fmac_f32 v192, v167, v130
	v_fmac_f32_e32 v193, v169, v132
	v_fma_f32 v6, v166, v130, -v6
	s_delay_alu instid0(VALU_DEP_4) | instskip(SKIP_2) | instid1(VALU_DEP_3)
	v_dual_add_f32 v2, v2, v4 :: v_dual_add_f32 v3, v3, v191
	v_dual_mul_f32 v4, v171, v135 :: v_dual_fmac_f32 v195, v177, v172
	v_fma_f32 v5, v168, v132, -v5
	v_dual_add_f32 v2, v2, v6 :: v_dual_add_f32 v3, v3, v192
	v_fmac_f32_e32 v194, v171, v134
	s_delay_alu instid0(VALU_DEP_4) | instskip(NEXT) | instid1(VALU_DEP_3)
	v_fma_f32 v4, v170, v134, -v4
	v_add_f32_e32 v3, v3, v193
	s_delay_alu instid0(VALU_DEP_1) | instskip(SKIP_1) | instid1(VALU_DEP_2)
	v_dual_mul_f32 v6, v177, v173 :: v_dual_add_f32 v3, v3, v194
	v_add_f32_e32 v2, v2, v5
	v_fma_f32 v5, v176, v172, -v6
	s_delay_alu instid0(VALU_DEP_2) | instskip(SKIP_1) | instid1(VALU_DEP_1)
	v_dual_add_f32 v3, v3, v195 :: v_dual_add_f32 v2, v2, v4
	s_wait_loadcnt 0x0
	v_dual_sub_f32 v3, v175, v3 :: v_dual_add_f32 v2, v2, v5
	s_delay_alu instid0(VALU_DEP_1)
	v_sub_f32_e32 v2, v174, v2
	scratch_store_b64 off, v[2:3], off offset:224
	v_cmpx_lt_u32_e32 27, v0
	s_cbranch_execz .LBB47_247
; %bb.246:
	scratch_load_b64 v[3:4], off, off offset:216
	v_mov_b32_e32 v2, v1
	scratch_store_b64 off, v[1:2], off offset:216
	s_wait_loadcnt 0x0
	ds_store_b64 v23, v[3:4]
.LBB47_247:
	s_wait_alu 0xfffe
	s_or_b32 exec_lo, exec_lo, s0
	s_wait_storecnt_dscnt 0x0
	s_barrier_signal -1
	s_barrier_wait -1
	global_inv scope:SCOPE_SE
	s_clause 0xa
	scratch_load_b128 v[2:5], off, off offset:224
	scratch_load_b128 v[6:9], off, off offset:240
	;; [unrolled: 1-line block ×10, first 2 shown]
	scratch_load_b64 v[180:181], off, off offset:216
	ds_load_b128 v[140:143], v1 offset:608
	ds_load_b128 v[144:147], v1 offset:624
	;; [unrolled: 1-line block ×10, first 2 shown]
	s_mov_b32 s0, exec_lo
	s_wait_loadcnt_dscnt 0xa09
	v_dual_mul_f32 v1, v140, v3 :: v_dual_mul_f32 v22, v142, v5
	s_wait_loadcnt_dscnt 0x908
	v_dual_mul_f32 v5, v143, v5 :: v_dual_mul_f32 v182, v144, v7
	v_mul_f32_e32 v183, v146, v9
	v_mul_f32_e32 v3, v141, v3
	v_dual_fmac_f32 v1, v141, v2 :: v_dual_fmac_f32 v22, v143, v4
	s_wait_loadcnt_dscnt 0x100
	v_dual_mul_f32 v196, v172, v133 :: v_dual_mul_f32 v199, v178, v139
	s_delay_alu instid0(VALU_DEP_3) | instskip(SKIP_3) | instid1(VALU_DEP_4)
	v_fma_f32 v3, v140, v2, -v3
	v_mul_f32_e32 v2, v145, v7
	v_fma_f32 v4, v142, v4, -v5
	v_dual_mul_f32 v184, v148, v11 :: v_dual_mul_f32 v185, v150, v13
	v_dual_add_f32 v3, 0, v3 :: v_dual_fmac_f32 v182, v145, v6
	v_dual_mul_f32 v186, v152, v15 :: v_dual_mul_f32 v187, v154, v17
	s_delay_alu instid0(VALU_DEP_3) | instskip(SKIP_1) | instid1(VALU_DEP_3)
	v_dual_mul_f32 v5, v147, v9 :: v_dual_fmac_f32 v184, v149, v10
	v_fma_f32 v2, v144, v6, -v2
	v_dual_add_f32 v3, v3, v4 :: v_dual_fmac_f32 v186, v153, v14
	s_delay_alu instid0(VALU_DEP_3) | instskip(SKIP_1) | instid1(VALU_DEP_3)
	v_fma_f32 v5, v146, v8, -v5
	v_dual_mul_f32 v188, v156, v19 :: v_dual_mul_f32 v189, v158, v21
	v_add_f32_e32 v2, v3, v2
	v_dual_mul_f32 v3, v151, v13 :: v_dual_mul_f32 v4, v149, v11
	s_delay_alu instid0(VALU_DEP_3) | instskip(SKIP_1) | instid1(VALU_DEP_4)
	v_fmac_f32_e32 v188, v157, v18
	v_dual_mul_f32 v190, v160, v25 :: v_dual_mul_f32 v191, v162, v27
	v_add_f32_e32 v2, v2, v5
	v_add_f32_e32 v1, 0, v1
	v_fma_f32 v4, v148, v10, -v4
	v_fma_f32 v3, v150, v12, -v3
	v_dual_fmac_f32 v187, v155, v16 :: v_dual_mul_f32 v192, v164, v125
	v_mul_f32_e32 v193, v166, v127
	s_delay_alu instid0(VALU_DEP_4) | instskip(SKIP_3) | instid1(VALU_DEP_4)
	v_dual_add_f32 v1, v1, v22 :: v_dual_add_f32 v2, v2, v4
	v_mul_f32_e32 v4, v155, v17
	v_dual_fmac_f32 v183, v147, v8 :: v_dual_mul_f32 v194, v168, v129
	v_mul_f32_e32 v195, v170, v131
	v_add_f32_e32 v1, v1, v182
	s_delay_alu instid0(VALU_DEP_4) | instskip(SKIP_2) | instid1(VALU_DEP_4)
	v_fma_f32 v4, v154, v16, -v4
	v_mul_f32_e32 v5, v153, v15
	v_dual_add_f32 v2, v2, v3 :: v_dual_fmac_f32 v193, v167, v126
	v_add_f32_e32 v1, v1, v183
	v_dual_mul_f32 v197, v174, v135 :: v_dual_mul_f32 v198, v176, v137
	s_delay_alu instid0(VALU_DEP_4) | instskip(SKIP_3) | instid1(VALU_DEP_4)
	v_fma_f32 v5, v152, v14, -v5
	v_fmac_f32_e32 v185, v151, v12
	v_dual_fmac_f32 v190, v161, v24 :: v_dual_fmac_f32 v191, v163, v26
	v_fmac_f32_e32 v194, v169, v128
	v_add_f32_e32 v2, v2, v5
	v_mul_f32_e32 v5, v159, v21
	v_fmac_f32_e32 v197, v175, v134
	v_dual_fmac_f32 v199, v179, v138 :: v_dual_fmac_f32 v192, v165, v124
	s_delay_alu instid0(VALU_DEP_4) | instskip(NEXT) | instid1(VALU_DEP_4)
	v_add_f32_e32 v2, v2, v4
	v_fma_f32 v5, v158, v20, -v5
	v_mul_f32_e32 v3, v157, v19
	v_mul_f32_e32 v4, v161, v25
	v_fmac_f32_e32 v196, v173, v132
	v_fmac_f32_e32 v198, v177, v136
	s_delay_alu instid0(VALU_DEP_4) | instskip(SKIP_2) | instid1(VALU_DEP_3)
	v_fma_f32 v3, v156, v18, -v3
	v_add_f32_e32 v1, v1, v184
	v_fma_f32 v4, v160, v24, -v4
	v_add_f32_e32 v2, v2, v3
	s_delay_alu instid0(VALU_DEP_1) | instskip(NEXT) | instid1(VALU_DEP_4)
	v_dual_mul_f32 v3, v163, v27 :: v_dual_add_f32 v2, v2, v5
	v_add_f32_e32 v1, v1, v185
	s_delay_alu instid0(VALU_DEP_2) | instskip(NEXT) | instid1(VALU_DEP_2)
	v_fma_f32 v3, v162, v26, -v3
	v_dual_add_f32 v2, v2, v4 :: v_dual_add_f32 v1, v1, v186
	v_mul_f32_e32 v4, v167, v127
	s_delay_alu instid0(VALU_DEP_2) | instskip(SKIP_1) | instid1(VALU_DEP_3)
	v_dual_fmac_f32 v189, v159, v20 :: v_dual_add_f32 v2, v2, v3
	v_mul_f32_e32 v3, v169, v129
	v_fma_f32 v4, v166, v126, -v4
	v_mul_f32_e32 v5, v165, v125
	s_delay_alu instid0(VALU_DEP_3) | instskip(NEXT) | instid1(VALU_DEP_2)
	v_fma_f32 v3, v168, v128, -v3
	v_fma_f32 v5, v164, v124, -v5
	s_delay_alu instid0(VALU_DEP_1) | instskip(NEXT) | instid1(VALU_DEP_1)
	v_dual_add_f32 v1, v1, v187 :: v_dual_add_f32 v2, v2, v5
	v_dual_mul_f32 v5, v171, v131 :: v_dual_add_f32 v2, v2, v4
	s_delay_alu instid0(VALU_DEP_2) | instskip(SKIP_1) | instid1(VALU_DEP_3)
	v_add_f32_e32 v1, v1, v188
	v_mul_f32_e32 v4, v173, v133
	v_fma_f32 v5, v170, v130, -v5
	s_delay_alu instid0(VALU_DEP_4) | instskip(SKIP_1) | instid1(VALU_DEP_4)
	v_dual_add_f32 v2, v2, v3 :: v_dual_fmac_f32 v195, v171, v130
	v_mul_f32_e32 v3, v175, v135
	v_fma_f32 v4, v172, v132, -v4
	s_delay_alu instid0(VALU_DEP_3) | instskip(SKIP_1) | instid1(VALU_DEP_4)
	v_add_f32_e32 v2, v2, v5
	v_add_f32_e32 v1, v1, v189
	v_fma_f32 v3, v174, v134, -v3
	s_delay_alu instid0(VALU_DEP_2) | instskip(SKIP_1) | instid1(VALU_DEP_2)
	v_dual_add_f32 v2, v2, v4 :: v_dual_add_f32 v1, v1, v190
	v_dual_mul_f32 v4, v179, v139 :: v_dual_mul_f32 v5, v177, v137
	v_add_f32_e32 v2, v2, v3
	s_delay_alu instid0(VALU_DEP_2) | instskip(NEXT) | instid1(VALU_DEP_3)
	v_fma_f32 v3, v178, v138, -v4
	v_fma_f32 v5, v176, v136, -v5
	s_delay_alu instid0(VALU_DEP_1) | instskip(NEXT) | instid1(VALU_DEP_1)
	v_dual_add_f32 v1, v1, v191 :: v_dual_add_f32 v2, v2, v5
	v_dual_add_f32 v1, v1, v192 :: v_dual_add_f32 v2, v2, v3
	s_delay_alu instid0(VALU_DEP_1) | instskip(NEXT) | instid1(VALU_DEP_1)
	v_add_f32_e32 v1, v1, v193
	v_add_f32_e32 v1, v1, v194
	s_delay_alu instid0(VALU_DEP_1) | instskip(NEXT) | instid1(VALU_DEP_1)
	v_add_f32_e32 v1, v1, v195
	v_add_f32_e32 v1, v1, v196
	;; [unrolled: 3-line block ×3, first 2 shown]
	s_delay_alu instid0(VALU_DEP_1) | instskip(SKIP_1) | instid1(VALU_DEP_1)
	v_add_f32_e32 v3, v1, v199
	s_wait_loadcnt 0x0
	v_dual_sub_f32 v1, v180, v2 :: v_dual_sub_f32 v2, v181, v3
	scratch_store_b64 off, v[1:2], off offset:216
	v_cmpx_lt_u32_e32 26, v0
	s_cbranch_execz .LBB47_249
; %bb.248:
	scratch_load_b64 v[1:2], off, off offset:208
	v_mov_b32_e32 v3, 0
	s_delay_alu instid0(VALU_DEP_1)
	v_mov_b32_e32 v4, v3
	scratch_store_b64 off, v[3:4], off offset:208
	s_wait_loadcnt 0x0
	ds_store_b64 v23, v[1:2]
.LBB47_249:
	s_wait_alu 0xfffe
	s_or_b32 exec_lo, exec_lo, s0
	s_wait_storecnt_dscnt 0x0
	s_barrier_signal -1
	s_barrier_wait -1
	global_inv scope:SCOPE_SE
	s_clause 0xb
	scratch_load_b128 v[2:5], off, off offset:216
	scratch_load_b128 v[6:9], off, off offset:232
	scratch_load_b128 v[10:13], off, off offset:248
	scratch_load_b128 v[14:17], off, off offset:264
	scratch_load_b128 v[18:21], off, off offset:280
	scratch_load_b128 v[24:27], off, off offset:296
	scratch_load_b128 v[124:127], off, off offset:312
	scratch_load_b128 v[128:131], off, off offset:328
	scratch_load_b128 v[132:135], off, off offset:344
	scratch_load_b128 v[136:139], off, off offset:360
	scratch_load_b64 v[180:181], off, off offset:376
	scratch_load_b64 v[182:183], off, off offset:208
	v_mov_b32_e32 v1, 0
	ds_load_2addr_b64 v[140:143], v1 offset0:75 offset1:76
	ds_load_2addr_b64 v[144:147], v1 offset0:77 offset1:78
	;; [unrolled: 1-line block ×10, first 2 shown]
	ds_load_b64 v[184:185], v1 offset:760
	s_mov_b32 s0, exec_lo
	s_wait_loadcnt_dscnt 0xb0a
	v_mul_f32_e32 v22, v140, v3
	v_dual_mul_f32 v3, v141, v3 :: v_dual_mul_f32 v186, v142, v5
	s_wait_loadcnt_dscnt 0x706
	v_dual_mul_f32 v187, v144, v7 :: v_dual_mul_f32 v194, v158, v21
	v_mul_f32_e32 v5, v143, v5
	s_delay_alu instid0(VALU_DEP_3)
	v_fma_f32 v3, v140, v2, -v3
	v_dual_mul_f32 v188, v146, v9 :: v_dual_mul_f32 v189, v148, v11
	s_wait_loadcnt_dscnt 0x100
	v_dual_fmac_f32 v22, v141, v2 :: v_dual_mul_f32 v205, v184, v181
	v_mul_f32_e32 v2, v145, v7
	v_dual_fmac_f32 v186, v143, v4 :: v_dual_add_f32 v3, 0, v3
	v_fma_f32 v4, v142, v4, -v5
	s_delay_alu instid0(VALU_DEP_4) | instskip(SKIP_2) | instid1(VALU_DEP_4)
	v_dual_add_f32 v5, 0, v22 :: v_dual_fmac_f32 v188, v147, v8
	v_mul_f32_e32 v7, v147, v9
	v_fma_f32 v2, v144, v6, -v2
	v_add_f32_e32 v3, v3, v4
	v_fmac_f32_e32 v187, v145, v6
	v_add_f32_e32 v4, v5, v186
	v_mul_f32_e32 v5, v149, v11
	v_fma_f32 v6, v146, v8, -v7
	v_add_f32_e32 v2, v3, v2
	v_dual_mul_f32 v190, v150, v13 :: v_dual_mul_f32 v191, v152, v15
	v_dual_add_f32 v3, v4, v187 :: v_dual_mul_f32 v4, v151, v13
	v_fma_f32 v5, v148, v10, -v5
	s_delay_alu instid0(VALU_DEP_4)
	v_add_f32_e32 v2, v2, v6
	v_fmac_f32_e32 v189, v149, v10
	v_mul_f32_e32 v6, v153, v15
	v_fmac_f32_e32 v190, v151, v12
	v_add_f32_e32 v3, v3, v188
	v_fma_f32 v4, v150, v12, -v4
	v_add_f32_e32 v2, v2, v5
	v_dual_mul_f32 v192, v154, v17 :: v_dual_mul_f32 v193, v156, v19
	s_delay_alu instid0(VALU_DEP_4)
	v_add_f32_e32 v3, v3, v189
	v_mul_f32_e32 v5, v155, v17
	v_fma_f32 v6, v152, v14, -v6
	v_dual_add_f32 v2, v2, v4 :: v_dual_fmac_f32 v191, v153, v14
	v_fmac_f32_e32 v192, v155, v16
	v_mul_f32_e32 v4, v157, v19
	v_fma_f32 v5, v154, v16, -v5
	s_delay_alu instid0(VALU_DEP_4) | instskip(SKIP_3) | instid1(VALU_DEP_3)
	v_add_f32_e32 v2, v2, v6
	v_add_f32_e32 v3, v3, v190
	v_dual_mul_f32 v6, v159, v21 :: v_dual_fmac_f32 v193, v157, v18
	v_fma_f32 v4, v156, v18, -v4
	v_dual_add_f32 v2, v2, v5 :: v_dual_add_f32 v3, v3, v191
	s_delay_alu instid0(VALU_DEP_3) | instskip(SKIP_1) | instid1(VALU_DEP_3)
	v_fma_f32 v6, v158, v20, -v6
	v_dual_mul_f32 v195, v160, v25 :: v_dual_mul_f32 v196, v162, v27
	v_add_f32_e32 v2, v2, v4
	s_delay_alu instid0(VALU_DEP_4) | instskip(SKIP_1) | instid1(VALU_DEP_4)
	v_add_f32_e32 v3, v3, v192
	v_dual_mul_f32 v5, v161, v25 :: v_dual_fmac_f32 v194, v159, v20
	v_dual_mul_f32 v4, v163, v27 :: v_dual_fmac_f32 v195, v161, v24
	s_delay_alu instid0(VALU_DEP_3) | instskip(NEXT) | instid1(VALU_DEP_3)
	v_dual_add_f32 v2, v2, v6 :: v_dual_add_f32 v3, v3, v193
	v_fma_f32 v5, v160, v24, -v5
	v_dual_mul_f32 v197, v164, v125 :: v_dual_mul_f32 v198, v166, v127
	s_delay_alu instid0(VALU_DEP_3) | instskip(NEXT) | instid1(VALU_DEP_2)
	v_dual_mul_f32 v6, v165, v125 :: v_dual_add_f32 v3, v3, v194
	v_dual_fmac_f32 v196, v163, v26 :: v_dual_fmac_f32 v197, v165, v124
	v_fma_f32 v4, v162, v26, -v4
	s_delay_alu instid0(VALU_DEP_3) | instskip(SKIP_3) | instid1(VALU_DEP_4)
	v_dual_add_f32 v2, v2, v5 :: v_dual_add_f32 v3, v3, v195
	v_mul_f32_e32 v5, v167, v127
	v_fma_f32 v6, v164, v124, -v6
	v_dual_mul_f32 v199, v168, v129 :: v_dual_mul_f32 v200, v170, v131
	v_add_f32_e32 v2, v2, v4
	v_dual_add_f32 v3, v3, v196 :: v_dual_mul_f32 v4, v169, v129
	s_delay_alu instid0(VALU_DEP_3) | instskip(SKIP_1) | instid1(VALU_DEP_3)
	v_dual_fmac_f32 v198, v167, v126 :: v_dual_fmac_f32 v199, v169, v128
	v_fma_f32 v5, v166, v126, -v5
	v_dual_add_f32 v2, v2, v6 :: v_dual_add_f32 v3, v3, v197
	v_mul_f32_e32 v6, v171, v131
	v_fma_f32 v4, v168, v128, -v4
	v_dual_mul_f32 v201, v172, v133 :: v_dual_mul_f32 v202, v174, v135
	s_delay_alu instid0(VALU_DEP_4) | instskip(SKIP_1) | instid1(VALU_DEP_3)
	v_dual_add_f32 v2, v2, v5 :: v_dual_add_f32 v3, v3, v198
	v_dual_mul_f32 v5, v173, v133 :: v_dual_fmac_f32 v200, v171, v130
	v_fmac_f32_e32 v201, v173, v132
	v_fma_f32 v6, v170, v130, -v6
	s_delay_alu instid0(VALU_DEP_4) | instskip(SKIP_2) | instid1(VALU_DEP_3)
	v_dual_add_f32 v2, v2, v4 :: v_dual_add_f32 v3, v3, v199
	v_dual_mul_f32 v203, v176, v137 :: v_dual_mul_f32 v204, v178, v139
	v_mul_f32_e32 v4, v175, v135
	v_dual_add_f32 v2, v2, v6 :: v_dual_add_f32 v3, v3, v200
	v_fma_f32 v5, v172, v132, -v5
	v_dual_fmac_f32 v202, v175, v134 :: v_dual_fmac_f32 v205, v185, v180
	v_fmac_f32_e32 v203, v177, v136
	v_fma_f32 v4, v174, v134, -v4
	v_add_f32_e32 v3, v3, v201
	v_mul_f32_e32 v6, v177, v137
	v_dual_add_f32 v2, v2, v5 :: v_dual_mul_f32 v5, v179, v139
	v_fmac_f32_e32 v204, v179, v138
	s_delay_alu instid0(VALU_DEP_4) | instskip(NEXT) | instid1(VALU_DEP_4)
	v_add_f32_e32 v3, v3, v202
	v_fma_f32 v6, v176, v136, -v6
	s_delay_alu instid0(VALU_DEP_4) | instskip(SKIP_2) | instid1(VALU_DEP_3)
	v_add_f32_e32 v2, v2, v4
	v_mul_f32_e32 v4, v185, v181
	v_fma_f32 v5, v178, v138, -v5
	v_dual_add_f32 v3, v3, v203 :: v_dual_add_f32 v2, v2, v6
	s_delay_alu instid0(VALU_DEP_3) | instskip(NEXT) | instid1(VALU_DEP_2)
	v_fma_f32 v4, v184, v180, -v4
	v_add_f32_e32 v3, v3, v204
	s_delay_alu instid0(VALU_DEP_1) | instskip(SKIP_1) | instid1(VALU_DEP_1)
	v_add_f32_e32 v3, v3, v205
	s_wait_loadcnt 0x0
	v_dual_add_f32 v2, v2, v5 :: v_dual_sub_f32 v3, v183, v3
	s_delay_alu instid0(VALU_DEP_1) | instskip(NEXT) | instid1(VALU_DEP_1)
	v_add_f32_e32 v2, v2, v4
	v_sub_f32_e32 v2, v182, v2
	scratch_store_b64 off, v[2:3], off offset:208
	v_cmpx_lt_u32_e32 25, v0
	s_cbranch_execz .LBB47_251
; %bb.250:
	scratch_load_b64 v[3:4], off, off offset:200
	v_mov_b32_e32 v2, v1
	scratch_store_b64 off, v[1:2], off offset:200
	s_wait_loadcnt 0x0
	ds_store_b64 v23, v[3:4]
.LBB47_251:
	s_wait_alu 0xfffe
	s_or_b32 exec_lo, exec_lo, s0
	s_wait_storecnt_dscnt 0x0
	s_barrier_signal -1
	s_barrier_wait -1
	global_inv scope:SCOPE_SE
	s_clause 0xb
	scratch_load_b128 v[2:5], off, off offset:208
	scratch_load_b128 v[6:9], off, off offset:224
	scratch_load_b128 v[10:13], off, off offset:240
	scratch_load_b128 v[14:17], off, off offset:256
	scratch_load_b128 v[18:21], off, off offset:272
	scratch_load_b128 v[24:27], off, off offset:288
	scratch_load_b128 v[124:127], off, off offset:304
	scratch_load_b128 v[128:131], off, off offset:320
	scratch_load_b128 v[132:135], off, off offset:336
	scratch_load_b128 v[136:139], off, off offset:352
	scratch_load_b128 v[140:143], off, off offset:368
	scratch_load_b64 v[188:189], off, off offset:200
	ds_load_b128 v[144:147], v1 offset:592
	ds_load_b128 v[148:151], v1 offset:608
	;; [unrolled: 1-line block ×11, first 2 shown]
	s_mov_b32 s0, exec_lo
	s_wait_loadcnt_dscnt 0xb0a
	v_dual_mul_f32 v1, v144, v3 :: v_dual_mul_f32 v22, v146, v5
	s_wait_loadcnt_dscnt 0xa09
	v_dual_mul_f32 v5, v147, v5 :: v_dual_mul_f32 v190, v148, v7
	v_mul_f32_e32 v191, v150, v9
	v_mul_f32_e32 v3, v145, v3
	v_dual_fmac_f32 v1, v145, v2 :: v_dual_fmac_f32 v22, v147, v4
	s_wait_loadcnt_dscnt 0x908
	v_dual_mul_f32 v192, v152, v11 :: v_dual_mul_f32 v193, v154, v13
	s_wait_loadcnt_dscnt 0x201
	v_mul_f32_e32 v206, v180, v137
	v_fma_f32 v3, v144, v2, -v3
	s_wait_loadcnt_dscnt 0x100
	v_mul_f32_e32 v209, v186, v143
	v_mul_f32_e32 v2, v149, v7
	v_fma_f32 v4, v146, v4, -v5
	v_dual_mul_f32 v194, v156, v15 :: v_dual_mul_f32 v195, v158, v17
	v_dual_add_f32 v3, 0, v3 :: v_dual_fmac_f32 v190, v149, v6
	v_dual_mul_f32 v5, v151, v9 :: v_dual_fmac_f32 v192, v153, v10
	v_fma_f32 v2, v148, v6, -v2
	s_delay_alu instid0(VALU_DEP_3) | instskip(NEXT) | instid1(VALU_DEP_3)
	v_dual_add_f32 v3, v3, v4 :: v_dual_fmac_f32 v194, v157, v14
	v_fma_f32 v5, v150, v8, -v5
	v_dual_mul_f32 v196, v160, v19 :: v_dual_mul_f32 v197, v162, v21
	s_delay_alu instid0(VALU_DEP_3) | instskip(SKIP_3) | instid1(VALU_DEP_4)
	v_add_f32_e32 v2, v3, v2
	v_mul_f32_e32 v3, v155, v13
	v_dual_mul_f32 v198, v164, v25 :: v_dual_mul_f32 v199, v166, v27
	v_mul_f32_e32 v4, v153, v11
	v_add_f32_e32 v2, v2, v5
	v_dual_add_f32 v1, 0, v1 :: v_dual_fmac_f32 v196, v161, v18
	v_fma_f32 v3, v154, v12, -v3
	s_delay_alu instid0(VALU_DEP_4) | instskip(SKIP_1) | instid1(VALU_DEP_4)
	v_fma_f32 v4, v152, v10, -v4
	v_fmac_f32_e32 v195, v159, v16
	v_dual_add_f32 v1, v1, v22 :: v_dual_mul_f32 v200, v168, v125
	v_mul_f32_e32 v201, v170, v127
	s_delay_alu instid0(VALU_DEP_4) | instskip(NEXT) | instid1(VALU_DEP_3)
	v_add_f32_e32 v2, v2, v4
	v_dual_mul_f32 v4, v159, v17 :: v_dual_add_f32 v1, v1, v190
	v_dual_fmac_f32 v191, v151, v8 :: v_dual_mul_f32 v204, v176, v133
	v_mul_f32_e32 v205, v178, v135
	s_delay_alu instid0(VALU_DEP_3) | instskip(SKIP_4) | instid1(VALU_DEP_4)
	v_fma_f32 v4, v158, v16, -v4
	v_mul_f32_e32 v5, v157, v15
	v_add_f32_e32 v2, v2, v3
	v_dual_add_f32 v1, v1, v191 :: v_dual_mul_f32 v202, v172, v129
	v_mul_f32_e32 v203, v174, v131
	v_fma_f32 v5, v156, v14, -v5
	v_fmac_f32_e32 v193, v155, v12
	v_dual_fmac_f32 v198, v165, v24 :: v_dual_fmac_f32 v201, v171, v126
	v_dual_fmac_f32 v199, v167, v26 :: v_dual_fmac_f32 v202, v173, v128
	s_delay_alu instid0(VALU_DEP_4) | instskip(SKIP_2) | instid1(VALU_DEP_3)
	v_add_f32_e32 v2, v2, v5
	v_mul_f32_e32 v5, v163, v21
	v_dual_mul_f32 v207, v182, v139 :: v_dual_mul_f32 v208, v184, v141
	v_dual_fmac_f32 v205, v179, v134 :: v_dual_add_f32 v2, v2, v4
	s_delay_alu instid0(VALU_DEP_3) | instskip(SKIP_4) | instid1(VALU_DEP_4)
	v_fma_f32 v5, v162, v20, -v5
	v_mul_f32_e32 v3, v161, v19
	v_mul_f32_e32 v4, v165, v25
	v_dual_fmac_f32 v208, v185, v140 :: v_dual_fmac_f32 v207, v183, v138
	v_fmac_f32_e32 v200, v169, v124
	v_fma_f32 v3, v160, v18, -v3
	v_add_f32_e32 v1, v1, v192
	v_fma_f32 v4, v164, v24, -v4
	v_dual_fmac_f32 v209, v187, v142 :: v_dual_fmac_f32 v204, v177, v132
	s_delay_alu instid0(VALU_DEP_4) | instskip(SKIP_1) | instid1(VALU_DEP_2)
	v_add_f32_e32 v2, v2, v3
	v_dual_mul_f32 v3, v167, v27 :: v_dual_fmac_f32 v206, v181, v136
	v_add_f32_e32 v2, v2, v5
	v_add_f32_e32 v1, v1, v193
	s_delay_alu instid0(VALU_DEP_3) | instskip(NEXT) | instid1(VALU_DEP_2)
	v_fma_f32 v3, v166, v26, -v3
	v_dual_add_f32 v2, v2, v4 :: v_dual_add_f32 v1, v1, v194
	v_mul_f32_e32 v4, v171, v127
	s_delay_alu instid0(VALU_DEP_2) | instskip(SKIP_1) | instid1(VALU_DEP_3)
	v_dual_fmac_f32 v197, v163, v20 :: v_dual_add_f32 v2, v2, v3
	v_mul_f32_e32 v3, v173, v129
	v_fma_f32 v4, v170, v126, -v4
	v_mul_f32_e32 v5, v169, v125
	s_delay_alu instid0(VALU_DEP_3) | instskip(NEXT) | instid1(VALU_DEP_2)
	v_fma_f32 v3, v172, v128, -v3
	v_fma_f32 v5, v168, v124, -v5
	s_delay_alu instid0(VALU_DEP_1) | instskip(NEXT) | instid1(VALU_DEP_1)
	v_dual_add_f32 v1, v1, v195 :: v_dual_add_f32 v2, v2, v5
	v_dual_mul_f32 v5, v175, v131 :: v_dual_add_f32 v2, v2, v4
	s_delay_alu instid0(VALU_DEP_2) | instskip(SKIP_1) | instid1(VALU_DEP_3)
	v_add_f32_e32 v1, v1, v196
	v_mul_f32_e32 v4, v177, v133
	v_fma_f32 v5, v174, v130, -v5
	s_delay_alu instid0(VALU_DEP_4) | instskip(SKIP_1) | instid1(VALU_DEP_4)
	v_dual_add_f32 v2, v2, v3 :: v_dual_fmac_f32 v203, v175, v130
	v_mul_f32_e32 v3, v179, v135
	v_fma_f32 v4, v176, v132, -v4
	s_delay_alu instid0(VALU_DEP_3) | instskip(SKIP_1) | instid1(VALU_DEP_4)
	v_add_f32_e32 v2, v2, v5
	v_add_f32_e32 v1, v1, v197
	v_fma_f32 v3, v178, v134, -v3
	s_delay_alu instid0(VALU_DEP_3) | instskip(NEXT) | instid1(VALU_DEP_3)
	v_dual_add_f32 v2, v2, v4 :: v_dual_mul_f32 v5, v181, v137
	v_dual_add_f32 v1, v1, v198 :: v_dual_mul_f32 v4, v183, v139
	s_delay_alu instid0(VALU_DEP_2) | instskip(NEXT) | instid1(VALU_DEP_3)
	v_add_f32_e32 v2, v2, v3
	v_fma_f32 v5, v180, v136, -v5
	s_delay_alu instid0(VALU_DEP_3) | instskip(SKIP_2) | instid1(VALU_DEP_4)
	v_add_f32_e32 v1, v1, v199
	v_mul_f32_e32 v3, v185, v141
	v_fma_f32 v4, v182, v138, -v4
	v_dual_add_f32 v2, v2, v5 :: v_dual_mul_f32 v5, v187, v143
	s_delay_alu instid0(VALU_DEP_3) | instskip(NEXT) | instid1(VALU_DEP_2)
	v_fma_f32 v3, v184, v140, -v3
	v_add_f32_e32 v2, v2, v4
	v_add_f32_e32 v1, v1, v200
	s_delay_alu instid0(VALU_DEP_4) | instskip(NEXT) | instid1(VALU_DEP_2)
	v_fma_f32 v4, v186, v142, -v5
	v_dual_add_f32 v2, v2, v3 :: v_dual_add_f32 v1, v1, v201
	s_delay_alu instid0(VALU_DEP_1) | instskip(NEXT) | instid1(VALU_DEP_1)
	v_dual_add_f32 v2, v2, v4 :: v_dual_add_f32 v1, v1, v202
	v_add_f32_e32 v1, v1, v203
	s_delay_alu instid0(VALU_DEP_1) | instskip(NEXT) | instid1(VALU_DEP_1)
	v_add_f32_e32 v1, v1, v204
	v_add_f32_e32 v1, v1, v205
	s_delay_alu instid0(VALU_DEP_1) | instskip(NEXT) | instid1(VALU_DEP_1)
	v_add_f32_e32 v1, v1, v206
	v_add_f32_e32 v1, v1, v207
	s_delay_alu instid0(VALU_DEP_1) | instskip(NEXT) | instid1(VALU_DEP_1)
	v_add_f32_e32 v1, v1, v208
	v_add_f32_e32 v3, v1, v209
	s_wait_loadcnt 0x0
	s_delay_alu instid0(VALU_DEP_1)
	v_dual_sub_f32 v1, v188, v2 :: v_dual_sub_f32 v2, v189, v3
	scratch_store_b64 off, v[1:2], off offset:200
	v_cmpx_lt_u32_e32 24, v0
	s_cbranch_execz .LBB47_253
; %bb.252:
	scratch_load_b64 v[1:2], off, off offset:192
	v_mov_b32_e32 v3, 0
	s_delay_alu instid0(VALU_DEP_1)
	v_mov_b32_e32 v4, v3
	scratch_store_b64 off, v[3:4], off offset:192
	s_wait_loadcnt 0x0
	ds_store_b64 v23, v[1:2]
.LBB47_253:
	s_wait_alu 0xfffe
	s_or_b32 exec_lo, exec_lo, s0
	s_wait_storecnt_dscnt 0x0
	s_barrier_signal -1
	s_barrier_wait -1
	global_inv scope:SCOPE_SE
	s_clause 0xc
	scratch_load_b128 v[2:5], off, off offset:200
	scratch_load_b128 v[6:9], off, off offset:216
	;; [unrolled: 1-line block ×11, first 2 shown]
	scratch_load_b64 v[188:189], off, off offset:376
	scratch_load_b64 v[190:191], off, off offset:192
	v_mov_b32_e32 v1, 0
	ds_load_2addr_b64 v[144:147], v1 offset0:73 offset1:74
	ds_load_2addr_b64 v[148:151], v1 offset0:75 offset1:76
	;; [unrolled: 1-line block ×11, first 2 shown]
	ds_load_b64 v[192:193], v1 offset:760
	s_mov_b32 s0, exec_lo
	s_wait_loadcnt_dscnt 0xc0b
	v_mul_f32_e32 v22, v144, v3
	v_dual_mul_f32 v3, v145, v3 :: v_dual_mul_f32 v194, v146, v5
	s_wait_loadcnt_dscnt 0x807
	v_dual_mul_f32 v195, v148, v7 :: v_dual_mul_f32 v202, v162, v21
	v_mul_f32_e32 v5, v147, v5
	s_delay_alu instid0(VALU_DEP_3)
	v_fma_f32 v3, v144, v2, -v3
	v_dual_mul_f32 v196, v150, v9 :: v_dual_mul_f32 v197, v152, v11
	v_fmac_f32_e32 v22, v145, v2
	s_wait_loadcnt_dscnt 0x100
	v_dual_mul_f32 v2, v149, v7 :: v_dual_mul_f32 v215, v192, v189
	v_dual_fmac_f32 v194, v147, v4 :: v_dual_add_f32 v3, 0, v3
	v_fma_f32 v4, v146, v4, -v5
	v_dual_add_f32 v5, 0, v22 :: v_dual_fmac_f32 v196, v151, v8
	v_mul_f32_e32 v7, v151, v9
	v_fma_f32 v2, v148, v6, -v2
	s_delay_alu instid0(VALU_DEP_4)
	v_add_f32_e32 v3, v3, v4
	v_fmac_f32_e32 v195, v149, v6
	v_add_f32_e32 v4, v5, v194
	v_mul_f32_e32 v5, v153, v11
	v_fma_f32 v6, v150, v8, -v7
	v_add_f32_e32 v2, v3, v2
	v_dual_mul_f32 v198, v154, v13 :: v_dual_mul_f32 v199, v156, v15
	v_dual_add_f32 v3, v4, v195 :: v_dual_mul_f32 v4, v155, v13
	v_fma_f32 v5, v152, v10, -v5
	s_delay_alu instid0(VALU_DEP_4)
	v_add_f32_e32 v2, v2, v6
	v_fmac_f32_e32 v197, v153, v10
	v_mul_f32_e32 v6, v157, v15
	v_fmac_f32_e32 v198, v155, v12
	v_add_f32_e32 v3, v3, v196
	v_fma_f32 v4, v154, v12, -v4
	v_add_f32_e32 v2, v2, v5
	v_dual_mul_f32 v200, v158, v17 :: v_dual_mul_f32 v201, v160, v19
	s_delay_alu instid0(VALU_DEP_4)
	v_add_f32_e32 v3, v3, v197
	v_mul_f32_e32 v5, v159, v17
	v_fma_f32 v6, v156, v14, -v6
	v_dual_add_f32 v2, v2, v4 :: v_dual_fmac_f32 v199, v157, v14
	v_fmac_f32_e32 v200, v159, v16
	v_mul_f32_e32 v4, v161, v19
	v_fma_f32 v5, v158, v16, -v5
	s_delay_alu instid0(VALU_DEP_4) | instskip(SKIP_3) | instid1(VALU_DEP_3)
	v_add_f32_e32 v2, v2, v6
	v_add_f32_e32 v3, v3, v198
	v_dual_mul_f32 v6, v163, v21 :: v_dual_fmac_f32 v201, v161, v18
	v_fma_f32 v4, v160, v18, -v4
	v_dual_add_f32 v2, v2, v5 :: v_dual_add_f32 v3, v3, v199
	s_delay_alu instid0(VALU_DEP_3) | instskip(SKIP_1) | instid1(VALU_DEP_3)
	v_fma_f32 v6, v162, v20, -v6
	v_dual_mul_f32 v203, v164, v25 :: v_dual_mul_f32 v204, v166, v27
	v_add_f32_e32 v2, v2, v4
	s_delay_alu instid0(VALU_DEP_4) | instskip(SKIP_1) | instid1(VALU_DEP_4)
	v_add_f32_e32 v3, v3, v200
	v_dual_mul_f32 v5, v165, v25 :: v_dual_fmac_f32 v202, v163, v20
	v_dual_mul_f32 v4, v167, v27 :: v_dual_fmac_f32 v203, v165, v24
	s_delay_alu instid0(VALU_DEP_3) | instskip(NEXT) | instid1(VALU_DEP_3)
	v_dual_add_f32 v2, v2, v6 :: v_dual_add_f32 v3, v3, v201
	v_fma_f32 v5, v164, v24, -v5
	v_dual_mul_f32 v205, v168, v125 :: v_dual_mul_f32 v206, v170, v127
	s_delay_alu instid0(VALU_DEP_3) | instskip(NEXT) | instid1(VALU_DEP_2)
	v_dual_mul_f32 v6, v169, v125 :: v_dual_add_f32 v3, v3, v202
	v_dual_fmac_f32 v204, v167, v26 :: v_dual_fmac_f32 v205, v169, v124
	v_fma_f32 v4, v166, v26, -v4
	s_delay_alu instid0(VALU_DEP_3) | instskip(SKIP_3) | instid1(VALU_DEP_4)
	v_dual_add_f32 v2, v2, v5 :: v_dual_add_f32 v3, v3, v203
	v_mul_f32_e32 v5, v171, v127
	v_fma_f32 v6, v168, v124, -v6
	v_dual_mul_f32 v207, v172, v129 :: v_dual_mul_f32 v208, v174, v131
	v_add_f32_e32 v2, v2, v4
	v_dual_add_f32 v3, v3, v204 :: v_dual_mul_f32 v4, v173, v129
	s_delay_alu instid0(VALU_DEP_3) | instskip(SKIP_1) | instid1(VALU_DEP_3)
	v_dual_fmac_f32 v206, v171, v126 :: v_dual_fmac_f32 v207, v173, v128
	v_fma_f32 v5, v170, v126, -v5
	v_dual_add_f32 v2, v2, v6 :: v_dual_add_f32 v3, v3, v205
	v_mul_f32_e32 v6, v175, v131
	v_fma_f32 v4, v172, v128, -v4
	v_dual_mul_f32 v209, v176, v133 :: v_dual_mul_f32 v210, v178, v135
	s_delay_alu instid0(VALU_DEP_4) | instskip(SKIP_1) | instid1(VALU_DEP_3)
	v_dual_add_f32 v2, v2, v5 :: v_dual_add_f32 v3, v3, v206
	v_dual_mul_f32 v5, v177, v133 :: v_dual_fmac_f32 v208, v175, v130
	v_fmac_f32_e32 v209, v177, v132
	v_fma_f32 v6, v174, v130, -v6
	s_delay_alu instid0(VALU_DEP_4) | instskip(SKIP_2) | instid1(VALU_DEP_2)
	v_dual_add_f32 v2, v2, v4 :: v_dual_add_f32 v3, v3, v207
	v_dual_mul_f32 v211, v180, v137 :: v_dual_mul_f32 v212, v182, v139
	v_dual_mul_f32 v213, v184, v141 :: v_dual_mul_f32 v214, v186, v143
	v_dual_mul_f32 v4, v179, v135 :: v_dual_fmac_f32 v211, v181, v136
	v_fma_f32 v5, v176, v132, -v5
	v_dual_add_f32 v2, v2, v6 :: v_dual_add_f32 v3, v3, v208
	v_mul_f32_e32 v6, v181, v137
	v_dual_fmac_f32 v210, v179, v134 :: v_dual_fmac_f32 v213, v185, v140
	v_fma_f32 v4, v178, v134, -v4
	s_delay_alu instid0(VALU_DEP_4) | instskip(SKIP_3) | instid1(VALU_DEP_3)
	v_add_f32_e32 v3, v3, v209
	v_dual_add_f32 v2, v2, v5 :: v_dual_mul_f32 v5, v183, v139
	v_fma_f32 v6, v180, v136, -v6
	v_fmac_f32_e32 v212, v183, v138
	v_dual_add_f32 v3, v3, v210 :: v_dual_add_f32 v2, v2, v4
	v_mul_f32_e32 v4, v185, v141
	v_fma_f32 v5, v182, v138, -v5
	v_fmac_f32_e32 v214, v187, v142
	s_delay_alu instid0(VALU_DEP_4) | instskip(SKIP_2) | instid1(VALU_DEP_3)
	v_dual_add_f32 v3, v3, v211 :: v_dual_add_f32 v2, v2, v6
	v_dual_mul_f32 v6, v187, v143 :: v_dual_fmac_f32 v215, v193, v188
	v_fma_f32 v4, v184, v140, -v4
	v_add_f32_e32 v2, v2, v5
	v_mul_f32_e32 v5, v193, v189
	v_add_f32_e32 v3, v3, v212
	v_fma_f32 v6, v186, v142, -v6
	s_delay_alu instid0(VALU_DEP_2) | instskip(NEXT) | instid1(VALU_DEP_1)
	v_add_f32_e32 v3, v3, v213
	v_dual_add_f32 v3, v3, v214 :: v_dual_add_f32 v2, v2, v4
	v_fma_f32 v4, v192, v188, -v5
	s_delay_alu instid0(VALU_DEP_2) | instskip(SKIP_1) | instid1(VALU_DEP_1)
	v_dual_add_f32 v3, v3, v215 :: v_dual_add_f32 v2, v2, v6
	s_wait_loadcnt 0x0
	v_dual_sub_f32 v3, v191, v3 :: v_dual_add_f32 v2, v2, v4
	s_delay_alu instid0(VALU_DEP_1)
	v_sub_f32_e32 v2, v190, v2
	scratch_store_b64 off, v[2:3], off offset:192
	v_cmpx_lt_u32_e32 23, v0
	s_cbranch_execz .LBB47_255
; %bb.254:
	scratch_load_b64 v[3:4], off, off offset:184
	v_mov_b32_e32 v2, v1
	scratch_store_b64 off, v[1:2], off offset:184
	s_wait_loadcnt 0x0
	ds_store_b64 v23, v[3:4]
.LBB47_255:
	s_wait_alu 0xfffe
	s_or_b32 exec_lo, exec_lo, s0
	s_wait_storecnt_dscnt 0x0
	s_barrier_signal -1
	s_barrier_wait -1
	global_inv scope:SCOPE_SE
	s_clause 0xc
	scratch_load_b128 v[2:5], off, off offset:192
	scratch_load_b128 v[6:9], off, off offset:208
	;; [unrolled: 1-line block ×12, first 2 shown]
	scratch_load_b64 v[196:197], off, off offset:184
	ds_load_b128 v[148:151], v1 offset:576
	ds_load_b128 v[152:155], v1 offset:592
	;; [unrolled: 1-line block ×12, first 2 shown]
	s_mov_b32 s0, exec_lo
	s_wait_loadcnt_dscnt 0xc0b
	v_dual_mul_f32 v1, v148, v3 :: v_dual_mul_f32 v22, v150, v5
	s_wait_loadcnt_dscnt 0xb0a
	v_dual_mul_f32 v5, v151, v5 :: v_dual_mul_f32 v198, v152, v7
	v_mul_f32_e32 v199, v154, v9
	s_delay_alu instid0(VALU_DEP_3)
	v_fmac_f32_e32 v1, v149, v2
	v_dual_mul_f32 v3, v149, v3 :: v_dual_fmac_f32 v22, v151, v4
	s_wait_loadcnt_dscnt 0xa09
	v_dual_mul_f32 v200, v156, v11 :: v_dual_mul_f32 v201, v158, v13
	s_wait_loadcnt_dscnt 0x201
	v_mul_f32_e32 v216, v188, v141
	v_fma_f32 v3, v148, v2, -v3
	s_wait_loadcnt_dscnt 0x100
	v_mul_f32_e32 v219, v194, v147
	v_mul_f32_e32 v2, v153, v7
	v_fma_f32 v4, v150, v4, -v5
	v_dual_mul_f32 v202, v160, v15 :: v_dual_mul_f32 v203, v162, v17
	v_dual_add_f32 v3, 0, v3 :: v_dual_fmac_f32 v198, v153, v6
	v_dual_mul_f32 v5, v155, v9 :: v_dual_fmac_f32 v200, v157, v10
	v_fma_f32 v2, v152, v6, -v2
	s_delay_alu instid0(VALU_DEP_3) | instskip(NEXT) | instid1(VALU_DEP_3)
	v_dual_add_f32 v3, v3, v4 :: v_dual_fmac_f32 v202, v161, v14
	v_fma_f32 v5, v154, v8, -v5
	v_dual_mul_f32 v204, v164, v19 :: v_dual_mul_f32 v205, v166, v21
	s_delay_alu instid0(VALU_DEP_3) | instskip(SKIP_3) | instid1(VALU_DEP_4)
	v_add_f32_e32 v2, v3, v2
	v_mul_f32_e32 v3, v159, v13
	v_dual_mul_f32 v206, v168, v25 :: v_dual_mul_f32 v207, v170, v27
	v_mul_f32_e32 v4, v157, v11
	v_add_f32_e32 v2, v2, v5
	v_dual_add_f32 v1, 0, v1 :: v_dual_fmac_f32 v204, v165, v18
	v_fma_f32 v3, v158, v12, -v3
	s_delay_alu instid0(VALU_DEP_4) | instskip(SKIP_1) | instid1(VALU_DEP_4)
	v_fma_f32 v4, v156, v10, -v4
	v_fmac_f32_e32 v203, v163, v16
	v_dual_add_f32 v1, v1, v22 :: v_dual_mul_f32 v208, v172, v125
	v_mul_f32_e32 v209, v174, v127
	s_delay_alu instid0(VALU_DEP_4) | instskip(NEXT) | instid1(VALU_DEP_3)
	v_add_f32_e32 v2, v2, v4
	v_dual_mul_f32 v4, v163, v17 :: v_dual_add_f32 v1, v1, v198
	v_dual_fmac_f32 v199, v155, v8 :: v_dual_mul_f32 v212, v180, v133
	v_mul_f32_e32 v213, v182, v135
	s_delay_alu instid0(VALU_DEP_3) | instskip(SKIP_4) | instid1(VALU_DEP_4)
	v_fma_f32 v4, v162, v16, -v4
	v_mul_f32_e32 v5, v161, v15
	v_add_f32_e32 v2, v2, v3
	v_dual_add_f32 v1, v1, v199 :: v_dual_mul_f32 v210, v176, v129
	v_mul_f32_e32 v211, v178, v131
	v_fma_f32 v5, v160, v14, -v5
	v_fmac_f32_e32 v201, v159, v12
	v_dual_fmac_f32 v209, v175, v126 :: v_dual_fmac_f32 v206, v169, v24
	v_dual_mul_f32 v214, v184, v137 :: v_dual_mul_f32 v215, v186, v139
	s_delay_alu instid0(VALU_DEP_4) | instskip(SKIP_3) | instid1(VALU_DEP_3)
	v_add_f32_e32 v2, v2, v5
	v_mul_f32_e32 v5, v167, v21
	v_dual_fmac_f32 v207, v171, v26 :: v_dual_fmac_f32 v210, v177, v128
	v_dual_mul_f32 v217, v190, v143 :: v_dual_mul_f32 v218, v192, v145
	v_fma_f32 v5, v166, v20, -v5
	v_dual_mul_f32 v3, v165, v19 :: v_dual_add_f32 v2, v2, v4
	v_dual_mul_f32 v4, v169, v25 :: v_dual_fmac_f32 v215, v187, v138
	v_dual_fmac_f32 v213, v183, v134 :: v_dual_fmac_f32 v216, v189, v140
	s_delay_alu instid0(VALU_DEP_3) | instskip(SKIP_1) | instid1(VALU_DEP_4)
	v_fma_f32 v3, v164, v18, -v3
	v_add_f32_e32 v1, v1, v200
	v_fma_f32 v4, v168, v24, -v4
	v_dual_fmac_f32 v208, v173, v124 :: v_dual_fmac_f32 v219, v195, v146
	s_delay_alu instid0(VALU_DEP_4) | instskip(SKIP_3) | instid1(VALU_DEP_4)
	v_add_f32_e32 v2, v2, v3
	v_dual_mul_f32 v3, v171, v27 :: v_dual_fmac_f32 v212, v181, v132
	v_fmac_f32_e32 v214, v185, v136
	v_fmac_f32_e32 v218, v193, v144
	v_add_f32_e32 v2, v2, v5
	v_add_f32_e32 v1, v1, v201
	v_fma_f32 v3, v170, v26, -v3
	s_delay_alu instid0(VALU_DEP_2) | instskip(SKIP_1) | instid1(VALU_DEP_2)
	v_dual_add_f32 v2, v2, v4 :: v_dual_add_f32 v1, v1, v202
	v_mul_f32_e32 v4, v175, v127
	v_dual_fmac_f32 v205, v167, v20 :: v_dual_add_f32 v2, v2, v3
	v_mul_f32_e32 v3, v177, v129
	s_delay_alu instid0(VALU_DEP_3) | instskip(SKIP_1) | instid1(VALU_DEP_3)
	v_fma_f32 v4, v174, v126, -v4
	v_mul_f32_e32 v5, v173, v125
	v_fma_f32 v3, v176, v128, -v3
	s_delay_alu instid0(VALU_DEP_2) | instskip(NEXT) | instid1(VALU_DEP_1)
	v_fma_f32 v5, v172, v124, -v5
	v_dual_add_f32 v1, v1, v203 :: v_dual_add_f32 v2, v2, v5
	s_delay_alu instid0(VALU_DEP_1) | instskip(NEXT) | instid1(VALU_DEP_2)
	v_dual_mul_f32 v5, v179, v131 :: v_dual_add_f32 v2, v2, v4
	v_add_f32_e32 v1, v1, v204
	v_mul_f32_e32 v4, v181, v133
	s_delay_alu instid0(VALU_DEP_3) | instskip(NEXT) | instid1(VALU_DEP_4)
	v_fma_f32 v5, v178, v130, -v5
	v_dual_add_f32 v2, v2, v3 :: v_dual_fmac_f32 v211, v179, v130
	v_mul_f32_e32 v3, v183, v135
	s_delay_alu instid0(VALU_DEP_4) | instskip(NEXT) | instid1(VALU_DEP_3)
	v_fma_f32 v4, v180, v132, -v4
	v_add_f32_e32 v2, v2, v5
	v_add_f32_e32 v1, v1, v205
	s_delay_alu instid0(VALU_DEP_4) | instskip(NEXT) | instid1(VALU_DEP_3)
	v_fma_f32 v3, v182, v134, -v3
	v_dual_add_f32 v2, v2, v4 :: v_dual_mul_f32 v5, v185, v137
	s_delay_alu instid0(VALU_DEP_3) | instskip(NEXT) | instid1(VALU_DEP_2)
	v_dual_add_f32 v1, v1, v206 :: v_dual_mul_f32 v4, v187, v139
	v_add_f32_e32 v2, v2, v3
	s_delay_alu instid0(VALU_DEP_3) | instskip(NEXT) | instid1(VALU_DEP_3)
	v_fma_f32 v5, v184, v136, -v5
	v_add_f32_e32 v1, v1, v207
	v_mul_f32_e32 v3, v189, v141
	v_fma_f32 v4, v186, v138, -v4
	s_delay_alu instid0(VALU_DEP_4) | instskip(NEXT) | instid1(VALU_DEP_3)
	v_dual_add_f32 v2, v2, v5 :: v_dual_mul_f32 v5, v191, v143
	v_fma_f32 v3, v188, v140, -v3
	s_delay_alu instid0(VALU_DEP_2) | instskip(SKIP_3) | instid1(VALU_DEP_4)
	v_add_f32_e32 v2, v2, v4
	v_add_f32_e32 v1, v1, v208
	v_mul_f32_e32 v4, v193, v145
	v_fma_f32 v5, v190, v142, -v5
	v_dual_add_f32 v2, v2, v3 :: v_dual_fmac_f32 v217, v191, v142
	v_mul_f32_e32 v3, v195, v147
	s_delay_alu instid0(VALU_DEP_4) | instskip(NEXT) | instid1(VALU_DEP_3)
	v_fma_f32 v4, v192, v144, -v4
	v_add_f32_e32 v2, v2, v5
	v_add_f32_e32 v1, v1, v209
	s_delay_alu instid0(VALU_DEP_4) | instskip(NEXT) | instid1(VALU_DEP_2)
	v_fma_f32 v3, v194, v146, -v3
	v_dual_add_f32 v2, v2, v4 :: v_dual_add_f32 v1, v1, v210
	s_delay_alu instid0(VALU_DEP_1) | instskip(NEXT) | instid1(VALU_DEP_2)
	v_add_f32_e32 v2, v2, v3
	v_add_f32_e32 v1, v1, v211
	s_delay_alu instid0(VALU_DEP_1) | instskip(NEXT) | instid1(VALU_DEP_1)
	v_add_f32_e32 v1, v1, v212
	v_add_f32_e32 v1, v1, v213
	s_delay_alu instid0(VALU_DEP_1) | instskip(NEXT) | instid1(VALU_DEP_1)
	;; [unrolled: 3-line block ×4, first 2 shown]
	v_add_f32_e32 v1, v1, v218
	v_add_f32_e32 v3, v1, v219
	s_wait_loadcnt 0x0
	s_delay_alu instid0(VALU_DEP_1)
	v_dual_sub_f32 v1, v196, v2 :: v_dual_sub_f32 v2, v197, v3
	scratch_store_b64 off, v[1:2], off offset:184
	v_cmpx_lt_u32_e32 22, v0
	s_cbranch_execz .LBB47_257
; %bb.256:
	scratch_load_b64 v[1:2], off, off offset:176
	v_mov_b32_e32 v3, 0
	s_delay_alu instid0(VALU_DEP_1)
	v_mov_b32_e32 v4, v3
	scratch_store_b64 off, v[3:4], off offset:176
	s_wait_loadcnt 0x0
	ds_store_b64 v23, v[1:2]
.LBB47_257:
	s_wait_alu 0xfffe
	s_or_b32 exec_lo, exec_lo, s0
	s_wait_storecnt_dscnt 0x0
	s_barrier_signal -1
	s_barrier_wait -1
	global_inv scope:SCOPE_SE
	s_clause 0xd
	scratch_load_b128 v[2:5], off, off offset:184
	scratch_load_b128 v[6:9], off, off offset:200
	;; [unrolled: 1-line block ×12, first 2 shown]
	scratch_load_b64 v[196:197], off, off offset:376
	scratch_load_b64 v[198:199], off, off offset:176
	v_mov_b32_e32 v1, 0
	ds_load_2addr_b64 v[148:151], v1 offset0:71 offset1:72
	ds_load_2addr_b64 v[152:155], v1 offset0:73 offset1:74
	;; [unrolled: 1-line block ×12, first 2 shown]
	ds_load_b64 v[200:201], v1 offset:760
	s_mov_b32 s0, exec_lo
	s_wait_loadcnt_dscnt 0xd0c
	v_mul_f32_e32 v22, v148, v3
	v_dual_mul_f32 v3, v149, v3 :: v_dual_mul_f32 v202, v150, v5
	s_wait_loadcnt_dscnt 0x908
	v_dual_mul_f32 v203, v152, v7 :: v_dual_mul_f32 v210, v166, v21
	v_mul_f32_e32 v5, v151, v5
	s_delay_alu instid0(VALU_DEP_3) | instskip(SKIP_3) | instid1(VALU_DEP_4)
	v_fma_f32 v3, v148, v2, -v3
	v_dual_mul_f32 v204, v154, v9 :: v_dual_mul_f32 v205, v156, v11
	v_fmac_f32_e32 v22, v149, v2
	v_mul_f32_e32 v2, v153, v7
	v_dual_fmac_f32 v202, v151, v4 :: v_dual_add_f32 v3, 0, v3
	s_wait_loadcnt_dscnt 0x100
	v_mul_f32_e32 v225, v200, v197
	v_fma_f32 v4, v150, v4, -v5
	v_dual_add_f32 v5, 0, v22 :: v_dual_fmac_f32 v204, v155, v8
	v_mul_f32_e32 v7, v155, v9
	v_fma_f32 v2, v152, v6, -v2
	s_delay_alu instid0(VALU_DEP_4)
	v_add_f32_e32 v3, v3, v4
	v_fmac_f32_e32 v203, v153, v6
	v_add_f32_e32 v4, v5, v202
	v_mul_f32_e32 v5, v157, v11
	v_fma_f32 v6, v154, v8, -v7
	v_add_f32_e32 v2, v3, v2
	v_dual_mul_f32 v206, v158, v13 :: v_dual_mul_f32 v207, v160, v15
	v_dual_add_f32 v3, v4, v203 :: v_dual_mul_f32 v4, v159, v13
	v_fma_f32 v5, v156, v10, -v5
	s_delay_alu instid0(VALU_DEP_4)
	v_add_f32_e32 v2, v2, v6
	v_fmac_f32_e32 v205, v157, v10
	v_mul_f32_e32 v6, v161, v15
	v_fmac_f32_e32 v206, v159, v12
	v_add_f32_e32 v3, v3, v204
	v_fma_f32 v4, v158, v12, -v4
	v_add_f32_e32 v2, v2, v5
	v_dual_mul_f32 v208, v162, v17 :: v_dual_mul_f32 v209, v164, v19
	s_delay_alu instid0(VALU_DEP_4)
	v_add_f32_e32 v3, v3, v205
	v_mul_f32_e32 v5, v163, v17
	v_fma_f32 v6, v160, v14, -v6
	v_dual_add_f32 v2, v2, v4 :: v_dual_fmac_f32 v207, v161, v14
	v_fmac_f32_e32 v208, v163, v16
	v_mul_f32_e32 v4, v165, v19
	v_fma_f32 v5, v162, v16, -v5
	s_delay_alu instid0(VALU_DEP_4) | instskip(SKIP_3) | instid1(VALU_DEP_3)
	v_add_f32_e32 v2, v2, v6
	v_add_f32_e32 v3, v3, v206
	v_dual_mul_f32 v6, v167, v21 :: v_dual_fmac_f32 v209, v165, v18
	v_fma_f32 v4, v164, v18, -v4
	v_dual_add_f32 v2, v2, v5 :: v_dual_add_f32 v3, v3, v207
	s_delay_alu instid0(VALU_DEP_3) | instskip(SKIP_1) | instid1(VALU_DEP_3)
	v_fma_f32 v6, v166, v20, -v6
	v_dual_mul_f32 v211, v168, v25 :: v_dual_mul_f32 v212, v170, v27
	v_add_f32_e32 v2, v2, v4
	s_delay_alu instid0(VALU_DEP_4) | instskip(SKIP_1) | instid1(VALU_DEP_4)
	v_add_f32_e32 v3, v3, v208
	v_dual_mul_f32 v5, v169, v25 :: v_dual_fmac_f32 v210, v167, v20
	v_dual_mul_f32 v4, v171, v27 :: v_dual_fmac_f32 v211, v169, v24
	s_delay_alu instid0(VALU_DEP_3) | instskip(NEXT) | instid1(VALU_DEP_3)
	v_dual_add_f32 v2, v2, v6 :: v_dual_add_f32 v3, v3, v209
	v_fma_f32 v5, v168, v24, -v5
	v_dual_mul_f32 v213, v172, v125 :: v_dual_mul_f32 v214, v174, v127
	s_delay_alu instid0(VALU_DEP_3) | instskip(NEXT) | instid1(VALU_DEP_2)
	v_dual_mul_f32 v6, v173, v125 :: v_dual_add_f32 v3, v3, v210
	v_dual_fmac_f32 v212, v171, v26 :: v_dual_fmac_f32 v213, v173, v124
	v_fma_f32 v4, v170, v26, -v4
	s_delay_alu instid0(VALU_DEP_3) | instskip(SKIP_3) | instid1(VALU_DEP_4)
	v_dual_add_f32 v2, v2, v5 :: v_dual_add_f32 v3, v3, v211
	v_mul_f32_e32 v5, v175, v127
	v_fma_f32 v6, v172, v124, -v6
	v_dual_mul_f32 v215, v176, v129 :: v_dual_mul_f32 v216, v178, v131
	v_add_f32_e32 v2, v2, v4
	v_dual_add_f32 v3, v3, v212 :: v_dual_mul_f32 v4, v177, v129
	s_delay_alu instid0(VALU_DEP_3) | instskip(SKIP_1) | instid1(VALU_DEP_3)
	v_dual_fmac_f32 v214, v175, v126 :: v_dual_fmac_f32 v215, v177, v128
	v_fma_f32 v5, v174, v126, -v5
	v_dual_add_f32 v2, v2, v6 :: v_dual_add_f32 v3, v3, v213
	v_mul_f32_e32 v6, v179, v131
	v_fma_f32 v4, v176, v128, -v4
	v_dual_mul_f32 v217, v180, v133 :: v_dual_mul_f32 v218, v182, v135
	s_delay_alu instid0(VALU_DEP_4) | instskip(SKIP_1) | instid1(VALU_DEP_3)
	v_dual_add_f32 v2, v2, v5 :: v_dual_add_f32 v3, v3, v214
	v_dual_mul_f32 v5, v181, v133 :: v_dual_fmac_f32 v216, v179, v130
	v_fmac_f32_e32 v217, v181, v132
	v_fma_f32 v6, v178, v130, -v6
	s_delay_alu instid0(VALU_DEP_4) | instskip(SKIP_2) | instid1(VALU_DEP_2)
	v_dual_add_f32 v2, v2, v4 :: v_dual_add_f32 v3, v3, v215
	v_dual_mul_f32 v219, v184, v137 :: v_dual_mul_f32 v220, v186, v139
	v_dual_mul_f32 v221, v188, v141 :: v_dual_mul_f32 v222, v190, v143
	v_dual_mul_f32 v4, v183, v135 :: v_dual_fmac_f32 v219, v185, v136
	v_fma_f32 v5, v180, v132, -v5
	v_dual_add_f32 v2, v2, v6 :: v_dual_add_f32 v3, v3, v216
	v_mul_f32_e32 v6, v185, v137
	v_dual_fmac_f32 v218, v183, v134 :: v_dual_fmac_f32 v221, v189, v140
	v_fma_f32 v4, v182, v134, -v4
	s_delay_alu instid0(VALU_DEP_4) | instskip(SKIP_3) | instid1(VALU_DEP_3)
	v_add_f32_e32 v3, v3, v217
	v_dual_add_f32 v2, v2, v5 :: v_dual_mul_f32 v5, v187, v139
	v_fma_f32 v6, v184, v136, -v6
	v_fmac_f32_e32 v220, v187, v138
	v_dual_add_f32 v3, v3, v218 :: v_dual_add_f32 v2, v2, v4
	v_mul_f32_e32 v4, v189, v141
	v_fma_f32 v5, v186, v138, -v5
	v_dual_mul_f32 v223, v192, v145 :: v_dual_mul_f32 v224, v194, v147
	s_delay_alu instid0(VALU_DEP_4) | instskip(NEXT) | instid1(VALU_DEP_2)
	v_dual_add_f32 v3, v3, v219 :: v_dual_add_f32 v2, v2, v6
	v_dual_mul_f32 v6, v191, v143 :: v_dual_fmac_f32 v223, v193, v144
	v_dual_fmac_f32 v222, v191, v142 :: v_dual_fmac_f32 v225, v201, v196
	s_delay_alu instid0(VALU_DEP_3)
	v_add_f32_e32 v2, v2, v5
	v_mul_f32_e32 v5, v193, v145
	v_add_f32_e32 v3, v3, v220
	v_fma_f32 v6, v190, v142, -v6
	v_fma_f32 v4, v188, v140, -v4
	v_fmac_f32_e32 v224, v195, v146
	v_fma_f32 v5, v192, v144, -v5
	v_add_f32_e32 v3, v3, v221
	s_delay_alu instid0(VALU_DEP_1) | instskip(SKIP_1) | instid1(VALU_DEP_2)
	v_dual_add_f32 v3, v3, v222 :: v_dual_add_f32 v2, v2, v4
	v_mul_f32_e32 v4, v195, v147
	v_dual_add_f32 v3, v3, v223 :: v_dual_add_f32 v2, v2, v6
	v_mul_f32_e32 v6, v201, v197
	s_delay_alu instid0(VALU_DEP_3) | instskip(NEXT) | instid1(VALU_DEP_3)
	v_fma_f32 v4, v194, v146, -v4
	v_add_f32_e32 v3, v3, v224
	s_delay_alu instid0(VALU_DEP_1) | instskip(SKIP_3) | instid1(VALU_DEP_2)
	v_add_f32_e32 v3, v3, v225
	v_add_f32_e32 v2, v2, v5
	v_fma_f32 v5, v200, v196, -v6
	s_wait_loadcnt 0x0
	v_dual_sub_f32 v3, v199, v3 :: v_dual_add_f32 v2, v2, v4
	s_delay_alu instid0(VALU_DEP_1) | instskip(NEXT) | instid1(VALU_DEP_1)
	v_add_f32_e32 v2, v2, v5
	v_sub_f32_e32 v2, v198, v2
	scratch_store_b64 off, v[2:3], off offset:176
	v_cmpx_lt_u32_e32 21, v0
	s_cbranch_execz .LBB47_259
; %bb.258:
	scratch_load_b64 v[3:4], off, off offset:168
	v_mov_b32_e32 v2, v1
	scratch_store_b64 off, v[1:2], off offset:168
	s_wait_loadcnt 0x0
	ds_store_b64 v23, v[3:4]
.LBB47_259:
	s_wait_alu 0xfffe
	s_or_b32 exec_lo, exec_lo, s0
	s_wait_storecnt_dscnt 0x0
	s_barrier_signal -1
	s_barrier_wait -1
	global_inv scope:SCOPE_SE
	s_clause 0xd
	scratch_load_b128 v[2:5], off, off offset:176
	scratch_load_b128 v[6:9], off, off offset:192
	;; [unrolled: 1-line block ×13, first 2 shown]
	scratch_load_b64 v[204:205], off, off offset:168
	ds_load_b128 v[152:155], v1 offset:560
	ds_load_b128 v[156:159], v1 offset:576
	;; [unrolled: 1-line block ×13, first 2 shown]
	s_mov_b32 s0, exec_lo
	s_wait_loadcnt_dscnt 0xd0c
	v_dual_mul_f32 v1, v152, v3 :: v_dual_mul_f32 v22, v154, v5
	s_wait_loadcnt_dscnt 0xc0b
	v_dual_mul_f32 v5, v155, v5 :: v_dual_mul_f32 v206, v156, v7
	v_mul_f32_e32 v207, v158, v9
	s_wait_loadcnt_dscnt 0xb0a
	v_dual_fmac_f32 v1, v153, v2 :: v_dual_mul_f32 v208, v160, v11
	v_mul_f32_e32 v209, v162, v13
	v_dual_mul_f32 v3, v153, v3 :: v_dual_fmac_f32 v22, v155, v4
	s_wait_loadcnt_dscnt 0xa09
	v_dual_mul_f32 v210, v164, v15 :: v_dual_mul_f32 v211, v166, v17
	s_wait_loadcnt_dscnt 0x201
	v_mul_f32_e32 v226, v196, v145
	v_fma_f32 v3, v152, v2, -v3
	s_wait_loadcnt_dscnt 0x100
	v_mul_f32_e32 v229, v202, v151
	v_mul_f32_e32 v2, v157, v7
	v_fma_f32 v4, v154, v4, -v5
	v_dual_mul_f32 v5, v159, v9 :: v_dual_fmac_f32 v208, v161, v10
	v_dual_add_f32 v3, 0, v3 :: v_dual_fmac_f32 v206, v157, v6
	s_delay_alu instid0(VALU_DEP_4) | instskip(NEXT) | instid1(VALU_DEP_3)
	v_fma_f32 v2, v156, v6, -v2
	v_fma_f32 v5, v158, v8, -v5
	s_delay_alu instid0(VALU_DEP_3) | instskip(SKIP_2) | instid1(VALU_DEP_3)
	v_dual_fmac_f32 v210, v165, v14 :: v_dual_add_f32 v3, v3, v4
	v_dual_mul_f32 v212, v168, v19 :: v_dual_mul_f32 v213, v170, v21
	v_dual_mul_f32 v214, v172, v25 :: v_dual_mul_f32 v215, v174, v27
	v_add_f32_e32 v2, v3, v2
	s_delay_alu instid0(VALU_DEP_3) | instskip(SKIP_1) | instid1(VALU_DEP_3)
	v_dual_mul_f32 v3, v163, v13 :: v_dual_fmac_f32 v212, v169, v18
	v_dual_mul_f32 v4, v161, v11 :: v_dual_fmac_f32 v211, v167, v16
	v_add_f32_e32 v2, v2, v5
	v_add_f32_e32 v1, 0, v1
	s_delay_alu instid0(VALU_DEP_4) | instskip(NEXT) | instid1(VALU_DEP_4)
	v_fma_f32 v3, v162, v12, -v3
	v_fma_f32 v4, v160, v10, -v4
	v_dual_mul_f32 v216, v176, v125 :: v_dual_mul_f32 v217, v178, v127
	s_delay_alu instid0(VALU_DEP_4) | instskip(SKIP_1) | instid1(VALU_DEP_4)
	v_dual_add_f32 v1, v1, v22 :: v_dual_mul_f32 v220, v184, v133
	v_mul_f32_e32 v221, v186, v135
	v_add_f32_e32 v2, v2, v4
	s_delay_alu instid0(VALU_DEP_3) | instskip(SKIP_2) | instid1(VALU_DEP_3)
	v_dual_mul_f32 v4, v167, v17 :: v_dual_add_f32 v1, v1, v206
	v_dual_fmac_f32 v207, v159, v8 :: v_dual_mul_f32 v218, v180, v129
	v_mul_f32_e32 v219, v182, v131
	v_fma_f32 v4, v166, v16, -v4
	v_mul_f32_e32 v5, v165, v15
	v_add_f32_e32 v2, v2, v3
	v_add_f32_e32 v1, v1, v207
	v_dual_fmac_f32 v217, v179, v126 :: v_dual_mul_f32 v222, v188, v137
	v_mul_f32_e32 v223, v190, v139
	v_fma_f32 v5, v164, v14, -v5
	v_fmac_f32_e32 v209, v163, v12
	v_dual_fmac_f32 v214, v173, v24 :: v_dual_fmac_f32 v215, v175, v26
	v_fmac_f32_e32 v218, v181, v128
	s_delay_alu instid0(VALU_DEP_4) | instskip(SKIP_2) | instid1(VALU_DEP_3)
	v_add_f32_e32 v2, v2, v5
	v_mul_f32_e32 v5, v171, v21
	v_dual_mul_f32 v224, v192, v141 :: v_dual_mul_f32 v225, v194, v143
	v_dual_fmac_f32 v223, v191, v138 :: v_dual_add_f32 v2, v2, v4
	s_delay_alu instid0(VALU_DEP_3) | instskip(SKIP_4) | instid1(VALU_DEP_4)
	v_fma_f32 v5, v170, v20, -v5
	v_mul_f32_e32 v3, v169, v19
	v_dual_mul_f32 v4, v173, v25 :: v_dual_mul_f32 v227, v198, v147
	v_mul_f32_e32 v228, v200, v149
	v_fmac_f32_e32 v216, v177, v124
	v_fma_f32 v3, v168, v18, -v3
	v_add_f32_e32 v1, v1, v208
	v_fma_f32 v4, v172, v24, -v4
	v_dual_fmac_f32 v221, v187, v134 :: v_dual_fmac_f32 v224, v193, v140
	s_delay_alu instid0(VALU_DEP_4) | instskip(SKIP_3) | instid1(VALU_DEP_4)
	v_add_f32_e32 v2, v2, v3
	v_mul_f32_e32 v3, v175, v27
	v_fmac_f32_e32 v227, v199, v146
	v_dual_fmac_f32 v229, v203, v150 :: v_dual_fmac_f32 v220, v185, v132
	v_add_f32_e32 v2, v2, v5
	v_add_f32_e32 v1, v1, v209
	v_fma_f32 v3, v174, v26, -v3
	v_fmac_f32_e32 v222, v189, v136
	v_fmac_f32_e32 v226, v197, v144
	s_delay_alu instid0(VALU_DEP_4) | instskip(SKIP_3) | instid1(VALU_DEP_4)
	v_dual_add_f32 v2, v2, v4 :: v_dual_add_f32 v1, v1, v210
	v_mul_f32_e32 v4, v179, v127
	v_fmac_f32_e32 v213, v171, v20
	v_fmac_f32_e32 v228, v201, v148
	v_dual_add_f32 v2, v2, v3 :: v_dual_mul_f32 v3, v181, v129
	s_delay_alu instid0(VALU_DEP_4) | instskip(SKIP_1) | instid1(VALU_DEP_3)
	v_fma_f32 v4, v178, v126, -v4
	v_mul_f32_e32 v5, v177, v125
	v_fma_f32 v3, v180, v128, -v3
	s_delay_alu instid0(VALU_DEP_2) | instskip(NEXT) | instid1(VALU_DEP_1)
	v_fma_f32 v5, v176, v124, -v5
	v_dual_add_f32 v1, v1, v211 :: v_dual_add_f32 v2, v2, v5
	s_delay_alu instid0(VALU_DEP_1) | instskip(NEXT) | instid1(VALU_DEP_2)
	v_dual_mul_f32 v5, v183, v131 :: v_dual_add_f32 v2, v2, v4
	v_add_f32_e32 v1, v1, v212
	v_mul_f32_e32 v4, v185, v133
	s_delay_alu instid0(VALU_DEP_3) | instskip(NEXT) | instid1(VALU_DEP_4)
	v_fma_f32 v5, v182, v130, -v5
	v_dual_add_f32 v2, v2, v3 :: v_dual_fmac_f32 v219, v183, v130
	v_mul_f32_e32 v3, v187, v135
	s_delay_alu instid0(VALU_DEP_4) | instskip(NEXT) | instid1(VALU_DEP_3)
	v_fma_f32 v4, v184, v132, -v4
	v_add_f32_e32 v2, v2, v5
	v_add_f32_e32 v1, v1, v213
	s_delay_alu instid0(VALU_DEP_4) | instskip(NEXT) | instid1(VALU_DEP_3)
	v_fma_f32 v3, v186, v134, -v3
	v_dual_add_f32 v2, v2, v4 :: v_dual_mul_f32 v5, v189, v137
	s_delay_alu instid0(VALU_DEP_3) | instskip(NEXT) | instid1(VALU_DEP_2)
	v_dual_add_f32 v1, v1, v214 :: v_dual_mul_f32 v4, v191, v139
	v_add_f32_e32 v2, v2, v3
	s_delay_alu instid0(VALU_DEP_3) | instskip(NEXT) | instid1(VALU_DEP_3)
	v_fma_f32 v5, v188, v136, -v5
	v_add_f32_e32 v1, v1, v215
	v_mul_f32_e32 v3, v193, v141
	v_fma_f32 v4, v190, v138, -v4
	s_delay_alu instid0(VALU_DEP_4) | instskip(NEXT) | instid1(VALU_DEP_3)
	v_dual_add_f32 v2, v2, v5 :: v_dual_mul_f32 v5, v195, v143
	v_fma_f32 v3, v192, v140, -v3
	s_delay_alu instid0(VALU_DEP_2) | instskip(SKIP_3) | instid1(VALU_DEP_4)
	v_add_f32_e32 v2, v2, v4
	v_add_f32_e32 v1, v1, v216
	v_mul_f32_e32 v4, v197, v145
	v_fma_f32 v5, v194, v142, -v5
	v_dual_add_f32 v2, v2, v3 :: v_dual_fmac_f32 v225, v195, v142
	v_mul_f32_e32 v3, v199, v147
	s_delay_alu instid0(VALU_DEP_4) | instskip(NEXT) | instid1(VALU_DEP_3)
	v_fma_f32 v4, v196, v144, -v4
	v_add_f32_e32 v2, v2, v5
	v_add_f32_e32 v1, v1, v217
	s_delay_alu instid0(VALU_DEP_4) | instskip(NEXT) | instid1(VALU_DEP_2)
	v_fma_f32 v3, v198, v146, -v3
	v_dual_add_f32 v2, v2, v4 :: v_dual_add_f32 v1, v1, v218
	v_dual_mul_f32 v4, v203, v151 :: v_dual_mul_f32 v5, v201, v149
	s_delay_alu instid0(VALU_DEP_2) | instskip(NEXT) | instid1(VALU_DEP_2)
	v_add_f32_e32 v2, v2, v3
	v_fma_f32 v3, v202, v150, -v4
	s_delay_alu instid0(VALU_DEP_3) | instskip(NEXT) | instid1(VALU_DEP_1)
	v_fma_f32 v5, v200, v148, -v5
	v_dual_add_f32 v1, v1, v219 :: v_dual_add_f32 v2, v2, v5
	s_delay_alu instid0(VALU_DEP_1) | instskip(NEXT) | instid1(VALU_DEP_1)
	v_dual_add_f32 v1, v1, v220 :: v_dual_add_f32 v2, v2, v3
	v_add_f32_e32 v1, v1, v221
	s_delay_alu instid0(VALU_DEP_1) | instskip(NEXT) | instid1(VALU_DEP_1)
	v_add_f32_e32 v1, v1, v222
	v_add_f32_e32 v1, v1, v223
	s_delay_alu instid0(VALU_DEP_1) | instskip(NEXT) | instid1(VALU_DEP_1)
	v_add_f32_e32 v1, v1, v224
	;; [unrolled: 3-line block ×4, first 2 shown]
	v_add_f32_e32 v3, v1, v229
	s_wait_loadcnt 0x0
	s_delay_alu instid0(VALU_DEP_1)
	v_dual_sub_f32 v1, v204, v2 :: v_dual_sub_f32 v2, v205, v3
	scratch_store_b64 off, v[1:2], off offset:168
	v_cmpx_lt_u32_e32 20, v0
	s_cbranch_execz .LBB47_261
; %bb.260:
	scratch_load_b64 v[1:2], off, off offset:160
	v_mov_b32_e32 v3, 0
	s_delay_alu instid0(VALU_DEP_1)
	v_mov_b32_e32 v4, v3
	scratch_store_b64 off, v[3:4], off offset:160
	s_wait_loadcnt 0x0
	ds_store_b64 v23, v[1:2]
.LBB47_261:
	s_wait_alu 0xfffe
	s_or_b32 exec_lo, exec_lo, s0
	s_wait_storecnt_dscnt 0x0
	s_barrier_signal -1
	s_barrier_wait -1
	global_inv scope:SCOPE_SE
	s_clause 0xe
	scratch_load_b128 v[2:5], off, off offset:168
	scratch_load_b128 v[6:9], off, off offset:184
	;; [unrolled: 1-line block ×13, first 2 shown]
	scratch_load_b64 v[204:205], off, off offset:376
	scratch_load_b64 v[206:207], off, off offset:160
	v_mov_b32_e32 v1, 0
	ds_load_2addr_b64 v[152:155], v1 offset0:69 offset1:70
	ds_load_2addr_b64 v[156:159], v1 offset0:71 offset1:72
	ds_load_2addr_b64 v[160:163], v1 offset0:73 offset1:74
	ds_load_2addr_b64 v[164:167], v1 offset0:75 offset1:76
	ds_load_2addr_b64 v[168:171], v1 offset0:77 offset1:78
	ds_load_2addr_b64 v[172:175], v1 offset0:79 offset1:80
	ds_load_2addr_b64 v[176:179], v1 offset0:81 offset1:82
	ds_load_2addr_b64 v[180:183], v1 offset0:83 offset1:84
	ds_load_2addr_b64 v[184:187], v1 offset0:85 offset1:86
	ds_load_2addr_b64 v[188:191], v1 offset0:87 offset1:88
	ds_load_2addr_b64 v[192:195], v1 offset0:89 offset1:90
	ds_load_2addr_b64 v[196:199], v1 offset0:91 offset1:92
	ds_load_2addr_b64 v[200:203], v1 offset0:93 offset1:94
	ds_load_b64 v[208:209], v1 offset:760
	s_mov_b32 s0, exec_lo
	s_wait_loadcnt_dscnt 0xe0d
	v_mul_f32_e32 v22, v152, v3
	v_dual_mul_f32 v3, v153, v3 :: v_dual_mul_f32 v210, v154, v5
	s_wait_loadcnt_dscnt 0xa09
	v_dual_mul_f32 v211, v156, v7 :: v_dual_mul_f32 v218, v170, v21
	v_mul_f32_e32 v5, v155, v5
	s_delay_alu instid0(VALU_DEP_3) | instskip(SKIP_3) | instid1(VALU_DEP_4)
	v_fma_f32 v3, v152, v2, -v3
	v_dual_mul_f32 v212, v158, v9 :: v_dual_mul_f32 v213, v160, v11
	v_fmac_f32_e32 v22, v153, v2
	v_mul_f32_e32 v2, v157, v7
	v_dual_fmac_f32 v210, v155, v4 :: v_dual_add_f32 v3, 0, v3
	s_wait_loadcnt_dscnt 0x100
	v_mul_f32_e32 v235, v208, v205
	v_fma_f32 v4, v154, v4, -v5
	v_dual_add_f32 v5, 0, v22 :: v_dual_fmac_f32 v212, v159, v8
	v_mul_f32_e32 v7, v159, v9
	v_fma_f32 v2, v156, v6, -v2
	s_delay_alu instid0(VALU_DEP_4)
	v_add_f32_e32 v3, v3, v4
	v_fmac_f32_e32 v211, v157, v6
	v_add_f32_e32 v4, v5, v210
	v_mul_f32_e32 v5, v161, v11
	v_fma_f32 v6, v158, v8, -v7
	v_add_f32_e32 v2, v3, v2
	v_dual_mul_f32 v214, v162, v13 :: v_dual_mul_f32 v215, v164, v15
	v_dual_add_f32 v3, v4, v211 :: v_dual_mul_f32 v4, v163, v13
	v_fma_f32 v5, v160, v10, -v5
	s_delay_alu instid0(VALU_DEP_4)
	v_add_f32_e32 v2, v2, v6
	v_fmac_f32_e32 v213, v161, v10
	v_mul_f32_e32 v6, v165, v15
	v_fmac_f32_e32 v214, v163, v12
	v_add_f32_e32 v3, v3, v212
	v_fma_f32 v4, v162, v12, -v4
	v_add_f32_e32 v2, v2, v5
	v_dual_mul_f32 v216, v166, v17 :: v_dual_mul_f32 v217, v168, v19
	s_delay_alu instid0(VALU_DEP_4)
	v_add_f32_e32 v3, v3, v213
	v_mul_f32_e32 v5, v167, v17
	v_fma_f32 v6, v164, v14, -v6
	v_dual_add_f32 v2, v2, v4 :: v_dual_fmac_f32 v215, v165, v14
	v_fmac_f32_e32 v216, v167, v16
	v_mul_f32_e32 v4, v169, v19
	v_fma_f32 v5, v166, v16, -v5
	s_delay_alu instid0(VALU_DEP_4) | instskip(SKIP_3) | instid1(VALU_DEP_3)
	v_add_f32_e32 v2, v2, v6
	v_add_f32_e32 v3, v3, v214
	v_dual_mul_f32 v6, v171, v21 :: v_dual_fmac_f32 v217, v169, v18
	v_fma_f32 v4, v168, v18, -v4
	v_dual_add_f32 v2, v2, v5 :: v_dual_add_f32 v3, v3, v215
	s_delay_alu instid0(VALU_DEP_3) | instskip(SKIP_1) | instid1(VALU_DEP_3)
	v_fma_f32 v6, v170, v20, -v6
	v_dual_mul_f32 v219, v172, v25 :: v_dual_mul_f32 v220, v174, v27
	v_add_f32_e32 v2, v2, v4
	s_delay_alu instid0(VALU_DEP_4) | instskip(SKIP_1) | instid1(VALU_DEP_4)
	v_add_f32_e32 v3, v3, v216
	v_dual_mul_f32 v5, v173, v25 :: v_dual_fmac_f32 v218, v171, v20
	v_dual_mul_f32 v4, v175, v27 :: v_dual_fmac_f32 v219, v173, v24
	s_delay_alu instid0(VALU_DEP_3) | instskip(NEXT) | instid1(VALU_DEP_3)
	v_dual_add_f32 v2, v2, v6 :: v_dual_add_f32 v3, v3, v217
	v_fma_f32 v5, v172, v24, -v5
	v_dual_mul_f32 v221, v176, v125 :: v_dual_mul_f32 v222, v178, v127
	s_delay_alu instid0(VALU_DEP_3) | instskip(NEXT) | instid1(VALU_DEP_2)
	v_dual_mul_f32 v6, v177, v125 :: v_dual_add_f32 v3, v3, v218
	v_dual_fmac_f32 v220, v175, v26 :: v_dual_fmac_f32 v221, v177, v124
	v_fma_f32 v4, v174, v26, -v4
	s_delay_alu instid0(VALU_DEP_3) | instskip(SKIP_3) | instid1(VALU_DEP_4)
	v_dual_add_f32 v2, v2, v5 :: v_dual_add_f32 v3, v3, v219
	v_mul_f32_e32 v5, v179, v127
	v_fma_f32 v6, v176, v124, -v6
	v_dual_mul_f32 v223, v180, v129 :: v_dual_mul_f32 v224, v182, v131
	v_add_f32_e32 v2, v2, v4
	v_dual_add_f32 v3, v3, v220 :: v_dual_mul_f32 v4, v181, v129
	s_delay_alu instid0(VALU_DEP_3) | instskip(SKIP_1) | instid1(VALU_DEP_3)
	v_dual_fmac_f32 v222, v179, v126 :: v_dual_fmac_f32 v223, v181, v128
	v_fma_f32 v5, v178, v126, -v5
	v_dual_add_f32 v2, v2, v6 :: v_dual_add_f32 v3, v3, v221
	v_mul_f32_e32 v6, v183, v131
	v_fma_f32 v4, v180, v128, -v4
	v_dual_mul_f32 v225, v184, v133 :: v_dual_mul_f32 v226, v186, v135
	s_delay_alu instid0(VALU_DEP_4) | instskip(SKIP_1) | instid1(VALU_DEP_3)
	v_dual_add_f32 v2, v2, v5 :: v_dual_add_f32 v3, v3, v222
	v_dual_mul_f32 v5, v185, v133 :: v_dual_fmac_f32 v224, v183, v130
	v_fmac_f32_e32 v225, v185, v132
	v_fma_f32 v6, v182, v130, -v6
	s_delay_alu instid0(VALU_DEP_4) | instskip(SKIP_2) | instid1(VALU_DEP_2)
	v_dual_add_f32 v2, v2, v4 :: v_dual_add_f32 v3, v3, v223
	v_dual_mul_f32 v227, v188, v137 :: v_dual_mul_f32 v228, v190, v139
	v_dual_mul_f32 v229, v192, v141 :: v_dual_mul_f32 v230, v194, v143
	v_dual_mul_f32 v4, v187, v135 :: v_dual_fmac_f32 v227, v189, v136
	v_fma_f32 v5, v184, v132, -v5
	v_dual_add_f32 v2, v2, v6 :: v_dual_add_f32 v3, v3, v224
	v_mul_f32_e32 v6, v189, v137
	v_dual_fmac_f32 v226, v187, v134 :: v_dual_fmac_f32 v229, v193, v140
	v_fma_f32 v4, v186, v134, -v4
	s_delay_alu instid0(VALU_DEP_4) | instskip(SKIP_3) | instid1(VALU_DEP_3)
	v_add_f32_e32 v3, v3, v225
	v_dual_add_f32 v2, v2, v5 :: v_dual_mul_f32 v5, v191, v139
	v_fma_f32 v6, v188, v136, -v6
	v_dual_mul_f32 v233, v200, v149 :: v_dual_mul_f32 v234, v202, v151
	v_dual_add_f32 v3, v3, v226 :: v_dual_add_f32 v2, v2, v4
	v_mul_f32_e32 v4, v193, v141
	v_fmac_f32_e32 v228, v191, v138
	v_fma_f32 v5, v190, v138, -v5
	s_delay_alu instid0(VALU_DEP_4) | instskip(SKIP_3) | instid1(VALU_DEP_4)
	v_dual_add_f32 v3, v3, v227 :: v_dual_add_f32 v2, v2, v6
	v_dual_mul_f32 v231, v196, v145 :: v_dual_mul_f32 v232, v198, v147
	v_mul_f32_e32 v6, v195, v143
	v_dual_fmac_f32 v230, v195, v142 :: v_dual_fmac_f32 v233, v201, v148
	v_add_f32_e32 v2, v2, v5
	v_mul_f32_e32 v5, v197, v145
	v_add_f32_e32 v3, v3, v228
	v_fma_f32 v4, v192, v140, -v4
	v_fmac_f32_e32 v231, v197, v144
	v_fma_f32 v6, v194, v142, -v6
	v_fma_f32 v5, v196, v144, -v5
	v_add_f32_e32 v3, v3, v229
	v_dual_fmac_f32 v232, v199, v146 :: v_dual_fmac_f32 v235, v209, v204
	v_fmac_f32_e32 v234, v203, v150
	s_delay_alu instid0(VALU_DEP_3) | instskip(SKIP_1) | instid1(VALU_DEP_2)
	v_dual_add_f32 v3, v3, v230 :: v_dual_add_f32 v2, v2, v4
	v_mul_f32_e32 v4, v199, v147
	v_dual_add_f32 v3, v3, v231 :: v_dual_add_f32 v2, v2, v6
	v_mul_f32_e32 v6, v201, v149
	s_delay_alu instid0(VALU_DEP_3) | instskip(NEXT) | instid1(VALU_DEP_3)
	v_fma_f32 v4, v198, v146, -v4
	v_dual_add_f32 v3, v3, v232 :: v_dual_add_f32 v2, v2, v5
	v_mul_f32_e32 v5, v203, v151
	s_delay_alu instid0(VALU_DEP_4) | instskip(NEXT) | instid1(VALU_DEP_3)
	v_fma_f32 v6, v200, v148, -v6
	v_dual_add_f32 v3, v3, v233 :: v_dual_add_f32 v2, v2, v4
	v_mul_f32_e32 v4, v209, v205
	s_delay_alu instid0(VALU_DEP_4) | instskip(NEXT) | instid1(VALU_DEP_3)
	v_fma_f32 v5, v202, v150, -v5
	v_add_f32_e32 v3, v3, v234
	s_delay_alu instid0(VALU_DEP_4) | instskip(NEXT) | instid1(VALU_DEP_4)
	v_add_f32_e32 v2, v2, v6
	v_fma_f32 v4, v208, v204, -v4
	s_delay_alu instid0(VALU_DEP_2) | instskip(SKIP_1) | instid1(VALU_DEP_1)
	v_dual_add_f32 v3, v3, v235 :: v_dual_add_f32 v2, v2, v5
	s_wait_loadcnt 0x0
	v_dual_sub_f32 v3, v207, v3 :: v_dual_add_f32 v2, v2, v4
	s_delay_alu instid0(VALU_DEP_1)
	v_sub_f32_e32 v2, v206, v2
	scratch_store_b64 off, v[2:3], off offset:160
	v_cmpx_lt_u32_e32 19, v0
	s_cbranch_execz .LBB47_263
; %bb.262:
	scratch_load_b64 v[3:4], off, off offset:152
	v_mov_b32_e32 v2, v1
	scratch_store_b64 off, v[1:2], off offset:152
	s_wait_loadcnt 0x0
	ds_store_b64 v23, v[3:4]
.LBB47_263:
	s_wait_alu 0xfffe
	s_or_b32 exec_lo, exec_lo, s0
	s_wait_storecnt_dscnt 0x0
	s_barrier_signal -1
	s_barrier_wait -1
	global_inv scope:SCOPE_SE
	s_clause 0xe
	scratch_load_b128 v[2:5], off, off offset:160
	scratch_load_b128 v[6:9], off, off offset:176
	;; [unrolled: 1-line block ×14, first 2 shown]
	scratch_load_b64 v[212:213], off, off offset:152
	ds_load_b128 v[156:159], v1 offset:544
	ds_load_b128 v[160:163], v1 offset:560
	ds_load_b128 v[164:167], v1 offset:576
	ds_load_b128 v[168:171], v1 offset:592
	ds_load_b128 v[172:175], v1 offset:608
	ds_load_b128 v[176:179], v1 offset:624
	ds_load_b128 v[180:183], v1 offset:640
	ds_load_b128 v[184:187], v1 offset:656
	ds_load_b128 v[188:191], v1 offset:672
	ds_load_b128 v[192:195], v1 offset:688
	ds_load_b128 v[196:199], v1 offset:704
	ds_load_b128 v[200:203], v1 offset:720
	ds_load_b128 v[204:207], v1 offset:736
	ds_load_b128 v[208:211], v1 offset:752
	s_mov_b32 s0, exec_lo
	s_wait_loadcnt_dscnt 0xe0d
	v_dual_mul_f32 v1, v156, v3 :: v_dual_mul_f32 v22, v158, v5
	s_wait_loadcnt_dscnt 0xd0c
	v_dual_mul_f32 v5, v159, v5 :: v_dual_mul_f32 v214, v160, v7
	v_mul_f32_e32 v215, v162, v9
	s_wait_loadcnt_dscnt 0xc0b
	v_dual_fmac_f32 v1, v157, v2 :: v_dual_mul_f32 v216, v164, v11
	v_mul_f32_e32 v217, v166, v13
	v_dual_mul_f32 v3, v157, v3 :: v_dual_fmac_f32 v22, v159, v4
	s_wait_loadcnt_dscnt 0xb0a
	v_dual_mul_f32 v218, v168, v15 :: v_dual_mul_f32 v219, v170, v17
	s_wait_loadcnt_dscnt 0x201
	v_mul_f32_e32 v236, v204, v149
	v_fma_f32 v3, v156, v2, -v3
	s_wait_loadcnt_dscnt 0x100
	v_mul_f32_e32 v239, v210, v155
	v_mul_f32_e32 v2, v161, v7
	v_fma_f32 v4, v158, v4, -v5
	v_dual_mul_f32 v5, v163, v9 :: v_dual_fmac_f32 v216, v165, v10
	v_dual_add_f32 v3, 0, v3 :: v_dual_fmac_f32 v214, v161, v6
	s_delay_alu instid0(VALU_DEP_4) | instskip(NEXT) | instid1(VALU_DEP_3)
	v_fma_f32 v2, v160, v6, -v2
	v_fma_f32 v5, v162, v8, -v5
	s_delay_alu instid0(VALU_DEP_3) | instskip(SKIP_2) | instid1(VALU_DEP_3)
	v_dual_fmac_f32 v218, v169, v14 :: v_dual_add_f32 v3, v3, v4
	v_dual_mul_f32 v220, v172, v19 :: v_dual_mul_f32 v221, v174, v21
	v_dual_mul_f32 v222, v176, v25 :: v_dual_mul_f32 v223, v178, v27
	v_add_f32_e32 v2, v3, v2
	s_delay_alu instid0(VALU_DEP_3) | instskip(SKIP_1) | instid1(VALU_DEP_3)
	v_dual_mul_f32 v3, v167, v13 :: v_dual_fmac_f32 v220, v173, v18
	v_dual_fmac_f32 v219, v171, v16 :: v_dual_mul_f32 v4, v165, v11
	v_add_f32_e32 v2, v2, v5
	v_add_f32_e32 v1, 0, v1
	s_delay_alu instid0(VALU_DEP_4) | instskip(SKIP_2) | instid1(VALU_DEP_4)
	v_fma_f32 v3, v166, v12, -v3
	v_dual_mul_f32 v224, v180, v125 :: v_dual_mul_f32 v225, v182, v127
	v_fma_f32 v4, v164, v10, -v4
	v_dual_add_f32 v1, v1, v22 :: v_dual_mul_f32 v228, v188, v133
	v_dual_mul_f32 v229, v190, v135 :: v_dual_mul_f32 v226, v184, v129
	v_mul_f32_e32 v227, v186, v131
	s_delay_alu instid0(VALU_DEP_3) | instskip(SKIP_2) | instid1(VALU_DEP_3)
	v_dual_add_f32 v2, v2, v4 :: v_dual_add_f32 v1, v1, v214
	v_mul_f32_e32 v4, v171, v17
	v_fmac_f32_e32 v215, v163, v8
	v_dual_fmac_f32 v225, v183, v126 :: v_dual_add_f32 v2, v2, v3
	v_dual_mul_f32 v230, v192, v137 :: v_dual_mul_f32 v231, v194, v139
	s_delay_alu instid0(VALU_DEP_4) | instskip(SKIP_4) | instid1(VALU_DEP_4)
	v_fma_f32 v4, v170, v16, -v4
	v_mul_f32_e32 v5, v169, v15
	v_add_f32_e32 v1, v1, v215
	v_dual_fmac_f32 v223, v179, v26 :: v_dual_fmac_f32 v226, v185, v128
	v_fmac_f32_e32 v222, v177, v24
	v_fma_f32 v5, v168, v14, -v5
	v_dual_fmac_f32 v217, v167, v12 :: v_dual_mul_f32 v234, v200, v145
	v_dual_mul_f32 v235, v202, v147 :: v_dual_mul_f32 v232, v196, v141
	v_mul_f32_e32 v233, v198, v143
	s_delay_alu instid0(VALU_DEP_4) | instskip(SKIP_3) | instid1(VALU_DEP_4)
	v_add_f32_e32 v2, v2, v5
	v_mul_f32_e32 v5, v175, v21
	v_fmac_f32_e32 v231, v195, v138
	v_dual_fmac_f32 v229, v191, v134 :: v_dual_fmac_f32 v232, v197, v140
	v_add_f32_e32 v2, v2, v4
	s_delay_alu instid0(VALU_DEP_4) | instskip(SKIP_4) | instid1(VALU_DEP_4)
	v_fma_f32 v5, v174, v20, -v5
	v_mul_f32_e32 v3, v173, v19
	v_mul_f32_e32 v4, v177, v25
	v_dual_fmac_f32 v224, v181, v124 :: v_dual_mul_f32 v237, v206, v151
	v_mul_f32_e32 v238, v208, v153
	v_fma_f32 v3, v172, v18, -v3
	v_add_f32_e32 v1, v1, v216
	v_fma_f32 v4, v176, v24, -v4
	s_delay_alu instid0(VALU_DEP_4) | instskip(NEXT) | instid1(VALU_DEP_4)
	v_dual_fmac_f32 v235, v203, v146 :: v_dual_fmac_f32 v238, v209, v152
	v_add_f32_e32 v2, v2, v3
	v_mul_f32_e32 v3, v179, v27
	v_fmac_f32_e32 v237, v207, v150
	v_dual_fmac_f32 v239, v211, v154 :: v_dual_fmac_f32 v228, v189, v132
	s_delay_alu instid0(VALU_DEP_4) | instskip(SKIP_4) | instid1(VALU_DEP_4)
	v_add_f32_e32 v2, v2, v5
	v_add_f32_e32 v1, v1, v217
	v_fma_f32 v3, v178, v26, -v3
	v_fmac_f32_e32 v230, v193, v136
	v_fmac_f32_e32 v234, v201, v144
	v_dual_add_f32 v2, v2, v4 :: v_dual_add_f32 v1, v1, v218
	v_mul_f32_e32 v4, v183, v127
	v_fmac_f32_e32 v221, v175, v20
	v_fmac_f32_e32 v236, v205, v148
	s_delay_alu instid0(VALU_DEP_4) | instskip(NEXT) | instid1(VALU_DEP_4)
	v_dual_add_f32 v2, v2, v3 :: v_dual_mul_f32 v3, v185, v129
	v_fma_f32 v4, v182, v126, -v4
	v_mul_f32_e32 v5, v181, v125
	s_delay_alu instid0(VALU_DEP_3) | instskip(NEXT) | instid1(VALU_DEP_2)
	v_fma_f32 v3, v184, v128, -v3
	v_fma_f32 v5, v180, v124, -v5
	s_delay_alu instid0(VALU_DEP_1) | instskip(NEXT) | instid1(VALU_DEP_1)
	v_dual_add_f32 v1, v1, v219 :: v_dual_add_f32 v2, v2, v5
	v_dual_mul_f32 v5, v187, v131 :: v_dual_add_f32 v2, v2, v4
	s_delay_alu instid0(VALU_DEP_2) | instskip(SKIP_1) | instid1(VALU_DEP_3)
	v_add_f32_e32 v1, v1, v220
	v_mul_f32_e32 v4, v189, v133
	v_fma_f32 v5, v186, v130, -v5
	s_delay_alu instid0(VALU_DEP_4) | instskip(SKIP_1) | instid1(VALU_DEP_4)
	v_dual_add_f32 v2, v2, v3 :: v_dual_fmac_f32 v227, v187, v130
	v_mul_f32_e32 v3, v191, v135
	v_fma_f32 v4, v188, v132, -v4
	s_delay_alu instid0(VALU_DEP_3) | instskip(SKIP_1) | instid1(VALU_DEP_4)
	v_add_f32_e32 v2, v2, v5
	v_add_f32_e32 v1, v1, v221
	v_fma_f32 v3, v190, v134, -v3
	s_delay_alu instid0(VALU_DEP_3) | instskip(NEXT) | instid1(VALU_DEP_3)
	v_dual_add_f32 v2, v2, v4 :: v_dual_mul_f32 v5, v193, v137
	v_dual_add_f32 v1, v1, v222 :: v_dual_mul_f32 v4, v195, v139
	s_delay_alu instid0(VALU_DEP_2) | instskip(NEXT) | instid1(VALU_DEP_3)
	v_add_f32_e32 v2, v2, v3
	v_fma_f32 v5, v192, v136, -v5
	s_delay_alu instid0(VALU_DEP_3) | instskip(SKIP_2) | instid1(VALU_DEP_4)
	v_add_f32_e32 v1, v1, v223
	v_mul_f32_e32 v3, v197, v141
	v_fma_f32 v4, v194, v138, -v4
	v_dual_add_f32 v2, v2, v5 :: v_dual_mul_f32 v5, v199, v143
	s_delay_alu instid0(VALU_DEP_3) | instskip(NEXT) | instid1(VALU_DEP_2)
	v_fma_f32 v3, v196, v140, -v3
	v_add_f32_e32 v2, v2, v4
	v_add_f32_e32 v1, v1, v224
	v_mul_f32_e32 v4, v201, v145
	v_fma_f32 v5, v198, v142, -v5
	s_delay_alu instid0(VALU_DEP_4) | instskip(SKIP_1) | instid1(VALU_DEP_4)
	v_dual_add_f32 v2, v2, v3 :: v_dual_fmac_f32 v233, v199, v142
	v_mul_f32_e32 v3, v203, v147
	v_fma_f32 v4, v200, v144, -v4
	s_delay_alu instid0(VALU_DEP_3) | instskip(SKIP_1) | instid1(VALU_DEP_4)
	v_add_f32_e32 v2, v2, v5
	v_add_f32_e32 v1, v1, v225
	v_fma_f32 v3, v202, v146, -v3
	s_delay_alu instid0(VALU_DEP_3) | instskip(NEXT) | instid1(VALU_DEP_3)
	v_dual_add_f32 v2, v2, v4 :: v_dual_mul_f32 v5, v205, v149
	v_dual_add_f32 v1, v1, v226 :: v_dual_mul_f32 v4, v207, v151
	s_delay_alu instid0(VALU_DEP_2) | instskip(NEXT) | instid1(VALU_DEP_3)
	v_add_f32_e32 v2, v2, v3
	v_fma_f32 v5, v204, v148, -v5
	s_delay_alu instid0(VALU_DEP_3) | instskip(SKIP_2) | instid1(VALU_DEP_4)
	v_add_f32_e32 v1, v1, v227
	v_mul_f32_e32 v3, v209, v153
	v_fma_f32 v4, v206, v150, -v4
	v_dual_add_f32 v2, v2, v5 :: v_dual_mul_f32 v5, v211, v155
	s_delay_alu instid0(VALU_DEP_3) | instskip(NEXT) | instid1(VALU_DEP_2)
	v_fma_f32 v3, v208, v152, -v3
	v_add_f32_e32 v2, v2, v4
	v_add_f32_e32 v1, v1, v228
	s_delay_alu instid0(VALU_DEP_4) | instskip(NEXT) | instid1(VALU_DEP_2)
	v_fma_f32 v4, v210, v154, -v5
	v_dual_add_f32 v2, v2, v3 :: v_dual_add_f32 v1, v1, v229
	s_delay_alu instid0(VALU_DEP_1) | instskip(NEXT) | instid1(VALU_DEP_1)
	v_dual_add_f32 v2, v2, v4 :: v_dual_add_f32 v1, v1, v230
	v_add_f32_e32 v1, v1, v231
	s_delay_alu instid0(VALU_DEP_1) | instskip(NEXT) | instid1(VALU_DEP_1)
	v_add_f32_e32 v1, v1, v232
	v_add_f32_e32 v1, v1, v233
	s_delay_alu instid0(VALU_DEP_1) | instskip(NEXT) | instid1(VALU_DEP_1)
	v_add_f32_e32 v1, v1, v234
	;; [unrolled: 3-line block ×4, first 2 shown]
	v_add_f32_e32 v3, v1, v239
	s_wait_loadcnt 0x0
	s_delay_alu instid0(VALU_DEP_1)
	v_dual_sub_f32 v1, v212, v2 :: v_dual_sub_f32 v2, v213, v3
	scratch_store_b64 off, v[1:2], off offset:152
	v_cmpx_lt_u32_e32 18, v0
	s_cbranch_execz .LBB47_265
; %bb.264:
	scratch_load_b64 v[1:2], off, off offset:144
	v_mov_b32_e32 v3, 0
	s_delay_alu instid0(VALU_DEP_1)
	v_mov_b32_e32 v4, v3
	scratch_store_b64 off, v[3:4], off offset:144
	s_wait_loadcnt 0x0
	ds_store_b64 v23, v[1:2]
.LBB47_265:
	s_wait_alu 0xfffe
	s_or_b32 exec_lo, exec_lo, s0
	s_wait_storecnt_dscnt 0x0
	s_barrier_signal -1
	s_barrier_wait -1
	global_inv scope:SCOPE_SE
	s_clause 0xf
	scratch_load_b128 v[2:5], off, off offset:152
	scratch_load_b128 v[6:9], off, off offset:168
	;; [unrolled: 1-line block ×14, first 2 shown]
	scratch_load_b64 v[212:213], off, off offset:376
	scratch_load_b64 v[214:215], off, off offset:144
	v_mov_b32_e32 v1, 0
	ds_load_2addr_b64 v[156:159], v1 offset0:67 offset1:68
	ds_load_2addr_b64 v[160:163], v1 offset0:69 offset1:70
	;; [unrolled: 1-line block ×14, first 2 shown]
	ds_load_b64 v[216:217], v1 offset:760
	s_mov_b32 s0, exec_lo
	s_wait_loadcnt_dscnt 0xf0e
	v_mul_f32_e32 v22, v156, v3
	v_dual_mul_f32 v3, v157, v3 :: v_dual_mul_f32 v218, v158, v5
	s_wait_loadcnt_dscnt 0xb0a
	v_dual_mul_f32 v219, v160, v7 :: v_dual_mul_f32 v226, v174, v21
	v_mul_f32_e32 v5, v159, v5
	s_delay_alu instid0(VALU_DEP_3)
	v_fma_f32 v3, v156, v2, -v3
	v_dual_mul_f32 v220, v162, v9 :: v_dual_mul_f32 v221, v164, v11
	v_fmac_f32_e32 v218, v159, v4
	v_fmac_f32_e32 v22, v157, v2
	v_mul_f32_e32 v2, v161, v7
	v_fma_f32 v4, v158, v4, -v5
	v_add_f32_e32 v3, 0, v3
	s_wait_loadcnt_dscnt 0x100
	v_mul_f32_e32 v245, v216, v213
	v_dual_add_f32 v5, 0, v22 :: v_dual_fmac_f32 v220, v163, v8
	v_mul_f32_e32 v7, v163, v9
	v_fma_f32 v2, v160, v6, -v2
	v_add_f32_e32 v3, v3, v4
	v_fmac_f32_e32 v219, v161, v6
	v_add_f32_e32 v4, v5, v218
	v_mul_f32_e32 v5, v165, v11
	v_fma_f32 v6, v162, v8, -v7
	v_add_f32_e32 v2, v3, v2
	v_dual_mul_f32 v222, v166, v13 :: v_dual_mul_f32 v223, v168, v15
	v_dual_add_f32 v3, v4, v219 :: v_dual_mul_f32 v4, v167, v13
	v_fma_f32 v5, v164, v10, -v5
	s_delay_alu instid0(VALU_DEP_4)
	v_add_f32_e32 v2, v2, v6
	v_fmac_f32_e32 v221, v165, v10
	v_mul_f32_e32 v6, v169, v15
	v_fmac_f32_e32 v222, v167, v12
	v_add_f32_e32 v3, v3, v220
	v_fma_f32 v4, v166, v12, -v4
	v_add_f32_e32 v2, v2, v5
	v_dual_mul_f32 v224, v170, v17 :: v_dual_mul_f32 v225, v172, v19
	s_delay_alu instid0(VALU_DEP_4)
	v_add_f32_e32 v3, v3, v221
	v_mul_f32_e32 v5, v171, v17
	v_fma_f32 v6, v168, v14, -v6
	v_dual_add_f32 v2, v2, v4 :: v_dual_fmac_f32 v223, v169, v14
	v_fmac_f32_e32 v224, v171, v16
	v_mul_f32_e32 v4, v173, v19
	v_fma_f32 v5, v170, v16, -v5
	s_delay_alu instid0(VALU_DEP_4) | instskip(SKIP_3) | instid1(VALU_DEP_3)
	v_add_f32_e32 v2, v2, v6
	v_add_f32_e32 v3, v3, v222
	v_dual_mul_f32 v6, v175, v21 :: v_dual_fmac_f32 v225, v173, v18
	v_fma_f32 v4, v172, v18, -v4
	v_dual_add_f32 v2, v2, v5 :: v_dual_add_f32 v3, v3, v223
	s_delay_alu instid0(VALU_DEP_3) | instskip(SKIP_1) | instid1(VALU_DEP_3)
	v_fma_f32 v6, v174, v20, -v6
	v_dual_mul_f32 v227, v176, v25 :: v_dual_mul_f32 v228, v178, v27
	v_add_f32_e32 v2, v2, v4
	s_delay_alu instid0(VALU_DEP_4) | instskip(SKIP_1) | instid1(VALU_DEP_4)
	v_add_f32_e32 v3, v3, v224
	v_dual_mul_f32 v5, v177, v25 :: v_dual_fmac_f32 v226, v175, v20
	v_dual_mul_f32 v4, v179, v27 :: v_dual_fmac_f32 v227, v177, v24
	s_delay_alu instid0(VALU_DEP_3) | instskip(NEXT) | instid1(VALU_DEP_3)
	v_dual_add_f32 v2, v2, v6 :: v_dual_add_f32 v3, v3, v225
	v_fma_f32 v5, v176, v24, -v5
	v_dual_mul_f32 v229, v180, v125 :: v_dual_mul_f32 v230, v182, v127
	s_delay_alu instid0(VALU_DEP_3) | instskip(NEXT) | instid1(VALU_DEP_2)
	v_dual_mul_f32 v6, v181, v125 :: v_dual_add_f32 v3, v3, v226
	v_dual_fmac_f32 v228, v179, v26 :: v_dual_fmac_f32 v229, v181, v124
	v_fma_f32 v4, v178, v26, -v4
	s_delay_alu instid0(VALU_DEP_3) | instskip(SKIP_3) | instid1(VALU_DEP_4)
	v_dual_add_f32 v2, v2, v5 :: v_dual_add_f32 v3, v3, v227
	v_mul_f32_e32 v5, v183, v127
	v_fma_f32 v6, v180, v124, -v6
	v_dual_mul_f32 v231, v184, v129 :: v_dual_mul_f32 v232, v186, v131
	v_add_f32_e32 v2, v2, v4
	v_dual_add_f32 v3, v3, v228 :: v_dual_mul_f32 v4, v185, v129
	s_delay_alu instid0(VALU_DEP_3) | instskip(SKIP_1) | instid1(VALU_DEP_3)
	v_dual_fmac_f32 v230, v183, v126 :: v_dual_fmac_f32 v231, v185, v128
	v_fma_f32 v5, v182, v126, -v5
	v_dual_add_f32 v2, v2, v6 :: v_dual_add_f32 v3, v3, v229
	v_mul_f32_e32 v6, v187, v131
	v_fma_f32 v4, v184, v128, -v4
	v_dual_mul_f32 v233, v188, v133 :: v_dual_mul_f32 v234, v190, v135
	s_delay_alu instid0(VALU_DEP_4) | instskip(SKIP_1) | instid1(VALU_DEP_3)
	v_dual_add_f32 v2, v2, v5 :: v_dual_add_f32 v3, v3, v230
	v_dual_mul_f32 v5, v189, v133 :: v_dual_fmac_f32 v232, v187, v130
	v_fmac_f32_e32 v233, v189, v132
	v_fma_f32 v6, v186, v130, -v6
	s_delay_alu instid0(VALU_DEP_4) | instskip(SKIP_2) | instid1(VALU_DEP_2)
	v_dual_add_f32 v2, v2, v4 :: v_dual_add_f32 v3, v3, v231
	v_dual_mul_f32 v235, v192, v137 :: v_dual_mul_f32 v236, v194, v139
	v_dual_mul_f32 v237, v196, v141 :: v_dual_mul_f32 v238, v198, v143
	v_dual_mul_f32 v4, v191, v135 :: v_dual_fmac_f32 v235, v193, v136
	v_fma_f32 v5, v188, v132, -v5
	v_dual_add_f32 v2, v2, v6 :: v_dual_add_f32 v3, v3, v232
	v_mul_f32_e32 v6, v193, v137
	v_dual_fmac_f32 v234, v191, v134 :: v_dual_fmac_f32 v237, v197, v140
	v_fma_f32 v4, v190, v134, -v4
	s_delay_alu instid0(VALU_DEP_4) | instskip(SKIP_3) | instid1(VALU_DEP_3)
	v_add_f32_e32 v3, v3, v233
	v_dual_add_f32 v2, v2, v5 :: v_dual_mul_f32 v5, v195, v139
	v_fma_f32 v6, v192, v136, -v6
	v_dual_mul_f32 v241, v204, v149 :: v_dual_mul_f32 v242, v206, v151
	v_dual_add_f32 v3, v3, v234 :: v_dual_add_f32 v2, v2, v4
	v_mul_f32_e32 v4, v197, v141
	v_fmac_f32_e32 v236, v195, v138
	v_fma_f32 v5, v194, v138, -v5
	s_delay_alu instid0(VALU_DEP_4) | instskip(SKIP_3) | instid1(VALU_DEP_4)
	v_dual_add_f32 v3, v3, v235 :: v_dual_add_f32 v2, v2, v6
	v_dual_mul_f32 v239, v200, v145 :: v_dual_mul_f32 v240, v202, v147
	v_mul_f32_e32 v6, v199, v143
	v_dual_fmac_f32 v238, v199, v142 :: v_dual_fmac_f32 v241, v205, v148
	v_add_f32_e32 v2, v2, v5
	v_mul_f32_e32 v5, v201, v145
	v_add_f32_e32 v3, v3, v236
	v_fma_f32 v4, v196, v140, -v4
	v_fmac_f32_e32 v239, v201, v144
	v_fma_f32 v6, v198, v142, -v6
	v_dual_mul_f32 v243, v208, v153 :: v_dual_mul_f32 v244, v210, v155
	v_add_f32_e32 v3, v3, v237
	v_fma_f32 v5, v200, v144, -v5
	s_delay_alu instid0(VALU_DEP_3) | instskip(NEXT) | instid1(VALU_DEP_4)
	v_dual_fmac_f32 v240, v203, v146 :: v_dual_fmac_f32 v243, v209, v152
	v_fmac_f32_e32 v244, v211, v154
	s_delay_alu instid0(VALU_DEP_4) | instskip(SKIP_2) | instid1(VALU_DEP_3)
	v_dual_add_f32 v3, v3, v238 :: v_dual_add_f32 v2, v2, v4
	v_mul_f32_e32 v4, v203, v147
	v_dual_fmac_f32 v242, v207, v150 :: v_dual_fmac_f32 v245, v217, v212
	v_dual_add_f32 v3, v3, v239 :: v_dual_add_f32 v2, v2, v6
	v_mul_f32_e32 v6, v205, v149
	s_delay_alu instid0(VALU_DEP_4) | instskip(NEXT) | instid1(VALU_DEP_3)
	v_fma_f32 v4, v202, v146, -v4
	v_dual_add_f32 v2, v2, v5 :: v_dual_mul_f32 v5, v207, v151
	s_delay_alu instid0(VALU_DEP_3) | instskip(NEXT) | instid1(VALU_DEP_2)
	v_fma_f32 v6, v204, v148, -v6
	v_add_f32_e32 v2, v2, v4
	s_delay_alu instid0(VALU_DEP_3) | instskip(NEXT) | instid1(VALU_DEP_2)
	v_fma_f32 v5, v206, v150, -v5
	v_add_f32_e32 v2, v2, v6
	v_mul_f32_e32 v6, v211, v155
	s_delay_alu instid0(VALU_DEP_2) | instskip(SKIP_2) | instid1(VALU_DEP_4)
	v_add_f32_e32 v2, v2, v5
	v_mul_f32_e32 v5, v217, v213
	v_add_f32_e32 v3, v3, v240
	v_fma_f32 v6, v210, v154, -v6
	s_delay_alu instid0(VALU_DEP_2) | instskip(NEXT) | instid1(VALU_DEP_1)
	v_add_f32_e32 v3, v3, v241
	v_dual_mul_f32 v4, v209, v153 :: v_dual_add_f32 v3, v3, v242
	s_delay_alu instid0(VALU_DEP_1) | instskip(NEXT) | instid1(VALU_DEP_2)
	v_fma_f32 v4, v208, v152, -v4
	v_add_f32_e32 v3, v3, v243
	s_delay_alu instid0(VALU_DEP_1) | instskip(NEXT) | instid1(VALU_DEP_3)
	v_add_f32_e32 v3, v3, v244
	v_add_f32_e32 v2, v2, v4
	v_fma_f32 v4, v216, v212, -v5
	s_delay_alu instid0(VALU_DEP_2) | instskip(SKIP_1) | instid1(VALU_DEP_1)
	v_dual_add_f32 v3, v3, v245 :: v_dual_add_f32 v2, v2, v6
	s_wait_loadcnt 0x0
	v_dual_sub_f32 v3, v215, v3 :: v_dual_add_f32 v2, v2, v4
	s_delay_alu instid0(VALU_DEP_1)
	v_sub_f32_e32 v2, v214, v2
	scratch_store_b64 off, v[2:3], off offset:144
	v_cmpx_lt_u32_e32 17, v0
	s_cbranch_execz .LBB47_267
; %bb.266:
	scratch_load_b64 v[3:4], off, off offset:136
	v_mov_b32_e32 v2, v1
	scratch_store_b64 off, v[1:2], off offset:136
	s_wait_loadcnt 0x0
	ds_store_b64 v23, v[3:4]
.LBB47_267:
	s_wait_alu 0xfffe
	s_or_b32 exec_lo, exec_lo, s0
	s_wait_storecnt_dscnt 0x0
	s_barrier_signal -1
	s_barrier_wait -1
	global_inv scope:SCOPE_SE
	s_clause 0xf
	scratch_load_b128 v[2:5], off, off offset:144
	scratch_load_b128 v[6:9], off, off offset:160
	;; [unrolled: 1-line block ×15, first 2 shown]
	scratch_load_b64 v[220:221], off, off offset:136
	ds_load_b128 v[160:163], v1 offset:528
	ds_load_b128 v[164:167], v1 offset:544
	;; [unrolled: 1-line block ×15, first 2 shown]
	s_mov_b32 s0, exec_lo
	s_wait_loadcnt_dscnt 0xf0e
	v_dual_mul_f32 v1, v160, v3 :: v_dual_mul_f32 v22, v162, v5
	s_wait_loadcnt_dscnt 0xe0d
	v_dual_mul_f32 v5, v163, v5 :: v_dual_mul_f32 v222, v164, v7
	v_mul_f32_e32 v223, v166, v9
	s_wait_loadcnt_dscnt 0xd0c
	v_dual_fmac_f32 v1, v161, v2 :: v_dual_mul_f32 v224, v168, v11
	s_wait_loadcnt_dscnt 0xc0b
	v_dual_mul_f32 v225, v170, v13 :: v_dual_mul_f32 v226, v172, v15
	v_mul_f32_e32 v227, v174, v17
	v_dual_mul_f32 v3, v161, v3 :: v_dual_fmac_f32 v22, v163, v4
	s_wait_loadcnt_dscnt 0xb0a
	v_dual_mul_f32 v228, v176, v19 :: v_dual_mul_f32 v229, v178, v21
	s_wait_loadcnt_dscnt 0x201
	v_mul_f32_e32 v246, v212, v153
	v_fma_f32 v3, v160, v2, -v3
	s_wait_loadcnt_dscnt 0x100
	v_mul_f32_e32 v249, v218, v159
	v_mul_f32_e32 v2, v165, v7
	v_fma_f32 v4, v162, v4, -v5
	v_dual_mul_f32 v5, v167, v9 :: v_dual_fmac_f32 v224, v169, v10
	v_dual_add_f32 v3, 0, v3 :: v_dual_fmac_f32 v222, v165, v6
	s_delay_alu instid0(VALU_DEP_4) | instskip(NEXT) | instid1(VALU_DEP_3)
	v_fma_f32 v2, v164, v6, -v2
	v_fma_f32 v5, v166, v8, -v5
	s_delay_alu instid0(VALU_DEP_3) | instskip(SKIP_2) | instid1(VALU_DEP_3)
	v_dual_fmac_f32 v226, v173, v14 :: v_dual_add_f32 v3, v3, v4
	v_dual_mul_f32 v230, v180, v25 :: v_dual_mul_f32 v231, v182, v27
	v_dual_fmac_f32 v228, v177, v18 :: v_dual_fmac_f32 v227, v175, v16
	v_add_f32_e32 v2, v3, v2
	v_mul_f32_e32 v3, v171, v13
	v_dual_mul_f32 v232, v184, v125 :: v_dual_mul_f32 v233, v186, v127
	v_mul_f32_e32 v4, v169, v11
	s_delay_alu instid0(VALU_DEP_4) | instskip(SKIP_4) | instid1(VALU_DEP_4)
	v_add_f32_e32 v2, v2, v5
	v_add_f32_e32 v1, 0, v1
	v_fma_f32 v3, v170, v12, -v3
	v_dual_mul_f32 v236, v192, v133 :: v_dual_mul_f32 v237, v194, v135
	v_fma_f32 v4, v168, v10, -v4
	v_dual_add_f32 v1, v1, v22 :: v_dual_mul_f32 v234, v188, v129
	v_mul_f32_e32 v235, v190, v131
	s_delay_alu instid0(VALU_DEP_3) | instskip(NEXT) | instid1(VALU_DEP_3)
	v_dual_fmac_f32 v233, v187, v126 :: v_dual_add_f32 v2, v2, v4
	v_dual_add_f32 v1, v1, v222 :: v_dual_mul_f32 v4, v175, v17
	v_dual_fmac_f32 v223, v167, v8 :: v_dual_mul_f32 v238, v196, v137
	v_mul_f32_e32 v239, v198, v139
	s_delay_alu instid0(VALU_DEP_4) | instskip(NEXT) | instid1(VALU_DEP_4)
	v_add_f32_e32 v2, v2, v3
	v_fma_f32 v4, v174, v16, -v4
	v_mul_f32_e32 v5, v173, v15
	v_add_f32_e32 v1, v1, v223
	v_dual_fmac_f32 v231, v183, v26 :: v_dual_fmac_f32 v234, v189, v128
	v_dual_mul_f32 v242, v204, v145 :: v_dual_mul_f32 v243, v206, v147
	s_delay_alu instid0(VALU_DEP_4) | instskip(SKIP_3) | instid1(VALU_DEP_4)
	v_fma_f32 v5, v172, v14, -v5
	v_fmac_f32_e32 v225, v171, v12
	v_fmac_f32_e32 v230, v181, v24
	v_dual_mul_f32 v240, v200, v141 :: v_dual_mul_f32 v241, v202, v143
	v_add_f32_e32 v2, v2, v5
	v_mul_f32_e32 v5, v179, v21
	v_dual_fmac_f32 v239, v199, v138 :: v_dual_mul_f32 v244, v208, v149
	v_mul_f32_e32 v245, v210, v151
	s_delay_alu instid0(VALU_DEP_4) | instskip(NEXT) | instid1(VALU_DEP_4)
	v_add_f32_e32 v2, v2, v4
	v_fma_f32 v5, v178, v20, -v5
	v_mul_f32_e32 v3, v177, v19
	v_mul_f32_e32 v4, v181, v25
	v_dual_fmac_f32 v232, v185, v124 :: v_dual_mul_f32 v247, v214, v155
	v_mul_f32_e32 v248, v216, v157
	s_delay_alu instid0(VALU_DEP_4) | instskip(SKIP_3) | instid1(VALU_DEP_4)
	v_fma_f32 v3, v176, v18, -v3
	v_add_f32_e32 v1, v1, v224
	v_fma_f32 v4, v180, v24, -v4
	v_dual_fmac_f32 v237, v195, v134 :: v_dual_fmac_f32 v240, v201, v140
	v_add_f32_e32 v2, v2, v3
	v_mul_f32_e32 v3, v183, v27
	v_fmac_f32_e32 v245, v211, v150
	v_dual_fmac_f32 v243, v207, v146 :: v_dual_fmac_f32 v246, v213, v152
	s_delay_alu instid0(VALU_DEP_4) | instskip(SKIP_3) | instid1(VALU_DEP_3)
	v_add_f32_e32 v2, v2, v5
	v_add_f32_e32 v1, v1, v225
	v_fma_f32 v3, v182, v26, -v3
	v_dual_fmac_f32 v249, v219, v158 :: v_dual_fmac_f32 v236, v193, v132
	v_dual_add_f32 v2, v2, v4 :: v_dual_add_f32 v1, v1, v226
	v_mul_f32_e32 v4, v187, v127
	v_fmac_f32_e32 v229, v179, v20
	v_fmac_f32_e32 v238, v197, v136
	s_delay_alu instid0(VALU_DEP_4) | instskip(NEXT) | instid1(VALU_DEP_4)
	v_dual_add_f32 v2, v2, v3 :: v_dual_mul_f32 v3, v189, v129
	v_fma_f32 v4, v186, v126, -v4
	v_mul_f32_e32 v5, v185, v125
	v_fmac_f32_e32 v242, v205, v144
	v_fmac_f32_e32 v244, v209, v148
	v_fma_f32 v3, v188, v128, -v3
	v_fmac_f32_e32 v248, v217, v156
	v_fma_f32 v5, v184, v124, -v5
	s_delay_alu instid0(VALU_DEP_1) | instskip(NEXT) | instid1(VALU_DEP_1)
	v_dual_add_f32 v1, v1, v227 :: v_dual_add_f32 v2, v2, v5
	v_dual_mul_f32 v5, v191, v131 :: v_dual_add_f32 v2, v2, v4
	s_delay_alu instid0(VALU_DEP_2) | instskip(SKIP_1) | instid1(VALU_DEP_3)
	v_add_f32_e32 v1, v1, v228
	v_mul_f32_e32 v4, v193, v133
	v_fma_f32 v5, v190, v130, -v5
	s_delay_alu instid0(VALU_DEP_4) | instskip(SKIP_1) | instid1(VALU_DEP_4)
	v_dual_add_f32 v2, v2, v3 :: v_dual_fmac_f32 v235, v191, v130
	v_mul_f32_e32 v3, v195, v135
	v_fma_f32 v4, v192, v132, -v4
	s_delay_alu instid0(VALU_DEP_3) | instskip(SKIP_1) | instid1(VALU_DEP_4)
	v_add_f32_e32 v2, v2, v5
	v_add_f32_e32 v1, v1, v229
	v_fma_f32 v3, v194, v134, -v3
	s_delay_alu instid0(VALU_DEP_3) | instskip(NEXT) | instid1(VALU_DEP_3)
	v_dual_add_f32 v2, v2, v4 :: v_dual_mul_f32 v5, v197, v137
	v_dual_add_f32 v1, v1, v230 :: v_dual_mul_f32 v4, v199, v139
	s_delay_alu instid0(VALU_DEP_2) | instskip(NEXT) | instid1(VALU_DEP_3)
	v_add_f32_e32 v2, v2, v3
	v_fma_f32 v5, v196, v136, -v5
	s_delay_alu instid0(VALU_DEP_3) | instskip(SKIP_2) | instid1(VALU_DEP_4)
	v_add_f32_e32 v1, v1, v231
	v_mul_f32_e32 v3, v201, v141
	v_fma_f32 v4, v198, v138, -v4
	v_dual_add_f32 v2, v2, v5 :: v_dual_mul_f32 v5, v203, v143
	s_delay_alu instid0(VALU_DEP_3) | instskip(NEXT) | instid1(VALU_DEP_2)
	v_fma_f32 v3, v200, v140, -v3
	v_add_f32_e32 v2, v2, v4
	v_add_f32_e32 v1, v1, v232
	v_mul_f32_e32 v4, v205, v145
	v_fma_f32 v5, v202, v142, -v5
	s_delay_alu instid0(VALU_DEP_4) | instskip(SKIP_1) | instid1(VALU_DEP_4)
	v_dual_add_f32 v2, v2, v3 :: v_dual_fmac_f32 v241, v203, v142
	v_mul_f32_e32 v3, v207, v147
	v_fma_f32 v4, v204, v144, -v4
	s_delay_alu instid0(VALU_DEP_3) | instskip(SKIP_1) | instid1(VALU_DEP_4)
	v_add_f32_e32 v2, v2, v5
	v_add_f32_e32 v1, v1, v233
	v_fma_f32 v3, v206, v146, -v3
	s_delay_alu instid0(VALU_DEP_3) | instskip(NEXT) | instid1(VALU_DEP_3)
	v_dual_add_f32 v2, v2, v4 :: v_dual_mul_f32 v5, v209, v149
	v_dual_add_f32 v1, v1, v234 :: v_dual_mul_f32 v4, v211, v151
	s_delay_alu instid0(VALU_DEP_2) | instskip(NEXT) | instid1(VALU_DEP_3)
	v_add_f32_e32 v2, v2, v3
	v_fma_f32 v5, v208, v148, -v5
	s_delay_alu instid0(VALU_DEP_3) | instskip(SKIP_2) | instid1(VALU_DEP_4)
	v_add_f32_e32 v1, v1, v235
	v_mul_f32_e32 v3, v213, v153
	v_fma_f32 v4, v210, v150, -v4
	v_dual_add_f32 v2, v2, v5 :: v_dual_mul_f32 v5, v215, v155
	s_delay_alu instid0(VALU_DEP_3) | instskip(NEXT) | instid1(VALU_DEP_2)
	v_fma_f32 v3, v212, v152, -v3
	v_add_f32_e32 v2, v2, v4
	v_add_f32_e32 v1, v1, v236
	v_mul_f32_e32 v4, v217, v157
	v_fma_f32 v5, v214, v154, -v5
	s_delay_alu instid0(VALU_DEP_4) | instskip(SKIP_1) | instid1(VALU_DEP_4)
	v_dual_add_f32 v2, v2, v3 :: v_dual_fmac_f32 v247, v215, v154
	v_mul_f32_e32 v3, v219, v159
	v_fma_f32 v4, v216, v156, -v4
	s_delay_alu instid0(VALU_DEP_3) | instskip(SKIP_1) | instid1(VALU_DEP_4)
	v_add_f32_e32 v2, v2, v5
	v_add_f32_e32 v1, v1, v237
	v_fma_f32 v3, v218, v158, -v3
	s_delay_alu instid0(VALU_DEP_2) | instskip(NEXT) | instid1(VALU_DEP_1)
	v_dual_add_f32 v2, v2, v4 :: v_dual_add_f32 v1, v1, v238
	v_add_f32_e32 v2, v2, v3
	s_delay_alu instid0(VALU_DEP_2) | instskip(NEXT) | instid1(VALU_DEP_1)
	v_add_f32_e32 v1, v1, v239
	v_add_f32_e32 v1, v1, v240
	s_delay_alu instid0(VALU_DEP_1) | instskip(NEXT) | instid1(VALU_DEP_1)
	v_add_f32_e32 v1, v1, v241
	v_add_f32_e32 v1, v1, v242
	s_delay_alu instid0(VALU_DEP_1) | instskip(NEXT) | instid1(VALU_DEP_1)
	v_add_f32_e32 v1, v1, v243
	v_add_f32_e32 v1, v1, v244
	s_delay_alu instid0(VALU_DEP_1) | instskip(NEXT) | instid1(VALU_DEP_1)
	v_add_f32_e32 v1, v1, v245
	v_add_f32_e32 v1, v1, v246
	s_delay_alu instid0(VALU_DEP_1) | instskip(NEXT) | instid1(VALU_DEP_1)
	v_add_f32_e32 v1, v1, v247
	v_add_f32_e32 v1, v1, v248
	s_delay_alu instid0(VALU_DEP_1) | instskip(SKIP_1) | instid1(VALU_DEP_1)
	v_add_f32_e32 v3, v1, v249
	s_wait_loadcnt 0x0
	v_dual_sub_f32 v1, v220, v2 :: v_dual_sub_f32 v2, v221, v3
	scratch_store_b64 off, v[1:2], off offset:136
	v_cmpx_lt_u32_e32 16, v0
	s_cbranch_execz .LBB47_269
; %bb.268:
	scratch_load_b64 v[1:2], off, off offset:128
	v_mov_b32_e32 v3, 0
	s_delay_alu instid0(VALU_DEP_1)
	v_mov_b32_e32 v4, v3
	scratch_store_b64 off, v[3:4], off offset:128
	s_wait_loadcnt 0x0
	ds_store_b64 v23, v[1:2]
.LBB47_269:
	s_wait_alu 0xfffe
	s_or_b32 exec_lo, exec_lo, s0
	s_wait_storecnt_dscnt 0x0
	s_barrier_signal -1
	s_barrier_wait -1
	global_inv scope:SCOPE_SE
	s_clause 0x4
	scratch_load_b128 v[5:8], off, off offset:136
	scratch_load_b128 v[1:4], off, off offset:152
	;; [unrolled: 1-line block ×5, first 2 shown]
	v_mov_b32_e32 v21, 0
	ds_load_2addr_b64 v[24:27], v21 offset0:65 offset1:66
	ds_load_2addr_b64 v[124:127], v21 offset0:67 offset1:68
	;; [unrolled: 1-line block ×3, first 2 shown]
	scratch_load_b64 v[132:133], off, off offset:128
	s_mov_b32 s0, exec_lo
	s_wait_loadcnt_dscnt 0x502
	v_mul_f32_e32 v22, v25, v6
	v_dual_mul_f32 v134, v24, v6 :: v_dual_mul_f32 v135, v26, v8
	v_mul_f32_e32 v6, v27, v8
	s_delay_alu instid0(VALU_DEP_3) | instskip(NEXT) | instid1(VALU_DEP_3)
	v_fma_f32 v22, v24, v5, -v22
	v_dual_fmac_f32 v134, v25, v5 :: v_dual_fmac_f32 v135, v27, v7
	s_wait_loadcnt_dscnt 0x401
	v_mul_f32_e32 v25, v124, v2
	v_fma_f32 v24, v26, v7, -v6
	ds_load_2addr_b64 v[5:8], v21 offset0:71 offset1:72
	s_wait_loadcnt_dscnt 0x301
	v_dual_mul_f32 v26, v126, v4 :: v_dual_mul_f32 v27, v128, v10
	v_dual_mul_f32 v4, v127, v4 :: v_dual_fmac_f32 v25, v125, v1
	v_mul_f32_e32 v10, v129, v10
	s_delay_alu instid0(VALU_DEP_3)
	v_dual_mul_f32 v136, v130, v12 :: v_dual_fmac_f32 v27, v129, v9
	v_mul_f32_e32 v12, v131, v12
	v_mul_f32_e32 v2, v125, v2
	v_fmac_f32_e32 v26, v127, v3
	v_fma_f32 v125, v126, v3, -v4
	v_fma_f32 v126, v128, v9, -v10
	v_fmac_f32_e32 v136, v131, v11
	v_fma_f32 v127, v130, v11, -v12
	ds_load_2addr_b64 v[9:12], v21 offset0:73 offset1:74
	s_wait_loadcnt_dscnt 0x201
	v_mul_f32_e32 v129, v7, v16
	v_fma_f32 v124, v124, v1, -v2
	scratch_load_b128 v[1:4], off, off offset:216
	v_mul_f32_e32 v128, v5, v14
	v_mul_f32_e32 v14, v6, v14
	;; [unrolled: 1-line block ×3, first 2 shown]
	s_delay_alu instid0(VALU_DEP_3) | instskip(NEXT) | instid1(VALU_DEP_3)
	v_dual_fmac_f32 v129, v8, v15 :: v_dual_fmac_f32 v128, v6, v13
	v_fma_f32 v13, v5, v13, -v14
	s_delay_alu instid0(VALU_DEP_3)
	v_fma_f32 v14, v7, v15, -v16
	ds_load_2addr_b64 v[5:8], v21 offset0:75 offset1:76
	s_wait_loadcnt_dscnt 0x201
	v_mul_f32_e32 v15, v9, v18
	v_mul_f32_e32 v16, v10, v18
	;; [unrolled: 1-line block ×3, first 2 shown]
	s_delay_alu instid0(VALU_DEP_3) | instskip(NEXT) | instid1(VALU_DEP_3)
	v_dual_mul_f32 v20, v12, v20 :: v_dual_fmac_f32 v15, v10, v17
	v_fma_f32 v16, v9, v17, -v16
	s_delay_alu instid0(VALU_DEP_3) | instskip(NEXT) | instid1(VALU_DEP_3)
	v_fmac_f32_e32 v18, v12, v19
	v_fma_f32 v17, v11, v19, -v20
	scratch_load_b128 v[9:12], off, off offset:232
	s_wait_loadcnt_dscnt 0x100
	v_mul_f32_e32 v19, v5, v2
	v_mul_f32_e32 v2, v6, v2
	;; [unrolled: 1-line block ×3, first 2 shown]
	s_delay_alu instid0(VALU_DEP_3) | instskip(NEXT) | instid1(VALU_DEP_3)
	v_dual_mul_f32 v4, v8, v4 :: v_dual_fmac_f32 v19, v6, v1
	v_fma_f32 v130, v5, v1, -v2
	s_delay_alu instid0(VALU_DEP_3) | instskip(NEXT) | instid1(VALU_DEP_3)
	v_fmac_f32_e32 v20, v8, v3
	v_fma_f32 v131, v7, v3, -v4
	ds_load_2addr_b64 v[1:4], v21 offset0:77 offset1:78
	ds_load_2addr_b64 v[5:8], v21 offset0:79 offset1:80
	s_wait_loadcnt_dscnt 0x1
	v_mul_f32_e32 v137, v1, v10
	v_mul_f32_e32 v10, v2, v10
	s_delay_alu instid0(VALU_DEP_2) | instskip(NEXT) | instid1(VALU_DEP_2)
	v_dual_mul_f32 v138, v3, v12 :: v_dual_fmac_f32 v137, v2, v9
	v_fma_f32 v139, v1, v9, -v10
	v_mul_f32_e32 v1, v4, v12
	s_delay_alu instid0(VALU_DEP_3) | instskip(NEXT) | instid1(VALU_DEP_2)
	v_fmac_f32_e32 v138, v4, v11
	v_fma_f32 v140, v3, v11, -v1
	s_clause 0x1
	scratch_load_b128 v[1:4], off, off offset:248
	scratch_load_b128 v[9:12], off, off offset:264
	s_wait_loadcnt_dscnt 0x100
	v_mul_f32_e32 v141, v5, v2
	v_dual_mul_f32 v2, v6, v2 :: v_dual_mul_f32 v143, v7, v4
	s_delay_alu instid0(VALU_DEP_2) | instskip(NEXT) | instid1(VALU_DEP_2)
	v_fmac_f32_e32 v141, v6, v1
	v_fma_f32 v142, v5, v1, -v2
	v_mul_f32_e32 v1, v8, v4
	s_delay_alu instid0(VALU_DEP_4) | instskip(NEXT) | instid1(VALU_DEP_2)
	v_fmac_f32_e32 v143, v8, v3
	v_fma_f32 v144, v7, v3, -v1
	ds_load_2addr_b64 v[1:4], v21 offset0:81 offset1:82
	ds_load_2addr_b64 v[5:8], v21 offset0:83 offset1:84
	s_wait_loadcnt_dscnt 0x1
	v_mul_f32_e32 v145, v1, v10
	v_mul_f32_e32 v147, v3, v12
	s_delay_alu instid0(VALU_DEP_2) | instskip(NEXT) | instid1(VALU_DEP_2)
	v_fmac_f32_e32 v145, v2, v9
	v_dual_mul_f32 v2, v2, v10 :: v_dual_fmac_f32 v147, v4, v11
	s_delay_alu instid0(VALU_DEP_1) | instskip(SKIP_1) | instid1(VALU_DEP_1)
	v_fma_f32 v146, v1, v9, -v2
	v_mul_f32_e32 v1, v4, v12
	v_fma_f32 v148, v3, v11, -v1
	s_clause 0x1
	scratch_load_b128 v[1:4], off, off offset:280
	scratch_load_b128 v[9:12], off, off offset:296
	s_wait_loadcnt_dscnt 0x100
	v_mul_f32_e32 v149, v5, v2
	v_dual_mul_f32 v151, v7, v4 :: v_dual_mul_f32 v2, v6, v2
	s_delay_alu instid0(VALU_DEP_2) | instskip(NEXT) | instid1(VALU_DEP_2)
	v_fmac_f32_e32 v149, v6, v1
	v_fmac_f32_e32 v151, v8, v3
	s_delay_alu instid0(VALU_DEP_3) | instskip(SKIP_1) | instid1(VALU_DEP_1)
	v_fma_f32 v150, v5, v1, -v2
	v_dual_mul_f32 v1, v8, v4 :: v_dual_add_f32 v2, 0, v134
	v_fma_f32 v152, v7, v3, -v1
	s_delay_alu instid0(VALU_DEP_2) | instskip(NEXT) | instid1(VALU_DEP_1)
	v_dual_add_f32 v1, 0, v22 :: v_dual_add_f32 v2, v2, v135
	v_dual_add_f32 v1, v1, v24 :: v_dual_add_f32 v2, v2, v25
	s_delay_alu instid0(VALU_DEP_1) | instskip(NEXT) | instid1(VALU_DEP_1)
	v_dual_add_f32 v1, v1, v124 :: v_dual_add_f32 v2, v2, v26
	v_dual_add_f32 v1, v1, v125 :: v_dual_add_f32 v2, v2, v27
	scratch_load_b64 v[124:125], off, off offset:376
	v_add_f32_e32 v1, v1, v126
	s_delay_alu instid0(VALU_DEP_1) | instskip(NEXT) | instid1(VALU_DEP_1)
	v_add_f32_e32 v1, v1, v127
	v_dual_add_f32 v5, v2, v136 :: v_dual_add_f32 v6, v1, v13
	scratch_load_b128 v[1:4], off, off offset:312
	v_dual_add_f32 v13, v5, v128 :: v_dual_add_f32 v14, v6, v14
	ds_load_2addr_b64 v[5:8], v21 offset0:85 offset1:86
	v_dual_add_f32 v13, v13, v129 :: v_dual_add_f32 v14, v14, v16
	s_delay_alu instid0(VALU_DEP_1) | instskip(NEXT) | instid1(VALU_DEP_1)
	v_add_f32_e32 v13, v13, v15
	v_dual_add_f32 v17, v14, v17 :: v_dual_add_f32 v18, v13, v18
	ds_load_2addr_b64 v[13:16], v21 offset0:87 offset1:88
	v_dual_add_f32 v17, v17, v130 :: v_dual_add_f32 v18, v18, v19
	s_wait_loadcnt_dscnt 0x201
	v_mul_f32_e32 v22, v5, v10
	v_mul_f32_e32 v10, v6, v10
	;; [unrolled: 1-line block ×3, first 2 shown]
	v_dual_mul_f32 v12, v8, v12 :: v_dual_add_f32 v17, v17, v131
	s_delay_alu instid0(VALU_DEP_4) | instskip(NEXT) | instid1(VALU_DEP_4)
	v_fmac_f32_e32 v22, v6, v9
	v_fma_f32 v129, v5, v9, -v10
	v_add_f32_e32 v18, v18, v20
	s_delay_alu instid0(VALU_DEP_4)
	v_fma_f32 v130, v7, v11, -v12
	v_add_f32_e32 v17, v17, v139
	v_fmac_f32_e32 v128, v8, v11
	s_clause 0x1
	scratch_load_b128 v[5:8], off, off offset:328
	scratch_load_b128 v[9:12], off, off offset:344
	v_dual_add_f32 v25, v17, v140 :: v_dual_add_f32 v24, v18, v137
	scratch_load_b128 v[17:20], off, off offset:360
	v_add_f32_e32 v25, v25, v142
	s_delay_alu instid0(VALU_DEP_1) | instskip(NEXT) | instid1(VALU_DEP_1)
	v_dual_add_f32 v24, v24, v138 :: v_dual_add_f32 v25, v25, v144
	v_dual_add_f32 v24, v24, v141 :: v_dual_add_f32 v25, v25, v146
	s_wait_loadcnt_dscnt 0x300
	s_delay_alu instid0(VALU_DEP_1) | instskip(SKIP_1) | instid1(VALU_DEP_2)
	v_dual_mul_f32 v131, v13, v2 :: v_dual_add_f32 v24, v24, v143
	v_mul_f32_e32 v2, v14, v2
	v_dual_fmac_f32 v131, v14, v1 :: v_dual_add_f32 v14, v25, v148
	s_delay_alu instid0(VALU_DEP_2) | instskip(NEXT) | instid1(VALU_DEP_2)
	v_fma_f32 v135, v13, v1, -v2
	v_dual_add_f32 v13, v24, v145 :: v_dual_add_f32 v126, v14, v150
	s_delay_alu instid0(VALU_DEP_1) | instskip(SKIP_1) | instid1(VALU_DEP_3)
	v_add_f32_e32 v24, v13, v147
	v_mul_f32_e32 v134, v15, v4
	v_add_f32_e32 v137, v126, v152
	v_mul_f32_e32 v4, v16, v4
	s_delay_alu instid0(VALU_DEP_4) | instskip(NEXT) | instid1(VALU_DEP_4)
	v_add_f32_e32 v127, v24, v149
	v_fmac_f32_e32 v134, v16, v3
	ds_load_2addr_b64 v[24:27], v21 offset0:93 offset1:94
	v_add_f32_e32 v129, v137, v129
	v_fma_f32 v136, v15, v3, -v4
	ds_load_2addr_b64 v[1:4], v21 offset0:89 offset1:90
	ds_load_2addr_b64 v[13:16], v21 offset0:91 offset1:92
	v_dual_add_f32 v138, v127, v151 :: v_dual_add_f32 v129, v129, v130
	ds_load_b64 v[126:127], v21 offset:760
	v_add_f32_e32 v129, v129, v135
	s_delay_alu instid0(VALU_DEP_1)
	v_add_f32_e32 v129, v129, v136
	s_wait_loadcnt_dscnt 0x3
	v_mul_f32_e32 v135, v24, v18
	s_wait_dscnt 0x2
	v_mul_f32_e32 v137, v1, v6
	v_add_f32_e32 v22, v138, v22
	v_mul_f32_e32 v6, v2, v6
	s_wait_dscnt 0x1
	v_mul_f32_e32 v130, v13, v10
	v_fmac_f32_e32 v135, v25, v17
	v_fmac_f32_e32 v137, v2, v5
	v_add_f32_e32 v22, v22, v128
	v_mul_f32_e32 v128, v3, v8
	v_mul_f32_e32 v8, v4, v8
	v_fma_f32 v1, v1, v5, -v6
	v_mul_f32_e32 v5, v16, v12
	s_delay_alu instid0(VALU_DEP_4) | instskip(NEXT) | instid1(VALU_DEP_4)
	v_fmac_f32_e32 v128, v4, v7
	v_fma_f32 v2, v3, v7, -v8
	v_mul_f32_e32 v3, v14, v10
	v_dual_add_f32 v1, v129, v1 :: v_dual_add_f32 v22, v22, v131
	v_fma_f32 v5, v15, v11, -v5
	v_mul_f32_e32 v131, v15, v12
	s_delay_alu instid0(VALU_DEP_4) | instskip(NEXT) | instid1(VALU_DEP_4)
	v_fma_f32 v3, v13, v9, -v3
	v_add_f32_e32 v1, v1, v2
	v_add_f32_e32 v22, v22, v134
	s_wait_dscnt 0x0
	v_mul_f32_e32 v134, v126, v125
	v_dual_mul_f32 v136, v26, v20 :: v_dual_fmac_f32 v131, v16, v11
	v_add_f32_e32 v1, v1, v3
	v_mul_f32_e32 v3, v27, v20
	s_delay_alu instid0(VALU_DEP_4) | instskip(NEXT) | instid1(VALU_DEP_3)
	v_fmac_f32_e32 v134, v127, v124
	v_dual_fmac_f32 v136, v27, v19 :: v_dual_add_f32 v1, v1, v5
	s_delay_alu instid0(VALU_DEP_3) | instskip(SKIP_1) | instid1(VALU_DEP_1)
	v_fma_f32 v3, v26, v19, -v3
	v_add_f32_e32 v4, v22, v137
	v_dual_mul_f32 v5, v127, v125 :: v_dual_add_f32 v2, v4, v128
	v_mul_f32_e32 v4, v25, v18
	s_delay_alu instid0(VALU_DEP_1) | instskip(NEXT) | instid1(VALU_DEP_1)
	v_fma_f32 v4, v24, v17, -v4
	v_dual_fmac_f32 v130, v14, v9 :: v_dual_add_f32 v1, v1, v4
	s_delay_alu instid0(VALU_DEP_4) | instskip(NEXT) | instid1(VALU_DEP_2)
	v_fma_f32 v4, v126, v124, -v5
	v_dual_add_f32 v1, v1, v3 :: v_dual_add_f32 v2, v2, v130
	s_delay_alu instid0(VALU_DEP_1) | instskip(NEXT) | instid1(VALU_DEP_1)
	v_dual_add_f32 v1, v1, v4 :: v_dual_add_f32 v2, v2, v131
	v_dual_sub_f32 v1, v132, v1 :: v_dual_add_f32 v2, v2, v135
	s_delay_alu instid0(VALU_DEP_1) | instskip(NEXT) | instid1(VALU_DEP_1)
	v_add_f32_e32 v2, v2, v136
	v_add_f32_e32 v2, v2, v134
	s_delay_alu instid0(VALU_DEP_1)
	v_sub_f32_e32 v2, v133, v2
	scratch_store_b64 off, v[1:2], off offset:128
	v_cmpx_lt_u32_e32 15, v0
	s_cbranch_execz .LBB47_271
; %bb.270:
	scratch_load_b64 v[1:2], off, off offset:120
	v_mov_b32_e32 v22, v21
	scratch_store_b64 off, v[21:22], off offset:120
	s_wait_loadcnt 0x0
	ds_store_b64 v23, v[1:2]
.LBB47_271:
	s_wait_alu 0xfffe
	s_or_b32 exec_lo, exec_lo, s0
	s_wait_storecnt_dscnt 0x0
	s_barrier_signal -1
	s_barrier_wait -1
	global_inv scope:SCOPE_SE
	s_clause 0x4
	scratch_load_b128 v[5:8], off, off offset:128
	scratch_load_b128 v[1:4], off, off offset:144
	;; [unrolled: 1-line block ×5, first 2 shown]
	ds_load_b128 v[24:27], v21 offset:512
	ds_load_b128 v[124:127], v21 offset:528
	ds_load_b128 v[128:131], v21 offset:544
	scratch_load_b64 v[132:133], off, off offset:120
	s_mov_b32 s0, exec_lo
	s_wait_loadcnt_dscnt 0x502
	v_dual_mul_f32 v22, v25, v6 :: v_dual_mul_f32 v135, v26, v8
	v_mul_f32_e32 v134, v24, v6
	v_mul_f32_e32 v6, v27, v8
	s_wait_loadcnt_dscnt 0x300
	v_mul_f32_e32 v136, v130, v12
	v_fma_f32 v22, v24, v5, -v22
	v_dual_fmac_f32 v135, v27, v7 :: v_dual_fmac_f32 v134, v25, v5
	v_mul_f32_e32 v27, v128, v10
	v_mul_f32_e32 v25, v124, v2
	v_fma_f32 v24, v26, v7, -v6
	ds_load_b128 v[5:8], v21 offset:560
	v_mul_f32_e32 v26, v126, v4
	v_dual_mul_f32 v4, v127, v4 :: v_dual_fmac_f32 v27, v129, v9
	v_mul_f32_e32 v10, v129, v10
	v_mul_f32_e32 v12, v131, v12
	;; [unrolled: 1-line block ×3, first 2 shown]
	v_dual_fmac_f32 v25, v125, v1 :: v_dual_fmac_f32 v26, v127, v3
	v_fma_f32 v125, v126, v3, -v4
	v_fma_f32 v126, v128, v9, -v10
	v_fmac_f32_e32 v136, v131, v11
	v_fma_f32 v127, v130, v11, -v12
	ds_load_b128 v[9:12], v21 offset:576
	s_wait_loadcnt_dscnt 0x201
	v_mul_f32_e32 v129, v7, v16
	v_fma_f32 v124, v124, v1, -v2
	scratch_load_b128 v[1:4], off, off offset:208
	v_mul_f32_e32 v128, v5, v14
	v_mul_f32_e32 v14, v6, v14
	;; [unrolled: 1-line block ×3, first 2 shown]
	s_delay_alu instid0(VALU_DEP_3) | instskip(NEXT) | instid1(VALU_DEP_3)
	v_dual_fmac_f32 v129, v8, v15 :: v_dual_fmac_f32 v128, v6, v13
	v_fma_f32 v13, v5, v13, -v14
	s_delay_alu instid0(VALU_DEP_3)
	v_fma_f32 v14, v7, v15, -v16
	ds_load_b128 v[5:8], v21 offset:592
	s_wait_loadcnt_dscnt 0x201
	v_mul_f32_e32 v15, v9, v18
	v_mul_f32_e32 v16, v10, v18
	;; [unrolled: 1-line block ×3, first 2 shown]
	s_delay_alu instid0(VALU_DEP_3) | instskip(NEXT) | instid1(VALU_DEP_3)
	v_dual_mul_f32 v20, v12, v20 :: v_dual_fmac_f32 v15, v10, v17
	v_fma_f32 v16, v9, v17, -v16
	s_delay_alu instid0(VALU_DEP_3) | instskip(NEXT) | instid1(VALU_DEP_3)
	v_fmac_f32_e32 v18, v12, v19
	v_fma_f32 v17, v11, v19, -v20
	scratch_load_b128 v[9:12], off, off offset:224
	s_wait_loadcnt_dscnt 0x100
	v_mul_f32_e32 v19, v5, v2
	v_mul_f32_e32 v2, v6, v2
	;; [unrolled: 1-line block ×3, first 2 shown]
	s_delay_alu instid0(VALU_DEP_3) | instskip(NEXT) | instid1(VALU_DEP_3)
	v_dual_mul_f32 v4, v8, v4 :: v_dual_fmac_f32 v19, v6, v1
	v_fma_f32 v130, v5, v1, -v2
	s_delay_alu instid0(VALU_DEP_3) | instskip(NEXT) | instid1(VALU_DEP_3)
	v_fmac_f32_e32 v20, v8, v3
	v_fma_f32 v131, v7, v3, -v4
	ds_load_b128 v[1:4], v21 offset:608
	ds_load_b128 v[5:8], v21 offset:624
	s_wait_loadcnt_dscnt 0x1
	v_mul_f32_e32 v137, v1, v10
	v_mul_f32_e32 v10, v2, v10
	s_delay_alu instid0(VALU_DEP_2) | instskip(NEXT) | instid1(VALU_DEP_2)
	v_dual_mul_f32 v138, v3, v12 :: v_dual_fmac_f32 v137, v2, v9
	v_fma_f32 v139, v1, v9, -v10
	v_mul_f32_e32 v1, v4, v12
	s_delay_alu instid0(VALU_DEP_3) | instskip(NEXT) | instid1(VALU_DEP_2)
	v_fmac_f32_e32 v138, v4, v11
	v_fma_f32 v140, v3, v11, -v1
	s_clause 0x1
	scratch_load_b128 v[1:4], off, off offset:240
	scratch_load_b128 v[9:12], off, off offset:256
	s_wait_loadcnt_dscnt 0x100
	v_mul_f32_e32 v141, v5, v2
	v_dual_mul_f32 v2, v6, v2 :: v_dual_mul_f32 v143, v7, v4
	s_delay_alu instid0(VALU_DEP_2) | instskip(NEXT) | instid1(VALU_DEP_2)
	v_fmac_f32_e32 v141, v6, v1
	v_fma_f32 v142, v5, v1, -v2
	v_mul_f32_e32 v1, v8, v4
	s_delay_alu instid0(VALU_DEP_4) | instskip(NEXT) | instid1(VALU_DEP_2)
	v_fmac_f32_e32 v143, v8, v3
	v_fma_f32 v144, v7, v3, -v1
	ds_load_b128 v[1:4], v21 offset:640
	ds_load_b128 v[5:8], v21 offset:656
	s_wait_loadcnt_dscnt 0x1
	v_mul_f32_e32 v145, v1, v10
	v_mul_f32_e32 v147, v3, v12
	s_delay_alu instid0(VALU_DEP_2) | instskip(NEXT) | instid1(VALU_DEP_2)
	v_fmac_f32_e32 v145, v2, v9
	v_dual_mul_f32 v2, v2, v10 :: v_dual_fmac_f32 v147, v4, v11
	s_delay_alu instid0(VALU_DEP_1) | instskip(SKIP_1) | instid1(VALU_DEP_1)
	v_fma_f32 v146, v1, v9, -v2
	v_mul_f32_e32 v1, v4, v12
	v_fma_f32 v148, v3, v11, -v1
	s_clause 0x1
	scratch_load_b128 v[1:4], off, off offset:272
	scratch_load_b128 v[9:12], off, off offset:288
	s_wait_loadcnt_dscnt 0x100
	v_mul_f32_e32 v149, v5, v2
	v_dual_mul_f32 v2, v6, v2 :: v_dual_mul_f32 v151, v7, v4
	s_delay_alu instid0(VALU_DEP_2) | instskip(NEXT) | instid1(VALU_DEP_2)
	v_fmac_f32_e32 v149, v6, v1
	v_fma_f32 v150, v5, v1, -v2
	v_mul_f32_e32 v1, v8, v4
	s_delay_alu instid0(VALU_DEP_4) | instskip(NEXT) | instid1(VALU_DEP_2)
	v_fmac_f32_e32 v151, v8, v3
	v_fma_f32 v152, v7, v3, -v1
	ds_load_b128 v[1:4], v21 offset:672
	ds_load_b128 v[5:8], v21 offset:688
	s_wait_loadcnt_dscnt 0x1
	v_mul_f32_e32 v153, v1, v10
	v_mul_f32_e32 v155, v3, v12
	s_delay_alu instid0(VALU_DEP_2) | instskip(NEXT) | instid1(VALU_DEP_2)
	v_fmac_f32_e32 v153, v2, v9
	v_dual_mul_f32 v2, v2, v10 :: v_dual_fmac_f32 v155, v4, v11
	s_delay_alu instid0(VALU_DEP_1) | instskip(SKIP_1) | instid1(VALU_DEP_1)
	v_fma_f32 v154, v1, v9, -v2
	v_mul_f32_e32 v1, v4, v12
	v_fma_f32 v156, v3, v11, -v1
	s_clause 0x1
	scratch_load_b128 v[1:4], off, off offset:304
	scratch_load_b128 v[9:12], off, off offset:320
	s_wait_loadcnt_dscnt 0x100
	v_mul_f32_e32 v157, v5, v2
	v_mul_f32_e32 v2, v6, v2
	s_delay_alu instid0(VALU_DEP_1) | instskip(SKIP_1) | instid1(VALU_DEP_1)
	v_fma_f32 v158, v5, v1, -v2
	v_add_f32_e32 v2, 0, v134
	v_add_f32_e32 v2, v2, v135
	s_delay_alu instid0(VALU_DEP_1) | instskip(NEXT) | instid1(VALU_DEP_1)
	v_dual_add_f32 v2, v2, v25 :: v_dual_mul_f32 v159, v7, v4
	v_add_f32_e32 v2, v2, v26
	s_delay_alu instid0(VALU_DEP_1) | instskip(NEXT) | instid1(VALU_DEP_1)
	v_add_f32_e32 v2, v2, v27
	v_dual_fmac_f32 v159, v8, v3 :: v_dual_add_f32 v2, v2, v136
	s_delay_alu instid0(VALU_DEP_1) | instskip(NEXT) | instid1(VALU_DEP_1)
	v_add_f32_e32 v2, v2, v128
	v_add_f32_e32 v2, v2, v129
	s_delay_alu instid0(VALU_DEP_1) | instskip(NEXT) | instid1(VALU_DEP_1)
	v_add_f32_e32 v5, v2, v15
	v_add_f32_e32 v5, v5, v18
	s_delay_alu instid0(VALU_DEP_1) | instskip(SKIP_2) | instid1(VALU_DEP_1)
	v_add_f32_e32 v5, v5, v19
	v_fmac_f32_e32 v157, v6, v1
	v_mul_f32_e32 v1, v8, v4
	v_fma_f32 v160, v7, v3, -v1
	v_add_f32_e32 v1, 0, v22
	s_delay_alu instid0(VALU_DEP_1) | instskip(NEXT) | instid1(VALU_DEP_1)
	v_add_f32_e32 v1, v1, v24
	v_add_f32_e32 v1, v1, v124
	s_delay_alu instid0(VALU_DEP_1) | instskip(NEXT) | instid1(VALU_DEP_1)
	v_add_f32_e32 v1, v1, v125
	;; [unrolled: 3-line block ×4, first 2 shown]
	v_add_f32_e32 v1, v1, v16
	s_delay_alu instid0(VALU_DEP_1) | instskip(SKIP_2) | instid1(VALU_DEP_1)
	v_add_f32_e32 v6, v1, v17
	ds_load_b128 v[1:4], v21 offset:704
	v_add_f32_e32 v6, v6, v130
	v_add_f32_e32 v13, v6, v131
	s_delay_alu instid0(VALU_DEP_1) | instskip(NEXT) | instid1(VALU_DEP_1)
	v_add_f32_e32 v13, v13, v139
	v_add_f32_e32 v13, v13, v140
	s_delay_alu instid0(VALU_DEP_1) | instskip(NEXT) | instid1(VALU_DEP_1)
	v_add_f32_e32 v13, v13, v142
	v_add_f32_e32 v18, v13, v144
	s_delay_alu instid0(VALU_DEP_1)
	v_add_f32_e32 v18, v18, v146
	v_add_f32_e32 v14, v5, v20
	ds_load_b128 v[5:8], v21 offset:720
	s_wait_loadcnt_dscnt 0x1
	v_mul_f32_e32 v22, v1, v10
	v_mul_f32_e32 v124, v3, v12
	;; [unrolled: 1-line block ×4, first 2 shown]
	v_add_f32_e32 v14, v14, v137
	v_fmac_f32_e32 v22, v2, v9
	v_fmac_f32_e32 v124, v4, v11
	v_fma_f32 v125, v1, v9, -v10
	v_fma_f32 v126, v3, v11, -v12
	s_clause 0x1
	scratch_load_b128 v[1:4], off, off offset:336
	scratch_load_b128 v[9:12], off, off offset:352
	v_add_f32_e32 v14, v14, v138
	v_add_f32_e32 v18, v18, v148
	s_delay_alu instid0(VALU_DEP_2) | instskip(SKIP_2) | instid1(VALU_DEP_1)
	v_add_f32_e32 v17, v14, v141
	scratch_load_b128 v[13:16], off, off offset:368
	v_dual_add_f32 v24, v18, v150 :: v_dual_add_f32 v17, v17, v143
	v_add_f32_e32 v127, v24, v152
	s_delay_alu instid0(VALU_DEP_2) | instskip(NEXT) | instid1(VALU_DEP_1)
	v_add_f32_e32 v17, v17, v145
	v_add_f32_e32 v17, v17, v147
	s_delay_alu instid0(VALU_DEP_1)
	v_add_f32_e32 v25, v17, v149
	ds_load_b128 v[17:20], v21 offset:736
	v_add_f32_e32 v128, v25, v151
	ds_load_b128 v[24:27], v21 offset:752
	v_add_f32_e32 v21, v127, v154
	s_wait_loadcnt_dscnt 0x202
	v_dual_add_f32 v127, v128, v153 :: v_dual_mul_f32 v128, v5, v2
	s_wait_loadcnt_dscnt 0x101
	v_mul_f32_e32 v130, v17, v10
	v_dual_add_f32 v21, v21, v156 :: v_dual_mul_f32 v2, v6, v2
	s_delay_alu instid0(VALU_DEP_3) | instskip(NEXT) | instid1(VALU_DEP_2)
	v_dual_fmac_f32 v128, v6, v1 :: v_dual_add_f32 v127, v127, v155
	v_dual_fmac_f32 v130, v18, v9 :: v_dual_add_f32 v21, v21, v158
	s_wait_loadcnt_dscnt 0x0
	v_dual_mul_f32 v134, v24, v14 :: v_dual_mul_f32 v129, v7, v4
	s_delay_alu instid0(VALU_DEP_3) | instskip(SKIP_1) | instid1(VALU_DEP_3)
	v_dual_add_f32 v127, v127, v157 :: v_dual_mul_f32 v4, v8, v4
	v_fma_f32 v2, v5, v1, -v2
	v_dual_fmac_f32 v134, v25, v13 :: v_dual_fmac_f32 v129, v8, v3
	s_delay_alu instid0(VALU_DEP_3) | instskip(NEXT) | instid1(VALU_DEP_4)
	v_add_f32_e32 v127, v127, v159
	v_fma_f32 v3, v7, v3, -v4
	v_mul_f32_e32 v4, v20, v12
	v_dual_add_f32 v21, v21, v160 :: v_dual_mul_f32 v6, v18, v10
	s_delay_alu instid0(VALU_DEP_4) | instskip(NEXT) | instid1(VALU_DEP_3)
	v_add_f32_e32 v22, v127, v22
	v_fma_f32 v4, v19, v11, -v4
	s_delay_alu instid0(VALU_DEP_3) | instskip(SKIP_1) | instid1(VALU_DEP_4)
	v_add_f32_e32 v21, v21, v125
	v_mul_f32_e32 v125, v26, v16
	v_add_f32_e32 v5, v22, v124
	s_delay_alu instid0(VALU_DEP_2) | instskip(NEXT) | instid1(VALU_DEP_4)
	v_fmac_f32_e32 v125, v27, v15
	v_add_f32_e32 v1, v21, v126
	s_delay_alu instid0(VALU_DEP_1) | instskip(NEXT) | instid1(VALU_DEP_4)
	v_add_f32_e32 v1, v1, v2
	v_add_f32_e32 v2, v5, v128
	v_mul_f32_e32 v131, v19, v12
	v_fma_f32 v5, v17, v9, -v6
	s_delay_alu instid0(VALU_DEP_3) | instskip(SKIP_1) | instid1(VALU_DEP_4)
	v_dual_add_f32 v1, v1, v3 :: v_dual_add_f32 v2, v2, v129
	v_mul_f32_e32 v3, v25, v14
	v_fmac_f32_e32 v131, v20, v11
	s_delay_alu instid0(VALU_DEP_3) | instskip(SKIP_1) | instid1(VALU_DEP_4)
	v_dual_add_f32 v1, v1, v5 :: v_dual_add_f32 v2, v2, v130
	v_mul_f32_e32 v5, v27, v16
	v_fma_f32 v3, v24, v13, -v3
	s_delay_alu instid0(VALU_DEP_3) | instskip(NEXT) | instid1(VALU_DEP_3)
	v_dual_add_f32 v1, v1, v4 :: v_dual_add_f32 v2, v2, v131
	v_fma_f32 v4, v26, v15, -v5
	s_delay_alu instid0(VALU_DEP_2) | instskip(NEXT) | instid1(VALU_DEP_1)
	v_dual_add_f32 v1, v1, v3 :: v_dual_add_f32 v2, v2, v134
	v_dual_add_f32 v1, v1, v4 :: v_dual_add_f32 v2, v2, v125
	s_delay_alu instid0(VALU_DEP_1)
	v_dual_sub_f32 v1, v132, v1 :: v_dual_sub_f32 v2, v133, v2
	scratch_store_b64 off, v[1:2], off offset:120
	v_cmpx_lt_u32_e32 14, v0
	s_cbranch_execz .LBB47_273
; %bb.272:
	scratch_load_b64 v[1:2], off, off offset:112
	v_mov_b32_e32 v3, 0
	s_delay_alu instid0(VALU_DEP_1)
	v_mov_b32_e32 v4, v3
	scratch_store_b64 off, v[3:4], off offset:112
	s_wait_loadcnt 0x0
	ds_store_b64 v23, v[1:2]
.LBB47_273:
	s_wait_alu 0xfffe
	s_or_b32 exec_lo, exec_lo, s0
	s_wait_storecnt_dscnt 0x0
	s_barrier_signal -1
	s_barrier_wait -1
	global_inv scope:SCOPE_SE
	s_clause 0x4
	scratch_load_b128 v[5:8], off, off offset:120
	scratch_load_b128 v[1:4], off, off offset:136
	;; [unrolled: 1-line block ×5, first 2 shown]
	v_mov_b32_e32 v21, 0
	ds_load_2addr_b64 v[24:27], v21 offset0:63 offset1:64
	ds_load_2addr_b64 v[124:127], v21 offset0:65 offset1:66
	;; [unrolled: 1-line block ×3, first 2 shown]
	scratch_load_b64 v[132:133], off, off offset:112
	s_mov_b32 s0, exec_lo
	s_wait_loadcnt_dscnt 0x502
	v_mul_f32_e32 v22, v25, v6
	v_dual_mul_f32 v134, v24, v6 :: v_dual_mul_f32 v135, v26, v8
	v_mul_f32_e32 v6, v27, v8
	s_delay_alu instid0(VALU_DEP_3) | instskip(NEXT) | instid1(VALU_DEP_3)
	v_fma_f32 v22, v24, v5, -v22
	v_dual_fmac_f32 v134, v25, v5 :: v_dual_fmac_f32 v135, v27, v7
	s_wait_loadcnt_dscnt 0x401
	v_mul_f32_e32 v25, v124, v2
	v_fma_f32 v24, v26, v7, -v6
	ds_load_2addr_b64 v[5:8], v21 offset0:69 offset1:70
	s_wait_loadcnt_dscnt 0x301
	v_dual_mul_f32 v26, v126, v4 :: v_dual_mul_f32 v27, v128, v10
	v_dual_mul_f32 v4, v127, v4 :: v_dual_fmac_f32 v25, v125, v1
	v_mul_f32_e32 v10, v129, v10
	s_delay_alu instid0(VALU_DEP_3)
	v_dual_mul_f32 v136, v130, v12 :: v_dual_fmac_f32 v27, v129, v9
	v_mul_f32_e32 v12, v131, v12
	v_mul_f32_e32 v2, v125, v2
	v_fmac_f32_e32 v26, v127, v3
	v_fma_f32 v125, v126, v3, -v4
	v_fma_f32 v126, v128, v9, -v10
	v_fmac_f32_e32 v136, v131, v11
	v_fma_f32 v127, v130, v11, -v12
	ds_load_2addr_b64 v[9:12], v21 offset0:71 offset1:72
	s_wait_loadcnt_dscnt 0x201
	v_mul_f32_e32 v129, v7, v16
	v_fma_f32 v124, v124, v1, -v2
	scratch_load_b128 v[1:4], off, off offset:200
	v_mul_f32_e32 v128, v5, v14
	v_mul_f32_e32 v14, v6, v14
	;; [unrolled: 1-line block ×3, first 2 shown]
	s_delay_alu instid0(VALU_DEP_3) | instskip(NEXT) | instid1(VALU_DEP_3)
	v_dual_fmac_f32 v129, v8, v15 :: v_dual_fmac_f32 v128, v6, v13
	v_fma_f32 v13, v5, v13, -v14
	s_delay_alu instid0(VALU_DEP_3)
	v_fma_f32 v14, v7, v15, -v16
	ds_load_2addr_b64 v[5:8], v21 offset0:73 offset1:74
	s_wait_loadcnt_dscnt 0x201
	v_mul_f32_e32 v15, v9, v18
	v_mul_f32_e32 v16, v10, v18
	;; [unrolled: 1-line block ×3, first 2 shown]
	s_delay_alu instid0(VALU_DEP_3) | instskip(NEXT) | instid1(VALU_DEP_3)
	v_dual_mul_f32 v20, v12, v20 :: v_dual_fmac_f32 v15, v10, v17
	v_fma_f32 v16, v9, v17, -v16
	s_delay_alu instid0(VALU_DEP_3) | instskip(NEXT) | instid1(VALU_DEP_3)
	v_fmac_f32_e32 v18, v12, v19
	v_fma_f32 v17, v11, v19, -v20
	scratch_load_b128 v[9:12], off, off offset:216
	s_wait_loadcnt_dscnt 0x100
	v_mul_f32_e32 v19, v5, v2
	v_mul_f32_e32 v2, v6, v2
	;; [unrolled: 1-line block ×3, first 2 shown]
	s_delay_alu instid0(VALU_DEP_3) | instskip(NEXT) | instid1(VALU_DEP_3)
	v_dual_mul_f32 v4, v8, v4 :: v_dual_fmac_f32 v19, v6, v1
	v_fma_f32 v130, v5, v1, -v2
	s_delay_alu instid0(VALU_DEP_3) | instskip(NEXT) | instid1(VALU_DEP_3)
	v_fmac_f32_e32 v20, v8, v3
	v_fma_f32 v131, v7, v3, -v4
	ds_load_2addr_b64 v[1:4], v21 offset0:75 offset1:76
	ds_load_2addr_b64 v[5:8], v21 offset0:77 offset1:78
	s_wait_loadcnt_dscnt 0x1
	v_mul_f32_e32 v137, v1, v10
	v_mul_f32_e32 v10, v2, v10
	s_delay_alu instid0(VALU_DEP_2) | instskip(NEXT) | instid1(VALU_DEP_2)
	v_dual_mul_f32 v138, v3, v12 :: v_dual_fmac_f32 v137, v2, v9
	v_fma_f32 v139, v1, v9, -v10
	v_mul_f32_e32 v1, v4, v12
	s_delay_alu instid0(VALU_DEP_3) | instskip(NEXT) | instid1(VALU_DEP_2)
	v_fmac_f32_e32 v138, v4, v11
	v_fma_f32 v140, v3, v11, -v1
	s_clause 0x1
	scratch_load_b128 v[1:4], off, off offset:232
	scratch_load_b128 v[9:12], off, off offset:248
	s_wait_loadcnt_dscnt 0x100
	v_mul_f32_e32 v141, v5, v2
	v_dual_mul_f32 v2, v6, v2 :: v_dual_mul_f32 v143, v7, v4
	s_delay_alu instid0(VALU_DEP_2) | instskip(NEXT) | instid1(VALU_DEP_2)
	v_fmac_f32_e32 v141, v6, v1
	v_fma_f32 v142, v5, v1, -v2
	v_mul_f32_e32 v1, v8, v4
	s_delay_alu instid0(VALU_DEP_4) | instskip(NEXT) | instid1(VALU_DEP_2)
	v_fmac_f32_e32 v143, v8, v3
	v_fma_f32 v144, v7, v3, -v1
	ds_load_2addr_b64 v[1:4], v21 offset0:79 offset1:80
	ds_load_2addr_b64 v[5:8], v21 offset0:81 offset1:82
	s_wait_loadcnt_dscnt 0x1
	v_mul_f32_e32 v145, v1, v10
	v_mul_f32_e32 v147, v3, v12
	s_delay_alu instid0(VALU_DEP_2) | instskip(NEXT) | instid1(VALU_DEP_2)
	v_fmac_f32_e32 v145, v2, v9
	v_dual_mul_f32 v2, v2, v10 :: v_dual_fmac_f32 v147, v4, v11
	s_delay_alu instid0(VALU_DEP_1) | instskip(SKIP_1) | instid1(VALU_DEP_1)
	v_fma_f32 v146, v1, v9, -v2
	v_mul_f32_e32 v1, v4, v12
	v_fma_f32 v148, v3, v11, -v1
	s_clause 0x1
	scratch_load_b128 v[1:4], off, off offset:264
	scratch_load_b128 v[9:12], off, off offset:280
	s_wait_loadcnt_dscnt 0x100
	v_mul_f32_e32 v149, v5, v2
	v_dual_mul_f32 v151, v7, v4 :: v_dual_mul_f32 v2, v6, v2
	s_delay_alu instid0(VALU_DEP_2) | instskip(NEXT) | instid1(VALU_DEP_2)
	v_fmac_f32_e32 v149, v6, v1
	v_fmac_f32_e32 v151, v8, v3
	s_delay_alu instid0(VALU_DEP_3) | instskip(SKIP_1) | instid1(VALU_DEP_1)
	v_fma_f32 v150, v5, v1, -v2
	v_mul_f32_e32 v1, v8, v4
	v_fma_f32 v152, v7, v3, -v1
	ds_load_2addr_b64 v[1:4], v21 offset0:83 offset1:84
	ds_load_2addr_b64 v[5:8], v21 offset0:85 offset1:86
	s_wait_loadcnt_dscnt 0x1
	v_mul_f32_e32 v153, v1, v10
	v_mul_f32_e32 v155, v3, v12
	s_delay_alu instid0(VALU_DEP_2) | instskip(NEXT) | instid1(VALU_DEP_2)
	v_fmac_f32_e32 v153, v2, v9
	v_dual_mul_f32 v2, v2, v10 :: v_dual_fmac_f32 v155, v4, v11
	s_delay_alu instid0(VALU_DEP_1) | instskip(SKIP_1) | instid1(VALU_DEP_1)
	v_fma_f32 v154, v1, v9, -v2
	v_mul_f32_e32 v1, v4, v12
	v_fma_f32 v156, v3, v11, -v1
	s_clause 0x1
	scratch_load_b128 v[1:4], off, off offset:296
	scratch_load_b128 v[9:12], off, off offset:312
	s_wait_loadcnt_dscnt 0x100
	v_mul_f32_e32 v157, v5, v2
	v_mul_f32_e32 v2, v6, v2
	s_delay_alu instid0(VALU_DEP_1) | instskip(SKIP_1) | instid1(VALU_DEP_1)
	v_fma_f32 v158, v5, v1, -v2
	v_add_f32_e32 v2, 0, v134
	v_add_f32_e32 v2, v2, v135
	s_delay_alu instid0(VALU_DEP_1) | instskip(NEXT) | instid1(VALU_DEP_1)
	v_add_f32_e32 v2, v2, v25
	v_add_f32_e32 v2, v2, v26
	s_delay_alu instid0(VALU_DEP_1) | instskip(NEXT) | instid1(VALU_DEP_1)
	;; [unrolled: 3-line block ×3, first 2 shown]
	v_add_f32_e32 v2, v2, v128
	v_dual_mul_f32 v159, v7, v4 :: v_dual_add_f32 v2, v2, v129
	s_delay_alu instid0(VALU_DEP_1) | instskip(NEXT) | instid1(VALU_DEP_1)
	v_add_f32_e32 v5, v2, v15
	v_add_f32_e32 v5, v5, v18
	s_delay_alu instid0(VALU_DEP_1) | instskip(SKIP_2) | instid1(VALU_DEP_1)
	v_add_f32_e32 v5, v5, v19
	v_fmac_f32_e32 v157, v6, v1
	v_mul_f32_e32 v1, v8, v4
	v_fma_f32 v160, v7, v3, -v1
	v_add_f32_e32 v1, 0, v22
	s_delay_alu instid0(VALU_DEP_1) | instskip(NEXT) | instid1(VALU_DEP_1)
	v_add_f32_e32 v1, v1, v24
	v_add_f32_e32 v1, v1, v124
	s_delay_alu instid0(VALU_DEP_1) | instskip(SKIP_2) | instid1(VALU_DEP_1)
	v_add_f32_e32 v1, v1, v125
	scratch_load_b64 v[124:125], off, off offset:376
	v_add_f32_e32 v1, v1, v126
	v_add_f32_e32 v1, v1, v127
	s_delay_alu instid0(VALU_DEP_1) | instskip(NEXT) | instid1(VALU_DEP_1)
	v_add_f32_e32 v1, v1, v13
	v_add_f32_e32 v1, v1, v14
	s_delay_alu instid0(VALU_DEP_1) | instskip(NEXT) | instid1(VALU_DEP_1)
	v_add_f32_e32 v1, v1, v16
	v_dual_fmac_f32 v159, v8, v3 :: v_dual_add_f32 v6, v1, v17
	ds_load_2addr_b64 v[1:4], v21 offset0:87 offset1:88
	v_add_f32_e32 v6, v6, v130
	s_delay_alu instid0(VALU_DEP_1) | instskip(NEXT) | instid1(VALU_DEP_1)
	v_add_f32_e32 v13, v6, v131
	v_add_f32_e32 v13, v13, v139
	s_delay_alu instid0(VALU_DEP_1) | instskip(NEXT) | instid1(VALU_DEP_1)
	v_add_f32_e32 v13, v13, v140
	;; [unrolled: 3-line block ×3, first 2 shown]
	v_add_f32_e32 v18, v18, v146
	v_add_f32_e32 v14, v5, v20
	ds_load_2addr_b64 v[5:8], v21 offset0:89 offset1:90
	s_wait_loadcnt_dscnt 0x101
	v_mul_f32_e32 v22, v1, v10
	v_mul_f32_e32 v10, v2, v10
	;; [unrolled: 1-line block ×4, first 2 shown]
	v_add_f32_e32 v14, v14, v137
	v_fmac_f32_e32 v22, v2, v9
	v_fma_f32 v129, v1, v9, -v10
	v_fmac_f32_e32 v128, v4, v11
	v_fma_f32 v130, v3, v11, -v12
	s_clause 0x1
	scratch_load_b128 v[1:4], off, off offset:328
	scratch_load_b128 v[9:12], off, off offset:344
	v_add_f32_e32 v14, v14, v138
	v_add_f32_e32 v18, v18, v148
	s_delay_alu instid0(VALU_DEP_2) | instskip(SKIP_2) | instid1(VALU_DEP_1)
	v_add_f32_e32 v17, v14, v141
	scratch_load_b128 v[13:16], off, off offset:360
	v_dual_add_f32 v18, v18, v150 :: v_dual_add_f32 v17, v17, v143
	v_dual_add_f32 v18, v18, v152 :: v_dual_add_f32 v17, v17, v145
	s_delay_alu instid0(VALU_DEP_1) | instskip(NEXT) | instid1(VALU_DEP_1)
	v_add_f32_e32 v126, v18, v154
	v_add_f32_e32 v131, v126, v156
	s_wait_loadcnt_dscnt 0x200
	v_mul_f32_e32 v135, v5, v2
	v_dual_mul_f32 v2, v6, v2 :: v_dual_add_f32 v17, v17, v147
	v_mul_f32_e32 v136, v7, v4
	v_mul_f32_e32 v4, v8, v4
	s_delay_alu instid0(VALU_DEP_3) | instskip(NEXT) | instid1(VALU_DEP_3)
	v_fma_f32 v2, v5, v1, -v2
	v_dual_add_f32 v17, v17, v149 :: v_dual_fmac_f32 v136, v8, v3
	s_delay_alu instid0(VALU_DEP_1)
	v_add_f32_e32 v24, v17, v151
	ds_load_2addr_b64 v[17:20], v21 offset0:91 offset1:92
	v_add_f32_e32 v127, v24, v153
	ds_load_2addr_b64 v[24:27], v21 offset0:93 offset1:94
	v_add_f32_e32 v131, v131, v158
	v_add_f32_e32 v134, v127, v155
	ds_load_b64 v[126:127], v21 offset:760
	v_add_f32_e32 v134, v134, v157
	s_delay_alu instid0(VALU_DEP_1) | instskip(SKIP_1) | instid1(VALU_DEP_1)
	v_dual_add_f32 v134, v134, v159 :: v_dual_add_f32 v131, v131, v160
	s_wait_loadcnt_dscnt 0x102
	v_dual_mul_f32 v5, v20, v12 :: v_dual_add_f32 v22, v134, v22
	s_delay_alu instid0(VALU_DEP_2) | instskip(SKIP_1) | instid1(VALU_DEP_2)
	v_add_f32_e32 v129, v131, v129
	v_dual_mul_f32 v134, v19, v12 :: v_dual_mul_f32 v131, v17, v10
	v_dual_add_f32 v22, v22, v128 :: v_dual_add_f32 v129, v129, v130
	v_fmac_f32_e32 v135, v6, v1
	v_fma_f32 v1, v7, v3, -v4
	s_wait_loadcnt_dscnt 0x1
	v_mul_f32_e32 v130, v26, v16
	s_wait_dscnt 0x0
	v_mul_f32_e32 v128, v126, v125
	v_add_f32_e32 v2, v129, v2
	v_dual_mul_f32 v137, v24, v14 :: v_dual_add_f32 v4, v22, v135
	v_mul_f32_e32 v3, v18, v10
	v_dual_fmac_f32 v131, v18, v9 :: v_dual_fmac_f32 v134, v20, v11
	s_delay_alu instid0(VALU_DEP_4) | instskip(NEXT) | instid1(VALU_DEP_4)
	v_dual_add_f32 v1, v2, v1 :: v_dual_fmac_f32 v130, v27, v15
	v_add_f32_e32 v2, v4, v136
	s_delay_alu instid0(VALU_DEP_4)
	v_fma_f32 v3, v17, v9, -v3
	v_mul_f32_e32 v4, v25, v14
	v_fma_f32 v5, v19, v11, -v5
	v_dual_fmac_f32 v137, v25, v13 :: v_dual_fmac_f32 v128, v127, v124
	v_add_f32_e32 v2, v2, v131
	v_add_f32_e32 v1, v1, v3
	v_mul_f32_e32 v3, v27, v16
	v_fma_f32 v4, v24, v13, -v4
	s_delay_alu instid0(VALU_DEP_4) | instskip(NEXT) | instid1(VALU_DEP_3)
	v_add_f32_e32 v2, v2, v134
	v_fma_f32 v3, v26, v15, -v3
	s_delay_alu instid0(VALU_DEP_2) | instskip(NEXT) | instid1(VALU_DEP_1)
	v_add_f32_e32 v2, v2, v137
	v_dual_add_f32 v1, v1, v5 :: v_dual_add_f32 v2, v2, v130
	v_mul_f32_e32 v5, v127, v125
	s_delay_alu instid0(VALU_DEP_2) | instskip(NEXT) | instid1(VALU_DEP_3)
	v_add_f32_e32 v1, v1, v4
	v_add_f32_e32 v2, v2, v128
	s_delay_alu instid0(VALU_DEP_3) | instskip(NEXT) | instid1(VALU_DEP_3)
	v_fma_f32 v4, v126, v124, -v5
	v_add_f32_e32 v1, v1, v3
	s_delay_alu instid0(VALU_DEP_3) | instskip(NEXT) | instid1(VALU_DEP_2)
	v_sub_f32_e32 v2, v133, v2
	v_add_f32_e32 v1, v1, v4
	s_delay_alu instid0(VALU_DEP_1)
	v_sub_f32_e32 v1, v132, v1
	scratch_store_b64 off, v[1:2], off offset:112
	v_cmpx_lt_u32_e32 13, v0
	s_cbranch_execz .LBB47_275
; %bb.274:
	scratch_load_b64 v[1:2], off, off offset:104
	v_mov_b32_e32 v22, v21
	scratch_store_b64 off, v[21:22], off offset:104
	s_wait_loadcnt 0x0
	ds_store_b64 v23, v[1:2]
.LBB47_275:
	s_wait_alu 0xfffe
	s_or_b32 exec_lo, exec_lo, s0
	s_wait_storecnt_dscnt 0x0
	s_barrier_signal -1
	s_barrier_wait -1
	global_inv scope:SCOPE_SE
	s_clause 0x4
	scratch_load_b128 v[5:8], off, off offset:112
	scratch_load_b128 v[1:4], off, off offset:128
	;; [unrolled: 1-line block ×5, first 2 shown]
	ds_load_b128 v[24:27], v21 offset:496
	ds_load_b128 v[124:127], v21 offset:512
	;; [unrolled: 1-line block ×3, first 2 shown]
	scratch_load_b64 v[132:133], off, off offset:104
	s_mov_b32 s0, exec_lo
	s_wait_loadcnt_dscnt 0x502
	v_dual_mul_f32 v22, v25, v6 :: v_dual_mul_f32 v135, v26, v8
	v_mul_f32_e32 v134, v24, v6
	v_mul_f32_e32 v6, v27, v8
	s_wait_loadcnt_dscnt 0x300
	v_mul_f32_e32 v136, v130, v12
	v_fma_f32 v22, v24, v5, -v22
	v_dual_fmac_f32 v135, v27, v7 :: v_dual_fmac_f32 v134, v25, v5
	v_mul_f32_e32 v27, v128, v10
	v_mul_f32_e32 v25, v124, v2
	v_fma_f32 v24, v26, v7, -v6
	ds_load_b128 v[5:8], v21 offset:544
	v_mul_f32_e32 v26, v126, v4
	v_dual_mul_f32 v4, v127, v4 :: v_dual_fmac_f32 v27, v129, v9
	v_mul_f32_e32 v10, v129, v10
	v_mul_f32_e32 v12, v131, v12
	;; [unrolled: 1-line block ×3, first 2 shown]
	v_dual_fmac_f32 v25, v125, v1 :: v_dual_fmac_f32 v26, v127, v3
	v_fma_f32 v125, v126, v3, -v4
	v_fma_f32 v126, v128, v9, -v10
	v_fmac_f32_e32 v136, v131, v11
	v_fma_f32 v127, v130, v11, -v12
	ds_load_b128 v[9:12], v21 offset:560
	s_wait_loadcnt_dscnt 0x201
	v_mul_f32_e32 v129, v7, v16
	v_fma_f32 v124, v124, v1, -v2
	scratch_load_b128 v[1:4], off, off offset:192
	v_mul_f32_e32 v128, v5, v14
	v_mul_f32_e32 v14, v6, v14
	;; [unrolled: 1-line block ×3, first 2 shown]
	s_delay_alu instid0(VALU_DEP_3) | instskip(NEXT) | instid1(VALU_DEP_3)
	v_dual_fmac_f32 v129, v8, v15 :: v_dual_fmac_f32 v128, v6, v13
	v_fma_f32 v13, v5, v13, -v14
	s_delay_alu instid0(VALU_DEP_3)
	v_fma_f32 v14, v7, v15, -v16
	ds_load_b128 v[5:8], v21 offset:576
	s_wait_loadcnt_dscnt 0x201
	v_mul_f32_e32 v15, v9, v18
	v_mul_f32_e32 v16, v10, v18
	;; [unrolled: 1-line block ×3, first 2 shown]
	s_delay_alu instid0(VALU_DEP_3) | instskip(NEXT) | instid1(VALU_DEP_3)
	v_dual_mul_f32 v20, v12, v20 :: v_dual_fmac_f32 v15, v10, v17
	v_fma_f32 v16, v9, v17, -v16
	s_delay_alu instid0(VALU_DEP_3) | instskip(NEXT) | instid1(VALU_DEP_3)
	v_fmac_f32_e32 v18, v12, v19
	v_fma_f32 v17, v11, v19, -v20
	scratch_load_b128 v[9:12], off, off offset:208
	s_wait_loadcnt_dscnt 0x100
	v_mul_f32_e32 v19, v5, v2
	v_mul_f32_e32 v2, v6, v2
	;; [unrolled: 1-line block ×3, first 2 shown]
	s_delay_alu instid0(VALU_DEP_3) | instskip(NEXT) | instid1(VALU_DEP_3)
	v_dual_mul_f32 v4, v8, v4 :: v_dual_fmac_f32 v19, v6, v1
	v_fma_f32 v130, v5, v1, -v2
	s_delay_alu instid0(VALU_DEP_3) | instskip(NEXT) | instid1(VALU_DEP_3)
	v_fmac_f32_e32 v20, v8, v3
	v_fma_f32 v131, v7, v3, -v4
	ds_load_b128 v[1:4], v21 offset:592
	ds_load_b128 v[5:8], v21 offset:608
	s_wait_loadcnt_dscnt 0x1
	v_mul_f32_e32 v137, v1, v10
	v_mul_f32_e32 v10, v2, v10
	s_delay_alu instid0(VALU_DEP_2) | instskip(NEXT) | instid1(VALU_DEP_2)
	v_dual_mul_f32 v138, v3, v12 :: v_dual_fmac_f32 v137, v2, v9
	v_fma_f32 v139, v1, v9, -v10
	v_mul_f32_e32 v1, v4, v12
	s_delay_alu instid0(VALU_DEP_3) | instskip(NEXT) | instid1(VALU_DEP_2)
	v_fmac_f32_e32 v138, v4, v11
	v_fma_f32 v140, v3, v11, -v1
	s_clause 0x1
	scratch_load_b128 v[1:4], off, off offset:224
	scratch_load_b128 v[9:12], off, off offset:240
	s_wait_loadcnt_dscnt 0x100
	v_mul_f32_e32 v141, v5, v2
	v_dual_mul_f32 v2, v6, v2 :: v_dual_mul_f32 v143, v7, v4
	s_delay_alu instid0(VALU_DEP_2) | instskip(NEXT) | instid1(VALU_DEP_2)
	v_fmac_f32_e32 v141, v6, v1
	v_fma_f32 v142, v5, v1, -v2
	v_mul_f32_e32 v1, v8, v4
	s_delay_alu instid0(VALU_DEP_4) | instskip(NEXT) | instid1(VALU_DEP_2)
	v_fmac_f32_e32 v143, v8, v3
	v_fma_f32 v144, v7, v3, -v1
	ds_load_b128 v[1:4], v21 offset:624
	ds_load_b128 v[5:8], v21 offset:640
	s_wait_loadcnt_dscnt 0x1
	v_mul_f32_e32 v145, v1, v10
	v_mul_f32_e32 v147, v3, v12
	s_delay_alu instid0(VALU_DEP_2) | instskip(NEXT) | instid1(VALU_DEP_2)
	v_fmac_f32_e32 v145, v2, v9
	v_dual_mul_f32 v2, v2, v10 :: v_dual_fmac_f32 v147, v4, v11
	s_delay_alu instid0(VALU_DEP_1) | instskip(SKIP_1) | instid1(VALU_DEP_1)
	v_fma_f32 v146, v1, v9, -v2
	v_mul_f32_e32 v1, v4, v12
	v_fma_f32 v148, v3, v11, -v1
	s_clause 0x1
	scratch_load_b128 v[1:4], off, off offset:256
	scratch_load_b128 v[9:12], off, off offset:272
	s_wait_loadcnt_dscnt 0x100
	v_mul_f32_e32 v149, v5, v2
	v_dual_mul_f32 v2, v6, v2 :: v_dual_mul_f32 v151, v7, v4
	s_delay_alu instid0(VALU_DEP_2) | instskip(NEXT) | instid1(VALU_DEP_2)
	v_fmac_f32_e32 v149, v6, v1
	v_fma_f32 v150, v5, v1, -v2
	v_mul_f32_e32 v1, v8, v4
	s_delay_alu instid0(VALU_DEP_4) | instskip(NEXT) | instid1(VALU_DEP_2)
	v_fmac_f32_e32 v151, v8, v3
	v_fma_f32 v152, v7, v3, -v1
	ds_load_b128 v[1:4], v21 offset:656
	ds_load_b128 v[5:8], v21 offset:672
	s_wait_loadcnt_dscnt 0x1
	v_mul_f32_e32 v153, v1, v10
	v_mul_f32_e32 v155, v3, v12
	s_delay_alu instid0(VALU_DEP_2) | instskip(NEXT) | instid1(VALU_DEP_2)
	v_fmac_f32_e32 v153, v2, v9
	v_dual_mul_f32 v2, v2, v10 :: v_dual_fmac_f32 v155, v4, v11
	s_delay_alu instid0(VALU_DEP_1) | instskip(SKIP_1) | instid1(VALU_DEP_1)
	v_fma_f32 v154, v1, v9, -v2
	v_mul_f32_e32 v1, v4, v12
	v_fma_f32 v156, v3, v11, -v1
	s_clause 0x1
	scratch_load_b128 v[1:4], off, off offset:288
	scratch_load_b128 v[9:12], off, off offset:304
	s_wait_loadcnt_dscnt 0x100
	v_mul_f32_e32 v157, v5, v2
	v_mul_f32_e32 v2, v6, v2
	s_delay_alu instid0(VALU_DEP_1) | instskip(SKIP_1) | instid1(VALU_DEP_1)
	v_fma_f32 v158, v5, v1, -v2
	v_add_f32_e32 v2, 0, v134
	v_add_f32_e32 v2, v2, v135
	s_delay_alu instid0(VALU_DEP_1) | instskip(NEXT) | instid1(VALU_DEP_1)
	v_dual_add_f32 v2, v2, v25 :: v_dual_mul_f32 v159, v7, v4
	v_add_f32_e32 v2, v2, v26
	s_delay_alu instid0(VALU_DEP_1) | instskip(NEXT) | instid1(VALU_DEP_3)
	v_add_f32_e32 v2, v2, v27
	v_fmac_f32_e32 v159, v8, v3
	v_fmac_f32_e32 v157, v6, v1
	s_delay_alu instid0(VALU_DEP_3) | instskip(NEXT) | instid1(VALU_DEP_1)
	v_add_f32_e32 v2, v2, v136
	v_add_f32_e32 v2, v2, v128
	s_delay_alu instid0(VALU_DEP_1) | instskip(NEXT) | instid1(VALU_DEP_1)
	v_dual_mul_f32 v1, v8, v4 :: v_dual_add_f32 v2, v2, v129
	v_fma_f32 v160, v7, v3, -v1
	s_delay_alu instid0(VALU_DEP_2) | instskip(NEXT) | instid1(VALU_DEP_1)
	v_dual_add_f32 v1, 0, v22 :: v_dual_add_f32 v2, v2, v15
	v_add_f32_e32 v1, v1, v24
	s_delay_alu instid0(VALU_DEP_2) | instskip(NEXT) | instid1(VALU_DEP_2)
	v_add_f32_e32 v5, v2, v18
	v_add_f32_e32 v1, v1, v124
	s_delay_alu instid0(VALU_DEP_1) | instskip(NEXT) | instid1(VALU_DEP_1)
	v_add_f32_e32 v1, v1, v125
	v_add_f32_e32 v1, v1, v126
	s_delay_alu instid0(VALU_DEP_1) | instskip(NEXT) | instid1(VALU_DEP_1)
	v_add_f32_e32 v1, v1, v127
	v_add_f32_e32 v1, v1, v13
	;; [unrolled: 1-line block ×3, first 2 shown]
	s_delay_alu instid0(VALU_DEP_2) | instskip(NEXT) | instid1(VALU_DEP_2)
	v_add_f32_e32 v1, v1, v14
	v_add_f32_e32 v13, v13, v20
	s_delay_alu instid0(VALU_DEP_2) | instskip(NEXT) | instid1(VALU_DEP_1)
	v_add_f32_e32 v1, v1, v16
	v_add_f32_e32 v1, v1, v17
	s_delay_alu instid0(VALU_DEP_1) | instskip(SKIP_4) | instid1(VALU_DEP_1)
	v_add_f32_e32 v6, v1, v130
	ds_load_b128 v[1:4], v21 offset:688
	v_add_f32_e32 v14, v6, v131
	scratch_load_b128 v[5:8], off, off offset:320
	v_dual_add_f32 v13, v13, v137 :: v_dual_add_f32 v14, v14, v139
	v_dual_add_f32 v18, v13, v138 :: v_dual_add_f32 v17, v14, v140
	ds_load_b128 v[13:16], v21 offset:704
	v_add_f32_e32 v18, v18, v141
	s_wait_loadcnt_dscnt 0x101
	v_mul_f32_e32 v22, v1, v10
	s_delay_alu instid0(VALU_DEP_2)
	v_add_f32_e32 v18, v18, v143
	v_mul_f32_e32 v10, v2, v10
	v_mul_f32_e32 v124, v3, v12
	v_mul_f32_e32 v12, v4, v12
	v_fmac_f32_e32 v22, v2, v9
	v_add_f32_e32 v24, v18, v145
	v_fma_f32 v125, v1, v9, -v10
	v_fmac_f32_e32 v124, v4, v11
	v_fma_f32 v126, v3, v11, -v12
	scratch_load_b128 v[1:4], off, off offset:336
	v_dual_add_f32 v24, v24, v147 :: v_dual_add_f32 v17, v17, v142
	scratch_load_b128 v[9:12], off, off offset:352
	s_wait_loadcnt_dscnt 0x200
	v_dual_add_f32 v24, v24, v149 :: v_dual_mul_f32 v127, v13, v6
	v_mul_f32_e32 v128, v15, v8
	v_add_f32_e32 v17, v17, v144
	v_mul_f32_e32 v8, v16, v8
	v_mul_f32_e32 v6, v14, v6
	s_delay_alu instid0(VALU_DEP_4) | instskip(NEXT) | instid1(VALU_DEP_4)
	v_dual_fmac_f32 v127, v14, v5 :: v_dual_fmac_f32 v128, v16, v7
	v_add_f32_e32 v17, v17, v146
	s_delay_alu instid0(VALU_DEP_4) | instskip(NEXT) | instid1(VALU_DEP_4)
	v_fma_f32 v130, v15, v7, -v8
	v_fma_f32 v129, v13, v5, -v6
	ds_load_b128 v[5:8], v21 offset:720
	v_add_f32_e32 v25, v17, v148
	scratch_load_b128 v[17:20], off, off offset:368
	v_add_f32_e32 v25, v25, v150
	s_delay_alu instid0(VALU_DEP_1) | instskip(NEXT) | instid1(VALU_DEP_1)
	v_add_f32_e32 v25, v25, v152
	v_dual_add_f32 v13, v24, v151 :: v_dual_add_f32 v24, v25, v154
	s_delay_alu instid0(VALU_DEP_1)
	v_add_f32_e32 v25, v13, v153
	ds_load_b128 v[13:16], v21 offset:736
	v_dual_add_f32 v131, v24, v156 :: v_dual_add_f32 v134, v25, v155
	ds_load_b128 v[24:27], v21 offset:752
	v_add_f32_e32 v21, v131, v158
	s_wait_loadcnt_dscnt 0x202
	v_dual_add_f32 v131, v134, v157 :: v_dual_mul_f32 v134, v5, v2
	s_delay_alu instid0(VALU_DEP_1) | instskip(NEXT) | instid1(VALU_DEP_2)
	v_dual_mul_f32 v2, v6, v2 :: v_dual_add_f32 v131, v131, v159
	v_fmac_f32_e32 v134, v6, v1
	s_delay_alu instid0(VALU_DEP_2) | instskip(NEXT) | instid1(VALU_DEP_3)
	v_fma_f32 v2, v5, v1, -v2
	v_add_f32_e32 v22, v131, v22
	s_wait_loadcnt_dscnt 0x101
	v_mul_f32_e32 v131, v13, v10
	v_mul_f32_e32 v6, v14, v10
	s_delay_alu instid0(VALU_DEP_3) | instskip(NEXT) | instid1(VALU_DEP_1)
	v_add_f32_e32 v22, v22, v124
	v_dual_add_f32 v21, v21, v160 :: v_dual_add_f32 v22, v22, v127
	s_delay_alu instid0(VALU_DEP_1) | instskip(SKIP_4) | instid1(VALU_DEP_1)
	v_add_f32_e32 v21, v21, v125
	v_mul_f32_e32 v125, v7, v4
	v_mul_f32_e32 v4, v8, v4
	s_wait_loadcnt_dscnt 0x0
	v_dual_mul_f32 v124, v24, v18 :: v_dual_add_f32 v5, v22, v128
	v_dual_fmac_f32 v124, v25, v17 :: v_dual_fmac_f32 v125, v8, v3
	v_add_f32_e32 v21, v21, v126
	v_fma_f32 v3, v7, v3, -v4
	v_dual_mul_f32 v4, v16, v12 :: v_dual_fmac_f32 v131, v14, v9
	v_mul_f32_e32 v135, v15, v12
	s_delay_alu instid0(VALU_DEP_4) | instskip(NEXT) | instid1(VALU_DEP_3)
	v_dual_add_f32 v21, v21, v129 :: v_dual_mul_f32 v126, v26, v20
	v_fma_f32 v4, v15, v11, -v4
	s_delay_alu instid0(VALU_DEP_2) | instskip(NEXT) | instid1(VALU_DEP_1)
	v_dual_add_f32 v1, v21, v130 :: v_dual_fmac_f32 v126, v27, v19
	v_add_f32_e32 v1, v1, v2
	v_dual_add_f32 v2, v5, v134 :: v_dual_fmac_f32 v135, v16, v11
	v_fma_f32 v5, v13, v9, -v6
	s_delay_alu instid0(VALU_DEP_2) | instskip(NEXT) | instid1(VALU_DEP_1)
	v_add_f32_e32 v2, v2, v125
	v_add_f32_e32 v2, v2, v131
	s_delay_alu instid0(VALU_DEP_1) | instskip(NEXT) | instid1(VALU_DEP_1)
	v_add_f32_e32 v2, v2, v135
	v_dual_add_f32 v2, v2, v124 :: v_dual_add_f32 v1, v1, v3
	v_mul_f32_e32 v3, v25, v18
	s_delay_alu instid0(VALU_DEP_2) | instskip(SKIP_1) | instid1(VALU_DEP_3)
	v_dual_add_f32 v2, v2, v126 :: v_dual_add_f32 v1, v1, v5
	v_mul_f32_e32 v5, v27, v20
	v_fma_f32 v3, v24, v17, -v3
	s_delay_alu instid0(VALU_DEP_3) | instskip(NEXT) | instid1(VALU_DEP_4)
	v_sub_f32_e32 v2, v133, v2
	v_add_f32_e32 v1, v1, v4
	s_delay_alu instid0(VALU_DEP_4) | instskip(NEXT) | instid1(VALU_DEP_2)
	v_fma_f32 v4, v26, v19, -v5
	v_add_f32_e32 v1, v1, v3
	s_delay_alu instid0(VALU_DEP_1) | instskip(NEXT) | instid1(VALU_DEP_1)
	v_add_f32_e32 v1, v1, v4
	v_sub_f32_e32 v1, v132, v1
	scratch_store_b64 off, v[1:2], off offset:104
	v_cmpx_lt_u32_e32 12, v0
	s_cbranch_execz .LBB47_277
; %bb.276:
	scratch_load_b64 v[1:2], off, off offset:96
	v_mov_b32_e32 v3, 0
	s_delay_alu instid0(VALU_DEP_1)
	v_mov_b32_e32 v4, v3
	scratch_store_b64 off, v[3:4], off offset:96
	s_wait_loadcnt 0x0
	ds_store_b64 v23, v[1:2]
.LBB47_277:
	s_wait_alu 0xfffe
	s_or_b32 exec_lo, exec_lo, s0
	s_wait_storecnt_dscnt 0x0
	s_barrier_signal -1
	s_barrier_wait -1
	global_inv scope:SCOPE_SE
	s_clause 0x4
	scratch_load_b128 v[5:8], off, off offset:104
	scratch_load_b128 v[1:4], off, off offset:120
	;; [unrolled: 1-line block ×5, first 2 shown]
	v_mov_b32_e32 v21, 0
	ds_load_2addr_b64 v[24:27], v21 offset0:61 offset1:62
	ds_load_2addr_b64 v[124:127], v21 offset0:63 offset1:64
	;; [unrolled: 1-line block ×3, first 2 shown]
	scratch_load_b64 v[132:133], off, off offset:96
	s_mov_b32 s0, exec_lo
	s_wait_loadcnt_dscnt 0x502
	v_mul_f32_e32 v22, v25, v6
	v_dual_mul_f32 v134, v24, v6 :: v_dual_mul_f32 v135, v26, v8
	v_mul_f32_e32 v6, v27, v8
	s_delay_alu instid0(VALU_DEP_3) | instskip(NEXT) | instid1(VALU_DEP_3)
	v_fma_f32 v22, v24, v5, -v22
	v_dual_fmac_f32 v134, v25, v5 :: v_dual_fmac_f32 v135, v27, v7
	s_wait_loadcnt_dscnt 0x401
	v_mul_f32_e32 v25, v124, v2
	v_fma_f32 v24, v26, v7, -v6
	ds_load_2addr_b64 v[5:8], v21 offset0:67 offset1:68
	s_wait_loadcnt_dscnt 0x301
	v_dual_mul_f32 v26, v126, v4 :: v_dual_mul_f32 v27, v128, v10
	v_dual_mul_f32 v4, v127, v4 :: v_dual_fmac_f32 v25, v125, v1
	v_mul_f32_e32 v10, v129, v10
	s_delay_alu instid0(VALU_DEP_3)
	v_dual_mul_f32 v136, v130, v12 :: v_dual_fmac_f32 v27, v129, v9
	v_mul_f32_e32 v12, v131, v12
	v_mul_f32_e32 v2, v125, v2
	v_fmac_f32_e32 v26, v127, v3
	v_fma_f32 v125, v126, v3, -v4
	v_fma_f32 v126, v128, v9, -v10
	v_fmac_f32_e32 v136, v131, v11
	v_fma_f32 v127, v130, v11, -v12
	ds_load_2addr_b64 v[9:12], v21 offset0:69 offset1:70
	s_wait_loadcnt_dscnt 0x201
	v_mul_f32_e32 v129, v7, v16
	v_fma_f32 v124, v124, v1, -v2
	scratch_load_b128 v[1:4], off, off offset:184
	v_mul_f32_e32 v128, v5, v14
	v_mul_f32_e32 v14, v6, v14
	;; [unrolled: 1-line block ×3, first 2 shown]
	s_delay_alu instid0(VALU_DEP_3) | instskip(NEXT) | instid1(VALU_DEP_3)
	v_dual_fmac_f32 v129, v8, v15 :: v_dual_fmac_f32 v128, v6, v13
	v_fma_f32 v13, v5, v13, -v14
	s_delay_alu instid0(VALU_DEP_3)
	v_fma_f32 v14, v7, v15, -v16
	ds_load_2addr_b64 v[5:8], v21 offset0:71 offset1:72
	s_wait_loadcnt_dscnt 0x201
	v_mul_f32_e32 v15, v9, v18
	v_mul_f32_e32 v16, v10, v18
	;; [unrolled: 1-line block ×3, first 2 shown]
	s_delay_alu instid0(VALU_DEP_3) | instskip(NEXT) | instid1(VALU_DEP_3)
	v_dual_mul_f32 v20, v12, v20 :: v_dual_fmac_f32 v15, v10, v17
	v_fma_f32 v16, v9, v17, -v16
	s_delay_alu instid0(VALU_DEP_3) | instskip(NEXT) | instid1(VALU_DEP_3)
	v_fmac_f32_e32 v18, v12, v19
	v_fma_f32 v17, v11, v19, -v20
	scratch_load_b128 v[9:12], off, off offset:200
	s_wait_loadcnt_dscnt 0x100
	v_mul_f32_e32 v19, v5, v2
	v_mul_f32_e32 v2, v6, v2
	;; [unrolled: 1-line block ×3, first 2 shown]
	s_delay_alu instid0(VALU_DEP_3) | instskip(NEXT) | instid1(VALU_DEP_3)
	v_dual_mul_f32 v4, v8, v4 :: v_dual_fmac_f32 v19, v6, v1
	v_fma_f32 v130, v5, v1, -v2
	s_delay_alu instid0(VALU_DEP_3) | instskip(NEXT) | instid1(VALU_DEP_3)
	v_fmac_f32_e32 v20, v8, v3
	v_fma_f32 v131, v7, v3, -v4
	ds_load_2addr_b64 v[1:4], v21 offset0:73 offset1:74
	ds_load_2addr_b64 v[5:8], v21 offset0:75 offset1:76
	s_wait_loadcnt_dscnt 0x1
	v_mul_f32_e32 v137, v1, v10
	v_mul_f32_e32 v10, v2, v10
	s_delay_alu instid0(VALU_DEP_2) | instskip(NEXT) | instid1(VALU_DEP_2)
	v_dual_mul_f32 v138, v3, v12 :: v_dual_fmac_f32 v137, v2, v9
	v_fma_f32 v139, v1, v9, -v10
	v_mul_f32_e32 v1, v4, v12
	s_delay_alu instid0(VALU_DEP_3) | instskip(NEXT) | instid1(VALU_DEP_2)
	v_fmac_f32_e32 v138, v4, v11
	v_fma_f32 v140, v3, v11, -v1
	s_clause 0x1
	scratch_load_b128 v[1:4], off, off offset:216
	scratch_load_b128 v[9:12], off, off offset:232
	s_wait_loadcnt_dscnt 0x100
	v_mul_f32_e32 v141, v5, v2
	v_dual_mul_f32 v2, v6, v2 :: v_dual_mul_f32 v143, v7, v4
	s_delay_alu instid0(VALU_DEP_2) | instskip(NEXT) | instid1(VALU_DEP_2)
	v_fmac_f32_e32 v141, v6, v1
	v_fma_f32 v142, v5, v1, -v2
	v_mul_f32_e32 v1, v8, v4
	s_delay_alu instid0(VALU_DEP_4) | instskip(NEXT) | instid1(VALU_DEP_2)
	v_fmac_f32_e32 v143, v8, v3
	v_fma_f32 v144, v7, v3, -v1
	ds_load_2addr_b64 v[1:4], v21 offset0:77 offset1:78
	ds_load_2addr_b64 v[5:8], v21 offset0:79 offset1:80
	s_wait_loadcnt_dscnt 0x1
	v_mul_f32_e32 v145, v1, v10
	v_mul_f32_e32 v147, v3, v12
	s_delay_alu instid0(VALU_DEP_2) | instskip(NEXT) | instid1(VALU_DEP_2)
	v_fmac_f32_e32 v145, v2, v9
	v_dual_mul_f32 v2, v2, v10 :: v_dual_fmac_f32 v147, v4, v11
	s_delay_alu instid0(VALU_DEP_1) | instskip(SKIP_1) | instid1(VALU_DEP_1)
	v_fma_f32 v146, v1, v9, -v2
	v_mul_f32_e32 v1, v4, v12
	v_fma_f32 v148, v3, v11, -v1
	s_clause 0x1
	scratch_load_b128 v[1:4], off, off offset:248
	scratch_load_b128 v[9:12], off, off offset:264
	s_wait_loadcnt_dscnt 0x100
	v_mul_f32_e32 v149, v5, v2
	v_dual_mul_f32 v151, v7, v4 :: v_dual_mul_f32 v2, v6, v2
	s_delay_alu instid0(VALU_DEP_2) | instskip(NEXT) | instid1(VALU_DEP_2)
	v_fmac_f32_e32 v149, v6, v1
	v_fmac_f32_e32 v151, v8, v3
	s_delay_alu instid0(VALU_DEP_3) | instskip(SKIP_1) | instid1(VALU_DEP_1)
	v_fma_f32 v150, v5, v1, -v2
	v_mul_f32_e32 v1, v8, v4
	v_fma_f32 v152, v7, v3, -v1
	ds_load_2addr_b64 v[1:4], v21 offset0:81 offset1:82
	ds_load_2addr_b64 v[5:8], v21 offset0:83 offset1:84
	s_wait_loadcnt_dscnt 0x1
	v_mul_f32_e32 v153, v1, v10
	v_mul_f32_e32 v155, v3, v12
	s_delay_alu instid0(VALU_DEP_2) | instskip(NEXT) | instid1(VALU_DEP_2)
	v_fmac_f32_e32 v153, v2, v9
	v_dual_mul_f32 v2, v2, v10 :: v_dual_fmac_f32 v155, v4, v11
	s_delay_alu instid0(VALU_DEP_1) | instskip(SKIP_1) | instid1(VALU_DEP_1)
	v_fma_f32 v154, v1, v9, -v2
	v_mul_f32_e32 v1, v4, v12
	v_fma_f32 v156, v3, v11, -v1
	s_clause 0x1
	scratch_load_b128 v[1:4], off, off offset:280
	scratch_load_b128 v[9:12], off, off offset:296
	s_wait_loadcnt_dscnt 0x100
	v_mul_f32_e32 v157, v5, v2
	v_mul_f32_e32 v2, v6, v2
	s_delay_alu instid0(VALU_DEP_1) | instskip(SKIP_1) | instid1(VALU_DEP_1)
	v_fma_f32 v158, v5, v1, -v2
	v_add_f32_e32 v2, 0, v134
	v_add_f32_e32 v2, v2, v135
	s_delay_alu instid0(VALU_DEP_1) | instskip(NEXT) | instid1(VALU_DEP_1)
	v_add_f32_e32 v2, v2, v25
	v_add_f32_e32 v2, v2, v26
	s_delay_alu instid0(VALU_DEP_1) | instskip(SKIP_1) | instid1(VALU_DEP_2)
	v_add_f32_e32 v2, v2, v27
	v_fmac_f32_e32 v157, v6, v1
	v_add_f32_e32 v2, v2, v136
	s_delay_alu instid0(VALU_DEP_1) | instskip(NEXT) | instid1(VALU_DEP_1)
	v_add_f32_e32 v2, v2, v128
	v_dual_mul_f32 v159, v7, v4 :: v_dual_add_f32 v2, v2, v129
	s_delay_alu instid0(VALU_DEP_1) | instskip(NEXT) | instid1(VALU_DEP_1)
	v_dual_mul_f32 v1, v8, v4 :: v_dual_add_f32 v2, v2, v15
	v_fma_f32 v160, v7, v3, -v1
	v_add_f32_e32 v1, 0, v22
	s_delay_alu instid0(VALU_DEP_3) | instskip(NEXT) | instid1(VALU_DEP_2)
	v_add_f32_e32 v5, v2, v18
	v_add_f32_e32 v1, v1, v24
	s_delay_alu instid0(VALU_DEP_1) | instskip(NEXT) | instid1(VALU_DEP_1)
	v_add_f32_e32 v1, v1, v124
	v_add_f32_e32 v1, v1, v125
	scratch_load_b64 v[124:125], off, off offset:376
	v_add_f32_e32 v1, v1, v126
	s_delay_alu instid0(VALU_DEP_1) | instskip(NEXT) | instid1(VALU_DEP_1)
	v_add_f32_e32 v1, v1, v127
	v_add_f32_e32 v1, v1, v13
	;; [unrolled: 1-line block ×3, first 2 shown]
	s_delay_alu instid0(VALU_DEP_2) | instskip(NEXT) | instid1(VALU_DEP_2)
	v_add_f32_e32 v1, v1, v14
	v_add_f32_e32 v13, v13, v20
	s_delay_alu instid0(VALU_DEP_2) | instskip(NEXT) | instid1(VALU_DEP_2)
	v_add_f32_e32 v1, v1, v16
	v_add_f32_e32 v13, v13, v137
	v_fmac_f32_e32 v159, v8, v3
	s_delay_alu instid0(VALU_DEP_3) | instskip(NEXT) | instid1(VALU_DEP_3)
	v_add_f32_e32 v1, v1, v17
	v_add_f32_e32 v18, v13, v138
	s_delay_alu instid0(VALU_DEP_2)
	v_add_f32_e32 v6, v1, v130
	scratch_load_b128 v[1:4], off, off offset:312
	v_add_f32_e32 v18, v18, v141
	v_add_f32_e32 v14, v6, v131
	ds_load_2addr_b64 v[5:8], v21 offset0:85 offset1:86
	v_add_f32_e32 v18, v18, v143
	v_add_f32_e32 v14, v14, v139
	s_delay_alu instid0(VALU_DEP_2) | instskip(NEXT) | instid1(VALU_DEP_2)
	v_add_f32_e32 v24, v18, v145
	v_add_f32_e32 v17, v14, v140
	ds_load_2addr_b64 v[13:16], v21 offset0:87 offset1:88
	v_add_f32_e32 v24, v24, v147
	s_delay_alu instid0(VALU_DEP_1)
	v_add_f32_e32 v24, v24, v149
	s_wait_loadcnt_dscnt 0x201
	v_mul_f32_e32 v22, v5, v10
	v_mul_f32_e32 v10, v6, v10
	;; [unrolled: 1-line block ×3, first 2 shown]
	v_dual_mul_f32 v12, v8, v12 :: v_dual_add_f32 v17, v17, v142
	s_delay_alu instid0(VALU_DEP_4) | instskip(NEXT) | instid1(VALU_DEP_4)
	v_fmac_f32_e32 v22, v6, v9
	v_fma_f32 v129, v5, v9, -v10
	s_delay_alu instid0(VALU_DEP_4) | instskip(NEXT) | instid1(VALU_DEP_4)
	v_fmac_f32_e32 v128, v8, v11
	v_fma_f32 v130, v7, v11, -v12
	s_clause 0x1
	scratch_load_b128 v[5:8], off, off offset:328
	scratch_load_b128 v[9:12], off, off offset:344
	v_dual_add_f32 v17, v17, v144 :: v_dual_add_f32 v24, v24, v151
	s_wait_loadcnt_dscnt 0x200
	s_delay_alu instid0(VALU_DEP_1) | instskip(NEXT) | instid1(VALU_DEP_1)
	v_dual_add_f32 v17, v17, v146 :: v_dual_mul_f32 v134, v15, v4
	v_add_f32_e32 v25, v17, v148
	scratch_load_b128 v[17:20], off, off offset:360
	v_mul_f32_e32 v131, v13, v2
	v_mul_f32_e32 v2, v14, v2
	v_dual_fmac_f32 v134, v16, v3 :: v_dual_add_f32 v25, v25, v150
	v_mul_f32_e32 v4, v16, v4
	s_delay_alu instid0(VALU_DEP_3) | instskip(SKIP_1) | instid1(VALU_DEP_4)
	v_fma_f32 v135, v13, v1, -v2
	v_add_f32_e32 v13, v24, v153
	v_add_f32_e32 v25, v25, v152
	s_delay_alu instid0(VALU_DEP_4) | instskip(NEXT) | instid1(VALU_DEP_3)
	v_fma_f32 v136, v15, v3, -v4
	v_add_f32_e32 v24, v13, v155
	s_delay_alu instid0(VALU_DEP_1) | instskip(NEXT) | instid1(VALU_DEP_1)
	v_add_f32_e32 v127, v24, v157
	v_add_f32_e32 v138, v127, v159
	s_delay_alu instid0(VALU_DEP_1) | instskip(NEXT) | instid1(VALU_DEP_1)
	v_add_f32_e32 v22, v138, v22
	v_dual_add_f32 v25, v25, v154 :: v_dual_add_f32 v22, v22, v128
	s_delay_alu instid0(VALU_DEP_1)
	v_dual_fmac_f32 v131, v14, v1 :: v_dual_add_f32 v14, v25, v156
	ds_load_2addr_b64 v[1:4], v21 offset0:89 offset1:90
	ds_load_2addr_b64 v[24:27], v21 offset0:93 offset1:94
	v_add_f32_e32 v22, v22, v131
	v_add_f32_e32 v126, v14, v158
	ds_load_2addr_b64 v[13:16], v21 offset0:91 offset1:92
	v_add_f32_e32 v22, v22, v134
	v_add_f32_e32 v137, v126, v160
	ds_load_b64 v[126:127], v21 offset:760
	s_wait_loadcnt_dscnt 0x203
	v_dual_add_f32 v129, v137, v129 :: v_dual_mul_f32 v128, v3, v8
	s_delay_alu instid0(VALU_DEP_1)
	v_add_f32_e32 v129, v129, v130
	v_dual_mul_f32 v137, v1, v6 :: v_dual_mul_f32 v8, v4, v8
	v_mul_f32_e32 v6, v2, v6
	s_wait_loadcnt_dscnt 0x101
	v_dual_mul_f32 v130, v13, v10 :: v_dual_mul_f32 v131, v15, v12
	v_add_f32_e32 v129, v129, v135
	v_dual_fmac_f32 v137, v2, v5 :: v_dual_fmac_f32 v128, v4, v7
	v_fma_f32 v1, v1, v5, -v6
	v_fma_f32 v2, v3, v7, -v8
	s_delay_alu instid0(VALU_DEP_3) | instskip(SKIP_2) | instid1(VALU_DEP_3)
	v_dual_add_f32 v129, v129, v136 :: v_dual_add_f32 v4, v22, v137
	v_dual_mul_f32 v5, v16, v12 :: v_dual_fmac_f32 v130, v14, v9
	v_mul_f32_e32 v3, v14, v10
	v_add_f32_e32 v1, v129, v1
	s_wait_dscnt 0x0
	v_dual_fmac_f32 v131, v16, v11 :: v_dual_mul_f32 v134, v126, v125
	v_fma_f32 v5, v15, v11, -v5
	s_delay_alu instid0(VALU_DEP_3) | instskip(SKIP_1) | instid1(VALU_DEP_4)
	v_dual_add_f32 v1, v1, v2 :: v_dual_add_f32 v2, v4, v128
	v_fma_f32 v3, v13, v9, -v3
	v_fmac_f32_e32 v134, v127, v124
	s_delay_alu instid0(VALU_DEP_2) | instskip(SKIP_1) | instid1(VALU_DEP_1)
	v_dual_add_f32 v2, v2, v130 :: v_dual_add_f32 v1, v1, v3
	s_wait_loadcnt 0x0
	v_dual_add_f32 v2, v2, v131 :: v_dual_mul_f32 v3, v27, v20
	v_mul_f32_e32 v135, v24, v18
	v_mul_f32_e32 v4, v25, v18
	v_mul_f32_e32 v136, v26, v20
	s_delay_alu instid0(VALU_DEP_4) | instskip(NEXT) | instid1(VALU_DEP_4)
	v_fma_f32 v3, v26, v19, -v3
	v_fmac_f32_e32 v135, v25, v17
	s_delay_alu instid0(VALU_DEP_4) | instskip(NEXT) | instid1(VALU_DEP_4)
	v_fma_f32 v4, v24, v17, -v4
	v_dual_fmac_f32 v136, v27, v19 :: v_dual_add_f32 v1, v1, v5
	s_delay_alu instid0(VALU_DEP_3) | instskip(NEXT) | instid1(VALU_DEP_1)
	v_dual_add_f32 v2, v2, v135 :: v_dual_mul_f32 v5, v127, v125
	v_add_f32_e32 v2, v2, v136
	s_delay_alu instid0(VALU_DEP_3) | instskip(NEXT) | instid1(VALU_DEP_3)
	v_add_f32_e32 v1, v1, v4
	v_fma_f32 v4, v126, v124, -v5
	s_delay_alu instid0(VALU_DEP_2) | instskip(NEXT) | instid1(VALU_DEP_1)
	v_dual_add_f32 v2, v2, v134 :: v_dual_add_f32 v1, v1, v3
	v_sub_f32_e32 v2, v133, v2
	s_delay_alu instid0(VALU_DEP_2) | instskip(NEXT) | instid1(VALU_DEP_1)
	v_add_f32_e32 v1, v1, v4
	v_sub_f32_e32 v1, v132, v1
	scratch_store_b64 off, v[1:2], off offset:96
	v_cmpx_lt_u32_e32 11, v0
	s_cbranch_execz .LBB47_279
; %bb.278:
	scratch_load_b64 v[1:2], off, off offset:88
	v_mov_b32_e32 v22, v21
	scratch_store_b64 off, v[21:22], off offset:88
	s_wait_loadcnt 0x0
	ds_store_b64 v23, v[1:2]
.LBB47_279:
	s_wait_alu 0xfffe
	s_or_b32 exec_lo, exec_lo, s0
	s_wait_storecnt_dscnt 0x0
	s_barrier_signal -1
	s_barrier_wait -1
	global_inv scope:SCOPE_SE
	s_clause 0x4
	scratch_load_b128 v[5:8], off, off offset:96
	scratch_load_b128 v[1:4], off, off offset:112
	;; [unrolled: 1-line block ×5, first 2 shown]
	ds_load_b128 v[24:27], v21 offset:480
	ds_load_b128 v[124:127], v21 offset:496
	;; [unrolled: 1-line block ×3, first 2 shown]
	scratch_load_b64 v[132:133], off, off offset:88
	s_mov_b32 s0, exec_lo
	s_wait_loadcnt_dscnt 0x502
	v_dual_mul_f32 v22, v25, v6 :: v_dual_mul_f32 v135, v26, v8
	v_mul_f32_e32 v134, v24, v6
	v_mul_f32_e32 v6, v27, v8
	s_wait_loadcnt_dscnt 0x300
	v_mul_f32_e32 v136, v130, v12
	v_fma_f32 v22, v24, v5, -v22
	v_dual_fmac_f32 v135, v27, v7 :: v_dual_fmac_f32 v134, v25, v5
	v_mul_f32_e32 v27, v128, v10
	v_mul_f32_e32 v25, v124, v2
	v_fma_f32 v24, v26, v7, -v6
	ds_load_b128 v[5:8], v21 offset:528
	v_mul_f32_e32 v26, v126, v4
	v_dual_mul_f32 v4, v127, v4 :: v_dual_fmac_f32 v27, v129, v9
	v_mul_f32_e32 v10, v129, v10
	v_mul_f32_e32 v12, v131, v12
	;; [unrolled: 1-line block ×3, first 2 shown]
	v_dual_fmac_f32 v25, v125, v1 :: v_dual_fmac_f32 v26, v127, v3
	v_fma_f32 v125, v126, v3, -v4
	v_fma_f32 v126, v128, v9, -v10
	v_fmac_f32_e32 v136, v131, v11
	v_fma_f32 v127, v130, v11, -v12
	ds_load_b128 v[9:12], v21 offset:544
	s_wait_loadcnt_dscnt 0x201
	v_mul_f32_e32 v129, v7, v16
	v_fma_f32 v124, v124, v1, -v2
	scratch_load_b128 v[1:4], off, off offset:176
	v_mul_f32_e32 v128, v5, v14
	v_mul_f32_e32 v14, v6, v14
	;; [unrolled: 1-line block ×3, first 2 shown]
	s_delay_alu instid0(VALU_DEP_3) | instskip(NEXT) | instid1(VALU_DEP_3)
	v_dual_fmac_f32 v129, v8, v15 :: v_dual_fmac_f32 v128, v6, v13
	v_fma_f32 v13, v5, v13, -v14
	s_delay_alu instid0(VALU_DEP_3)
	v_fma_f32 v14, v7, v15, -v16
	ds_load_b128 v[5:8], v21 offset:560
	s_wait_loadcnt_dscnt 0x201
	v_mul_f32_e32 v15, v9, v18
	v_mul_f32_e32 v16, v10, v18
	;; [unrolled: 1-line block ×3, first 2 shown]
	s_delay_alu instid0(VALU_DEP_3) | instskip(NEXT) | instid1(VALU_DEP_3)
	v_dual_mul_f32 v20, v12, v20 :: v_dual_fmac_f32 v15, v10, v17
	v_fma_f32 v16, v9, v17, -v16
	s_delay_alu instid0(VALU_DEP_3) | instskip(NEXT) | instid1(VALU_DEP_3)
	v_fmac_f32_e32 v18, v12, v19
	v_fma_f32 v17, v11, v19, -v20
	scratch_load_b128 v[9:12], off, off offset:192
	s_wait_loadcnt_dscnt 0x100
	v_mul_f32_e32 v19, v5, v2
	v_mul_f32_e32 v2, v6, v2
	;; [unrolled: 1-line block ×3, first 2 shown]
	s_delay_alu instid0(VALU_DEP_3) | instskip(NEXT) | instid1(VALU_DEP_3)
	v_dual_mul_f32 v4, v8, v4 :: v_dual_fmac_f32 v19, v6, v1
	v_fma_f32 v130, v5, v1, -v2
	s_delay_alu instid0(VALU_DEP_3) | instskip(NEXT) | instid1(VALU_DEP_3)
	v_fmac_f32_e32 v20, v8, v3
	v_fma_f32 v131, v7, v3, -v4
	ds_load_b128 v[1:4], v21 offset:576
	ds_load_b128 v[5:8], v21 offset:592
	s_wait_loadcnt_dscnt 0x1
	v_mul_f32_e32 v137, v1, v10
	v_mul_f32_e32 v10, v2, v10
	s_delay_alu instid0(VALU_DEP_2) | instskip(NEXT) | instid1(VALU_DEP_2)
	v_dual_mul_f32 v138, v3, v12 :: v_dual_fmac_f32 v137, v2, v9
	v_fma_f32 v139, v1, v9, -v10
	v_mul_f32_e32 v1, v4, v12
	s_delay_alu instid0(VALU_DEP_3) | instskip(NEXT) | instid1(VALU_DEP_2)
	v_fmac_f32_e32 v138, v4, v11
	v_fma_f32 v140, v3, v11, -v1
	s_clause 0x1
	scratch_load_b128 v[1:4], off, off offset:208
	scratch_load_b128 v[9:12], off, off offset:224
	s_wait_loadcnt_dscnt 0x100
	v_mul_f32_e32 v141, v5, v2
	v_dual_mul_f32 v2, v6, v2 :: v_dual_mul_f32 v143, v7, v4
	s_delay_alu instid0(VALU_DEP_2) | instskip(NEXT) | instid1(VALU_DEP_2)
	v_fmac_f32_e32 v141, v6, v1
	v_fma_f32 v142, v5, v1, -v2
	v_mul_f32_e32 v1, v8, v4
	s_delay_alu instid0(VALU_DEP_4) | instskip(NEXT) | instid1(VALU_DEP_2)
	v_fmac_f32_e32 v143, v8, v3
	v_fma_f32 v144, v7, v3, -v1
	ds_load_b128 v[1:4], v21 offset:608
	ds_load_b128 v[5:8], v21 offset:624
	s_wait_loadcnt_dscnt 0x1
	v_mul_f32_e32 v145, v1, v10
	v_mul_f32_e32 v147, v3, v12
	s_delay_alu instid0(VALU_DEP_2) | instskip(NEXT) | instid1(VALU_DEP_2)
	v_fmac_f32_e32 v145, v2, v9
	v_dual_mul_f32 v2, v2, v10 :: v_dual_fmac_f32 v147, v4, v11
	s_delay_alu instid0(VALU_DEP_1) | instskip(SKIP_1) | instid1(VALU_DEP_1)
	v_fma_f32 v146, v1, v9, -v2
	v_mul_f32_e32 v1, v4, v12
	v_fma_f32 v148, v3, v11, -v1
	s_clause 0x1
	scratch_load_b128 v[1:4], off, off offset:240
	scratch_load_b128 v[9:12], off, off offset:256
	s_wait_loadcnt_dscnt 0x100
	v_mul_f32_e32 v149, v5, v2
	v_dual_mul_f32 v2, v6, v2 :: v_dual_mul_f32 v151, v7, v4
	s_delay_alu instid0(VALU_DEP_2) | instskip(NEXT) | instid1(VALU_DEP_2)
	v_fmac_f32_e32 v149, v6, v1
	v_fma_f32 v150, v5, v1, -v2
	v_mul_f32_e32 v1, v8, v4
	s_delay_alu instid0(VALU_DEP_4) | instskip(NEXT) | instid1(VALU_DEP_2)
	v_fmac_f32_e32 v151, v8, v3
	v_fma_f32 v152, v7, v3, -v1
	ds_load_b128 v[1:4], v21 offset:640
	ds_load_b128 v[5:8], v21 offset:656
	s_wait_loadcnt_dscnt 0x1
	v_mul_f32_e32 v153, v1, v10
	v_mul_f32_e32 v155, v3, v12
	s_delay_alu instid0(VALU_DEP_2) | instskip(NEXT) | instid1(VALU_DEP_2)
	v_fmac_f32_e32 v153, v2, v9
	v_dual_mul_f32 v2, v2, v10 :: v_dual_fmac_f32 v155, v4, v11
	s_delay_alu instid0(VALU_DEP_1) | instskip(SKIP_1) | instid1(VALU_DEP_1)
	v_fma_f32 v154, v1, v9, -v2
	v_mul_f32_e32 v1, v4, v12
	;; [unrolled: 25-line block ×3, first 2 shown]
	v_fma_f32 v164, v3, v11, -v1
	s_clause 0x1
	scratch_load_b128 v[1:4], off, off offset:304
	scratch_load_b128 v[9:12], off, off offset:320
	s_wait_loadcnt_dscnt 0x100
	v_mul_f32_e32 v165, v5, v2
	v_mul_f32_e32 v2, v6, v2
	s_delay_alu instid0(VALU_DEP_1) | instskip(SKIP_1) | instid1(VALU_DEP_1)
	v_fma_f32 v166, v5, v1, -v2
	v_add_f32_e32 v2, 0, v134
	v_add_f32_e32 v2, v2, v135
	s_delay_alu instid0(VALU_DEP_1) | instskip(NEXT) | instid1(VALU_DEP_1)
	v_add_f32_e32 v2, v2, v25
	v_add_f32_e32 v2, v2, v26
	s_delay_alu instid0(VALU_DEP_1) | instskip(NEXT) | instid1(VALU_DEP_1)
	;; [unrolled: 3-line block ×4, first 2 shown]
	v_dual_add_f32 v2, v2, v15 :: v_dual_mul_f32 v167, v7, v4
	v_add_f32_e32 v2, v2, v18
	s_delay_alu instid0(VALU_DEP_1) | instskip(SKIP_2) | instid1(VALU_DEP_3)
	v_add_f32_e32 v2, v2, v19
	v_fmac_f32_e32 v165, v6, v1
	v_mul_f32_e32 v1, v8, v4
	v_dual_fmac_f32 v167, v8, v3 :: v_dual_add_f32 v2, v2, v20
	s_delay_alu instid0(VALU_DEP_2) | instskip(SKIP_1) | instid1(VALU_DEP_3)
	v_fma_f32 v168, v7, v3, -v1
	v_add_f32_e32 v1, 0, v22
	v_add_f32_e32 v5, v2, v137
	s_delay_alu instid0(VALU_DEP_2) | instskip(NEXT) | instid1(VALU_DEP_2)
	v_add_f32_e32 v1, v1, v24
	v_add_f32_e32 v5, v5, v138
	s_delay_alu instid0(VALU_DEP_2) | instskip(NEXT) | instid1(VALU_DEP_2)
	v_add_f32_e32 v1, v1, v124
	v_add_f32_e32 v5, v5, v141
	s_delay_alu instid0(VALU_DEP_2) | instskip(NEXT) | instid1(VALU_DEP_1)
	v_add_f32_e32 v1, v1, v125
	v_add_f32_e32 v1, v1, v126
	s_delay_alu instid0(VALU_DEP_1) | instskip(NEXT) | instid1(VALU_DEP_1)
	v_add_f32_e32 v1, v1, v127
	v_add_f32_e32 v1, v1, v13
	s_delay_alu instid0(VALU_DEP_1) | instskip(SKIP_1) | instid1(VALU_DEP_1)
	v_add_f32_e32 v1, v1, v14
	v_add_f32_e32 v14, v5, v143
	;; [unrolled: 1-line block ×3, first 2 shown]
	s_delay_alu instid0(VALU_DEP_1) | instskip(NEXT) | instid1(VALU_DEP_1)
	v_dual_add_f32 v14, v14, v147 :: v_dual_add_f32 v1, v1, v16
	v_add_f32_e32 v1, v1, v17
	s_delay_alu instid0(VALU_DEP_2) | instskip(NEXT) | instid1(VALU_DEP_2)
	v_add_f32_e32 v17, v14, v149
	v_add_f32_e32 v1, v1, v130
	s_delay_alu instid0(VALU_DEP_2) | instskip(NEXT) | instid1(VALU_DEP_2)
	v_add_f32_e32 v17, v17, v151
	;; [unrolled: 3-line block ×4, first 2 shown]
	v_add_f32_e32 v6, v1, v140
	ds_load_b128 v[1:4], v21 offset:704
	v_dual_add_f32 v25, v17, v157 :: v_dual_add_f32 v6, v6, v142
	s_delay_alu instid0(VALU_DEP_1)
	v_dual_add_f32 v128, v25, v159 :: v_dual_add_f32 v13, v6, v144
	ds_load_b128 v[5:8], v21 offset:720
	s_wait_loadcnt_dscnt 0x1
	v_mul_f32_e32 v22, v1, v10
	v_mul_f32_e32 v124, v3, v12
	;; [unrolled: 1-line block ×4, first 2 shown]
	s_delay_alu instid0(VALU_DEP_4) | instskip(NEXT) | instid1(VALU_DEP_4)
	v_fmac_f32_e32 v22, v2, v9
	v_fmac_f32_e32 v124, v4, v11
	s_delay_alu instid0(VALU_DEP_4) | instskip(NEXT) | instid1(VALU_DEP_4)
	v_fma_f32 v125, v1, v9, -v10
	v_fma_f32 v126, v3, v11, -v12
	s_clause 0x1
	scratch_load_b128 v[1:4], off, off offset:336
	scratch_load_b128 v[9:12], off, off offset:352
	v_add_f32_e32 v13, v13, v146
	s_delay_alu instid0(VALU_DEP_1) | instskip(NEXT) | instid1(VALU_DEP_1)
	v_add_f32_e32 v13, v13, v148
	v_add_f32_e32 v13, v13, v150
	s_delay_alu instid0(VALU_DEP_1) | instskip(SKIP_2) | instid1(VALU_DEP_1)
	v_add_f32_e32 v18, v13, v152
	scratch_load_b128 v[13:16], off, off offset:368
	v_add_f32_e32 v18, v18, v154
	v_add_f32_e32 v18, v18, v156
	s_delay_alu instid0(VALU_DEP_1)
	v_add_f32_e32 v24, v18, v158
	ds_load_b128 v[17:20], v21 offset:736
	v_add_f32_e32 v127, v24, v160
	ds_load_b128 v[24:27], v21 offset:752
	s_wait_loadcnt_dscnt 0x101
	v_dual_mul_f32 v129, v7, v4 :: v_dual_mul_f32 v130, v17, v10
	v_add_f32_e32 v21, v127, v162
	v_dual_add_f32 v127, v128, v161 :: v_dual_mul_f32 v128, v5, v2
	v_mul_f32_e32 v2, v6, v2
	v_mul_f32_e32 v4, v8, v4
	s_delay_alu instid0(VALU_DEP_4) | instskip(NEXT) | instid1(VALU_DEP_4)
	v_add_f32_e32 v21, v21, v164
	v_dual_fmac_f32 v129, v8, v3 :: v_dual_fmac_f32 v128, v6, v1
	s_delay_alu instid0(VALU_DEP_4) | instskip(SKIP_1) | instid1(VALU_DEP_4)
	v_fma_f32 v2, v5, v1, -v2
	v_mul_f32_e32 v6, v18, v10
	v_add_f32_e32 v21, v21, v166
	v_fma_f32 v3, v7, v3, -v4
	v_mul_f32_e32 v131, v19, v12
	v_mul_f32_e32 v4, v20, v12
	s_delay_alu instid0(VALU_DEP_4)
	v_dual_fmac_f32 v130, v18, v9 :: v_dual_add_f32 v21, v21, v168
	s_wait_loadcnt_dscnt 0x0
	v_dual_mul_f32 v134, v24, v14 :: v_dual_add_f32 v127, v127, v163
	v_fmac_f32_e32 v131, v20, v11
	v_fma_f32 v4, v19, v11, -v4
	v_add_f32_e32 v21, v21, v125
	s_delay_alu instid0(VALU_DEP_4) | instskip(SKIP_2) | instid1(VALU_DEP_4)
	v_fmac_f32_e32 v134, v25, v13
	v_add_f32_e32 v127, v127, v165
	v_mul_f32_e32 v125, v26, v16
	v_add_f32_e32 v1, v21, v126
	s_delay_alu instid0(VALU_DEP_3) | instskip(NEXT) | instid1(VALU_DEP_3)
	v_add_f32_e32 v127, v127, v167
	v_fmac_f32_e32 v125, v27, v15
	s_delay_alu instid0(VALU_DEP_3) | instskip(NEXT) | instid1(VALU_DEP_1)
	v_add_f32_e32 v1, v1, v2
	v_dual_add_f32 v22, v127, v22 :: v_dual_add_f32 v1, v1, v3
	v_mul_f32_e32 v3, v25, v14
	s_delay_alu instid0(VALU_DEP_2) | instskip(NEXT) | instid1(VALU_DEP_2)
	v_add_f32_e32 v5, v22, v124
	v_fma_f32 v3, v24, v13, -v3
	s_delay_alu instid0(VALU_DEP_2) | instskip(SKIP_1) | instid1(VALU_DEP_2)
	v_add_f32_e32 v2, v5, v128
	v_fma_f32 v5, v17, v9, -v6
	v_add_f32_e32 v2, v2, v129
	s_delay_alu instid0(VALU_DEP_2) | instskip(NEXT) | instid1(VALU_DEP_2)
	v_add_f32_e32 v1, v1, v5
	v_dual_mul_f32 v5, v27, v16 :: v_dual_add_f32 v2, v2, v130
	s_delay_alu instid0(VALU_DEP_2) | instskip(NEXT) | instid1(VALU_DEP_2)
	v_add_f32_e32 v1, v1, v4
	v_fma_f32 v4, v26, v15, -v5
	s_delay_alu instid0(VALU_DEP_3) | instskip(NEXT) | instid1(VALU_DEP_1)
	v_add_f32_e32 v2, v2, v131
	v_dual_add_f32 v1, v1, v3 :: v_dual_add_f32 v2, v2, v134
	s_delay_alu instid0(VALU_DEP_1) | instskip(NEXT) | instid1(VALU_DEP_1)
	v_dual_add_f32 v1, v1, v4 :: v_dual_add_f32 v2, v2, v125
	v_dual_sub_f32 v1, v132, v1 :: v_dual_sub_f32 v2, v133, v2
	scratch_store_b64 off, v[1:2], off offset:88
	v_cmpx_lt_u32_e32 10, v0
	s_cbranch_execz .LBB47_281
; %bb.280:
	scratch_load_b64 v[1:2], off, off offset:80
	v_mov_b32_e32 v3, 0
	s_delay_alu instid0(VALU_DEP_1)
	v_mov_b32_e32 v4, v3
	scratch_store_b64 off, v[3:4], off offset:80
	s_wait_loadcnt 0x0
	ds_store_b64 v23, v[1:2]
.LBB47_281:
	s_wait_alu 0xfffe
	s_or_b32 exec_lo, exec_lo, s0
	s_wait_storecnt_dscnt 0x0
	s_barrier_signal -1
	s_barrier_wait -1
	global_inv scope:SCOPE_SE
	s_clause 0x4
	scratch_load_b128 v[5:8], off, off offset:88
	scratch_load_b128 v[1:4], off, off offset:104
	;; [unrolled: 1-line block ×5, first 2 shown]
	v_mov_b32_e32 v21, 0
	ds_load_2addr_b64 v[24:27], v21 offset0:59 offset1:60
	ds_load_2addr_b64 v[124:127], v21 offset0:61 offset1:62
	;; [unrolled: 1-line block ×3, first 2 shown]
	scratch_load_b64 v[132:133], off, off offset:80
	s_mov_b32 s0, exec_lo
	s_wait_loadcnt_dscnt 0x502
	v_mul_f32_e32 v22, v25, v6
	v_dual_mul_f32 v134, v24, v6 :: v_dual_mul_f32 v135, v26, v8
	v_mul_f32_e32 v6, v27, v8
	s_delay_alu instid0(VALU_DEP_3) | instskip(NEXT) | instid1(VALU_DEP_3)
	v_fma_f32 v22, v24, v5, -v22
	v_dual_fmac_f32 v134, v25, v5 :: v_dual_fmac_f32 v135, v27, v7
	s_wait_loadcnt_dscnt 0x401
	v_mul_f32_e32 v25, v124, v2
	v_fma_f32 v24, v26, v7, -v6
	ds_load_2addr_b64 v[5:8], v21 offset0:65 offset1:66
	s_wait_loadcnt_dscnt 0x301
	v_dual_mul_f32 v26, v126, v4 :: v_dual_mul_f32 v27, v128, v10
	v_dual_mul_f32 v4, v127, v4 :: v_dual_fmac_f32 v25, v125, v1
	v_mul_f32_e32 v10, v129, v10
	s_delay_alu instid0(VALU_DEP_3)
	v_dual_mul_f32 v136, v130, v12 :: v_dual_fmac_f32 v27, v129, v9
	v_mul_f32_e32 v12, v131, v12
	v_mul_f32_e32 v2, v125, v2
	v_fmac_f32_e32 v26, v127, v3
	v_fma_f32 v125, v126, v3, -v4
	v_fma_f32 v126, v128, v9, -v10
	v_fmac_f32_e32 v136, v131, v11
	v_fma_f32 v127, v130, v11, -v12
	ds_load_2addr_b64 v[9:12], v21 offset0:67 offset1:68
	s_wait_loadcnt_dscnt 0x201
	v_mul_f32_e32 v129, v7, v16
	v_fma_f32 v124, v124, v1, -v2
	scratch_load_b128 v[1:4], off, off offset:168
	v_mul_f32_e32 v128, v5, v14
	v_mul_f32_e32 v14, v6, v14
	;; [unrolled: 1-line block ×3, first 2 shown]
	s_delay_alu instid0(VALU_DEP_3) | instskip(NEXT) | instid1(VALU_DEP_3)
	v_dual_fmac_f32 v129, v8, v15 :: v_dual_fmac_f32 v128, v6, v13
	v_fma_f32 v13, v5, v13, -v14
	s_delay_alu instid0(VALU_DEP_3)
	v_fma_f32 v14, v7, v15, -v16
	ds_load_2addr_b64 v[5:8], v21 offset0:69 offset1:70
	s_wait_loadcnt_dscnt 0x201
	v_mul_f32_e32 v15, v9, v18
	v_mul_f32_e32 v16, v10, v18
	;; [unrolled: 1-line block ×3, first 2 shown]
	s_delay_alu instid0(VALU_DEP_3) | instskip(NEXT) | instid1(VALU_DEP_3)
	v_dual_mul_f32 v20, v12, v20 :: v_dual_fmac_f32 v15, v10, v17
	v_fma_f32 v16, v9, v17, -v16
	s_delay_alu instid0(VALU_DEP_3) | instskip(NEXT) | instid1(VALU_DEP_3)
	v_fmac_f32_e32 v18, v12, v19
	v_fma_f32 v17, v11, v19, -v20
	scratch_load_b128 v[9:12], off, off offset:184
	s_wait_loadcnt_dscnt 0x100
	v_mul_f32_e32 v19, v5, v2
	v_mul_f32_e32 v2, v6, v2
	;; [unrolled: 1-line block ×3, first 2 shown]
	s_delay_alu instid0(VALU_DEP_3) | instskip(NEXT) | instid1(VALU_DEP_3)
	v_dual_mul_f32 v4, v8, v4 :: v_dual_fmac_f32 v19, v6, v1
	v_fma_f32 v130, v5, v1, -v2
	s_delay_alu instid0(VALU_DEP_3) | instskip(NEXT) | instid1(VALU_DEP_3)
	v_fmac_f32_e32 v20, v8, v3
	v_fma_f32 v131, v7, v3, -v4
	ds_load_2addr_b64 v[1:4], v21 offset0:71 offset1:72
	ds_load_2addr_b64 v[5:8], v21 offset0:73 offset1:74
	s_wait_loadcnt_dscnt 0x1
	v_mul_f32_e32 v137, v1, v10
	v_mul_f32_e32 v10, v2, v10
	s_delay_alu instid0(VALU_DEP_2) | instskip(NEXT) | instid1(VALU_DEP_2)
	v_dual_mul_f32 v138, v3, v12 :: v_dual_fmac_f32 v137, v2, v9
	v_fma_f32 v139, v1, v9, -v10
	v_mul_f32_e32 v1, v4, v12
	s_delay_alu instid0(VALU_DEP_3) | instskip(NEXT) | instid1(VALU_DEP_2)
	v_fmac_f32_e32 v138, v4, v11
	v_fma_f32 v140, v3, v11, -v1
	s_clause 0x1
	scratch_load_b128 v[1:4], off, off offset:200
	scratch_load_b128 v[9:12], off, off offset:216
	s_wait_loadcnt_dscnt 0x100
	v_mul_f32_e32 v141, v5, v2
	v_dual_mul_f32 v2, v6, v2 :: v_dual_mul_f32 v143, v7, v4
	s_delay_alu instid0(VALU_DEP_2) | instskip(NEXT) | instid1(VALU_DEP_2)
	v_fmac_f32_e32 v141, v6, v1
	v_fma_f32 v142, v5, v1, -v2
	v_mul_f32_e32 v1, v8, v4
	s_delay_alu instid0(VALU_DEP_4) | instskip(NEXT) | instid1(VALU_DEP_2)
	v_fmac_f32_e32 v143, v8, v3
	v_fma_f32 v144, v7, v3, -v1
	ds_load_2addr_b64 v[1:4], v21 offset0:75 offset1:76
	ds_load_2addr_b64 v[5:8], v21 offset0:77 offset1:78
	s_wait_loadcnt_dscnt 0x1
	v_mul_f32_e32 v145, v1, v10
	v_mul_f32_e32 v147, v3, v12
	s_delay_alu instid0(VALU_DEP_2) | instskip(NEXT) | instid1(VALU_DEP_2)
	v_fmac_f32_e32 v145, v2, v9
	v_dual_mul_f32 v2, v2, v10 :: v_dual_fmac_f32 v147, v4, v11
	s_delay_alu instid0(VALU_DEP_1) | instskip(SKIP_1) | instid1(VALU_DEP_1)
	v_fma_f32 v146, v1, v9, -v2
	v_mul_f32_e32 v1, v4, v12
	v_fma_f32 v148, v3, v11, -v1
	s_clause 0x1
	scratch_load_b128 v[1:4], off, off offset:232
	scratch_load_b128 v[9:12], off, off offset:248
	s_wait_loadcnt_dscnt 0x100
	v_mul_f32_e32 v149, v5, v2
	v_dual_mul_f32 v151, v7, v4 :: v_dual_mul_f32 v2, v6, v2
	s_delay_alu instid0(VALU_DEP_2) | instskip(NEXT) | instid1(VALU_DEP_2)
	v_fmac_f32_e32 v149, v6, v1
	v_fmac_f32_e32 v151, v8, v3
	s_delay_alu instid0(VALU_DEP_3) | instskip(SKIP_1) | instid1(VALU_DEP_1)
	v_fma_f32 v150, v5, v1, -v2
	v_mul_f32_e32 v1, v8, v4
	v_fma_f32 v152, v7, v3, -v1
	ds_load_2addr_b64 v[1:4], v21 offset0:79 offset1:80
	ds_load_2addr_b64 v[5:8], v21 offset0:81 offset1:82
	s_wait_loadcnt_dscnt 0x1
	v_mul_f32_e32 v153, v1, v10
	v_mul_f32_e32 v155, v3, v12
	s_delay_alu instid0(VALU_DEP_2) | instskip(NEXT) | instid1(VALU_DEP_2)
	v_fmac_f32_e32 v153, v2, v9
	v_dual_mul_f32 v2, v2, v10 :: v_dual_fmac_f32 v155, v4, v11
	s_delay_alu instid0(VALU_DEP_1) | instskip(SKIP_1) | instid1(VALU_DEP_1)
	v_fma_f32 v154, v1, v9, -v2
	v_mul_f32_e32 v1, v4, v12
	v_fma_f32 v156, v3, v11, -v1
	s_clause 0x1
	scratch_load_b128 v[1:4], off, off offset:264
	scratch_load_b128 v[9:12], off, off offset:280
	s_wait_loadcnt_dscnt 0x100
	v_mul_f32_e32 v157, v5, v2
	v_dual_mul_f32 v2, v6, v2 :: v_dual_mul_f32 v159, v7, v4
	s_delay_alu instid0(VALU_DEP_2) | instskip(NEXT) | instid1(VALU_DEP_2)
	v_fmac_f32_e32 v157, v6, v1
	v_fma_f32 v158, v5, v1, -v2
	v_mul_f32_e32 v1, v8, v4
	s_delay_alu instid0(VALU_DEP_4) | instskip(NEXT) | instid1(VALU_DEP_2)
	v_fmac_f32_e32 v159, v8, v3
	v_fma_f32 v160, v7, v3, -v1
	ds_load_2addr_b64 v[1:4], v21 offset0:83 offset1:84
	ds_load_2addr_b64 v[5:8], v21 offset0:85 offset1:86
	s_wait_loadcnt_dscnt 0x1
	v_mul_f32_e32 v161, v1, v10
	v_mul_f32_e32 v163, v3, v12
	s_delay_alu instid0(VALU_DEP_2) | instskip(NEXT) | instid1(VALU_DEP_2)
	v_fmac_f32_e32 v161, v2, v9
	v_dual_mul_f32 v2, v2, v10 :: v_dual_fmac_f32 v163, v4, v11
	s_delay_alu instid0(VALU_DEP_1) | instskip(SKIP_1) | instid1(VALU_DEP_1)
	v_fma_f32 v162, v1, v9, -v2
	v_mul_f32_e32 v1, v4, v12
	v_fma_f32 v164, v3, v11, -v1
	s_clause 0x1
	scratch_load_b128 v[1:4], off, off offset:296
	scratch_load_b128 v[9:12], off, off offset:312
	s_wait_loadcnt_dscnt 0x100
	v_mul_f32_e32 v165, v5, v2
	v_mul_f32_e32 v2, v6, v2
	s_delay_alu instid0(VALU_DEP_1) | instskip(SKIP_1) | instid1(VALU_DEP_1)
	v_fma_f32 v166, v5, v1, -v2
	v_add_f32_e32 v2, 0, v134
	v_add_f32_e32 v2, v2, v135
	s_delay_alu instid0(VALU_DEP_1) | instskip(NEXT) | instid1(VALU_DEP_1)
	v_add_f32_e32 v2, v2, v25
	v_add_f32_e32 v2, v2, v26
	s_delay_alu instid0(VALU_DEP_1) | instskip(NEXT) | instid1(VALU_DEP_1)
	v_add_f32_e32 v2, v2, v27
	v_add_f32_e32 v2, v2, v136
	s_delay_alu instid0(VALU_DEP_1) | instskip(NEXT) | instid1(VALU_DEP_1)
	v_add_f32_e32 v2, v2, v128
	v_add_f32_e32 v2, v2, v129
	s_delay_alu instid0(VALU_DEP_1) | instskip(NEXT) | instid1(VALU_DEP_1)
	v_add_f32_e32 v2, v2, v15
	v_add_f32_e32 v2, v2, v18
	s_delay_alu instid0(VALU_DEP_1) | instskip(SKIP_2) | instid1(VALU_DEP_3)
	v_add_f32_e32 v2, v2, v19
	v_fmac_f32_e32 v165, v6, v1
	v_mul_f32_e32 v1, v8, v4
	v_add_f32_e32 v2, v2, v20
	s_delay_alu instid0(VALU_DEP_2) | instskip(SKIP_1) | instid1(VALU_DEP_1)
	v_fma_f32 v168, v7, v3, -v1
	v_add_f32_e32 v1, 0, v22
	v_add_f32_e32 v1, v1, v24
	s_delay_alu instid0(VALU_DEP_1) | instskip(NEXT) | instid1(VALU_DEP_1)
	v_add_f32_e32 v1, v1, v124
	v_add_f32_e32 v1, v1, v125
	scratch_load_b64 v[124:125], off, off offset:376
	v_add_f32_e32 v1, v1, v126
	s_delay_alu instid0(VALU_DEP_1) | instskip(NEXT) | instid1(VALU_DEP_1)
	v_add_f32_e32 v1, v1, v127
	v_add_f32_e32 v1, v1, v13
	s_delay_alu instid0(VALU_DEP_1) | instskip(NEXT) | instid1(VALU_DEP_1)
	v_add_f32_e32 v1, v1, v14
	v_add_f32_e32 v1, v1, v16
	s_delay_alu instid0(VALU_DEP_1) | instskip(NEXT) | instid1(VALU_DEP_1)
	v_add_f32_e32 v1, v1, v17
	v_add_f32_e32 v1, v1, v130
	s_delay_alu instid0(VALU_DEP_1) | instskip(NEXT) | instid1(VALU_DEP_1)
	v_add_f32_e32 v1, v1, v131
	v_add_f32_e32 v1, v1, v139
	s_delay_alu instid0(VALU_DEP_1) | instskip(NEXT) | instid1(VALU_DEP_1)
	v_add_f32_e32 v6, v1, v140
	v_dual_mul_f32 v167, v7, v4 :: v_dual_add_f32 v6, v6, v142
	s_delay_alu instid0(VALU_DEP_1) | instskip(NEXT) | instid1(VALU_DEP_2)
	v_fmac_f32_e32 v167, v8, v3
	v_add_f32_e32 v13, v6, v144
	s_delay_alu instid0(VALU_DEP_1) | instskip(NEXT) | instid1(VALU_DEP_1)
	v_add_f32_e32 v13, v13, v146
	v_add_f32_e32 v13, v13, v148
	s_delay_alu instid0(VALU_DEP_1) | instskip(SKIP_4) | instid1(VALU_DEP_1)
	v_add_f32_e32 v13, v13, v150
	v_add_f32_e32 v5, v2, v137
	ds_load_2addr_b64 v[1:4], v21 offset0:87 offset1:88
	v_add_f32_e32 v18, v13, v152
	v_add_f32_e32 v5, v5, v138
	v_dual_add_f32 v18, v18, v154 :: v_dual_add_f32 v5, v5, v141
	s_delay_alu instid0(VALU_DEP_1) | instskip(NEXT) | instid1(VALU_DEP_2)
	v_add_f32_e32 v18, v18, v156
	v_add_f32_e32 v14, v5, v143
	ds_load_2addr_b64 v[5:8], v21 offset0:89 offset1:90
	v_add_f32_e32 v18, v18, v158
	v_add_f32_e32 v14, v14, v145
	s_wait_loadcnt_dscnt 0x101
	v_mul_f32_e32 v22, v1, v10
	v_mul_f32_e32 v10, v2, v10
	;; [unrolled: 1-line block ×4, first 2 shown]
	v_add_f32_e32 v14, v14, v147
	v_fmac_f32_e32 v22, v2, v9
	v_fma_f32 v129, v1, v9, -v10
	v_fmac_f32_e32 v128, v4, v11
	v_fma_f32 v130, v3, v11, -v12
	s_clause 0x1
	scratch_load_b128 v[1:4], off, off offset:328
	scratch_load_b128 v[9:12], off, off offset:344
	v_add_f32_e32 v17, v14, v149
	scratch_load_b128 v[13:16], off, off offset:360
	v_dual_add_f32 v18, v18, v160 :: v_dual_add_f32 v17, v17, v151
	s_delay_alu instid0(VALU_DEP_1) | instskip(NEXT) | instid1(VALU_DEP_1)
	v_dual_add_f32 v126, v18, v162 :: v_dual_add_f32 v17, v17, v153
	v_add_f32_e32 v131, v126, v164
	s_wait_loadcnt_dscnt 0x200
	s_delay_alu instid0(VALU_DEP_2) | instskip(NEXT) | instid1(VALU_DEP_1)
	v_dual_add_f32 v17, v17, v155 :: v_dual_mul_f32 v136, v7, v4
	v_dual_add_f32 v17, v17, v157 :: v_dual_mul_f32 v4, v8, v4
	s_delay_alu instid0(VALU_DEP_2) | instskip(NEXT) | instid1(VALU_DEP_2)
	v_dual_fmac_f32 v136, v8, v3 :: v_dual_mul_f32 v135, v5, v2
	v_add_f32_e32 v24, v17, v159
	ds_load_2addr_b64 v[17:20], v21 offset0:91 offset1:92
	v_mul_f32_e32 v2, v6, v2
	v_fmac_f32_e32 v135, v6, v1
	v_add_f32_e32 v131, v131, v166
	s_delay_alu instid0(VALU_DEP_3) | instskip(SKIP_1) | instid1(VALU_DEP_3)
	v_fma_f32 v2, v5, v1, -v2
	v_fma_f32 v1, v7, v3, -v4
	v_add_f32_e32 v131, v131, v168
	s_delay_alu instid0(VALU_DEP_1) | instskip(NEXT) | instid1(VALU_DEP_1)
	v_add_f32_e32 v129, v131, v129
	v_add_f32_e32 v129, v129, v130
	;; [unrolled: 1-line block ×3, first 2 shown]
	ds_load_2addr_b64 v[24:27], v21 offset0:93 offset1:94
	s_wait_loadcnt_dscnt 0x101
	v_mul_f32_e32 v3, v18, v10
	v_add_f32_e32 v2, v129, v2
	v_add_f32_e32 v134, v127, v163
	ds_load_b64 v[126:127], v21 offset:760
	v_fma_f32 v3, v17, v9, -v3
	v_add_f32_e32 v1, v2, v1
	v_add_f32_e32 v134, v134, v165
	s_delay_alu instid0(VALU_DEP_1) | instskip(NEXT) | instid1(VALU_DEP_1)
	v_add_f32_e32 v134, v134, v167
	v_add_f32_e32 v22, v134, v22
	s_wait_loadcnt_dscnt 0x1
	v_dual_mul_f32 v130, v26, v16 :: v_dual_mul_f32 v131, v17, v10
	v_mul_f32_e32 v134, v19, v12
	s_delay_alu instid0(VALU_DEP_3) | instskip(NEXT) | instid1(VALU_DEP_3)
	v_add_f32_e32 v22, v22, v128
	v_dual_fmac_f32 v130, v27, v15 :: v_dual_fmac_f32 v131, v18, v9
	s_wait_dscnt 0x0
	v_dual_mul_f32 v128, v126, v125 :: v_dual_mul_f32 v137, v24, v14
	s_delay_alu instid0(VALU_DEP_3) | instskip(SKIP_1) | instid1(VALU_DEP_3)
	v_add_f32_e32 v4, v22, v135
	v_fmac_f32_e32 v134, v20, v11
	v_dual_fmac_f32 v128, v127, v124 :: v_dual_fmac_f32 v137, v25, v13
	s_delay_alu instid0(VALU_DEP_3) | instskip(SKIP_1) | instid1(VALU_DEP_2)
	v_add_f32_e32 v2, v4, v136
	v_mul_f32_e32 v4, v25, v14
	v_dual_add_f32 v2, v2, v131 :: v_dual_mul_f32 v5, v20, v12
	s_delay_alu instid0(VALU_DEP_2) | instskip(NEXT) | instid1(VALU_DEP_2)
	v_fma_f32 v4, v24, v13, -v4
	v_add_f32_e32 v2, v2, v134
	s_delay_alu instid0(VALU_DEP_3) | instskip(NEXT) | instid1(VALU_DEP_2)
	v_fma_f32 v5, v19, v11, -v5
	v_dual_add_f32 v2, v2, v137 :: v_dual_add_f32 v1, v1, v3
	s_delay_alu instid0(VALU_DEP_1) | instskip(NEXT) | instid1(VALU_DEP_2)
	v_dual_mul_f32 v3, v27, v16 :: v_dual_add_f32 v2, v2, v130
	v_add_f32_e32 v1, v1, v5
	v_mul_f32_e32 v5, v127, v125
	s_delay_alu instid0(VALU_DEP_3) | instskip(NEXT) | instid1(VALU_DEP_4)
	v_fma_f32 v3, v26, v15, -v3
	v_add_f32_e32 v2, v2, v128
	s_delay_alu instid0(VALU_DEP_4) | instskip(NEXT) | instid1(VALU_DEP_4)
	v_add_f32_e32 v1, v1, v4
	v_fma_f32 v4, v126, v124, -v5
	s_delay_alu instid0(VALU_DEP_3) | instskip(NEXT) | instid1(VALU_DEP_3)
	v_sub_f32_e32 v2, v133, v2
	v_add_f32_e32 v1, v1, v3
	s_delay_alu instid0(VALU_DEP_1) | instskip(NEXT) | instid1(VALU_DEP_1)
	v_add_f32_e32 v1, v1, v4
	v_sub_f32_e32 v1, v132, v1
	scratch_store_b64 off, v[1:2], off offset:80
	v_cmpx_lt_u32_e32 9, v0
	s_cbranch_execz .LBB47_283
; %bb.282:
	scratch_load_b64 v[1:2], off, off offset:72
	v_mov_b32_e32 v22, v21
	scratch_store_b64 off, v[21:22], off offset:72
	s_wait_loadcnt 0x0
	ds_store_b64 v23, v[1:2]
.LBB47_283:
	s_wait_alu 0xfffe
	s_or_b32 exec_lo, exec_lo, s0
	s_wait_storecnt_dscnt 0x0
	s_barrier_signal -1
	s_barrier_wait -1
	global_inv scope:SCOPE_SE
	s_clause 0x4
	scratch_load_b128 v[5:8], off, off offset:80
	scratch_load_b128 v[1:4], off, off offset:96
	;; [unrolled: 1-line block ×5, first 2 shown]
	ds_load_b128 v[24:27], v21 offset:464
	ds_load_b128 v[124:127], v21 offset:480
	;; [unrolled: 1-line block ×3, first 2 shown]
	scratch_load_b64 v[132:133], off, off offset:72
	s_mov_b32 s0, exec_lo
	s_wait_loadcnt_dscnt 0x502
	v_dual_mul_f32 v22, v25, v6 :: v_dual_mul_f32 v135, v26, v8
	v_mul_f32_e32 v134, v24, v6
	v_mul_f32_e32 v6, v27, v8
	s_wait_loadcnt_dscnt 0x300
	v_mul_f32_e32 v136, v130, v12
	v_fma_f32 v22, v24, v5, -v22
	v_dual_fmac_f32 v135, v27, v7 :: v_dual_fmac_f32 v134, v25, v5
	v_mul_f32_e32 v27, v128, v10
	v_mul_f32_e32 v25, v124, v2
	v_fma_f32 v24, v26, v7, -v6
	ds_load_b128 v[5:8], v21 offset:512
	v_mul_f32_e32 v26, v126, v4
	v_dual_mul_f32 v4, v127, v4 :: v_dual_fmac_f32 v27, v129, v9
	v_mul_f32_e32 v10, v129, v10
	v_mul_f32_e32 v12, v131, v12
	;; [unrolled: 1-line block ×3, first 2 shown]
	v_dual_fmac_f32 v25, v125, v1 :: v_dual_fmac_f32 v26, v127, v3
	v_fma_f32 v125, v126, v3, -v4
	v_fma_f32 v126, v128, v9, -v10
	v_fmac_f32_e32 v136, v131, v11
	v_fma_f32 v127, v130, v11, -v12
	ds_load_b128 v[9:12], v21 offset:528
	s_wait_loadcnt_dscnt 0x201
	v_mul_f32_e32 v129, v7, v16
	v_fma_f32 v124, v124, v1, -v2
	scratch_load_b128 v[1:4], off, off offset:160
	v_mul_f32_e32 v128, v5, v14
	v_mul_f32_e32 v14, v6, v14
	;; [unrolled: 1-line block ×3, first 2 shown]
	s_delay_alu instid0(VALU_DEP_3) | instskip(NEXT) | instid1(VALU_DEP_3)
	v_dual_fmac_f32 v129, v8, v15 :: v_dual_fmac_f32 v128, v6, v13
	v_fma_f32 v13, v5, v13, -v14
	s_delay_alu instid0(VALU_DEP_3)
	v_fma_f32 v14, v7, v15, -v16
	ds_load_b128 v[5:8], v21 offset:544
	s_wait_loadcnt_dscnt 0x201
	v_mul_f32_e32 v15, v9, v18
	v_mul_f32_e32 v16, v10, v18
	;; [unrolled: 1-line block ×3, first 2 shown]
	s_delay_alu instid0(VALU_DEP_3) | instskip(NEXT) | instid1(VALU_DEP_3)
	v_dual_mul_f32 v20, v12, v20 :: v_dual_fmac_f32 v15, v10, v17
	v_fma_f32 v16, v9, v17, -v16
	s_delay_alu instid0(VALU_DEP_3) | instskip(NEXT) | instid1(VALU_DEP_3)
	v_fmac_f32_e32 v18, v12, v19
	v_fma_f32 v17, v11, v19, -v20
	scratch_load_b128 v[9:12], off, off offset:176
	s_wait_loadcnt_dscnt 0x100
	v_mul_f32_e32 v19, v5, v2
	v_mul_f32_e32 v2, v6, v2
	;; [unrolled: 1-line block ×3, first 2 shown]
	s_delay_alu instid0(VALU_DEP_3) | instskip(NEXT) | instid1(VALU_DEP_3)
	v_dual_mul_f32 v4, v8, v4 :: v_dual_fmac_f32 v19, v6, v1
	v_fma_f32 v130, v5, v1, -v2
	s_delay_alu instid0(VALU_DEP_3) | instskip(NEXT) | instid1(VALU_DEP_3)
	v_fmac_f32_e32 v20, v8, v3
	v_fma_f32 v131, v7, v3, -v4
	ds_load_b128 v[1:4], v21 offset:560
	ds_load_b128 v[5:8], v21 offset:576
	s_wait_loadcnt_dscnt 0x1
	v_mul_f32_e32 v137, v1, v10
	v_mul_f32_e32 v10, v2, v10
	s_delay_alu instid0(VALU_DEP_2) | instskip(NEXT) | instid1(VALU_DEP_2)
	v_dual_mul_f32 v138, v3, v12 :: v_dual_fmac_f32 v137, v2, v9
	v_fma_f32 v139, v1, v9, -v10
	v_mul_f32_e32 v1, v4, v12
	s_delay_alu instid0(VALU_DEP_3) | instskip(NEXT) | instid1(VALU_DEP_2)
	v_fmac_f32_e32 v138, v4, v11
	v_fma_f32 v140, v3, v11, -v1
	s_clause 0x1
	scratch_load_b128 v[1:4], off, off offset:192
	scratch_load_b128 v[9:12], off, off offset:208
	s_wait_loadcnt_dscnt 0x100
	v_mul_f32_e32 v141, v5, v2
	v_dual_mul_f32 v2, v6, v2 :: v_dual_mul_f32 v143, v7, v4
	s_delay_alu instid0(VALU_DEP_2) | instskip(NEXT) | instid1(VALU_DEP_2)
	v_fmac_f32_e32 v141, v6, v1
	v_fma_f32 v142, v5, v1, -v2
	v_mul_f32_e32 v1, v8, v4
	s_delay_alu instid0(VALU_DEP_4) | instskip(NEXT) | instid1(VALU_DEP_2)
	v_fmac_f32_e32 v143, v8, v3
	v_fma_f32 v144, v7, v3, -v1
	ds_load_b128 v[1:4], v21 offset:592
	ds_load_b128 v[5:8], v21 offset:608
	s_wait_loadcnt_dscnt 0x1
	v_mul_f32_e32 v145, v1, v10
	v_mul_f32_e32 v147, v3, v12
	s_delay_alu instid0(VALU_DEP_2) | instskip(NEXT) | instid1(VALU_DEP_2)
	v_fmac_f32_e32 v145, v2, v9
	v_dual_mul_f32 v2, v2, v10 :: v_dual_fmac_f32 v147, v4, v11
	s_delay_alu instid0(VALU_DEP_1) | instskip(SKIP_1) | instid1(VALU_DEP_1)
	v_fma_f32 v146, v1, v9, -v2
	v_mul_f32_e32 v1, v4, v12
	v_fma_f32 v148, v3, v11, -v1
	s_clause 0x1
	scratch_load_b128 v[1:4], off, off offset:224
	scratch_load_b128 v[9:12], off, off offset:240
	s_wait_loadcnt_dscnt 0x100
	v_mul_f32_e32 v149, v5, v2
	v_dual_mul_f32 v2, v6, v2 :: v_dual_mul_f32 v151, v7, v4
	s_delay_alu instid0(VALU_DEP_2) | instskip(NEXT) | instid1(VALU_DEP_2)
	v_fmac_f32_e32 v149, v6, v1
	v_fma_f32 v150, v5, v1, -v2
	v_mul_f32_e32 v1, v8, v4
	s_delay_alu instid0(VALU_DEP_4) | instskip(NEXT) | instid1(VALU_DEP_2)
	v_fmac_f32_e32 v151, v8, v3
	v_fma_f32 v152, v7, v3, -v1
	ds_load_b128 v[1:4], v21 offset:624
	ds_load_b128 v[5:8], v21 offset:640
	s_wait_loadcnt_dscnt 0x1
	v_mul_f32_e32 v153, v1, v10
	v_mul_f32_e32 v155, v3, v12
	s_delay_alu instid0(VALU_DEP_2) | instskip(NEXT) | instid1(VALU_DEP_2)
	v_fmac_f32_e32 v153, v2, v9
	v_dual_mul_f32 v2, v2, v10 :: v_dual_fmac_f32 v155, v4, v11
	s_delay_alu instid0(VALU_DEP_1) | instskip(SKIP_1) | instid1(VALU_DEP_1)
	v_fma_f32 v154, v1, v9, -v2
	v_mul_f32_e32 v1, v4, v12
	v_fma_f32 v156, v3, v11, -v1
	s_clause 0x1
	scratch_load_b128 v[1:4], off, off offset:256
	scratch_load_b128 v[9:12], off, off offset:272
	s_wait_loadcnt_dscnt 0x100
	v_mul_f32_e32 v157, v5, v2
	v_dual_mul_f32 v2, v6, v2 :: v_dual_mul_f32 v159, v7, v4
	s_delay_alu instid0(VALU_DEP_2) | instskip(NEXT) | instid1(VALU_DEP_2)
	v_fmac_f32_e32 v157, v6, v1
	v_fma_f32 v158, v5, v1, -v2
	v_mul_f32_e32 v1, v8, v4
	s_delay_alu instid0(VALU_DEP_4) | instskip(NEXT) | instid1(VALU_DEP_2)
	v_fmac_f32_e32 v159, v8, v3
	v_fma_f32 v160, v7, v3, -v1
	ds_load_b128 v[1:4], v21 offset:656
	ds_load_b128 v[5:8], v21 offset:672
	s_wait_loadcnt_dscnt 0x1
	v_mul_f32_e32 v161, v1, v10
	v_mul_f32_e32 v163, v3, v12
	s_delay_alu instid0(VALU_DEP_2) | instskip(NEXT) | instid1(VALU_DEP_2)
	v_fmac_f32_e32 v161, v2, v9
	v_dual_mul_f32 v2, v2, v10 :: v_dual_fmac_f32 v163, v4, v11
	s_delay_alu instid0(VALU_DEP_1) | instskip(SKIP_1) | instid1(VALU_DEP_1)
	v_fma_f32 v162, v1, v9, -v2
	v_mul_f32_e32 v1, v4, v12
	v_fma_f32 v164, v3, v11, -v1
	s_clause 0x1
	scratch_load_b128 v[1:4], off, off offset:288
	scratch_load_b128 v[9:12], off, off offset:304
	s_wait_loadcnt_dscnt 0x100
	v_mul_f32_e32 v165, v5, v2
	v_mul_f32_e32 v2, v6, v2
	s_delay_alu instid0(VALU_DEP_1) | instskip(SKIP_1) | instid1(VALU_DEP_1)
	v_fma_f32 v166, v5, v1, -v2
	v_add_f32_e32 v2, 0, v134
	v_add_f32_e32 v2, v2, v135
	s_delay_alu instid0(VALU_DEP_1) | instskip(NEXT) | instid1(VALU_DEP_1)
	v_add_f32_e32 v2, v2, v25
	v_add_f32_e32 v2, v2, v26
	s_delay_alu instid0(VALU_DEP_1) | instskip(NEXT) | instid1(VALU_DEP_1)
	;; [unrolled: 3-line block ×4, first 2 shown]
	v_dual_add_f32 v2, v2, v15 :: v_dual_mul_f32 v167, v7, v4
	v_add_f32_e32 v2, v2, v18
	s_delay_alu instid0(VALU_DEP_1) | instskip(SKIP_1) | instid1(VALU_DEP_2)
	v_add_f32_e32 v2, v2, v19
	v_fmac_f32_e32 v165, v6, v1
	v_dual_fmac_f32 v167, v8, v3 :: v_dual_add_f32 v2, v2, v20
	s_delay_alu instid0(VALU_DEP_1) | instskip(NEXT) | instid1(VALU_DEP_1)
	v_dual_mul_f32 v1, v8, v4 :: v_dual_add_f32 v2, v2, v137
	v_fma_f32 v168, v7, v3, -v1
	v_add_f32_e32 v1, 0, v22
	s_delay_alu instid0(VALU_DEP_3) | instskip(NEXT) | instid1(VALU_DEP_2)
	v_add_f32_e32 v5, v2, v138
	v_add_f32_e32 v1, v1, v24
	s_delay_alu instid0(VALU_DEP_1) | instskip(NEXT) | instid1(VALU_DEP_1)
	v_add_f32_e32 v1, v1, v124
	v_add_f32_e32 v1, v1, v125
	s_delay_alu instid0(VALU_DEP_1) | instskip(NEXT) | instid1(VALU_DEP_1)
	v_add_f32_e32 v1, v1, v126
	v_add_f32_e32 v1, v1, v127
	s_delay_alu instid0(VALU_DEP_1) | instskip(SKIP_1) | instid1(VALU_DEP_2)
	v_add_f32_e32 v1, v1, v13
	v_add_f32_e32 v13, v5, v141
	;; [unrolled: 1-line block ×3, first 2 shown]
	s_delay_alu instid0(VALU_DEP_2) | instskip(NEXT) | instid1(VALU_DEP_1)
	v_add_f32_e32 v13, v13, v143
	v_add_f32_e32 v13, v13, v145
	s_delay_alu instid0(VALU_DEP_1) | instskip(NEXT) | instid1(VALU_DEP_1)
	v_add_f32_e32 v18, v13, v147
	v_dual_add_f32 v18, v18, v149 :: v_dual_add_f32 v1, v1, v16
	s_delay_alu instid0(VALU_DEP_1) | instskip(NEXT) | instid1(VALU_DEP_1)
	v_add_f32_e32 v18, v18, v151
	v_add_f32_e32 v24, v18, v153
	s_delay_alu instid0(VALU_DEP_1) | instskip(NEXT) | instid1(VALU_DEP_1)
	v_dual_add_f32 v1, v1, v17 :: v_dual_add_f32 v24, v24, v155
	v_add_f32_e32 v1, v1, v130
	s_delay_alu instid0(VALU_DEP_1) | instskip(NEXT) | instid1(VALU_DEP_1)
	v_add_f32_e32 v1, v1, v131
	v_add_f32_e32 v1, v1, v139
	s_delay_alu instid0(VALU_DEP_1) | instskip(NEXT) | instid1(VALU_DEP_1)
	v_add_f32_e32 v1, v1, v140
	v_add_f32_e32 v6, v1, v142
	ds_load_b128 v[1:4], v21 offset:688
	v_add_f32_e32 v24, v24, v157
	v_add_f32_e32 v14, v6, v144
	scratch_load_b128 v[5:8], off, off offset:320
	v_add_f32_e32 v14, v14, v146
	s_delay_alu instid0(VALU_DEP_1)
	v_add_f32_e32 v17, v14, v148
	ds_load_b128 v[13:16], v21 offset:704
	s_wait_loadcnt_dscnt 0x101
	v_mul_f32_e32 v22, v1, v10
	v_mul_f32_e32 v10, v2, v10
	;; [unrolled: 1-line block ×4, first 2 shown]
	s_delay_alu instid0(VALU_DEP_4) | instskip(NEXT) | instid1(VALU_DEP_4)
	v_fmac_f32_e32 v22, v2, v9
	v_fma_f32 v125, v1, v9, -v10
	s_delay_alu instid0(VALU_DEP_4) | instskip(NEXT) | instid1(VALU_DEP_4)
	v_fmac_f32_e32 v124, v4, v11
	v_fma_f32 v126, v3, v11, -v12
	s_clause 0x1
	scratch_load_b128 v[1:4], off, off offset:336
	scratch_load_b128 v[9:12], off, off offset:352
	s_wait_loadcnt_dscnt 0x200
	v_mul_f32_e32 v127, v13, v6
	v_mul_f32_e32 v6, v14, v6
	;; [unrolled: 1-line block ×3, first 2 shown]
	s_delay_alu instid0(VALU_DEP_3) | instskip(NEXT) | instid1(VALU_DEP_3)
	v_dual_mul_f32 v8, v16, v8 :: v_dual_fmac_f32 v127, v14, v5
	v_fma_f32 v129, v13, v5, -v6
	s_delay_alu instid0(VALU_DEP_3) | instskip(NEXT) | instid1(VALU_DEP_3)
	v_fmac_f32_e32 v128, v16, v7
	v_fma_f32 v130, v15, v7, -v8
	ds_load_b128 v[5:8], v21 offset:720
	v_add_f32_e32 v17, v17, v150
	v_add_f32_e32 v13, v24, v159
	s_delay_alu instid0(VALU_DEP_2) | instskip(NEXT) | instid1(VALU_DEP_1)
	v_add_f32_e32 v17, v17, v152
	v_add_f32_e32 v17, v17, v154
	s_delay_alu instid0(VALU_DEP_1) | instskip(SKIP_2) | instid1(VALU_DEP_1)
	v_add_f32_e32 v25, v17, v156
	scratch_load_b128 v[17:20], off, off offset:368
	v_add_f32_e32 v25, v25, v158
	v_add_f32_e32 v25, v25, v160
	s_delay_alu instid0(VALU_DEP_1)
	v_add_f32_e32 v24, v25, v162
	v_add_f32_e32 v25, v13, v161
	ds_load_b128 v[13:16], v21 offset:736
	v_dual_add_f32 v131, v24, v164 :: v_dual_add_f32 v134, v25, v163
	ds_load_b128 v[24:27], v21 offset:752
	v_add_f32_e32 v21, v131, v166
	s_delay_alu instid0(VALU_DEP_1) | instskip(SKIP_2) | instid1(VALU_DEP_1)
	v_add_f32_e32 v21, v21, v168
	s_wait_loadcnt_dscnt 0x101
	v_mul_f32_e32 v135, v15, v12
	v_fmac_f32_e32 v135, v16, v11
	s_delay_alu instid0(VALU_DEP_3) | instskip(NEXT) | instid1(VALU_DEP_1)
	v_add_f32_e32 v21, v21, v125
	v_add_f32_e32 v21, v21, v126
	s_wait_loadcnt_dscnt 0x0
	s_delay_alu instid0(VALU_DEP_1) | instskip(SKIP_2) | instid1(VALU_DEP_3)
	v_dual_add_f32 v21, v21, v129 :: v_dual_mul_f32 v126, v26, v20
	v_dual_add_f32 v131, v134, v165 :: v_dual_mul_f32 v134, v5, v2
	v_mul_f32_e32 v2, v6, v2
	v_fmac_f32_e32 v126, v27, v19
	s_delay_alu instid0(VALU_DEP_3)
	v_add_f32_e32 v131, v131, v167
	v_mul_f32_e32 v125, v7, v4
	v_mul_f32_e32 v4, v8, v4
	v_fma_f32 v2, v5, v1, -v2
	v_fmac_f32_e32 v134, v6, v1
	v_add_f32_e32 v22, v131, v22
	v_add_f32_e32 v1, v21, v130
	v_dual_mul_f32 v6, v14, v10 :: v_dual_fmac_f32 v125, v8, v3
	v_fma_f32 v3, v7, v3, -v4
	s_delay_alu instid0(VALU_DEP_4) | instskip(SKIP_2) | instid1(VALU_DEP_3)
	v_add_f32_e32 v22, v22, v124
	v_mul_f32_e32 v124, v24, v18
	v_dual_add_f32 v1, v1, v2 :: v_dual_mul_f32 v4, v16, v12
	v_add_f32_e32 v22, v22, v127
	s_delay_alu instid0(VALU_DEP_3) | instskip(SKIP_1) | instid1(VALU_DEP_4)
	v_fmac_f32_e32 v124, v25, v17
	v_mul_f32_e32 v131, v13, v10
	v_add_f32_e32 v1, v1, v3
	v_mul_f32_e32 v3, v25, v18
	v_add_f32_e32 v5, v22, v128
	v_fma_f32 v4, v15, v11, -v4
	v_fmac_f32_e32 v131, v14, v9
	s_delay_alu instid0(VALU_DEP_4) | instskip(NEXT) | instid1(VALU_DEP_4)
	v_fma_f32 v3, v24, v17, -v3
	v_add_f32_e32 v2, v5, v134
	v_fma_f32 v5, v13, v9, -v6
	s_delay_alu instid0(VALU_DEP_2) | instskip(NEXT) | instid1(VALU_DEP_2)
	v_add_f32_e32 v2, v2, v125
	v_add_f32_e32 v1, v1, v5
	s_delay_alu instid0(VALU_DEP_2) | instskip(NEXT) | instid1(VALU_DEP_2)
	v_dual_mul_f32 v5, v27, v20 :: v_dual_add_f32 v2, v2, v131
	v_add_f32_e32 v1, v1, v4
	s_delay_alu instid0(VALU_DEP_2) | instskip(NEXT) | instid1(VALU_DEP_3)
	v_fma_f32 v4, v26, v19, -v5
	v_add_f32_e32 v2, v2, v135
	s_delay_alu instid0(VALU_DEP_1) | instskip(NEXT) | instid1(VALU_DEP_1)
	v_dual_add_f32 v1, v1, v3 :: v_dual_add_f32 v2, v2, v124
	v_dual_add_f32 v1, v1, v4 :: v_dual_add_f32 v2, v2, v126
	s_delay_alu instid0(VALU_DEP_1)
	v_dual_sub_f32 v1, v132, v1 :: v_dual_sub_f32 v2, v133, v2
	scratch_store_b64 off, v[1:2], off offset:72
	v_cmpx_lt_u32_e32 8, v0
	s_cbranch_execz .LBB47_285
; %bb.284:
	scratch_load_b64 v[1:2], off, off offset:64
	v_mov_b32_e32 v3, 0
	s_delay_alu instid0(VALU_DEP_1)
	v_mov_b32_e32 v4, v3
	scratch_store_b64 off, v[3:4], off offset:64
	s_wait_loadcnt 0x0
	ds_store_b64 v23, v[1:2]
.LBB47_285:
	s_wait_alu 0xfffe
	s_or_b32 exec_lo, exec_lo, s0
	s_wait_storecnt_dscnt 0x0
	s_barrier_signal -1
	s_barrier_wait -1
	global_inv scope:SCOPE_SE
	s_clause 0x4
	scratch_load_b128 v[5:8], off, off offset:72
	scratch_load_b128 v[1:4], off, off offset:88
	;; [unrolled: 1-line block ×5, first 2 shown]
	v_mov_b32_e32 v21, 0
	ds_load_2addr_b64 v[24:27], v21 offset0:57 offset1:58
	ds_load_2addr_b64 v[124:127], v21 offset0:59 offset1:60
	ds_load_2addr_b64 v[128:131], v21 offset0:61 offset1:62
	scratch_load_b64 v[132:133], off, off offset:64
	s_mov_b32 s0, exec_lo
	s_wait_loadcnt_dscnt 0x502
	v_mul_f32_e32 v22, v25, v6
	v_dual_mul_f32 v134, v24, v6 :: v_dual_mul_f32 v135, v26, v8
	v_mul_f32_e32 v6, v27, v8
	s_delay_alu instid0(VALU_DEP_3) | instskip(NEXT) | instid1(VALU_DEP_3)
	v_fma_f32 v22, v24, v5, -v22
	v_dual_fmac_f32 v134, v25, v5 :: v_dual_fmac_f32 v135, v27, v7
	s_wait_loadcnt_dscnt 0x401
	v_mul_f32_e32 v25, v124, v2
	v_fma_f32 v24, v26, v7, -v6
	ds_load_2addr_b64 v[5:8], v21 offset0:63 offset1:64
	s_wait_loadcnt_dscnt 0x301
	v_dual_mul_f32 v26, v126, v4 :: v_dual_mul_f32 v27, v128, v10
	v_dual_mul_f32 v4, v127, v4 :: v_dual_fmac_f32 v25, v125, v1
	v_mul_f32_e32 v10, v129, v10
	s_delay_alu instid0(VALU_DEP_3)
	v_dual_mul_f32 v136, v130, v12 :: v_dual_fmac_f32 v27, v129, v9
	v_mul_f32_e32 v12, v131, v12
	v_mul_f32_e32 v2, v125, v2
	v_fmac_f32_e32 v26, v127, v3
	v_fma_f32 v125, v126, v3, -v4
	v_fma_f32 v126, v128, v9, -v10
	v_fmac_f32_e32 v136, v131, v11
	v_fma_f32 v127, v130, v11, -v12
	ds_load_2addr_b64 v[9:12], v21 offset0:65 offset1:66
	s_wait_loadcnt_dscnt 0x201
	v_mul_f32_e32 v129, v7, v16
	v_fma_f32 v124, v124, v1, -v2
	scratch_load_b128 v[1:4], off, off offset:152
	v_mul_f32_e32 v128, v5, v14
	v_mul_f32_e32 v14, v6, v14
	;; [unrolled: 1-line block ×3, first 2 shown]
	s_delay_alu instid0(VALU_DEP_3) | instskip(NEXT) | instid1(VALU_DEP_3)
	v_dual_fmac_f32 v129, v8, v15 :: v_dual_fmac_f32 v128, v6, v13
	v_fma_f32 v13, v5, v13, -v14
	s_delay_alu instid0(VALU_DEP_3)
	v_fma_f32 v14, v7, v15, -v16
	ds_load_2addr_b64 v[5:8], v21 offset0:67 offset1:68
	s_wait_loadcnt_dscnt 0x201
	v_mul_f32_e32 v15, v9, v18
	v_mul_f32_e32 v16, v10, v18
	;; [unrolled: 1-line block ×3, first 2 shown]
	s_delay_alu instid0(VALU_DEP_3) | instskip(NEXT) | instid1(VALU_DEP_3)
	v_dual_mul_f32 v20, v12, v20 :: v_dual_fmac_f32 v15, v10, v17
	v_fma_f32 v16, v9, v17, -v16
	s_delay_alu instid0(VALU_DEP_3) | instskip(NEXT) | instid1(VALU_DEP_3)
	v_fmac_f32_e32 v18, v12, v19
	v_fma_f32 v17, v11, v19, -v20
	scratch_load_b128 v[9:12], off, off offset:168
	s_wait_loadcnt_dscnt 0x100
	v_mul_f32_e32 v19, v5, v2
	v_mul_f32_e32 v2, v6, v2
	;; [unrolled: 1-line block ×3, first 2 shown]
	s_delay_alu instid0(VALU_DEP_3) | instskip(NEXT) | instid1(VALU_DEP_3)
	v_dual_mul_f32 v4, v8, v4 :: v_dual_fmac_f32 v19, v6, v1
	v_fma_f32 v130, v5, v1, -v2
	s_delay_alu instid0(VALU_DEP_3) | instskip(NEXT) | instid1(VALU_DEP_3)
	v_fmac_f32_e32 v20, v8, v3
	v_fma_f32 v131, v7, v3, -v4
	ds_load_2addr_b64 v[1:4], v21 offset0:69 offset1:70
	ds_load_2addr_b64 v[5:8], v21 offset0:71 offset1:72
	s_wait_loadcnt_dscnt 0x1
	v_mul_f32_e32 v137, v1, v10
	v_mul_f32_e32 v10, v2, v10
	s_delay_alu instid0(VALU_DEP_2) | instskip(NEXT) | instid1(VALU_DEP_2)
	v_dual_mul_f32 v138, v3, v12 :: v_dual_fmac_f32 v137, v2, v9
	v_fma_f32 v139, v1, v9, -v10
	v_mul_f32_e32 v1, v4, v12
	s_delay_alu instid0(VALU_DEP_3) | instskip(NEXT) | instid1(VALU_DEP_2)
	v_fmac_f32_e32 v138, v4, v11
	v_fma_f32 v140, v3, v11, -v1
	s_clause 0x1
	scratch_load_b128 v[1:4], off, off offset:184
	scratch_load_b128 v[9:12], off, off offset:200
	s_wait_loadcnt_dscnt 0x100
	v_mul_f32_e32 v141, v5, v2
	v_dual_mul_f32 v2, v6, v2 :: v_dual_mul_f32 v143, v7, v4
	s_delay_alu instid0(VALU_DEP_2) | instskip(NEXT) | instid1(VALU_DEP_2)
	v_fmac_f32_e32 v141, v6, v1
	v_fma_f32 v142, v5, v1, -v2
	v_mul_f32_e32 v1, v8, v4
	s_delay_alu instid0(VALU_DEP_4) | instskip(NEXT) | instid1(VALU_DEP_2)
	v_fmac_f32_e32 v143, v8, v3
	v_fma_f32 v144, v7, v3, -v1
	ds_load_2addr_b64 v[1:4], v21 offset0:73 offset1:74
	ds_load_2addr_b64 v[5:8], v21 offset0:75 offset1:76
	s_wait_loadcnt_dscnt 0x1
	v_mul_f32_e32 v145, v1, v10
	v_mul_f32_e32 v147, v3, v12
	s_delay_alu instid0(VALU_DEP_2) | instskip(NEXT) | instid1(VALU_DEP_2)
	v_fmac_f32_e32 v145, v2, v9
	v_dual_mul_f32 v2, v2, v10 :: v_dual_fmac_f32 v147, v4, v11
	s_delay_alu instid0(VALU_DEP_1) | instskip(SKIP_1) | instid1(VALU_DEP_1)
	v_fma_f32 v146, v1, v9, -v2
	v_mul_f32_e32 v1, v4, v12
	v_fma_f32 v148, v3, v11, -v1
	s_clause 0x1
	scratch_load_b128 v[1:4], off, off offset:216
	scratch_load_b128 v[9:12], off, off offset:232
	s_wait_loadcnt_dscnt 0x100
	v_mul_f32_e32 v149, v5, v2
	v_dual_mul_f32 v151, v7, v4 :: v_dual_mul_f32 v2, v6, v2
	s_delay_alu instid0(VALU_DEP_2) | instskip(NEXT) | instid1(VALU_DEP_2)
	v_fmac_f32_e32 v149, v6, v1
	v_fmac_f32_e32 v151, v8, v3
	s_delay_alu instid0(VALU_DEP_3) | instskip(SKIP_1) | instid1(VALU_DEP_1)
	v_fma_f32 v150, v5, v1, -v2
	v_mul_f32_e32 v1, v8, v4
	v_fma_f32 v152, v7, v3, -v1
	ds_load_2addr_b64 v[1:4], v21 offset0:77 offset1:78
	ds_load_2addr_b64 v[5:8], v21 offset0:79 offset1:80
	s_wait_loadcnt_dscnt 0x1
	v_mul_f32_e32 v153, v1, v10
	v_mul_f32_e32 v155, v3, v12
	s_delay_alu instid0(VALU_DEP_2) | instskip(NEXT) | instid1(VALU_DEP_2)
	v_fmac_f32_e32 v153, v2, v9
	v_dual_mul_f32 v2, v2, v10 :: v_dual_fmac_f32 v155, v4, v11
	s_delay_alu instid0(VALU_DEP_1) | instskip(SKIP_1) | instid1(VALU_DEP_1)
	v_fma_f32 v154, v1, v9, -v2
	v_mul_f32_e32 v1, v4, v12
	v_fma_f32 v156, v3, v11, -v1
	s_clause 0x1
	scratch_load_b128 v[1:4], off, off offset:248
	scratch_load_b128 v[9:12], off, off offset:264
	s_wait_loadcnt_dscnt 0x100
	v_mul_f32_e32 v157, v5, v2
	v_dual_mul_f32 v2, v6, v2 :: v_dual_mul_f32 v159, v7, v4
	s_delay_alu instid0(VALU_DEP_2) | instskip(NEXT) | instid1(VALU_DEP_2)
	v_fmac_f32_e32 v157, v6, v1
	v_fma_f32 v158, v5, v1, -v2
	v_mul_f32_e32 v1, v8, v4
	s_delay_alu instid0(VALU_DEP_4) | instskip(NEXT) | instid1(VALU_DEP_2)
	v_fmac_f32_e32 v159, v8, v3
	v_fma_f32 v160, v7, v3, -v1
	ds_load_2addr_b64 v[1:4], v21 offset0:81 offset1:82
	ds_load_2addr_b64 v[5:8], v21 offset0:83 offset1:84
	s_wait_loadcnt_dscnt 0x1
	v_mul_f32_e32 v161, v1, v10
	v_mul_f32_e32 v163, v3, v12
	s_delay_alu instid0(VALU_DEP_2) | instskip(NEXT) | instid1(VALU_DEP_2)
	v_fmac_f32_e32 v161, v2, v9
	v_dual_mul_f32 v2, v2, v10 :: v_dual_fmac_f32 v163, v4, v11
	s_delay_alu instid0(VALU_DEP_1) | instskip(SKIP_1) | instid1(VALU_DEP_1)
	v_fma_f32 v162, v1, v9, -v2
	v_mul_f32_e32 v1, v4, v12
	v_fma_f32 v164, v3, v11, -v1
	s_clause 0x1
	scratch_load_b128 v[1:4], off, off offset:280
	scratch_load_b128 v[9:12], off, off offset:296
	s_wait_loadcnt_dscnt 0x100
	v_mul_f32_e32 v165, v5, v2
	v_mul_f32_e32 v2, v6, v2
	s_delay_alu instid0(VALU_DEP_1) | instskip(SKIP_1) | instid1(VALU_DEP_1)
	v_fma_f32 v166, v5, v1, -v2
	v_add_f32_e32 v2, 0, v134
	v_add_f32_e32 v2, v2, v135
	s_delay_alu instid0(VALU_DEP_1) | instskip(NEXT) | instid1(VALU_DEP_1)
	v_add_f32_e32 v2, v2, v25
	v_add_f32_e32 v2, v2, v26
	s_delay_alu instid0(VALU_DEP_1) | instskip(NEXT) | instid1(VALU_DEP_1)
	;; [unrolled: 3-line block ×4, first 2 shown]
	v_add_f32_e32 v2, v2, v15
	v_add_f32_e32 v2, v2, v18
	s_delay_alu instid0(VALU_DEP_1) | instskip(SKIP_2) | instid1(VALU_DEP_3)
	v_add_f32_e32 v2, v2, v19
	v_fmac_f32_e32 v165, v6, v1
	v_mul_f32_e32 v1, v8, v4
	v_add_f32_e32 v2, v2, v20
	v_mul_f32_e32 v167, v7, v4
	s_delay_alu instid0(VALU_DEP_3) | instskip(NEXT) | instid1(VALU_DEP_3)
	v_fma_f32 v168, v7, v3, -v1
	v_dual_add_f32 v1, 0, v22 :: v_dual_add_f32 v2, v2, v137
	s_delay_alu instid0(VALU_DEP_1) | instskip(NEXT) | instid1(VALU_DEP_2)
	v_add_f32_e32 v1, v1, v24
	v_add_f32_e32 v5, v2, v138
	s_delay_alu instid0(VALU_DEP_2) | instskip(NEXT) | instid1(VALU_DEP_1)
	v_add_f32_e32 v1, v1, v124
	v_add_f32_e32 v1, v1, v125
	scratch_load_b64 v[124:125], off, off offset:376
	v_add_f32_e32 v1, v1, v126
	s_delay_alu instid0(VALU_DEP_1) | instskip(NEXT) | instid1(VALU_DEP_1)
	v_add_f32_e32 v1, v1, v127
	v_add_f32_e32 v1, v1, v13
	;; [unrolled: 1-line block ×3, first 2 shown]
	s_delay_alu instid0(VALU_DEP_1) | instskip(NEXT) | instid1(VALU_DEP_1)
	v_add_f32_e32 v13, v13, v143
	v_add_f32_e32 v13, v13, v145
	s_delay_alu instid0(VALU_DEP_1) | instskip(NEXT) | instid1(VALU_DEP_1)
	v_add_f32_e32 v18, v13, v147
	v_dual_add_f32 v18, v18, v149 :: v_dual_add_f32 v1, v1, v14
	s_delay_alu instid0(VALU_DEP_1) | instskip(NEXT) | instid1(VALU_DEP_1)
	v_dual_add_f32 v18, v18, v151 :: v_dual_add_f32 v1, v1, v16
	v_add_f32_e32 v24, v18, v153
	s_delay_alu instid0(VALU_DEP_1) | instskip(NEXT) | instid1(VALU_DEP_1)
	v_dual_add_f32 v1, v1, v17 :: v_dual_add_f32 v24, v24, v155
	v_add_f32_e32 v1, v1, v130
	s_delay_alu instid0(VALU_DEP_1) | instskip(NEXT) | instid1(VALU_DEP_1)
	v_add_f32_e32 v1, v1, v131
	v_add_f32_e32 v1, v1, v139
	s_delay_alu instid0(VALU_DEP_1) | instskip(NEXT) | instid1(VALU_DEP_1)
	v_add_f32_e32 v1, v1, v140
	v_dual_add_f32 v6, v1, v142 :: v_dual_fmac_f32 v167, v8, v3
	scratch_load_b128 v[1:4], off, off offset:312
	v_add_f32_e32 v24, v24, v157
	v_add_f32_e32 v14, v6, v144
	ds_load_2addr_b64 v[5:8], v21 offset0:85 offset1:86
	v_add_f32_e32 v24, v24, v159
	v_add_f32_e32 v14, v14, v146
	s_delay_alu instid0(VALU_DEP_1)
	v_add_f32_e32 v17, v14, v148
	ds_load_2addr_b64 v[13:16], v21 offset0:87 offset1:88
	s_wait_loadcnt_dscnt 0x201
	v_mul_f32_e32 v22, v5, v10
	v_mul_f32_e32 v10, v6, v10
	;; [unrolled: 1-line block ×4, first 2 shown]
	s_delay_alu instid0(VALU_DEP_4) | instskip(NEXT) | instid1(VALU_DEP_4)
	v_fmac_f32_e32 v22, v6, v9
	v_fma_f32 v129, v5, v9, -v10
	s_delay_alu instid0(VALU_DEP_4) | instskip(NEXT) | instid1(VALU_DEP_4)
	v_fmac_f32_e32 v128, v8, v11
	v_fma_f32 v130, v7, v11, -v12
	s_clause 0x1
	scratch_load_b128 v[5:8], off, off offset:328
	scratch_load_b128 v[9:12], off, off offset:344
	s_wait_loadcnt_dscnt 0x200
	v_mul_f32_e32 v131, v13, v2
	v_mul_f32_e32 v2, v14, v2
	v_mul_f32_e32 v134, v15, v4
	s_delay_alu instid0(VALU_DEP_3) | instskip(NEXT) | instid1(VALU_DEP_3)
	v_dual_mul_f32 v4, v16, v4 :: v_dual_fmac_f32 v131, v14, v1
	v_fma_f32 v135, v13, v1, -v2
	v_add_f32_e32 v13, v24, v161
	s_delay_alu instid0(VALU_DEP_4) | instskip(NEXT) | instid1(VALU_DEP_4)
	v_fmac_f32_e32 v134, v16, v3
	v_fma_f32 v136, v15, v3, -v4
	ds_load_2addr_b64 v[1:4], v21 offset0:89 offset1:90
	v_add_f32_e32 v24, v13, v163
	s_delay_alu instid0(VALU_DEP_1) | instskip(NEXT) | instid1(VALU_DEP_1)
	v_add_f32_e32 v127, v24, v165
	v_add_f32_e32 v138, v127, v167
	s_delay_alu instid0(VALU_DEP_1) | instskip(NEXT) | instid1(VALU_DEP_1)
	v_add_f32_e32 v22, v138, v22
	v_dual_add_f32 v17, v17, v150 :: v_dual_add_f32 v22, v22, v128
	s_delay_alu instid0(VALU_DEP_1) | instskip(NEXT) | instid1(VALU_DEP_1)
	v_dual_add_f32 v17, v17, v152 :: v_dual_add_f32 v22, v22, v131
	v_add_f32_e32 v17, v17, v154
	s_delay_alu instid0(VALU_DEP_1) | instskip(SKIP_2) | instid1(VALU_DEP_1)
	v_dual_add_f32 v22, v22, v134 :: v_dual_add_f32 v25, v17, v156
	scratch_load_b128 v[17:20], off, off offset:360
	v_add_f32_e32 v25, v25, v158
	v_add_f32_e32 v25, v25, v160
	s_delay_alu instid0(VALU_DEP_1) | instskip(NEXT) | instid1(VALU_DEP_1)
	v_add_f32_e32 v25, v25, v162
	v_add_f32_e32 v14, v25, v164
	ds_load_2addr_b64 v[24:27], v21 offset0:93 offset1:94
	v_add_f32_e32 v126, v14, v166
	ds_load_2addr_b64 v[13:16], v21 offset0:91 offset1:92
	s_wait_loadcnt_dscnt 0x202
	v_mul_f32_e32 v128, v3, v8
	v_mul_f32_e32 v8, v4, v8
	v_add_f32_e32 v137, v126, v168
	ds_load_b64 v[126:127], v21 offset:760
	v_dual_fmac_f32 v128, v4, v7 :: v_dual_add_f32 v129, v137, v129
	s_delay_alu instid0(VALU_DEP_1)
	v_add_f32_e32 v129, v129, v130
	s_wait_loadcnt_dscnt 0x101
	v_mul_f32_e32 v130, v13, v10
	v_mul_f32_e32 v137, v1, v6
	v_dual_mul_f32 v6, v2, v6 :: v_dual_mul_f32 v131, v15, v12
	s_wait_dscnt 0x0
	v_mul_f32_e32 v134, v126, v125
	v_fmac_f32_e32 v130, v14, v9
	v_fmac_f32_e32 v137, v2, v5
	v_fma_f32 v1, v1, v5, -v6
	v_fma_f32 v2, v3, v7, -v8
	v_dual_fmac_f32 v134, v127, v124 :: v_dual_mul_f32 v3, v14, v10
	s_delay_alu instid0(VALU_DEP_4) | instskip(NEXT) | instid1(VALU_DEP_2)
	v_dual_add_f32 v4, v22, v137 :: v_dual_add_f32 v129, v129, v135
	v_fma_f32 v3, v13, v9, -v3
	s_delay_alu instid0(VALU_DEP_2) | instskip(SKIP_2) | instid1(VALU_DEP_1)
	v_add_f32_e32 v129, v129, v136
	s_wait_loadcnt 0x0
	v_mul_f32_e32 v136, v26, v20
	v_dual_fmac_f32 v136, v27, v19 :: v_dual_add_f32 v1, v129, v1
	s_delay_alu instid0(VALU_DEP_1) | instskip(SKIP_1) | instid1(VALU_DEP_2)
	v_dual_add_f32 v1, v1, v2 :: v_dual_add_f32 v2, v4, v128
	v_dual_mul_f32 v4, v25, v18 :: v_dual_fmac_f32 v131, v16, v11
	v_add_f32_e32 v2, v2, v130
	v_mul_f32_e32 v135, v24, v18
	s_delay_alu instid0(VALU_DEP_3) | instskip(NEXT) | instid1(VALU_DEP_2)
	v_fma_f32 v4, v24, v17, -v4
	v_dual_add_f32 v2, v2, v131 :: v_dual_fmac_f32 v135, v25, v17
	s_delay_alu instid0(VALU_DEP_1) | instskip(NEXT) | instid1(VALU_DEP_1)
	v_add_f32_e32 v2, v2, v135
	v_add_f32_e32 v2, v2, v136
	v_mul_f32_e32 v5, v16, v12
	v_add_f32_e32 v1, v1, v3
	s_delay_alu instid0(VALU_DEP_3) | instskip(NEXT) | instid1(VALU_DEP_3)
	v_dual_mul_f32 v3, v27, v20 :: v_dual_add_f32 v2, v2, v134
	v_fma_f32 v5, v15, v11, -v5
	s_delay_alu instid0(VALU_DEP_2) | instskip(NEXT) | instid1(VALU_DEP_3)
	v_fma_f32 v3, v26, v19, -v3
	v_sub_f32_e32 v2, v133, v2
	s_delay_alu instid0(VALU_DEP_3) | instskip(SKIP_1) | instid1(VALU_DEP_2)
	v_add_f32_e32 v1, v1, v5
	v_mul_f32_e32 v5, v127, v125
	v_add_f32_e32 v1, v1, v4
	s_delay_alu instid0(VALU_DEP_2) | instskip(NEXT) | instid1(VALU_DEP_2)
	v_fma_f32 v4, v126, v124, -v5
	v_add_f32_e32 v1, v1, v3
	s_delay_alu instid0(VALU_DEP_1) | instskip(NEXT) | instid1(VALU_DEP_1)
	v_add_f32_e32 v1, v1, v4
	v_sub_f32_e32 v1, v132, v1
	scratch_store_b64 off, v[1:2], off offset:64
	v_cmpx_lt_u32_e32 7, v0
	s_cbranch_execz .LBB47_287
; %bb.286:
	scratch_load_b64 v[1:2], off, off offset:56
	v_mov_b32_e32 v22, v21
	scratch_store_b64 off, v[21:22], off offset:56
	s_wait_loadcnt 0x0
	ds_store_b64 v23, v[1:2]
.LBB47_287:
	s_wait_alu 0xfffe
	s_or_b32 exec_lo, exec_lo, s0
	s_wait_storecnt_dscnt 0x0
	s_barrier_signal -1
	s_barrier_wait -1
	global_inv scope:SCOPE_SE
	s_clause 0x4
	scratch_load_b128 v[5:8], off, off offset:64
	scratch_load_b128 v[1:4], off, off offset:80
	;; [unrolled: 1-line block ×5, first 2 shown]
	ds_load_b128 v[24:27], v21 offset:448
	ds_load_b128 v[124:127], v21 offset:464
	;; [unrolled: 1-line block ×3, first 2 shown]
	scratch_load_b64 v[132:133], off, off offset:56
	s_mov_b32 s0, exec_lo
	s_wait_loadcnt_dscnt 0x502
	v_dual_mul_f32 v22, v25, v6 :: v_dual_mul_f32 v135, v26, v8
	v_mul_f32_e32 v134, v24, v6
	v_mul_f32_e32 v6, v27, v8
	s_wait_loadcnt_dscnt 0x300
	v_mul_f32_e32 v136, v130, v12
	v_fma_f32 v22, v24, v5, -v22
	v_dual_fmac_f32 v135, v27, v7 :: v_dual_fmac_f32 v134, v25, v5
	v_mul_f32_e32 v27, v128, v10
	v_mul_f32_e32 v25, v124, v2
	v_fma_f32 v24, v26, v7, -v6
	ds_load_b128 v[5:8], v21 offset:496
	v_mul_f32_e32 v26, v126, v4
	v_dual_mul_f32 v4, v127, v4 :: v_dual_fmac_f32 v27, v129, v9
	v_mul_f32_e32 v10, v129, v10
	v_mul_f32_e32 v12, v131, v12
	;; [unrolled: 1-line block ×3, first 2 shown]
	v_dual_fmac_f32 v25, v125, v1 :: v_dual_fmac_f32 v26, v127, v3
	v_fma_f32 v125, v126, v3, -v4
	v_fma_f32 v126, v128, v9, -v10
	v_fmac_f32_e32 v136, v131, v11
	v_fma_f32 v127, v130, v11, -v12
	ds_load_b128 v[9:12], v21 offset:512
	s_wait_loadcnt_dscnt 0x201
	v_mul_f32_e32 v129, v7, v16
	v_fma_f32 v124, v124, v1, -v2
	scratch_load_b128 v[1:4], off, off offset:144
	v_mul_f32_e32 v128, v5, v14
	v_mul_f32_e32 v14, v6, v14
	;; [unrolled: 1-line block ×3, first 2 shown]
	s_delay_alu instid0(VALU_DEP_3) | instskip(NEXT) | instid1(VALU_DEP_3)
	v_dual_fmac_f32 v129, v8, v15 :: v_dual_fmac_f32 v128, v6, v13
	v_fma_f32 v13, v5, v13, -v14
	s_delay_alu instid0(VALU_DEP_3)
	v_fma_f32 v14, v7, v15, -v16
	ds_load_b128 v[5:8], v21 offset:528
	s_wait_loadcnt_dscnt 0x201
	v_mul_f32_e32 v15, v9, v18
	v_mul_f32_e32 v16, v10, v18
	;; [unrolled: 1-line block ×3, first 2 shown]
	s_delay_alu instid0(VALU_DEP_3) | instskip(NEXT) | instid1(VALU_DEP_3)
	v_dual_mul_f32 v20, v12, v20 :: v_dual_fmac_f32 v15, v10, v17
	v_fma_f32 v16, v9, v17, -v16
	s_delay_alu instid0(VALU_DEP_3) | instskip(NEXT) | instid1(VALU_DEP_3)
	v_fmac_f32_e32 v18, v12, v19
	v_fma_f32 v17, v11, v19, -v20
	scratch_load_b128 v[9:12], off, off offset:160
	s_wait_loadcnt_dscnt 0x100
	v_mul_f32_e32 v19, v5, v2
	v_mul_f32_e32 v2, v6, v2
	;; [unrolled: 1-line block ×3, first 2 shown]
	s_delay_alu instid0(VALU_DEP_3) | instskip(NEXT) | instid1(VALU_DEP_3)
	v_dual_mul_f32 v4, v8, v4 :: v_dual_fmac_f32 v19, v6, v1
	v_fma_f32 v130, v5, v1, -v2
	s_delay_alu instid0(VALU_DEP_3) | instskip(NEXT) | instid1(VALU_DEP_3)
	v_fmac_f32_e32 v20, v8, v3
	v_fma_f32 v131, v7, v3, -v4
	ds_load_b128 v[1:4], v21 offset:544
	ds_load_b128 v[5:8], v21 offset:560
	s_wait_loadcnt_dscnt 0x1
	v_mul_f32_e32 v137, v1, v10
	v_mul_f32_e32 v10, v2, v10
	s_delay_alu instid0(VALU_DEP_2) | instskip(NEXT) | instid1(VALU_DEP_2)
	v_dual_mul_f32 v138, v3, v12 :: v_dual_fmac_f32 v137, v2, v9
	v_fma_f32 v139, v1, v9, -v10
	v_mul_f32_e32 v1, v4, v12
	s_delay_alu instid0(VALU_DEP_3) | instskip(NEXT) | instid1(VALU_DEP_2)
	v_fmac_f32_e32 v138, v4, v11
	v_fma_f32 v140, v3, v11, -v1
	s_clause 0x1
	scratch_load_b128 v[1:4], off, off offset:176
	scratch_load_b128 v[9:12], off, off offset:192
	s_wait_loadcnt_dscnt 0x100
	v_mul_f32_e32 v141, v5, v2
	v_dual_mul_f32 v2, v6, v2 :: v_dual_mul_f32 v143, v7, v4
	s_delay_alu instid0(VALU_DEP_2) | instskip(NEXT) | instid1(VALU_DEP_2)
	v_fmac_f32_e32 v141, v6, v1
	v_fma_f32 v142, v5, v1, -v2
	v_mul_f32_e32 v1, v8, v4
	s_delay_alu instid0(VALU_DEP_4) | instskip(NEXT) | instid1(VALU_DEP_2)
	v_fmac_f32_e32 v143, v8, v3
	v_fma_f32 v144, v7, v3, -v1
	ds_load_b128 v[1:4], v21 offset:576
	ds_load_b128 v[5:8], v21 offset:592
	s_wait_loadcnt_dscnt 0x1
	v_mul_f32_e32 v145, v1, v10
	v_mul_f32_e32 v147, v3, v12
	s_delay_alu instid0(VALU_DEP_2) | instskip(NEXT) | instid1(VALU_DEP_2)
	v_fmac_f32_e32 v145, v2, v9
	v_dual_mul_f32 v2, v2, v10 :: v_dual_fmac_f32 v147, v4, v11
	s_delay_alu instid0(VALU_DEP_1) | instskip(SKIP_1) | instid1(VALU_DEP_1)
	v_fma_f32 v146, v1, v9, -v2
	v_mul_f32_e32 v1, v4, v12
	v_fma_f32 v148, v3, v11, -v1
	s_clause 0x1
	scratch_load_b128 v[1:4], off, off offset:208
	scratch_load_b128 v[9:12], off, off offset:224
	s_wait_loadcnt_dscnt 0x100
	v_mul_f32_e32 v149, v5, v2
	v_dual_mul_f32 v2, v6, v2 :: v_dual_mul_f32 v151, v7, v4
	s_delay_alu instid0(VALU_DEP_2) | instskip(NEXT) | instid1(VALU_DEP_2)
	v_fmac_f32_e32 v149, v6, v1
	v_fma_f32 v150, v5, v1, -v2
	v_mul_f32_e32 v1, v8, v4
	s_delay_alu instid0(VALU_DEP_4) | instskip(NEXT) | instid1(VALU_DEP_2)
	v_fmac_f32_e32 v151, v8, v3
	v_fma_f32 v152, v7, v3, -v1
	ds_load_b128 v[1:4], v21 offset:608
	ds_load_b128 v[5:8], v21 offset:624
	s_wait_loadcnt_dscnt 0x1
	v_mul_f32_e32 v153, v1, v10
	v_mul_f32_e32 v155, v3, v12
	s_delay_alu instid0(VALU_DEP_2) | instskip(NEXT) | instid1(VALU_DEP_2)
	v_fmac_f32_e32 v153, v2, v9
	v_dual_mul_f32 v2, v2, v10 :: v_dual_fmac_f32 v155, v4, v11
	s_delay_alu instid0(VALU_DEP_1) | instskip(SKIP_1) | instid1(VALU_DEP_1)
	v_fma_f32 v154, v1, v9, -v2
	v_mul_f32_e32 v1, v4, v12
	;; [unrolled: 25-line block ×4, first 2 shown]
	v_fma_f32 v172, v3, v11, -v1
	s_clause 0x1
	scratch_load_b128 v[1:4], off, off offset:304
	scratch_load_b128 v[9:12], off, off offset:320
	s_wait_loadcnt_dscnt 0x100
	v_mul_f32_e32 v173, v5, v2
	v_mul_f32_e32 v2, v6, v2
	s_delay_alu instid0(VALU_DEP_1) | instskip(SKIP_1) | instid1(VALU_DEP_1)
	v_fma_f32 v174, v5, v1, -v2
	v_add_f32_e32 v2, 0, v134
	v_add_f32_e32 v2, v2, v135
	s_delay_alu instid0(VALU_DEP_1) | instskip(NEXT) | instid1(VALU_DEP_1)
	v_add_f32_e32 v2, v2, v25
	v_add_f32_e32 v2, v2, v26
	s_delay_alu instid0(VALU_DEP_1) | instskip(NEXT) | instid1(VALU_DEP_1)
	;; [unrolled: 3-line block ×7, first 2 shown]
	v_add_f32_e32 v2, v2, v141
	v_add_f32_e32 v2, v2, v143
	v_fmac_f32_e32 v173, v6, v1
	v_mul_f32_e32 v1, v8, v4
	s_delay_alu instid0(VALU_DEP_1) | instskip(SKIP_1) | instid1(VALU_DEP_1)
	v_fma_f32 v176, v7, v3, -v1
	v_add_f32_e32 v1, 0, v22
	v_add_f32_e32 v1, v1, v24
	s_delay_alu instid0(VALU_DEP_1) | instskip(NEXT) | instid1(VALU_DEP_1)
	v_add_f32_e32 v1, v1, v124
	v_add_f32_e32 v1, v1, v125
	s_delay_alu instid0(VALU_DEP_1) | instskip(NEXT) | instid1(VALU_DEP_1)
	;; [unrolled: 3-line block ×9, first 2 shown]
	v_dual_mul_f32 v175, v7, v4 :: v_dual_add_f32 v6, v6, v150
	v_add_f32_e32 v13, v6, v152
	s_delay_alu instid0(VALU_DEP_1) | instskip(NEXT) | instid1(VALU_DEP_1)
	v_add_f32_e32 v13, v13, v154
	v_add_f32_e32 v13, v13, v156
	s_delay_alu instid0(VALU_DEP_1) | instskip(NEXT) | instid1(VALU_DEP_1)
	v_add_f32_e32 v13, v13, v158
	v_dual_add_f32 v5, v2, v145 :: v_dual_add_f32 v18, v13, v160
	s_delay_alu instid0(VALU_DEP_1) | instskip(NEXT) | instid1(VALU_DEP_1)
	v_dual_add_f32 v5, v5, v147 :: v_dual_add_f32 v18, v18, v162
	v_dual_add_f32 v5, v5, v149 :: v_dual_add_f32 v18, v18, v164
	s_delay_alu instid0(VALU_DEP_1)
	v_add_f32_e32 v14, v5, v151
	v_fmac_f32_e32 v175, v8, v3
	ds_load_b128 v[1:4], v21 offset:704
	ds_load_b128 v[5:8], v21 offset:720
	v_add_f32_e32 v24, v18, v166
	v_add_f32_e32 v14, v14, v153
	s_delay_alu instid0(VALU_DEP_1)
	v_add_f32_e32 v14, v14, v155
	s_wait_loadcnt_dscnt 0x1
	v_mul_f32_e32 v22, v1, v10
	v_mul_f32_e32 v124, v3, v12
	;; [unrolled: 1-line block ×4, first 2 shown]
	s_delay_alu instid0(VALU_DEP_4) | instskip(NEXT) | instid1(VALU_DEP_4)
	v_fmac_f32_e32 v22, v2, v9
	v_fmac_f32_e32 v124, v4, v11
	s_delay_alu instid0(VALU_DEP_4) | instskip(NEXT) | instid1(VALU_DEP_4)
	v_fma_f32 v125, v1, v9, -v10
	v_fma_f32 v126, v3, v11, -v12
	s_clause 0x1
	scratch_load_b128 v[1:4], off, off offset:336
	scratch_load_b128 v[9:12], off, off offset:352
	v_add_f32_e32 v17, v14, v157
	scratch_load_b128 v[13:16], off, off offset:368
	v_add_f32_e32 v17, v17, v159
	s_delay_alu instid0(VALU_DEP_1) | instskip(NEXT) | instid1(VALU_DEP_1)
	v_add_f32_e32 v17, v17, v161
	v_add_f32_e32 v17, v17, v163
	s_delay_alu instid0(VALU_DEP_1)
	v_add_f32_e32 v25, v17, v165
	ds_load_b128 v[17:20], v21 offset:736
	v_dual_add_f32 v127, v24, v168 :: v_dual_add_f32 v128, v25, v167
	ds_load_b128 v[24:27], v21 offset:752
	s_wait_loadcnt_dscnt 0x101
	v_dual_mul_f32 v129, v7, v4 :: v_dual_mul_f32 v130, v17, v10
	v_add_f32_e32 v21, v127, v170
	v_add_f32_e32 v127, v128, v169
	s_wait_loadcnt_dscnt 0x0
	v_mul_f32_e32 v134, v24, v14
	v_mul_f32_e32 v128, v5, v2
	v_dual_mul_f32 v2, v6, v2 :: v_dual_add_f32 v21, v21, v172
	s_delay_alu instid0(VALU_DEP_3) | instskip(SKIP_1) | instid1(VALU_DEP_3)
	v_dual_add_f32 v127, v127, v171 :: v_dual_fmac_f32 v134, v25, v13
	v_mul_f32_e32 v4, v8, v4
	v_fma_f32 v2, v5, v1, -v2
	s_delay_alu instid0(VALU_DEP_4) | instskip(NEXT) | instid1(VALU_DEP_4)
	v_add_f32_e32 v21, v21, v174
	v_add_f32_e32 v127, v127, v173
	v_fmac_f32_e32 v128, v6, v1
	v_dual_mul_f32 v6, v18, v10 :: v_dual_fmac_f32 v129, v8, v3
	s_delay_alu instid0(VALU_DEP_4) | instskip(NEXT) | instid1(VALU_DEP_4)
	v_add_f32_e32 v21, v21, v176
	v_add_f32_e32 v127, v127, v175
	v_fma_f32 v3, v7, v3, -v4
	v_mul_f32_e32 v131, v19, v12
	s_delay_alu instid0(VALU_DEP_4) | instskip(NEXT) | instid1(VALU_DEP_4)
	v_dual_mul_f32 v4, v20, v12 :: v_dual_add_f32 v21, v21, v125
	v_add_f32_e32 v22, v127, v22
	s_delay_alu instid0(VALU_DEP_3) | instskip(NEXT) | instid1(VALU_DEP_3)
	v_dual_fmac_f32 v130, v18, v9 :: v_dual_fmac_f32 v131, v20, v11
	v_fma_f32 v4, v19, v11, -v4
	s_delay_alu instid0(VALU_DEP_4) | instskip(NEXT) | instid1(VALU_DEP_4)
	v_add_f32_e32 v1, v21, v126
	v_add_f32_e32 v5, v22, v124
	v_mul_f32_e32 v125, v26, v16
	s_delay_alu instid0(VALU_DEP_3) | instskip(NEXT) | instid1(VALU_DEP_3)
	v_add_f32_e32 v1, v1, v2
	v_add_f32_e32 v2, v5, v128
	v_fma_f32 v5, v17, v9, -v6
	s_delay_alu instid0(VALU_DEP_4) | instskip(NEXT) | instid1(VALU_DEP_3)
	v_fmac_f32_e32 v125, v27, v15
	v_dual_add_f32 v1, v1, v3 :: v_dual_add_f32 v2, v2, v129
	v_mul_f32_e32 v3, v25, v14
	s_delay_alu instid0(VALU_DEP_2) | instskip(SKIP_1) | instid1(VALU_DEP_3)
	v_dual_add_f32 v1, v1, v5 :: v_dual_add_f32 v2, v2, v130
	v_mul_f32_e32 v5, v27, v16
	v_fma_f32 v3, v24, v13, -v3
	s_delay_alu instid0(VALU_DEP_3) | instskip(NEXT) | instid1(VALU_DEP_3)
	v_dual_add_f32 v1, v1, v4 :: v_dual_add_f32 v2, v2, v131
	v_fma_f32 v4, v26, v15, -v5
	s_delay_alu instid0(VALU_DEP_2) | instskip(NEXT) | instid1(VALU_DEP_1)
	v_dual_add_f32 v1, v1, v3 :: v_dual_add_f32 v2, v2, v134
	v_dual_add_f32 v1, v1, v4 :: v_dual_add_f32 v2, v2, v125
	s_delay_alu instid0(VALU_DEP_1)
	v_dual_sub_f32 v1, v132, v1 :: v_dual_sub_f32 v2, v133, v2
	scratch_store_b64 off, v[1:2], off offset:56
	v_cmpx_lt_u32_e32 6, v0
	s_cbranch_execz .LBB47_289
; %bb.288:
	scratch_load_b64 v[1:2], off, off offset:48
	v_mov_b32_e32 v3, 0
	s_delay_alu instid0(VALU_DEP_1)
	v_mov_b32_e32 v4, v3
	scratch_store_b64 off, v[3:4], off offset:48
	s_wait_loadcnt 0x0
	ds_store_b64 v23, v[1:2]
.LBB47_289:
	s_wait_alu 0xfffe
	s_or_b32 exec_lo, exec_lo, s0
	s_wait_storecnt_dscnt 0x0
	s_barrier_signal -1
	s_barrier_wait -1
	global_inv scope:SCOPE_SE
	s_clause 0x4
	scratch_load_b128 v[5:8], off, off offset:56
	scratch_load_b128 v[1:4], off, off offset:72
	;; [unrolled: 1-line block ×5, first 2 shown]
	v_mov_b32_e32 v21, 0
	ds_load_2addr_b64 v[24:27], v21 offset0:55 offset1:56
	ds_load_2addr_b64 v[124:127], v21 offset0:57 offset1:58
	;; [unrolled: 1-line block ×3, first 2 shown]
	scratch_load_b64 v[132:133], off, off offset:48
	s_mov_b32 s0, exec_lo
	s_wait_loadcnt_dscnt 0x502
	v_mul_f32_e32 v22, v25, v6
	v_dual_mul_f32 v134, v24, v6 :: v_dual_mul_f32 v135, v26, v8
	v_mul_f32_e32 v6, v27, v8
	s_delay_alu instid0(VALU_DEP_3) | instskip(NEXT) | instid1(VALU_DEP_3)
	v_fma_f32 v22, v24, v5, -v22
	v_dual_fmac_f32 v134, v25, v5 :: v_dual_fmac_f32 v135, v27, v7
	s_wait_loadcnt_dscnt 0x401
	v_mul_f32_e32 v25, v124, v2
	v_fma_f32 v24, v26, v7, -v6
	ds_load_2addr_b64 v[5:8], v21 offset0:61 offset1:62
	s_wait_loadcnt_dscnt 0x301
	v_dual_mul_f32 v26, v126, v4 :: v_dual_mul_f32 v27, v128, v10
	v_dual_mul_f32 v4, v127, v4 :: v_dual_fmac_f32 v25, v125, v1
	v_mul_f32_e32 v10, v129, v10
	s_delay_alu instid0(VALU_DEP_3)
	v_dual_mul_f32 v136, v130, v12 :: v_dual_fmac_f32 v27, v129, v9
	v_mul_f32_e32 v12, v131, v12
	v_mul_f32_e32 v2, v125, v2
	v_fmac_f32_e32 v26, v127, v3
	v_fma_f32 v125, v126, v3, -v4
	v_fma_f32 v126, v128, v9, -v10
	v_fmac_f32_e32 v136, v131, v11
	v_fma_f32 v127, v130, v11, -v12
	ds_load_2addr_b64 v[9:12], v21 offset0:63 offset1:64
	s_wait_loadcnt_dscnt 0x201
	v_mul_f32_e32 v129, v7, v16
	v_fma_f32 v124, v124, v1, -v2
	scratch_load_b128 v[1:4], off, off offset:136
	v_mul_f32_e32 v128, v5, v14
	v_mul_f32_e32 v14, v6, v14
	;; [unrolled: 1-line block ×3, first 2 shown]
	s_delay_alu instid0(VALU_DEP_3) | instskip(NEXT) | instid1(VALU_DEP_3)
	v_dual_fmac_f32 v129, v8, v15 :: v_dual_fmac_f32 v128, v6, v13
	v_fma_f32 v13, v5, v13, -v14
	s_delay_alu instid0(VALU_DEP_3)
	v_fma_f32 v14, v7, v15, -v16
	ds_load_2addr_b64 v[5:8], v21 offset0:65 offset1:66
	s_wait_loadcnt_dscnt 0x201
	v_mul_f32_e32 v15, v9, v18
	v_mul_f32_e32 v16, v10, v18
	;; [unrolled: 1-line block ×3, first 2 shown]
	s_delay_alu instid0(VALU_DEP_3) | instskip(NEXT) | instid1(VALU_DEP_3)
	v_dual_mul_f32 v20, v12, v20 :: v_dual_fmac_f32 v15, v10, v17
	v_fma_f32 v16, v9, v17, -v16
	s_delay_alu instid0(VALU_DEP_3) | instskip(NEXT) | instid1(VALU_DEP_3)
	v_fmac_f32_e32 v18, v12, v19
	v_fma_f32 v17, v11, v19, -v20
	scratch_load_b128 v[9:12], off, off offset:152
	s_wait_loadcnt_dscnt 0x100
	v_mul_f32_e32 v19, v5, v2
	v_mul_f32_e32 v2, v6, v2
	;; [unrolled: 1-line block ×3, first 2 shown]
	s_delay_alu instid0(VALU_DEP_3) | instskip(NEXT) | instid1(VALU_DEP_3)
	v_dual_mul_f32 v4, v8, v4 :: v_dual_fmac_f32 v19, v6, v1
	v_fma_f32 v130, v5, v1, -v2
	s_delay_alu instid0(VALU_DEP_3) | instskip(NEXT) | instid1(VALU_DEP_3)
	v_fmac_f32_e32 v20, v8, v3
	v_fma_f32 v131, v7, v3, -v4
	ds_load_2addr_b64 v[1:4], v21 offset0:67 offset1:68
	ds_load_2addr_b64 v[5:8], v21 offset0:69 offset1:70
	s_wait_loadcnt_dscnt 0x1
	v_mul_f32_e32 v137, v1, v10
	v_mul_f32_e32 v10, v2, v10
	s_delay_alu instid0(VALU_DEP_2) | instskip(NEXT) | instid1(VALU_DEP_2)
	v_dual_mul_f32 v138, v3, v12 :: v_dual_fmac_f32 v137, v2, v9
	v_fma_f32 v139, v1, v9, -v10
	v_mul_f32_e32 v1, v4, v12
	s_delay_alu instid0(VALU_DEP_3) | instskip(NEXT) | instid1(VALU_DEP_2)
	v_fmac_f32_e32 v138, v4, v11
	v_fma_f32 v140, v3, v11, -v1
	s_clause 0x1
	scratch_load_b128 v[1:4], off, off offset:168
	scratch_load_b128 v[9:12], off, off offset:184
	s_wait_loadcnt_dscnt 0x100
	v_mul_f32_e32 v141, v5, v2
	v_dual_mul_f32 v2, v6, v2 :: v_dual_mul_f32 v143, v7, v4
	s_delay_alu instid0(VALU_DEP_2) | instskip(NEXT) | instid1(VALU_DEP_2)
	v_fmac_f32_e32 v141, v6, v1
	v_fma_f32 v142, v5, v1, -v2
	v_mul_f32_e32 v1, v8, v4
	s_delay_alu instid0(VALU_DEP_4) | instskip(NEXT) | instid1(VALU_DEP_2)
	v_fmac_f32_e32 v143, v8, v3
	v_fma_f32 v144, v7, v3, -v1
	ds_load_2addr_b64 v[1:4], v21 offset0:71 offset1:72
	ds_load_2addr_b64 v[5:8], v21 offset0:73 offset1:74
	s_wait_loadcnt_dscnt 0x1
	v_mul_f32_e32 v145, v1, v10
	v_mul_f32_e32 v147, v3, v12
	s_delay_alu instid0(VALU_DEP_2) | instskip(NEXT) | instid1(VALU_DEP_2)
	v_fmac_f32_e32 v145, v2, v9
	v_dual_mul_f32 v2, v2, v10 :: v_dual_fmac_f32 v147, v4, v11
	s_delay_alu instid0(VALU_DEP_1) | instskip(SKIP_1) | instid1(VALU_DEP_1)
	v_fma_f32 v146, v1, v9, -v2
	v_mul_f32_e32 v1, v4, v12
	v_fma_f32 v148, v3, v11, -v1
	s_clause 0x1
	scratch_load_b128 v[1:4], off, off offset:200
	scratch_load_b128 v[9:12], off, off offset:216
	s_wait_loadcnt_dscnt 0x100
	v_mul_f32_e32 v149, v5, v2
	v_dual_mul_f32 v151, v7, v4 :: v_dual_mul_f32 v2, v6, v2
	s_delay_alu instid0(VALU_DEP_2) | instskip(NEXT) | instid1(VALU_DEP_2)
	v_fmac_f32_e32 v149, v6, v1
	v_fmac_f32_e32 v151, v8, v3
	s_delay_alu instid0(VALU_DEP_3) | instskip(SKIP_1) | instid1(VALU_DEP_1)
	v_fma_f32 v150, v5, v1, -v2
	v_mul_f32_e32 v1, v8, v4
	v_fma_f32 v152, v7, v3, -v1
	ds_load_2addr_b64 v[1:4], v21 offset0:75 offset1:76
	ds_load_2addr_b64 v[5:8], v21 offset0:77 offset1:78
	s_wait_loadcnt_dscnt 0x1
	v_mul_f32_e32 v153, v1, v10
	v_mul_f32_e32 v155, v3, v12
	s_delay_alu instid0(VALU_DEP_2) | instskip(NEXT) | instid1(VALU_DEP_2)
	v_fmac_f32_e32 v153, v2, v9
	v_dual_mul_f32 v2, v2, v10 :: v_dual_fmac_f32 v155, v4, v11
	s_delay_alu instid0(VALU_DEP_1) | instskip(SKIP_1) | instid1(VALU_DEP_1)
	v_fma_f32 v154, v1, v9, -v2
	v_mul_f32_e32 v1, v4, v12
	v_fma_f32 v156, v3, v11, -v1
	s_clause 0x1
	scratch_load_b128 v[1:4], off, off offset:232
	scratch_load_b128 v[9:12], off, off offset:248
	s_wait_loadcnt_dscnt 0x100
	v_mul_f32_e32 v157, v5, v2
	v_dual_mul_f32 v2, v6, v2 :: v_dual_mul_f32 v159, v7, v4
	s_delay_alu instid0(VALU_DEP_2) | instskip(NEXT) | instid1(VALU_DEP_2)
	v_fmac_f32_e32 v157, v6, v1
	v_fma_f32 v158, v5, v1, -v2
	v_mul_f32_e32 v1, v8, v4
	s_delay_alu instid0(VALU_DEP_4) | instskip(NEXT) | instid1(VALU_DEP_2)
	v_fmac_f32_e32 v159, v8, v3
	v_fma_f32 v160, v7, v3, -v1
	ds_load_2addr_b64 v[1:4], v21 offset0:79 offset1:80
	ds_load_2addr_b64 v[5:8], v21 offset0:81 offset1:82
	s_wait_loadcnt_dscnt 0x1
	v_mul_f32_e32 v161, v1, v10
	v_mul_f32_e32 v163, v3, v12
	s_delay_alu instid0(VALU_DEP_2) | instskip(NEXT) | instid1(VALU_DEP_2)
	v_fmac_f32_e32 v161, v2, v9
	v_dual_mul_f32 v2, v2, v10 :: v_dual_fmac_f32 v163, v4, v11
	s_delay_alu instid0(VALU_DEP_1) | instskip(SKIP_1) | instid1(VALU_DEP_1)
	v_fma_f32 v162, v1, v9, -v2
	v_mul_f32_e32 v1, v4, v12
	v_fma_f32 v164, v3, v11, -v1
	s_clause 0x1
	scratch_load_b128 v[1:4], off, off offset:264
	scratch_load_b128 v[9:12], off, off offset:280
	s_wait_loadcnt_dscnt 0x100
	v_mul_f32_e32 v165, v5, v2
	v_dual_mul_f32 v2, v6, v2 :: v_dual_mul_f32 v167, v7, v4
	s_delay_alu instid0(VALU_DEP_2) | instskip(NEXT) | instid1(VALU_DEP_2)
	v_fmac_f32_e32 v165, v6, v1
	v_fma_f32 v166, v5, v1, -v2
	v_mul_f32_e32 v1, v8, v4
	s_delay_alu instid0(VALU_DEP_4) | instskip(NEXT) | instid1(VALU_DEP_2)
	v_fmac_f32_e32 v167, v8, v3
	v_fma_f32 v168, v7, v3, -v1
	ds_load_2addr_b64 v[1:4], v21 offset0:83 offset1:84
	ds_load_2addr_b64 v[5:8], v21 offset0:85 offset1:86
	s_wait_loadcnt_dscnt 0x1
	v_mul_f32_e32 v169, v1, v10
	v_mul_f32_e32 v171, v3, v12
	s_delay_alu instid0(VALU_DEP_2) | instskip(NEXT) | instid1(VALU_DEP_2)
	v_fmac_f32_e32 v169, v2, v9
	v_dual_mul_f32 v2, v2, v10 :: v_dual_fmac_f32 v171, v4, v11
	s_delay_alu instid0(VALU_DEP_1) | instskip(SKIP_1) | instid1(VALU_DEP_1)
	v_fma_f32 v170, v1, v9, -v2
	v_mul_f32_e32 v1, v4, v12
	v_fma_f32 v172, v3, v11, -v1
	s_clause 0x1
	scratch_load_b128 v[1:4], off, off offset:296
	scratch_load_b128 v[9:12], off, off offset:312
	s_wait_loadcnt_dscnt 0x100
	v_mul_f32_e32 v173, v5, v2
	v_mul_f32_e32 v2, v6, v2
	s_delay_alu instid0(VALU_DEP_2) | instskip(NEXT) | instid1(VALU_DEP_2)
	v_fmac_f32_e32 v173, v6, v1
	v_fma_f32 v174, v5, v1, -v2
	v_dual_add_f32 v2, 0, v134 :: v_dual_mul_f32 v1, v8, v4
	s_delay_alu instid0(VALU_DEP_1) | instskip(NEXT) | instid1(VALU_DEP_2)
	v_add_f32_e32 v2, v2, v135
	v_fma_f32 v176, v7, v3, -v1
	s_delay_alu instid0(VALU_DEP_2) | instskip(NEXT) | instid1(VALU_DEP_1)
	v_dual_add_f32 v1, 0, v22 :: v_dual_add_f32 v2, v2, v25
	v_dual_add_f32 v1, v1, v24 :: v_dual_add_f32 v2, v2, v26
	s_delay_alu instid0(VALU_DEP_1) | instskip(NEXT) | instid1(VALU_DEP_1)
	v_dual_add_f32 v1, v1, v124 :: v_dual_add_f32 v2, v2, v27
	v_add_f32_e32 v1, v1, v125
	scratch_load_b64 v[124:125], off, off offset:376
	v_dual_add_f32 v2, v2, v136 :: v_dual_add_f32 v1, v1, v126
	s_delay_alu instid0(VALU_DEP_1) | instskip(NEXT) | instid1(VALU_DEP_1)
	v_dual_add_f32 v2, v2, v128 :: v_dual_add_f32 v1, v1, v127
	v_add_f32_e32 v2, v2, v129
	s_delay_alu instid0(VALU_DEP_1) | instskip(NEXT) | instid1(VALU_DEP_1)
	v_dual_add_f32 v1, v1, v13 :: v_dual_add_f32 v2, v2, v15
	v_add_f32_e32 v2, v2, v18
	s_delay_alu instid0(VALU_DEP_1) | instskip(NEXT) | instid1(VALU_DEP_1)
	v_add_f32_e32 v2, v2, v19
	v_add_f32_e32 v2, v2, v20
	s_delay_alu instid0(VALU_DEP_1) | instskip(NEXT) | instid1(VALU_DEP_1)
	v_add_f32_e32 v2, v2, v137
	v_add_f32_e32 v2, v2, v138
	s_delay_alu instid0(VALU_DEP_1) | instskip(NEXT) | instid1(VALU_DEP_1)
	v_dual_add_f32 v2, v2, v141 :: v_dual_add_f32 v1, v1, v14
	v_dual_add_f32 v2, v2, v143 :: v_dual_add_f32 v1, v1, v16
	s_delay_alu instid0(VALU_DEP_1) | instskip(NEXT) | instid1(VALU_DEP_1)
	v_add_f32_e32 v1, v1, v17
	v_add_f32_e32 v1, v1, v130
	s_delay_alu instid0(VALU_DEP_1) | instskip(NEXT) | instid1(VALU_DEP_1)
	v_add_f32_e32 v1, v1, v131
	v_add_f32_e32 v1, v1, v139
	;; [unrolled: 3-line block ×4, first 2 shown]
	s_delay_alu instid0(VALU_DEP_1) | instskip(NEXT) | instid1(VALU_DEP_1)
	v_add_f32_e32 v6, v1, v148
	v_dual_mul_f32 v175, v7, v4 :: v_dual_add_f32 v6, v6, v150
	s_delay_alu instid0(VALU_DEP_1) | instskip(NEXT) | instid1(VALU_DEP_2)
	v_fmac_f32_e32 v175, v8, v3
	v_add_f32_e32 v13, v6, v152
	s_delay_alu instid0(VALU_DEP_1) | instskip(NEXT) | instid1(VALU_DEP_1)
	v_add_f32_e32 v13, v13, v154
	v_add_f32_e32 v13, v13, v156
	s_delay_alu instid0(VALU_DEP_1) | instskip(SKIP_3) | instid1(VALU_DEP_1)
	v_add_f32_e32 v13, v13, v158
	v_add_f32_e32 v5, v2, v145
	ds_load_2addr_b64 v[1:4], v21 offset0:87 offset1:88
	v_add_f32_e32 v18, v13, v160
	v_dual_add_f32 v5, v5, v147 :: v_dual_add_f32 v18, v18, v162
	s_delay_alu instid0(VALU_DEP_1) | instskip(NEXT) | instid1(VALU_DEP_1)
	v_dual_add_f32 v5, v5, v149 :: v_dual_add_f32 v18, v18, v164
	v_add_f32_e32 v14, v5, v151
	ds_load_2addr_b64 v[5:8], v21 offset0:89 offset1:90
	v_add_f32_e32 v18, v18, v166
	v_add_f32_e32 v14, v14, v153
	s_wait_loadcnt_dscnt 0x101
	v_mul_f32_e32 v22, v1, v10
	v_mul_f32_e32 v10, v2, v10
	;; [unrolled: 1-line block ×4, first 2 shown]
	v_add_f32_e32 v18, v18, v168
	v_fmac_f32_e32 v22, v2, v9
	v_fma_f32 v129, v1, v9, -v10
	v_fmac_f32_e32 v128, v4, v11
	v_fma_f32 v130, v3, v11, -v12
	s_clause 0x1
	scratch_load_b128 v[1:4], off, off offset:328
	scratch_load_b128 v[9:12], off, off offset:344
	v_add_f32_e32 v126, v18, v170
	v_add_f32_e32 v14, v14, v155
	s_delay_alu instid0(VALU_DEP_2) | instskip(NEXT) | instid1(VALU_DEP_1)
	v_add_f32_e32 v131, v126, v172
	v_add_f32_e32 v131, v131, v174
	s_delay_alu instid0(VALU_DEP_1) | instskip(NEXT) | instid1(VALU_DEP_1)
	v_add_f32_e32 v131, v131, v176
	v_add_f32_e32 v129, v131, v129
	s_delay_alu instid0(VALU_DEP_1)
	v_add_f32_e32 v129, v129, v130
	s_wait_loadcnt_dscnt 0x100
	v_mul_f32_e32 v135, v5, v2
	v_mul_f32_e32 v2, v6, v2
	;; [unrolled: 1-line block ×4, first 2 shown]
	s_delay_alu instid0(VALU_DEP_3)
	v_fma_f32 v2, v5, v1, -v2
	v_add_f32_e32 v17, v14, v157
	scratch_load_b128 v[13:16], off, off offset:360
	v_fmac_f32_e32 v136, v8, v3
	v_add_f32_e32 v2, v129, v2
	v_add_f32_e32 v17, v17, v159
	s_delay_alu instid0(VALU_DEP_1) | instskip(NEXT) | instid1(VALU_DEP_1)
	v_add_f32_e32 v17, v17, v161
	v_add_f32_e32 v17, v17, v163
	s_delay_alu instid0(VALU_DEP_1) | instskip(NEXT) | instid1(VALU_DEP_1)
	v_add_f32_e32 v17, v17, v165
	v_add_f32_e32 v24, v17, v167
	ds_load_2addr_b64 v[17:20], v21 offset0:91 offset1:92
	v_add_f32_e32 v127, v24, v169
	ds_load_2addr_b64 v[24:27], v21 offset0:93 offset1:94
	v_add_f32_e32 v134, v127, v171
	ds_load_b64 v[126:127], v21 offset:760
	v_add_f32_e32 v134, v134, v173
	s_wait_loadcnt_dscnt 0x102
	s_delay_alu instid0(VALU_DEP_1) | instskip(NEXT) | instid1(VALU_DEP_1)
	v_dual_add_f32 v134, v134, v175 :: v_dual_mul_f32 v131, v17, v10
	v_dual_mul_f32 v5, v20, v12 :: v_dual_add_f32 v22, v134, v22
	s_delay_alu instid0(VALU_DEP_2) | instskip(NEXT) | instid1(VALU_DEP_2)
	v_dual_mul_f32 v134, v19, v12 :: v_dual_fmac_f32 v131, v18, v9
	v_fma_f32 v5, v19, v11, -v5
	s_delay_alu instid0(VALU_DEP_3) | instskip(NEXT) | instid1(VALU_DEP_3)
	v_add_f32_e32 v22, v22, v128
	v_fmac_f32_e32 v134, v20, v11
	s_wait_dscnt 0x0
	v_mul_f32_e32 v128, v126, v125
	s_delay_alu instid0(VALU_DEP_1) | instskip(SKIP_2) | instid1(VALU_DEP_3)
	v_dual_fmac_f32 v128, v127, v124 :: v_dual_fmac_f32 v135, v6, v1
	v_fma_f32 v1, v7, v3, -v4
	v_mul_f32_e32 v3, v18, v10
	v_add_f32_e32 v4, v22, v135
	s_delay_alu instid0(VALU_DEP_3) | instskip(NEXT) | instid1(VALU_DEP_3)
	v_add_f32_e32 v1, v2, v1
	v_fma_f32 v3, v17, v9, -v3
	s_delay_alu instid0(VALU_DEP_1) | instskip(NEXT) | instid1(VALU_DEP_1)
	v_dual_add_f32 v2, v4, v136 :: v_dual_add_f32 v1, v1, v3
	v_dual_add_f32 v2, v2, v131 :: v_dual_add_f32 v1, v1, v5
	s_delay_alu instid0(VALU_DEP_1)
	v_dual_mul_f32 v5, v127, v125 :: v_dual_add_f32 v2, v2, v134
	s_wait_loadcnt 0x0
	v_mul_f32_e32 v137, v24, v14
	v_mul_f32_e32 v4, v25, v14
	;; [unrolled: 1-line block ×4, first 2 shown]
	s_delay_alu instid0(VALU_DEP_4) | instskip(NEXT) | instid1(VALU_DEP_4)
	v_fmac_f32_e32 v137, v25, v13
	v_fma_f32 v4, v24, v13, -v4
	s_delay_alu instid0(VALU_DEP_4) | instskip(NEXT) | instid1(VALU_DEP_4)
	v_fmac_f32_e32 v130, v27, v15
	v_fma_f32 v3, v26, v15, -v3
	s_delay_alu instid0(VALU_DEP_3) | instskip(SKIP_1) | instid1(VALU_DEP_2)
	v_dual_add_f32 v2, v2, v137 :: v_dual_add_f32 v1, v1, v4
	v_fma_f32 v4, v126, v124, -v5
	v_dual_add_f32 v2, v2, v130 :: v_dual_add_f32 v1, v1, v3
	s_delay_alu instid0(VALU_DEP_1) | instskip(NEXT) | instid1(VALU_DEP_2)
	v_add_f32_e32 v2, v2, v128
	v_add_f32_e32 v1, v1, v4
	s_delay_alu instid0(VALU_DEP_1)
	v_dual_sub_f32 v2, v133, v2 :: v_dual_sub_f32 v1, v132, v1
	scratch_store_b64 off, v[1:2], off offset:48
	v_cmpx_lt_u32_e32 5, v0
	s_cbranch_execz .LBB47_291
; %bb.290:
	scratch_load_b64 v[1:2], off, off offset:40
	v_mov_b32_e32 v22, v21
	scratch_store_b64 off, v[21:22], off offset:40
	s_wait_loadcnt 0x0
	ds_store_b64 v23, v[1:2]
.LBB47_291:
	s_wait_alu 0xfffe
	s_or_b32 exec_lo, exec_lo, s0
	s_wait_storecnt_dscnt 0x0
	s_barrier_signal -1
	s_barrier_wait -1
	global_inv scope:SCOPE_SE
	s_clause 0x4
	scratch_load_b128 v[5:8], off, off offset:48
	scratch_load_b128 v[1:4], off, off offset:64
	;; [unrolled: 1-line block ×5, first 2 shown]
	ds_load_b128 v[24:27], v21 offset:432
	ds_load_b128 v[124:127], v21 offset:448
	;; [unrolled: 1-line block ×3, first 2 shown]
	scratch_load_b64 v[132:133], off, off offset:40
	s_mov_b32 s0, exec_lo
	s_wait_loadcnt_dscnt 0x502
	v_dual_mul_f32 v22, v25, v6 :: v_dual_mul_f32 v135, v26, v8
	v_mul_f32_e32 v134, v24, v6
	v_mul_f32_e32 v6, v27, v8
	s_wait_loadcnt_dscnt 0x300
	v_mul_f32_e32 v136, v130, v12
	v_fma_f32 v22, v24, v5, -v22
	v_dual_fmac_f32 v135, v27, v7 :: v_dual_fmac_f32 v134, v25, v5
	v_mul_f32_e32 v27, v128, v10
	v_mul_f32_e32 v25, v124, v2
	v_fma_f32 v24, v26, v7, -v6
	ds_load_b128 v[5:8], v21 offset:480
	v_mul_f32_e32 v26, v126, v4
	v_dual_mul_f32 v4, v127, v4 :: v_dual_fmac_f32 v27, v129, v9
	v_mul_f32_e32 v10, v129, v10
	v_mul_f32_e32 v12, v131, v12
	v_mul_f32_e32 v2, v125, v2
	v_dual_fmac_f32 v25, v125, v1 :: v_dual_fmac_f32 v26, v127, v3
	v_fma_f32 v125, v126, v3, -v4
	v_fma_f32 v126, v128, v9, -v10
	v_fmac_f32_e32 v136, v131, v11
	v_fma_f32 v127, v130, v11, -v12
	ds_load_b128 v[9:12], v21 offset:496
	s_wait_loadcnt_dscnt 0x201
	v_mul_f32_e32 v129, v7, v16
	v_fma_f32 v124, v124, v1, -v2
	scratch_load_b128 v[1:4], off, off offset:128
	v_mul_f32_e32 v128, v5, v14
	v_mul_f32_e32 v14, v6, v14
	;; [unrolled: 1-line block ×3, first 2 shown]
	s_delay_alu instid0(VALU_DEP_3) | instskip(NEXT) | instid1(VALU_DEP_3)
	v_dual_fmac_f32 v129, v8, v15 :: v_dual_fmac_f32 v128, v6, v13
	v_fma_f32 v13, v5, v13, -v14
	s_delay_alu instid0(VALU_DEP_3)
	v_fma_f32 v14, v7, v15, -v16
	ds_load_b128 v[5:8], v21 offset:512
	s_wait_loadcnt_dscnt 0x201
	v_mul_f32_e32 v15, v9, v18
	v_mul_f32_e32 v16, v10, v18
	;; [unrolled: 1-line block ×3, first 2 shown]
	s_delay_alu instid0(VALU_DEP_3) | instskip(NEXT) | instid1(VALU_DEP_3)
	v_dual_mul_f32 v20, v12, v20 :: v_dual_fmac_f32 v15, v10, v17
	v_fma_f32 v16, v9, v17, -v16
	s_delay_alu instid0(VALU_DEP_3) | instskip(NEXT) | instid1(VALU_DEP_3)
	v_fmac_f32_e32 v18, v12, v19
	v_fma_f32 v17, v11, v19, -v20
	scratch_load_b128 v[9:12], off, off offset:144
	s_wait_loadcnt_dscnt 0x100
	v_mul_f32_e32 v19, v5, v2
	v_mul_f32_e32 v2, v6, v2
	v_mul_f32_e32 v20, v7, v4
	s_delay_alu instid0(VALU_DEP_3) | instskip(NEXT) | instid1(VALU_DEP_3)
	v_dual_mul_f32 v4, v8, v4 :: v_dual_fmac_f32 v19, v6, v1
	v_fma_f32 v130, v5, v1, -v2
	s_delay_alu instid0(VALU_DEP_3) | instskip(NEXT) | instid1(VALU_DEP_3)
	v_fmac_f32_e32 v20, v8, v3
	v_fma_f32 v131, v7, v3, -v4
	ds_load_b128 v[1:4], v21 offset:528
	ds_load_b128 v[5:8], v21 offset:544
	s_wait_loadcnt_dscnt 0x1
	v_mul_f32_e32 v137, v1, v10
	v_mul_f32_e32 v10, v2, v10
	s_delay_alu instid0(VALU_DEP_2) | instskip(NEXT) | instid1(VALU_DEP_2)
	v_dual_mul_f32 v138, v3, v12 :: v_dual_fmac_f32 v137, v2, v9
	v_fma_f32 v139, v1, v9, -v10
	v_mul_f32_e32 v1, v4, v12
	s_delay_alu instid0(VALU_DEP_3) | instskip(NEXT) | instid1(VALU_DEP_2)
	v_fmac_f32_e32 v138, v4, v11
	v_fma_f32 v140, v3, v11, -v1
	s_clause 0x1
	scratch_load_b128 v[1:4], off, off offset:160
	scratch_load_b128 v[9:12], off, off offset:176
	s_wait_loadcnt_dscnt 0x100
	v_mul_f32_e32 v141, v5, v2
	v_dual_mul_f32 v2, v6, v2 :: v_dual_mul_f32 v143, v7, v4
	s_delay_alu instid0(VALU_DEP_2) | instskip(NEXT) | instid1(VALU_DEP_2)
	v_fmac_f32_e32 v141, v6, v1
	v_fma_f32 v142, v5, v1, -v2
	v_mul_f32_e32 v1, v8, v4
	s_delay_alu instid0(VALU_DEP_4) | instskip(NEXT) | instid1(VALU_DEP_2)
	v_fmac_f32_e32 v143, v8, v3
	v_fma_f32 v144, v7, v3, -v1
	ds_load_b128 v[1:4], v21 offset:560
	ds_load_b128 v[5:8], v21 offset:576
	s_wait_loadcnt_dscnt 0x1
	v_mul_f32_e32 v145, v1, v10
	v_mul_f32_e32 v147, v3, v12
	s_delay_alu instid0(VALU_DEP_2) | instskip(NEXT) | instid1(VALU_DEP_2)
	v_fmac_f32_e32 v145, v2, v9
	v_dual_mul_f32 v2, v2, v10 :: v_dual_fmac_f32 v147, v4, v11
	s_delay_alu instid0(VALU_DEP_1) | instskip(SKIP_1) | instid1(VALU_DEP_1)
	v_fma_f32 v146, v1, v9, -v2
	v_mul_f32_e32 v1, v4, v12
	v_fma_f32 v148, v3, v11, -v1
	s_clause 0x1
	scratch_load_b128 v[1:4], off, off offset:192
	scratch_load_b128 v[9:12], off, off offset:208
	s_wait_loadcnt_dscnt 0x100
	v_mul_f32_e32 v149, v5, v2
	v_dual_mul_f32 v2, v6, v2 :: v_dual_mul_f32 v151, v7, v4
	s_delay_alu instid0(VALU_DEP_2) | instskip(NEXT) | instid1(VALU_DEP_2)
	v_fmac_f32_e32 v149, v6, v1
	v_fma_f32 v150, v5, v1, -v2
	v_mul_f32_e32 v1, v8, v4
	s_delay_alu instid0(VALU_DEP_4) | instskip(NEXT) | instid1(VALU_DEP_2)
	v_fmac_f32_e32 v151, v8, v3
	v_fma_f32 v152, v7, v3, -v1
	ds_load_b128 v[1:4], v21 offset:592
	ds_load_b128 v[5:8], v21 offset:608
	s_wait_loadcnt_dscnt 0x1
	v_mul_f32_e32 v153, v1, v10
	v_mul_f32_e32 v155, v3, v12
	s_delay_alu instid0(VALU_DEP_2) | instskip(NEXT) | instid1(VALU_DEP_2)
	v_fmac_f32_e32 v153, v2, v9
	v_dual_mul_f32 v2, v2, v10 :: v_dual_fmac_f32 v155, v4, v11
	s_delay_alu instid0(VALU_DEP_1) | instskip(SKIP_1) | instid1(VALU_DEP_1)
	v_fma_f32 v154, v1, v9, -v2
	v_mul_f32_e32 v1, v4, v12
	;; [unrolled: 25-line block ×4, first 2 shown]
	v_fma_f32 v172, v3, v11, -v1
	s_clause 0x1
	scratch_load_b128 v[1:4], off, off offset:288
	scratch_load_b128 v[9:12], off, off offset:304
	s_wait_loadcnt_dscnt 0x100
	v_mul_f32_e32 v173, v5, v2
	v_mul_f32_e32 v2, v6, v2
	s_delay_alu instid0(VALU_DEP_1) | instskip(SKIP_1) | instid1(VALU_DEP_1)
	v_fma_f32 v174, v5, v1, -v2
	v_add_f32_e32 v2, 0, v134
	v_add_f32_e32 v2, v2, v135
	s_delay_alu instid0(VALU_DEP_1) | instskip(NEXT) | instid1(VALU_DEP_1)
	v_add_f32_e32 v2, v2, v25
	v_add_f32_e32 v2, v2, v26
	s_delay_alu instid0(VALU_DEP_1) | instskip(NEXT) | instid1(VALU_DEP_1)
	;; [unrolled: 3-line block ×7, first 2 shown]
	v_add_f32_e32 v2, v2, v141
	v_add_f32_e32 v2, v2, v143
	v_fmac_f32_e32 v173, v6, v1
	v_mul_f32_e32 v1, v8, v4
	s_delay_alu instid0(VALU_DEP_3) | instskip(NEXT) | instid1(VALU_DEP_2)
	v_dual_mul_f32 v175, v7, v4 :: v_dual_add_f32 v2, v2, v145
	v_fma_f32 v176, v7, v3, -v1
	v_add_f32_e32 v1, 0, v22
	s_delay_alu instid0(VALU_DEP_1) | instskip(NEXT) | instid1(VALU_DEP_1)
	v_add_f32_e32 v1, v1, v24
	v_add_f32_e32 v1, v1, v124
	s_delay_alu instid0(VALU_DEP_1) | instskip(NEXT) | instid1(VALU_DEP_1)
	v_add_f32_e32 v1, v1, v125
	;; [unrolled: 3-line block ×9, first 2 shown]
	v_dual_add_f32 v6, v1, v150 :: v_dual_fmac_f32 v175, v8, v3
	s_delay_alu instid0(VALU_DEP_1) | instskip(NEXT) | instid1(VALU_DEP_1)
	v_add_f32_e32 v14, v6, v152
	v_add_f32_e32 v14, v14, v154
	s_delay_alu instid0(VALU_DEP_1) | instskip(NEXT) | instid1(VALU_DEP_1)
	v_add_f32_e32 v17, v14, v156
	v_add_f32_e32 v17, v17, v158
	;; [unrolled: 3-line block ×4, first 2 shown]
	s_delay_alu instid0(VALU_DEP_1)
	v_add_f32_e32 v25, v25, v168
	v_add_f32_e32 v5, v2, v147
	ds_load_b128 v[1:4], v21 offset:688
	v_add_f32_e32 v13, v5, v149
	scratch_load_b128 v[5:8], off, off offset:320
	v_add_f32_e32 v13, v13, v151
	s_delay_alu instid0(VALU_DEP_1) | instskip(NEXT) | instid1(VALU_DEP_1)
	v_add_f32_e32 v13, v13, v153
	v_add_f32_e32 v18, v13, v155
	ds_load_b128 v[13:16], v21 offset:704
	s_wait_loadcnt_dscnt 0x101
	v_mul_f32_e32 v22, v1, v10
	v_mul_f32_e32 v10, v2, v10
	;; [unrolled: 1-line block ×4, first 2 shown]
	v_add_f32_e32 v18, v18, v157
	v_fmac_f32_e32 v22, v2, v9
	v_fma_f32 v125, v1, v9, -v10
	v_fmac_f32_e32 v124, v4, v11
	v_fma_f32 v126, v3, v11, -v12
	s_clause 0x1
	scratch_load_b128 v[1:4], off, off offset:336
	scratch_load_b128 v[9:12], off, off offset:352
	v_add_f32_e32 v18, v18, v159
	s_delay_alu instid0(VALU_DEP_1) | instskip(SKIP_3) | instid1(VALU_DEP_1)
	v_add_f32_e32 v24, v18, v161
	scratch_load_b128 v[17:20], off, off offset:368
	v_add_f32_e32 v24, v24, v163
	s_wait_loadcnt_dscnt 0x300
	v_dual_add_f32 v24, v24, v165 :: v_dual_mul_f32 v127, v13, v6
	v_mul_f32_e32 v6, v14, v6
	v_mul_f32_e32 v128, v15, v8
	s_delay_alu instid0(VALU_DEP_3) | instskip(NEXT) | instid1(VALU_DEP_3)
	v_dual_mul_f32 v8, v16, v8 :: v_dual_fmac_f32 v127, v14, v5
	v_fma_f32 v129, v13, v5, -v6
	v_dual_add_f32 v13, v24, v167 :: v_dual_add_f32 v24, v25, v170
	s_delay_alu instid0(VALU_DEP_4) | instskip(NEXT) | instid1(VALU_DEP_4)
	v_fmac_f32_e32 v128, v16, v7
	v_fma_f32 v130, v15, v7, -v8
	ds_load_b128 v[5:8], v21 offset:720
	v_add_f32_e32 v25, v13, v169
	v_add_f32_e32 v131, v24, v172
	ds_load_b128 v[13:16], v21 offset:736
	v_add_f32_e32 v134, v25, v171
	ds_load_b128 v[24:27], v21 offset:752
	v_add_f32_e32 v21, v131, v174
	v_add_f32_e32 v131, v134, v173
	s_delay_alu instid0(VALU_DEP_2) | instskip(NEXT) | instid1(VALU_DEP_2)
	v_add_f32_e32 v21, v21, v176
	v_add_f32_e32 v131, v131, v175
	s_delay_alu instid0(VALU_DEP_2) | instskip(SKIP_2) | instid1(VALU_DEP_3)
	v_add_f32_e32 v21, v21, v125
	s_wait_loadcnt_dscnt 0x202
	v_mul_f32_e32 v134, v5, v2
	v_add_f32_e32 v22, v131, v22
	v_mul_f32_e32 v2, v6, v2
	v_add_f32_e32 v21, v21, v126
	v_mul_f32_e32 v125, v7, v4
	v_mul_f32_e32 v4, v8, v4
	v_add_f32_e32 v22, v22, v124
	v_fma_f32 v2, v5, v1, -v2
	v_add_f32_e32 v21, v21, v129
	s_wait_loadcnt_dscnt 0x101
	v_dual_fmac_f32 v134, v6, v1 :: v_dual_mul_f32 v131, v13, v10
	v_add_f32_e32 v22, v22, v127
	v_mul_f32_e32 v6, v14, v10
	v_add_f32_e32 v1, v21, v130
	v_fmac_f32_e32 v125, v8, v3
	v_fma_f32 v3, v7, v3, -v4
	v_add_f32_e32 v5, v22, v128
	v_mul_f32_e32 v135, v15, v12
	v_dual_add_f32 v1, v1, v2 :: v_dual_mul_f32 v4, v16, v12
	s_delay_alu instid0(VALU_DEP_3) | instskip(SKIP_2) | instid1(VALU_DEP_3)
	v_dual_fmac_f32 v131, v14, v9 :: v_dual_add_f32 v2, v5, v134
	v_fma_f32 v5, v13, v9, -v6
	s_wait_loadcnt_dscnt 0x0
	v_dual_add_f32 v1, v1, v3 :: v_dual_mul_f32 v124, v24, v18
	s_delay_alu instid0(VALU_DEP_3) | instskip(SKIP_2) | instid1(VALU_DEP_4)
	v_dual_mul_f32 v3, v25, v18 :: v_dual_add_f32 v2, v2, v125
	v_fmac_f32_e32 v135, v16, v11
	v_fma_f32 v4, v15, v11, -v4
	v_dual_add_f32 v1, v1, v5 :: v_dual_mul_f32 v126, v26, v20
	s_delay_alu instid0(VALU_DEP_4) | instskip(SKIP_2) | instid1(VALU_DEP_3)
	v_dual_add_f32 v2, v2, v131 :: v_dual_mul_f32 v5, v27, v20
	v_fmac_f32_e32 v124, v25, v17
	v_fma_f32 v3, v24, v17, -v3
	v_dual_add_f32 v1, v1, v4 :: v_dual_add_f32 v2, v2, v135
	v_fmac_f32_e32 v126, v27, v19
	v_fma_f32 v4, v26, v19, -v5
	s_delay_alu instid0(VALU_DEP_3) | instskip(NEXT) | instid1(VALU_DEP_1)
	v_dual_add_f32 v1, v1, v3 :: v_dual_add_f32 v2, v2, v124
	v_dual_add_f32 v1, v1, v4 :: v_dual_add_f32 v2, v2, v126
	s_delay_alu instid0(VALU_DEP_1)
	v_dual_sub_f32 v1, v132, v1 :: v_dual_sub_f32 v2, v133, v2
	scratch_store_b64 off, v[1:2], off offset:40
	v_cmpx_lt_u32_e32 4, v0
	s_cbranch_execz .LBB47_293
; %bb.292:
	scratch_load_b64 v[1:2], off, off offset:32
	v_mov_b32_e32 v3, 0
	s_delay_alu instid0(VALU_DEP_1)
	v_mov_b32_e32 v4, v3
	scratch_store_b64 off, v[3:4], off offset:32
	s_wait_loadcnt 0x0
	ds_store_b64 v23, v[1:2]
.LBB47_293:
	s_wait_alu 0xfffe
	s_or_b32 exec_lo, exec_lo, s0
	s_wait_storecnt_dscnt 0x0
	s_barrier_signal -1
	s_barrier_wait -1
	global_inv scope:SCOPE_SE
	s_clause 0x4
	scratch_load_b128 v[5:8], off, off offset:40
	scratch_load_b128 v[1:4], off, off offset:56
	;; [unrolled: 1-line block ×5, first 2 shown]
	v_mov_b32_e32 v21, 0
	ds_load_2addr_b64 v[24:27], v21 offset0:53 offset1:54
	ds_load_2addr_b64 v[124:127], v21 offset0:55 offset1:56
	;; [unrolled: 1-line block ×3, first 2 shown]
	scratch_load_b64 v[132:133], off, off offset:32
	s_mov_b32 s0, exec_lo
	s_wait_loadcnt_dscnt 0x502
	v_mul_f32_e32 v22, v25, v6
	v_dual_mul_f32 v134, v24, v6 :: v_dual_mul_f32 v135, v26, v8
	v_mul_f32_e32 v6, v27, v8
	s_delay_alu instid0(VALU_DEP_3) | instskip(NEXT) | instid1(VALU_DEP_3)
	v_fma_f32 v22, v24, v5, -v22
	v_dual_fmac_f32 v134, v25, v5 :: v_dual_fmac_f32 v135, v27, v7
	s_wait_loadcnt_dscnt 0x401
	v_mul_f32_e32 v25, v124, v2
	v_fma_f32 v24, v26, v7, -v6
	ds_load_2addr_b64 v[5:8], v21 offset0:59 offset1:60
	s_wait_loadcnt_dscnt 0x301
	v_dual_mul_f32 v26, v126, v4 :: v_dual_mul_f32 v27, v128, v10
	v_dual_mul_f32 v4, v127, v4 :: v_dual_fmac_f32 v25, v125, v1
	v_mul_f32_e32 v10, v129, v10
	s_delay_alu instid0(VALU_DEP_3)
	v_dual_mul_f32 v136, v130, v12 :: v_dual_fmac_f32 v27, v129, v9
	v_mul_f32_e32 v12, v131, v12
	v_mul_f32_e32 v2, v125, v2
	v_fmac_f32_e32 v26, v127, v3
	v_fma_f32 v125, v126, v3, -v4
	v_fma_f32 v126, v128, v9, -v10
	v_fmac_f32_e32 v136, v131, v11
	v_fma_f32 v127, v130, v11, -v12
	ds_load_2addr_b64 v[9:12], v21 offset0:61 offset1:62
	s_wait_loadcnt_dscnt 0x201
	v_mul_f32_e32 v129, v7, v16
	v_fma_f32 v124, v124, v1, -v2
	scratch_load_b128 v[1:4], off, off offset:120
	v_mul_f32_e32 v128, v5, v14
	v_mul_f32_e32 v14, v6, v14
	;; [unrolled: 1-line block ×3, first 2 shown]
	s_delay_alu instid0(VALU_DEP_3) | instskip(NEXT) | instid1(VALU_DEP_3)
	v_dual_fmac_f32 v129, v8, v15 :: v_dual_fmac_f32 v128, v6, v13
	v_fma_f32 v13, v5, v13, -v14
	s_delay_alu instid0(VALU_DEP_3)
	v_fma_f32 v14, v7, v15, -v16
	ds_load_2addr_b64 v[5:8], v21 offset0:63 offset1:64
	s_wait_loadcnt_dscnt 0x201
	v_mul_f32_e32 v15, v9, v18
	v_mul_f32_e32 v16, v10, v18
	;; [unrolled: 1-line block ×3, first 2 shown]
	s_delay_alu instid0(VALU_DEP_3) | instskip(NEXT) | instid1(VALU_DEP_3)
	v_dual_mul_f32 v20, v12, v20 :: v_dual_fmac_f32 v15, v10, v17
	v_fma_f32 v16, v9, v17, -v16
	s_delay_alu instid0(VALU_DEP_3) | instskip(NEXT) | instid1(VALU_DEP_3)
	v_fmac_f32_e32 v18, v12, v19
	v_fma_f32 v17, v11, v19, -v20
	scratch_load_b128 v[9:12], off, off offset:136
	s_wait_loadcnt_dscnt 0x100
	v_mul_f32_e32 v19, v5, v2
	v_mul_f32_e32 v2, v6, v2
	;; [unrolled: 1-line block ×3, first 2 shown]
	s_delay_alu instid0(VALU_DEP_3) | instskip(NEXT) | instid1(VALU_DEP_3)
	v_dual_mul_f32 v4, v8, v4 :: v_dual_fmac_f32 v19, v6, v1
	v_fma_f32 v130, v5, v1, -v2
	s_delay_alu instid0(VALU_DEP_3) | instskip(NEXT) | instid1(VALU_DEP_3)
	v_fmac_f32_e32 v20, v8, v3
	v_fma_f32 v131, v7, v3, -v4
	ds_load_2addr_b64 v[1:4], v21 offset0:65 offset1:66
	ds_load_2addr_b64 v[5:8], v21 offset0:67 offset1:68
	s_wait_loadcnt_dscnt 0x1
	v_mul_f32_e32 v137, v1, v10
	v_mul_f32_e32 v10, v2, v10
	s_delay_alu instid0(VALU_DEP_2) | instskip(NEXT) | instid1(VALU_DEP_2)
	v_dual_mul_f32 v138, v3, v12 :: v_dual_fmac_f32 v137, v2, v9
	v_fma_f32 v139, v1, v9, -v10
	v_mul_f32_e32 v1, v4, v12
	s_delay_alu instid0(VALU_DEP_3) | instskip(NEXT) | instid1(VALU_DEP_2)
	v_fmac_f32_e32 v138, v4, v11
	v_fma_f32 v140, v3, v11, -v1
	s_clause 0x1
	scratch_load_b128 v[1:4], off, off offset:152
	scratch_load_b128 v[9:12], off, off offset:168
	s_wait_loadcnt_dscnt 0x100
	v_mul_f32_e32 v141, v5, v2
	v_dual_mul_f32 v2, v6, v2 :: v_dual_mul_f32 v143, v7, v4
	s_delay_alu instid0(VALU_DEP_2) | instskip(NEXT) | instid1(VALU_DEP_2)
	v_fmac_f32_e32 v141, v6, v1
	v_fma_f32 v142, v5, v1, -v2
	v_mul_f32_e32 v1, v8, v4
	s_delay_alu instid0(VALU_DEP_4) | instskip(NEXT) | instid1(VALU_DEP_2)
	v_fmac_f32_e32 v143, v8, v3
	v_fma_f32 v144, v7, v3, -v1
	ds_load_2addr_b64 v[1:4], v21 offset0:69 offset1:70
	ds_load_2addr_b64 v[5:8], v21 offset0:71 offset1:72
	s_wait_loadcnt_dscnt 0x1
	v_mul_f32_e32 v145, v1, v10
	v_mul_f32_e32 v147, v3, v12
	s_delay_alu instid0(VALU_DEP_2) | instskip(NEXT) | instid1(VALU_DEP_2)
	v_fmac_f32_e32 v145, v2, v9
	v_dual_mul_f32 v2, v2, v10 :: v_dual_fmac_f32 v147, v4, v11
	s_delay_alu instid0(VALU_DEP_1) | instskip(SKIP_1) | instid1(VALU_DEP_1)
	v_fma_f32 v146, v1, v9, -v2
	v_mul_f32_e32 v1, v4, v12
	v_fma_f32 v148, v3, v11, -v1
	s_clause 0x1
	scratch_load_b128 v[1:4], off, off offset:184
	scratch_load_b128 v[9:12], off, off offset:200
	s_wait_loadcnt_dscnt 0x100
	v_mul_f32_e32 v149, v5, v2
	v_dual_mul_f32 v151, v7, v4 :: v_dual_mul_f32 v2, v6, v2
	s_delay_alu instid0(VALU_DEP_2) | instskip(NEXT) | instid1(VALU_DEP_2)
	v_fmac_f32_e32 v149, v6, v1
	v_fmac_f32_e32 v151, v8, v3
	s_delay_alu instid0(VALU_DEP_3) | instskip(SKIP_1) | instid1(VALU_DEP_1)
	v_fma_f32 v150, v5, v1, -v2
	v_mul_f32_e32 v1, v8, v4
	v_fma_f32 v152, v7, v3, -v1
	ds_load_2addr_b64 v[1:4], v21 offset0:73 offset1:74
	ds_load_2addr_b64 v[5:8], v21 offset0:75 offset1:76
	s_wait_loadcnt_dscnt 0x1
	v_mul_f32_e32 v153, v1, v10
	v_mul_f32_e32 v155, v3, v12
	s_delay_alu instid0(VALU_DEP_2) | instskip(NEXT) | instid1(VALU_DEP_2)
	v_fmac_f32_e32 v153, v2, v9
	v_dual_mul_f32 v2, v2, v10 :: v_dual_fmac_f32 v155, v4, v11
	s_delay_alu instid0(VALU_DEP_1) | instskip(SKIP_1) | instid1(VALU_DEP_1)
	v_fma_f32 v154, v1, v9, -v2
	v_mul_f32_e32 v1, v4, v12
	v_fma_f32 v156, v3, v11, -v1
	s_clause 0x1
	scratch_load_b128 v[1:4], off, off offset:216
	scratch_load_b128 v[9:12], off, off offset:232
	s_wait_loadcnt_dscnt 0x100
	v_mul_f32_e32 v157, v5, v2
	v_dual_mul_f32 v2, v6, v2 :: v_dual_mul_f32 v159, v7, v4
	s_delay_alu instid0(VALU_DEP_2) | instskip(NEXT) | instid1(VALU_DEP_2)
	v_fmac_f32_e32 v157, v6, v1
	v_fma_f32 v158, v5, v1, -v2
	v_mul_f32_e32 v1, v8, v4
	s_delay_alu instid0(VALU_DEP_4) | instskip(NEXT) | instid1(VALU_DEP_2)
	v_fmac_f32_e32 v159, v8, v3
	v_fma_f32 v160, v7, v3, -v1
	ds_load_2addr_b64 v[1:4], v21 offset0:77 offset1:78
	ds_load_2addr_b64 v[5:8], v21 offset0:79 offset1:80
	s_wait_loadcnt_dscnt 0x1
	v_mul_f32_e32 v161, v1, v10
	v_mul_f32_e32 v163, v3, v12
	s_delay_alu instid0(VALU_DEP_2) | instskip(NEXT) | instid1(VALU_DEP_2)
	v_fmac_f32_e32 v161, v2, v9
	v_dual_mul_f32 v2, v2, v10 :: v_dual_fmac_f32 v163, v4, v11
	s_delay_alu instid0(VALU_DEP_1) | instskip(SKIP_1) | instid1(VALU_DEP_1)
	v_fma_f32 v162, v1, v9, -v2
	v_mul_f32_e32 v1, v4, v12
	v_fma_f32 v164, v3, v11, -v1
	s_clause 0x1
	scratch_load_b128 v[1:4], off, off offset:248
	scratch_load_b128 v[9:12], off, off offset:264
	s_wait_loadcnt_dscnt 0x100
	v_mul_f32_e32 v165, v5, v2
	v_dual_mul_f32 v2, v6, v2 :: v_dual_mul_f32 v167, v7, v4
	s_delay_alu instid0(VALU_DEP_2) | instskip(NEXT) | instid1(VALU_DEP_2)
	v_fmac_f32_e32 v165, v6, v1
	v_fma_f32 v166, v5, v1, -v2
	v_mul_f32_e32 v1, v8, v4
	s_delay_alu instid0(VALU_DEP_4) | instskip(NEXT) | instid1(VALU_DEP_2)
	v_fmac_f32_e32 v167, v8, v3
	v_fma_f32 v168, v7, v3, -v1
	ds_load_2addr_b64 v[1:4], v21 offset0:81 offset1:82
	ds_load_2addr_b64 v[5:8], v21 offset0:83 offset1:84
	s_wait_loadcnt_dscnt 0x1
	v_mul_f32_e32 v169, v1, v10
	v_mul_f32_e32 v171, v3, v12
	s_delay_alu instid0(VALU_DEP_2) | instskip(NEXT) | instid1(VALU_DEP_2)
	v_fmac_f32_e32 v169, v2, v9
	v_dual_mul_f32 v2, v2, v10 :: v_dual_fmac_f32 v171, v4, v11
	s_delay_alu instid0(VALU_DEP_1) | instskip(SKIP_1) | instid1(VALU_DEP_1)
	v_fma_f32 v170, v1, v9, -v2
	v_mul_f32_e32 v1, v4, v12
	v_fma_f32 v172, v3, v11, -v1
	s_clause 0x1
	scratch_load_b128 v[1:4], off, off offset:280
	scratch_load_b128 v[9:12], off, off offset:296
	s_wait_loadcnt_dscnt 0x100
	v_mul_f32_e32 v173, v5, v2
	v_mul_f32_e32 v2, v6, v2
	s_delay_alu instid0(VALU_DEP_1) | instskip(SKIP_1) | instid1(VALU_DEP_1)
	v_fma_f32 v174, v5, v1, -v2
	v_add_f32_e32 v2, 0, v134
	v_add_f32_e32 v2, v2, v135
	s_delay_alu instid0(VALU_DEP_1) | instskip(NEXT) | instid1(VALU_DEP_1)
	v_add_f32_e32 v2, v2, v25
	v_add_f32_e32 v2, v2, v26
	s_delay_alu instid0(VALU_DEP_1) | instskip(NEXT) | instid1(VALU_DEP_1)
	;; [unrolled: 3-line block ×7, first 2 shown]
	v_add_f32_e32 v2, v2, v141
	v_add_f32_e32 v2, v2, v143
	s_delay_alu instid0(VALU_DEP_1) | instskip(SKIP_2) | instid1(VALU_DEP_1)
	v_add_f32_e32 v2, v2, v145
	v_fmac_f32_e32 v173, v6, v1
	v_mul_f32_e32 v1, v8, v4
	v_fma_f32 v176, v7, v3, -v1
	v_add_f32_e32 v1, 0, v22
	s_delay_alu instid0(VALU_DEP_1) | instskip(NEXT) | instid1(VALU_DEP_1)
	v_add_f32_e32 v1, v1, v24
	v_add_f32_e32 v1, v1, v124
	s_delay_alu instid0(VALU_DEP_1) | instskip(SKIP_2) | instid1(VALU_DEP_1)
	v_add_f32_e32 v1, v1, v125
	scratch_load_b64 v[124:125], off, off offset:376
	v_add_f32_e32 v1, v1, v126
	v_add_f32_e32 v1, v1, v127
	s_delay_alu instid0(VALU_DEP_1) | instskip(NEXT) | instid1(VALU_DEP_1)
	v_add_f32_e32 v1, v1, v13
	v_add_f32_e32 v1, v1, v14
	s_delay_alu instid0(VALU_DEP_1) | instskip(NEXT) | instid1(VALU_DEP_1)
	;; [unrolled: 3-line block ×8, first 2 shown]
	v_dual_mul_f32 v175, v7, v4 :: v_dual_add_f32 v14, v14, v154
	v_fmac_f32_e32 v175, v8, v3
	s_delay_alu instid0(VALU_DEP_2) | instskip(NEXT) | instid1(VALU_DEP_1)
	v_add_f32_e32 v17, v14, v156
	v_add_f32_e32 v17, v17, v158
	s_delay_alu instid0(VALU_DEP_1) | instskip(NEXT) | instid1(VALU_DEP_1)
	v_add_f32_e32 v17, v17, v160
	v_add_f32_e32 v17, v17, v162
	s_delay_alu instid0(VALU_DEP_1) | instskip(NEXT) | instid1(VALU_DEP_1)
	;; [unrolled: 3-line block ×3, first 2 shown]
	v_add_f32_e32 v25, v25, v168
	v_add_f32_e32 v25, v25, v170
	;; [unrolled: 1-line block ×3, first 2 shown]
	scratch_load_b128 v[1:4], off, off offset:312
	v_add_f32_e32 v13, v5, v149
	ds_load_2addr_b64 v[5:8], v21 offset0:85 offset1:86
	v_add_f32_e32 v13, v13, v151
	s_delay_alu instid0(VALU_DEP_1) | instskip(NEXT) | instid1(VALU_DEP_1)
	v_add_f32_e32 v13, v13, v153
	v_add_f32_e32 v18, v13, v155
	ds_load_2addr_b64 v[13:16], v21 offset0:87 offset1:88
	v_add_f32_e32 v18, v18, v157
	s_wait_loadcnt_dscnt 0x201
	v_mul_f32_e32 v22, v5, v10
	v_mul_f32_e32 v10, v6, v10
	v_mul_f32_e32 v128, v7, v12
	v_mul_f32_e32 v12, v8, v12
	v_add_f32_e32 v18, v18, v159
	v_fmac_f32_e32 v22, v6, v9
	v_fma_f32 v129, v5, v9, -v10
	v_fmac_f32_e32 v128, v8, v11
	v_fma_f32 v130, v7, v11, -v12
	s_clause 0x1
	scratch_load_b128 v[9:12], off, off offset:344
	scratch_load_b128 v[5:8], off, off offset:328
	v_add_f32_e32 v24, v18, v161
	scratch_load_b128 v[17:20], off, off offset:360
	v_add_f32_e32 v24, v24, v163
	s_delay_alu instid0(VALU_DEP_1) | instskip(SKIP_1) | instid1(VALU_DEP_1)
	v_add_f32_e32 v24, v24, v165
	s_wait_loadcnt_dscnt 0x300
	v_dual_add_f32 v24, v24, v167 :: v_dual_mul_f32 v131, v13, v2
	v_mul_f32_e32 v2, v14, v2
	v_mul_f32_e32 v134, v15, v4
	s_delay_alu instid0(VALU_DEP_3) | instskip(NEXT) | instid1(VALU_DEP_3)
	v_dual_mul_f32 v4, v16, v4 :: v_dual_fmac_f32 v131, v14, v1
	v_fma_f32 v135, v13, v1, -v2
	v_dual_add_f32 v13, v24, v169 :: v_dual_add_f32 v14, v25, v172
	s_delay_alu instid0(VALU_DEP_4) | instskip(NEXT) | instid1(VALU_DEP_4)
	v_fmac_f32_e32 v134, v16, v3
	v_fma_f32 v136, v15, v3, -v4
	ds_load_2addr_b64 v[1:4], v21 offset0:89 offset1:90
	v_add_f32_e32 v24, v13, v171
	v_add_f32_e32 v126, v14, v174
	ds_load_2addr_b64 v[13:16], v21 offset0:91 offset1:92
	v_add_f32_e32 v127, v24, v173
	ds_load_2addr_b64 v[24:27], v21 offset0:93 offset1:94
	v_dual_add_f32 v137, v126, v176 :: v_dual_add_f32 v138, v127, v175
	ds_load_b64 v[126:127], v21 offset:760
	v_dual_add_f32 v129, v137, v129 :: v_dual_add_f32 v22, v138, v22
	s_delay_alu instid0(VALU_DEP_1)
	v_dual_add_f32 v129, v129, v130 :: v_dual_add_f32 v22, v22, v128
	s_wait_loadcnt_dscnt 0x202
	v_mul_f32_e32 v130, v13, v10
	s_wait_loadcnt 0x1
	v_mul_f32_e32 v128, v3, v8
	v_mul_f32_e32 v8, v4, v8
	v_dual_add_f32 v22, v22, v131 :: v_dual_mul_f32 v131, v15, v12
	v_fmac_f32_e32 v130, v14, v9
	s_delay_alu instid0(VALU_DEP_4) | instskip(NEXT) | instid1(VALU_DEP_3)
	v_fmac_f32_e32 v128, v4, v7
	v_add_f32_e32 v22, v22, v134
	s_wait_dscnt 0x0
	v_dual_mul_f32 v134, v126, v125 :: v_dual_mul_f32 v137, v1, v6
	v_dual_mul_f32 v6, v2, v6 :: v_dual_fmac_f32 v131, v16, v11
	s_delay_alu instid0(VALU_DEP_2) | instskip(NEXT) | instid1(VALU_DEP_2)
	v_dual_fmac_f32 v134, v127, v124 :: v_dual_add_f32 v129, v129, v135
	v_fma_f32 v1, v1, v5, -v6
	s_delay_alu instid0(VALU_DEP_4) | instskip(SKIP_3) | instid1(VALU_DEP_4)
	v_fmac_f32_e32 v137, v2, v5
	v_fma_f32 v2, v3, v7, -v8
	v_mul_f32_e32 v3, v14, v10
	v_add_f32_e32 v129, v129, v136
	v_dual_mul_f32 v5, v16, v12 :: v_dual_add_f32 v4, v22, v137
	s_wait_loadcnt 0x0
	v_mul_f32_e32 v135, v24, v18
	v_fma_f32 v3, v13, v9, -v3
	v_add_f32_e32 v1, v129, v1
	v_fma_f32 v5, v15, v11, -v5
	s_delay_alu instid0(VALU_DEP_4) | instskip(NEXT) | instid1(VALU_DEP_3)
	v_dual_mul_f32 v136, v26, v20 :: v_dual_fmac_f32 v135, v25, v17
	v_dual_add_f32 v1, v1, v2 :: v_dual_add_f32 v2, v4, v128
	v_mul_f32_e32 v4, v25, v18
	s_delay_alu instid0(VALU_DEP_3) | instskip(NEXT) | instid1(VALU_DEP_3)
	v_fmac_f32_e32 v136, v27, v19
	v_dual_add_f32 v1, v1, v3 :: v_dual_add_f32 v2, v2, v130
	v_mul_f32_e32 v3, v27, v20
	s_delay_alu instid0(VALU_DEP_4) | instskip(NEXT) | instid1(VALU_DEP_3)
	v_fma_f32 v4, v24, v17, -v4
	v_dual_add_f32 v1, v1, v5 :: v_dual_add_f32 v2, v2, v131
	v_mul_f32_e32 v5, v127, v125
	s_delay_alu instid0(VALU_DEP_4) | instskip(NEXT) | instid1(VALU_DEP_3)
	v_fma_f32 v3, v26, v19, -v3
	v_dual_add_f32 v1, v1, v4 :: v_dual_add_f32 v2, v2, v135
	s_delay_alu instid0(VALU_DEP_3) | instskip(NEXT) | instid1(VALU_DEP_2)
	v_fma_f32 v4, v126, v124, -v5
	v_dual_add_f32 v1, v1, v3 :: v_dual_add_f32 v2, v2, v136
	s_delay_alu instid0(VALU_DEP_1) | instskip(NEXT) | instid1(VALU_DEP_1)
	v_dual_add_f32 v1, v1, v4 :: v_dual_add_f32 v2, v2, v134
	v_dual_sub_f32 v1, v132, v1 :: v_dual_sub_f32 v2, v133, v2
	scratch_store_b64 off, v[1:2], off offset:32
	v_cmpx_lt_u32_e32 3, v0
	s_cbranch_execz .LBB47_295
; %bb.294:
	scratch_load_b64 v[1:2], off, off offset:24
	v_mov_b32_e32 v22, v21
	scratch_store_b64 off, v[21:22], off offset:24
	s_wait_loadcnt 0x0
	ds_store_b64 v23, v[1:2]
.LBB47_295:
	s_wait_alu 0xfffe
	s_or_b32 exec_lo, exec_lo, s0
	s_wait_storecnt_dscnt 0x0
	s_barrier_signal -1
	s_barrier_wait -1
	global_inv scope:SCOPE_SE
	s_clause 0x4
	scratch_load_b128 v[5:8], off, off offset:32
	scratch_load_b128 v[1:4], off, off offset:48
	;; [unrolled: 1-line block ×5, first 2 shown]
	ds_load_b128 v[24:27], v21 offset:416
	ds_load_b128 v[124:127], v21 offset:432
	;; [unrolled: 1-line block ×3, first 2 shown]
	scratch_load_b64 v[132:133], off, off offset:24
	s_mov_b32 s0, exec_lo
	s_wait_loadcnt_dscnt 0x502
	v_dual_mul_f32 v22, v25, v6 :: v_dual_mul_f32 v135, v26, v8
	v_mul_f32_e32 v134, v24, v6
	v_mul_f32_e32 v6, v27, v8
	s_wait_loadcnt_dscnt 0x300
	v_mul_f32_e32 v136, v130, v12
	v_fma_f32 v22, v24, v5, -v22
	v_dual_fmac_f32 v135, v27, v7 :: v_dual_fmac_f32 v134, v25, v5
	v_mul_f32_e32 v27, v128, v10
	v_mul_f32_e32 v25, v124, v2
	v_fma_f32 v24, v26, v7, -v6
	ds_load_b128 v[5:8], v21 offset:464
	v_mul_f32_e32 v26, v126, v4
	v_dual_mul_f32 v4, v127, v4 :: v_dual_fmac_f32 v27, v129, v9
	v_mul_f32_e32 v10, v129, v10
	v_mul_f32_e32 v12, v131, v12
	v_mul_f32_e32 v2, v125, v2
	v_dual_fmac_f32 v25, v125, v1 :: v_dual_fmac_f32 v26, v127, v3
	v_fma_f32 v125, v126, v3, -v4
	v_fma_f32 v126, v128, v9, -v10
	v_fmac_f32_e32 v136, v131, v11
	v_fma_f32 v127, v130, v11, -v12
	ds_load_b128 v[9:12], v21 offset:480
	s_wait_loadcnt_dscnt 0x201
	v_mul_f32_e32 v129, v7, v16
	v_fma_f32 v124, v124, v1, -v2
	scratch_load_b128 v[1:4], off, off offset:112
	v_mul_f32_e32 v128, v5, v14
	v_mul_f32_e32 v14, v6, v14
	v_mul_f32_e32 v16, v8, v16
	s_delay_alu instid0(VALU_DEP_3) | instskip(NEXT) | instid1(VALU_DEP_3)
	v_dual_fmac_f32 v129, v8, v15 :: v_dual_fmac_f32 v128, v6, v13
	v_fma_f32 v13, v5, v13, -v14
	s_delay_alu instid0(VALU_DEP_3)
	v_fma_f32 v14, v7, v15, -v16
	ds_load_b128 v[5:8], v21 offset:496
	s_wait_loadcnt_dscnt 0x201
	v_mul_f32_e32 v15, v9, v18
	v_mul_f32_e32 v16, v10, v18
	;; [unrolled: 1-line block ×3, first 2 shown]
	s_delay_alu instid0(VALU_DEP_3) | instskip(NEXT) | instid1(VALU_DEP_3)
	v_dual_mul_f32 v20, v12, v20 :: v_dual_fmac_f32 v15, v10, v17
	v_fma_f32 v16, v9, v17, -v16
	s_delay_alu instid0(VALU_DEP_3) | instskip(NEXT) | instid1(VALU_DEP_3)
	v_fmac_f32_e32 v18, v12, v19
	v_fma_f32 v17, v11, v19, -v20
	scratch_load_b128 v[9:12], off, off offset:128
	s_wait_loadcnt_dscnt 0x100
	v_mul_f32_e32 v19, v5, v2
	v_mul_f32_e32 v2, v6, v2
	;; [unrolled: 1-line block ×3, first 2 shown]
	s_delay_alu instid0(VALU_DEP_3) | instskip(NEXT) | instid1(VALU_DEP_3)
	v_dual_mul_f32 v4, v8, v4 :: v_dual_fmac_f32 v19, v6, v1
	v_fma_f32 v130, v5, v1, -v2
	s_delay_alu instid0(VALU_DEP_3) | instskip(NEXT) | instid1(VALU_DEP_3)
	v_fmac_f32_e32 v20, v8, v3
	v_fma_f32 v131, v7, v3, -v4
	ds_load_b128 v[1:4], v21 offset:512
	ds_load_b128 v[5:8], v21 offset:528
	s_wait_loadcnt_dscnt 0x1
	v_mul_f32_e32 v137, v1, v10
	v_mul_f32_e32 v10, v2, v10
	s_delay_alu instid0(VALU_DEP_2) | instskip(NEXT) | instid1(VALU_DEP_2)
	v_dual_mul_f32 v138, v3, v12 :: v_dual_fmac_f32 v137, v2, v9
	v_fma_f32 v139, v1, v9, -v10
	v_mul_f32_e32 v1, v4, v12
	s_delay_alu instid0(VALU_DEP_3) | instskip(NEXT) | instid1(VALU_DEP_2)
	v_fmac_f32_e32 v138, v4, v11
	v_fma_f32 v140, v3, v11, -v1
	s_clause 0x1
	scratch_load_b128 v[1:4], off, off offset:144
	scratch_load_b128 v[9:12], off, off offset:160
	s_wait_loadcnt_dscnt 0x100
	v_mul_f32_e32 v141, v5, v2
	v_dual_mul_f32 v2, v6, v2 :: v_dual_mul_f32 v143, v7, v4
	s_delay_alu instid0(VALU_DEP_2) | instskip(NEXT) | instid1(VALU_DEP_2)
	v_fmac_f32_e32 v141, v6, v1
	v_fma_f32 v142, v5, v1, -v2
	v_mul_f32_e32 v1, v8, v4
	s_delay_alu instid0(VALU_DEP_4) | instskip(NEXT) | instid1(VALU_DEP_2)
	v_fmac_f32_e32 v143, v8, v3
	v_fma_f32 v144, v7, v3, -v1
	ds_load_b128 v[1:4], v21 offset:544
	ds_load_b128 v[5:8], v21 offset:560
	s_wait_loadcnt_dscnt 0x1
	v_mul_f32_e32 v145, v1, v10
	v_mul_f32_e32 v147, v3, v12
	s_delay_alu instid0(VALU_DEP_2) | instskip(NEXT) | instid1(VALU_DEP_2)
	v_fmac_f32_e32 v145, v2, v9
	v_dual_mul_f32 v2, v2, v10 :: v_dual_fmac_f32 v147, v4, v11
	s_delay_alu instid0(VALU_DEP_1) | instskip(SKIP_1) | instid1(VALU_DEP_1)
	v_fma_f32 v146, v1, v9, -v2
	v_mul_f32_e32 v1, v4, v12
	v_fma_f32 v148, v3, v11, -v1
	s_clause 0x1
	scratch_load_b128 v[1:4], off, off offset:176
	scratch_load_b128 v[9:12], off, off offset:192
	s_wait_loadcnt_dscnt 0x100
	v_mul_f32_e32 v149, v5, v2
	v_dual_mul_f32 v2, v6, v2 :: v_dual_mul_f32 v151, v7, v4
	s_delay_alu instid0(VALU_DEP_2) | instskip(NEXT) | instid1(VALU_DEP_2)
	v_fmac_f32_e32 v149, v6, v1
	v_fma_f32 v150, v5, v1, -v2
	v_mul_f32_e32 v1, v8, v4
	s_delay_alu instid0(VALU_DEP_4) | instskip(NEXT) | instid1(VALU_DEP_2)
	v_fmac_f32_e32 v151, v8, v3
	v_fma_f32 v152, v7, v3, -v1
	ds_load_b128 v[1:4], v21 offset:576
	ds_load_b128 v[5:8], v21 offset:592
	s_wait_loadcnt_dscnt 0x1
	v_mul_f32_e32 v153, v1, v10
	v_mul_f32_e32 v155, v3, v12
	s_delay_alu instid0(VALU_DEP_2) | instskip(NEXT) | instid1(VALU_DEP_2)
	v_fmac_f32_e32 v153, v2, v9
	v_dual_mul_f32 v2, v2, v10 :: v_dual_fmac_f32 v155, v4, v11
	s_delay_alu instid0(VALU_DEP_1) | instskip(SKIP_1) | instid1(VALU_DEP_1)
	v_fma_f32 v154, v1, v9, -v2
	v_mul_f32_e32 v1, v4, v12
	;; [unrolled: 25-line block ×5, first 2 shown]
	v_fma_f32 v180, v3, v11, -v1
	s_clause 0x1
	scratch_load_b128 v[1:4], off, off offset:304
	scratch_load_b128 v[9:12], off, off offset:320
	s_wait_loadcnt_dscnt 0x100
	v_mul_f32_e32 v181, v5, v2
	v_dual_mul_f32 v2, v6, v2 :: v_dual_mul_f32 v183, v7, v4
	s_delay_alu instid0(VALU_DEP_2) | instskip(NEXT) | instid1(VALU_DEP_2)
	v_fmac_f32_e32 v181, v6, v1
	v_fma_f32 v182, v5, v1, -v2
	v_dual_mul_f32 v1, v8, v4 :: v_dual_add_f32 v2, 0, v134
	s_delay_alu instid0(VALU_DEP_4) | instskip(NEXT) | instid1(VALU_DEP_2)
	v_fmac_f32_e32 v183, v8, v3
	v_fma_f32 v184, v7, v3, -v1
	s_delay_alu instid0(VALU_DEP_3) | instskip(NEXT) | instid1(VALU_DEP_1)
	v_dual_add_f32 v1, 0, v22 :: v_dual_add_f32 v2, v2, v135
	v_dual_add_f32 v1, v1, v24 :: v_dual_add_f32 v2, v2, v25
	s_delay_alu instid0(VALU_DEP_1) | instskip(NEXT) | instid1(VALU_DEP_1)
	v_dual_add_f32 v1, v1, v124 :: v_dual_add_f32 v2, v2, v26
	v_dual_add_f32 v1, v1, v125 :: v_dual_add_f32 v2, v2, v27
	s_delay_alu instid0(VALU_DEP_1) | instskip(NEXT) | instid1(VALU_DEP_1)
	;; [unrolled: 3-line block ×3, first 2 shown]
	v_add_f32_e32 v1, v1, v13
	v_dual_add_f32 v2, v2, v129 :: v_dual_add_f32 v1, v1, v14
	s_delay_alu instid0(VALU_DEP_1) | instskip(NEXT) | instid1(VALU_DEP_1)
	v_dual_add_f32 v2, v2, v15 :: v_dual_add_f32 v1, v1, v16
	v_dual_add_f32 v2, v2, v18 :: v_dual_add_f32 v1, v1, v17
	s_delay_alu instid0(VALU_DEP_1) | instskip(NEXT) | instid1(VALU_DEP_1)
	v_dual_add_f32 v2, v2, v19 :: v_dual_add_f32 v1, v1, v130
	;; [unrolled: 3-line block ×6, first 2 shown]
	v_dual_add_f32 v2, v2, v151 :: v_dual_add_f32 v1, v1, v152
	s_delay_alu instid0(VALU_DEP_1) | instskip(NEXT) | instid1(VALU_DEP_2)
	v_add_f32_e32 v5, v2, v153
	v_add_f32_e32 v1, v1, v154
	s_delay_alu instid0(VALU_DEP_2) | instskip(NEXT) | instid1(VALU_DEP_2)
	v_add_f32_e32 v5, v5, v155
	v_add_f32_e32 v6, v1, v156
	ds_load_b128 v[1:4], v21 offset:704
	v_dual_add_f32 v5, v5, v157 :: v_dual_add_f32 v6, v6, v158
	s_delay_alu instid0(VALU_DEP_1) | instskip(SKIP_2) | instid1(VALU_DEP_1)
	v_dual_add_f32 v14, v5, v159 :: v_dual_add_f32 v13, v6, v160
	ds_load_b128 v[5:8], v21 offset:720
	v_dual_add_f32 v14, v14, v161 :: v_dual_add_f32 v13, v13, v162
	v_dual_add_f32 v14, v14, v163 :: v_dual_add_f32 v13, v13, v164
	s_wait_loadcnt_dscnt 0x1
	v_mul_f32_e32 v22, v1, v10
	v_mul_f32_e32 v124, v3, v12
	;; [unrolled: 1-line block ×3, first 2 shown]
	v_dual_mul_f32 v12, v4, v12 :: v_dual_add_f32 v13, v13, v166
	s_delay_alu instid0(VALU_DEP_4) | instskip(NEXT) | instid1(VALU_DEP_4)
	v_fmac_f32_e32 v22, v2, v9
	v_fmac_f32_e32 v124, v4, v11
	s_delay_alu instid0(VALU_DEP_4) | instskip(NEXT) | instid1(VALU_DEP_4)
	v_fma_f32 v125, v1, v9, -v10
	v_fma_f32 v126, v3, v11, -v12
	s_clause 0x1
	scratch_load_b128 v[1:4], off, off offset:336
	scratch_load_b128 v[9:12], off, off offset:352
	v_dual_add_f32 v17, v14, v165 :: v_dual_add_f32 v18, v13, v168
	scratch_load_b128 v[13:16], off, off offset:368
	v_dual_add_f32 v17, v17, v167 :: v_dual_add_f32 v18, v18, v170
	s_delay_alu instid0(VALU_DEP_1) | instskip(NEXT) | instid1(VALU_DEP_1)
	v_dual_add_f32 v17, v17, v169 :: v_dual_add_f32 v18, v18, v172
	v_dual_add_f32 v17, v17, v171 :: v_dual_add_f32 v24, v18, v174
	s_delay_alu instid0(VALU_DEP_1)
	v_add_f32_e32 v25, v17, v173
	ds_load_b128 v[17:20], v21 offset:736
	v_dual_add_f32 v127, v24, v176 :: v_dual_add_f32 v128, v25, v175
	ds_load_b128 v[24:27], v21 offset:752
	s_wait_loadcnt_dscnt 0x101
	v_dual_mul_f32 v129, v7, v4 :: v_dual_mul_f32 v130, v17, v10
	v_mul_f32_e32 v4, v8, v4
	s_wait_loadcnt_dscnt 0x0
	v_dual_mul_f32 v131, v19, v12 :: v_dual_mul_f32 v134, v24, v14
	v_add_f32_e32 v21, v127, v178
	v_dual_add_f32 v127, v128, v177 :: v_dual_mul_f32 v128, v5, v2
	v_mul_f32_e32 v2, v6, v2
	s_delay_alu instid0(VALU_DEP_4) | instskip(NEXT) | instid1(VALU_DEP_4)
	v_fmac_f32_e32 v134, v25, v13
	v_add_f32_e32 v21, v21, v180
	s_delay_alu instid0(VALU_DEP_4) | instskip(NEXT) | instid1(VALU_DEP_4)
	v_dual_add_f32 v127, v127, v179 :: v_dual_fmac_f32 v128, v6, v1
	v_fma_f32 v2, v5, v1, -v2
	v_mul_f32_e32 v6, v18, v10
	s_delay_alu instid0(VALU_DEP_4) | instskip(NEXT) | instid1(VALU_DEP_4)
	v_add_f32_e32 v21, v21, v182
	v_add_f32_e32 v127, v127, v181
	v_fmac_f32_e32 v129, v8, v3
	v_fma_f32 v3, v7, v3, -v4
	v_mul_f32_e32 v4, v20, v12
	v_add_f32_e32 v21, v21, v184
	v_dual_add_f32 v127, v127, v183 :: v_dual_fmac_f32 v130, v18, v9
	v_fmac_f32_e32 v131, v20, v11
	s_delay_alu instid0(VALU_DEP_4) | instskip(NEXT) | instid1(VALU_DEP_3)
	v_fma_f32 v4, v19, v11, -v4
	v_dual_add_f32 v21, v21, v125 :: v_dual_add_f32 v22, v127, v22
	v_mul_f32_e32 v125, v26, v16
	s_delay_alu instid0(VALU_DEP_2) | instskip(NEXT) | instid1(VALU_DEP_3)
	v_add_f32_e32 v1, v21, v126
	v_add_f32_e32 v5, v22, v124
	s_delay_alu instid0(VALU_DEP_3) | instskip(NEXT) | instid1(VALU_DEP_3)
	v_fmac_f32_e32 v125, v27, v15
	v_add_f32_e32 v1, v1, v2
	s_delay_alu instid0(VALU_DEP_3) | instskip(SKIP_1) | instid1(VALU_DEP_2)
	v_add_f32_e32 v2, v5, v128
	v_fma_f32 v5, v17, v9, -v6
	v_dual_add_f32 v1, v1, v3 :: v_dual_add_f32 v2, v2, v129
	v_mul_f32_e32 v3, v25, v14
	s_delay_alu instid0(VALU_DEP_2) | instskip(SKIP_1) | instid1(VALU_DEP_3)
	v_dual_add_f32 v1, v1, v5 :: v_dual_add_f32 v2, v2, v130
	v_mul_f32_e32 v5, v27, v16
	v_fma_f32 v3, v24, v13, -v3
	s_delay_alu instid0(VALU_DEP_3) | instskip(NEXT) | instid1(VALU_DEP_3)
	v_dual_add_f32 v1, v1, v4 :: v_dual_add_f32 v2, v2, v131
	v_fma_f32 v4, v26, v15, -v5
	s_delay_alu instid0(VALU_DEP_2) | instskip(NEXT) | instid1(VALU_DEP_1)
	v_dual_add_f32 v1, v1, v3 :: v_dual_add_f32 v2, v2, v134
	v_dual_add_f32 v1, v1, v4 :: v_dual_add_f32 v2, v2, v125
	s_delay_alu instid0(VALU_DEP_1)
	v_dual_sub_f32 v1, v132, v1 :: v_dual_sub_f32 v2, v133, v2
	scratch_store_b64 off, v[1:2], off offset:24
	v_cmpx_lt_u32_e32 2, v0
	s_cbranch_execz .LBB47_297
; %bb.296:
	scratch_load_b64 v[1:2], off, off offset:16
	v_mov_b32_e32 v3, 0
	s_delay_alu instid0(VALU_DEP_1)
	v_mov_b32_e32 v4, v3
	scratch_store_b64 off, v[3:4], off offset:16
	s_wait_loadcnt 0x0
	ds_store_b64 v23, v[1:2]
.LBB47_297:
	s_wait_alu 0xfffe
	s_or_b32 exec_lo, exec_lo, s0
	s_wait_storecnt_dscnt 0x0
	s_barrier_signal -1
	s_barrier_wait -1
	global_inv scope:SCOPE_SE
	s_clause 0x4
	scratch_load_b128 v[5:8], off, off offset:24
	scratch_load_b128 v[1:4], off, off offset:40
	;; [unrolled: 1-line block ×5, first 2 shown]
	v_mov_b32_e32 v21, 0
	ds_load_2addr_b64 v[24:27], v21 offset0:51 offset1:52
	ds_load_2addr_b64 v[124:127], v21 offset0:53 offset1:54
	ds_load_2addr_b64 v[128:131], v21 offset0:55 offset1:56
	scratch_load_b64 v[132:133], off, off offset:16
	s_mov_b32 s0, exec_lo
	s_wait_loadcnt_dscnt 0x502
	v_mul_f32_e32 v22, v25, v6
	v_dual_mul_f32 v134, v24, v6 :: v_dual_mul_f32 v135, v26, v8
	v_mul_f32_e32 v6, v27, v8
	s_delay_alu instid0(VALU_DEP_3) | instskip(NEXT) | instid1(VALU_DEP_3)
	v_fma_f32 v22, v24, v5, -v22
	v_dual_fmac_f32 v134, v25, v5 :: v_dual_fmac_f32 v135, v27, v7
	s_wait_loadcnt_dscnt 0x401
	v_mul_f32_e32 v25, v124, v2
	v_fma_f32 v24, v26, v7, -v6
	ds_load_2addr_b64 v[5:8], v21 offset0:57 offset1:58
	s_wait_loadcnt_dscnt 0x301
	v_dual_mul_f32 v26, v126, v4 :: v_dual_mul_f32 v27, v128, v10
	v_dual_mul_f32 v4, v127, v4 :: v_dual_fmac_f32 v25, v125, v1
	v_mul_f32_e32 v10, v129, v10
	s_delay_alu instid0(VALU_DEP_3)
	v_dual_mul_f32 v136, v130, v12 :: v_dual_fmac_f32 v27, v129, v9
	v_mul_f32_e32 v12, v131, v12
	v_mul_f32_e32 v2, v125, v2
	v_fmac_f32_e32 v26, v127, v3
	v_fma_f32 v125, v126, v3, -v4
	v_fma_f32 v126, v128, v9, -v10
	v_fmac_f32_e32 v136, v131, v11
	v_fma_f32 v127, v130, v11, -v12
	ds_load_2addr_b64 v[9:12], v21 offset0:59 offset1:60
	s_wait_loadcnt_dscnt 0x201
	v_mul_f32_e32 v129, v7, v16
	v_fma_f32 v124, v124, v1, -v2
	scratch_load_b128 v[1:4], off, off offset:104
	v_mul_f32_e32 v128, v5, v14
	v_mul_f32_e32 v14, v6, v14
	;; [unrolled: 1-line block ×3, first 2 shown]
	s_delay_alu instid0(VALU_DEP_3) | instskip(NEXT) | instid1(VALU_DEP_3)
	v_dual_fmac_f32 v129, v8, v15 :: v_dual_fmac_f32 v128, v6, v13
	v_fma_f32 v13, v5, v13, -v14
	s_delay_alu instid0(VALU_DEP_3)
	v_fma_f32 v14, v7, v15, -v16
	ds_load_2addr_b64 v[5:8], v21 offset0:61 offset1:62
	s_wait_loadcnt_dscnt 0x201
	v_mul_f32_e32 v15, v9, v18
	v_mul_f32_e32 v16, v10, v18
	;; [unrolled: 1-line block ×3, first 2 shown]
	s_delay_alu instid0(VALU_DEP_3) | instskip(NEXT) | instid1(VALU_DEP_3)
	v_dual_mul_f32 v20, v12, v20 :: v_dual_fmac_f32 v15, v10, v17
	v_fma_f32 v16, v9, v17, -v16
	s_delay_alu instid0(VALU_DEP_3) | instskip(NEXT) | instid1(VALU_DEP_3)
	v_fmac_f32_e32 v18, v12, v19
	v_fma_f32 v17, v11, v19, -v20
	scratch_load_b128 v[9:12], off, off offset:120
	s_wait_loadcnt_dscnt 0x100
	v_mul_f32_e32 v19, v5, v2
	v_mul_f32_e32 v2, v6, v2
	;; [unrolled: 1-line block ×3, first 2 shown]
	s_delay_alu instid0(VALU_DEP_3) | instskip(NEXT) | instid1(VALU_DEP_3)
	v_dual_mul_f32 v4, v8, v4 :: v_dual_fmac_f32 v19, v6, v1
	v_fma_f32 v130, v5, v1, -v2
	s_delay_alu instid0(VALU_DEP_3) | instskip(NEXT) | instid1(VALU_DEP_3)
	v_fmac_f32_e32 v20, v8, v3
	v_fma_f32 v131, v7, v3, -v4
	ds_load_2addr_b64 v[1:4], v21 offset0:63 offset1:64
	ds_load_2addr_b64 v[5:8], v21 offset0:65 offset1:66
	s_wait_loadcnt_dscnt 0x1
	v_mul_f32_e32 v137, v1, v10
	v_mul_f32_e32 v10, v2, v10
	s_delay_alu instid0(VALU_DEP_2) | instskip(NEXT) | instid1(VALU_DEP_2)
	v_dual_mul_f32 v138, v3, v12 :: v_dual_fmac_f32 v137, v2, v9
	v_fma_f32 v139, v1, v9, -v10
	v_mul_f32_e32 v1, v4, v12
	s_delay_alu instid0(VALU_DEP_3) | instskip(NEXT) | instid1(VALU_DEP_2)
	v_fmac_f32_e32 v138, v4, v11
	v_fma_f32 v140, v3, v11, -v1
	s_clause 0x1
	scratch_load_b128 v[1:4], off, off offset:136
	scratch_load_b128 v[9:12], off, off offset:152
	s_wait_loadcnt_dscnt 0x100
	v_mul_f32_e32 v141, v5, v2
	v_dual_mul_f32 v2, v6, v2 :: v_dual_mul_f32 v143, v7, v4
	s_delay_alu instid0(VALU_DEP_2) | instskip(NEXT) | instid1(VALU_DEP_2)
	v_fmac_f32_e32 v141, v6, v1
	v_fma_f32 v142, v5, v1, -v2
	v_mul_f32_e32 v1, v8, v4
	s_delay_alu instid0(VALU_DEP_4) | instskip(NEXT) | instid1(VALU_DEP_2)
	v_fmac_f32_e32 v143, v8, v3
	v_fma_f32 v144, v7, v3, -v1
	ds_load_2addr_b64 v[1:4], v21 offset0:67 offset1:68
	ds_load_2addr_b64 v[5:8], v21 offset0:69 offset1:70
	s_wait_loadcnt_dscnt 0x1
	v_mul_f32_e32 v145, v1, v10
	v_mul_f32_e32 v147, v3, v12
	s_delay_alu instid0(VALU_DEP_2) | instskip(NEXT) | instid1(VALU_DEP_2)
	v_fmac_f32_e32 v145, v2, v9
	v_dual_mul_f32 v2, v2, v10 :: v_dual_fmac_f32 v147, v4, v11
	s_delay_alu instid0(VALU_DEP_1) | instskip(SKIP_1) | instid1(VALU_DEP_1)
	v_fma_f32 v146, v1, v9, -v2
	v_mul_f32_e32 v1, v4, v12
	v_fma_f32 v148, v3, v11, -v1
	s_clause 0x1
	scratch_load_b128 v[1:4], off, off offset:168
	scratch_load_b128 v[9:12], off, off offset:184
	s_wait_loadcnt_dscnt 0x100
	v_mul_f32_e32 v149, v5, v2
	v_dual_mul_f32 v151, v7, v4 :: v_dual_mul_f32 v2, v6, v2
	s_delay_alu instid0(VALU_DEP_2) | instskip(NEXT) | instid1(VALU_DEP_2)
	v_fmac_f32_e32 v149, v6, v1
	v_fmac_f32_e32 v151, v8, v3
	s_delay_alu instid0(VALU_DEP_3) | instskip(SKIP_1) | instid1(VALU_DEP_1)
	v_fma_f32 v150, v5, v1, -v2
	v_mul_f32_e32 v1, v8, v4
	v_fma_f32 v152, v7, v3, -v1
	ds_load_2addr_b64 v[1:4], v21 offset0:71 offset1:72
	ds_load_2addr_b64 v[5:8], v21 offset0:73 offset1:74
	s_wait_loadcnt_dscnt 0x1
	v_mul_f32_e32 v153, v1, v10
	v_mul_f32_e32 v155, v3, v12
	s_delay_alu instid0(VALU_DEP_2) | instskip(NEXT) | instid1(VALU_DEP_2)
	v_fmac_f32_e32 v153, v2, v9
	v_dual_mul_f32 v2, v2, v10 :: v_dual_fmac_f32 v155, v4, v11
	s_delay_alu instid0(VALU_DEP_1) | instskip(SKIP_1) | instid1(VALU_DEP_1)
	v_fma_f32 v154, v1, v9, -v2
	v_mul_f32_e32 v1, v4, v12
	v_fma_f32 v156, v3, v11, -v1
	s_clause 0x1
	scratch_load_b128 v[1:4], off, off offset:200
	scratch_load_b128 v[9:12], off, off offset:216
	s_wait_loadcnt_dscnt 0x100
	v_mul_f32_e32 v157, v5, v2
	v_dual_mul_f32 v2, v6, v2 :: v_dual_mul_f32 v159, v7, v4
	s_delay_alu instid0(VALU_DEP_2) | instskip(NEXT) | instid1(VALU_DEP_2)
	v_fmac_f32_e32 v157, v6, v1
	v_fma_f32 v158, v5, v1, -v2
	v_mul_f32_e32 v1, v8, v4
	s_delay_alu instid0(VALU_DEP_4) | instskip(NEXT) | instid1(VALU_DEP_2)
	v_fmac_f32_e32 v159, v8, v3
	v_fma_f32 v160, v7, v3, -v1
	ds_load_2addr_b64 v[1:4], v21 offset0:75 offset1:76
	ds_load_2addr_b64 v[5:8], v21 offset0:77 offset1:78
	s_wait_loadcnt_dscnt 0x1
	v_mul_f32_e32 v161, v1, v10
	v_mul_f32_e32 v163, v3, v12
	s_delay_alu instid0(VALU_DEP_2) | instskip(NEXT) | instid1(VALU_DEP_2)
	v_fmac_f32_e32 v161, v2, v9
	v_dual_mul_f32 v2, v2, v10 :: v_dual_fmac_f32 v163, v4, v11
	s_delay_alu instid0(VALU_DEP_1) | instskip(SKIP_1) | instid1(VALU_DEP_1)
	v_fma_f32 v162, v1, v9, -v2
	v_mul_f32_e32 v1, v4, v12
	v_fma_f32 v164, v3, v11, -v1
	s_clause 0x1
	scratch_load_b128 v[1:4], off, off offset:232
	scratch_load_b128 v[9:12], off, off offset:248
	s_wait_loadcnt_dscnt 0x100
	v_mul_f32_e32 v165, v5, v2
	v_dual_mul_f32 v2, v6, v2 :: v_dual_mul_f32 v167, v7, v4
	s_delay_alu instid0(VALU_DEP_2) | instskip(NEXT) | instid1(VALU_DEP_2)
	v_fmac_f32_e32 v165, v6, v1
	v_fma_f32 v166, v5, v1, -v2
	v_mul_f32_e32 v1, v8, v4
	s_delay_alu instid0(VALU_DEP_4) | instskip(NEXT) | instid1(VALU_DEP_2)
	v_fmac_f32_e32 v167, v8, v3
	;; [unrolled: 25-line block ×3, first 2 shown]
	v_fma_f32 v176, v7, v3, -v1
	ds_load_2addr_b64 v[1:4], v21 offset0:83 offset1:84
	ds_load_2addr_b64 v[5:8], v21 offset0:85 offset1:86
	s_wait_loadcnt_dscnt 0x1
	v_mul_f32_e32 v177, v1, v10
	v_mul_f32_e32 v179, v3, v12
	s_delay_alu instid0(VALU_DEP_2) | instskip(NEXT) | instid1(VALU_DEP_2)
	v_fmac_f32_e32 v177, v2, v9
	v_dual_mul_f32 v2, v2, v10 :: v_dual_fmac_f32 v179, v4, v11
	s_delay_alu instid0(VALU_DEP_1) | instskip(SKIP_1) | instid1(VALU_DEP_1)
	v_fma_f32 v178, v1, v9, -v2
	v_mul_f32_e32 v1, v4, v12
	v_fma_f32 v180, v3, v11, -v1
	s_clause 0x1
	scratch_load_b128 v[1:4], off, off offset:296
	scratch_load_b128 v[9:12], off, off offset:312
	s_wait_loadcnt_dscnt 0x100
	v_mul_f32_e32 v181, v5, v2
	v_dual_mul_f32 v2, v6, v2 :: v_dual_mul_f32 v183, v7, v4
	s_delay_alu instid0(VALU_DEP_2) | instskip(NEXT) | instid1(VALU_DEP_2)
	v_fmac_f32_e32 v181, v6, v1
	v_fma_f32 v182, v5, v1, -v2
	v_add_f32_e32 v2, 0, v134
	s_delay_alu instid0(VALU_DEP_1) | instskip(NEXT) | instid1(VALU_DEP_1)
	v_add_f32_e32 v2, v2, v135
	v_add_f32_e32 v2, v2, v25
	s_delay_alu instid0(VALU_DEP_1) | instskip(NEXT) | instid1(VALU_DEP_1)
	v_dual_add_f32 v2, v2, v26 :: v_dual_mul_f32 v1, v8, v4
	v_add_f32_e32 v2, v2, v27
	s_delay_alu instid0(VALU_DEP_2) | instskip(NEXT) | instid1(VALU_DEP_2)
	v_fma_f32 v184, v7, v3, -v1
	v_dual_add_f32 v1, 0, v22 :: v_dual_add_f32 v2, v2, v136
	s_delay_alu instid0(VALU_DEP_1) | instskip(NEXT) | instid1(VALU_DEP_2)
	v_add_f32_e32 v1, v1, v24
	v_add_f32_e32 v2, v2, v128
	s_delay_alu instid0(VALU_DEP_1) | instskip(NEXT) | instid1(VALU_DEP_1)
	v_dual_add_f32 v1, v1, v124 :: v_dual_add_f32 v2, v2, v129
	v_add_f32_e32 v1, v1, v125
	scratch_load_b64 v[124:125], off, off offset:376
	v_dual_add_f32 v2, v2, v15 :: v_dual_add_f32 v1, v1, v126
	s_delay_alu instid0(VALU_DEP_1) | instskip(NEXT) | instid1(VALU_DEP_1)
	v_dual_add_f32 v2, v2, v18 :: v_dual_add_f32 v1, v1, v127
	v_dual_add_f32 v2, v2, v19 :: v_dual_add_f32 v1, v1, v13
	s_delay_alu instid0(VALU_DEP_1) | instskip(NEXT) | instid1(VALU_DEP_1)
	v_dual_add_f32 v2, v2, v20 :: v_dual_add_f32 v1, v1, v14
	;; [unrolled: 3-line block ×3, first 2 shown]
	v_dual_add_f32 v2, v2, v141 :: v_dual_add_f32 v1, v1, v130
	s_delay_alu instid0(VALU_DEP_1) | instskip(NEXT) | instid1(VALU_DEP_1)
	v_add_f32_e32 v2, v2, v143
	v_dual_add_f32 v1, v1, v131 :: v_dual_add_f32 v2, v2, v145
	s_delay_alu instid0(VALU_DEP_1) | instskip(NEXT) | instid1(VALU_DEP_1)
	v_add_f32_e32 v1, v1, v139
	v_dual_add_f32 v2, v2, v147 :: v_dual_add_f32 v1, v1, v140
	s_delay_alu instid0(VALU_DEP_1) | instskip(NEXT) | instid1(VALU_DEP_1)
	v_dual_add_f32 v2, v2, v149 :: v_dual_add_f32 v1, v1, v142
	v_dual_add_f32 v2, v2, v151 :: v_dual_add_f32 v1, v1, v144
	s_delay_alu instid0(VALU_DEP_1) | instskip(NEXT) | instid1(VALU_DEP_2)
	v_add_f32_e32 v5, v2, v153
	v_add_f32_e32 v1, v1, v146
	s_delay_alu instid0(VALU_DEP_2) | instskip(NEXT) | instid1(VALU_DEP_2)
	v_add_f32_e32 v5, v5, v155
	v_add_f32_e32 v1, v1, v148
	s_delay_alu instid0(VALU_DEP_1) | instskip(NEXT) | instid1(VALU_DEP_1)
	v_add_f32_e32 v1, v1, v150
	v_add_f32_e32 v1, v1, v152
	s_delay_alu instid0(VALU_DEP_1) | instskip(NEXT) | instid1(VALU_DEP_1)
	;; [unrolled: 3-line block ×3, first 2 shown]
	v_dual_add_f32 v5, v5, v157 :: v_dual_add_f32 v6, v6, v158
	v_dual_add_f32 v14, v5, v159 :: v_dual_add_f32 v13, v6, v160
	s_delay_alu instid0(VALU_DEP_1) | instskip(NEXT) | instid1(VALU_DEP_1)
	v_dual_add_f32 v14, v14, v161 :: v_dual_add_f32 v13, v13, v162
	v_dual_add_f32 v14, v14, v163 :: v_dual_add_f32 v13, v13, v164
	s_delay_alu instid0(VALU_DEP_1) | instskip(NEXT) | instid1(VALU_DEP_1)
	v_add_f32_e32 v13, v13, v166
	v_dual_add_f32 v18, v13, v168 :: v_dual_fmac_f32 v183, v8, v3
	ds_load_2addr_b64 v[1:4], v21 offset0:87 offset1:88
	ds_load_2addr_b64 v[5:8], v21 offset0:89 offset1:90
	v_add_f32_e32 v18, v18, v170
	s_delay_alu instid0(VALU_DEP_1) | instskip(NEXT) | instid1(VALU_DEP_1)
	v_add_f32_e32 v18, v18, v172
	v_add_f32_e32 v18, v18, v174
	s_delay_alu instid0(VALU_DEP_1)
	v_add_f32_e32 v18, v18, v176
	s_wait_loadcnt_dscnt 0x101
	v_mul_f32_e32 v22, v1, v10
	v_mul_f32_e32 v10, v2, v10
	;; [unrolled: 1-line block ×3, first 2 shown]
	v_dual_mul_f32 v12, v4, v12 :: v_dual_add_f32 v17, v14, v165
	s_delay_alu instid0(VALU_DEP_4) | instskip(NEXT) | instid1(VALU_DEP_4)
	v_fmac_f32_e32 v22, v2, v9
	v_fma_f32 v129, v1, v9, -v10
	s_delay_alu instid0(VALU_DEP_4) | instskip(NEXT) | instid1(VALU_DEP_4)
	v_fmac_f32_e32 v128, v4, v11
	v_fma_f32 v130, v3, v11, -v12
	s_clause 0x2
	scratch_load_b128 v[1:4], off, off offset:328
	scratch_load_b128 v[9:12], off, off offset:344
	;; [unrolled: 1-line block ×3, first 2 shown]
	v_dual_add_f32 v17, v17, v167 :: v_dual_add_f32 v126, v18, v178
	s_delay_alu instid0(VALU_DEP_1) | instskip(NEXT) | instid1(VALU_DEP_2)
	v_add_f32_e32 v17, v17, v169
	v_add_f32_e32 v131, v126, v180
	s_delay_alu instid0(VALU_DEP_2) | instskip(NEXT) | instid1(VALU_DEP_2)
	v_add_f32_e32 v17, v17, v171
	v_add_f32_e32 v131, v131, v182
	s_delay_alu instid0(VALU_DEP_2) | instskip(NEXT) | instid1(VALU_DEP_1)
	v_add_f32_e32 v17, v17, v173
	v_dual_add_f32 v131, v131, v184 :: v_dual_add_f32 v24, v17, v175
	ds_load_2addr_b64 v[17:20], v21 offset0:91 offset1:92
	v_add_f32_e32 v129, v131, v129
	v_add_f32_e32 v127, v24, v177
	ds_load_2addr_b64 v[24:27], v21 offset0:93 offset1:94
	v_dual_add_f32 v129, v129, v130 :: v_dual_add_f32 v134, v127, v179
	ds_load_b64 v[126:127], v21 offset:760
	v_add_f32_e32 v134, v134, v181
	s_delay_alu instid0(VALU_DEP_1) | instskip(NEXT) | instid1(VALU_DEP_1)
	v_add_f32_e32 v134, v134, v183
	v_add_f32_e32 v22, v134, v22
	s_delay_alu instid0(VALU_DEP_1) | instskip(SKIP_3) | instid1(VALU_DEP_1)
	v_add_f32_e32 v22, v22, v128
	s_wait_loadcnt_dscnt 0x300
	v_mul_f32_e32 v128, v126, v125
	s_wait_loadcnt 0x2
	v_dual_fmac_f32 v128, v127, v124 :: v_dual_mul_f32 v135, v5, v2
	v_mul_f32_e32 v2, v6, v2
	v_mul_f32_e32 v136, v7, v4
	s_wait_loadcnt 0x1
	v_dual_mul_f32 v4, v8, v4 :: v_dual_mul_f32 v131, v17, v10
	v_fmac_f32_e32 v135, v6, v1
	v_fma_f32 v2, v5, v1, -v2
	v_fmac_f32_e32 v136, v8, v3
	s_delay_alu instid0(VALU_DEP_4)
	v_fma_f32 v1, v7, v3, -v4
	v_mul_f32_e32 v3, v18, v10
	v_add_f32_e32 v4, v22, v135
	v_add_f32_e32 v2, v129, v2
	v_mul_f32_e32 v134, v19, v12
	v_mul_f32_e32 v5, v20, v12
	v_fmac_f32_e32 v131, v18, v9
	v_fma_f32 v3, v17, v9, -v3
	v_dual_add_f32 v1, v2, v1 :: v_dual_add_f32 v2, v4, v136
	s_wait_loadcnt 0x0
	v_mul_f32_e32 v137, v24, v14
	v_mul_f32_e32 v4, v25, v14
	v_fmac_f32_e32 v134, v20, v11
	v_fma_f32 v5, v19, v11, -v5
	v_add_f32_e32 v1, v1, v3
	v_add_f32_e32 v2, v2, v131
	v_mul_f32_e32 v130, v26, v16
	v_mul_f32_e32 v3, v27, v16
	v_fmac_f32_e32 v137, v25, v13
	v_fma_f32 v4, v24, v13, -v4
	v_dual_add_f32 v1, v1, v5 :: v_dual_add_f32 v2, v2, v134
	v_mul_f32_e32 v5, v127, v125
	v_fmac_f32_e32 v130, v27, v15
	v_fma_f32 v3, v26, v15, -v3
	s_delay_alu instid0(VALU_DEP_4) | instskip(NEXT) | instid1(VALU_DEP_4)
	v_dual_add_f32 v1, v1, v4 :: v_dual_add_f32 v2, v2, v137
	v_fma_f32 v4, v126, v124, -v5
	s_delay_alu instid0(VALU_DEP_2) | instskip(NEXT) | instid1(VALU_DEP_1)
	v_dual_add_f32 v1, v1, v3 :: v_dual_add_f32 v2, v2, v130
	v_add_f32_e32 v1, v1, v4
	s_delay_alu instid0(VALU_DEP_1) | instskip(NEXT) | instid1(VALU_DEP_1)
	v_dual_add_f32 v2, v2, v128 :: v_dual_sub_f32 v1, v132, v1
	v_sub_f32_e32 v2, v133, v2
	scratch_store_b64 off, v[1:2], off offset:16
	v_cmpx_lt_u32_e32 1, v0
	s_cbranch_execz .LBB47_299
; %bb.298:
	scratch_load_b64 v[1:2], off, off offset:8
	v_mov_b32_e32 v22, v21
	scratch_store_b64 off, v[21:22], off offset:8
	s_wait_loadcnt 0x0
	ds_store_b64 v23, v[1:2]
.LBB47_299:
	s_wait_alu 0xfffe
	s_or_b32 exec_lo, exec_lo, s0
	s_wait_storecnt_dscnt 0x0
	s_barrier_signal -1
	s_barrier_wait -1
	global_inv scope:SCOPE_SE
	s_clause 0x4
	scratch_load_b128 v[5:8], off, off offset:16
	scratch_load_b128 v[1:4], off, off offset:32
	;; [unrolled: 1-line block ×5, first 2 shown]
	ds_load_b128 v[24:27], v21 offset:400
	ds_load_b128 v[124:127], v21 offset:416
	;; [unrolled: 1-line block ×3, first 2 shown]
	scratch_load_b64 v[132:133], off, off offset:8
	s_mov_b32 s0, exec_lo
	s_wait_loadcnt_dscnt 0x502
	v_dual_mul_f32 v22, v25, v6 :: v_dual_mul_f32 v135, v26, v8
	v_mul_f32_e32 v134, v24, v6
	v_mul_f32_e32 v6, v27, v8
	s_wait_loadcnt_dscnt 0x300
	v_mul_f32_e32 v136, v130, v12
	v_fma_f32 v22, v24, v5, -v22
	v_dual_fmac_f32 v135, v27, v7 :: v_dual_fmac_f32 v134, v25, v5
	v_mul_f32_e32 v27, v128, v10
	v_mul_f32_e32 v25, v124, v2
	v_fma_f32 v24, v26, v7, -v6
	ds_load_b128 v[5:8], v21 offset:448
	v_mul_f32_e32 v26, v126, v4
	v_dual_mul_f32 v4, v127, v4 :: v_dual_fmac_f32 v27, v129, v9
	v_mul_f32_e32 v10, v129, v10
	v_mul_f32_e32 v12, v131, v12
	;; [unrolled: 1-line block ×3, first 2 shown]
	v_dual_fmac_f32 v25, v125, v1 :: v_dual_fmac_f32 v26, v127, v3
	v_fma_f32 v125, v126, v3, -v4
	v_fma_f32 v126, v128, v9, -v10
	v_fmac_f32_e32 v136, v131, v11
	v_fma_f32 v127, v130, v11, -v12
	ds_load_b128 v[9:12], v21 offset:464
	s_wait_loadcnt_dscnt 0x201
	v_mul_f32_e32 v129, v7, v16
	v_fma_f32 v124, v124, v1, -v2
	scratch_load_b128 v[1:4], off, off offset:96
	v_mul_f32_e32 v128, v5, v14
	v_mul_f32_e32 v14, v6, v14
	;; [unrolled: 1-line block ×3, first 2 shown]
	s_delay_alu instid0(VALU_DEP_3) | instskip(NEXT) | instid1(VALU_DEP_3)
	v_dual_fmac_f32 v129, v8, v15 :: v_dual_fmac_f32 v128, v6, v13
	v_fma_f32 v13, v5, v13, -v14
	s_delay_alu instid0(VALU_DEP_3)
	v_fma_f32 v14, v7, v15, -v16
	ds_load_b128 v[5:8], v21 offset:480
	s_wait_loadcnt_dscnt 0x201
	v_mul_f32_e32 v15, v9, v18
	v_mul_f32_e32 v16, v10, v18
	;; [unrolled: 1-line block ×3, first 2 shown]
	s_delay_alu instid0(VALU_DEP_3) | instskip(NEXT) | instid1(VALU_DEP_3)
	v_dual_mul_f32 v20, v12, v20 :: v_dual_fmac_f32 v15, v10, v17
	v_fma_f32 v16, v9, v17, -v16
	s_delay_alu instid0(VALU_DEP_3) | instskip(NEXT) | instid1(VALU_DEP_3)
	v_fmac_f32_e32 v18, v12, v19
	v_fma_f32 v17, v11, v19, -v20
	scratch_load_b128 v[9:12], off, off offset:112
	s_wait_loadcnt_dscnt 0x100
	v_mul_f32_e32 v19, v5, v2
	v_mul_f32_e32 v2, v6, v2
	;; [unrolled: 1-line block ×3, first 2 shown]
	s_delay_alu instid0(VALU_DEP_3) | instskip(NEXT) | instid1(VALU_DEP_3)
	v_dual_mul_f32 v4, v8, v4 :: v_dual_fmac_f32 v19, v6, v1
	v_fma_f32 v130, v5, v1, -v2
	s_delay_alu instid0(VALU_DEP_3) | instskip(NEXT) | instid1(VALU_DEP_3)
	v_fmac_f32_e32 v20, v8, v3
	v_fma_f32 v131, v7, v3, -v4
	ds_load_b128 v[1:4], v21 offset:496
	ds_load_b128 v[5:8], v21 offset:512
	s_wait_loadcnt_dscnt 0x1
	v_mul_f32_e32 v137, v1, v10
	v_mul_f32_e32 v10, v2, v10
	s_delay_alu instid0(VALU_DEP_2) | instskip(NEXT) | instid1(VALU_DEP_2)
	v_dual_mul_f32 v138, v3, v12 :: v_dual_fmac_f32 v137, v2, v9
	v_fma_f32 v139, v1, v9, -v10
	v_mul_f32_e32 v1, v4, v12
	s_delay_alu instid0(VALU_DEP_3) | instskip(NEXT) | instid1(VALU_DEP_2)
	v_fmac_f32_e32 v138, v4, v11
	v_fma_f32 v140, v3, v11, -v1
	s_clause 0x1
	scratch_load_b128 v[1:4], off, off offset:128
	scratch_load_b128 v[9:12], off, off offset:144
	s_wait_loadcnt_dscnt 0x100
	v_mul_f32_e32 v141, v5, v2
	v_dual_mul_f32 v2, v6, v2 :: v_dual_mul_f32 v143, v7, v4
	s_delay_alu instid0(VALU_DEP_2) | instskip(NEXT) | instid1(VALU_DEP_2)
	v_fmac_f32_e32 v141, v6, v1
	v_fma_f32 v142, v5, v1, -v2
	v_mul_f32_e32 v1, v8, v4
	s_delay_alu instid0(VALU_DEP_4) | instskip(NEXT) | instid1(VALU_DEP_2)
	v_fmac_f32_e32 v143, v8, v3
	v_fma_f32 v144, v7, v3, -v1
	ds_load_b128 v[1:4], v21 offset:528
	ds_load_b128 v[5:8], v21 offset:544
	s_wait_loadcnt_dscnt 0x1
	v_mul_f32_e32 v145, v1, v10
	v_mul_f32_e32 v147, v3, v12
	s_delay_alu instid0(VALU_DEP_2) | instskip(NEXT) | instid1(VALU_DEP_2)
	v_fmac_f32_e32 v145, v2, v9
	v_dual_mul_f32 v2, v2, v10 :: v_dual_fmac_f32 v147, v4, v11
	s_delay_alu instid0(VALU_DEP_1) | instskip(SKIP_1) | instid1(VALU_DEP_1)
	v_fma_f32 v146, v1, v9, -v2
	v_mul_f32_e32 v1, v4, v12
	v_fma_f32 v148, v3, v11, -v1
	s_clause 0x1
	scratch_load_b128 v[1:4], off, off offset:160
	scratch_load_b128 v[9:12], off, off offset:176
	s_wait_loadcnt_dscnt 0x100
	v_mul_f32_e32 v149, v5, v2
	v_dual_mul_f32 v2, v6, v2 :: v_dual_mul_f32 v151, v7, v4
	s_delay_alu instid0(VALU_DEP_2) | instskip(NEXT) | instid1(VALU_DEP_2)
	v_fmac_f32_e32 v149, v6, v1
	v_fma_f32 v150, v5, v1, -v2
	v_mul_f32_e32 v1, v8, v4
	s_delay_alu instid0(VALU_DEP_4) | instskip(NEXT) | instid1(VALU_DEP_2)
	v_fmac_f32_e32 v151, v8, v3
	v_fma_f32 v152, v7, v3, -v1
	ds_load_b128 v[1:4], v21 offset:560
	ds_load_b128 v[5:8], v21 offset:576
	s_wait_loadcnt_dscnt 0x1
	v_mul_f32_e32 v153, v1, v10
	v_mul_f32_e32 v155, v3, v12
	s_delay_alu instid0(VALU_DEP_2) | instskip(NEXT) | instid1(VALU_DEP_2)
	v_fmac_f32_e32 v153, v2, v9
	v_dual_mul_f32 v2, v2, v10 :: v_dual_fmac_f32 v155, v4, v11
	s_delay_alu instid0(VALU_DEP_1) | instskip(SKIP_1) | instid1(VALU_DEP_1)
	v_fma_f32 v154, v1, v9, -v2
	v_mul_f32_e32 v1, v4, v12
	v_fma_f32 v156, v3, v11, -v1
	s_clause 0x1
	scratch_load_b128 v[1:4], off, off offset:192
	scratch_load_b128 v[9:12], off, off offset:208
	s_wait_loadcnt_dscnt 0x100
	v_mul_f32_e32 v157, v5, v2
	v_dual_mul_f32 v2, v6, v2 :: v_dual_mul_f32 v159, v7, v4
	s_delay_alu instid0(VALU_DEP_1) | instskip(NEXT) | instid1(VALU_DEP_3)
	v_fma_f32 v158, v5, v1, -v2
	v_fmac_f32_e32 v157, v6, v1
	v_mul_f32_e32 v1, v8, v4
	s_delay_alu instid0(VALU_DEP_4) | instskip(NEXT) | instid1(VALU_DEP_2)
	v_fmac_f32_e32 v159, v8, v3
	v_fma_f32 v160, v7, v3, -v1
	ds_load_b128 v[1:4], v21 offset:592
	ds_load_b128 v[5:8], v21 offset:608
	s_wait_loadcnt_dscnt 0x1
	v_mul_f32_e32 v161, v1, v10
	v_mul_f32_e32 v163, v3, v12
	s_delay_alu instid0(VALU_DEP_1) | instskip(NEXT) | instid1(VALU_DEP_3)
	v_fmac_f32_e32 v163, v4, v11
	v_fmac_f32_e32 v161, v2, v9
	v_mul_f32_e32 v2, v2, v10
	s_delay_alu instid0(VALU_DEP_1) | instskip(SKIP_1) | instid1(VALU_DEP_1)
	v_fma_f32 v162, v1, v9, -v2
	v_mul_f32_e32 v1, v4, v12
	v_fma_f32 v164, v3, v11, -v1
	s_clause 0x1
	scratch_load_b128 v[1:4], off, off offset:224
	scratch_load_b128 v[9:12], off, off offset:240
	s_wait_loadcnt_dscnt 0x100
	v_mul_f32_e32 v165, v5, v2
	v_dual_mul_f32 v2, v6, v2 :: v_dual_mul_f32 v167, v7, v4
	s_delay_alu instid0(VALU_DEP_2) | instskip(NEXT) | instid1(VALU_DEP_2)
	v_fmac_f32_e32 v165, v6, v1
	v_fma_f32 v166, v5, v1, -v2
	v_mul_f32_e32 v1, v8, v4
	s_delay_alu instid0(VALU_DEP_4) | instskip(NEXT) | instid1(VALU_DEP_2)
	v_fmac_f32_e32 v167, v8, v3
	v_fma_f32 v168, v7, v3, -v1
	ds_load_b128 v[1:4], v21 offset:624
	ds_load_b128 v[5:8], v21 offset:640
	s_wait_loadcnt_dscnt 0x1
	v_mul_f32_e32 v169, v1, v10
	v_mul_f32_e32 v171, v3, v12
	s_delay_alu instid0(VALU_DEP_2) | instskip(NEXT) | instid1(VALU_DEP_2)
	v_fmac_f32_e32 v169, v2, v9
	v_dual_mul_f32 v2, v2, v10 :: v_dual_fmac_f32 v171, v4, v11
	s_delay_alu instid0(VALU_DEP_1) | instskip(SKIP_1) | instid1(VALU_DEP_1)
	v_fma_f32 v170, v1, v9, -v2
	v_mul_f32_e32 v1, v4, v12
	v_fma_f32 v172, v3, v11, -v1
	s_clause 0x1
	scratch_load_b128 v[1:4], off, off offset:256
	scratch_load_b128 v[9:12], off, off offset:272
	s_wait_loadcnt_dscnt 0x100
	v_mul_f32_e32 v173, v5, v2
	v_dual_mul_f32 v2, v6, v2 :: v_dual_mul_f32 v175, v7, v4
	s_delay_alu instid0(VALU_DEP_2) | instskip(NEXT) | instid1(VALU_DEP_2)
	v_fmac_f32_e32 v173, v6, v1
	v_fma_f32 v174, v5, v1, -v2
	v_mul_f32_e32 v1, v8, v4
	s_delay_alu instid0(VALU_DEP_4) | instskip(NEXT) | instid1(VALU_DEP_2)
	v_fmac_f32_e32 v175, v8, v3
	v_fma_f32 v176, v7, v3, -v1
	ds_load_b128 v[1:4], v21 offset:656
	ds_load_b128 v[5:8], v21 offset:672
	s_wait_loadcnt_dscnt 0x1
	v_mul_f32_e32 v177, v1, v10
	v_mul_f32_e32 v179, v3, v12
	s_delay_alu instid0(VALU_DEP_2) | instskip(NEXT) | instid1(VALU_DEP_2)
	v_fmac_f32_e32 v177, v2, v9
	v_dual_mul_f32 v2, v2, v10 :: v_dual_fmac_f32 v179, v4, v11
	s_delay_alu instid0(VALU_DEP_1) | instskip(SKIP_1) | instid1(VALU_DEP_1)
	v_fma_f32 v178, v1, v9, -v2
	v_mul_f32_e32 v1, v4, v12
	v_fma_f32 v180, v3, v11, -v1
	s_clause 0x1
	scratch_load_b128 v[1:4], off, off offset:288
	scratch_load_b128 v[9:12], off, off offset:304
	s_wait_loadcnt_dscnt 0x100
	v_mul_f32_e32 v181, v5, v2
	v_mul_f32_e32 v2, v6, v2
	s_delay_alu instid0(VALU_DEP_1) | instskip(SKIP_1) | instid1(VALU_DEP_1)
	v_fma_f32 v182, v5, v1, -v2
	v_add_f32_e32 v2, 0, v134
	v_add_f32_e32 v2, v2, v135
	s_delay_alu instid0(VALU_DEP_1) | instskip(NEXT) | instid1(VALU_DEP_1)
	v_add_f32_e32 v2, v2, v25
	v_add_f32_e32 v2, v2, v26
	s_delay_alu instid0(VALU_DEP_1) | instskip(NEXT) | instid1(VALU_DEP_1)
	;; [unrolled: 3-line block ×5, first 2 shown]
	v_add_f32_e32 v2, v2, v19
	v_add_f32_e32 v2, v2, v20
	v_fmac_f32_e32 v181, v6, v1
	s_delay_alu instid0(VALU_DEP_2) | instskip(NEXT) | instid1(VALU_DEP_1)
	v_dual_mul_f32 v1, v8, v4 :: v_dual_add_f32 v2, v2, v137
	v_fma_f32 v184, v7, v3, -v1
	v_add_f32_e32 v1, 0, v22
	s_delay_alu instid0(VALU_DEP_1) | instskip(NEXT) | instid1(VALU_DEP_1)
	v_dual_add_f32 v2, v2, v138 :: v_dual_add_f32 v1, v1, v24
	v_dual_add_f32 v2, v2, v141 :: v_dual_add_f32 v1, v1, v124
	s_delay_alu instid0(VALU_DEP_1) | instskip(NEXT) | instid1(VALU_DEP_1)
	v_dual_add_f32 v2, v2, v143 :: v_dual_add_f32 v1, v1, v125
	v_dual_add_f32 v2, v2, v145 :: v_dual_add_f32 v1, v1, v126
	s_delay_alu instid0(VALU_DEP_1) | instskip(NEXT) | instid1(VALU_DEP_1)
	v_add_f32_e32 v2, v2, v147
	v_dual_add_f32 v1, v1, v127 :: v_dual_add_f32 v2, v2, v149
	s_delay_alu instid0(VALU_DEP_1) | instskip(NEXT) | instid1(VALU_DEP_1)
	v_dual_add_f32 v1, v1, v13 :: v_dual_add_f32 v2, v2, v151
	v_dual_add_f32 v1, v1, v14 :: v_dual_add_f32 v2, v2, v153
	s_delay_alu instid0(VALU_DEP_1) | instskip(NEXT) | instid1(VALU_DEP_1)
	v_add_f32_e32 v1, v1, v16
	v_add_f32_e32 v1, v1, v17
	s_delay_alu instid0(VALU_DEP_1) | instskip(NEXT) | instid1(VALU_DEP_1)
	v_add_f32_e32 v1, v1, v130
	v_add_f32_e32 v1, v1, v131
	;; [unrolled: 3-line block ×8, first 2 shown]
	s_delay_alu instid0(VALU_DEP_1) | instskip(NEXT) | instid1(VALU_DEP_1)
	v_dual_mul_f32 v183, v7, v4 :: v_dual_add_f32 v14, v14, v162
	v_fmac_f32_e32 v183, v8, v3
	s_delay_alu instid0(VALU_DEP_2) | instskip(NEXT) | instid1(VALU_DEP_1)
	v_add_f32_e32 v17, v14, v164
	v_add_f32_e32 v17, v17, v166
	s_delay_alu instid0(VALU_DEP_1) | instskip(NEXT) | instid1(VALU_DEP_1)
	v_add_f32_e32 v17, v17, v168
	v_add_f32_e32 v17, v17, v170
	s_delay_alu instid0(VALU_DEP_1) | instskip(NEXT) | instid1(VALU_DEP_1)
	v_add_f32_e32 v25, v17, v172
	v_add_f32_e32 v25, v25, v174
	s_delay_alu instid0(VALU_DEP_1)
	v_add_f32_e32 v25, v25, v176
	v_add_f32_e32 v5, v2, v155
	ds_load_b128 v[1:4], v21 offset:688
	v_add_f32_e32 v13, v5, v157
	scratch_load_b128 v[5:8], off, off offset:320
	v_add_f32_e32 v13, v13, v159
	s_delay_alu instid0(VALU_DEP_1) | instskip(NEXT) | instid1(VALU_DEP_1)
	v_add_f32_e32 v13, v13, v161
	v_add_f32_e32 v18, v13, v163
	ds_load_b128 v[13:16], v21 offset:704
	s_wait_loadcnt_dscnt 0x101
	v_mul_f32_e32 v22, v1, v10
	v_mul_f32_e32 v10, v2, v10
	;; [unrolled: 1-line block ×4, first 2 shown]
	v_add_f32_e32 v18, v18, v165
	v_fmac_f32_e32 v22, v2, v9
	v_fma_f32 v125, v1, v9, -v10
	v_fmac_f32_e32 v124, v4, v11
	v_fma_f32 v126, v3, v11, -v12
	s_clause 0x1
	scratch_load_b128 v[1:4], off, off offset:336
	scratch_load_b128 v[9:12], off, off offset:352
	v_add_f32_e32 v18, v18, v167
	s_delay_alu instid0(VALU_DEP_1) | instskip(SKIP_3) | instid1(VALU_DEP_1)
	v_add_f32_e32 v24, v18, v169
	scratch_load_b128 v[17:20], off, off offset:368
	v_add_f32_e32 v24, v24, v171
	s_wait_loadcnt_dscnt 0x300
	v_dual_add_f32 v24, v24, v173 :: v_dual_mul_f32 v127, v13, v6
	v_mul_f32_e32 v6, v14, v6
	v_mul_f32_e32 v128, v15, v8
	s_delay_alu instid0(VALU_DEP_3) | instskip(NEXT) | instid1(VALU_DEP_3)
	v_dual_mul_f32 v8, v16, v8 :: v_dual_fmac_f32 v127, v14, v5
	v_fma_f32 v129, v13, v5, -v6
	v_dual_add_f32 v13, v24, v175 :: v_dual_add_f32 v24, v25, v178
	s_delay_alu instid0(VALU_DEP_4) | instskip(NEXT) | instid1(VALU_DEP_4)
	v_fmac_f32_e32 v128, v16, v7
	v_fma_f32 v130, v15, v7, -v8
	ds_load_b128 v[5:8], v21 offset:720
	v_add_f32_e32 v25, v13, v177
	v_add_f32_e32 v131, v24, v180
	ds_load_b128 v[13:16], v21 offset:736
	v_add_f32_e32 v134, v25, v179
	ds_load_b128 v[24:27], v21 offset:752
	v_add_f32_e32 v21, v131, v182
	v_add_f32_e32 v131, v134, v181
	s_delay_alu instid0(VALU_DEP_2) | instskip(NEXT) | instid1(VALU_DEP_2)
	v_add_f32_e32 v21, v21, v184
	v_add_f32_e32 v131, v131, v183
	s_delay_alu instid0(VALU_DEP_2) | instskip(SKIP_2) | instid1(VALU_DEP_3)
	v_add_f32_e32 v21, v21, v125
	s_wait_loadcnt_dscnt 0x202
	v_mul_f32_e32 v134, v5, v2
	v_add_f32_e32 v22, v131, v22
	v_mul_f32_e32 v2, v6, v2
	v_add_f32_e32 v21, v21, v126
	v_mul_f32_e32 v125, v7, v4
	v_mul_f32_e32 v4, v8, v4
	v_add_f32_e32 v22, v22, v124
	v_fma_f32 v2, v5, v1, -v2
	v_add_f32_e32 v21, v21, v129
	s_wait_loadcnt_dscnt 0x101
	v_dual_fmac_f32 v134, v6, v1 :: v_dual_mul_f32 v131, v13, v10
	v_add_f32_e32 v22, v22, v127
	v_mul_f32_e32 v6, v14, v10
	v_add_f32_e32 v1, v21, v130
	v_fmac_f32_e32 v125, v8, v3
	v_fma_f32 v3, v7, v3, -v4
	v_add_f32_e32 v5, v22, v128
	v_mul_f32_e32 v135, v15, v12
	v_dual_add_f32 v1, v1, v2 :: v_dual_mul_f32 v4, v16, v12
	s_delay_alu instid0(VALU_DEP_3) | instskip(SKIP_2) | instid1(VALU_DEP_3)
	v_dual_fmac_f32 v131, v14, v9 :: v_dual_add_f32 v2, v5, v134
	v_fma_f32 v5, v13, v9, -v6
	s_wait_loadcnt_dscnt 0x0
	v_dual_add_f32 v1, v1, v3 :: v_dual_mul_f32 v124, v24, v18
	s_delay_alu instid0(VALU_DEP_3) | instskip(SKIP_2) | instid1(VALU_DEP_4)
	v_dual_mul_f32 v3, v25, v18 :: v_dual_add_f32 v2, v2, v125
	v_fmac_f32_e32 v135, v16, v11
	v_fma_f32 v4, v15, v11, -v4
	v_dual_add_f32 v1, v1, v5 :: v_dual_mul_f32 v126, v26, v20
	s_delay_alu instid0(VALU_DEP_4) | instskip(SKIP_2) | instid1(VALU_DEP_3)
	v_dual_add_f32 v2, v2, v131 :: v_dual_mul_f32 v5, v27, v20
	v_fmac_f32_e32 v124, v25, v17
	v_fma_f32 v3, v24, v17, -v3
	v_dual_add_f32 v1, v1, v4 :: v_dual_add_f32 v2, v2, v135
	v_fmac_f32_e32 v126, v27, v19
	v_fma_f32 v4, v26, v19, -v5
	s_delay_alu instid0(VALU_DEP_3) | instskip(NEXT) | instid1(VALU_DEP_1)
	v_dual_add_f32 v1, v1, v3 :: v_dual_add_f32 v2, v2, v124
	v_dual_add_f32 v1, v1, v4 :: v_dual_add_f32 v2, v2, v126
	s_delay_alu instid0(VALU_DEP_1)
	v_dual_sub_f32 v1, v132, v1 :: v_dual_sub_f32 v2, v133, v2
	scratch_store_b64 off, v[1:2], off offset:8
	v_cmpx_ne_u32_e32 0, v0
	s_cbranch_execz .LBB47_301
; %bb.300:
	scratch_load_b64 v[0:1], off, off
	v_mov_b32_e32 v2, 0
	s_delay_alu instid0(VALU_DEP_1)
	v_mov_b32_e32 v3, v2
	scratch_store_b64 off, v[2:3], off
	s_wait_loadcnt 0x0
	ds_store_b64 v23, v[0:1]
.LBB47_301:
	s_wait_alu 0xfffe
	s_or_b32 exec_lo, exec_lo, s0
	s_wait_storecnt_dscnt 0x0
	s_barrier_signal -1
	s_barrier_wait -1
	global_inv scope:SCOPE_SE
	s_clause 0x6
	scratch_load_b128 v[0:3], off, off offset:8
	scratch_load_b128 v[4:7], off, off offset:24
	;; [unrolled: 1-line block ×7, first 2 shown]
	v_mov_b32_e32 v124, 0
	scratch_load_b64 v[133:134], off, off
	s_and_b32 vcc_lo, exec_lo, s18
	ds_load_2addr_b64 v[125:128], v124 offset0:49 offset1:50
	ds_load_2addr_b64 v[129:132], v124 offset0:51 offset1:52
	s_wait_loadcnt_dscnt 0x701
	v_mul_f32_e32 v135, v126, v1
	v_dual_mul_f32 v136, v125, v1 :: v_dual_mul_f32 v137, v127, v3
	v_mul_f32_e32 v1, v128, v3
	s_delay_alu instid0(VALU_DEP_3) | instskip(NEXT) | instid1(VALU_DEP_3)
	v_fma_f32 v125, v125, v0, -v135
	v_dual_fmac_f32 v136, v126, v0 :: v_dual_fmac_f32 v137, v128, v2
	s_wait_loadcnt_dscnt 0x600
	v_mul_f32_e32 v128, v131, v7
	v_fma_f32 v126, v127, v2, -v1
	ds_load_2addr_b64 v[0:3], v124 offset0:53 offset1:54
	v_mul_f32_e32 v127, v129, v5
	v_mul_f32_e32 v5, v130, v5
	;; [unrolled: 1-line block ×3, first 2 shown]
	s_delay_alu instid0(VALU_DEP_3) | instskip(NEXT) | instid1(VALU_DEP_3)
	v_dual_fmac_f32 v128, v132, v6 :: v_dual_fmac_f32 v127, v130, v4
	v_fma_f32 v129, v129, v4, -v5
	s_delay_alu instid0(VALU_DEP_3)
	v_fma_f32 v130, v131, v6, -v7
	ds_load_2addr_b64 v[4:7], v124 offset0:55 offset1:56
	s_wait_loadcnt_dscnt 0x501
	v_dual_mul_f32 v131, v0, v9 :: v_dual_mul_f32 v132, v2, v11
	v_mul_f32_e32 v9, v1, v9
	v_mul_f32_e32 v11, v3, v11
	s_delay_alu instid0(VALU_DEP_3) | instskip(NEXT) | instid1(VALU_DEP_3)
	v_dual_fmac_f32 v131, v1, v8 :: v_dual_fmac_f32 v132, v3, v10
	v_fma_f32 v135, v0, v8, -v9
	s_delay_alu instid0(VALU_DEP_3)
	v_fma_f32 v138, v2, v10, -v11
	ds_load_2addr_b64 v[0:3], v124 offset0:57 offset1:58
	s_wait_loadcnt_dscnt 0x401
	v_mul_f32_e32 v139, v4, v13
	v_dual_mul_f32 v8, v5, v13 :: v_dual_mul_f32 v13, v6, v15
	v_mul_f32_e32 v9, v7, v15
	s_delay_alu instid0(VALU_DEP_3) | instskip(NEXT) | instid1(VALU_DEP_3)
	v_fmac_f32_e32 v139, v5, v12
	v_fma_f32 v12, v4, v12, -v8
	s_delay_alu instid0(VALU_DEP_4) | instskip(NEXT) | instid1(VALU_DEP_4)
	v_fmac_f32_e32 v13, v7, v14
	v_fma_f32 v14, v6, v14, -v9
	ds_load_2addr_b64 v[4:7], v124 offset0:59 offset1:60
	s_wait_loadcnt_dscnt 0x301
	v_mul_f32_e32 v15, v0, v17
	v_dual_mul_f32 v8, v1, v17 :: v_dual_mul_f32 v17, v2, v19
	v_mul_f32_e32 v9, v3, v19
	s_delay_alu instid0(VALU_DEP_3) | instskip(NEXT) | instid1(VALU_DEP_3)
	v_fmac_f32_e32 v15, v1, v16
	v_fma_f32 v16, v0, v16, -v8
	s_delay_alu instid0(VALU_DEP_4) | instskip(NEXT) | instid1(VALU_DEP_4)
	v_fmac_f32_e32 v17, v3, v18
	v_fma_f32 v18, v2, v18, -v9
	ds_load_2addr_b64 v[0:3], v124 offset0:61 offset1:62
	s_wait_loadcnt_dscnt 0x201
	v_mul_f32_e32 v19, v4, v21
	v_dual_mul_f32 v8, v5, v21 :: v_dual_mul_f32 v21, v6, v23
	v_mul_f32_e32 v9, v7, v23
	s_delay_alu instid0(VALU_DEP_3) | instskip(NEXT) | instid1(VALU_DEP_3)
	v_fmac_f32_e32 v19, v5, v20
	v_fma_f32 v20, v4, v20, -v8
	s_delay_alu instid0(VALU_DEP_4) | instskip(NEXT) | instid1(VALU_DEP_4)
	v_fmac_f32_e32 v21, v7, v22
	v_fma_f32 v22, v6, v22, -v9
	ds_load_2addr_b64 v[4:7], v124 offset0:63 offset1:64
	s_wait_loadcnt_dscnt 0x101
	v_mul_f32_e32 v23, v0, v25
	v_dual_mul_f32 v8, v1, v25 :: v_dual_mul_f32 v25, v2, v27
	v_mul_f32_e32 v9, v3, v27
	s_delay_alu instid0(VALU_DEP_3) | instskip(NEXT) | instid1(VALU_DEP_3)
	v_fmac_f32_e32 v23, v1, v24
	v_fma_f32 v24, v0, v24, -v8
	s_delay_alu instid0(VALU_DEP_4) | instskip(NEXT) | instid1(VALU_DEP_4)
	v_fmac_f32_e32 v25, v3, v26
	v_fma_f32 v26, v2, v26, -v9
	s_clause 0x1
	scratch_load_b128 v[0:3], off, off offset:120
	scratch_load_b128 v[8:11], off, off offset:136
	s_wait_loadcnt_dscnt 0x100
	v_mul_f32_e32 v27, v4, v1
	v_mul_f32_e32 v1, v5, v1
	;; [unrolled: 1-line block ×3, first 2 shown]
	s_delay_alu instid0(VALU_DEP_3) | instskip(NEXT) | instid1(VALU_DEP_3)
	v_fmac_f32_e32 v27, v5, v0
	v_fma_f32 v140, v4, v0, -v1
	v_mul_f32_e32 v0, v7, v3
	s_delay_alu instid0(VALU_DEP_4) | instskip(NEXT) | instid1(VALU_DEP_2)
	v_fmac_f32_e32 v141, v7, v2
	v_fma_f32 v142, v6, v2, -v0
	ds_load_2addr_b64 v[0:3], v124 offset0:65 offset1:66
	ds_load_2addr_b64 v[4:7], v124 offset0:67 offset1:68
	s_wait_loadcnt_dscnt 0x1
	v_mul_f32_e32 v143, v0, v9
	s_delay_alu instid0(VALU_DEP_1) | instskip(SKIP_1) | instid1(VALU_DEP_1)
	v_fmac_f32_e32 v143, v1, v8
	v_mul_f32_e32 v1, v1, v9
	v_fma_f32 v144, v0, v8, -v1
	v_mul_f32_e32 v0, v3, v11
	s_delay_alu instid0(VALU_DEP_1) | instskip(SKIP_1) | instid1(VALU_DEP_1)
	v_fma_f32 v146, v2, v10, -v0
	v_mul_f32_e32 v145, v2, v11
	v_fmac_f32_e32 v145, v3, v10
	s_clause 0x1
	scratch_load_b128 v[0:3], off, off offset:152
	scratch_load_b128 v[8:11], off, off offset:168
	s_wait_loadcnt_dscnt 0x100
	v_mul_f32_e32 v147, v4, v1
	v_mul_f32_e32 v1, v5, v1
	v_mul_f32_e32 v149, v6, v3
	s_delay_alu instid0(VALU_DEP_3) | instskip(NEXT) | instid1(VALU_DEP_3)
	v_fmac_f32_e32 v147, v5, v0
	v_fma_f32 v148, v4, v0, -v1
	v_mul_f32_e32 v0, v7, v3
	s_delay_alu instid0(VALU_DEP_4) | instskip(NEXT) | instid1(VALU_DEP_2)
	v_fmac_f32_e32 v149, v7, v2
	v_fma_f32 v150, v6, v2, -v0
	ds_load_2addr_b64 v[0:3], v124 offset0:69 offset1:70
	ds_load_2addr_b64 v[4:7], v124 offset0:71 offset1:72
	s_wait_loadcnt_dscnt 0x1
	v_mul_f32_e32 v151, v0, v9
	v_mul_f32_e32 v153, v2, v11
	s_delay_alu instid0(VALU_DEP_2) | instskip(SKIP_1) | instid1(VALU_DEP_3)
	v_fmac_f32_e32 v151, v1, v8
	v_mul_f32_e32 v1, v1, v9
	v_fmac_f32_e32 v153, v3, v10
	s_delay_alu instid0(VALU_DEP_2) | instskip(SKIP_1) | instid1(VALU_DEP_1)
	v_fma_f32 v152, v0, v8, -v1
	v_mul_f32_e32 v0, v3, v11
	v_fma_f32 v154, v2, v10, -v0
	s_clause 0x1
	scratch_load_b128 v[0:3], off, off offset:184
	scratch_load_b128 v[8:11], off, off offset:200
	s_wait_loadcnt_dscnt 0x100
	v_mul_f32_e32 v155, v4, v1
	v_mul_f32_e32 v1, v5, v1
	v_mul_f32_e32 v157, v6, v3
	s_delay_alu instid0(VALU_DEP_3) | instskip(NEXT) | instid1(VALU_DEP_3)
	v_fmac_f32_e32 v155, v5, v0
	v_fma_f32 v156, v4, v0, -v1
	v_mul_f32_e32 v0, v7, v3
	s_delay_alu instid0(VALU_DEP_4) | instskip(NEXT) | instid1(VALU_DEP_2)
	v_fmac_f32_e32 v157, v7, v2
	v_fma_f32 v158, v6, v2, -v0
	ds_load_2addr_b64 v[0:3], v124 offset0:73 offset1:74
	ds_load_2addr_b64 v[4:7], v124 offset0:75 offset1:76
	s_wait_loadcnt_dscnt 0x1
	v_mul_f32_e32 v159, v0, v9
	v_mul_f32_e32 v161, v2, v11
	s_delay_alu instid0(VALU_DEP_2) | instskip(SKIP_1) | instid1(VALU_DEP_3)
	v_fmac_f32_e32 v159, v1, v8
	v_mul_f32_e32 v1, v1, v9
	v_fmac_f32_e32 v161, v3, v10
	s_delay_alu instid0(VALU_DEP_2) | instskip(SKIP_1) | instid1(VALU_DEP_1)
	v_fma_f32 v160, v0, v8, -v1
	v_mul_f32_e32 v0, v3, v11
	v_fma_f32 v162, v2, v10, -v0
	;; [unrolled: 27-line block ×4, first 2 shown]
	s_clause 0x1
	scratch_load_b128 v[0:3], off, off offset:280
	scratch_load_b128 v[8:11], off, off offset:296
	s_wait_loadcnt_dscnt 0x100
	v_mul_f32_e32 v179, v4, v1
	v_mul_f32_e32 v1, v5, v1
	;; [unrolled: 1-line block ×3, first 2 shown]
	s_delay_alu instid0(VALU_DEP_3) | instskip(NEXT) | instid1(VALU_DEP_3)
	v_fmac_f32_e32 v179, v5, v0
	v_fma_f32 v180, v4, v0, -v1
	v_dual_mul_f32 v0, v7, v3 :: v_dual_add_f32 v1, 0, v136
	s_delay_alu instid0(VALU_DEP_4) | instskip(NEXT) | instid1(VALU_DEP_2)
	v_fmac_f32_e32 v181, v7, v2
	v_fma_f32 v182, v6, v2, -v0
	v_add_f32_e32 v0, 0, v125
	s_delay_alu instid0(VALU_DEP_1) | instskip(NEXT) | instid1(VALU_DEP_1)
	v_dual_add_f32 v1, v1, v137 :: v_dual_add_f32 v0, v0, v126
	v_dual_add_f32 v1, v1, v127 :: v_dual_add_f32 v0, v0, v129
	s_delay_alu instid0(VALU_DEP_1) | instskip(NEXT) | instid1(VALU_DEP_1)
	v_dual_add_f32 v1, v1, v128 :: v_dual_add_f32 v0, v0, v130
	v_add_f32_e32 v1, v1, v131
	s_delay_alu instid0(VALU_DEP_1) | instskip(NEXT) | instid1(VALU_DEP_1)
	v_dual_add_f32 v0, v0, v135 :: v_dual_add_f32 v1, v1, v132
	v_dual_add_f32 v0, v0, v138 :: v_dual_add_f32 v1, v1, v139
	s_delay_alu instid0(VALU_DEP_1) | instskip(NEXT) | instid1(VALU_DEP_1)
	v_dual_add_f32 v0, v0, v12 :: v_dual_add_f32 v1, v1, v13
	v_dual_add_f32 v0, v0, v14 :: v_dual_add_f32 v1, v1, v15
	;; [unrolled: 3-line block ×4, first 2 shown]
	s_delay_alu instid0(VALU_DEP_1) | instskip(SKIP_2) | instid1(VALU_DEP_1)
	v_dual_add_f32 v0, v0, v24 :: v_dual_add_f32 v1, v1, v25
	scratch_load_b64 v[24:25], off, off offset:376
	v_dual_add_f32 v0, v0, v26 :: v_dual_add_f32 v1, v1, v27
	v_dual_add_f32 v0, v0, v140 :: v_dual_add_f32 v1, v1, v141
	s_delay_alu instid0(VALU_DEP_1) | instskip(NEXT) | instid1(VALU_DEP_1)
	v_dual_add_f32 v0, v0, v142 :: v_dual_add_f32 v1, v1, v143
	v_add_f32_e32 v0, v0, v144
	s_delay_alu instid0(VALU_DEP_1) | instskip(NEXT) | instid1(VALU_DEP_1)
	v_add_f32_e32 v0, v0, v146
	v_dual_add_f32 v0, v0, v148 :: v_dual_add_f32 v1, v1, v145
	s_delay_alu instid0(VALU_DEP_1) | instskip(NEXT) | instid1(VALU_DEP_1)
	v_dual_add_f32 v0, v0, v150 :: v_dual_add_f32 v1, v1, v147
	v_dual_add_f32 v0, v0, v152 :: v_dual_add_f32 v1, v1, v149
	s_delay_alu instid0(VALU_DEP_1) | instskip(SKIP_4) | instid1(VALU_DEP_1)
	v_dual_add_f32 v5, v0, v154 :: v_dual_add_f32 v4, v1, v151
	scratch_load_b128 v[0:3], off, off offset:312
	v_dual_add_f32 v13, v5, v156 :: v_dual_add_f32 v12, v4, v153
	ds_load_2addr_b64 v[4:7], v124 offset0:85 offset1:86
	v_add_f32_e32 v13, v13, v158
	v_add_f32_e32 v16, v13, v160
	s_delay_alu instid0(VALU_DEP_1) | instskip(NEXT) | instid1(VALU_DEP_1)
	v_add_f32_e32 v16, v16, v162
	v_add_f32_e32 v16, v16, v164
	s_delay_alu instid0(VALU_DEP_1) | instskip(SKIP_1) | instid1(VALU_DEP_2)
	v_add_f32_e32 v16, v16, v166
	v_add_f32_e32 v12, v12, v155
	;; [unrolled: 1-line block ×3, first 2 shown]
	s_delay_alu instid0(VALU_DEP_1) | instskip(NEXT) | instid1(VALU_DEP_1)
	v_dual_add_f32 v12, v12, v157 :: v_dual_add_f32 v21, v21, v170
	v_add_f32_e32 v17, v12, v159
	ds_load_2addr_b64 v[12:15], v124 offset0:87 offset1:88
	s_wait_loadcnt_dscnt 0x201
	v_mul_f32_e32 v125, v4, v9
	v_dual_mul_f32 v9, v5, v9 :: v_dual_mul_f32 v126, v6, v11
	v_mul_f32_e32 v11, v7, v11
	v_add_f32_e32 v17, v17, v161
	s_delay_alu instid0(VALU_DEP_4) | instskip(NEXT) | instid1(VALU_DEP_4)
	v_fmac_f32_e32 v125, v5, v8
	v_fma_f32 v127, v4, v8, -v9
	v_fmac_f32_e32 v126, v7, v10
	v_fma_f32 v128, v6, v10, -v11
	s_clause 0x1
	scratch_load_b128 v[4:7], off, off offset:328
	scratch_load_b128 v[8:11], off, off offset:344
	v_add_f32_e32 v17, v17, v163
	v_add_f32_e32 v21, v21, v172
	s_delay_alu instid0(VALU_DEP_2) | instskip(SKIP_2) | instid1(VALU_DEP_1)
	v_add_f32_e32 v20, v17, v165
	scratch_load_b128 v[16:19], off, off offset:360
	v_dual_add_f32 v21, v21, v174 :: v_dual_add_f32 v20, v20, v167
	v_add_f32_e32 v20, v20, v169
	s_delay_alu instid0(VALU_DEP_1) | instskip(SKIP_4) | instid1(VALU_DEP_3)
	v_add_f32_e32 v20, v20, v171
	s_wait_loadcnt_dscnt 0x300
	v_mul_f32_e32 v129, v12, v1
	v_dual_mul_f32 v1, v13, v1 :: v_dual_mul_f32 v130, v14, v3
	v_mul_f32_e32 v3, v15, v3
	v_fmac_f32_e32 v129, v13, v0
	s_delay_alu instid0(VALU_DEP_3)
	v_fma_f32 v131, v12, v0, -v1
	v_dual_add_f32 v12, v20, v173 :: v_dual_add_f32 v13, v21, v176
	v_fmac_f32_e32 v130, v15, v2
	v_fma_f32 v132, v14, v2, -v3
	ds_load_2addr_b64 v[0:3], v124 offset0:89 offset1:90
	v_add_f32_e32 v20, v12, v175
	v_add_f32_e32 v26, v13, v178
	ds_load_2addr_b64 v[12:15], v124 offset0:91 offset1:92
	v_add_f32_e32 v27, v20, v177
	v_add_f32_e32 v135, v26, v180
	;; [unrolled: 3-line block ×3, first 2 shown]
	ds_load_b64 v[26:27], v124 offset:760
	v_dual_add_f32 v136, v136, v181 :: v_dual_add_f32 v127, v135, v127
	s_delay_alu instid0(VALU_DEP_1) | instskip(NEXT) | instid1(VALU_DEP_2)
	v_add_f32_e32 v125, v136, v125
	v_add_f32_e32 v127, v127, v128
	s_delay_alu instid0(VALU_DEP_2) | instskip(NEXT) | instid1(VALU_DEP_2)
	v_add_f32_e32 v125, v125, v126
	v_add_f32_e32 v127, v127, v131
	s_delay_alu instid0(VALU_DEP_2) | instskip(SKIP_2) | instid1(VALU_DEP_1)
	v_add_f32_e32 v125, v125, v129
	s_wait_dscnt 0x0
	v_mul_f32_e32 v129, v26, v25
	v_fmac_f32_e32 v129, v27, v24
	s_wait_loadcnt 0x2
	v_mul_f32_e32 v137, v0, v5
	v_mul_f32_e32 v5, v1, v5
	v_mul_f32_e32 v135, v2, v7
	s_wait_loadcnt 0x1
	v_dual_mul_f32 v7, v3, v7 :: v_dual_mul_f32 v128, v12, v9
	v_fmac_f32_e32 v137, v1, v4
	v_fma_f32 v0, v0, v4, -v5
	v_dual_add_f32 v1, v127, v132 :: v_dual_add_f32 v4, v125, v130
	v_mul_f32_e32 v5, v13, v9
	v_fmac_f32_e32 v135, v3, v6
	v_fma_f32 v2, v2, v6, -v7
	s_delay_alu instid0(VALU_DEP_4) | instskip(SKIP_3) | instid1(VALU_DEP_4)
	v_dual_add_f32 v0, v1, v0 :: v_dual_add_f32 v1, v4, v137
	v_mul_f32_e32 v126, v14, v11
	v_dual_mul_f32 v3, v15, v11 :: v_dual_fmac_f32 v128, v13, v8
	v_fma_f32 v4, v12, v8, -v5
	v_dual_add_f32 v0, v0, v2 :: v_dual_add_f32 v1, v1, v135
	s_wait_loadcnt 0x0
	v_mul_f32_e32 v136, v20, v17
	v_mul_f32_e32 v2, v21, v17
	v_fmac_f32_e32 v126, v15, v10
	v_fma_f32 v3, v14, v10, -v3
	v_add_f32_e32 v0, v0, v4
	v_add_f32_e32 v1, v1, v128
	v_mul_f32_e32 v131, v22, v19
	v_mul_f32_e32 v4, v23, v19
	v_fmac_f32_e32 v136, v21, v16
	v_fma_f32 v2, v20, v16, -v2
	v_dual_add_f32 v0, v0, v3 :: v_dual_add_f32 v1, v1, v126
	v_mul_f32_e32 v3, v27, v25
	v_fmac_f32_e32 v131, v23, v18
	v_fma_f32 v4, v22, v18, -v4
	s_delay_alu instid0(VALU_DEP_4) | instskip(NEXT) | instid1(VALU_DEP_4)
	v_dual_add_f32 v0, v0, v2 :: v_dual_add_f32 v1, v1, v136
	v_fma_f32 v2, v26, v24, -v3
	s_delay_alu instid0(VALU_DEP_2) | instskip(NEXT) | instid1(VALU_DEP_1)
	v_dual_add_f32 v0, v0, v4 :: v_dual_add_f32 v1, v1, v131
	v_dual_add_f32 v0, v0, v2 :: v_dual_add_f32 v1, v1, v129
	s_delay_alu instid0(VALU_DEP_1)
	v_dual_sub_f32 v0, v133, v0 :: v_dual_sub_f32 v1, v134, v1
	scratch_store_b64 off, v[0:1], off
	s_wait_alu 0xfffe
	s_cbranch_vccz .LBB47_396
; %bb.302:
	global_load_b32 v0, v124, s[2:3] offset:184
	s_wait_loadcnt 0x0
	v_cmp_ne_u32_e32 vcc_lo, 47, v0
	s_cbranch_vccz .LBB47_304
; %bb.303:
	v_lshlrev_b32_e32 v0, 3, v0
	s_delay_alu instid0(VALU_DEP_1)
	v_mov_b32_e32 v4, v0
	scratch_load_b64 v[0:1], v4, off offset:-8
	scratch_load_b64 v[2:3], off, off offset:368
	s_wait_loadcnt 0x1
	scratch_store_b64 off, v[0:1], off offset:368
	s_wait_loadcnt 0x0
	scratch_store_b64 v4, v[2:3], off offset:-8
.LBB47_304:
	v_mov_b32_e32 v0, 0
	global_load_b32 v1, v0, s[2:3] offset:180
	s_wait_loadcnt 0x0
	v_cmp_eq_u32_e32 vcc_lo, 46, v1
	s_cbranch_vccnz .LBB47_306
; %bb.305:
	v_lshlrev_b32_e32 v1, 3, v1
	s_delay_alu instid0(VALU_DEP_1)
	v_mov_b32_e32 v5, v1
	scratch_load_b64 v[1:2], v5, off offset:-8
	scratch_load_b64 v[3:4], off, off offset:360
	s_wait_loadcnt 0x1
	scratch_store_b64 off, v[1:2], off offset:360
	s_wait_loadcnt 0x0
	scratch_store_b64 v5, v[3:4], off offset:-8
.LBB47_306:
	global_load_b32 v0, v0, s[2:3] offset:176
	s_wait_loadcnt 0x0
	v_cmp_eq_u32_e32 vcc_lo, 45, v0
	s_cbranch_vccnz .LBB47_308
; %bb.307:
	v_lshlrev_b32_e32 v0, 3, v0
	s_delay_alu instid0(VALU_DEP_1)
	v_mov_b32_e32 v4, v0
	scratch_load_b64 v[0:1], v4, off offset:-8
	scratch_load_b64 v[2:3], off, off offset:352
	s_wait_loadcnt 0x1
	scratch_store_b64 off, v[0:1], off offset:352
	s_wait_loadcnt 0x0
	scratch_store_b64 v4, v[2:3], off offset:-8
.LBB47_308:
	v_mov_b32_e32 v0, 0
	global_load_b32 v1, v0, s[2:3] offset:172
	s_wait_loadcnt 0x0
	v_cmp_eq_u32_e32 vcc_lo, 44, v1
	s_cbranch_vccnz .LBB47_310
; %bb.309:
	v_lshlrev_b32_e32 v1, 3, v1
	s_delay_alu instid0(VALU_DEP_1)
	v_mov_b32_e32 v5, v1
	scratch_load_b64 v[1:2], v5, off offset:-8
	scratch_load_b64 v[3:4], off, off offset:344
	s_wait_loadcnt 0x1
	scratch_store_b64 off, v[1:2], off offset:344
	s_wait_loadcnt 0x0
	scratch_store_b64 v5, v[3:4], off offset:-8
.LBB47_310:
	global_load_b32 v0, v0, s[2:3] offset:168
	s_wait_loadcnt 0x0
	v_cmp_eq_u32_e32 vcc_lo, 43, v0
	s_cbranch_vccnz .LBB47_312
; %bb.311:
	v_lshlrev_b32_e32 v0, 3, v0
	s_delay_alu instid0(VALU_DEP_1)
	v_mov_b32_e32 v4, v0
	scratch_load_b64 v[0:1], v4, off offset:-8
	scratch_load_b64 v[2:3], off, off offset:336
	s_wait_loadcnt 0x1
	scratch_store_b64 off, v[0:1], off offset:336
	s_wait_loadcnt 0x0
	scratch_store_b64 v4, v[2:3], off offset:-8
.LBB47_312:
	;; [unrolled: 31-line block ×22, first 2 shown]
	v_mov_b32_e32 v0, 0
	global_load_b32 v1, v0, s[2:3] offset:4
	s_wait_loadcnt 0x0
	v_cmp_eq_u32_e32 vcc_lo, 2, v1
	s_cbranch_vccnz .LBB47_394
; %bb.393:
	v_lshlrev_b32_e32 v1, 3, v1
	s_delay_alu instid0(VALU_DEP_1)
	v_mov_b32_e32 v5, v1
	scratch_load_b64 v[1:2], v5, off offset:-8
	scratch_load_b64 v[3:4], off, off offset:8
	s_wait_loadcnt 0x1
	scratch_store_b64 off, v[1:2], off offset:8
	s_wait_loadcnt 0x0
	scratch_store_b64 v5, v[3:4], off offset:-8
.LBB47_394:
	global_load_b32 v0, v0, s[2:3]
	s_wait_loadcnt 0x0
	v_cmp_eq_u32_e32 vcc_lo, 1, v0
	s_cbranch_vccnz .LBB47_396
; %bb.395:
	v_lshlrev_b32_e32 v0, 3, v0
	s_delay_alu instid0(VALU_DEP_1)
	v_mov_b32_e32 v4, v0
	scratch_load_b64 v[0:1], v4, off offset:-8
	scratch_load_b64 v[2:3], off, off
	s_wait_loadcnt 0x1
	scratch_store_b64 off, v[0:1], off
	s_wait_loadcnt 0x0
	scratch_store_b64 v4, v[2:3], off offset:-8
.LBB47_396:
	s_clause 0x17
	scratch_load_b128 v[0:3], off, off
	scratch_load_b128 v[4:7], off, off offset:16
	scratch_load_b128 v[8:11], off, off offset:32
	;; [unrolled: 1-line block ×23, first 2 shown]
	s_wait_loadcnt 0x17
	s_clause 0x1
	global_store_b64 v[28:29], v[0:1], off
	global_store_b64 v[30:31], v[2:3], off
	s_wait_loadcnt 0x16
	s_clause 0x1
	global_store_b64 v[32:33], v[4:5], off
	global_store_b64 v[34:35], v[6:7], off
	;; [unrolled: 4-line block ×24, first 2 shown]
	s_nop 0
	s_sendmsg sendmsg(MSG_DEALLOC_VGPRS)
	s_endpgm
	.section	.rodata,"a",@progbits
	.p2align	6, 0x0
	.amdhsa_kernel _ZN9rocsolver6v33100L18getri_kernel_smallILi48E19rocblas_complex_numIfEPS3_EEvT1_iilPiilS6_bb
		.amdhsa_group_segment_fixed_size 772
		.amdhsa_private_segment_fixed_size 400
		.amdhsa_kernarg_size 60
		.amdhsa_user_sgpr_count 2
		.amdhsa_user_sgpr_dispatch_ptr 0
		.amdhsa_user_sgpr_queue_ptr 0
		.amdhsa_user_sgpr_kernarg_segment_ptr 1
		.amdhsa_user_sgpr_dispatch_id 0
		.amdhsa_user_sgpr_private_segment_size 0
		.amdhsa_wavefront_size32 1
		.amdhsa_uses_dynamic_stack 0
		.amdhsa_enable_private_segment 1
		.amdhsa_system_sgpr_workgroup_id_x 1
		.amdhsa_system_sgpr_workgroup_id_y 0
		.amdhsa_system_sgpr_workgroup_id_z 0
		.amdhsa_system_sgpr_workgroup_info 0
		.amdhsa_system_vgpr_workitem_id 0
		.amdhsa_next_free_vgpr 250
		.amdhsa_next_free_sgpr 19
		.amdhsa_reserve_vcc 1
		.amdhsa_float_round_mode_32 0
		.amdhsa_float_round_mode_16_64 0
		.amdhsa_float_denorm_mode_32 3
		.amdhsa_float_denorm_mode_16_64 3
		.amdhsa_fp16_overflow 0
		.amdhsa_workgroup_processor_mode 1
		.amdhsa_memory_ordered 1
		.amdhsa_forward_progress 1
		.amdhsa_inst_pref_size 255
		.amdhsa_round_robin_scheduling 0
		.amdhsa_exception_fp_ieee_invalid_op 0
		.amdhsa_exception_fp_denorm_src 0
		.amdhsa_exception_fp_ieee_div_zero 0
		.amdhsa_exception_fp_ieee_overflow 0
		.amdhsa_exception_fp_ieee_underflow 0
		.amdhsa_exception_fp_ieee_inexact 0
		.amdhsa_exception_int_div_zero 0
	.end_amdhsa_kernel
	.section	.text._ZN9rocsolver6v33100L18getri_kernel_smallILi48E19rocblas_complex_numIfEPS3_EEvT1_iilPiilS6_bb,"axG",@progbits,_ZN9rocsolver6v33100L18getri_kernel_smallILi48E19rocblas_complex_numIfEPS3_EEvT1_iilPiilS6_bb,comdat
.Lfunc_end47:
	.size	_ZN9rocsolver6v33100L18getri_kernel_smallILi48E19rocblas_complex_numIfEPS3_EEvT1_iilPiilS6_bb, .Lfunc_end47-_ZN9rocsolver6v33100L18getri_kernel_smallILi48E19rocblas_complex_numIfEPS3_EEvT1_iilPiilS6_bb
                                        ; -- End function
	.set _ZN9rocsolver6v33100L18getri_kernel_smallILi48E19rocblas_complex_numIfEPS3_EEvT1_iilPiilS6_bb.num_vgpr, 250
	.set _ZN9rocsolver6v33100L18getri_kernel_smallILi48E19rocblas_complex_numIfEPS3_EEvT1_iilPiilS6_bb.num_agpr, 0
	.set _ZN9rocsolver6v33100L18getri_kernel_smallILi48E19rocblas_complex_numIfEPS3_EEvT1_iilPiilS6_bb.numbered_sgpr, 19
	.set _ZN9rocsolver6v33100L18getri_kernel_smallILi48E19rocblas_complex_numIfEPS3_EEvT1_iilPiilS6_bb.num_named_barrier, 0
	.set _ZN9rocsolver6v33100L18getri_kernel_smallILi48E19rocblas_complex_numIfEPS3_EEvT1_iilPiilS6_bb.private_seg_size, 400
	.set _ZN9rocsolver6v33100L18getri_kernel_smallILi48E19rocblas_complex_numIfEPS3_EEvT1_iilPiilS6_bb.uses_vcc, 1
	.set _ZN9rocsolver6v33100L18getri_kernel_smallILi48E19rocblas_complex_numIfEPS3_EEvT1_iilPiilS6_bb.uses_flat_scratch, 1
	.set _ZN9rocsolver6v33100L18getri_kernel_smallILi48E19rocblas_complex_numIfEPS3_EEvT1_iilPiilS6_bb.has_dyn_sized_stack, 0
	.set _ZN9rocsolver6v33100L18getri_kernel_smallILi48E19rocblas_complex_numIfEPS3_EEvT1_iilPiilS6_bb.has_recursion, 0
	.set _ZN9rocsolver6v33100L18getri_kernel_smallILi48E19rocblas_complex_numIfEPS3_EEvT1_iilPiilS6_bb.has_indirect_call, 0
	.section	.AMDGPU.csdata,"",@progbits
; Kernel info:
; codeLenInByte = 78956
; TotalNumSgprs: 21
; NumVgprs: 250
; ScratchSize: 400
; MemoryBound: 0
; FloatMode: 240
; IeeeMode: 1
; LDSByteSize: 772 bytes/workgroup (compile time only)
; SGPRBlocks: 0
; VGPRBlocks: 31
; NumSGPRsForWavesPerEU: 21
; NumVGPRsForWavesPerEU: 250
; Occupancy: 5
; WaveLimiterHint : 1
; COMPUTE_PGM_RSRC2:SCRATCH_EN: 1
; COMPUTE_PGM_RSRC2:USER_SGPR: 2
; COMPUTE_PGM_RSRC2:TRAP_HANDLER: 0
; COMPUTE_PGM_RSRC2:TGID_X_EN: 1
; COMPUTE_PGM_RSRC2:TGID_Y_EN: 0
; COMPUTE_PGM_RSRC2:TGID_Z_EN: 0
; COMPUTE_PGM_RSRC2:TIDIG_COMP_CNT: 0
	.section	.text._ZN9rocsolver6v33100L18getri_kernel_smallILi49E19rocblas_complex_numIfEPS3_EEvT1_iilPiilS6_bb,"axG",@progbits,_ZN9rocsolver6v33100L18getri_kernel_smallILi49E19rocblas_complex_numIfEPS3_EEvT1_iilPiilS6_bb,comdat
	.globl	_ZN9rocsolver6v33100L18getri_kernel_smallILi49E19rocblas_complex_numIfEPS3_EEvT1_iilPiilS6_bb ; -- Begin function _ZN9rocsolver6v33100L18getri_kernel_smallILi49E19rocblas_complex_numIfEPS3_EEvT1_iilPiilS6_bb
	.p2align	8
	.type	_ZN9rocsolver6v33100L18getri_kernel_smallILi49E19rocblas_complex_numIfEPS3_EEvT1_iilPiilS6_bb,@function
_ZN9rocsolver6v33100L18getri_kernel_smallILi49E19rocblas_complex_numIfEPS3_EEvT1_iilPiilS6_bb: ; @_ZN9rocsolver6v33100L18getri_kernel_smallILi49E19rocblas_complex_numIfEPS3_EEvT1_iilPiilS6_bb
; %bb.0:
	s_mov_b32 s2, exec_lo
	v_cmpx_gt_u32_e32 49, v0
	s_cbranch_execz .LBB48_210
; %bb.1:
	s_clause 0x2
	s_load_b32 s2, s[0:1], 0x38
	s_load_b128 s[12:15], s[0:1], 0x10
	s_load_b128 s[4:7], s[0:1], 0x28
	s_mov_b32 s16, ttmp9
	s_wait_kmcnt 0x0
	s_bitcmp1_b32 s2, 8
	s_cselect_b32 s18, -1, 0
	s_bfe_u32 s2, s2, 0x10008
	s_ashr_i32 s17, ttmp9, 31
	s_cmp_eq_u32 s2, 0
                                        ; implicit-def: $sgpr2_sgpr3
	s_cbranch_scc1 .LBB48_3
; %bb.2:
	s_load_b32 s2, s[0:1], 0x20
	s_mul_u64 s[4:5], s[4:5], s[16:17]
	s_delay_alu instid0(SALU_CYCLE_1) | instskip(NEXT) | instid1(SALU_CYCLE_1)
	s_lshl_b64 s[4:5], s[4:5], 2
	s_add_nc_u64 s[4:5], s[14:15], s[4:5]
	s_wait_kmcnt 0x0
	s_ashr_i32 s3, s2, 31
	s_delay_alu instid0(SALU_CYCLE_1) | instskip(NEXT) | instid1(SALU_CYCLE_1)
	s_lshl_b64 s[2:3], s[2:3], 2
	s_add_nc_u64 s[2:3], s[4:5], s[2:3]
.LBB48_3:
	s_clause 0x1
	s_load_b128 s[8:11], s[0:1], 0x0
	s_load_b32 s4, s[0:1], 0x38
	s_mul_u64 s[0:1], s[12:13], s[16:17]
	v_lshlrev_b32_e32 v13, 3, v0
	s_lshl_b64 s[0:1], s[0:1], 3
	s_wait_kmcnt 0x0
	v_add3_u32 v3, s11, s11, v0
	s_ashr_i32 s13, s10, 31
	s_mov_b32 s12, s10
	s_add_nc_u64 s[0:1], s[8:9], s[0:1]
	s_lshl_b64 s[12:13], s[12:13], 3
	v_add_nc_u32_e32 v5, s11, v3
	v_ashrrev_i32_e32 v4, 31, v3
	s_add_nc_u64 s[0:1], s[0:1], s[12:13]
	s_ashr_i32 s9, s11, 31
	v_add_co_u32 v24, s5, s0, v13
	v_add_nc_u32_e32 v7, s11, v5
	s_mov_b32 s8, s11
	v_lshlrev_b64_e32 v[3:4], 3, v[3:4]
	v_add_co_ci_u32_e64 v25, null, s1, 0, s5
	s_delay_alu instid0(VALU_DEP_3) | instskip(SKIP_3) | instid1(VALU_DEP_1)
	v_add_nc_u32_e32 v9, s11, v7
	s_lshl_b64 s[8:9], s[8:9], 3
	v_ashrrev_i32_e32 v6, 31, v5
	v_add_co_u32 v26, vcc_lo, v24, s8
	v_add_co_ci_u32_e64 v27, null, s9, v25, vcc_lo
	v_add_co_u32 v28, vcc_lo, s0, v3
	v_add_nc_u32_e32 v3, s11, v9
	v_lshlrev_b64_e32 v[5:6], 3, v[5:6]
	v_ashrrev_i32_e32 v8, 31, v7
	v_ashrrev_i32_e32 v10, 31, v9
	s_wait_alu 0xfffd
	v_add_co_ci_u32_e64 v29, null, s1, v4, vcc_lo
	v_add_nc_u32_e32 v11, s11, v3
	v_ashrrev_i32_e32 v4, 31, v3
	v_lshlrev_b64_e32 v[7:8], 3, v[7:8]
	v_add_co_u32 v30, vcc_lo, s0, v5
	s_wait_alu 0xfffd
	v_add_co_ci_u32_e64 v31, null, s1, v6, vcc_lo
	v_lshlrev_b64_e32 v[5:6], 3, v[9:10]
	v_add_nc_u32_e32 v16, s11, v11
	v_lshlrev_b64_e32 v[14:15], 3, v[3:4]
	v_ashrrev_i32_e32 v12, 31, v11
	v_add_co_u32 v32, vcc_lo, s0, v7
	s_delay_alu instid0(VALU_DEP_4)
	v_ashrrev_i32_e32 v17, 31, v16
	v_add_nc_u32_e32 v18, s11, v16
	s_wait_alu 0xfffd
	v_add_co_ci_u32_e64 v33, null, s1, v8, vcc_lo
	v_add_co_u32 v34, vcc_lo, s0, v5
	v_lshlrev_b64_e32 v[11:12], 3, v[11:12]
	s_wait_alu 0xfffd
	v_add_co_ci_u32_e64 v35, null, s1, v6, vcc_lo
	v_add_co_u32 v36, vcc_lo, s0, v14
	s_wait_alu 0xfffd
	v_add_co_ci_u32_e64 v37, null, s1, v15, vcc_lo
	v_lshlrev_b64_e32 v[14:15], 3, v[16:17]
	v_ashrrev_i32_e32 v19, 31, v18
	v_add_nc_u32_e32 v16, s11, v18
	v_add_co_u32 v38, vcc_lo, s0, v11
	s_wait_alu 0xfffd
	v_add_co_ci_u32_e64 v39, null, s1, v12, vcc_lo
	v_lshlrev_b64_e32 v[11:12], 3, v[18:19]
	v_ashrrev_i32_e32 v17, 31, v16
	v_add_nc_u32_e32 v18, s11, v16
	;; [unrolled: 6-line block ×24, first 2 shown]
	v_add_co_u32 v84, vcc_lo, s0, v14
	s_wait_alu 0xfffd
	v_add_co_ci_u32_e64 v85, null, s1, v15, vcc_lo
	v_lshlrev_b64_e32 v[14:15], 3, v[16:17]
	v_add_nc_u32_e32 v16, s11, v18
	v_ashrrev_i32_e32 v19, 31, v18
	v_add_co_u32 v86, vcc_lo, s0, v11
	s_wait_alu 0xfffd
	v_add_co_ci_u32_e64 v87, null, s1, v12, vcc_lo
	v_add_nc_u32_e32 v22, s11, v16
	v_lshlrev_b64_e32 v[11:12], 3, v[18:19]
	v_add_co_u32 v88, vcc_lo, s0, v14
	s_wait_alu 0xfffd
	v_add_co_ci_u32_e64 v89, null, s1, v15, vcc_lo
	v_ashrrev_i32_e32 v23, 31, v22
	s_delay_alu instid0(VALU_DEP_4) | instskip(SKIP_2) | instid1(VALU_DEP_3)
	v_add_co_u32 v90, vcc_lo, s0, v11
	s_wait_alu 0xfffd
	v_add_co_ci_u32_e64 v91, null, s1, v12, vcc_lo
	v_lshlrev_b64_e32 v[11:12], 3, v[22:23]
	v_add_nc_u32_e32 v22, s11, v22
	v_ashrrev_i32_e32 v17, 31, v16
	s_clause 0x4
	global_load_b64 v[1:2], v13, s[0:1]
	global_load_b64 v[3:4], v[26:27], off
	global_load_b64 v[5:6], v[28:29], off
	;; [unrolled: 1-line block ×4, first 2 shown]
	s_bitcmp0_b32 s4, 0
	v_add_nc_u32_e32 v98, s11, v22
	v_ashrrev_i32_e32 v23, 31, v22
	v_lshlrev_b64_e32 v[14:15], 3, v[16:17]
	s_delay_alu instid0(VALU_DEP_3) | instskip(NEXT) | instid1(VALU_DEP_3)
	v_add_nc_u32_e32 v100, s11, v98
	v_lshlrev_b64_e32 v[22:23], 3, v[22:23]
	v_ashrrev_i32_e32 v99, 31, v98
	s_delay_alu instid0(VALU_DEP_4)
	v_add_co_u32 v92, vcc_lo, s0, v14
	s_wait_alu 0xfffd
	v_add_co_ci_u32_e64 v93, null, s1, v15, vcc_lo
	v_add_co_u32 v94, vcc_lo, s0, v11
	v_add_nc_u32_e32 v102, s11, v100
	s_wait_alu 0xfffd
	v_add_co_ci_u32_e64 v95, null, s1, v12, vcc_lo
	v_add_co_u32 v96, vcc_lo, s0, v22
	s_wait_alu 0xfffd
	v_add_co_ci_u32_e64 v97, null, s1, v23, vcc_lo
	v_lshlrev_b64_e32 v[22:23], 3, v[98:99]
	v_ashrrev_i32_e32 v101, 31, v100
	v_add_nc_u32_e32 v104, s11, v102
	v_ashrrev_i32_e32 v103, 31, v102
	s_clause 0x13
	global_load_b64 v[11:12], v[34:35], off
	global_load_b64 v[14:15], v[36:37], off
	;; [unrolled: 1-line block ×20, first 2 shown]
	v_lshlrev_b64_e32 v[100:101], 3, v[100:101]
	v_add_co_u32 v98, vcc_lo, s0, v22
	v_ashrrev_i32_e32 v105, 31, v104
	s_wait_alu 0xfffd
	v_add_co_ci_u32_e64 v99, null, s1, v23, vcc_lo
	v_lshlrev_b64_e32 v[22:23], 3, v[102:103]
	v_add_nc_u32_e32 v107, s11, v104
	v_lshlrev_b64_e32 v[105:106], 3, v[104:105]
	v_add_co_u32 v100, vcc_lo, s0, v100
	s_wait_alu 0xfffd
	v_add_co_ci_u32_e64 v101, null, s1, v101, vcc_lo
	v_add_co_u32 v102, vcc_lo, s0, v22
	v_ashrrev_i32_e32 v108, 31, v107
	v_add_nc_u32_e32 v22, s11, v107
	s_wait_alu 0xfffd
	v_add_co_ci_u32_e64 v103, null, s1, v23, vcc_lo
	v_add_co_u32 v104, vcc_lo, s0, v105
	s_wait_alu 0xfffd
	v_add_co_ci_u32_e64 v105, null, s1, v106, vcc_lo
	v_lshlrev_b64_e32 v[106:107], 3, v[107:108]
	v_add_nc_u32_e32 v108, s11, v22
	v_ashrrev_i32_e32 v23, 31, v22
	s_clause 0xb
	global_load_b64 v[152:153], v[74:75], off
	global_load_b64 v[154:155], v[76:77], off
	;; [unrolled: 1-line block ×12, first 2 shown]
	v_add_nc_u32_e32 v110, s11, v108
	v_lshlrev_b64_e32 v[22:23], 3, v[22:23]
	v_ashrrev_i32_e32 v109, 31, v108
	v_add_co_u32 v106, vcc_lo, s0, v106
	s_delay_alu instid0(VALU_DEP_4)
	v_add_nc_u32_e32 v114, s11, v110
	v_ashrrev_i32_e32 v111, 31, v110
	s_wait_alu 0xfffd
	v_add_co_ci_u32_e64 v107, null, s1, v107, vcc_lo
	v_lshlrev_b64_e32 v[112:113], 3, v[108:109]
	v_add_co_u32 v108, vcc_lo, s0, v22
	v_add_nc_u32_e32 v116, s11, v114
	s_wait_alu 0xfffd
	v_add_co_ci_u32_e64 v109, null, s1, v23, vcc_lo
	v_lshlrev_b64_e32 v[22:23], 3, v[110:111]
	v_ashrrev_i32_e32 v115, 31, v114
	v_add_nc_u32_e32 v118, s11, v116
	v_add_co_u32 v110, vcc_lo, s0, v112
	s_wait_alu 0xfffd
	v_add_co_ci_u32_e64 v111, null, s1, v113, vcc_lo
	v_add_co_u32 v112, vcc_lo, s0, v22
	s_wait_alu 0xfffd
	v_add_co_ci_u32_e64 v113, null, s1, v23, vcc_lo
	v_lshlrev_b64_e32 v[22:23], 3, v[114:115]
	v_add_nc_u32_e32 v120, s11, v118
	v_ashrrev_i32_e32 v117, 31, v116
	v_ashrrev_i32_e32 v119, 31, v118
	s_clause 0x7
	global_load_b64 v[176:177], v[98:99], off
	global_load_b64 v[178:179], v[100:101], off
	;; [unrolled: 1-line block ×8, first 2 shown]
	v_ashrrev_i32_e32 v121, 31, v120
	v_lshlrev_b64_e32 v[116:117], 3, v[116:117]
	v_add_co_u32 v114, vcc_lo, s0, v22
	s_wait_alu 0xfffd
	v_add_co_ci_u32_e64 v115, null, s1, v23, vcc_lo
	v_lshlrev_b64_e32 v[22:23], 3, v[118:119]
	v_lshlrev_b64_e32 v[120:121], 3, v[120:121]
	v_add_co_u32 v116, vcc_lo, s0, v116
	s_wait_alu 0xfffd
	v_add_co_ci_u32_e64 v117, null, s1, v117, vcc_lo
	s_delay_alu instid0(VALU_DEP_4)
	v_add_co_u32 v118, vcc_lo, s0, v22
	s_wait_alu 0xfffd
	v_add_co_ci_u32_e64 v119, null, s1, v23, vcc_lo
	v_add_co_u32 v120, vcc_lo, s0, v120
	s_wait_alu 0xfffd
	v_add_co_ci_u32_e64 v121, null, s1, v121, vcc_lo
	s_clause 0x3
	global_load_b64 v[192:193], v[114:115], off
	global_load_b64 v[194:195], v[116:117], off
	;; [unrolled: 1-line block ×4, first 2 shown]
	s_mov_b32 s1, -1
	s_wait_loadcnt 0x2f
	scratch_store_b128 off, v[1:4], off
	s_wait_loadcnt 0x2d
	scratch_store_b128 off, v[5:8], off offset:16
	s_wait_loadcnt 0x2b
	scratch_store_b128 off, v[9:12], off offset:32
	;; [unrolled: 2-line block ×23, first 2 shown]
	s_wait_loadcnt 0x0
	scratch_store_b64 off, v[22:23], off offset:384
	s_cbranch_scc1 .LBB48_208
; %bb.4:
	v_cmp_eq_u32_e64 s0, 0, v0
	s_and_saveexec_b32 s1, s0
; %bb.5:
	v_mov_b32_e32 v1, 0
	ds_store_b32 v1, v1 offset:392
; %bb.6:
	s_wait_alu 0xfffe
	s_or_b32 exec_lo, exec_lo, s1
	s_wait_storecnt_dscnt 0x0
	s_barrier_signal -1
	s_barrier_wait -1
	global_inv scope:SCOPE_SE
	scratch_load_b64 v[1:2], v13, off
	s_wait_loadcnt 0x0
	v_cmp_eq_f32_e32 vcc_lo, 0, v1
	v_cmp_eq_f32_e64 s1, 0, v2
	s_and_b32 s1, vcc_lo, s1
	s_wait_alu 0xfffe
	s_and_saveexec_b32 s4, s1
	s_cbranch_execz .LBB48_10
; %bb.7:
	v_mov_b32_e32 v1, 0
	s_mov_b32 s5, 0
	ds_load_b32 v2, v1 offset:392
	s_wait_dscnt 0x0
	v_readfirstlane_b32 s1, v2
	v_add_nc_u32_e32 v2, 1, v0
	s_cmp_eq_u32 s1, 0
	s_delay_alu instid0(VALU_DEP_1)
	v_cmp_gt_i32_e32 vcc_lo, s1, v2
	s_cselect_b32 s8, -1, 0
	s_wait_alu 0xfffe
	s_or_b32 s8, s8, vcc_lo
	s_wait_alu 0xfffe
	s_and_b32 exec_lo, exec_lo, s8
	s_cbranch_execz .LBB48_10
; %bb.8:
	v_mov_b32_e32 v3, s1
.LBB48_9:                               ; =>This Inner Loop Header: Depth=1
	ds_cmpstore_rtn_b32 v3, v1, v2, v3 offset:392
	s_wait_dscnt 0x0
	v_cmp_ne_u32_e32 vcc_lo, 0, v3
	v_cmp_le_i32_e64 s1, v3, v2
	s_and_b32 s1, vcc_lo, s1
	s_wait_alu 0xfffe
	s_and_b32 s1, exec_lo, s1
	s_wait_alu 0xfffe
	s_or_b32 s5, s1, s5
	s_wait_alu 0xfffe
	s_and_not1_b32 exec_lo, exec_lo, s5
	s_cbranch_execnz .LBB48_9
.LBB48_10:
	s_wait_alu 0xfffe
	s_or_b32 exec_lo, exec_lo, s4
	v_mov_b32_e32 v1, 0
	s_barrier_signal -1
	s_barrier_wait -1
	global_inv scope:SCOPE_SE
	ds_load_b32 v2, v1 offset:392
	s_and_saveexec_b32 s1, s0
	s_cbranch_execz .LBB48_12
; %bb.11:
	s_lshl_b64 s[4:5], s[16:17], 2
	s_wait_alu 0xfffe
	s_add_nc_u64 s[4:5], s[6:7], s[4:5]
	s_wait_dscnt 0x0
	global_store_b32 v1, v2, s[4:5]
.LBB48_12:
	s_wait_alu 0xfffe
	s_or_b32 exec_lo, exec_lo, s1
	s_wait_dscnt 0x0
	v_cmp_ne_u32_e32 vcc_lo, 0, v2
	s_mov_b32 s1, 0
	s_cbranch_vccnz .LBB48_208
; %bb.13:
	v_mov_b32_e32 v7, v13
                                        ; implicit-def: $vgpr3
                                        ; implicit-def: $vgpr5
	scratch_load_b64 v[1:2], v7, off
	s_wait_loadcnt 0x0
	v_cmp_ngt_f32_e64 s1, |v1|, |v2|
	s_wait_alu 0xfffe
	s_and_saveexec_b32 s4, s1
	s_wait_alu 0xfffe
	s_xor_b32 s1, exec_lo, s4
	s_cbranch_execz .LBB48_15
; %bb.14:
	v_div_scale_f32 v3, null, v2, v2, v1
	v_div_scale_f32 v6, vcc_lo, v1, v2, v1
	s_delay_alu instid0(VALU_DEP_2) | instskip(NEXT) | instid1(TRANS32_DEP_1)
	v_rcp_f32_e32 v4, v3
	v_fma_f32 v5, -v3, v4, 1.0
	s_delay_alu instid0(VALU_DEP_1) | instskip(NEXT) | instid1(VALU_DEP_1)
	v_fmac_f32_e32 v4, v5, v4
	v_mul_f32_e32 v5, v6, v4
	s_delay_alu instid0(VALU_DEP_1) | instskip(NEXT) | instid1(VALU_DEP_1)
	v_fma_f32 v8, -v3, v5, v6
	v_fmac_f32_e32 v5, v8, v4
	s_delay_alu instid0(VALU_DEP_1) | instskip(SKIP_1) | instid1(VALU_DEP_1)
	v_fma_f32 v3, -v3, v5, v6
	s_wait_alu 0xfffd
	v_div_fmas_f32 v3, v3, v4, v5
	s_delay_alu instid0(VALU_DEP_1) | instskip(NEXT) | instid1(VALU_DEP_1)
	v_div_fixup_f32 v3, v3, v2, v1
	v_fmac_f32_e32 v2, v1, v3
	s_delay_alu instid0(VALU_DEP_1) | instskip(NEXT) | instid1(VALU_DEP_1)
	v_div_scale_f32 v1, null, v2, v2, 1.0
	v_rcp_f32_e32 v4, v1
	s_delay_alu instid0(TRANS32_DEP_1) | instskip(NEXT) | instid1(VALU_DEP_1)
	v_fma_f32 v5, -v1, v4, 1.0
	v_fmac_f32_e32 v4, v5, v4
	v_div_scale_f32 v5, vcc_lo, 1.0, v2, 1.0
	s_delay_alu instid0(VALU_DEP_1) | instskip(NEXT) | instid1(VALU_DEP_1)
	v_mul_f32_e32 v6, v5, v4
	v_fma_f32 v8, -v1, v6, v5
	s_delay_alu instid0(VALU_DEP_1) | instskip(NEXT) | instid1(VALU_DEP_1)
	v_fmac_f32_e32 v6, v8, v4
	v_fma_f32 v1, -v1, v6, v5
	s_wait_alu 0xfffd
	s_delay_alu instid0(VALU_DEP_1) | instskip(NEXT) | instid1(VALU_DEP_1)
	v_div_fmas_f32 v1, v1, v4, v6
	v_div_fixup_f32 v1, v1, v2, 1.0
	s_delay_alu instid0(VALU_DEP_1) | instskip(SKIP_1) | instid1(VALU_DEP_2)
	v_mul_f32_e32 v3, v3, v1
	v_xor_b32_e32 v4, 0x80000000, v1
                                        ; implicit-def: $vgpr1_vgpr2
	v_xor_b32_e32 v5, 0x80000000, v3
.LBB48_15:
	s_wait_alu 0xfffe
	s_and_not1_saveexec_b32 s1, s1
	s_cbranch_execz .LBB48_17
; %bb.16:
	v_div_scale_f32 v3, null, v1, v1, v2
	v_div_scale_f32 v6, vcc_lo, v2, v1, v2
	s_delay_alu instid0(VALU_DEP_2) | instskip(NEXT) | instid1(TRANS32_DEP_1)
	v_rcp_f32_e32 v4, v3
	v_fma_f32 v5, -v3, v4, 1.0
	s_delay_alu instid0(VALU_DEP_1) | instskip(NEXT) | instid1(VALU_DEP_1)
	v_fmac_f32_e32 v4, v5, v4
	v_mul_f32_e32 v5, v6, v4
	s_delay_alu instid0(VALU_DEP_1) | instskip(NEXT) | instid1(VALU_DEP_1)
	v_fma_f32 v8, -v3, v5, v6
	v_fmac_f32_e32 v5, v8, v4
	s_delay_alu instid0(VALU_DEP_1) | instskip(SKIP_1) | instid1(VALU_DEP_1)
	v_fma_f32 v3, -v3, v5, v6
	s_wait_alu 0xfffd
	v_div_fmas_f32 v3, v3, v4, v5
	s_delay_alu instid0(VALU_DEP_1) | instskip(NEXT) | instid1(VALU_DEP_1)
	v_div_fixup_f32 v4, v3, v1, v2
	v_fmac_f32_e32 v1, v2, v4
	s_delay_alu instid0(VALU_DEP_1) | instskip(SKIP_1) | instid1(VALU_DEP_2)
	v_div_scale_f32 v2, null, v1, v1, 1.0
	v_div_scale_f32 v6, vcc_lo, 1.0, v1, 1.0
	v_rcp_f32_e32 v3, v2
	s_delay_alu instid0(TRANS32_DEP_1) | instskip(NEXT) | instid1(VALU_DEP_1)
	v_fma_f32 v5, -v2, v3, 1.0
	v_fmac_f32_e32 v3, v5, v3
	s_delay_alu instid0(VALU_DEP_1) | instskip(NEXT) | instid1(VALU_DEP_1)
	v_mul_f32_e32 v5, v6, v3
	v_fma_f32 v8, -v2, v5, v6
	s_delay_alu instid0(VALU_DEP_1) | instskip(NEXT) | instid1(VALU_DEP_1)
	v_fmac_f32_e32 v5, v8, v3
	v_fma_f32 v2, -v2, v5, v6
	s_wait_alu 0xfffd
	s_delay_alu instid0(VALU_DEP_1) | instskip(NEXT) | instid1(VALU_DEP_1)
	v_div_fmas_f32 v2, v2, v3, v5
	v_div_fixup_f32 v3, v2, v1, 1.0
	s_delay_alu instid0(VALU_DEP_1)
	v_xor_b32_e32 v5, 0x80000000, v3
	v_mul_f32_e64 v4, v4, -v3
.LBB48_17:
	s_wait_alu 0xfffe
	s_or_b32 exec_lo, exec_lo, s1
	scratch_store_b64 v7, v[3:4], off
	scratch_load_b64 v[2:3], off, off offset:8
	v_xor_b32_e32 v6, 0x80000000, v4
	v_add_nc_u32_e32 v1, 0x190, v13
	s_wait_loadcnt 0x0
	ds_store_2addr_b64 v13, v[5:6], v[2:3] offset1:50
	s_wait_storecnt_dscnt 0x0
	s_barrier_signal -1
	s_barrier_wait -1
	global_inv scope:SCOPE_SE
	s_and_saveexec_b32 s1, s0
	s_cbranch_execz .LBB48_19
; %bb.18:
	scratch_load_b64 v[2:3], v7, off
	ds_load_b64 v[4:5], v1
	v_mov_b32_e32 v6, 0
	ds_load_b64 v[8:9], v6 offset:8
	s_wait_loadcnt_dscnt 0x1
	v_mul_f32_e32 v6, v4, v3
	v_mul_f32_e32 v3, v5, v3
	s_delay_alu instid0(VALU_DEP_2) | instskip(NEXT) | instid1(VALU_DEP_2)
	v_fmac_f32_e32 v6, v5, v2
	v_fma_f32 v2, v4, v2, -v3
	s_delay_alu instid0(VALU_DEP_2) | instskip(SKIP_1) | instid1(VALU_DEP_1)
	v_add_f32_e32 v4, 0, v6
	s_wait_dscnt 0x0
	v_dual_add_f32 v2, 0, v2 :: v_dual_mul_f32 v5, v4, v9
	s_delay_alu instid0(VALU_DEP_1) | instskip(NEXT) | instid1(VALU_DEP_1)
	v_mul_f32_e32 v3, v2, v9
	v_fmac_f32_e32 v3, v4, v8
	s_delay_alu instid0(VALU_DEP_3)
	v_fma_f32 v2, v2, v8, -v5
	scratch_store_b64 off, v[2:3], off offset:8
.LBB48_19:
	s_wait_alu 0xfffe
	s_or_b32 exec_lo, exec_lo, s1
	s_wait_loadcnt 0x0
	s_wait_storecnt 0x0
	s_barrier_signal -1
	s_barrier_wait -1
	global_inv scope:SCOPE_SE
	scratch_load_b64 v[2:3], off, off offset:16
	s_mov_b32 s1, exec_lo
	s_wait_loadcnt 0x0
	ds_store_b64 v1, v[2:3]
	s_wait_dscnt 0x0
	s_barrier_signal -1
	s_barrier_wait -1
	global_inv scope:SCOPE_SE
	v_cmpx_gt_u32_e32 2, v0
	s_cbranch_execz .LBB48_23
; %bb.20:
	scratch_load_b64 v[2:3], v7, off
	ds_load_b64 v[4:5], v1
	s_wait_loadcnt_dscnt 0x0
	v_mul_f32_e32 v6, v5, v3
	v_mul_f32_e32 v8, v4, v3
	s_delay_alu instid0(VALU_DEP_2) | instskip(NEXT) | instid1(VALU_DEP_1)
	v_fma_f32 v3, v4, v2, -v6
	v_dual_fmac_f32 v8, v5, v2 :: v_dual_add_f32 v3, 0, v3
	s_delay_alu instid0(VALU_DEP_1)
	v_add_f32_e32 v2, 0, v8
	s_and_saveexec_b32 s4, s0
	s_cbranch_execz .LBB48_22
; %bb.21:
	scratch_load_b64 v[4:5], off, off offset:8
	v_mov_b32_e32 v6, 0
	ds_load_b64 v[8:9], v6 offset:408
	s_wait_loadcnt_dscnt 0x0
	v_mul_f32_e32 v6, v8, v5
	v_mul_f32_e32 v5, v9, v5
	s_delay_alu instid0(VALU_DEP_2) | instskip(NEXT) | instid1(VALU_DEP_2)
	v_fmac_f32_e32 v6, v9, v4
	v_fma_f32 v4, v8, v4, -v5
	s_delay_alu instid0(VALU_DEP_1)
	v_dual_add_f32 v2, v2, v6 :: v_dual_add_f32 v3, v3, v4
.LBB48_22:
	s_wait_alu 0xfffe
	s_or_b32 exec_lo, exec_lo, s4
	v_mov_b32_e32 v4, 0
	ds_load_b64 v[4:5], v4 offset:16
	s_wait_dscnt 0x0
	v_mul_f32_e32 v8, v2, v5
	v_mul_f32_e32 v6, v3, v5
	s_delay_alu instid0(VALU_DEP_2) | instskip(NEXT) | instid1(VALU_DEP_2)
	v_fma_f32 v5, v3, v4, -v8
	v_fmac_f32_e32 v6, v2, v4
	scratch_store_b64 off, v[5:6], off offset:16
.LBB48_23:
	s_wait_alu 0xfffe
	s_or_b32 exec_lo, exec_lo, s1
	s_wait_loadcnt 0x0
	s_wait_storecnt 0x0
	s_barrier_signal -1
	s_barrier_wait -1
	global_inv scope:SCOPE_SE
	scratch_load_b64 v[3:4], off, off offset:24
	v_add_nc_u32_e32 v2, -1, v0
	s_mov_b32 s0, exec_lo
	s_wait_loadcnt 0x0
	ds_store_b64 v1, v[3:4]
	s_wait_dscnt 0x0
	s_barrier_signal -1
	s_barrier_wait -1
	global_inv scope:SCOPE_SE
	v_cmpx_gt_u32_e32 3, v0
	s_cbranch_execz .LBB48_27
; %bb.24:
	v_dual_mov_b32 v3, 0 :: v_dual_add_nc_u32 v4, -1, v0
	v_dual_mov_b32 v6, v13 :: v_dual_add_nc_u32 v5, 0x190, v13
	v_mov_b32_e32 v8, 0
	s_mov_b32 s1, 0
.LBB48_25:                              ; =>This Inner Loop Header: Depth=1
	scratch_load_b64 v[9:10], v6, off
	ds_load_b64 v[11:12], v5
	v_add_nc_u32_e32 v6, 8, v6
	s_wait_loadcnt_dscnt 0x0
	v_dual_mul_f32 v14, v12, v10 :: v_dual_add_nc_u32 v5, 8, v5
	v_mul_f32_e32 v10, v11, v10
	s_delay_alu instid0(VALU_DEP_2) | instskip(NEXT) | instid1(VALU_DEP_2)
	v_fma_f32 v11, v11, v9, -v14
	v_fmac_f32_e32 v10, v12, v9
	v_add_nc_u32_e32 v4, 1, v4
	s_delay_alu instid0(VALU_DEP_2) | instskip(NEXT) | instid1(VALU_DEP_2)
	v_dual_add_f32 v8, v8, v11 :: v_dual_add_f32 v3, v3, v10
	v_cmp_lt_u32_e32 vcc_lo, 1, v4
	s_wait_alu 0xfffe
	s_or_b32 s1, vcc_lo, s1
	s_wait_alu 0xfffe
	s_and_not1_b32 exec_lo, exec_lo, s1
	s_cbranch_execnz .LBB48_25
; %bb.26:
	s_or_b32 exec_lo, exec_lo, s1
	v_mov_b32_e32 v4, 0
	ds_load_b64 v[4:5], v4 offset:24
	s_wait_dscnt 0x0
	v_mul_f32_e32 v9, v3, v5
	v_mul_f32_e32 v6, v8, v5
	s_delay_alu instid0(VALU_DEP_2) | instskip(NEXT) | instid1(VALU_DEP_2)
	v_fma_f32 v5, v8, v4, -v9
	v_fmac_f32_e32 v6, v3, v4
	scratch_store_b64 off, v[5:6], off offset:24
.LBB48_27:
	s_wait_alu 0xfffe
	s_or_b32 exec_lo, exec_lo, s0
	s_wait_loadcnt 0x0
	s_wait_storecnt 0x0
	s_barrier_signal -1
	s_barrier_wait -1
	global_inv scope:SCOPE_SE
	scratch_load_b64 v[3:4], off, off offset:32
	s_mov_b32 s0, exec_lo
	s_wait_loadcnt 0x0
	ds_store_b64 v1, v[3:4]
	s_wait_dscnt 0x0
	s_barrier_signal -1
	s_barrier_wait -1
	global_inv scope:SCOPE_SE
	v_cmpx_gt_u32_e32 4, v0
	s_cbranch_execz .LBB48_31
; %bb.28:
	v_dual_mov_b32 v3, 0 :: v_dual_add_nc_u32 v4, -1, v0
	v_dual_mov_b32 v6, v13 :: v_dual_add_nc_u32 v5, 0x190, v13
	v_mov_b32_e32 v8, 0
	s_mov_b32 s1, 0
.LBB48_29:                              ; =>This Inner Loop Header: Depth=1
	scratch_load_b64 v[9:10], v6, off
	ds_load_b64 v[11:12], v5
	v_add_nc_u32_e32 v6, 8, v6
	s_wait_loadcnt_dscnt 0x0
	v_dual_mul_f32 v14, v12, v10 :: v_dual_add_nc_u32 v5, 8, v5
	v_mul_f32_e32 v10, v11, v10
	s_delay_alu instid0(VALU_DEP_2) | instskip(NEXT) | instid1(VALU_DEP_2)
	v_fma_f32 v11, v11, v9, -v14
	v_fmac_f32_e32 v10, v12, v9
	v_add_nc_u32_e32 v4, 1, v4
	s_delay_alu instid0(VALU_DEP_2) | instskip(NEXT) | instid1(VALU_DEP_2)
	v_dual_add_f32 v8, v8, v11 :: v_dual_add_f32 v3, v3, v10
	v_cmp_lt_u32_e32 vcc_lo, 2, v4
	s_wait_alu 0xfffe
	s_or_b32 s1, vcc_lo, s1
	s_wait_alu 0xfffe
	s_and_not1_b32 exec_lo, exec_lo, s1
	s_cbranch_execnz .LBB48_29
; %bb.30:
	s_or_b32 exec_lo, exec_lo, s1
	v_mov_b32_e32 v4, 0
	ds_load_b64 v[4:5], v4 offset:32
	s_wait_dscnt 0x0
	v_mul_f32_e32 v9, v3, v5
	v_mul_f32_e32 v6, v8, v5
	s_delay_alu instid0(VALU_DEP_2) | instskip(NEXT) | instid1(VALU_DEP_2)
	v_fma_f32 v5, v8, v4, -v9
	v_fmac_f32_e32 v6, v3, v4
	scratch_store_b64 off, v[5:6], off offset:32
.LBB48_31:
	s_wait_alu 0xfffe
	s_or_b32 exec_lo, exec_lo, s0
	s_wait_loadcnt 0x0
	s_wait_storecnt 0x0
	s_barrier_signal -1
	s_barrier_wait -1
	global_inv scope:SCOPE_SE
	scratch_load_b64 v[3:4], off, off offset:40
	;; [unrolled: 53-line block ×19, first 2 shown]
	s_mov_b32 s0, exec_lo
	s_wait_loadcnt 0x0
	ds_store_b64 v1, v[3:4]
	s_wait_dscnt 0x0
	s_barrier_signal -1
	s_barrier_wait -1
	global_inv scope:SCOPE_SE
	v_cmpx_gt_u32_e32 22, v0
	s_cbranch_execz .LBB48_103
; %bb.100:
	v_dual_mov_b32 v3, 0 :: v_dual_add_nc_u32 v4, -1, v0
	v_dual_mov_b32 v6, v13 :: v_dual_add_nc_u32 v5, 0x190, v13
	v_mov_b32_e32 v8, 0
	s_mov_b32 s1, 0
.LBB48_101:                             ; =>This Inner Loop Header: Depth=1
	scratch_load_b64 v[9:10], v6, off
	ds_load_b64 v[11:12], v5
	v_add_nc_u32_e32 v6, 8, v6
	s_wait_loadcnt_dscnt 0x0
	v_dual_mul_f32 v14, v12, v10 :: v_dual_add_nc_u32 v5, 8, v5
	v_mul_f32_e32 v10, v11, v10
	s_delay_alu instid0(VALU_DEP_2) | instskip(NEXT) | instid1(VALU_DEP_2)
	v_fma_f32 v11, v11, v9, -v14
	v_fmac_f32_e32 v10, v12, v9
	v_add_nc_u32_e32 v4, 1, v4
	s_delay_alu instid0(VALU_DEP_2) | instskip(NEXT) | instid1(VALU_DEP_2)
	v_dual_add_f32 v8, v8, v11 :: v_dual_add_f32 v3, v3, v10
	v_cmp_lt_u32_e32 vcc_lo, 20, v4
	s_wait_alu 0xfffe
	s_or_b32 s1, vcc_lo, s1
	s_wait_alu 0xfffe
	s_and_not1_b32 exec_lo, exec_lo, s1
	s_cbranch_execnz .LBB48_101
; %bb.102:
	s_or_b32 exec_lo, exec_lo, s1
	v_mov_b32_e32 v4, 0
	ds_load_b64 v[4:5], v4 offset:176
	s_wait_dscnt 0x0
	v_mul_f32_e32 v9, v3, v5
	v_mul_f32_e32 v6, v8, v5
	s_delay_alu instid0(VALU_DEP_2) | instskip(NEXT) | instid1(VALU_DEP_2)
	v_fma_f32 v5, v8, v4, -v9
	v_fmac_f32_e32 v6, v3, v4
	scratch_store_b64 off, v[5:6], off offset:176
.LBB48_103:
	s_wait_alu 0xfffe
	s_or_b32 exec_lo, exec_lo, s0
	s_wait_loadcnt 0x0
	s_wait_storecnt 0x0
	s_barrier_signal -1
	s_barrier_wait -1
	global_inv scope:SCOPE_SE
	scratch_load_b64 v[3:4], off, off offset:184
	s_mov_b32 s0, exec_lo
	s_wait_loadcnt 0x0
	ds_store_b64 v1, v[3:4]
	s_wait_dscnt 0x0
	s_barrier_signal -1
	s_barrier_wait -1
	global_inv scope:SCOPE_SE
	v_cmpx_gt_u32_e32 23, v0
	s_cbranch_execz .LBB48_107
; %bb.104:
	v_dual_mov_b32 v3, 0 :: v_dual_add_nc_u32 v4, -1, v0
	v_dual_mov_b32 v6, v13 :: v_dual_add_nc_u32 v5, 0x190, v13
	v_mov_b32_e32 v8, 0
	s_mov_b32 s1, 0
.LBB48_105:                             ; =>This Inner Loop Header: Depth=1
	scratch_load_b64 v[9:10], v6, off
	ds_load_b64 v[11:12], v5
	v_add_nc_u32_e32 v6, 8, v6
	s_wait_loadcnt_dscnt 0x0
	v_dual_mul_f32 v14, v12, v10 :: v_dual_add_nc_u32 v5, 8, v5
	v_mul_f32_e32 v10, v11, v10
	s_delay_alu instid0(VALU_DEP_2) | instskip(NEXT) | instid1(VALU_DEP_2)
	v_fma_f32 v11, v11, v9, -v14
	v_fmac_f32_e32 v10, v12, v9
	v_add_nc_u32_e32 v4, 1, v4
	s_delay_alu instid0(VALU_DEP_2) | instskip(NEXT) | instid1(VALU_DEP_2)
	v_dual_add_f32 v8, v8, v11 :: v_dual_add_f32 v3, v3, v10
	v_cmp_lt_u32_e32 vcc_lo, 21, v4
	s_wait_alu 0xfffe
	s_or_b32 s1, vcc_lo, s1
	s_wait_alu 0xfffe
	s_and_not1_b32 exec_lo, exec_lo, s1
	s_cbranch_execnz .LBB48_105
; %bb.106:
	s_or_b32 exec_lo, exec_lo, s1
	v_mov_b32_e32 v4, 0
	ds_load_b64 v[4:5], v4 offset:184
	s_wait_dscnt 0x0
	v_mul_f32_e32 v9, v3, v5
	v_mul_f32_e32 v6, v8, v5
	s_delay_alu instid0(VALU_DEP_2) | instskip(NEXT) | instid1(VALU_DEP_2)
	v_fma_f32 v5, v8, v4, -v9
	v_fmac_f32_e32 v6, v3, v4
	scratch_store_b64 off, v[5:6], off offset:184
.LBB48_107:
	s_wait_alu 0xfffe
	s_or_b32 exec_lo, exec_lo, s0
	s_wait_loadcnt 0x0
	s_wait_storecnt 0x0
	s_barrier_signal -1
	s_barrier_wait -1
	global_inv scope:SCOPE_SE
	scratch_load_b64 v[3:4], off, off offset:192
	;; [unrolled: 53-line block ×25, first 2 shown]
	s_mov_b32 s0, exec_lo
	s_wait_loadcnt 0x0
	ds_store_b64 v1, v[3:4]
	s_wait_dscnt 0x0
	s_barrier_signal -1
	s_barrier_wait -1
	global_inv scope:SCOPE_SE
	v_cmpx_gt_u32_e32 47, v0
	s_cbranch_execz .LBB48_203
; %bb.200:
	v_dual_mov_b32 v3, 0 :: v_dual_add_nc_u32 v4, -1, v0
	v_dual_mov_b32 v6, v13 :: v_dual_add_nc_u32 v5, 0x190, v13
	v_mov_b32_e32 v8, 0
	s_mov_b32 s1, 0
.LBB48_201:                             ; =>This Inner Loop Header: Depth=1
	scratch_load_b64 v[9:10], v6, off
	ds_load_b64 v[11:12], v5
	v_add_nc_u32_e32 v6, 8, v6
	v_add_nc_u32_e32 v4, 1, v4
	v_add_nc_u32_e32 v5, 8, v5
	s_delay_alu instid0(VALU_DEP_2)
	v_cmp_lt_u32_e32 vcc_lo, 45, v4
	s_wait_alu 0xfffe
	s_or_b32 s1, vcc_lo, s1
	s_wait_loadcnt_dscnt 0x0
	v_mul_f32_e32 v13, v12, v10
	v_mul_f32_e32 v10, v11, v10
	s_delay_alu instid0(VALU_DEP_2) | instskip(NEXT) | instid1(VALU_DEP_2)
	v_fma_f32 v11, v11, v9, -v13
	v_fmac_f32_e32 v10, v12, v9
	s_delay_alu instid0(VALU_DEP_1)
	v_dual_add_f32 v8, v8, v11 :: v_dual_add_f32 v3, v3, v10
	s_wait_alu 0xfffe
	s_and_not1_b32 exec_lo, exec_lo, s1
	s_cbranch_execnz .LBB48_201
; %bb.202:
	s_or_b32 exec_lo, exec_lo, s1
	v_mov_b32_e32 v4, 0
	ds_load_b64 v[4:5], v4 offset:376
	s_wait_dscnt 0x0
	v_mul_f32_e32 v9, v3, v5
	v_mul_f32_e32 v6, v8, v5
	s_delay_alu instid0(VALU_DEP_2) | instskip(NEXT) | instid1(VALU_DEP_2)
	v_fma_f32 v5, v8, v4, -v9
	v_fmac_f32_e32 v6, v3, v4
	scratch_store_b64 off, v[5:6], off offset:376
.LBB48_203:
	s_wait_alu 0xfffe
	s_or_b32 exec_lo, exec_lo, s0
	s_wait_loadcnt 0x0
	s_wait_storecnt 0x0
	s_barrier_signal -1
	s_barrier_wait -1
	global_inv scope:SCOPE_SE
	scratch_load_b64 v[3:4], off, off offset:384
	s_mov_b32 s0, exec_lo
	s_wait_loadcnt 0x0
	ds_store_b64 v1, v[3:4]
	s_wait_dscnt 0x0
	s_barrier_signal -1
	s_barrier_wait -1
	global_inv scope:SCOPE_SE
	v_cmpx_ne_u32_e32 48, v0
	s_cbranch_execz .LBB48_207
; %bb.204:
	v_dual_mov_b32 v3, 0 :: v_dual_mov_b32 v4, 0
	s_mov_b32 s1, 0
.LBB48_205:                             ; =>This Inner Loop Header: Depth=1
	scratch_load_b64 v[5:6], v7, off
	ds_load_b64 v[8:9], v1
	v_add_nc_u32_e32 v2, 1, v2
	v_add_nc_u32_e32 v1, 8, v1
	;; [unrolled: 1-line block ×3, first 2 shown]
	s_delay_alu instid0(VALU_DEP_3)
	v_cmp_lt_u32_e32 vcc_lo, 46, v2
	s_wait_alu 0xfffe
	s_or_b32 s1, vcc_lo, s1
	s_wait_loadcnt_dscnt 0x0
	v_mul_f32_e32 v10, v9, v6
	v_mul_f32_e32 v6, v8, v6
	s_delay_alu instid0(VALU_DEP_2) | instskip(NEXT) | instid1(VALU_DEP_2)
	v_fma_f32 v8, v8, v5, -v10
	v_fmac_f32_e32 v6, v9, v5
	s_delay_alu instid0(VALU_DEP_1)
	v_dual_add_f32 v4, v4, v8 :: v_dual_add_f32 v3, v3, v6
	s_wait_alu 0xfffe
	s_and_not1_b32 exec_lo, exec_lo, s1
	s_cbranch_execnz .LBB48_205
; %bb.206:
	s_or_b32 exec_lo, exec_lo, s1
	v_mov_b32_e32 v1, 0
	ds_load_b64 v[1:2], v1 offset:384
	s_wait_dscnt 0x0
	v_mul_f32_e32 v6, v3, v2
	v_mul_f32_e32 v5, v4, v2
	s_delay_alu instid0(VALU_DEP_2) | instskip(NEXT) | instid1(VALU_DEP_2)
	v_fma_f32 v4, v4, v1, -v6
	v_fmac_f32_e32 v5, v3, v1
	scratch_store_b64 off, v[4:5], off offset:384
.LBB48_207:
	s_wait_alu 0xfffe
	s_or_b32 exec_lo, exec_lo, s0
	s_mov_b32 s1, -1
	s_wait_loadcnt 0x0
	s_wait_storecnt 0x0
	s_barrier_signal -1
	s_barrier_wait -1
	global_inv scope:SCOPE_SE
.LBB48_208:
	s_wait_alu 0xfffe
	s_and_b32 vcc_lo, exec_lo, s1
	s_wait_alu 0xfffe
	s_cbranch_vccz .LBB48_210
; %bb.209:
	v_mov_b32_e32 v1, 0
	s_lshl_b64 s[0:1], s[16:17], 2
	s_wait_alu 0xfffe
	s_add_nc_u64 s[0:1], s[6:7], s[0:1]
	global_load_b32 v1, v1, s[0:1]
	s_wait_loadcnt 0x0
	v_cmp_ne_u32_e32 vcc_lo, 0, v1
	s_cbranch_vccz .LBB48_211
.LBB48_210:
	s_nop 0
	s_sendmsg sendmsg(MSG_DEALLOC_VGPRS)
	s_endpgm
.LBB48_211:
	v_lshl_add_u32 v23, v0, 3, 0x190
	s_mov_b32 s0, exec_lo
	v_cmpx_eq_u32_e32 48, v0
	s_cbranch_execz .LBB48_213
; %bb.212:
	scratch_load_b64 v[1:2], off, off offset:376
	v_mov_b32_e32 v3, 0
	s_delay_alu instid0(VALU_DEP_1)
	v_mov_b32_e32 v4, v3
	scratch_store_b64 off, v[3:4], off offset:376
	s_wait_loadcnt 0x0
	ds_store_b64 v23, v[1:2]
.LBB48_213:
	s_wait_alu 0xfffe
	s_or_b32 exec_lo, exec_lo, s0
	s_wait_storecnt_dscnt 0x0
	s_barrier_signal -1
	s_barrier_wait -1
	global_inv scope:SCOPE_SE
	s_clause 0x1
	scratch_load_b64 v[2:3], off, off offset:384
	scratch_load_b64 v[4:5], off, off offset:376
	v_mov_b32_e32 v1, 0
	s_mov_b32 s0, exec_lo
	ds_load_b64 v[6:7], v1 offset:784
	s_wait_loadcnt_dscnt 0x100
	v_mul_f32_e32 v8, v7, v3
	v_mul_f32_e32 v3, v6, v3
	s_delay_alu instid0(VALU_DEP_2) | instskip(NEXT) | instid1(VALU_DEP_2)
	v_fma_f32 v6, v6, v2, -v8
	v_fmac_f32_e32 v3, v7, v2
	s_delay_alu instid0(VALU_DEP_1) | instskip(SKIP_1) | instid1(VALU_DEP_1)
	v_dual_add_f32 v2, 0, v6 :: v_dual_add_f32 v3, 0, v3
	s_wait_loadcnt 0x0
	v_dual_sub_f32 v2, v4, v2 :: v_dual_sub_f32 v3, v5, v3
	scratch_store_b64 off, v[2:3], off offset:376
	v_cmpx_lt_u32_e32 46, v0
	s_cbranch_execz .LBB48_215
; %bb.214:
	scratch_load_b64 v[3:4], off, off offset:368
	v_mov_b32_e32 v2, v1
	scratch_store_b64 off, v[1:2], off offset:368
	s_wait_loadcnt 0x0
	ds_store_b64 v23, v[3:4]
.LBB48_215:
	s_wait_alu 0xfffe
	s_or_b32 exec_lo, exec_lo, s0
	s_wait_storecnt_dscnt 0x0
	s_barrier_signal -1
	s_barrier_wait -1
	global_inv scope:SCOPE_SE
	s_clause 0x1
	scratch_load_b128 v[2:5], off, off offset:376
	scratch_load_b64 v[10:11], off, off offset:368
	ds_load_2addr_b64 v[6:9], v1 offset0:97 offset1:98
	s_mov_b32 s0, exec_lo
	s_wait_loadcnt_dscnt 0x100
	v_dual_mul_f32 v1, v7, v3 :: v_dual_mul_f32 v12, v8, v5
	v_mul_f32_e32 v3, v6, v3
	s_delay_alu instid0(VALU_DEP_2) | instskip(NEXT) | instid1(VALU_DEP_2)
	v_fma_f32 v1, v6, v2, -v1
	v_dual_fmac_f32 v12, v9, v4 :: v_dual_fmac_f32 v3, v7, v2
	s_delay_alu instid0(VALU_DEP_2) | instskip(NEXT) | instid1(VALU_DEP_2)
	v_add_f32_e32 v1, 0, v1
	v_add_f32_e32 v3, 0, v3
	v_mul_f32_e32 v5, v9, v5
	s_delay_alu instid0(VALU_DEP_1) | instskip(NEXT) | instid1(VALU_DEP_1)
	v_fma_f32 v2, v8, v4, -v5
	v_dual_add_f32 v1, v1, v2 :: v_dual_add_f32 v2, v3, v12
	s_wait_loadcnt 0x0
	s_delay_alu instid0(VALU_DEP_1)
	v_dual_sub_f32 v1, v10, v1 :: v_dual_sub_f32 v2, v11, v2
	scratch_store_b64 off, v[1:2], off offset:368
	v_cmpx_lt_u32_e32 45, v0
	s_cbranch_execz .LBB48_217
; %bb.216:
	scratch_load_b64 v[1:2], off, off offset:360
	v_mov_b32_e32 v3, 0
	s_delay_alu instid0(VALU_DEP_1)
	v_mov_b32_e32 v4, v3
	scratch_store_b64 off, v[3:4], off offset:360
	s_wait_loadcnt 0x0
	ds_store_b64 v23, v[1:2]
.LBB48_217:
	s_wait_alu 0xfffe
	s_or_b32 exec_lo, exec_lo, s0
	s_wait_storecnt_dscnt 0x0
	s_barrier_signal -1
	s_barrier_wait -1
	global_inv scope:SCOPE_SE
	s_clause 0x2
	scratch_load_b128 v[2:5], off, off offset:368
	scratch_load_b64 v[10:11], off, off offset:384
	scratch_load_b64 v[12:13], off, off offset:360
	v_mov_b32_e32 v1, 0
	ds_load_b128 v[6:9], v1 offset:768
	ds_load_b64 v[14:15], v1 offset:784
	s_mov_b32 s0, exec_lo
	s_wait_loadcnt_dscnt 0x201
	v_dual_mul_f32 v16, v7, v3 :: v_dual_mul_f32 v17, v8, v5
	s_wait_loadcnt_dscnt 0x100
	v_mul_f32_e32 v18, v14, v11
	v_mul_f32_e32 v3, v6, v3
	;; [unrolled: 1-line block ×3, first 2 shown]
	v_fma_f32 v6, v6, v2, -v16
	s_delay_alu instid0(VALU_DEP_4) | instskip(NEXT) | instid1(VALU_DEP_4)
	v_fmac_f32_e32 v18, v15, v10
	v_fmac_f32_e32 v3, v7, v2
	v_mul_f32_e32 v2, v15, v11
	s_delay_alu instid0(VALU_DEP_1) | instskip(SKIP_3) | instid1(VALU_DEP_1)
	v_fma_f32 v2, v14, v10, -v2
	v_fmac_f32_e32 v17, v9, v4
	v_fma_f32 v4, v8, v4, -v5
	v_add_f32_e32 v5, 0, v6
	v_add_f32_e32 v4, v5, v4
	s_delay_alu instid0(VALU_DEP_1) | instskip(SKIP_1) | instid1(VALU_DEP_1)
	v_dual_add_f32 v2, v4, v2 :: v_dual_add_f32 v3, 0, v3
	s_wait_loadcnt 0x0
	v_dual_sub_f32 v2, v12, v2 :: v_dual_add_f32 v3, v3, v17
	s_delay_alu instid0(VALU_DEP_1) | instskip(NEXT) | instid1(VALU_DEP_1)
	v_add_f32_e32 v3, v3, v18
	v_sub_f32_e32 v3, v13, v3
	scratch_store_b64 off, v[2:3], off offset:360
	v_cmpx_lt_u32_e32 44, v0
	s_cbranch_execz .LBB48_219
; %bb.218:
	scratch_load_b64 v[3:4], off, off offset:352
	v_mov_b32_e32 v2, v1
	scratch_store_b64 off, v[1:2], off offset:352
	s_wait_loadcnt 0x0
	ds_store_b64 v23, v[3:4]
.LBB48_219:
	s_wait_alu 0xfffe
	s_or_b32 exec_lo, exec_lo, s0
	s_wait_storecnt_dscnt 0x0
	s_barrier_signal -1
	s_barrier_wait -1
	global_inv scope:SCOPE_SE
	s_clause 0x2
	scratch_load_b128 v[2:5], off, off offset:360
	scratch_load_b128 v[6:9], off, off offset:376
	scratch_load_b64 v[18:19], off, off offset:352
	ds_load_2addr_b64 v[10:13], v1 offset0:95 offset1:96
	ds_load_2addr_b64 v[14:17], v1 offset0:97 offset1:98
	s_mov_b32 s0, exec_lo
	s_wait_loadcnt_dscnt 0x201
	v_dual_mul_f32 v1, v10, v3 :: v_dual_mul_f32 v20, v12, v5
	s_wait_loadcnt_dscnt 0x100
	v_dual_mul_f32 v3, v11, v3 :: v_dual_mul_f32 v22, v16, v9
	v_mul_f32_e32 v5, v13, v5
	s_delay_alu instid0(VALU_DEP_3) | instskip(NEXT) | instid1(VALU_DEP_3)
	v_dual_mul_f32 v21, v14, v7 :: v_dual_fmac_f32 v20, v13, v4
	v_fma_f32 v3, v10, v2, -v3
	s_delay_alu instid0(VALU_DEP_4) | instskip(SKIP_2) | instid1(VALU_DEP_4)
	v_dual_fmac_f32 v1, v11, v2 :: v_dual_fmac_f32 v22, v17, v8
	v_mul_f32_e32 v2, v15, v7
	v_fma_f32 v4, v12, v4, -v5
	v_add_f32_e32 v3, 0, v3
	v_fmac_f32_e32 v21, v15, v6
	s_delay_alu instid0(VALU_DEP_4) | instskip(NEXT) | instid1(VALU_DEP_3)
	v_fma_f32 v2, v14, v6, -v2
	v_add_f32_e32 v3, v3, v4
	s_delay_alu instid0(VALU_DEP_1) | instskip(NEXT) | instid1(VALU_DEP_1)
	v_dual_add_f32 v1, 0, v1 :: v_dual_add_f32 v2, v3, v2
	v_add_f32_e32 v1, v1, v20
	s_delay_alu instid0(VALU_DEP_1) | instskip(NEXT) | instid1(VALU_DEP_1)
	v_add_f32_e32 v1, v1, v21
	v_add_f32_e32 v3, v1, v22
	v_mul_f32_e32 v5, v17, v9
	s_delay_alu instid0(VALU_DEP_1) | instskip(NEXT) | instid1(VALU_DEP_1)
	v_fma_f32 v4, v16, v8, -v5
	v_add_f32_e32 v2, v2, v4
	s_wait_loadcnt 0x0
	s_delay_alu instid0(VALU_DEP_1)
	v_dual_sub_f32 v1, v18, v2 :: v_dual_sub_f32 v2, v19, v3
	scratch_store_b64 off, v[1:2], off offset:352
	v_cmpx_lt_u32_e32 43, v0
	s_cbranch_execz .LBB48_221
; %bb.220:
	scratch_load_b64 v[1:2], off, off offset:344
	v_mov_b32_e32 v3, 0
	s_delay_alu instid0(VALU_DEP_1)
	v_mov_b32_e32 v4, v3
	scratch_store_b64 off, v[3:4], off offset:344
	s_wait_loadcnt 0x0
	ds_store_b64 v23, v[1:2]
.LBB48_221:
	s_wait_alu 0xfffe
	s_or_b32 exec_lo, exec_lo, s0
	s_wait_storecnt_dscnt 0x0
	s_barrier_signal -1
	s_barrier_wait -1
	global_inv scope:SCOPE_SE
	s_clause 0x3
	scratch_load_b128 v[2:5], off, off offset:352
	scratch_load_b128 v[6:9], off, off offset:368
	scratch_load_b64 v[18:19], off, off offset:384
	scratch_load_b64 v[20:21], off, off offset:344
	v_mov_b32_e32 v1, 0
	ds_load_b128 v[10:13], v1 offset:752
	ds_load_b128 v[14:17], v1 offset:768
	ds_load_b64 v[122:123], v1 offset:784
	s_mov_b32 s0, exec_lo
	s_wait_loadcnt_dscnt 0x302
	v_mul_f32_e32 v22, v10, v3
	v_dual_mul_f32 v124, v12, v5 :: v_dual_mul_f32 v3, v11, v3
	v_mul_f32_e32 v5, v13, v5
	s_wait_loadcnt_dscnt 0x100
	s_delay_alu instid0(VALU_DEP_3)
	v_dual_mul_f32 v127, v122, v19 :: v_dual_fmac_f32 v22, v11, v2
	v_dual_mul_f32 v125, v14, v7 :: v_dual_mul_f32 v126, v16, v9
	v_fma_f32 v3, v10, v2, -v3
	v_mul_f32_e32 v2, v15, v7
	v_fmac_f32_e32 v124, v13, v4
	v_fma_f32 v4, v12, v4, -v5
	v_dual_add_f32 v5, 0, v22 :: v_dual_fmac_f32 v126, v17, v8
	v_add_f32_e32 v3, 0, v3
	v_fma_f32 v2, v14, v6, -v2
	v_fmac_f32_e32 v125, v15, v6
	v_fmac_f32_e32 v127, v123, v18
	s_delay_alu instid0(VALU_DEP_4) | instskip(SKIP_2) | instid1(VALU_DEP_3)
	v_add_f32_e32 v3, v3, v4
	v_mul_f32_e32 v7, v17, v9
	v_add_f32_e32 v4, v5, v124
	v_add_f32_e32 v2, v3, v2
	s_delay_alu instid0(VALU_DEP_3) | instskip(NEXT) | instid1(VALU_DEP_1)
	v_fma_f32 v6, v16, v8, -v7
	v_dual_add_f32 v3, v4, v125 :: v_dual_add_f32 v2, v2, v6
	v_mul_f32_e32 v5, v123, v19
	s_delay_alu instid0(VALU_DEP_2) | instskip(NEXT) | instid1(VALU_DEP_2)
	v_add_f32_e32 v3, v3, v126
	v_fma_f32 v4, v122, v18, -v5
	s_delay_alu instid0(VALU_DEP_1) | instskip(SKIP_1) | instid1(VALU_DEP_1)
	v_dual_add_f32 v2, v2, v4 :: v_dual_add_f32 v3, v3, v127
	s_wait_loadcnt 0x0
	v_dual_sub_f32 v2, v20, v2 :: v_dual_sub_f32 v3, v21, v3
	scratch_store_b64 off, v[2:3], off offset:344
	v_cmpx_lt_u32_e32 42, v0
	s_cbranch_execz .LBB48_223
; %bb.222:
	scratch_load_b64 v[3:4], off, off offset:336
	v_mov_b32_e32 v2, v1
	scratch_store_b64 off, v[1:2], off offset:336
	s_wait_loadcnt 0x0
	ds_store_b64 v23, v[3:4]
.LBB48_223:
	s_wait_alu 0xfffe
	s_or_b32 exec_lo, exec_lo, s0
	s_wait_storecnt_dscnt 0x0
	s_barrier_signal -1
	s_barrier_wait -1
	global_inv scope:SCOPE_SE
	s_clause 0x3
	scratch_load_b128 v[2:5], off, off offset:344
	scratch_load_b128 v[6:9], off, off offset:360
	scratch_load_b128 v[10:13], off, off offset:376
	scratch_load_b64 v[126:127], off, off offset:336
	ds_load_2addr_b64 v[14:17], v1 offset0:93 offset1:94
	ds_load_2addr_b64 v[18:21], v1 offset0:95 offset1:96
	;; [unrolled: 1-line block ×3, first 2 shown]
	s_mov_b32 s0, exec_lo
	s_wait_loadcnt_dscnt 0x302
	v_dual_mul_f32 v1, v14, v3 :: v_dual_mul_f32 v22, v16, v5
	v_mul_f32_e32 v3, v15, v3
	s_wait_loadcnt_dscnt 0x201
	v_dual_mul_f32 v5, v17, v5 :: v_dual_mul_f32 v128, v18, v7
	s_delay_alu instid0(VALU_DEP_3) | instskip(NEXT) | instid1(VALU_DEP_3)
	v_dual_mul_f32 v129, v20, v9 :: v_dual_fmac_f32 v22, v17, v4
	v_fma_f32 v3, v14, v2, -v3
	v_fmac_f32_e32 v1, v15, v2
	v_mul_f32_e32 v2, v19, v7
	v_fma_f32 v4, v16, v4, -v5
	s_delay_alu instid0(VALU_DEP_4)
	v_dual_fmac_f32 v128, v19, v6 :: v_dual_add_f32 v3, 0, v3
	s_wait_loadcnt_dscnt 0x100
	v_dual_mul_f32 v130, v122, v11 :: v_dual_mul_f32 v131, v124, v13
	v_fma_f32 v2, v18, v6, -v2
	v_fmac_f32_e32 v129, v21, v8
	v_add_f32_e32 v3, v3, v4
	s_delay_alu instid0(VALU_DEP_4) | instskip(SKIP_1) | instid1(VALU_DEP_3)
	v_dual_mul_f32 v5, v21, v9 :: v_dual_fmac_f32 v130, v123, v10
	v_dual_fmac_f32 v131, v125, v12 :: v_dual_mul_f32 v4, v123, v11
	v_add_f32_e32 v2, v3, v2
	s_delay_alu instid0(VALU_DEP_3) | instskip(SKIP_1) | instid1(VALU_DEP_4)
	v_fma_f32 v5, v20, v8, -v5
	v_mul_f32_e32 v3, v125, v13
	v_fma_f32 v4, v122, v10, -v4
	s_delay_alu instid0(VALU_DEP_3) | instskip(SKIP_1) | instid1(VALU_DEP_4)
	v_add_f32_e32 v2, v2, v5
	v_add_f32_e32 v1, 0, v1
	v_fma_f32 v3, v124, v12, -v3
	s_delay_alu instid0(VALU_DEP_2) | instskip(NEXT) | instid1(VALU_DEP_1)
	v_dual_add_f32 v2, v2, v4 :: v_dual_add_f32 v1, v1, v22
	v_dual_add_f32 v2, v2, v3 :: v_dual_add_f32 v1, v1, v128
	s_delay_alu instid0(VALU_DEP_1) | instskip(NEXT) | instid1(VALU_DEP_1)
	v_add_f32_e32 v1, v1, v129
	v_add_f32_e32 v1, v1, v130
	s_delay_alu instid0(VALU_DEP_1) | instskip(SKIP_1) | instid1(VALU_DEP_1)
	v_add_f32_e32 v3, v1, v131
	s_wait_loadcnt 0x0
	v_dual_sub_f32 v1, v126, v2 :: v_dual_sub_f32 v2, v127, v3
	scratch_store_b64 off, v[1:2], off offset:336
	v_cmpx_lt_u32_e32 41, v0
	s_cbranch_execz .LBB48_225
; %bb.224:
	scratch_load_b64 v[1:2], off, off offset:328
	v_mov_b32_e32 v3, 0
	s_delay_alu instid0(VALU_DEP_1)
	v_mov_b32_e32 v4, v3
	scratch_store_b64 off, v[3:4], off offset:328
	s_wait_loadcnt 0x0
	ds_store_b64 v23, v[1:2]
.LBB48_225:
	s_wait_alu 0xfffe
	s_or_b32 exec_lo, exec_lo, s0
	s_wait_storecnt_dscnt 0x0
	s_barrier_signal -1
	s_barrier_wait -1
	global_inv scope:SCOPE_SE
	s_clause 0x4
	scratch_load_b128 v[2:5], off, off offset:336
	scratch_load_b128 v[6:9], off, off offset:352
	scratch_load_b128 v[10:13], off, off offset:368
	scratch_load_b64 v[126:127], off, off offset:384
	scratch_load_b64 v[128:129], off, off offset:328
	v_mov_b32_e32 v1, 0
	ds_load_b128 v[14:17], v1 offset:736
	ds_load_b128 v[18:21], v1 offset:752
	;; [unrolled: 1-line block ×3, first 2 shown]
	ds_load_b64 v[130:131], v1 offset:784
	s_mov_b32 s0, exec_lo
	s_wait_loadcnt_dscnt 0x403
	v_mul_f32_e32 v22, v14, v3
	s_wait_loadcnt_dscnt 0x302
	v_dual_mul_f32 v134, v20, v9 :: v_dual_mul_f32 v3, v15, v3
	v_dual_mul_f32 v132, v16, v5 :: v_dual_mul_f32 v133, v18, v7
	v_mul_f32_e32 v5, v17, v5
	s_wait_loadcnt_dscnt 0x100
	v_dual_mul_f32 v137, v130, v127 :: v_dual_fmac_f32 v22, v15, v2
	v_fma_f32 v3, v14, v2, -v3
	v_mul_f32_e32 v2, v19, v7
	v_fmac_f32_e32 v132, v17, v4
	v_fma_f32 v4, v16, v4, -v5
	v_dual_add_f32 v5, 0, v22 :: v_dual_fmac_f32 v134, v21, v8
	v_add_f32_e32 v3, 0, v3
	v_fma_f32 v2, v18, v6, -v2
	v_fmac_f32_e32 v133, v19, v6
	v_dual_mul_f32 v135, v122, v11 :: v_dual_mul_f32 v136, v124, v13
	s_delay_alu instid0(VALU_DEP_4) | instskip(SKIP_1) | instid1(VALU_DEP_3)
	v_add_f32_e32 v3, v3, v4
	v_mul_f32_e32 v7, v21, v9
	v_dual_add_f32 v4, v5, v132 :: v_dual_fmac_f32 v135, v123, v10
	s_delay_alu instid0(VALU_DEP_4) | instskip(NEXT) | instid1(VALU_DEP_4)
	v_fmac_f32_e32 v136, v125, v12
	v_add_f32_e32 v2, v3, v2
	s_delay_alu instid0(VALU_DEP_4) | instskip(SKIP_3) | instid1(VALU_DEP_4)
	v_fma_f32 v6, v20, v8, -v7
	v_mul_f32_e32 v5, v123, v11
	v_add_f32_e32 v3, v4, v133
	v_mul_f32_e32 v4, v125, v13
	v_add_f32_e32 v2, v2, v6
	s_delay_alu instid0(VALU_DEP_4) | instskip(SKIP_3) | instid1(VALU_DEP_4)
	v_fma_f32 v5, v122, v10, -v5
	v_mul_f32_e32 v6, v131, v127
	v_add_f32_e32 v3, v3, v134
	v_fma_f32 v4, v124, v12, -v4
	v_add_f32_e32 v2, v2, v5
	s_delay_alu instid0(VALU_DEP_4) | instskip(NEXT) | instid1(VALU_DEP_2)
	v_fma_f32 v5, v130, v126, -v6
	v_dual_add_f32 v3, v3, v135 :: v_dual_add_f32 v2, v2, v4
	s_delay_alu instid0(VALU_DEP_1) | instskip(SKIP_1) | instid1(VALU_DEP_1)
	v_dual_fmac_f32 v137, v131, v126 :: v_dual_add_f32 v2, v2, v5
	s_wait_loadcnt 0x0
	v_dual_add_f32 v3, v3, v136 :: v_dual_sub_f32 v2, v128, v2
	s_delay_alu instid0(VALU_DEP_1) | instskip(NEXT) | instid1(VALU_DEP_1)
	v_add_f32_e32 v3, v3, v137
	v_sub_f32_e32 v3, v129, v3
	scratch_store_b64 off, v[2:3], off offset:328
	v_cmpx_lt_u32_e32 40, v0
	s_cbranch_execz .LBB48_227
; %bb.226:
	scratch_load_b64 v[3:4], off, off offset:320
	v_mov_b32_e32 v2, v1
	scratch_store_b64 off, v[1:2], off offset:320
	s_wait_loadcnt 0x0
	ds_store_b64 v23, v[3:4]
.LBB48_227:
	s_wait_alu 0xfffe
	s_or_b32 exec_lo, exec_lo, s0
	s_wait_storecnt_dscnt 0x0
	s_barrier_signal -1
	s_barrier_wait -1
	global_inv scope:SCOPE_SE
	s_clause 0x4
	scratch_load_b128 v[2:5], off, off offset:328
	scratch_load_b128 v[6:9], off, off offset:344
	;; [unrolled: 1-line block ×4, first 2 shown]
	scratch_load_b64 v[134:135], off, off offset:320
	ds_load_2addr_b64 v[18:21], v1 offset0:91 offset1:92
	ds_load_2addr_b64 v[122:125], v1 offset0:93 offset1:94
	;; [unrolled: 1-line block ×4, first 2 shown]
	s_mov_b32 s0, exec_lo
	s_wait_loadcnt_dscnt 0x403
	v_dual_mul_f32 v1, v18, v3 :: v_dual_mul_f32 v22, v20, v5
	v_mul_f32_e32 v3, v19, v3
	s_wait_loadcnt_dscnt 0x302
	v_dual_mul_f32 v5, v21, v5 :: v_dual_mul_f32 v136, v122, v7
	s_delay_alu instid0(VALU_DEP_3) | instskip(NEXT) | instid1(VALU_DEP_3)
	v_dual_mul_f32 v137, v124, v9 :: v_dual_fmac_f32 v22, v21, v4
	v_fma_f32 v3, v18, v2, -v3
	v_fmac_f32_e32 v1, v19, v2
	v_mul_f32_e32 v2, v123, v7
	v_fma_f32 v4, v20, v4, -v5
	s_delay_alu instid0(VALU_DEP_4)
	v_dual_fmac_f32 v136, v123, v6 :: v_dual_add_f32 v3, 0, v3
	s_wait_loadcnt_dscnt 0x201
	v_dual_mul_f32 v138, v126, v11 :: v_dual_mul_f32 v139, v128, v13
	v_fma_f32 v2, v122, v6, -v2
	s_wait_loadcnt_dscnt 0x100
	v_dual_mul_f32 v140, v130, v15 :: v_dual_mul_f32 v141, v132, v17
	v_add_f32_e32 v3, v3, v4
	v_mul_f32_e32 v5, v125, v9
	v_dual_fmac_f32 v137, v125, v8 :: v_dual_fmac_f32 v138, v127, v10
	v_mul_f32_e32 v4, v127, v11
	s_delay_alu instid0(VALU_DEP_4) | instskip(NEXT) | instid1(VALU_DEP_4)
	v_add_f32_e32 v2, v3, v2
	v_fma_f32 v5, v124, v8, -v5
	v_mul_f32_e32 v3, v129, v13
	v_fmac_f32_e32 v141, v133, v16
	v_fma_f32 v4, v126, v10, -v4
	v_fmac_f32_e32 v140, v131, v14
	v_add_f32_e32 v2, v2, v5
	v_add_f32_e32 v1, 0, v1
	v_mul_f32_e32 v5, v131, v15
	v_fma_f32 v3, v128, v12, -v3
	s_delay_alu instid0(VALU_DEP_3) | instskip(SKIP_1) | instid1(VALU_DEP_4)
	v_dual_add_f32 v2, v2, v4 :: v_dual_add_f32 v1, v1, v22
	v_mul_f32_e32 v4, v133, v17
	v_fma_f32 v5, v130, v14, -v5
	s_delay_alu instid0(VALU_DEP_3) | instskip(SKIP_1) | instid1(VALU_DEP_4)
	v_dual_add_f32 v2, v2, v3 :: v_dual_add_f32 v1, v1, v136
	v_fmac_f32_e32 v139, v129, v12
	v_fma_f32 v3, v132, v16, -v4
	s_delay_alu instid0(VALU_DEP_3) | instskip(NEXT) | instid1(VALU_DEP_1)
	v_add_f32_e32 v2, v2, v5
	v_dual_add_f32 v1, v1, v137 :: v_dual_add_f32 v2, v2, v3
	s_delay_alu instid0(VALU_DEP_1) | instskip(NEXT) | instid1(VALU_DEP_1)
	v_add_f32_e32 v1, v1, v138
	v_add_f32_e32 v1, v1, v139
	s_delay_alu instid0(VALU_DEP_1) | instskip(NEXT) | instid1(VALU_DEP_1)
	v_add_f32_e32 v1, v1, v140
	v_add_f32_e32 v3, v1, v141
	s_wait_loadcnt 0x0
	s_delay_alu instid0(VALU_DEP_1)
	v_dual_sub_f32 v1, v134, v2 :: v_dual_sub_f32 v2, v135, v3
	scratch_store_b64 off, v[1:2], off offset:320
	v_cmpx_lt_u32_e32 39, v0
	s_cbranch_execz .LBB48_229
; %bb.228:
	scratch_load_b64 v[1:2], off, off offset:312
	v_mov_b32_e32 v3, 0
	s_delay_alu instid0(VALU_DEP_1)
	v_mov_b32_e32 v4, v3
	scratch_store_b64 off, v[3:4], off offset:312
	s_wait_loadcnt 0x0
	ds_store_b64 v23, v[1:2]
.LBB48_229:
	s_wait_alu 0xfffe
	s_or_b32 exec_lo, exec_lo, s0
	s_wait_storecnt_dscnt 0x0
	s_barrier_signal -1
	s_barrier_wait -1
	global_inv scope:SCOPE_SE
	s_clause 0x5
	scratch_load_b128 v[2:5], off, off offset:320
	scratch_load_b128 v[6:9], off, off offset:336
	;; [unrolled: 1-line block ×4, first 2 shown]
	scratch_load_b64 v[134:135], off, off offset:384
	scratch_load_b64 v[136:137], off, off offset:312
	v_mov_b32_e32 v1, 0
	ds_load_b128 v[18:21], v1 offset:720
	ds_load_b128 v[122:125], v1 offset:736
	;; [unrolled: 1-line block ×4, first 2 shown]
	ds_load_b64 v[138:139], v1 offset:784
	s_mov_b32 s0, exec_lo
	s_wait_loadcnt_dscnt 0x504
	v_mul_f32_e32 v22, v18, v3
	s_wait_loadcnt_dscnt 0x302
	v_dual_mul_f32 v3, v19, v3 :: v_dual_mul_f32 v144, v128, v13
	v_dual_mul_f32 v140, v20, v5 :: v_dual_mul_f32 v141, v122, v7
	v_mul_f32_e32 v5, v21, v5
	s_delay_alu instid0(VALU_DEP_3) | instskip(SKIP_3) | instid1(VALU_DEP_3)
	v_fma_f32 v3, v18, v2, -v3
	s_wait_loadcnt_dscnt 0x100
	v_dual_mul_f32 v147, v138, v135 :: v_dual_fmac_f32 v22, v19, v2
	v_mul_f32_e32 v2, v123, v7
	v_dual_fmac_f32 v140, v21, v4 :: v_dual_add_f32 v3, 0, v3
	v_fma_f32 v4, v20, v4, -v5
	v_dual_mul_f32 v142, v124, v9 :: v_dual_mul_f32 v143, v126, v11
	v_add_f32_e32 v5, 0, v22
	v_fma_f32 v2, v122, v6, -v2
	s_delay_alu instid0(VALU_DEP_4) | instskip(SKIP_3) | instid1(VALU_DEP_4)
	v_add_f32_e32 v3, v3, v4
	v_mul_f32_e32 v7, v125, v9
	v_dual_fmac_f32 v142, v125, v8 :: v_dual_fmac_f32 v141, v123, v6
	v_add_f32_e32 v4, v5, v140
	v_add_f32_e32 v2, v3, v2
	s_delay_alu instid0(VALU_DEP_4)
	v_fma_f32 v6, v124, v8, -v7
	v_mul_f32_e32 v5, v127, v11
	v_dual_fmac_f32 v143, v127, v10 :: v_dual_fmac_f32 v144, v129, v12
	v_add_f32_e32 v3, v4, v141
	v_mul_f32_e32 v4, v129, v13
	v_add_f32_e32 v2, v2, v6
	v_fma_f32 v5, v126, v10, -v5
	v_mul_f32_e32 v6, v131, v15
	v_add_f32_e32 v3, v3, v142
	v_fma_f32 v4, v128, v12, -v4
	v_dual_mul_f32 v145, v130, v15 :: v_dual_mul_f32 v146, v132, v17
	s_delay_alu instid0(VALU_DEP_3) | instskip(SKIP_2) | instid1(VALU_DEP_4)
	v_dual_add_f32 v2, v2, v5 :: v_dual_add_f32 v3, v3, v143
	v_mul_f32_e32 v5, v133, v17
	v_fma_f32 v6, v130, v14, -v6
	v_dual_fmac_f32 v145, v131, v14 :: v_dual_fmac_f32 v146, v133, v16
	s_delay_alu instid0(VALU_DEP_4) | instskip(SKIP_3) | instid1(VALU_DEP_4)
	v_add_f32_e32 v2, v2, v4
	v_add_f32_e32 v3, v3, v144
	v_mul_f32_e32 v4, v139, v135
	v_fma_f32 v5, v132, v16, -v5
	v_add_f32_e32 v2, v2, v6
	v_fmac_f32_e32 v147, v139, v134
	s_delay_alu instid0(VALU_DEP_4) | instskip(NEXT) | instid1(VALU_DEP_3)
	v_fma_f32 v4, v138, v134, -v4
	v_add_f32_e32 v2, v2, v5
	s_delay_alu instid0(VALU_DEP_1) | instskip(NEXT) | instid1(VALU_DEP_1)
	v_dual_add_f32 v3, v3, v145 :: v_dual_add_f32 v2, v2, v4
	v_add_f32_e32 v3, v3, v146
	s_wait_loadcnt 0x0
	s_delay_alu instid0(VALU_DEP_1) | instskip(NEXT) | instid1(VALU_DEP_1)
	v_dual_sub_f32 v2, v136, v2 :: v_dual_add_f32 v3, v3, v147
	v_sub_f32_e32 v3, v137, v3
	scratch_store_b64 off, v[2:3], off offset:312
	v_cmpx_lt_u32_e32 38, v0
	s_cbranch_execz .LBB48_231
; %bb.230:
	scratch_load_b64 v[3:4], off, off offset:304
	v_mov_b32_e32 v2, v1
	scratch_store_b64 off, v[1:2], off offset:304
	s_wait_loadcnt 0x0
	ds_store_b64 v23, v[3:4]
.LBB48_231:
	s_wait_alu 0xfffe
	s_or_b32 exec_lo, exec_lo, s0
	s_wait_storecnt_dscnt 0x0
	s_barrier_signal -1
	s_barrier_wait -1
	global_inv scope:SCOPE_SE
	s_clause 0x5
	scratch_load_b128 v[2:5], off, off offset:312
	scratch_load_b128 v[6:9], off, off offset:328
	;; [unrolled: 1-line block ×5, first 2 shown]
	scratch_load_b64 v[142:143], off, off offset:304
	ds_load_2addr_b64 v[122:125], v1 offset0:89 offset1:90
	ds_load_2addr_b64 v[126:129], v1 offset0:91 offset1:92
	;; [unrolled: 1-line block ×5, first 2 shown]
	s_mov_b32 s0, exec_lo
	s_wait_loadcnt_dscnt 0x504
	v_dual_mul_f32 v1, v122, v3 :: v_dual_mul_f32 v22, v124, v5
	v_mul_f32_e32 v3, v123, v3
	s_wait_loadcnt_dscnt 0x403
	v_dual_mul_f32 v5, v125, v5 :: v_dual_mul_f32 v144, v126, v7
	s_delay_alu instid0(VALU_DEP_3) | instskip(NEXT) | instid1(VALU_DEP_3)
	v_dual_mul_f32 v145, v128, v9 :: v_dual_fmac_f32 v22, v125, v4
	v_fma_f32 v3, v122, v2, -v3
	v_fmac_f32_e32 v1, v123, v2
	v_mul_f32_e32 v2, v127, v7
	v_fma_f32 v4, v124, v4, -v5
	s_delay_alu instid0(VALU_DEP_4)
	v_dual_fmac_f32 v144, v127, v6 :: v_dual_add_f32 v3, 0, v3
	s_wait_loadcnt_dscnt 0x100
	v_dual_mul_f32 v150, v138, v19 :: v_dual_mul_f32 v151, v140, v21
	v_fma_f32 v2, v126, v6, -v2
	v_dual_mul_f32 v146, v130, v11 :: v_dual_mul_f32 v147, v132, v13
	v_add_f32_e32 v3, v3, v4
	v_dual_mul_f32 v5, v129, v9 :: v_dual_mul_f32 v148, v134, v15
	v_dual_mul_f32 v149, v136, v17 :: v_dual_mul_f32 v4, v131, v11
	s_delay_alu instid0(VALU_DEP_3) | instskip(NEXT) | instid1(VALU_DEP_3)
	v_add_f32_e32 v2, v3, v2
	v_fma_f32 v5, v128, v8, -v5
	v_dual_mul_f32 v3, v133, v13 :: v_dual_fmac_f32 v150, v139, v18
	s_delay_alu instid0(VALU_DEP_4) | instskip(SKIP_1) | instid1(VALU_DEP_4)
	v_fma_f32 v4, v130, v10, -v4
	v_dual_fmac_f32 v145, v129, v8 :: v_dual_fmac_f32 v146, v131, v10
	v_add_f32_e32 v2, v2, v5
	v_add_f32_e32 v1, 0, v1
	v_fma_f32 v3, v132, v12, -v3
	v_dual_fmac_f32 v148, v135, v14 :: v_dual_fmac_f32 v149, v137, v16
	s_delay_alu instid0(VALU_DEP_3) | instskip(SKIP_1) | instid1(VALU_DEP_2)
	v_dual_add_f32 v2, v2, v4 :: v_dual_add_f32 v1, v1, v22
	v_mul_f32_e32 v4, v137, v17
	v_dual_fmac_f32 v151, v141, v20 :: v_dual_add_f32 v2, v2, v3
	s_delay_alu instid0(VALU_DEP_3) | instskip(NEXT) | instid1(VALU_DEP_3)
	v_add_f32_e32 v1, v1, v144
	v_fma_f32 v4, v136, v16, -v4
	v_mul_f32_e32 v5, v135, v15
	v_mul_f32_e32 v3, v139, v19
	s_delay_alu instid0(VALU_DEP_4) | instskip(NEXT) | instid1(VALU_DEP_3)
	v_add_f32_e32 v1, v1, v145
	v_fma_f32 v5, v134, v14, -v5
	v_fmac_f32_e32 v147, v133, v12
	s_delay_alu instid0(VALU_DEP_4) | instskip(NEXT) | instid1(VALU_DEP_3)
	v_fma_f32 v3, v138, v18, -v3
	v_add_f32_e32 v2, v2, v5
	s_delay_alu instid0(VALU_DEP_1) | instskip(SKIP_1) | instid1(VALU_DEP_2)
	v_dual_mul_f32 v5, v141, v21 :: v_dual_add_f32 v2, v2, v4
	v_add_f32_e32 v1, v1, v146
	v_fma_f32 v4, v140, v20, -v5
	s_delay_alu instid0(VALU_DEP_3) | instskip(NEXT) | instid1(VALU_DEP_1)
	v_add_f32_e32 v2, v2, v3
	v_dual_add_f32 v1, v1, v147 :: v_dual_add_f32 v2, v2, v4
	s_delay_alu instid0(VALU_DEP_1) | instskip(NEXT) | instid1(VALU_DEP_1)
	v_add_f32_e32 v1, v1, v148
	v_add_f32_e32 v1, v1, v149
	s_delay_alu instid0(VALU_DEP_1) | instskip(NEXT) | instid1(VALU_DEP_1)
	v_add_f32_e32 v1, v1, v150
	v_add_f32_e32 v3, v1, v151
	s_wait_loadcnt 0x0
	s_delay_alu instid0(VALU_DEP_1)
	v_dual_sub_f32 v1, v142, v2 :: v_dual_sub_f32 v2, v143, v3
	scratch_store_b64 off, v[1:2], off offset:304
	v_cmpx_lt_u32_e32 37, v0
	s_cbranch_execz .LBB48_233
; %bb.232:
	scratch_load_b64 v[1:2], off, off offset:296
	v_mov_b32_e32 v3, 0
	s_delay_alu instid0(VALU_DEP_1)
	v_mov_b32_e32 v4, v3
	scratch_store_b64 off, v[3:4], off offset:296
	s_wait_loadcnt 0x0
	ds_store_b64 v23, v[1:2]
.LBB48_233:
	s_wait_alu 0xfffe
	s_or_b32 exec_lo, exec_lo, s0
	s_wait_storecnt_dscnt 0x0
	s_barrier_signal -1
	s_barrier_wait -1
	global_inv scope:SCOPE_SE
	s_clause 0x6
	scratch_load_b128 v[2:5], off, off offset:304
	scratch_load_b128 v[6:9], off, off offset:320
	;; [unrolled: 1-line block ×5, first 2 shown]
	scratch_load_b64 v[142:143], off, off offset:384
	scratch_load_b64 v[144:145], off, off offset:296
	v_mov_b32_e32 v1, 0
	ds_load_b128 v[122:125], v1 offset:704
	ds_load_b128 v[126:129], v1 offset:720
	;; [unrolled: 1-line block ×5, first 2 shown]
	ds_load_b64 v[146:147], v1 offset:784
	s_mov_b32 s0, exec_lo
	s_wait_loadcnt_dscnt 0x605
	v_mul_f32_e32 v22, v122, v3
	v_dual_mul_f32 v3, v123, v3 :: v_dual_mul_f32 v148, v124, v5
	s_wait_loadcnt_dscnt 0x302
	v_dual_mul_f32 v149, v126, v7 :: v_dual_mul_f32 v154, v136, v17
	v_mul_f32_e32 v5, v125, v5
	s_delay_alu instid0(VALU_DEP_3) | instskip(SKIP_3) | instid1(VALU_DEP_3)
	v_fma_f32 v3, v122, v2, -v3
	s_wait_loadcnt_dscnt 0x100
	v_dual_mul_f32 v157, v146, v143 :: v_dual_fmac_f32 v22, v123, v2
	v_mul_f32_e32 v2, v127, v7
	v_dual_fmac_f32 v148, v125, v4 :: v_dual_add_f32 v3, 0, v3
	v_fma_f32 v4, v124, v4, -v5
	v_dual_mul_f32 v150, v128, v9 :: v_dual_mul_f32 v151, v130, v11
	v_add_f32_e32 v5, 0, v22
	v_fma_f32 v2, v126, v6, -v2
	s_delay_alu instid0(VALU_DEP_4) | instskip(SKIP_3) | instid1(VALU_DEP_4)
	v_add_f32_e32 v3, v3, v4
	v_mul_f32_e32 v7, v129, v9
	v_dual_fmac_f32 v150, v129, v8 :: v_dual_fmac_f32 v149, v127, v6
	v_add_f32_e32 v4, v5, v148
	v_add_f32_e32 v2, v3, v2
	s_delay_alu instid0(VALU_DEP_4)
	v_fma_f32 v6, v128, v8, -v7
	v_dual_mul_f32 v5, v131, v11 :: v_dual_mul_f32 v152, v132, v13
	v_mul_f32_e32 v153, v134, v15
	v_add_f32_e32 v3, v4, v149
	v_mul_f32_e32 v4, v133, v13
	v_add_f32_e32 v2, v2, v6
	v_fma_f32 v5, v130, v10, -v5
	v_dual_fmac_f32 v151, v131, v10 :: v_dual_fmac_f32 v152, v133, v12
	v_mul_f32_e32 v6, v135, v15
	s_delay_alu instid0(VALU_DEP_3) | instskip(SKIP_2) | instid1(VALU_DEP_4)
	v_dual_add_f32 v3, v3, v150 :: v_dual_add_f32 v2, v2, v5
	v_fma_f32 v4, v132, v12, -v4
	v_mul_f32_e32 v5, v137, v17
	v_fma_f32 v6, v134, v14, -v6
	s_delay_alu instid0(VALU_DEP_4) | instskip(SKIP_3) | instid1(VALU_DEP_4)
	v_add_f32_e32 v3, v3, v151
	v_dual_mul_f32 v155, v138, v19 :: v_dual_mul_f32 v156, v140, v21
	v_dual_add_f32 v2, v2, v4 :: v_dual_fmac_f32 v153, v135, v14
	v_fmac_f32_e32 v154, v137, v16
	v_add_f32_e32 v3, v3, v152
	v_mul_f32_e32 v4, v139, v19
	v_fma_f32 v5, v136, v16, -v5
	v_add_f32_e32 v2, v2, v6
	v_dual_mul_f32 v6, v141, v21 :: v_dual_fmac_f32 v155, v139, v18
	v_dual_add_f32 v3, v3, v153 :: v_dual_fmac_f32 v156, v141, v20
	v_fma_f32 v4, v138, v18, -v4
	s_delay_alu instid0(VALU_DEP_4) | instskip(NEXT) | instid1(VALU_DEP_4)
	v_add_f32_e32 v2, v2, v5
	v_fma_f32 v6, v140, v20, -v6
	s_delay_alu instid0(VALU_DEP_4) | instskip(NEXT) | instid1(VALU_DEP_3)
	v_add_f32_e32 v3, v3, v154
	v_dual_mul_f32 v5, v147, v143 :: v_dual_add_f32 v2, v2, v4
	s_delay_alu instid0(VALU_DEP_2) | instskip(NEXT) | instid1(VALU_DEP_2)
	v_add_f32_e32 v3, v3, v155
	v_fma_f32 v4, v146, v142, -v5
	s_delay_alu instid0(VALU_DEP_3) | instskip(NEXT) | instid1(VALU_DEP_1)
	v_add_f32_e32 v2, v2, v6
	v_dual_fmac_f32 v157, v147, v142 :: v_dual_add_f32 v2, v2, v4
	s_wait_loadcnt 0x0
	s_delay_alu instid0(VALU_DEP_1) | instskip(NEXT) | instid1(VALU_DEP_1)
	v_dual_add_f32 v3, v3, v156 :: v_dual_sub_f32 v2, v144, v2
	v_add_f32_e32 v3, v3, v157
	s_delay_alu instid0(VALU_DEP_1)
	v_sub_f32_e32 v3, v145, v3
	scratch_store_b64 off, v[2:3], off offset:296
	v_cmpx_lt_u32_e32 36, v0
	s_cbranch_execz .LBB48_235
; %bb.234:
	scratch_load_b64 v[3:4], off, off offset:288
	v_mov_b32_e32 v2, v1
	scratch_store_b64 off, v[1:2], off offset:288
	s_wait_loadcnt 0x0
	ds_store_b64 v23, v[3:4]
.LBB48_235:
	s_wait_alu 0xfffe
	s_or_b32 exec_lo, exec_lo, s0
	s_wait_storecnt_dscnt 0x0
	s_barrier_signal -1
	s_barrier_wait -1
	global_inv scope:SCOPE_SE
	s_clause 0x6
	scratch_load_b128 v[2:5], off, off offset:296
	scratch_load_b128 v[6:9], off, off offset:312
	;; [unrolled: 1-line block ×6, first 2 shown]
	scratch_load_b64 v[150:151], off, off offset:288
	ds_load_2addr_b64 v[126:129], v1 offset0:87 offset1:88
	ds_load_2addr_b64 v[130:133], v1 offset0:89 offset1:90
	;; [unrolled: 1-line block ×6, first 2 shown]
	s_mov_b32 s0, exec_lo
	s_wait_loadcnt_dscnt 0x605
	v_dual_mul_f32 v1, v126, v3 :: v_dual_mul_f32 v22, v128, v5
	v_mul_f32_e32 v3, v127, v3
	s_wait_loadcnt_dscnt 0x504
	v_dual_mul_f32 v5, v129, v5 :: v_dual_mul_f32 v152, v130, v7
	s_delay_alu instid0(VALU_DEP_3) | instskip(NEXT) | instid1(VALU_DEP_3)
	v_dual_mul_f32 v153, v132, v9 :: v_dual_fmac_f32 v22, v129, v4
	v_fma_f32 v3, v126, v2, -v3
	v_fmac_f32_e32 v1, v127, v2
	v_mul_f32_e32 v2, v131, v7
	v_fma_f32 v4, v128, v4, -v5
	s_delay_alu instid0(VALU_DEP_4)
	v_dual_fmac_f32 v152, v131, v6 :: v_dual_add_f32 v3, 0, v3
	s_wait_loadcnt_dscnt 0x201
	v_dual_mul_f32 v158, v142, v19 :: v_dual_mul_f32 v159, v144, v21
	v_fma_f32 v2, v130, v6, -v2
	v_dual_mul_f32 v154, v134, v11 :: v_dual_mul_f32 v155, v136, v13
	v_add_f32_e32 v3, v3, v4
	v_dual_mul_f32 v5, v133, v9 :: v_dual_mul_f32 v156, v138, v15
	v_dual_mul_f32 v157, v140, v17 :: v_dual_mul_f32 v4, v135, v11
	s_delay_alu instid0(VALU_DEP_3) | instskip(NEXT) | instid1(VALU_DEP_3)
	v_add_f32_e32 v2, v3, v2
	v_fma_f32 v5, v132, v8, -v5
	v_dual_mul_f32 v3, v137, v13 :: v_dual_fmac_f32 v158, v143, v18
	s_delay_alu instid0(VALU_DEP_4) | instskip(SKIP_1) | instid1(VALU_DEP_4)
	v_fma_f32 v4, v134, v10, -v4
	v_dual_fmac_f32 v153, v133, v8 :: v_dual_fmac_f32 v154, v135, v10
	v_add_f32_e32 v2, v2, v5
	v_add_f32_e32 v1, 0, v1
	v_fma_f32 v3, v136, v12, -v3
	v_fmac_f32_e32 v156, v139, v14
	s_wait_loadcnt_dscnt 0x100
	v_dual_mul_f32 v160, v146, v123 :: v_dual_mul_f32 v161, v148, v125
	v_dual_add_f32 v1, v1, v22 :: v_dual_add_f32 v2, v2, v4
	v_mul_f32_e32 v4, v141, v17
	v_fmac_f32_e32 v159, v145, v20
	s_delay_alu instid0(VALU_DEP_4) | instskip(NEXT) | instid1(VALU_DEP_4)
	v_fmac_f32_e32 v161, v149, v124
	v_dual_add_f32 v1, v1, v152 :: v_dual_add_f32 v2, v2, v3
	s_delay_alu instid0(VALU_DEP_4) | instskip(SKIP_1) | instid1(VALU_DEP_3)
	v_fma_f32 v4, v140, v16, -v4
	v_mul_f32_e32 v5, v139, v15
	v_dual_fmac_f32 v160, v147, v122 :: v_dual_add_f32 v1, v1, v153
	s_delay_alu instid0(VALU_DEP_2) | instskip(SKIP_1) | instid1(VALU_DEP_2)
	v_fma_f32 v5, v138, v14, -v5
	v_fmac_f32_e32 v155, v137, v12
	v_dual_add_f32 v1, v1, v154 :: v_dual_add_f32 v2, v2, v5
	s_delay_alu instid0(VALU_DEP_1) | instskip(SKIP_1) | instid1(VALU_DEP_3)
	v_add_f32_e32 v2, v2, v4
	v_mul_f32_e32 v4, v147, v123
	v_add_f32_e32 v1, v1, v155
	s_delay_alu instid0(VALU_DEP_2) | instskip(SKIP_1) | instid1(VALU_DEP_1)
	v_fma_f32 v4, v146, v122, -v4
	v_mul_f32_e32 v5, v145, v21
	v_fma_f32 v5, v144, v20, -v5
	v_mul_f32_e32 v3, v143, v19
	s_delay_alu instid0(VALU_DEP_1) | instskip(NEXT) | instid1(VALU_DEP_1)
	v_fma_f32 v3, v142, v18, -v3
	v_dual_fmac_f32 v157, v141, v16 :: v_dual_add_f32 v2, v2, v3
	v_mul_f32_e32 v3, v149, v125
	s_delay_alu instid0(VALU_DEP_2) | instskip(NEXT) | instid1(VALU_DEP_2)
	v_add_f32_e32 v2, v2, v5
	v_fma_f32 v3, v148, v124, -v3
	s_delay_alu instid0(VALU_DEP_2) | instskip(NEXT) | instid1(VALU_DEP_1)
	v_add_f32_e32 v2, v2, v4
	v_dual_add_f32 v1, v1, v156 :: v_dual_add_f32 v2, v2, v3
	s_delay_alu instid0(VALU_DEP_1) | instskip(NEXT) | instid1(VALU_DEP_1)
	v_add_f32_e32 v1, v1, v157
	v_add_f32_e32 v1, v1, v158
	s_delay_alu instid0(VALU_DEP_1) | instskip(NEXT) | instid1(VALU_DEP_1)
	v_add_f32_e32 v1, v1, v159
	v_add_f32_e32 v1, v1, v160
	s_delay_alu instid0(VALU_DEP_1) | instskip(SKIP_1) | instid1(VALU_DEP_1)
	v_add_f32_e32 v3, v1, v161
	s_wait_loadcnt 0x0
	v_dual_sub_f32 v1, v150, v2 :: v_dual_sub_f32 v2, v151, v3
	scratch_store_b64 off, v[1:2], off offset:288
	v_cmpx_lt_u32_e32 35, v0
	s_cbranch_execz .LBB48_237
; %bb.236:
	scratch_load_b64 v[1:2], off, off offset:280
	v_mov_b32_e32 v3, 0
	s_delay_alu instid0(VALU_DEP_1)
	v_mov_b32_e32 v4, v3
	scratch_store_b64 off, v[3:4], off offset:280
	s_wait_loadcnt 0x0
	ds_store_b64 v23, v[1:2]
.LBB48_237:
	s_wait_alu 0xfffe
	s_or_b32 exec_lo, exec_lo, s0
	s_wait_storecnt_dscnt 0x0
	s_barrier_signal -1
	s_barrier_wait -1
	global_inv scope:SCOPE_SE
	s_clause 0x7
	scratch_load_b128 v[2:5], off, off offset:288
	scratch_load_b128 v[6:9], off, off offset:304
	;; [unrolled: 1-line block ×6, first 2 shown]
	scratch_load_b64 v[150:151], off, off offset:384
	scratch_load_b64 v[152:153], off, off offset:280
	v_mov_b32_e32 v1, 0
	ds_load_b128 v[126:129], v1 offset:688
	ds_load_b128 v[130:133], v1 offset:704
	;; [unrolled: 1-line block ×6, first 2 shown]
	ds_load_b64 v[154:155], v1 offset:784
	s_mov_b32 s0, exec_lo
	s_wait_loadcnt_dscnt 0x706
	v_mul_f32_e32 v22, v126, v3
	v_dual_mul_f32 v3, v127, v3 :: v_dual_mul_f32 v156, v128, v5
	s_wait_loadcnt_dscnt 0x302
	v_dual_mul_f32 v157, v130, v7 :: v_dual_mul_f32 v164, v144, v21
	v_mul_f32_e32 v5, v129, v5
	s_wait_loadcnt_dscnt 0x100
	v_dual_mul_f32 v167, v154, v151 :: v_dual_fmac_f32 v22, v127, v2
	v_fma_f32 v3, v126, v2, -v3
	v_dual_mul_f32 v158, v132, v9 :: v_dual_mul_f32 v159, v134, v11
	v_mul_f32_e32 v2, v131, v7
	s_delay_alu instid0(VALU_DEP_3) | instskip(SKIP_1) | instid1(VALU_DEP_4)
	v_dual_fmac_f32 v156, v129, v4 :: v_dual_add_f32 v3, 0, v3
	v_fma_f32 v4, v128, v4, -v5
	v_dual_add_f32 v5, 0, v22 :: v_dual_fmac_f32 v158, v133, v8
	v_fmac_f32_e32 v157, v131, v6
	v_fma_f32 v2, v130, v6, -v2
	s_delay_alu instid0(VALU_DEP_4) | instskip(SKIP_3) | instid1(VALU_DEP_4)
	v_add_f32_e32 v3, v3, v4
	v_mul_f32_e32 v7, v133, v9
	v_add_f32_e32 v4, v5, v156
	v_dual_mul_f32 v160, v136, v13 :: v_dual_mul_f32 v161, v138, v15
	v_add_f32_e32 v2, v3, v2
	s_delay_alu instid0(VALU_DEP_4)
	v_fma_f32 v6, v132, v8, -v7
	v_mul_f32_e32 v5, v135, v11
	v_add_f32_e32 v3, v4, v157
	v_dual_mul_f32 v4, v137, v13 :: v_dual_fmac_f32 v159, v135, v10
	v_fmac_f32_e32 v160, v137, v12
	v_add_f32_e32 v2, v2, v6
	v_fma_f32 v5, v134, v10, -v5
	v_mul_f32_e32 v6, v139, v15
	v_add_f32_e32 v3, v3, v158
	v_fma_f32 v4, v136, v12, -v4
	v_dual_mul_f32 v162, v140, v17 :: v_dual_mul_f32 v163, v142, v19
	s_delay_alu instid0(VALU_DEP_3) | instskip(SKIP_1) | instid1(VALU_DEP_3)
	v_dual_add_f32 v2, v2, v5 :: v_dual_add_f32 v3, v3, v159
	v_mul_f32_e32 v5, v141, v17
	v_dual_fmac_f32 v161, v139, v14 :: v_dual_fmac_f32 v162, v141, v16
	v_fma_f32 v6, v138, v14, -v6
	s_delay_alu instid0(VALU_DEP_4) | instskip(SKIP_4) | instid1(VALU_DEP_4)
	v_add_f32_e32 v2, v2, v4
	v_add_f32_e32 v3, v3, v160
	v_mul_f32_e32 v4, v143, v19
	v_fma_f32 v5, v140, v16, -v5
	v_fmac_f32_e32 v163, v143, v18
	v_dual_add_f32 v2, v2, v6 :: v_dual_add_f32 v3, v3, v161
	v_fmac_f32_e32 v164, v145, v20
	v_mul_f32_e32 v6, v145, v21
	v_fma_f32 v4, v142, v18, -v4
	s_delay_alu instid0(VALU_DEP_4) | instskip(SKIP_1) | instid1(VALU_DEP_2)
	v_dual_add_f32 v2, v2, v5 :: v_dual_add_f32 v3, v3, v162
	v_dual_mul_f32 v165, v146, v123 :: v_dual_mul_f32 v166, v148, v125
	v_dual_mul_f32 v5, v147, v123 :: v_dual_add_f32 v2, v2, v4
	v_fma_f32 v6, v144, v20, -v6
	s_delay_alu instid0(VALU_DEP_4) | instskip(NEXT) | instid1(VALU_DEP_4)
	v_dual_add_f32 v3, v3, v163 :: v_dual_mul_f32 v4, v149, v125
	v_dual_fmac_f32 v165, v147, v122 :: v_dual_fmac_f32 v166, v149, v124
	s_delay_alu instid0(VALU_DEP_4) | instskip(NEXT) | instid1(VALU_DEP_3)
	v_fma_f32 v5, v146, v122, -v5
	v_dual_add_f32 v2, v2, v6 :: v_dual_add_f32 v3, v3, v164
	v_mul_f32_e32 v6, v155, v151
	v_fma_f32 v4, v148, v124, -v4
	s_delay_alu instid0(VALU_DEP_3) | instskip(NEXT) | instid1(VALU_DEP_4)
	v_dual_fmac_f32 v167, v155, v150 :: v_dual_add_f32 v2, v2, v5
	v_add_f32_e32 v3, v3, v165
	s_delay_alu instid0(VALU_DEP_4) | instskip(NEXT) | instid1(VALU_DEP_2)
	v_fma_f32 v5, v154, v150, -v6
	v_dual_add_f32 v2, v2, v4 :: v_dual_add_f32 v3, v3, v166
	s_delay_alu instid0(VALU_DEP_1) | instskip(SKIP_1) | instid1(VALU_DEP_1)
	v_dual_add_f32 v2, v2, v5 :: v_dual_add_f32 v3, v3, v167
	s_wait_loadcnt 0x0
	v_dual_sub_f32 v2, v152, v2 :: v_dual_sub_f32 v3, v153, v3
	scratch_store_b64 off, v[2:3], off offset:280
	v_cmpx_lt_u32_e32 34, v0
	s_cbranch_execz .LBB48_239
; %bb.238:
	scratch_load_b64 v[3:4], off, off offset:272
	v_mov_b32_e32 v2, v1
	scratch_store_b64 off, v[1:2], off offset:272
	s_wait_loadcnt 0x0
	ds_store_b64 v23, v[3:4]
.LBB48_239:
	s_wait_alu 0xfffe
	s_or_b32 exec_lo, exec_lo, s0
	s_wait_storecnt_dscnt 0x0
	s_barrier_signal -1
	s_barrier_wait -1
	global_inv scope:SCOPE_SE
	s_clause 0x7
	scratch_load_b128 v[2:5], off, off offset:280
	scratch_load_b128 v[6:9], off, off offset:296
	;; [unrolled: 1-line block ×7, first 2 shown]
	scratch_load_b64 v[158:159], off, off offset:272
	ds_load_2addr_b64 v[130:133], v1 offset0:85 offset1:86
	ds_load_2addr_b64 v[134:137], v1 offset0:87 offset1:88
	;; [unrolled: 1-line block ×7, first 2 shown]
	s_mov_b32 s0, exec_lo
	s_wait_loadcnt_dscnt 0x706
	v_dual_mul_f32 v1, v130, v3 :: v_dual_mul_f32 v22, v132, v5
	v_mul_f32_e32 v3, v131, v3
	s_wait_loadcnt_dscnt 0x605
	v_dual_mul_f32 v5, v133, v5 :: v_dual_mul_f32 v160, v134, v7
	s_delay_alu instid0(VALU_DEP_3) | instskip(NEXT) | instid1(VALU_DEP_3)
	v_dual_mul_f32 v161, v136, v9 :: v_dual_fmac_f32 v22, v133, v4
	v_fma_f32 v3, v130, v2, -v3
	v_fmac_f32_e32 v1, v131, v2
	v_mul_f32_e32 v2, v135, v7
	v_fma_f32 v4, v132, v4, -v5
	s_delay_alu instid0(VALU_DEP_4)
	v_dual_fmac_f32 v160, v135, v6 :: v_dual_add_f32 v3, 0, v3
	s_wait_loadcnt_dscnt 0x302
	v_dual_mul_f32 v166, v146, v19 :: v_dual_mul_f32 v167, v148, v21
	v_fma_f32 v2, v134, v6, -v2
	v_dual_mul_f32 v162, v138, v11 :: v_dual_mul_f32 v163, v140, v13
	v_add_f32_e32 v3, v3, v4
	v_dual_mul_f32 v5, v137, v9 :: v_dual_mul_f32 v164, v142, v15
	v_dual_mul_f32 v165, v144, v17 :: v_dual_mul_f32 v4, v139, v11
	s_delay_alu instid0(VALU_DEP_3) | instskip(NEXT) | instid1(VALU_DEP_3)
	v_add_f32_e32 v2, v3, v2
	v_fma_f32 v5, v136, v8, -v5
	v_dual_mul_f32 v3, v141, v13 :: v_dual_fmac_f32 v166, v147, v18
	s_delay_alu instid0(VALU_DEP_4) | instskip(SKIP_1) | instid1(VALU_DEP_4)
	v_fma_f32 v4, v138, v10, -v4
	v_dual_fmac_f32 v161, v137, v8 :: v_dual_fmac_f32 v162, v139, v10
	v_add_f32_e32 v2, v2, v5
	v_add_f32_e32 v1, 0, v1
	v_fma_f32 v3, v140, v12, -v3
	v_fmac_f32_e32 v164, v143, v14
	s_wait_loadcnt_dscnt 0x201
	v_dual_mul_f32 v168, v150, v123 :: v_dual_mul_f32 v169, v152, v125
	v_dual_add_f32 v1, v1, v22 :: v_dual_add_f32 v2, v2, v4
	v_mul_f32_e32 v4, v145, v17
	s_wait_loadcnt_dscnt 0x100
	v_dual_mul_f32 v170, v154, v127 :: v_dual_mul_f32 v171, v156, v129
	s_delay_alu instid0(VALU_DEP_3) | instskip(NEXT) | instid1(VALU_DEP_3)
	v_dual_add_f32 v1, v1, v160 :: v_dual_add_f32 v2, v2, v3
	v_fma_f32 v4, v144, v16, -v4
	v_mul_f32_e32 v5, v143, v15
	v_fmac_f32_e32 v169, v153, v124
	s_delay_alu instid0(VALU_DEP_4) | instskip(SKIP_1) | instid1(VALU_DEP_4)
	v_add_f32_e32 v1, v1, v161
	v_dual_fmac_f32 v171, v157, v128 :: v_dual_fmac_f32 v168, v151, v122
	v_fma_f32 v5, v142, v14, -v5
	v_fmac_f32_e32 v163, v141, v12
	s_delay_alu instid0(VALU_DEP_4) | instskip(SKIP_1) | instid1(VALU_DEP_4)
	v_add_f32_e32 v1, v1, v162
	v_fmac_f32_e32 v170, v155, v126
	v_add_f32_e32 v2, v2, v5
	s_delay_alu instid0(VALU_DEP_1) | instskip(SKIP_2) | instid1(VALU_DEP_2)
	v_add_f32_e32 v2, v2, v4
	v_mul_f32_e32 v4, v151, v123
	v_add_f32_e32 v1, v1, v163
	v_fma_f32 v4, v150, v122, -v4
	v_mul_f32_e32 v5, v149, v21
	s_delay_alu instid0(VALU_DEP_3) | instskip(NEXT) | instid1(VALU_DEP_2)
	v_add_f32_e32 v1, v1, v164
	v_fma_f32 v5, v148, v20, -v5
	v_mul_f32_e32 v3, v147, v19
	s_delay_alu instid0(VALU_DEP_1) | instskip(NEXT) | instid1(VALU_DEP_1)
	v_fma_f32 v3, v146, v18, -v3
	v_dual_fmac_f32 v165, v145, v16 :: v_dual_add_f32 v2, v2, v3
	v_mul_f32_e32 v3, v153, v125
	s_delay_alu instid0(VALU_DEP_2) | instskip(NEXT) | instid1(VALU_DEP_2)
	v_dual_add_f32 v2, v2, v5 :: v_dual_mul_f32 v5, v155, v127
	v_fma_f32 v3, v152, v124, -v3
	s_delay_alu instid0(VALU_DEP_2) | instskip(SKIP_1) | instid1(VALU_DEP_4)
	v_dual_add_f32 v2, v2, v4 :: v_dual_add_f32 v1, v1, v165
	v_mul_f32_e32 v4, v157, v129
	v_fma_f32 v5, v154, v126, -v5
	s_delay_alu instid0(VALU_DEP_3) | instskip(NEXT) | instid1(VALU_DEP_3)
	v_dual_add_f32 v2, v2, v3 :: v_dual_fmac_f32 v167, v149, v20
	v_fma_f32 v3, v156, v128, -v4
	s_delay_alu instid0(VALU_DEP_2) | instskip(NEXT) | instid1(VALU_DEP_1)
	v_dual_add_f32 v2, v2, v5 :: v_dual_add_f32 v1, v1, v166
	v_add_f32_e32 v2, v2, v3
	s_delay_alu instid0(VALU_DEP_2) | instskip(NEXT) | instid1(VALU_DEP_1)
	v_add_f32_e32 v1, v1, v167
	v_add_f32_e32 v1, v1, v168
	s_delay_alu instid0(VALU_DEP_1) | instskip(NEXT) | instid1(VALU_DEP_1)
	v_add_f32_e32 v1, v1, v169
	v_add_f32_e32 v1, v1, v170
	s_delay_alu instid0(VALU_DEP_1) | instskip(SKIP_1) | instid1(VALU_DEP_1)
	v_add_f32_e32 v3, v1, v171
	s_wait_loadcnt 0x0
	v_dual_sub_f32 v1, v158, v2 :: v_dual_sub_f32 v2, v159, v3
	scratch_store_b64 off, v[1:2], off offset:272
	v_cmpx_lt_u32_e32 33, v0
	s_cbranch_execz .LBB48_241
; %bb.240:
	scratch_load_b64 v[1:2], off, off offset:264
	v_mov_b32_e32 v3, 0
	s_delay_alu instid0(VALU_DEP_1)
	v_mov_b32_e32 v4, v3
	scratch_store_b64 off, v[3:4], off offset:264
	s_wait_loadcnt 0x0
	ds_store_b64 v23, v[1:2]
.LBB48_241:
	s_wait_alu 0xfffe
	s_or_b32 exec_lo, exec_lo, s0
	s_wait_storecnt_dscnt 0x0
	s_barrier_signal -1
	s_barrier_wait -1
	global_inv scope:SCOPE_SE
	s_clause 0x8
	scratch_load_b128 v[2:5], off, off offset:272
	scratch_load_b128 v[6:9], off, off offset:288
	;; [unrolled: 1-line block ×7, first 2 shown]
	scratch_load_b64 v[158:159], off, off offset:384
	scratch_load_b64 v[160:161], off, off offset:264
	v_mov_b32_e32 v1, 0
	ds_load_b128 v[130:133], v1 offset:672
	ds_load_b128 v[134:137], v1 offset:688
	;; [unrolled: 1-line block ×7, first 2 shown]
	ds_load_b64 v[162:163], v1 offset:784
	s_mov_b32 s0, exec_lo
	s_wait_loadcnt_dscnt 0x807
	v_mul_f32_e32 v22, v130, v3
	v_dual_mul_f32 v3, v131, v3 :: v_dual_mul_f32 v164, v132, v5
	s_wait_loadcnt_dscnt 0x706
	v_mul_f32_e32 v165, v134, v7
	v_mul_f32_e32 v5, v133, v5
	s_wait_loadcnt_dscnt 0x302
	v_mul_f32_e32 v174, v152, v125
	v_fma_f32 v3, v130, v2, -v3
	s_wait_loadcnt_dscnt 0x100
	v_dual_mul_f32 v177, v162, v159 :: v_dual_fmac_f32 v22, v131, v2
	v_mul_f32_e32 v2, v135, v7
	s_delay_alu instid0(VALU_DEP_3) | instskip(SKIP_4) | instid1(VALU_DEP_4)
	v_dual_fmac_f32 v164, v133, v4 :: v_dual_add_f32 v3, 0, v3
	v_fma_f32 v4, v132, v4, -v5
	v_dual_mul_f32 v166, v136, v9 :: v_dual_mul_f32 v167, v138, v11
	v_add_f32_e32 v5, 0, v22
	v_fma_f32 v2, v134, v6, -v2
	v_add_f32_e32 v3, v3, v4
	v_mul_f32_e32 v7, v137, v9
	v_dual_fmac_f32 v166, v137, v8 :: v_dual_fmac_f32 v165, v135, v6
	v_add_f32_e32 v4, v5, v164
	s_delay_alu instid0(VALU_DEP_4) | instskip(NEXT) | instid1(VALU_DEP_4)
	v_add_f32_e32 v2, v3, v2
	v_fma_f32 v6, v136, v8, -v7
	v_dual_mul_f32 v5, v139, v11 :: v_dual_mul_f32 v168, v140, v13
	v_mul_f32_e32 v169, v142, v15
	v_add_f32_e32 v3, v4, v165
	v_mul_f32_e32 v4, v141, v13
	v_add_f32_e32 v2, v2, v6
	v_fma_f32 v5, v138, v10, -v5
	v_dual_fmac_f32 v167, v139, v10 :: v_dual_fmac_f32 v168, v141, v12
	v_mul_f32_e32 v6, v143, v15
	s_delay_alu instid0(VALU_DEP_3) | instskip(SKIP_2) | instid1(VALU_DEP_4)
	v_dual_add_f32 v3, v3, v166 :: v_dual_add_f32 v2, v2, v5
	v_fma_f32 v4, v140, v12, -v4
	v_mul_f32_e32 v5, v145, v17
	v_fma_f32 v6, v142, v14, -v6
	s_delay_alu instid0(VALU_DEP_4) | instskip(SKIP_3) | instid1(VALU_DEP_4)
	v_dual_add_f32 v3, v3, v167 :: v_dual_mul_f32 v170, v144, v17
	v_mul_f32_e32 v171, v146, v19
	v_add_f32_e32 v2, v2, v4
	v_dual_mul_f32 v172, v148, v21 :: v_dual_mul_f32 v173, v150, v123
	v_dual_fmac_f32 v169, v143, v14 :: v_dual_fmac_f32 v170, v145, v16
	s_delay_alu instid0(VALU_DEP_3) | instskip(SKIP_3) | instid1(VALU_DEP_4)
	v_dual_add_f32 v3, v3, v168 :: v_dual_add_f32 v2, v2, v6
	v_mul_f32_e32 v4, v147, v19
	v_fma_f32 v5, v144, v16, -v5
	v_dual_mul_f32 v6, v149, v21 :: v_dual_fmac_f32 v171, v147, v18
	v_dual_add_f32 v3, v3, v169 :: v_dual_fmac_f32 v172, v149, v20
	s_delay_alu instid0(VALU_DEP_4) | instskip(NEXT) | instid1(VALU_DEP_4)
	v_fma_f32 v4, v146, v18, -v4
	v_add_f32_e32 v2, v2, v5
	s_delay_alu instid0(VALU_DEP_4) | instskip(NEXT) | instid1(VALU_DEP_4)
	v_fma_f32 v6, v148, v20, -v6
	v_add_f32_e32 v3, v3, v170
	v_mul_f32_e32 v5, v151, v123
	v_dual_mul_f32 v175, v154, v127 :: v_dual_mul_f32 v176, v156, v129
	s_delay_alu instid0(VALU_DEP_3) | instskip(SKIP_1) | instid1(VALU_DEP_4)
	v_dual_add_f32 v2, v2, v4 :: v_dual_add_f32 v3, v3, v171
	v_mul_f32_e32 v4, v153, v125
	v_fma_f32 v5, v150, v122, -v5
	v_dual_fmac_f32 v173, v151, v122 :: v_dual_fmac_f32 v174, v153, v124
	s_delay_alu instid0(VALU_DEP_4) | instskip(SKIP_2) | instid1(VALU_DEP_3)
	v_dual_add_f32 v2, v2, v6 :: v_dual_add_f32 v3, v3, v172
	v_mul_f32_e32 v6, v155, v127
	v_fma_f32 v4, v152, v124, -v4
	v_dual_fmac_f32 v175, v155, v126 :: v_dual_add_f32 v2, v2, v5
	s_delay_alu instid0(VALU_DEP_4) | instskip(SKIP_3) | instid1(VALU_DEP_4)
	v_add_f32_e32 v3, v3, v173
	v_mul_f32_e32 v5, v157, v129
	v_fma_f32 v6, v154, v126, -v6
	v_fmac_f32_e32 v176, v157, v128
	v_dual_add_f32 v2, v2, v4 :: v_dual_add_f32 v3, v3, v174
	v_mul_f32_e32 v4, v163, v159
	v_fma_f32 v5, v156, v128, -v5
	s_delay_alu instid0(VALU_DEP_3) | instskip(SKIP_1) | instid1(VALU_DEP_4)
	v_dual_add_f32 v2, v2, v6 :: v_dual_add_f32 v3, v3, v175
	v_fmac_f32_e32 v177, v163, v158
	v_fma_f32 v4, v162, v158, -v4
	s_delay_alu instid0(VALU_DEP_3) | instskip(NEXT) | instid1(VALU_DEP_1)
	v_add_f32_e32 v2, v2, v5
	v_add_f32_e32 v2, v2, v4
	s_wait_loadcnt 0x0
	s_delay_alu instid0(VALU_DEP_1) | instskip(NEXT) | instid1(VALU_DEP_1)
	v_dual_add_f32 v3, v3, v176 :: v_dual_sub_f32 v2, v160, v2
	v_add_f32_e32 v3, v3, v177
	s_delay_alu instid0(VALU_DEP_1)
	v_sub_f32_e32 v3, v161, v3
	scratch_store_b64 off, v[2:3], off offset:264
	v_cmpx_lt_u32_e32 32, v0
	s_cbranch_execz .LBB48_243
; %bb.242:
	scratch_load_b64 v[3:4], off, off offset:256
	v_mov_b32_e32 v2, v1
	scratch_store_b64 off, v[1:2], off offset:256
	s_wait_loadcnt 0x0
	ds_store_b64 v23, v[3:4]
.LBB48_243:
	s_wait_alu 0xfffe
	s_or_b32 exec_lo, exec_lo, s0
	s_wait_storecnt_dscnt 0x0
	s_barrier_signal -1
	s_barrier_wait -1
	global_inv scope:SCOPE_SE
	s_clause 0x8
	scratch_load_b128 v[2:5], off, off offset:264
	scratch_load_b128 v[6:9], off, off offset:280
	;; [unrolled: 1-line block ×8, first 2 shown]
	scratch_load_b64 v[166:167], off, off offset:256
	ds_load_2addr_b64 v[134:137], v1 offset0:83 offset1:84
	ds_load_2addr_b64 v[138:141], v1 offset0:85 offset1:86
	;; [unrolled: 1-line block ×8, first 2 shown]
	s_mov_b32 s0, exec_lo
	s_wait_loadcnt_dscnt 0x807
	v_dual_mul_f32 v1, v134, v3 :: v_dual_mul_f32 v22, v136, v5
	v_mul_f32_e32 v3, v135, v3
	s_wait_loadcnt_dscnt 0x706
	v_dual_mul_f32 v5, v137, v5 :: v_dual_mul_f32 v168, v138, v7
	s_delay_alu instid0(VALU_DEP_3) | instskip(NEXT) | instid1(VALU_DEP_3)
	v_dual_mul_f32 v169, v140, v9 :: v_dual_fmac_f32 v22, v137, v4
	v_fma_f32 v3, v134, v2, -v3
	v_fmac_f32_e32 v1, v135, v2
	v_mul_f32_e32 v2, v139, v7
	v_fma_f32 v4, v136, v4, -v5
	s_delay_alu instid0(VALU_DEP_4)
	v_dual_fmac_f32 v168, v139, v6 :: v_dual_add_f32 v3, 0, v3
	s_wait_loadcnt_dscnt 0x403
	v_dual_mul_f32 v174, v150, v19 :: v_dual_mul_f32 v175, v152, v21
	v_fma_f32 v2, v138, v6, -v2
	v_dual_mul_f32 v170, v142, v11 :: v_dual_mul_f32 v171, v144, v13
	v_add_f32_e32 v3, v3, v4
	v_dual_mul_f32 v5, v141, v9 :: v_dual_mul_f32 v172, v146, v15
	v_dual_mul_f32 v173, v148, v17 :: v_dual_mul_f32 v4, v143, v11
	s_delay_alu instid0(VALU_DEP_3) | instskip(NEXT) | instid1(VALU_DEP_3)
	v_add_f32_e32 v2, v3, v2
	v_fma_f32 v5, v140, v8, -v5
	v_dual_mul_f32 v3, v145, v13 :: v_dual_fmac_f32 v174, v151, v18
	s_delay_alu instid0(VALU_DEP_4) | instskip(SKIP_1) | instid1(VALU_DEP_4)
	v_fma_f32 v4, v142, v10, -v4
	v_dual_fmac_f32 v169, v141, v8 :: v_dual_fmac_f32 v170, v143, v10
	v_add_f32_e32 v2, v2, v5
	v_add_f32_e32 v1, 0, v1
	v_fma_f32 v3, v144, v12, -v3
	v_fmac_f32_e32 v172, v147, v14
	s_wait_loadcnt_dscnt 0x302
	v_dual_mul_f32 v176, v154, v123 :: v_dual_mul_f32 v177, v156, v125
	v_dual_add_f32 v1, v1, v22 :: v_dual_add_f32 v2, v2, v4
	v_mul_f32_e32 v4, v149, v17
	s_wait_loadcnt_dscnt 0x100
	v_dual_mul_f32 v180, v162, v131 :: v_dual_mul_f32 v181, v164, v133
	s_delay_alu instid0(VALU_DEP_3) | instskip(NEXT) | instid1(VALU_DEP_3)
	v_dual_add_f32 v1, v1, v168 :: v_dual_add_f32 v2, v2, v3
	v_fma_f32 v4, v148, v16, -v4
	v_mul_f32_e32 v5, v147, v15
	v_dual_mul_f32 v178, v158, v127 :: v_dual_mul_f32 v179, v160, v129
	s_delay_alu instid0(VALU_DEP_4) | instskip(SKIP_1) | instid1(VALU_DEP_4)
	v_add_f32_e32 v1, v1, v169
	v_fmac_f32_e32 v181, v165, v132
	v_fma_f32 v5, v146, v14, -v5
	v_dual_fmac_f32 v171, v145, v12 :: v_dual_fmac_f32 v176, v155, v122
	s_delay_alu instid0(VALU_DEP_4) | instskip(NEXT) | instid1(VALU_DEP_3)
	v_add_f32_e32 v1, v1, v170
	v_dual_fmac_f32 v179, v161, v128 :: v_dual_add_f32 v2, v2, v5
	v_fmac_f32_e32 v178, v159, v126
	v_fmac_f32_e32 v180, v163, v130
	s_delay_alu instid0(VALU_DEP_3) | instskip(SKIP_2) | instid1(VALU_DEP_2)
	v_add_f32_e32 v2, v2, v4
	v_mul_f32_e32 v4, v155, v123
	v_add_f32_e32 v1, v1, v171
	v_fma_f32 v4, v154, v122, -v4
	v_mul_f32_e32 v5, v153, v21
	s_delay_alu instid0(VALU_DEP_3) | instskip(NEXT) | instid1(VALU_DEP_2)
	v_add_f32_e32 v1, v1, v172
	v_fma_f32 v5, v152, v20, -v5
	v_mul_f32_e32 v3, v151, v19
	s_delay_alu instid0(VALU_DEP_1) | instskip(NEXT) | instid1(VALU_DEP_1)
	v_fma_f32 v3, v150, v18, -v3
	v_dual_fmac_f32 v173, v149, v16 :: v_dual_add_f32 v2, v2, v3
	v_mul_f32_e32 v3, v157, v125
	s_delay_alu instid0(VALU_DEP_2) | instskip(NEXT) | instid1(VALU_DEP_2)
	v_dual_add_f32 v2, v2, v5 :: v_dual_mul_f32 v5, v159, v127
	v_fma_f32 v3, v156, v124, -v3
	s_delay_alu instid0(VALU_DEP_2) | instskip(SKIP_1) | instid1(VALU_DEP_4)
	v_dual_add_f32 v2, v2, v4 :: v_dual_add_f32 v1, v1, v173
	v_mul_f32_e32 v4, v161, v129
	v_fma_f32 v5, v158, v126, -v5
	s_delay_alu instid0(VALU_DEP_3) | instskip(SKIP_1) | instid1(VALU_DEP_4)
	v_dual_add_f32 v2, v2, v3 :: v_dual_fmac_f32 v175, v153, v20
	v_mul_f32_e32 v3, v163, v131
	v_fma_f32 v4, v160, v128, -v4
	s_delay_alu instid0(VALU_DEP_3) | instskip(SKIP_1) | instid1(VALU_DEP_4)
	v_dual_add_f32 v2, v2, v5 :: v_dual_add_f32 v1, v1, v174
	v_mul_f32_e32 v5, v165, v133
	v_fma_f32 v3, v162, v130, -v3
	s_delay_alu instid0(VALU_DEP_3) | instskip(SKIP_1) | instid1(VALU_DEP_4)
	v_add_f32_e32 v2, v2, v4
	v_fmac_f32_e32 v177, v157, v124
	v_fma_f32 v4, v164, v132, -v5
	s_delay_alu instid0(VALU_DEP_3) | instskip(NEXT) | instid1(VALU_DEP_1)
	v_add_f32_e32 v2, v2, v3
	v_dual_add_f32 v1, v1, v175 :: v_dual_add_f32 v2, v2, v4
	s_delay_alu instid0(VALU_DEP_1) | instskip(NEXT) | instid1(VALU_DEP_1)
	v_add_f32_e32 v1, v1, v176
	v_add_f32_e32 v1, v1, v177
	s_delay_alu instid0(VALU_DEP_1) | instskip(NEXT) | instid1(VALU_DEP_1)
	v_add_f32_e32 v1, v1, v178
	v_add_f32_e32 v1, v1, v179
	;; [unrolled: 3-line block ×3, first 2 shown]
	s_wait_loadcnt 0x0
	s_delay_alu instid0(VALU_DEP_1)
	v_dual_sub_f32 v1, v166, v2 :: v_dual_sub_f32 v2, v167, v3
	scratch_store_b64 off, v[1:2], off offset:256
	v_cmpx_lt_u32_e32 31, v0
	s_cbranch_execz .LBB48_245
; %bb.244:
	scratch_load_b64 v[1:2], off, off offset:248
	v_mov_b32_e32 v3, 0
	s_delay_alu instid0(VALU_DEP_1)
	v_mov_b32_e32 v4, v3
	scratch_store_b64 off, v[3:4], off offset:248
	s_wait_loadcnt 0x0
	ds_store_b64 v23, v[1:2]
.LBB48_245:
	s_wait_alu 0xfffe
	s_or_b32 exec_lo, exec_lo, s0
	s_wait_storecnt_dscnt 0x0
	s_barrier_signal -1
	s_barrier_wait -1
	global_inv scope:SCOPE_SE
	s_clause 0x9
	scratch_load_b128 v[2:5], off, off offset:256
	scratch_load_b128 v[6:9], off, off offset:272
	;; [unrolled: 1-line block ×8, first 2 shown]
	scratch_load_b64 v[166:167], off, off offset:384
	scratch_load_b64 v[168:169], off, off offset:248
	v_mov_b32_e32 v1, 0
	ds_load_b128 v[134:137], v1 offset:656
	ds_load_b128 v[138:141], v1 offset:672
	;; [unrolled: 1-line block ×8, first 2 shown]
	ds_load_b64 v[170:171], v1 offset:784
	s_mov_b32 s0, exec_lo
	s_wait_loadcnt_dscnt 0x908
	v_mul_f32_e32 v22, v134, v3
	s_wait_loadcnt_dscnt 0x807
	v_dual_mul_f32 v172, v136, v5 :: v_dual_mul_f32 v173, v138, v7
	v_mul_f32_e32 v3, v135, v3
	s_delay_alu instid0(VALU_DEP_3)
	v_dual_mul_f32 v5, v137, v5 :: v_dual_fmac_f32 v22, v135, v2
	s_wait_loadcnt_dscnt 0x302
	v_mul_f32_e32 v184, v160, v129
	v_dual_mul_f32 v174, v140, v9 :: v_dual_mul_f32 v175, v142, v11
	s_wait_loadcnt_dscnt 0x100
	v_mul_f32_e32 v187, v170, v167
	v_fma_f32 v3, v134, v2, -v3
	v_mul_f32_e32 v2, v139, v7
	v_fmac_f32_e32 v172, v137, v4
	v_fma_f32 v4, v136, v4, -v5
	v_dual_add_f32 v5, 0, v22 :: v_dual_fmac_f32 v174, v141, v8
	v_add_f32_e32 v3, 0, v3
	v_fmac_f32_e32 v173, v139, v6
	v_fma_f32 v2, v138, v6, -v2
	v_dual_mul_f32 v176, v144, v13 :: v_dual_mul_f32 v177, v146, v15
	s_delay_alu instid0(VALU_DEP_4) | instskip(SKIP_2) | instid1(VALU_DEP_4)
	v_add_f32_e32 v3, v3, v4
	v_mul_f32_e32 v7, v141, v9
	v_dual_add_f32 v4, v5, v172 :: v_dual_fmac_f32 v175, v143, v10
	v_fmac_f32_e32 v176, v145, v12
	s_delay_alu instid0(VALU_DEP_4) | instskip(NEXT) | instid1(VALU_DEP_4)
	v_add_f32_e32 v2, v3, v2
	v_fma_f32 v6, v140, v8, -v7
	v_mul_f32_e32 v5, v143, v11
	v_add_f32_e32 v3, v4, v173
	v_mul_f32_e32 v4, v145, v13
	v_dual_mul_f32 v178, v148, v17 :: v_dual_mul_f32 v179, v150, v19
	v_add_f32_e32 v2, v2, v6
	v_fma_f32 v5, v142, v10, -v5
	v_mul_f32_e32 v6, v147, v15
	v_add_f32_e32 v3, v3, v174
	v_fma_f32 v4, v144, v12, -v4
	v_dual_fmac_f32 v177, v147, v14 :: v_dual_fmac_f32 v178, v149, v16
	s_delay_alu instid0(VALU_DEP_3) | instskip(SKIP_3) | instid1(VALU_DEP_4)
	v_dual_add_f32 v2, v2, v5 :: v_dual_add_f32 v3, v3, v175
	v_mul_f32_e32 v5, v149, v17
	v_fma_f32 v6, v146, v14, -v6
	v_dual_mul_f32 v180, v152, v21 :: v_dual_mul_f32 v181, v154, v123
	v_add_f32_e32 v2, v2, v4
	v_add_f32_e32 v3, v3, v176
	v_mul_f32_e32 v4, v151, v19
	v_fma_f32 v5, v148, v16, -v5
	v_fmac_f32_e32 v179, v151, v18
	s_delay_alu instid0(VALU_DEP_4) | instskip(SKIP_3) | instid1(VALU_DEP_4)
	v_dual_add_f32 v2, v2, v6 :: v_dual_add_f32 v3, v3, v177
	v_fmac_f32_e32 v180, v153, v20
	v_mul_f32_e32 v6, v153, v21
	v_fma_f32 v4, v150, v18, -v4
	v_dual_add_f32 v2, v2, v5 :: v_dual_add_f32 v3, v3, v178
	v_mul_f32_e32 v5, v155, v123
	s_delay_alu instid0(VALU_DEP_4) | instskip(SKIP_1) | instid1(VALU_DEP_4)
	v_fma_f32 v6, v152, v20, -v6
	v_dual_mul_f32 v182, v156, v125 :: v_dual_mul_f32 v183, v158, v127
	v_dual_add_f32 v2, v2, v4 :: v_dual_add_f32 v3, v3, v179
	v_dual_mul_f32 v4, v157, v125 :: v_dual_fmac_f32 v181, v155, v122
	s_delay_alu instid0(VALU_DEP_3) | instskip(SKIP_1) | instid1(VALU_DEP_4)
	v_fmac_f32_e32 v182, v157, v124
	v_fma_f32 v5, v154, v122, -v5
	v_dual_add_f32 v2, v2, v6 :: v_dual_add_f32 v3, v3, v180
	v_mul_f32_e32 v6, v159, v127
	v_fma_f32 v4, v156, v124, -v4
	s_delay_alu instid0(VALU_DEP_3) | instskip(NEXT) | instid1(VALU_DEP_4)
	v_dual_fmac_f32 v183, v159, v126 :: v_dual_add_f32 v2, v2, v5
	v_add_f32_e32 v3, v3, v181
	v_mul_f32_e32 v5, v161, v129
	v_fma_f32 v6, v158, v126, -v6
	v_dual_mul_f32 v185, v162, v131 :: v_dual_mul_f32 v186, v164, v133
	s_delay_alu instid0(VALU_DEP_4) | instskip(SKIP_3) | instid1(VALU_DEP_4)
	v_dual_add_f32 v2, v2, v4 :: v_dual_add_f32 v3, v3, v182
	v_fmac_f32_e32 v184, v161, v128
	v_mul_f32_e32 v4, v163, v131
	v_fma_f32 v5, v160, v128, -v5
	v_dual_add_f32 v2, v2, v6 :: v_dual_add_f32 v3, v3, v183
	v_dual_mul_f32 v6, v165, v133 :: v_dual_fmac_f32 v185, v163, v130
	s_delay_alu instid0(VALU_DEP_4) | instskip(NEXT) | instid1(VALU_DEP_3)
	v_fma_f32 v4, v162, v130, -v4
	v_dual_add_f32 v2, v2, v5 :: v_dual_add_f32 v3, v3, v184
	v_dual_mul_f32 v5, v171, v167 :: v_dual_fmac_f32 v186, v165, v132
	s_delay_alu instid0(VALU_DEP_4) | instskip(NEXT) | instid1(VALU_DEP_3)
	v_fma_f32 v6, v164, v132, -v6
	v_dual_add_f32 v2, v2, v4 :: v_dual_add_f32 v3, v3, v185
	s_delay_alu instid0(VALU_DEP_3) | instskip(NEXT) | instid1(VALU_DEP_2)
	v_fma_f32 v4, v170, v166, -v5
	v_add_f32_e32 v3, v3, v186
	s_delay_alu instid0(VALU_DEP_3) | instskip(NEXT) | instid1(VALU_DEP_1)
	v_add_f32_e32 v2, v2, v6
	v_dual_fmac_f32 v187, v171, v166 :: v_dual_add_f32 v2, v2, v4
	s_wait_loadcnt 0x0
	s_delay_alu instid0(VALU_DEP_1) | instskip(NEXT) | instid1(VALU_DEP_1)
	v_dual_add_f32 v3, v3, v187 :: v_dual_sub_f32 v2, v168, v2
	v_sub_f32_e32 v3, v169, v3
	scratch_store_b64 off, v[2:3], off offset:248
	v_cmpx_lt_u32_e32 30, v0
	s_cbranch_execz .LBB48_247
; %bb.246:
	scratch_load_b64 v[3:4], off, off offset:240
	v_mov_b32_e32 v2, v1
	scratch_store_b64 off, v[1:2], off offset:240
	s_wait_loadcnt 0x0
	ds_store_b64 v23, v[3:4]
.LBB48_247:
	s_wait_alu 0xfffe
	s_or_b32 exec_lo, exec_lo, s0
	s_wait_storecnt_dscnt 0x0
	s_barrier_signal -1
	s_barrier_wait -1
	global_inv scope:SCOPE_SE
	s_clause 0x9
	scratch_load_b128 v[2:5], off, off offset:248
	scratch_load_b128 v[6:9], off, off offset:264
	;; [unrolled: 1-line block ×9, first 2 shown]
	scratch_load_b64 v[174:175], off, off offset:240
	ds_load_2addr_b64 v[138:141], v1 offset0:81 offset1:82
	ds_load_2addr_b64 v[142:145], v1 offset0:83 offset1:84
	;; [unrolled: 1-line block ×9, first 2 shown]
	s_mov_b32 s0, exec_lo
	s_wait_loadcnt_dscnt 0x908
	v_dual_mul_f32 v1, v138, v3 :: v_dual_mul_f32 v22, v140, v5
	v_mul_f32_e32 v3, v139, v3
	s_wait_loadcnt_dscnt 0x807
	v_dual_mul_f32 v5, v141, v5 :: v_dual_mul_f32 v176, v142, v7
	s_delay_alu instid0(VALU_DEP_3) | instskip(NEXT) | instid1(VALU_DEP_3)
	v_dual_mul_f32 v177, v144, v9 :: v_dual_fmac_f32 v22, v141, v4
	v_fma_f32 v3, v138, v2, -v3
	v_fmac_f32_e32 v1, v139, v2
	v_mul_f32_e32 v2, v143, v7
	v_fma_f32 v4, v140, v4, -v5
	s_delay_alu instid0(VALU_DEP_4)
	v_dual_fmac_f32 v176, v143, v6 :: v_dual_add_f32 v3, 0, v3
	s_wait_loadcnt_dscnt 0x504
	v_dual_mul_f32 v182, v154, v19 :: v_dual_mul_f32 v183, v156, v21
	v_fma_f32 v2, v142, v6, -v2
	v_dual_mul_f32 v178, v146, v11 :: v_dual_mul_f32 v179, v148, v13
	v_add_f32_e32 v3, v3, v4
	v_dual_mul_f32 v5, v145, v9 :: v_dual_mul_f32 v180, v150, v15
	v_dual_mul_f32 v181, v152, v17 :: v_dual_mul_f32 v4, v147, v11
	s_delay_alu instid0(VALU_DEP_3) | instskip(NEXT) | instid1(VALU_DEP_3)
	v_add_f32_e32 v2, v3, v2
	v_fma_f32 v5, v144, v8, -v5
	v_dual_mul_f32 v3, v149, v13 :: v_dual_fmac_f32 v182, v155, v18
	s_delay_alu instid0(VALU_DEP_4) | instskip(SKIP_1) | instid1(VALU_DEP_4)
	v_fma_f32 v4, v146, v10, -v4
	v_dual_fmac_f32 v177, v145, v8 :: v_dual_fmac_f32 v178, v147, v10
	v_add_f32_e32 v2, v2, v5
	v_add_f32_e32 v1, 0, v1
	v_fma_f32 v3, v148, v12, -v3
	v_fmac_f32_e32 v180, v151, v14
	s_wait_loadcnt_dscnt 0x403
	v_dual_mul_f32 v184, v158, v123 :: v_dual_mul_f32 v185, v160, v125
	v_dual_add_f32 v1, v1, v22 :: v_dual_add_f32 v2, v2, v4
	v_mul_f32_e32 v4, v153, v17
	s_wait_loadcnt_dscnt 0x201
	v_dual_mul_f32 v188, v166, v131 :: v_dual_mul_f32 v189, v168, v133
	s_delay_alu instid0(VALU_DEP_3) | instskip(NEXT) | instid1(VALU_DEP_3)
	v_dual_add_f32 v1, v1, v176 :: v_dual_add_f32 v2, v2, v3
	v_fma_f32 v4, v152, v16, -v4
	v_mul_f32_e32 v5, v151, v15
	v_dual_mul_f32 v186, v162, v127 :: v_dual_mul_f32 v187, v164, v129
	s_wait_loadcnt_dscnt 0x100
	v_dual_add_f32 v1, v1, v177 :: v_dual_mul_f32 v190, v170, v135
	v_mul_f32_e32 v191, v172, v137
	v_fma_f32 v5, v150, v14, -v5
	v_fmac_f32_e32 v179, v149, v12
	s_delay_alu instid0(VALU_DEP_4) | instskip(SKIP_1) | instid1(VALU_DEP_4)
	v_add_f32_e32 v1, v1, v178
	v_dual_fmac_f32 v184, v159, v122 :: v_dual_fmac_f32 v185, v161, v124
	v_add_f32_e32 v2, v2, v5
	v_dual_fmac_f32 v186, v163, v126 :: v_dual_fmac_f32 v189, v169, v132
	v_dual_fmac_f32 v191, v173, v136 :: v_dual_fmac_f32 v188, v167, v130
	s_delay_alu instid0(VALU_DEP_3) | instskip(SKIP_2) | instid1(VALU_DEP_2)
	v_add_f32_e32 v2, v2, v4
	v_mul_f32_e32 v4, v159, v123
	v_dual_add_f32 v1, v1, v179 :: v_dual_fmac_f32 v190, v171, v134
	v_fma_f32 v4, v158, v122, -v4
	v_mul_f32_e32 v5, v157, v21
	s_delay_alu instid0(VALU_DEP_3) | instskip(NEXT) | instid1(VALU_DEP_2)
	v_add_f32_e32 v1, v1, v180
	v_fma_f32 v5, v156, v20, -v5
	v_mul_f32_e32 v3, v155, v19
	s_delay_alu instid0(VALU_DEP_1) | instskip(NEXT) | instid1(VALU_DEP_1)
	v_fma_f32 v3, v154, v18, -v3
	v_dual_fmac_f32 v181, v153, v16 :: v_dual_add_f32 v2, v2, v3
	v_mul_f32_e32 v3, v161, v125
	s_delay_alu instid0(VALU_DEP_2) | instskip(NEXT) | instid1(VALU_DEP_2)
	v_dual_add_f32 v2, v2, v5 :: v_dual_mul_f32 v5, v163, v127
	v_fma_f32 v3, v160, v124, -v3
	s_delay_alu instid0(VALU_DEP_2) | instskip(SKIP_1) | instid1(VALU_DEP_4)
	v_dual_add_f32 v2, v2, v4 :: v_dual_add_f32 v1, v1, v181
	v_mul_f32_e32 v4, v165, v129
	v_fma_f32 v5, v162, v126, -v5
	s_delay_alu instid0(VALU_DEP_3) | instskip(NEXT) | instid1(VALU_DEP_3)
	v_dual_add_f32 v2, v2, v3 :: v_dual_fmac_f32 v183, v157, v20
	v_fma_f32 v4, v164, v128, -v4
	s_delay_alu instid0(VALU_DEP_2) | instskip(SKIP_1) | instid1(VALU_DEP_2)
	v_add_f32_e32 v2, v2, v5
	v_mul_f32_e32 v5, v169, v133
	v_dual_add_f32 v1, v1, v182 :: v_dual_add_f32 v2, v2, v4
	s_delay_alu instid0(VALU_DEP_2) | instskip(SKIP_1) | instid1(VALU_DEP_3)
	v_fma_f32 v5, v168, v132, -v5
	v_mul_f32_e32 v3, v167, v131
	v_add_f32_e32 v1, v1, v183
	v_mul_f32_e32 v4, v171, v135
	s_delay_alu instid0(VALU_DEP_3) | instskip(NEXT) | instid1(VALU_DEP_3)
	v_fma_f32 v3, v166, v130, -v3
	v_add_f32_e32 v1, v1, v184
	s_delay_alu instid0(VALU_DEP_3) | instskip(NEXT) | instid1(VALU_DEP_3)
	v_fma_f32 v4, v170, v134, -v4
	v_dual_add_f32 v2, v2, v3 :: v_dual_mul_f32 v3, v173, v137
	s_delay_alu instid0(VALU_DEP_1) | instskip(NEXT) | instid1(VALU_DEP_4)
	v_add_f32_e32 v2, v2, v5
	v_add_f32_e32 v1, v1, v185
	s_delay_alu instid0(VALU_DEP_3) | instskip(NEXT) | instid1(VALU_DEP_3)
	v_fma_f32 v3, v172, v136, -v3
	v_add_f32_e32 v2, v2, v4
	v_fmac_f32_e32 v187, v165, v128
	s_delay_alu instid0(VALU_DEP_2) | instskip(NEXT) | instid1(VALU_DEP_1)
	v_dual_add_f32 v1, v1, v186 :: v_dual_add_f32 v2, v2, v3
	v_add_f32_e32 v1, v1, v187
	s_delay_alu instid0(VALU_DEP_1) | instskip(NEXT) | instid1(VALU_DEP_1)
	v_add_f32_e32 v1, v1, v188
	v_add_f32_e32 v1, v1, v189
	s_delay_alu instid0(VALU_DEP_1) | instskip(NEXT) | instid1(VALU_DEP_1)
	v_add_f32_e32 v1, v1, v190
	v_add_f32_e32 v3, v1, v191
	s_wait_loadcnt 0x0
	s_delay_alu instid0(VALU_DEP_1)
	v_dual_sub_f32 v1, v174, v2 :: v_dual_sub_f32 v2, v175, v3
	scratch_store_b64 off, v[1:2], off offset:240
	v_cmpx_lt_u32_e32 29, v0
	s_cbranch_execz .LBB48_249
; %bb.248:
	scratch_load_b64 v[1:2], off, off offset:232
	v_mov_b32_e32 v3, 0
	s_delay_alu instid0(VALU_DEP_1)
	v_mov_b32_e32 v4, v3
	scratch_store_b64 off, v[3:4], off offset:232
	s_wait_loadcnt 0x0
	ds_store_b64 v23, v[1:2]
.LBB48_249:
	s_wait_alu 0xfffe
	s_or_b32 exec_lo, exec_lo, s0
	s_wait_storecnt_dscnt 0x0
	s_barrier_signal -1
	s_barrier_wait -1
	global_inv scope:SCOPE_SE
	s_clause 0xa
	scratch_load_b128 v[2:5], off, off offset:240
	scratch_load_b128 v[6:9], off, off offset:256
	;; [unrolled: 1-line block ×9, first 2 shown]
	scratch_load_b64 v[174:175], off, off offset:384
	scratch_load_b64 v[176:177], off, off offset:232
	v_mov_b32_e32 v1, 0
	ds_load_b128 v[138:141], v1 offset:640
	ds_load_b128 v[142:145], v1 offset:656
	;; [unrolled: 1-line block ×9, first 2 shown]
	ds_load_b64 v[178:179], v1 offset:784
	s_mov_b32 s0, exec_lo
	s_wait_loadcnt_dscnt 0xa09
	v_mul_f32_e32 v22, v138, v3
	s_wait_loadcnt_dscnt 0x908
	v_dual_mul_f32 v180, v140, v5 :: v_dual_mul_f32 v181, v142, v7
	v_mul_f32_e32 v3, v139, v3
	s_delay_alu instid0(VALU_DEP_3)
	v_dual_mul_f32 v5, v141, v5 :: v_dual_fmac_f32 v22, v139, v2
	s_wait_loadcnt_dscnt 0x807
	v_dual_mul_f32 v182, v144, v9 :: v_dual_mul_f32 v183, v146, v11
	s_wait_loadcnt_dscnt 0x100
	v_dual_mul_f32 v194, v168, v133 :: v_dual_mul_f32 v197, v178, v175
	v_fma_f32 v3, v138, v2, -v3
	v_mul_f32_e32 v2, v143, v7
	v_fmac_f32_e32 v180, v141, v4
	v_fma_f32 v4, v140, v4, -v5
	v_dual_add_f32 v5, 0, v22 :: v_dual_fmac_f32 v182, v145, v8
	v_add_f32_e32 v3, 0, v3
	v_fmac_f32_e32 v181, v143, v6
	v_fma_f32 v2, v142, v6, -v2
	v_dual_mul_f32 v184, v148, v13 :: v_dual_mul_f32 v185, v150, v15
	s_delay_alu instid0(VALU_DEP_4) | instskip(SKIP_2) | instid1(VALU_DEP_4)
	v_add_f32_e32 v3, v3, v4
	v_mul_f32_e32 v7, v145, v9
	v_dual_add_f32 v4, v5, v180 :: v_dual_fmac_f32 v183, v147, v10
	v_fmac_f32_e32 v184, v149, v12
	s_delay_alu instid0(VALU_DEP_4) | instskip(NEXT) | instid1(VALU_DEP_4)
	v_add_f32_e32 v2, v3, v2
	v_fma_f32 v6, v144, v8, -v7
	v_mul_f32_e32 v5, v147, v11
	v_add_f32_e32 v3, v4, v181
	v_mul_f32_e32 v4, v149, v13
	v_dual_mul_f32 v186, v152, v17 :: v_dual_mul_f32 v187, v154, v19
	v_add_f32_e32 v2, v2, v6
	v_fma_f32 v5, v146, v10, -v5
	v_mul_f32_e32 v6, v151, v15
	v_add_f32_e32 v3, v3, v182
	v_fma_f32 v4, v148, v12, -v4
	v_dual_fmac_f32 v185, v151, v14 :: v_dual_fmac_f32 v186, v153, v16
	s_delay_alu instid0(VALU_DEP_3) | instskip(SKIP_3) | instid1(VALU_DEP_4)
	v_dual_add_f32 v2, v2, v5 :: v_dual_add_f32 v3, v3, v183
	v_mul_f32_e32 v5, v153, v17
	v_fma_f32 v6, v150, v14, -v6
	v_dual_mul_f32 v188, v156, v21 :: v_dual_mul_f32 v189, v158, v123
	v_add_f32_e32 v2, v2, v4
	v_add_f32_e32 v3, v3, v184
	v_mul_f32_e32 v4, v155, v19
	v_fma_f32 v5, v152, v16, -v5
	v_fmac_f32_e32 v187, v155, v18
	s_delay_alu instid0(VALU_DEP_4) | instskip(SKIP_3) | instid1(VALU_DEP_4)
	v_dual_add_f32 v2, v2, v6 :: v_dual_add_f32 v3, v3, v185
	v_fmac_f32_e32 v188, v157, v20
	v_mul_f32_e32 v6, v157, v21
	v_fma_f32 v4, v154, v18, -v4
	v_dual_add_f32 v2, v2, v5 :: v_dual_add_f32 v3, v3, v186
	v_mul_f32_e32 v5, v159, v123
	s_delay_alu instid0(VALU_DEP_4) | instskip(SKIP_1) | instid1(VALU_DEP_4)
	v_fma_f32 v6, v156, v20, -v6
	v_dual_mul_f32 v190, v160, v125 :: v_dual_mul_f32 v191, v162, v127
	v_dual_add_f32 v2, v2, v4 :: v_dual_add_f32 v3, v3, v187
	v_dual_mul_f32 v4, v161, v125 :: v_dual_fmac_f32 v189, v159, v122
	s_delay_alu instid0(VALU_DEP_3) | instskip(SKIP_1) | instid1(VALU_DEP_4)
	v_fmac_f32_e32 v190, v161, v124
	v_fma_f32 v5, v158, v122, -v5
	v_dual_add_f32 v2, v2, v6 :: v_dual_add_f32 v3, v3, v188
	v_mul_f32_e32 v6, v163, v127
	v_fma_f32 v4, v160, v124, -v4
	s_delay_alu instid0(VALU_DEP_3) | instskip(NEXT) | instid1(VALU_DEP_4)
	v_dual_fmac_f32 v191, v163, v126 :: v_dual_add_f32 v2, v2, v5
	v_add_f32_e32 v3, v3, v189
	v_dual_mul_f32 v192, v164, v129 :: v_dual_mul_f32 v193, v166, v131
	v_mul_f32_e32 v5, v165, v129
	v_fma_f32 v6, v162, v126, -v6
	s_delay_alu instid0(VALU_DEP_4) | instskip(NEXT) | instid1(VALU_DEP_4)
	v_dual_add_f32 v2, v2, v4 :: v_dual_add_f32 v3, v3, v190
	v_fmac_f32_e32 v192, v165, v128
	v_mul_f32_e32 v4, v167, v131
	v_fma_f32 v5, v164, v128, -v5
	s_delay_alu instid0(VALU_DEP_4) | instskip(SKIP_1) | instid1(VALU_DEP_4)
	v_dual_add_f32 v2, v2, v6 :: v_dual_add_f32 v3, v3, v191
	v_dual_mul_f32 v6, v169, v133 :: v_dual_fmac_f32 v193, v167, v130
	v_fma_f32 v4, v166, v130, -v4
	s_delay_alu instid0(VALU_DEP_3) | instskip(SKIP_3) | instid1(VALU_DEP_4)
	v_dual_add_f32 v2, v2, v5 :: v_dual_add_f32 v3, v3, v192
	v_dual_mul_f32 v195, v170, v135 :: v_dual_mul_f32 v196, v172, v137
	v_dual_mul_f32 v5, v171, v135 :: v_dual_fmac_f32 v194, v169, v132
	v_fma_f32 v6, v168, v132, -v6
	v_dual_add_f32 v2, v2, v4 :: v_dual_add_f32 v3, v3, v193
	s_delay_alu instid0(VALU_DEP_4) | instskip(NEXT) | instid1(VALU_DEP_4)
	v_dual_mul_f32 v4, v173, v137 :: v_dual_fmac_f32 v195, v171, v134
	v_fma_f32 v5, v170, v134, -v5
	s_delay_alu instid0(VALU_DEP_3) | instskip(NEXT) | instid1(VALU_DEP_4)
	v_dual_fmac_f32 v196, v173, v136 :: v_dual_add_f32 v3, v3, v194
	v_add_f32_e32 v2, v2, v6
	v_mul_f32_e32 v6, v179, v175
	v_fma_f32 v4, v172, v136, -v4
	v_fmac_f32_e32 v197, v179, v174
	s_delay_alu instid0(VALU_DEP_4) | instskip(NEXT) | instid1(VALU_DEP_4)
	v_dual_add_f32 v3, v3, v195 :: v_dual_add_f32 v2, v2, v5
	v_fma_f32 v5, v178, v174, -v6
	s_delay_alu instid0(VALU_DEP_2) | instskip(NEXT) | instid1(VALU_DEP_1)
	v_add_f32_e32 v3, v3, v196
	v_dual_add_f32 v2, v2, v4 :: v_dual_add_f32 v3, v3, v197
	s_wait_loadcnt 0x0
	s_delay_alu instid0(VALU_DEP_1) | instskip(NEXT) | instid1(VALU_DEP_1)
	v_dual_add_f32 v2, v2, v5 :: v_dual_sub_f32 v3, v177, v3
	v_sub_f32_e32 v2, v176, v2
	scratch_store_b64 off, v[2:3], off offset:232
	v_cmpx_lt_u32_e32 28, v0
	s_cbranch_execz .LBB48_251
; %bb.250:
	scratch_load_b64 v[3:4], off, off offset:224
	v_mov_b32_e32 v2, v1
	scratch_store_b64 off, v[1:2], off offset:224
	s_wait_loadcnt 0x0
	ds_store_b64 v23, v[3:4]
.LBB48_251:
	s_wait_alu 0xfffe
	s_or_b32 exec_lo, exec_lo, s0
	s_wait_storecnt_dscnt 0x0
	s_barrier_signal -1
	s_barrier_wait -1
	global_inv scope:SCOPE_SE
	s_clause 0xa
	scratch_load_b128 v[2:5], off, off offset:232
	scratch_load_b128 v[6:9], off, off offset:248
	;; [unrolled: 1-line block ×10, first 2 shown]
	scratch_load_b64 v[182:183], off, off offset:224
	ds_load_2addr_b64 v[142:145], v1 offset0:79 offset1:80
	ds_load_2addr_b64 v[146:149], v1 offset0:81 offset1:82
	ds_load_2addr_b64 v[150:153], v1 offset0:83 offset1:84
	ds_load_2addr_b64 v[154:157], v1 offset0:85 offset1:86
	ds_load_2addr_b64 v[158:161], v1 offset0:87 offset1:88
	ds_load_2addr_b64 v[162:165], v1 offset0:89 offset1:90
	ds_load_2addr_b64 v[166:169], v1 offset0:91 offset1:92
	ds_load_2addr_b64 v[170:173], v1 offset0:93 offset1:94
	ds_load_2addr_b64 v[174:177], v1 offset0:95 offset1:96
	ds_load_2addr_b64 v[178:181], v1 offset0:97 offset1:98
	s_mov_b32 s0, exec_lo
	s_wait_loadcnt_dscnt 0xa09
	v_dual_mul_f32 v1, v142, v3 :: v_dual_mul_f32 v22, v144, v5
	v_mul_f32_e32 v3, v143, v3
	s_wait_loadcnt_dscnt 0x908
	v_dual_mul_f32 v5, v145, v5 :: v_dual_mul_f32 v184, v146, v7
	s_delay_alu instid0(VALU_DEP_3) | instskip(NEXT) | instid1(VALU_DEP_3)
	v_dual_mul_f32 v185, v148, v9 :: v_dual_fmac_f32 v22, v145, v4
	v_fma_f32 v3, v142, v2, -v3
	v_fmac_f32_e32 v1, v143, v2
	v_mul_f32_e32 v2, v147, v7
	v_fma_f32 v4, v144, v4, -v5
	s_delay_alu instid0(VALU_DEP_4)
	v_dual_fmac_f32 v184, v147, v6 :: v_dual_add_f32 v3, 0, v3
	s_wait_loadcnt_dscnt 0x605
	v_dual_mul_f32 v190, v158, v19 :: v_dual_mul_f32 v191, v160, v21
	v_fma_f32 v2, v146, v6, -v2
	v_dual_mul_f32 v186, v150, v11 :: v_dual_mul_f32 v187, v152, v13
	v_add_f32_e32 v3, v3, v4
	v_dual_mul_f32 v5, v149, v9 :: v_dual_mul_f32 v188, v154, v15
	v_dual_mul_f32 v189, v156, v17 :: v_dual_mul_f32 v4, v151, v11
	s_delay_alu instid0(VALU_DEP_3) | instskip(NEXT) | instid1(VALU_DEP_3)
	v_add_f32_e32 v2, v3, v2
	v_fma_f32 v5, v148, v8, -v5
	v_dual_mul_f32 v3, v153, v13 :: v_dual_fmac_f32 v190, v159, v18
	s_delay_alu instid0(VALU_DEP_4) | instskip(SKIP_1) | instid1(VALU_DEP_4)
	v_fma_f32 v4, v150, v10, -v4
	v_dual_fmac_f32 v185, v149, v8 :: v_dual_fmac_f32 v186, v151, v10
	v_add_f32_e32 v2, v2, v5
	v_add_f32_e32 v1, 0, v1
	v_fma_f32 v3, v152, v12, -v3
	v_fmac_f32_e32 v188, v155, v14
	s_wait_loadcnt_dscnt 0x504
	v_dual_mul_f32 v192, v162, v123 :: v_dual_mul_f32 v193, v164, v125
	v_dual_add_f32 v1, v1, v22 :: v_dual_add_f32 v2, v2, v4
	v_mul_f32_e32 v4, v157, v17
	s_wait_loadcnt_dscnt 0x302
	v_dual_mul_f32 v196, v170, v131 :: v_dual_mul_f32 v197, v172, v133
	s_delay_alu instid0(VALU_DEP_3) | instskip(NEXT) | instid1(VALU_DEP_3)
	v_dual_add_f32 v1, v1, v184 :: v_dual_add_f32 v2, v2, v3
	v_fma_f32 v4, v156, v16, -v4
	v_mul_f32_e32 v5, v155, v15
	v_dual_mul_f32 v194, v166, v127 :: v_dual_mul_f32 v195, v168, v129
	s_wait_loadcnt_dscnt 0x201
	v_dual_add_f32 v1, v1, v185 :: v_dual_mul_f32 v198, v174, v135
	v_mul_f32_e32 v199, v176, v137
	v_fma_f32 v5, v154, v14, -v5
	v_fmac_f32_e32 v187, v153, v12
	s_delay_alu instid0(VALU_DEP_4) | instskip(SKIP_1) | instid1(VALU_DEP_4)
	v_add_f32_e32 v1, v1, v186
	v_dual_fmac_f32 v192, v163, v122 :: v_dual_fmac_f32 v193, v165, v124
	v_add_f32_e32 v2, v2, v5
	v_fmac_f32_e32 v194, v167, v126
	s_wait_loadcnt_dscnt 0x100
	v_dual_mul_f32 v200, v178, v139 :: v_dual_mul_f32 v201, v180, v141
	v_fmac_f32_e32 v195, v169, v128
	v_add_f32_e32 v2, v2, v4
	v_mul_f32_e32 v4, v163, v123
	s_delay_alu instid0(VALU_DEP_4) | instskip(SKIP_2) | instid1(VALU_DEP_4)
	v_dual_add_f32 v1, v1, v187 :: v_dual_fmac_f32 v200, v179, v138
	v_fmac_f32_e32 v197, v173, v132
	v_fmac_f32_e32 v199, v177, v136
	v_fma_f32 v4, v162, v122, -v4
	v_mul_f32_e32 v5, v161, v21
	v_add_f32_e32 v1, v1, v188
	v_dual_fmac_f32 v201, v181, v140 :: v_dual_fmac_f32 v196, v171, v130
	v_fmac_f32_e32 v198, v175, v134
	s_delay_alu instid0(VALU_DEP_4) | instskip(SKIP_1) | instid1(VALU_DEP_1)
	v_fma_f32 v5, v160, v20, -v5
	v_mul_f32_e32 v3, v159, v19
	v_fma_f32 v3, v158, v18, -v3
	s_delay_alu instid0(VALU_DEP_1) | instskip(SKIP_1) | instid1(VALU_DEP_2)
	v_dual_fmac_f32 v189, v157, v16 :: v_dual_add_f32 v2, v2, v3
	v_mul_f32_e32 v3, v165, v125
	v_dual_add_f32 v2, v2, v5 :: v_dual_mul_f32 v5, v167, v127
	s_delay_alu instid0(VALU_DEP_2) | instskip(NEXT) | instid1(VALU_DEP_2)
	v_fma_f32 v3, v164, v124, -v3
	v_dual_add_f32 v2, v2, v4 :: v_dual_add_f32 v1, v1, v189
	v_mul_f32_e32 v4, v169, v129
	s_delay_alu instid0(VALU_DEP_4) | instskip(NEXT) | instid1(VALU_DEP_3)
	v_fma_f32 v5, v166, v126, -v5
	v_dual_add_f32 v2, v2, v3 :: v_dual_fmac_f32 v191, v161, v20
	s_delay_alu instid0(VALU_DEP_3) | instskip(NEXT) | instid1(VALU_DEP_2)
	v_fma_f32 v4, v168, v128, -v4
	v_add_f32_e32 v2, v2, v5
	v_mul_f32_e32 v5, v173, v133
	s_delay_alu instid0(VALU_DEP_2) | instskip(NEXT) | instid1(VALU_DEP_2)
	v_dual_add_f32 v1, v1, v190 :: v_dual_add_f32 v2, v2, v4
	v_fma_f32 v5, v172, v132, -v5
	v_mul_f32_e32 v3, v171, v131
	s_delay_alu instid0(VALU_DEP_3) | instskip(SKIP_1) | instid1(VALU_DEP_3)
	v_add_f32_e32 v1, v1, v191
	v_mul_f32_e32 v4, v175, v135
	v_fma_f32 v3, v170, v130, -v3
	s_delay_alu instid0(VALU_DEP_3) | instskip(NEXT) | instid1(VALU_DEP_3)
	v_add_f32_e32 v1, v1, v192
	v_fma_f32 v4, v174, v134, -v4
	s_delay_alu instid0(VALU_DEP_3) | instskip(NEXT) | instid1(VALU_DEP_1)
	v_dual_add_f32 v2, v2, v3 :: v_dual_mul_f32 v3, v177, v137
	v_add_f32_e32 v2, v2, v5
	s_delay_alu instid0(VALU_DEP_4) | instskip(SKIP_1) | instid1(VALU_DEP_4)
	v_add_f32_e32 v1, v1, v193
	v_mul_f32_e32 v5, v179, v139
	v_fma_f32 v3, v176, v136, -v3
	s_delay_alu instid0(VALU_DEP_3) | instskip(SKIP_1) | instid1(VALU_DEP_4)
	v_dual_add_f32 v2, v2, v4 :: v_dual_add_f32 v1, v1, v194
	v_mul_f32_e32 v4, v181, v141
	v_fma_f32 v5, v178, v138, -v5
	s_delay_alu instid0(VALU_DEP_3) | instskip(NEXT) | instid1(VALU_DEP_4)
	v_add_f32_e32 v2, v2, v3
	v_add_f32_e32 v1, v1, v195
	s_delay_alu instid0(VALU_DEP_4) | instskip(NEXT) | instid1(VALU_DEP_2)
	v_fma_f32 v3, v180, v140, -v4
	v_dual_add_f32 v2, v2, v5 :: v_dual_add_f32 v1, v1, v196
	s_delay_alu instid0(VALU_DEP_1) | instskip(NEXT) | instid1(VALU_DEP_1)
	v_dual_add_f32 v2, v2, v3 :: v_dual_add_f32 v1, v1, v197
	v_add_f32_e32 v1, v1, v198
	s_delay_alu instid0(VALU_DEP_1) | instskip(NEXT) | instid1(VALU_DEP_1)
	v_add_f32_e32 v1, v1, v199
	v_add_f32_e32 v1, v1, v200
	s_delay_alu instid0(VALU_DEP_1) | instskip(SKIP_1) | instid1(VALU_DEP_1)
	v_add_f32_e32 v3, v1, v201
	s_wait_loadcnt 0x0
	v_dual_sub_f32 v1, v182, v2 :: v_dual_sub_f32 v2, v183, v3
	scratch_store_b64 off, v[1:2], off offset:224
	v_cmpx_lt_u32_e32 27, v0
	s_cbranch_execz .LBB48_253
; %bb.252:
	scratch_load_b64 v[1:2], off, off offset:216
	v_mov_b32_e32 v3, 0
	s_delay_alu instid0(VALU_DEP_1)
	v_mov_b32_e32 v4, v3
	scratch_store_b64 off, v[3:4], off offset:216
	s_wait_loadcnt 0x0
	ds_store_b64 v23, v[1:2]
.LBB48_253:
	s_wait_alu 0xfffe
	s_or_b32 exec_lo, exec_lo, s0
	s_wait_storecnt_dscnt 0x0
	s_barrier_signal -1
	s_barrier_wait -1
	global_inv scope:SCOPE_SE
	s_clause 0xb
	scratch_load_b128 v[2:5], off, off offset:224
	scratch_load_b128 v[6:9], off, off offset:240
	;; [unrolled: 1-line block ×10, first 2 shown]
	scratch_load_b64 v[182:183], off, off offset:384
	scratch_load_b64 v[184:185], off, off offset:216
	v_mov_b32_e32 v1, 0
	ds_load_b128 v[142:145], v1 offset:624
	ds_load_b128 v[146:149], v1 offset:640
	;; [unrolled: 1-line block ×10, first 2 shown]
	ds_load_b64 v[186:187], v1 offset:784
	s_mov_b32 s0, exec_lo
	s_wait_loadcnt_dscnt 0xb0a
	v_mul_f32_e32 v22, v142, v3
	s_wait_loadcnt_dscnt 0xa09
	v_dual_mul_f32 v188, v144, v5 :: v_dual_mul_f32 v189, v146, v7
	v_mul_f32_e32 v5, v145, v5
	v_dual_mul_f32 v3, v143, v3 :: v_dual_mul_f32 v190, v148, v9
	s_wait_loadcnt_dscnt 0x908
	v_dual_mul_f32 v191, v150, v11 :: v_dual_fmac_f32 v22, v143, v2
	s_wait_loadcnt_dscnt 0x302
	v_mul_f32_e32 v204, v176, v137
	v_fma_f32 v3, v142, v2, -v3
	s_wait_loadcnt_dscnt 0x100
	v_mul_f32_e32 v207, v186, v183
	v_mul_f32_e32 v2, v147, v7
	v_fmac_f32_e32 v188, v145, v4
	v_fma_f32 v4, v144, v4, -v5
	v_add_f32_e32 v3, 0, v3
	v_dual_add_f32 v5, 0, v22 :: v_dual_fmac_f32 v190, v149, v8
	v_fmac_f32_e32 v189, v147, v6
	v_fma_f32 v2, v146, v6, -v2
	s_delay_alu instid0(VALU_DEP_4) | instskip(SKIP_3) | instid1(VALU_DEP_4)
	v_add_f32_e32 v3, v3, v4
	v_mul_f32_e32 v7, v149, v9
	v_add_f32_e32 v4, v5, v188
	v_dual_mul_f32 v192, v152, v13 :: v_dual_mul_f32 v193, v154, v15
	v_add_f32_e32 v2, v3, v2
	s_delay_alu instid0(VALU_DEP_4)
	v_fma_f32 v6, v148, v8, -v7
	v_mul_f32_e32 v5, v151, v11
	v_add_f32_e32 v3, v4, v189
	v_dual_mul_f32 v4, v153, v13 :: v_dual_fmac_f32 v191, v151, v10
	v_fmac_f32_e32 v192, v153, v12
	v_add_f32_e32 v2, v2, v6
	v_fma_f32 v5, v150, v10, -v5
	v_mul_f32_e32 v6, v155, v15
	v_add_f32_e32 v3, v3, v190
	v_fma_f32 v4, v152, v12, -v4
	v_dual_mul_f32 v194, v156, v17 :: v_dual_mul_f32 v195, v158, v19
	s_delay_alu instid0(VALU_DEP_3) | instskip(SKIP_1) | instid1(VALU_DEP_3)
	v_dual_add_f32 v2, v2, v5 :: v_dual_add_f32 v3, v3, v191
	v_mul_f32_e32 v5, v157, v17
	v_dual_fmac_f32 v193, v155, v14 :: v_dual_fmac_f32 v194, v157, v16
	v_fma_f32 v6, v154, v14, -v6
	s_delay_alu instid0(VALU_DEP_4) | instskip(SKIP_4) | instid1(VALU_DEP_4)
	v_add_f32_e32 v2, v2, v4
	v_dual_add_f32 v3, v3, v192 :: v_dual_mul_f32 v196, v160, v21
	v_mul_f32_e32 v197, v162, v123
	v_mul_f32_e32 v4, v159, v19
	v_fma_f32 v5, v156, v16, -v5
	v_dual_add_f32 v2, v2, v6 :: v_dual_add_f32 v3, v3, v193
	v_fmac_f32_e32 v196, v161, v20
	v_dual_mul_f32 v6, v161, v21 :: v_dual_fmac_f32 v195, v159, v18
	v_fma_f32 v4, v158, v18, -v4
	s_delay_alu instid0(VALU_DEP_4) | instskip(SKIP_1) | instid1(VALU_DEP_4)
	v_dual_add_f32 v2, v2, v5 :: v_dual_add_f32 v3, v3, v194
	v_mul_f32_e32 v5, v163, v123
	v_fma_f32 v6, v160, v20, -v6
	v_dual_mul_f32 v198, v164, v125 :: v_dual_mul_f32 v199, v166, v127
	s_delay_alu instid0(VALU_DEP_4) | instskip(SKIP_1) | instid1(VALU_DEP_3)
	v_dual_add_f32 v2, v2, v4 :: v_dual_add_f32 v3, v3, v195
	v_dual_mul_f32 v4, v165, v125 :: v_dual_fmac_f32 v197, v163, v122
	v_fmac_f32_e32 v198, v165, v124
	v_fma_f32 v5, v162, v122, -v5
	s_delay_alu instid0(VALU_DEP_4) | instskip(SKIP_2) | instid1(VALU_DEP_3)
	v_dual_add_f32 v2, v2, v6 :: v_dual_add_f32 v3, v3, v196
	v_mul_f32_e32 v6, v167, v127
	v_fma_f32 v4, v164, v124, -v4
	v_dual_fmac_f32 v199, v167, v126 :: v_dual_add_f32 v2, v2, v5
	s_delay_alu instid0(VALU_DEP_4) | instskip(SKIP_3) | instid1(VALU_DEP_4)
	v_add_f32_e32 v3, v3, v197
	v_dual_mul_f32 v200, v168, v129 :: v_dual_mul_f32 v201, v170, v131
	v_mul_f32_e32 v5, v169, v129
	v_fma_f32 v6, v166, v126, -v6
	v_dual_add_f32 v2, v2, v4 :: v_dual_add_f32 v3, v3, v198
	s_delay_alu instid0(VALU_DEP_4) | instskip(SKIP_2) | instid1(VALU_DEP_4)
	v_fmac_f32_e32 v200, v169, v128
	v_mul_f32_e32 v4, v171, v131
	v_fma_f32 v5, v168, v128, -v5
	v_dual_add_f32 v2, v2, v6 :: v_dual_add_f32 v3, v3, v199
	v_dual_mul_f32 v202, v172, v133 :: v_dual_mul_f32 v203, v174, v135
	v_dual_mul_f32 v6, v173, v133 :: v_dual_fmac_f32 v201, v171, v130
	v_fma_f32 v4, v170, v130, -v4
	s_delay_alu instid0(VALU_DEP_4) | instskip(NEXT) | instid1(VALU_DEP_4)
	v_dual_add_f32 v2, v2, v5 :: v_dual_add_f32 v3, v3, v200
	v_dual_mul_f32 v5, v175, v135 :: v_dual_fmac_f32 v202, v173, v132
	s_delay_alu instid0(VALU_DEP_4) | instskip(NEXT) | instid1(VALU_DEP_3)
	v_fma_f32 v6, v172, v132, -v6
	v_dual_add_f32 v2, v2, v4 :: v_dual_add_f32 v3, v3, v201
	v_dual_mul_f32 v4, v177, v137 :: v_dual_fmac_f32 v203, v175, v134
	s_delay_alu instid0(VALU_DEP_4) | instskip(NEXT) | instid1(VALU_DEP_3)
	v_fma_f32 v5, v174, v134, -v5
	v_dual_fmac_f32 v204, v177, v136 :: v_dual_add_f32 v3, v3, v202
	s_delay_alu instid0(VALU_DEP_4) | instskip(SKIP_3) | instid1(VALU_DEP_4)
	v_add_f32_e32 v2, v2, v6
	v_dual_mul_f32 v205, v178, v139 :: v_dual_mul_f32 v206, v180, v141
	v_mul_f32_e32 v6, v179, v139
	v_fma_f32 v4, v176, v136, -v4
	v_dual_add_f32 v3, v3, v203 :: v_dual_add_f32 v2, v2, v5
	s_delay_alu instid0(VALU_DEP_4) | instskip(SKIP_2) | instid1(VALU_DEP_4)
	v_fmac_f32_e32 v205, v179, v138
	v_mul_f32_e32 v5, v181, v141
	v_fma_f32 v6, v178, v138, -v6
	v_add_f32_e32 v3, v3, v204
	v_add_f32_e32 v2, v2, v4
	v_mul_f32_e32 v4, v187, v183
	v_dual_fmac_f32 v206, v181, v140 :: v_dual_fmac_f32 v207, v187, v182
	v_fma_f32 v5, v180, v140, -v5
	s_delay_alu instid0(VALU_DEP_4) | instskip(NEXT) | instid1(VALU_DEP_4)
	v_dual_add_f32 v3, v3, v205 :: v_dual_add_f32 v2, v2, v6
	v_fma_f32 v4, v186, v182, -v4
	s_delay_alu instid0(VALU_DEP_2) | instskip(NEXT) | instid1(VALU_DEP_1)
	v_dual_add_f32 v3, v3, v206 :: v_dual_add_f32 v2, v2, v5
	v_dual_add_f32 v3, v3, v207 :: v_dual_add_f32 v2, v2, v4
	s_wait_loadcnt 0x0
	s_delay_alu instid0(VALU_DEP_1)
	v_dual_sub_f32 v3, v185, v3 :: v_dual_sub_f32 v2, v184, v2
	scratch_store_b64 off, v[2:3], off offset:216
	v_cmpx_lt_u32_e32 26, v0
	s_cbranch_execz .LBB48_255
; %bb.254:
	scratch_load_b64 v[3:4], off, off offset:208
	v_mov_b32_e32 v2, v1
	scratch_store_b64 off, v[1:2], off offset:208
	s_wait_loadcnt 0x0
	ds_store_b64 v23, v[3:4]
.LBB48_255:
	s_wait_alu 0xfffe
	s_or_b32 exec_lo, exec_lo, s0
	s_wait_storecnt_dscnt 0x0
	s_barrier_signal -1
	s_barrier_wait -1
	global_inv scope:SCOPE_SE
	s_clause 0xb
	scratch_load_b128 v[2:5], off, off offset:216
	scratch_load_b128 v[6:9], off, off offset:232
	;; [unrolled: 1-line block ×11, first 2 shown]
	scratch_load_b64 v[190:191], off, off offset:208
	ds_load_2addr_b64 v[146:149], v1 offset0:77 offset1:78
	ds_load_2addr_b64 v[150:153], v1 offset0:79 offset1:80
	;; [unrolled: 1-line block ×11, first 2 shown]
	s_mov_b32 s0, exec_lo
	s_wait_loadcnt_dscnt 0xb0a
	v_dual_mul_f32 v1, v146, v3 :: v_dual_mul_f32 v22, v148, v5
	v_mul_f32_e32 v3, v147, v3
	s_wait_loadcnt_dscnt 0xa09
	v_dual_mul_f32 v5, v149, v5 :: v_dual_mul_f32 v192, v150, v7
	s_delay_alu instid0(VALU_DEP_3) | instskip(NEXT) | instid1(VALU_DEP_3)
	v_dual_mul_f32 v193, v152, v9 :: v_dual_fmac_f32 v22, v149, v4
	v_fma_f32 v3, v146, v2, -v3
	v_fmac_f32_e32 v1, v147, v2
	v_mul_f32_e32 v2, v151, v7
	v_fma_f32 v4, v148, v4, -v5
	s_delay_alu instid0(VALU_DEP_4)
	v_dual_fmac_f32 v192, v151, v6 :: v_dual_add_f32 v3, 0, v3
	s_wait_loadcnt_dscnt 0x706
	v_dual_mul_f32 v198, v162, v19 :: v_dual_mul_f32 v199, v164, v21
	v_fma_f32 v2, v150, v6, -v2
	v_dual_mul_f32 v194, v154, v11 :: v_dual_mul_f32 v195, v156, v13
	v_add_f32_e32 v3, v3, v4
	v_dual_mul_f32 v5, v153, v9 :: v_dual_mul_f32 v196, v158, v15
	v_dual_mul_f32 v197, v160, v17 :: v_dual_mul_f32 v4, v155, v11
	s_delay_alu instid0(VALU_DEP_3) | instskip(NEXT) | instid1(VALU_DEP_3)
	v_add_f32_e32 v2, v3, v2
	v_fma_f32 v5, v152, v8, -v5
	v_dual_mul_f32 v3, v157, v13 :: v_dual_fmac_f32 v198, v163, v18
	s_delay_alu instid0(VALU_DEP_4) | instskip(SKIP_1) | instid1(VALU_DEP_4)
	v_fma_f32 v4, v154, v10, -v4
	v_dual_fmac_f32 v193, v153, v8 :: v_dual_fmac_f32 v194, v155, v10
	v_add_f32_e32 v2, v2, v5
	v_add_f32_e32 v1, 0, v1
	v_fma_f32 v3, v156, v12, -v3
	v_fmac_f32_e32 v196, v159, v14
	s_wait_loadcnt_dscnt 0x605
	v_dual_mul_f32 v200, v166, v123 :: v_dual_mul_f32 v201, v168, v125
	v_dual_add_f32 v1, v1, v22 :: v_dual_add_f32 v2, v2, v4
	v_mul_f32_e32 v4, v161, v17
	s_wait_loadcnt_dscnt 0x403
	v_dual_mul_f32 v204, v174, v131 :: v_dual_mul_f32 v205, v176, v133
	s_delay_alu instid0(VALU_DEP_3) | instskip(NEXT) | instid1(VALU_DEP_3)
	v_dual_add_f32 v1, v1, v192 :: v_dual_add_f32 v2, v2, v3
	v_fma_f32 v4, v160, v16, -v4
	v_mul_f32_e32 v5, v159, v15
	v_dual_mul_f32 v202, v170, v127 :: v_dual_mul_f32 v203, v172, v129
	s_wait_loadcnt_dscnt 0x100
	v_dual_add_f32 v1, v1, v193 :: v_dual_mul_f32 v210, v186, v143
	v_mul_f32_e32 v211, v188, v145
	v_fma_f32 v5, v158, v14, -v5
	v_fmac_f32_e32 v195, v157, v12
	s_delay_alu instid0(VALU_DEP_4)
	v_add_f32_e32 v1, v1, v194
	v_fmac_f32_e32 v200, v167, v122
	v_dual_mul_f32 v206, v178, v135 :: v_dual_mul_f32 v207, v180, v137
	v_add_f32_e32 v2, v2, v5
	v_dual_fmac_f32 v202, v171, v126 :: v_dual_fmac_f32 v201, v169, v124
	v_dual_mul_f32 v208, v182, v139 :: v_dual_mul_f32 v209, v184, v141
	s_delay_alu instid0(VALU_DEP_3) | instskip(SKIP_2) | instid1(VALU_DEP_4)
	v_add_f32_e32 v2, v2, v4
	v_mul_f32_e32 v4, v167, v123
	v_add_f32_e32 v1, v1, v195
	v_dual_fmac_f32 v203, v173, v128 :: v_dual_fmac_f32 v208, v183, v138
	v_fmac_f32_e32 v207, v181, v136
	s_delay_alu instid0(VALU_DEP_4) | instskip(SKIP_4) | instid1(VALU_DEP_4)
	v_fma_f32 v4, v166, v122, -v4
	v_mul_f32_e32 v5, v165, v21
	v_add_f32_e32 v1, v1, v196
	v_dual_fmac_f32 v209, v185, v140 :: v_dual_fmac_f32 v204, v175, v130
	v_fmac_f32_e32 v211, v189, v144
	v_fma_f32 v5, v164, v20, -v5
	v_mul_f32_e32 v3, v163, v19
	v_fmac_f32_e32 v210, v187, v142
	v_fmac_f32_e32 v206, v179, v134
	s_delay_alu instid0(VALU_DEP_3) | instskip(NEXT) | instid1(VALU_DEP_1)
	v_fma_f32 v3, v162, v18, -v3
	v_dual_fmac_f32 v197, v161, v16 :: v_dual_add_f32 v2, v2, v3
	v_mul_f32_e32 v3, v169, v125
	s_delay_alu instid0(VALU_DEP_2) | instskip(NEXT) | instid1(VALU_DEP_2)
	v_dual_add_f32 v2, v2, v5 :: v_dual_mul_f32 v5, v171, v127
	v_fma_f32 v3, v168, v124, -v3
	s_delay_alu instid0(VALU_DEP_2) | instskip(SKIP_1) | instid1(VALU_DEP_4)
	v_dual_add_f32 v2, v2, v4 :: v_dual_add_f32 v1, v1, v197
	v_mul_f32_e32 v4, v173, v129
	v_fma_f32 v5, v170, v126, -v5
	s_delay_alu instid0(VALU_DEP_3) | instskip(NEXT) | instid1(VALU_DEP_3)
	v_dual_add_f32 v2, v2, v3 :: v_dual_fmac_f32 v199, v165, v20
	v_fma_f32 v4, v172, v128, -v4
	s_delay_alu instid0(VALU_DEP_2) | instskip(SKIP_1) | instid1(VALU_DEP_2)
	v_add_f32_e32 v2, v2, v5
	v_mul_f32_e32 v5, v177, v133
	v_dual_add_f32 v1, v1, v198 :: v_dual_add_f32 v2, v2, v4
	s_delay_alu instid0(VALU_DEP_2) | instskip(SKIP_1) | instid1(VALU_DEP_3)
	v_fma_f32 v5, v176, v132, -v5
	v_mul_f32_e32 v3, v175, v131
	v_add_f32_e32 v1, v1, v199
	v_mul_f32_e32 v4, v179, v135
	s_delay_alu instid0(VALU_DEP_3) | instskip(NEXT) | instid1(VALU_DEP_3)
	v_fma_f32 v3, v174, v130, -v3
	v_add_f32_e32 v1, v1, v200
	s_delay_alu instid0(VALU_DEP_3) | instskip(NEXT) | instid1(VALU_DEP_3)
	v_fma_f32 v4, v178, v134, -v4
	v_add_f32_e32 v2, v2, v3
	s_delay_alu instid0(VALU_DEP_1) | instskip(NEXT) | instid1(VALU_DEP_4)
	v_add_f32_e32 v2, v2, v5
	v_add_f32_e32 v1, v1, v201
	s_delay_alu instid0(VALU_DEP_2) | instskip(SKIP_1) | instid1(VALU_DEP_2)
	v_dual_mul_f32 v5, v183, v139 :: v_dual_add_f32 v2, v2, v4
	v_mul_f32_e32 v4, v185, v141
	v_fma_f32 v5, v182, v138, -v5
	s_delay_alu instid0(VALU_DEP_2) | instskip(SKIP_1) | instid1(VALU_DEP_1)
	v_fma_f32 v4, v184, v140, -v4
	v_mul_f32_e32 v3, v181, v137
	v_fma_f32 v3, v180, v136, -v3
	s_delay_alu instid0(VALU_DEP_1) | instskip(NEXT) | instid1(VALU_DEP_1)
	v_dual_add_f32 v1, v1, v202 :: v_dual_add_f32 v2, v2, v3
	v_add_f32_e32 v1, v1, v203
	s_delay_alu instid0(VALU_DEP_2) | instskip(NEXT) | instid1(VALU_DEP_2)
	v_dual_mul_f32 v3, v187, v143 :: v_dual_add_f32 v2, v2, v5
	v_add_f32_e32 v1, v1, v204
	v_mul_f32_e32 v5, v189, v145
	s_delay_alu instid0(VALU_DEP_3) | instskip(NEXT) | instid1(VALU_DEP_4)
	v_fma_f32 v3, v186, v142, -v3
	v_add_f32_e32 v2, v2, v4
	v_fmac_f32_e32 v205, v177, v132
	s_delay_alu instid0(VALU_DEP_4) | instskip(NEXT) | instid1(VALU_DEP_2)
	v_fma_f32 v4, v188, v144, -v5
	v_dual_add_f32 v2, v2, v3 :: v_dual_add_f32 v1, v1, v205
	s_delay_alu instid0(VALU_DEP_1) | instskip(NEXT) | instid1(VALU_DEP_1)
	v_dual_add_f32 v2, v2, v4 :: v_dual_add_f32 v1, v1, v206
	v_add_f32_e32 v1, v1, v207
	s_delay_alu instid0(VALU_DEP_1) | instskip(NEXT) | instid1(VALU_DEP_1)
	v_add_f32_e32 v1, v1, v208
	v_add_f32_e32 v1, v1, v209
	s_delay_alu instid0(VALU_DEP_1) | instskip(NEXT) | instid1(VALU_DEP_1)
	v_add_f32_e32 v1, v1, v210
	v_add_f32_e32 v3, v1, v211
	s_wait_loadcnt 0x0
	s_delay_alu instid0(VALU_DEP_1)
	v_dual_sub_f32 v1, v190, v2 :: v_dual_sub_f32 v2, v191, v3
	scratch_store_b64 off, v[1:2], off offset:208
	v_cmpx_lt_u32_e32 25, v0
	s_cbranch_execz .LBB48_257
; %bb.256:
	scratch_load_b64 v[1:2], off, off offset:200
	v_mov_b32_e32 v3, 0
	s_delay_alu instid0(VALU_DEP_1)
	v_mov_b32_e32 v4, v3
	scratch_store_b64 off, v[3:4], off offset:200
	s_wait_loadcnt 0x0
	ds_store_b64 v23, v[1:2]
.LBB48_257:
	s_wait_alu 0xfffe
	s_or_b32 exec_lo, exec_lo, s0
	s_wait_storecnt_dscnt 0x0
	s_barrier_signal -1
	s_barrier_wait -1
	global_inv scope:SCOPE_SE
	s_clause 0xc
	scratch_load_b128 v[2:5], off, off offset:208
	scratch_load_b128 v[6:9], off, off offset:224
	;; [unrolled: 1-line block ×11, first 2 shown]
	scratch_load_b64 v[190:191], off, off offset:384
	scratch_load_b64 v[192:193], off, off offset:200
	v_mov_b32_e32 v1, 0
	ds_load_b128 v[146:149], v1 offset:608
	ds_load_b128 v[150:153], v1 offset:624
	;; [unrolled: 1-line block ×11, first 2 shown]
	ds_load_b64 v[194:195], v1 offset:784
	s_mov_b32 s0, exec_lo
	s_wait_loadcnt_dscnt 0xc0b
	v_mul_f32_e32 v22, v146, v3
	s_wait_loadcnt_dscnt 0xb0a
	v_dual_mul_f32 v196, v148, v5 :: v_dual_mul_f32 v197, v150, v7
	v_mul_f32_e32 v5, v149, v5
	s_wait_loadcnt_dscnt 0xa09
	v_dual_mul_f32 v198, v152, v9 :: v_dual_mul_f32 v199, v154, v11
	v_mul_f32_e32 v3, v147, v3
	v_fmac_f32_e32 v22, v147, v2
	s_wait_loadcnt_dscnt 0x908
	v_dual_mul_f32 v200, v156, v13 :: v_dual_mul_f32 v201, v158, v15
	s_wait_loadcnt_dscnt 0x100
	v_dual_mul_f32 v214, v184, v141 :: v_dual_mul_f32 v217, v194, v191
	v_fma_f32 v3, v146, v2, -v3
	v_mul_f32_e32 v2, v151, v7
	v_fmac_f32_e32 v196, v149, v4
	v_fma_f32 v4, v148, v4, -v5
	v_dual_add_f32 v5, 0, v22 :: v_dual_fmac_f32 v198, v153, v8
	v_add_f32_e32 v3, 0, v3
	v_fmac_f32_e32 v197, v151, v6
	v_fma_f32 v2, v150, v6, -v2
	v_dual_fmac_f32 v199, v155, v10 :: v_dual_fmac_f32 v200, v157, v12
	s_delay_alu instid0(VALU_DEP_4) | instskip(SKIP_3) | instid1(VALU_DEP_4)
	v_add_f32_e32 v3, v3, v4
	v_mul_f32_e32 v7, v153, v9
	v_add_f32_e32 v4, v5, v196
	v_dual_mul_f32 v202, v160, v17 :: v_dual_mul_f32 v203, v162, v19
	v_add_f32_e32 v2, v3, v2
	s_delay_alu instid0(VALU_DEP_4)
	v_fma_f32 v6, v152, v8, -v7
	v_mul_f32_e32 v5, v155, v11
	v_add_f32_e32 v3, v4, v197
	v_dual_mul_f32 v4, v157, v13 :: v_dual_fmac_f32 v201, v159, v14
	v_fmac_f32_e32 v202, v161, v16
	v_add_f32_e32 v2, v2, v6
	v_fma_f32 v5, v154, v10, -v5
	v_mul_f32_e32 v6, v159, v15
	v_add_f32_e32 v3, v3, v198
	v_fma_f32 v4, v156, v12, -v4
	v_dual_mul_f32 v204, v164, v21 :: v_dual_mul_f32 v205, v166, v123
	s_delay_alu instid0(VALU_DEP_3) | instskip(SKIP_2) | instid1(VALU_DEP_3)
	v_dual_add_f32 v2, v2, v5 :: v_dual_add_f32 v3, v3, v199
	v_mul_f32_e32 v5, v161, v17
	v_fma_f32 v6, v158, v14, -v6
	v_dual_fmac_f32 v203, v163, v18 :: v_dual_add_f32 v2, v2, v4
	s_delay_alu instid0(VALU_DEP_4) | instskip(SKIP_3) | instid1(VALU_DEP_4)
	v_add_f32_e32 v3, v3, v200
	v_mul_f32_e32 v4, v163, v19
	v_fma_f32 v5, v160, v16, -v5
	v_fmac_f32_e32 v204, v165, v20
	v_dual_add_f32 v2, v2, v6 :: v_dual_add_f32 v3, v3, v201
	v_mul_f32_e32 v6, v165, v21
	v_fma_f32 v4, v162, v18, -v4
	v_dual_mul_f32 v206, v168, v125 :: v_dual_mul_f32 v207, v170, v127
	s_delay_alu instid0(VALU_DEP_4) | instskip(SKIP_2) | instid1(VALU_DEP_4)
	v_dual_add_f32 v2, v2, v5 :: v_dual_add_f32 v3, v3, v202
	v_mul_f32_e32 v5, v167, v123
	v_fma_f32 v6, v164, v20, -v6
	v_dual_fmac_f32 v205, v167, v122 :: v_dual_fmac_f32 v206, v169, v124
	s_delay_alu instid0(VALU_DEP_4) | instskip(SKIP_3) | instid1(VALU_DEP_4)
	v_dual_add_f32 v2, v2, v4 :: v_dual_add_f32 v3, v3, v203
	v_mul_f32_e32 v4, v169, v125
	v_fma_f32 v5, v166, v122, -v5
	v_fmac_f32_e32 v207, v171, v126
	v_dual_add_f32 v2, v2, v6 :: v_dual_add_f32 v3, v3, v204
	v_mul_f32_e32 v6, v171, v127
	v_fma_f32 v4, v168, v124, -v4
	v_dual_mul_f32 v208, v172, v129 :: v_dual_mul_f32 v209, v174, v131
	s_delay_alu instid0(VALU_DEP_4) | instskip(SKIP_4) | instid1(VALU_DEP_4)
	v_add_f32_e32 v2, v2, v5
	v_add_f32_e32 v3, v3, v205
	v_mul_f32_e32 v5, v173, v129
	v_fma_f32 v6, v170, v126, -v6
	v_fmac_f32_e32 v208, v173, v128
	v_dual_add_f32 v2, v2, v4 :: v_dual_add_f32 v3, v3, v206
	v_mul_f32_e32 v4, v175, v131
	v_fma_f32 v5, v172, v128, -v5
	v_dual_mul_f32 v210, v176, v133 :: v_dual_mul_f32 v211, v178, v135
	s_delay_alu instid0(VALU_DEP_4) | instskip(SKIP_2) | instid1(VALU_DEP_3)
	v_dual_add_f32 v2, v2, v6 :: v_dual_add_f32 v3, v3, v207
	v_dual_mul_f32 v6, v177, v133 :: v_dual_fmac_f32 v209, v175, v130
	v_fma_f32 v4, v174, v130, -v4
	v_dual_add_f32 v2, v2, v5 :: v_dual_add_f32 v3, v3, v208
	v_dual_mul_f32 v212, v180, v137 :: v_dual_mul_f32 v213, v182, v139
	v_dual_mul_f32 v5, v179, v135 :: v_dual_fmac_f32 v210, v177, v132
	v_fma_f32 v6, v176, v132, -v6
	s_delay_alu instid0(VALU_DEP_4) | instskip(SKIP_1) | instid1(VALU_DEP_4)
	v_dual_add_f32 v2, v2, v4 :: v_dual_add_f32 v3, v3, v209
	v_dual_mul_f32 v4, v181, v137 :: v_dual_fmac_f32 v211, v179, v134
	v_fma_f32 v5, v178, v134, -v5
	s_delay_alu instid0(VALU_DEP_3) | instskip(NEXT) | instid1(VALU_DEP_4)
	v_dual_fmac_f32 v212, v181, v136 :: v_dual_add_f32 v3, v3, v210
	v_add_f32_e32 v2, v2, v6
	v_mul_f32_e32 v6, v183, v139
	v_fma_f32 v4, v180, v136, -v4
	v_fmac_f32_e32 v213, v183, v138
	s_delay_alu instid0(VALU_DEP_4) | instskip(SKIP_3) | instid1(VALU_DEP_4)
	v_dual_add_f32 v3, v3, v211 :: v_dual_add_f32 v2, v2, v5
	v_mul_f32_e32 v5, v185, v141
	v_fma_f32 v6, v182, v138, -v6
	v_dual_mul_f32 v215, v186, v143 :: v_dual_mul_f32 v216, v188, v145
	v_add_f32_e32 v3, v3, v212
	v_add_f32_e32 v2, v2, v4
	v_mul_f32_e32 v4, v187, v143
	s_delay_alu instid0(VALU_DEP_4) | instskip(SKIP_1) | instid1(VALU_DEP_4)
	v_dual_fmac_f32 v214, v185, v140 :: v_dual_fmac_f32 v215, v187, v142
	v_fma_f32 v5, v184, v140, -v5
	v_dual_add_f32 v3, v3, v213 :: v_dual_add_f32 v2, v2, v6
	v_mul_f32_e32 v6, v189, v145
	v_fma_f32 v4, v186, v142, -v4
	v_fmac_f32_e32 v217, v195, v190
	s_delay_alu instid0(VALU_DEP_4) | instskip(SKIP_2) | instid1(VALU_DEP_3)
	v_dual_add_f32 v3, v3, v214 :: v_dual_add_f32 v2, v2, v5
	v_dual_mul_f32 v5, v195, v191 :: v_dual_fmac_f32 v216, v189, v144
	v_fma_f32 v6, v188, v144, -v6
	v_dual_add_f32 v3, v3, v215 :: v_dual_add_f32 v2, v2, v4
	s_delay_alu instid0(VALU_DEP_3) | instskip(NEXT) | instid1(VALU_DEP_2)
	v_fma_f32 v4, v194, v190, -v5
	v_dual_add_f32 v3, v3, v216 :: v_dual_add_f32 v2, v2, v6
	s_delay_alu instid0(VALU_DEP_1) | instskip(SKIP_1) | instid1(VALU_DEP_1)
	v_dual_add_f32 v3, v3, v217 :: v_dual_add_f32 v2, v2, v4
	s_wait_loadcnt 0x0
	v_dual_sub_f32 v3, v193, v3 :: v_dual_sub_f32 v2, v192, v2
	scratch_store_b64 off, v[2:3], off offset:200
	v_cmpx_lt_u32_e32 24, v0
	s_cbranch_execz .LBB48_259
; %bb.258:
	scratch_load_b64 v[3:4], off, off offset:192
	v_mov_b32_e32 v2, v1
	scratch_store_b64 off, v[1:2], off offset:192
	s_wait_loadcnt 0x0
	ds_store_b64 v23, v[3:4]
.LBB48_259:
	s_wait_alu 0xfffe
	s_or_b32 exec_lo, exec_lo, s0
	s_wait_storecnt_dscnt 0x0
	s_barrier_signal -1
	s_barrier_wait -1
	global_inv scope:SCOPE_SE
	s_clause 0xc
	scratch_load_b128 v[2:5], off, off offset:200
	scratch_load_b128 v[6:9], off, off offset:216
	;; [unrolled: 1-line block ×12, first 2 shown]
	scratch_load_b64 v[198:199], off, off offset:192
	ds_load_2addr_b64 v[150:153], v1 offset0:75 offset1:76
	ds_load_2addr_b64 v[154:157], v1 offset0:77 offset1:78
	;; [unrolled: 1-line block ×12, first 2 shown]
	s_mov_b32 s0, exec_lo
	s_wait_loadcnt_dscnt 0xc0b
	v_dual_mul_f32 v1, v150, v3 :: v_dual_mul_f32 v22, v152, v5
	v_mul_f32_e32 v3, v151, v3
	s_wait_loadcnt_dscnt 0xb0a
	v_dual_mul_f32 v5, v153, v5 :: v_dual_mul_f32 v200, v154, v7
	s_delay_alu instid0(VALU_DEP_3) | instskip(NEXT) | instid1(VALU_DEP_3)
	v_dual_mul_f32 v201, v156, v9 :: v_dual_fmac_f32 v22, v153, v4
	v_fma_f32 v3, v150, v2, -v3
	v_fmac_f32_e32 v1, v151, v2
	v_mul_f32_e32 v2, v155, v7
	v_fma_f32 v4, v152, v4, -v5
	s_delay_alu instid0(VALU_DEP_4)
	v_dual_fmac_f32 v200, v155, v6 :: v_dual_add_f32 v3, 0, v3
	s_wait_loadcnt_dscnt 0x807
	v_dual_mul_f32 v206, v166, v19 :: v_dual_mul_f32 v207, v168, v21
	v_fma_f32 v2, v154, v6, -v2
	v_dual_mul_f32 v202, v158, v11 :: v_dual_mul_f32 v203, v160, v13
	v_add_f32_e32 v3, v3, v4
	v_dual_mul_f32 v5, v157, v9 :: v_dual_mul_f32 v204, v162, v15
	v_dual_mul_f32 v205, v164, v17 :: v_dual_mul_f32 v4, v159, v11
	s_delay_alu instid0(VALU_DEP_3) | instskip(NEXT) | instid1(VALU_DEP_3)
	v_add_f32_e32 v2, v3, v2
	v_fma_f32 v5, v156, v8, -v5
	v_dual_mul_f32 v3, v161, v13 :: v_dual_fmac_f32 v206, v167, v18
	s_delay_alu instid0(VALU_DEP_4) | instskip(SKIP_1) | instid1(VALU_DEP_4)
	v_fma_f32 v4, v158, v10, -v4
	v_dual_fmac_f32 v201, v157, v8 :: v_dual_fmac_f32 v202, v159, v10
	v_add_f32_e32 v2, v2, v5
	v_add_f32_e32 v1, 0, v1
	v_fma_f32 v3, v160, v12, -v3
	v_fmac_f32_e32 v204, v163, v14
	s_wait_loadcnt_dscnt 0x706
	v_dual_mul_f32 v208, v170, v123 :: v_dual_mul_f32 v209, v172, v125
	v_dual_add_f32 v1, v1, v22 :: v_dual_add_f32 v2, v2, v4
	v_mul_f32_e32 v4, v165, v17
	s_wait_loadcnt_dscnt 0x504
	v_dual_mul_f32 v212, v178, v131 :: v_dual_mul_f32 v213, v180, v133
	s_delay_alu instid0(VALU_DEP_3) | instskip(NEXT) | instid1(VALU_DEP_3)
	v_dual_add_f32 v1, v1, v200 :: v_dual_add_f32 v2, v2, v3
	v_fma_f32 v4, v164, v16, -v4
	v_mul_f32_e32 v5, v163, v15
	v_dual_mul_f32 v210, v174, v127 :: v_dual_mul_f32 v211, v176, v129
	s_wait_loadcnt_dscnt 0x201
	v_dual_add_f32 v1, v1, v201 :: v_dual_mul_f32 v218, v190, v143
	v_mul_f32_e32 v219, v192, v145
	v_fma_f32 v5, v162, v14, -v5
	v_fmac_f32_e32 v203, v161, v12
	s_delay_alu instid0(VALU_DEP_4)
	v_add_f32_e32 v1, v1, v202
	v_fmac_f32_e32 v208, v171, v122
	v_dual_mul_f32 v214, v182, v135 :: v_dual_mul_f32 v215, v184, v137
	v_add_f32_e32 v2, v2, v5
	v_dual_fmac_f32 v210, v175, v126 :: v_dual_fmac_f32 v209, v173, v124
	v_dual_mul_f32 v216, v186, v139 :: v_dual_mul_f32 v217, v188, v141
	s_delay_alu instid0(VALU_DEP_3) | instskip(SKIP_2) | instid1(VALU_DEP_4)
	v_add_f32_e32 v2, v2, v4
	v_mul_f32_e32 v4, v171, v123
	v_add_f32_e32 v1, v1, v203
	v_dual_fmac_f32 v211, v177, v128 :: v_dual_fmac_f32 v216, v187, v138
	v_fmac_f32_e32 v213, v181, v132
	s_delay_alu instid0(VALU_DEP_4) | instskip(SKIP_4) | instid1(VALU_DEP_3)
	v_fma_f32 v4, v170, v122, -v4
	v_mul_f32_e32 v5, v169, v21
	s_wait_loadcnt_dscnt 0x100
	v_dual_add_f32 v1, v1, v204 :: v_dual_mul_f32 v220, v194, v147
	v_dual_mul_f32 v221, v196, v149 :: v_dual_fmac_f32 v212, v179, v130
	v_fma_f32 v5, v168, v20, -v5
	v_mul_f32_e32 v3, v167, v19
	v_fmac_f32_e32 v219, v193, v144
	s_delay_alu instid0(VALU_DEP_4) | instskip(SKIP_1) | instid1(VALU_DEP_4)
	v_dual_fmac_f32 v221, v197, v148 :: v_dual_fmac_f32 v218, v191, v142
	v_fmac_f32_e32 v214, v183, v134
	v_fma_f32 v3, v166, v18, -v3
	v_dual_fmac_f32 v205, v165, v16 :: v_dual_fmac_f32 v220, v195, v146
	s_delay_alu instid0(VALU_DEP_2) | instskip(NEXT) | instid1(VALU_DEP_1)
	v_dual_add_f32 v2, v2, v3 :: v_dual_mul_f32 v3, v173, v125
	v_dual_add_f32 v2, v2, v5 :: v_dual_mul_f32 v5, v175, v127
	s_delay_alu instid0(VALU_DEP_2) | instskip(NEXT) | instid1(VALU_DEP_2)
	v_fma_f32 v3, v172, v124, -v3
	v_dual_add_f32 v2, v2, v4 :: v_dual_add_f32 v1, v1, v205
	v_mul_f32_e32 v4, v177, v129
	s_delay_alu instid0(VALU_DEP_4) | instskip(NEXT) | instid1(VALU_DEP_3)
	v_fma_f32 v5, v174, v126, -v5
	v_dual_add_f32 v2, v2, v3 :: v_dual_fmac_f32 v207, v169, v20
	s_delay_alu instid0(VALU_DEP_3) | instskip(NEXT) | instid1(VALU_DEP_2)
	v_fma_f32 v4, v176, v128, -v4
	v_add_f32_e32 v2, v2, v5
	v_mul_f32_e32 v5, v181, v133
	s_delay_alu instid0(VALU_DEP_2) | instskip(NEXT) | instid1(VALU_DEP_2)
	v_dual_add_f32 v1, v1, v206 :: v_dual_add_f32 v2, v2, v4
	v_fma_f32 v5, v180, v132, -v5
	v_mul_f32_e32 v3, v179, v131
	s_delay_alu instid0(VALU_DEP_3) | instskip(SKIP_1) | instid1(VALU_DEP_3)
	v_add_f32_e32 v1, v1, v207
	v_mul_f32_e32 v4, v183, v135
	v_fma_f32 v3, v178, v130, -v3
	s_delay_alu instid0(VALU_DEP_3) | instskip(NEXT) | instid1(VALU_DEP_3)
	v_add_f32_e32 v1, v1, v208
	v_fma_f32 v4, v182, v134, -v4
	s_delay_alu instid0(VALU_DEP_3) | instskip(NEXT) | instid1(VALU_DEP_1)
	v_add_f32_e32 v2, v2, v3
	v_add_f32_e32 v2, v2, v5
	s_delay_alu instid0(VALU_DEP_4) | instskip(NEXT) | instid1(VALU_DEP_2)
	v_add_f32_e32 v1, v1, v209
	v_dual_mul_f32 v5, v187, v139 :: v_dual_add_f32 v2, v2, v4
	v_mul_f32_e32 v4, v189, v141
	s_delay_alu instid0(VALU_DEP_2) | instskip(NEXT) | instid1(VALU_DEP_2)
	v_fma_f32 v5, v186, v138, -v5
	v_fma_f32 v4, v188, v140, -v4
	v_mul_f32_e32 v3, v185, v137
	s_delay_alu instid0(VALU_DEP_1) | instskip(NEXT) | instid1(VALU_DEP_1)
	v_fma_f32 v3, v184, v136, -v3
	v_dual_add_f32 v1, v1, v210 :: v_dual_add_f32 v2, v2, v3
	s_delay_alu instid0(VALU_DEP_1) | instskip(NEXT) | instid1(VALU_DEP_2)
	v_add_f32_e32 v1, v1, v211
	v_dual_mul_f32 v3, v191, v143 :: v_dual_add_f32 v2, v2, v5
	v_mul_f32_e32 v5, v193, v145
	s_delay_alu instid0(VALU_DEP_2) | instskip(NEXT) | instid1(VALU_DEP_3)
	v_fma_f32 v3, v190, v142, -v3
	v_add_f32_e32 v2, v2, v4
	v_dual_add_f32 v1, v1, v212 :: v_dual_mul_f32 v4, v195, v147
	s_delay_alu instid0(VALU_DEP_4) | instskip(NEXT) | instid1(VALU_DEP_2)
	v_fma_f32 v5, v192, v144, -v5
	v_dual_add_f32 v2, v2, v3 :: v_dual_add_f32 v1, v1, v213
	v_fmac_f32_e32 v215, v185, v136
	s_delay_alu instid0(VALU_DEP_4) | instskip(SKIP_1) | instid1(VALU_DEP_4)
	v_fma_f32 v4, v194, v146, -v4
	v_mul_f32_e32 v3, v197, v149
	v_dual_add_f32 v2, v2, v5 :: v_dual_add_f32 v1, v1, v214
	s_delay_alu instid0(VALU_DEP_2) | instskip(NEXT) | instid1(VALU_DEP_2)
	v_fma_f32 v3, v196, v148, -v3
	v_dual_add_f32 v2, v2, v4 :: v_dual_add_f32 v1, v1, v215
	s_delay_alu instid0(VALU_DEP_1) | instskip(NEXT) | instid1(VALU_DEP_2)
	v_dual_fmac_f32 v217, v189, v140 :: v_dual_add_f32 v2, v2, v3
	v_add_f32_e32 v1, v1, v216
	s_delay_alu instid0(VALU_DEP_1) | instskip(NEXT) | instid1(VALU_DEP_1)
	v_add_f32_e32 v1, v1, v217
	v_add_f32_e32 v1, v1, v218
	s_delay_alu instid0(VALU_DEP_1) | instskip(NEXT) | instid1(VALU_DEP_1)
	v_add_f32_e32 v1, v1, v219
	v_add_f32_e32 v1, v1, v220
	s_delay_alu instid0(VALU_DEP_1) | instskip(SKIP_1) | instid1(VALU_DEP_1)
	v_add_f32_e32 v3, v1, v221
	s_wait_loadcnt 0x0
	v_dual_sub_f32 v1, v198, v2 :: v_dual_sub_f32 v2, v199, v3
	scratch_store_b64 off, v[1:2], off offset:192
	v_cmpx_lt_u32_e32 23, v0
	s_cbranch_execz .LBB48_261
; %bb.260:
	scratch_load_b64 v[1:2], off, off offset:184
	v_mov_b32_e32 v3, 0
	s_delay_alu instid0(VALU_DEP_1)
	v_mov_b32_e32 v4, v3
	scratch_store_b64 off, v[3:4], off offset:184
	s_wait_loadcnt 0x0
	ds_store_b64 v23, v[1:2]
.LBB48_261:
	s_wait_alu 0xfffe
	s_or_b32 exec_lo, exec_lo, s0
	s_wait_storecnt_dscnt 0x0
	s_barrier_signal -1
	s_barrier_wait -1
	global_inv scope:SCOPE_SE
	s_clause 0xd
	scratch_load_b128 v[2:5], off, off offset:192
	scratch_load_b128 v[6:9], off, off offset:208
	;; [unrolled: 1-line block ×12, first 2 shown]
	scratch_load_b64 v[198:199], off, off offset:384
	scratch_load_b64 v[200:201], off, off offset:184
	v_mov_b32_e32 v1, 0
	ds_load_b128 v[150:153], v1 offset:592
	ds_load_b128 v[154:157], v1 offset:608
	;; [unrolled: 1-line block ×12, first 2 shown]
	ds_load_b64 v[202:203], v1 offset:784
	s_mov_b32 s0, exec_lo
	s_wait_loadcnt_dscnt 0xd0c
	v_mul_f32_e32 v22, v150, v3
	s_wait_loadcnt_dscnt 0xc0b
	v_dual_mul_f32 v204, v152, v5 :: v_dual_mul_f32 v205, v154, v7
	v_mul_f32_e32 v5, v153, v5
	s_wait_loadcnt_dscnt 0xb0a
	v_dual_mul_f32 v206, v156, v9 :: v_dual_mul_f32 v207, v158, v11
	v_dual_mul_f32 v3, v151, v3 :: v_dual_mul_f32 v208, v160, v13
	s_wait_loadcnt_dscnt 0xa09
	v_dual_mul_f32 v209, v162, v15 :: v_dual_fmac_f32 v22, v151, v2
	s_wait_loadcnt_dscnt 0x302
	v_mul_f32_e32 v224, v192, v145
	v_fma_f32 v3, v150, v2, -v3
	s_wait_loadcnt_dscnt 0x100
	v_mul_f32_e32 v227, v202, v199
	v_mul_f32_e32 v2, v155, v7
	v_fmac_f32_e32 v204, v153, v4
	v_fma_f32 v4, v152, v4, -v5
	v_add_f32_e32 v3, 0, v3
	v_dual_add_f32 v5, 0, v22 :: v_dual_fmac_f32 v206, v157, v8
	v_fmac_f32_e32 v205, v155, v6
	v_fma_f32 v2, v154, v6, -v2
	s_delay_alu instid0(VALU_DEP_4) | instskip(SKIP_3) | instid1(VALU_DEP_4)
	v_add_f32_e32 v3, v3, v4
	v_mul_f32_e32 v7, v157, v9
	v_dual_add_f32 v4, v5, v204 :: v_dual_fmac_f32 v207, v159, v10
	v_fmac_f32_e32 v208, v161, v12
	v_add_f32_e32 v2, v3, v2
	s_delay_alu instid0(VALU_DEP_4)
	v_fma_f32 v6, v156, v8, -v7
	v_mul_f32_e32 v5, v159, v11
	v_add_f32_e32 v3, v4, v205
	v_mul_f32_e32 v4, v161, v13
	v_dual_mul_f32 v210, v164, v17 :: v_dual_mul_f32 v211, v166, v19
	v_add_f32_e32 v2, v2, v6
	v_fma_f32 v5, v158, v10, -v5
	v_mul_f32_e32 v6, v163, v15
	v_add_f32_e32 v3, v3, v206
	v_fma_f32 v4, v160, v12, -v4
	v_dual_fmac_f32 v209, v163, v14 :: v_dual_fmac_f32 v210, v165, v16
	s_delay_alu instid0(VALU_DEP_3) | instskip(SKIP_3) | instid1(VALU_DEP_4)
	v_dual_add_f32 v2, v2, v5 :: v_dual_add_f32 v3, v3, v207
	v_mul_f32_e32 v5, v165, v17
	v_fma_f32 v6, v162, v14, -v6
	v_dual_mul_f32 v212, v168, v21 :: v_dual_mul_f32 v213, v170, v123
	v_add_f32_e32 v2, v2, v4
	v_add_f32_e32 v3, v3, v208
	v_mul_f32_e32 v4, v167, v19
	v_fma_f32 v5, v164, v16, -v5
	v_fmac_f32_e32 v211, v167, v18
	s_delay_alu instid0(VALU_DEP_4) | instskip(SKIP_3) | instid1(VALU_DEP_4)
	v_dual_add_f32 v2, v2, v6 :: v_dual_add_f32 v3, v3, v209
	v_fmac_f32_e32 v212, v169, v20
	v_mul_f32_e32 v6, v169, v21
	v_fma_f32 v4, v166, v18, -v4
	v_dual_add_f32 v2, v2, v5 :: v_dual_add_f32 v3, v3, v210
	v_mul_f32_e32 v5, v171, v123
	s_delay_alu instid0(VALU_DEP_4) | instskip(SKIP_1) | instid1(VALU_DEP_4)
	v_fma_f32 v6, v168, v20, -v6
	v_dual_mul_f32 v214, v172, v125 :: v_dual_mul_f32 v215, v174, v127
	v_dual_add_f32 v2, v2, v4 :: v_dual_add_f32 v3, v3, v211
	v_dual_mul_f32 v4, v173, v125 :: v_dual_fmac_f32 v213, v171, v122
	s_delay_alu instid0(VALU_DEP_3) | instskip(SKIP_1) | instid1(VALU_DEP_4)
	v_fmac_f32_e32 v214, v173, v124
	v_fma_f32 v5, v170, v122, -v5
	v_dual_add_f32 v2, v2, v6 :: v_dual_add_f32 v3, v3, v212
	v_mul_f32_e32 v6, v175, v127
	v_fma_f32 v4, v172, v124, -v4
	s_delay_alu instid0(VALU_DEP_3) | instskip(NEXT) | instid1(VALU_DEP_4)
	v_dual_fmac_f32 v215, v175, v126 :: v_dual_add_f32 v2, v2, v5
	v_add_f32_e32 v3, v3, v213
	v_dual_mul_f32 v216, v176, v129 :: v_dual_mul_f32 v217, v178, v131
	v_mul_f32_e32 v5, v177, v129
	v_fma_f32 v6, v174, v126, -v6
	s_delay_alu instid0(VALU_DEP_4) | instskip(NEXT) | instid1(VALU_DEP_4)
	v_dual_add_f32 v2, v2, v4 :: v_dual_add_f32 v3, v3, v214
	v_fmac_f32_e32 v216, v177, v128
	v_mul_f32_e32 v4, v179, v131
	v_fma_f32 v5, v176, v128, -v5
	s_delay_alu instid0(VALU_DEP_4) | instskip(SKIP_3) | instid1(VALU_DEP_4)
	v_dual_add_f32 v2, v2, v6 :: v_dual_add_f32 v3, v3, v215
	v_dual_mul_f32 v218, v180, v133 :: v_dual_mul_f32 v219, v182, v135
	v_dual_mul_f32 v6, v181, v133 :: v_dual_fmac_f32 v217, v179, v130
	v_fma_f32 v4, v178, v130, -v4
	v_dual_add_f32 v2, v2, v5 :: v_dual_add_f32 v3, v3, v216
	v_dual_mul_f32 v220, v184, v137 :: v_dual_mul_f32 v221, v186, v139
	v_dual_mul_f32 v5, v183, v135 :: v_dual_fmac_f32 v218, v181, v132
	v_fma_f32 v6, v180, v132, -v6
	s_delay_alu instid0(VALU_DEP_4) | instskip(SKIP_1) | instid1(VALU_DEP_4)
	v_dual_add_f32 v2, v2, v4 :: v_dual_add_f32 v3, v3, v217
	v_dual_mul_f32 v4, v185, v137 :: v_dual_fmac_f32 v219, v183, v134
	v_fma_f32 v5, v182, v134, -v5
	s_delay_alu instid0(VALU_DEP_3) | instskip(NEXT) | instid1(VALU_DEP_4)
	v_dual_fmac_f32 v220, v185, v136 :: v_dual_add_f32 v3, v3, v218
	v_add_f32_e32 v2, v2, v6
	v_mul_f32_e32 v6, v187, v139
	v_fma_f32 v4, v184, v136, -v4
	v_dual_mul_f32 v222, v188, v141 :: v_dual_mul_f32 v223, v190, v143
	s_delay_alu instid0(VALU_DEP_4) | instskip(SKIP_3) | instid1(VALU_DEP_4)
	v_dual_add_f32 v3, v3, v219 :: v_dual_add_f32 v2, v2, v5
	v_fmac_f32_e32 v221, v187, v138
	v_mul_f32_e32 v5, v189, v141
	v_fma_f32 v6, v186, v138, -v6
	v_add_f32_e32 v3, v3, v220
	v_add_f32_e32 v2, v2, v4
	v_mul_f32_e32 v4, v191, v143
	v_dual_fmac_f32 v222, v189, v140 :: v_dual_fmac_f32 v223, v191, v142
	v_fma_f32 v5, v188, v140, -v5
	s_delay_alu instid0(VALU_DEP_4) | instskip(SKIP_3) | instid1(VALU_DEP_4)
	v_dual_add_f32 v3, v3, v221 :: v_dual_add_f32 v2, v2, v6
	v_mul_f32_e32 v6, v193, v145
	v_fma_f32 v4, v190, v142, -v4
	v_dual_mul_f32 v225, v194, v147 :: v_dual_mul_f32 v226, v196, v149
	v_dual_add_f32 v2, v2, v5 :: v_dual_mul_f32 v5, v195, v147
	v_dual_add_f32 v3, v3, v222 :: v_dual_fmac_f32 v224, v193, v144
	v_fma_f32 v6, v192, v144, -v6
	s_delay_alu instid0(VALU_DEP_3) | instskip(NEXT) | instid1(VALU_DEP_3)
	v_dual_add_f32 v2, v2, v4 :: v_dual_fmac_f32 v225, v195, v146
	v_dual_add_f32 v3, v3, v223 :: v_dual_mul_f32 v4, v197, v149
	v_fma_f32 v5, v194, v146, -v5
	v_dual_fmac_f32 v226, v197, v148 :: v_dual_fmac_f32 v227, v203, v198
	s_delay_alu instid0(VALU_DEP_3) | instskip(SKIP_2) | instid1(VALU_DEP_3)
	v_dual_add_f32 v3, v3, v224 :: v_dual_add_f32 v2, v2, v6
	v_mul_f32_e32 v6, v203, v199
	v_fma_f32 v4, v196, v148, -v4
	v_add_f32_e32 v3, v3, v225
	s_delay_alu instid0(VALU_DEP_4) | instskip(NEXT) | instid1(VALU_DEP_4)
	v_add_f32_e32 v2, v2, v5
	v_fma_f32 v5, v202, v198, -v6
	s_delay_alu instid0(VALU_DEP_2) | instskip(NEXT) | instid1(VALU_DEP_1)
	v_dual_add_f32 v3, v3, v226 :: v_dual_add_f32 v2, v2, v4
	v_dual_add_f32 v3, v3, v227 :: v_dual_add_f32 v2, v2, v5
	s_wait_loadcnt 0x0
	s_delay_alu instid0(VALU_DEP_1)
	v_dual_sub_f32 v3, v201, v3 :: v_dual_sub_f32 v2, v200, v2
	scratch_store_b64 off, v[2:3], off offset:184
	v_cmpx_lt_u32_e32 22, v0
	s_cbranch_execz .LBB48_263
; %bb.262:
	scratch_load_b64 v[3:4], off, off offset:176
	v_mov_b32_e32 v2, v1
	scratch_store_b64 off, v[1:2], off offset:176
	s_wait_loadcnt 0x0
	ds_store_b64 v23, v[3:4]
.LBB48_263:
	s_wait_alu 0xfffe
	s_or_b32 exec_lo, exec_lo, s0
	s_wait_storecnt_dscnt 0x0
	s_barrier_signal -1
	s_barrier_wait -1
	global_inv scope:SCOPE_SE
	s_clause 0xd
	scratch_load_b128 v[2:5], off, off offset:184
	scratch_load_b128 v[6:9], off, off offset:200
	;; [unrolled: 1-line block ×13, first 2 shown]
	scratch_load_b64 v[206:207], off, off offset:176
	ds_load_2addr_b64 v[154:157], v1 offset0:73 offset1:74
	ds_load_2addr_b64 v[158:161], v1 offset0:75 offset1:76
	;; [unrolled: 1-line block ×13, first 2 shown]
	s_mov_b32 s0, exec_lo
	s_wait_loadcnt_dscnt 0xd0c
	v_dual_mul_f32 v1, v154, v3 :: v_dual_mul_f32 v22, v156, v5
	v_mul_f32_e32 v3, v155, v3
	s_wait_loadcnt_dscnt 0xc0b
	v_dual_mul_f32 v5, v157, v5 :: v_dual_mul_f32 v208, v158, v7
	s_delay_alu instid0(VALU_DEP_3) | instskip(NEXT) | instid1(VALU_DEP_3)
	v_dual_mul_f32 v209, v160, v9 :: v_dual_fmac_f32 v22, v157, v4
	v_fma_f32 v3, v154, v2, -v3
	v_fmac_f32_e32 v1, v155, v2
	v_mul_f32_e32 v2, v159, v7
	v_fma_f32 v4, v156, v4, -v5
	s_delay_alu instid0(VALU_DEP_4)
	v_dual_fmac_f32 v208, v159, v6 :: v_dual_add_f32 v3, 0, v3
	s_wait_loadcnt_dscnt 0x908
	v_dual_mul_f32 v214, v170, v19 :: v_dual_mul_f32 v215, v172, v21
	v_fma_f32 v2, v158, v6, -v2
	v_dual_mul_f32 v210, v162, v11 :: v_dual_mul_f32 v211, v164, v13
	v_add_f32_e32 v3, v3, v4
	v_dual_mul_f32 v5, v161, v9 :: v_dual_mul_f32 v212, v166, v15
	v_dual_mul_f32 v213, v168, v17 :: v_dual_mul_f32 v4, v163, v11
	s_delay_alu instid0(VALU_DEP_3) | instskip(NEXT) | instid1(VALU_DEP_3)
	v_add_f32_e32 v2, v3, v2
	v_fma_f32 v5, v160, v8, -v5
	v_dual_mul_f32 v3, v165, v13 :: v_dual_fmac_f32 v214, v171, v18
	s_delay_alu instid0(VALU_DEP_4) | instskip(SKIP_1) | instid1(VALU_DEP_4)
	v_fma_f32 v4, v162, v10, -v4
	v_dual_fmac_f32 v209, v161, v8 :: v_dual_fmac_f32 v210, v163, v10
	v_add_f32_e32 v2, v2, v5
	v_add_f32_e32 v1, 0, v1
	v_fma_f32 v3, v164, v12, -v3
	v_fmac_f32_e32 v212, v167, v14
	s_wait_loadcnt_dscnt 0x807
	v_dual_mul_f32 v216, v174, v123 :: v_dual_mul_f32 v217, v176, v125
	v_dual_add_f32 v1, v1, v22 :: v_dual_add_f32 v2, v2, v4
	v_mul_f32_e32 v4, v169, v17
	s_wait_loadcnt_dscnt 0x605
	v_dual_mul_f32 v220, v182, v131 :: v_dual_mul_f32 v221, v184, v133
	s_delay_alu instid0(VALU_DEP_3) | instskip(NEXT) | instid1(VALU_DEP_3)
	v_dual_add_f32 v1, v1, v208 :: v_dual_add_f32 v2, v2, v3
	v_fma_f32 v4, v168, v16, -v4
	v_mul_f32_e32 v5, v167, v15
	v_dual_mul_f32 v218, v178, v127 :: v_dual_mul_f32 v219, v180, v129
	s_wait_loadcnt_dscnt 0x302
	v_dual_add_f32 v1, v1, v209 :: v_dual_mul_f32 v226, v194, v143
	v_mul_f32_e32 v227, v196, v145
	v_fma_f32 v5, v166, v14, -v5
	v_fmac_f32_e32 v211, v165, v12
	s_delay_alu instid0(VALU_DEP_4)
	v_add_f32_e32 v1, v1, v210
	v_fmac_f32_e32 v216, v175, v122
	v_dual_mul_f32 v222, v186, v135 :: v_dual_mul_f32 v223, v188, v137
	v_add_f32_e32 v2, v2, v5
	v_dual_fmac_f32 v218, v179, v126 :: v_dual_fmac_f32 v217, v177, v124
	v_dual_mul_f32 v224, v190, v139 :: v_dual_mul_f32 v225, v192, v141
	s_delay_alu instid0(VALU_DEP_3) | instskip(SKIP_2) | instid1(VALU_DEP_4)
	v_add_f32_e32 v2, v2, v4
	v_mul_f32_e32 v4, v175, v123
	v_add_f32_e32 v1, v1, v211
	v_dual_fmac_f32 v219, v181, v128 :: v_dual_fmac_f32 v224, v191, v138
	v_fmac_f32_e32 v221, v185, v132
	s_delay_alu instid0(VALU_DEP_4) | instskip(SKIP_4) | instid1(VALU_DEP_3)
	v_fma_f32 v4, v174, v122, -v4
	v_mul_f32_e32 v5, v173, v21
	s_wait_loadcnt_dscnt 0x201
	v_dual_add_f32 v1, v1, v212 :: v_dual_mul_f32 v228, v198, v147
	v_dual_mul_f32 v229, v200, v149 :: v_dual_fmac_f32 v220, v183, v130
	v_fma_f32 v5, v172, v20, -v5
	v_mul_f32_e32 v3, v171, v19
	s_wait_loadcnt_dscnt 0x100
	v_dual_mul_f32 v230, v202, v151 :: v_dual_mul_f32 v231, v204, v153
	v_fmac_f32_e32 v227, v197, v144
	v_fmac_f32_e32 v229, v201, v148
	v_fma_f32 v3, v170, v18, -v3
	v_fmac_f32_e32 v213, v169, v16
	v_dual_fmac_f32 v231, v205, v152 :: v_dual_fmac_f32 v226, v195, v142
	v_fmac_f32_e32 v222, v187, v134
	s_delay_alu instid0(VALU_DEP_4) | instskip(SKIP_2) | instid1(VALU_DEP_3)
	v_dual_add_f32 v2, v2, v3 :: v_dual_mul_f32 v3, v177, v125
	v_fmac_f32_e32 v228, v199, v146
	v_fmac_f32_e32 v230, v203, v150
	v_dual_add_f32 v2, v2, v5 :: v_dual_mul_f32 v5, v179, v127
	s_delay_alu instid0(VALU_DEP_4) | instskip(NEXT) | instid1(VALU_DEP_2)
	v_fma_f32 v3, v176, v124, -v3
	v_dual_add_f32 v2, v2, v4 :: v_dual_add_f32 v1, v1, v213
	v_mul_f32_e32 v4, v181, v129
	s_delay_alu instid0(VALU_DEP_4) | instskip(NEXT) | instid1(VALU_DEP_3)
	v_fma_f32 v5, v178, v126, -v5
	v_dual_add_f32 v2, v2, v3 :: v_dual_fmac_f32 v215, v173, v20
	s_delay_alu instid0(VALU_DEP_3) | instskip(NEXT) | instid1(VALU_DEP_2)
	v_fma_f32 v4, v180, v128, -v4
	v_add_f32_e32 v2, v2, v5
	v_mul_f32_e32 v5, v185, v133
	s_delay_alu instid0(VALU_DEP_2) | instskip(NEXT) | instid1(VALU_DEP_2)
	v_dual_add_f32 v1, v1, v214 :: v_dual_add_f32 v2, v2, v4
	v_fma_f32 v5, v184, v132, -v5
	v_mul_f32_e32 v3, v183, v131
	s_delay_alu instid0(VALU_DEP_3) | instskip(SKIP_1) | instid1(VALU_DEP_3)
	v_add_f32_e32 v1, v1, v215
	v_mul_f32_e32 v4, v187, v135
	v_fma_f32 v3, v182, v130, -v3
	s_delay_alu instid0(VALU_DEP_3) | instskip(NEXT) | instid1(VALU_DEP_3)
	v_add_f32_e32 v1, v1, v216
	v_fma_f32 v4, v186, v134, -v4
	s_delay_alu instid0(VALU_DEP_3) | instskip(NEXT) | instid1(VALU_DEP_1)
	v_add_f32_e32 v2, v2, v3
	v_add_f32_e32 v2, v2, v5
	s_delay_alu instid0(VALU_DEP_4) | instskip(NEXT) | instid1(VALU_DEP_2)
	v_add_f32_e32 v1, v1, v217
	v_dual_mul_f32 v5, v191, v139 :: v_dual_add_f32 v2, v2, v4
	v_mul_f32_e32 v4, v193, v141
	s_delay_alu instid0(VALU_DEP_2) | instskip(NEXT) | instid1(VALU_DEP_2)
	v_fma_f32 v5, v190, v138, -v5
	v_fma_f32 v4, v192, v140, -v4
	v_mul_f32_e32 v3, v189, v137
	s_delay_alu instid0(VALU_DEP_1) | instskip(NEXT) | instid1(VALU_DEP_1)
	v_fma_f32 v3, v188, v136, -v3
	v_dual_add_f32 v1, v1, v218 :: v_dual_add_f32 v2, v2, v3
	s_delay_alu instid0(VALU_DEP_1) | instskip(NEXT) | instid1(VALU_DEP_2)
	v_add_f32_e32 v1, v1, v219
	v_dual_mul_f32 v3, v195, v143 :: v_dual_add_f32 v2, v2, v5
	v_mul_f32_e32 v5, v197, v145
	s_delay_alu instid0(VALU_DEP_2) | instskip(NEXT) | instid1(VALU_DEP_3)
	v_fma_f32 v3, v194, v142, -v3
	v_add_f32_e32 v2, v2, v4
	v_dual_add_f32 v1, v1, v220 :: v_dual_mul_f32 v4, v199, v147
	s_delay_alu instid0(VALU_DEP_4) | instskip(NEXT) | instid1(VALU_DEP_2)
	v_fma_f32 v5, v196, v144, -v5
	v_dual_add_f32 v2, v2, v3 :: v_dual_add_f32 v1, v1, v221
	v_fmac_f32_e32 v223, v189, v136
	v_mul_f32_e32 v3, v201, v149
	v_fma_f32 v4, v198, v146, -v4
	s_delay_alu instid0(VALU_DEP_4) | instskip(SKIP_1) | instid1(VALU_DEP_4)
	v_dual_add_f32 v2, v2, v5 :: v_dual_add_f32 v1, v1, v222
	v_mul_f32_e32 v5, v203, v151
	v_fma_f32 v3, v200, v148, -v3
	s_delay_alu instid0(VALU_DEP_3) | instskip(SKIP_1) | instid1(VALU_DEP_4)
	v_dual_add_f32 v2, v2, v4 :: v_dual_add_f32 v1, v1, v223
	v_fmac_f32_e32 v225, v193, v140
	v_fma_f32 v5, v202, v150, -v5
	v_mul_f32_e32 v4, v205, v153
	s_delay_alu instid0(VALU_DEP_4) | instskip(NEXT) | instid1(VALU_DEP_2)
	v_dual_add_f32 v2, v2, v3 :: v_dual_add_f32 v1, v1, v224
	v_fma_f32 v3, v204, v152, -v4
	s_delay_alu instid0(VALU_DEP_2) | instskip(NEXT) | instid1(VALU_DEP_1)
	v_add_f32_e32 v2, v2, v5
	v_dual_add_f32 v1, v1, v225 :: v_dual_add_f32 v2, v2, v3
	s_delay_alu instid0(VALU_DEP_1) | instskip(NEXT) | instid1(VALU_DEP_1)
	v_add_f32_e32 v1, v1, v226
	v_add_f32_e32 v1, v1, v227
	s_delay_alu instid0(VALU_DEP_1) | instskip(NEXT) | instid1(VALU_DEP_1)
	v_add_f32_e32 v1, v1, v228
	v_add_f32_e32 v1, v1, v229
	;; [unrolled: 3-line block ×3, first 2 shown]
	s_wait_loadcnt 0x0
	s_delay_alu instid0(VALU_DEP_1)
	v_dual_sub_f32 v1, v206, v2 :: v_dual_sub_f32 v2, v207, v3
	scratch_store_b64 off, v[1:2], off offset:176
	v_cmpx_lt_u32_e32 21, v0
	s_cbranch_execz .LBB48_265
; %bb.264:
	scratch_load_b64 v[1:2], off, off offset:168
	v_mov_b32_e32 v3, 0
	s_delay_alu instid0(VALU_DEP_1)
	v_mov_b32_e32 v4, v3
	scratch_store_b64 off, v[3:4], off offset:168
	s_wait_loadcnt 0x0
	ds_store_b64 v23, v[1:2]
.LBB48_265:
	s_wait_alu 0xfffe
	s_or_b32 exec_lo, exec_lo, s0
	s_wait_storecnt_dscnt 0x0
	s_barrier_signal -1
	s_barrier_wait -1
	global_inv scope:SCOPE_SE
	s_clause 0xe
	scratch_load_b128 v[2:5], off, off offset:176
	scratch_load_b128 v[6:9], off, off offset:192
	;; [unrolled: 1-line block ×13, first 2 shown]
	scratch_load_b64 v[206:207], off, off offset:384
	scratch_load_b64 v[208:209], off, off offset:168
	v_mov_b32_e32 v1, 0
	ds_load_b128 v[154:157], v1 offset:576
	ds_load_b128 v[158:161], v1 offset:592
	;; [unrolled: 1-line block ×13, first 2 shown]
	ds_load_b64 v[210:211], v1 offset:784
	s_mov_b32 s0, exec_lo
	s_wait_loadcnt_dscnt 0xe0d
	v_mul_f32_e32 v22, v154, v3
	s_wait_loadcnt_dscnt 0xd0c
	v_dual_mul_f32 v212, v156, v5 :: v_dual_mul_f32 v213, v158, v7
	v_mul_f32_e32 v5, v157, v5
	s_wait_loadcnt_dscnt 0xc0b
	v_dual_mul_f32 v214, v160, v9 :: v_dual_mul_f32 v215, v162, v11
	s_wait_loadcnt_dscnt 0xb0a
	v_dual_mul_f32 v216, v164, v13 :: v_dual_mul_f32 v217, v166, v15
	v_mul_f32_e32 v3, v155, v3
	v_fmac_f32_e32 v22, v155, v2
	s_delay_alu instid0(VALU_DEP_3)
	v_dual_fmac_f32 v215, v163, v10 :: v_dual_fmac_f32 v216, v165, v12
	s_wait_loadcnt_dscnt 0x100
	v_dual_mul_f32 v234, v200, v149 :: v_dual_mul_f32 v237, v210, v207
	v_fma_f32 v3, v154, v2, -v3
	v_mul_f32_e32 v2, v159, v7
	v_fmac_f32_e32 v212, v157, v4
	v_fma_f32 v4, v156, v4, -v5
	v_dual_add_f32 v5, 0, v22 :: v_dual_fmac_f32 v214, v161, v8
	v_add_f32_e32 v3, 0, v3
	v_fmac_f32_e32 v213, v159, v6
	v_fma_f32 v2, v158, v6, -v2
	v_dual_mul_f32 v218, v168, v17 :: v_dual_mul_f32 v219, v170, v19
	s_delay_alu instid0(VALU_DEP_4) | instskip(SKIP_2) | instid1(VALU_DEP_4)
	v_add_f32_e32 v3, v3, v4
	v_mul_f32_e32 v7, v161, v9
	v_dual_add_f32 v4, v5, v212 :: v_dual_fmac_f32 v217, v167, v14
	v_fmac_f32_e32 v218, v169, v16
	s_delay_alu instid0(VALU_DEP_4) | instskip(NEXT) | instid1(VALU_DEP_4)
	v_add_f32_e32 v2, v3, v2
	v_fma_f32 v6, v160, v8, -v7
	v_mul_f32_e32 v5, v163, v11
	v_add_f32_e32 v3, v4, v213
	v_mul_f32_e32 v4, v165, v13
	v_dual_mul_f32 v220, v172, v21 :: v_dual_mul_f32 v221, v174, v123
	v_add_f32_e32 v2, v2, v6
	v_fma_f32 v5, v162, v10, -v5
	v_mul_f32_e32 v6, v167, v15
	v_add_f32_e32 v3, v3, v214
	v_fma_f32 v4, v164, v12, -v4
	v_dual_mul_f32 v222, v176, v125 :: v_dual_mul_f32 v223, v178, v127
	s_delay_alu instid0(VALU_DEP_3) | instskip(SKIP_2) | instid1(VALU_DEP_3)
	v_dual_add_f32 v2, v2, v5 :: v_dual_add_f32 v3, v3, v215
	v_mul_f32_e32 v5, v169, v17
	v_fma_f32 v6, v166, v14, -v6
	v_dual_fmac_f32 v219, v171, v18 :: v_dual_add_f32 v2, v2, v4
	s_delay_alu instid0(VALU_DEP_4) | instskip(SKIP_3) | instid1(VALU_DEP_4)
	v_add_f32_e32 v3, v3, v216
	v_mul_f32_e32 v4, v171, v19
	v_fma_f32 v5, v168, v16, -v5
	v_fmac_f32_e32 v220, v173, v20
	v_dual_add_f32 v2, v2, v6 :: v_dual_add_f32 v3, v3, v217
	v_mul_f32_e32 v6, v173, v21
	v_fma_f32 v4, v170, v18, -v4
	v_dual_fmac_f32 v221, v175, v122 :: v_dual_fmac_f32 v222, v177, v124
	s_delay_alu instid0(VALU_DEP_4) | instskip(SKIP_3) | instid1(VALU_DEP_4)
	v_dual_add_f32 v2, v2, v5 :: v_dual_add_f32 v3, v3, v218
	v_mul_f32_e32 v5, v175, v123
	v_fma_f32 v6, v172, v20, -v6
	v_dual_mul_f32 v224, v180, v129 :: v_dual_mul_f32 v225, v182, v131
	v_dual_add_f32 v2, v2, v4 :: v_dual_add_f32 v3, v3, v219
	v_mul_f32_e32 v4, v177, v125
	v_fma_f32 v5, v174, v122, -v5
	v_fmac_f32_e32 v223, v179, v126
	s_delay_alu instid0(VALU_DEP_4) | instskip(SKIP_3) | instid1(VALU_DEP_4)
	v_dual_add_f32 v2, v2, v6 :: v_dual_add_f32 v3, v3, v220
	v_mul_f32_e32 v6, v179, v127
	v_fma_f32 v4, v176, v124, -v4
	v_fmac_f32_e32 v224, v181, v128
	v_add_f32_e32 v2, v2, v5
	v_add_f32_e32 v3, v3, v221
	v_mul_f32_e32 v5, v181, v129
	v_fma_f32 v6, v178, v126, -v6
	v_dual_mul_f32 v226, v184, v133 :: v_dual_mul_f32 v227, v186, v135
	s_delay_alu instid0(VALU_DEP_4) | instskip(SKIP_3) | instid1(VALU_DEP_4)
	v_dual_add_f32 v2, v2, v4 :: v_dual_add_f32 v3, v3, v222
	v_mul_f32_e32 v4, v183, v131
	v_fma_f32 v5, v180, v128, -v5
	v_fmac_f32_e32 v225, v183, v130
	v_dual_add_f32 v2, v2, v6 :: v_dual_add_f32 v3, v3, v223
	v_mul_f32_e32 v6, v185, v133
	v_fma_f32 v4, v182, v130, -v4
	v_fmac_f32_e32 v226, v185, v132
	s_delay_alu instid0(VALU_DEP_4) | instskip(SKIP_2) | instid1(VALU_DEP_3)
	v_dual_add_f32 v2, v2, v5 :: v_dual_add_f32 v3, v3, v224
	v_dual_mul_f32 v5, v187, v135 :: v_dual_mul_f32 v228, v188, v137
	v_mul_f32_e32 v229, v190, v139
	v_dual_add_f32 v2, v2, v4 :: v_dual_add_f32 v3, v3, v225
	v_fma_f32 v6, v184, v132, -v6
	v_dual_mul_f32 v4, v189, v137 :: v_dual_fmac_f32 v227, v187, v134
	v_fma_f32 v5, v186, v134, -v5
	s_delay_alu instid0(VALU_DEP_4) | instskip(NEXT) | instid1(VALU_DEP_4)
	v_dual_add_f32 v3, v3, v226 :: v_dual_fmac_f32 v228, v189, v136
	v_add_f32_e32 v2, v2, v6
	v_mul_f32_e32 v6, v191, v139
	v_dual_mul_f32 v230, v192, v141 :: v_dual_mul_f32 v231, v194, v143
	s_delay_alu instid0(VALU_DEP_4) | instskip(SKIP_3) | instid1(VALU_DEP_4)
	v_add_f32_e32 v3, v3, v227
	v_fma_f32 v4, v188, v136, -v4
	v_dual_add_f32 v2, v2, v5 :: v_dual_fmac_f32 v229, v191, v138
	v_fma_f32 v6, v190, v138, -v6
	v_add_f32_e32 v3, v3, v228
	s_delay_alu instid0(VALU_DEP_3) | instskip(SKIP_1) | instid1(VALU_DEP_3)
	v_dual_mul_f32 v5, v193, v141 :: v_dual_add_f32 v2, v2, v4
	v_dual_fmac_f32 v230, v193, v140 :: v_dual_fmac_f32 v231, v195, v142
	v_add_f32_e32 v3, v3, v229
	v_dual_mul_f32 v232, v196, v145 :: v_dual_mul_f32 v233, v198, v147
	v_mul_f32_e32 v4, v195, v143
	v_fma_f32 v5, v192, v140, -v5
	v_add_f32_e32 v2, v2, v6
	v_dual_mul_f32 v6, v197, v145 :: v_dual_add_f32 v3, v3, v230
	s_delay_alu instid0(VALU_DEP_4) | instskip(SKIP_1) | instid1(VALU_DEP_4)
	v_fma_f32 v4, v194, v142, -v4
	v_fmac_f32_e32 v232, v197, v144
	v_dual_add_f32 v2, v2, v5 :: v_dual_mul_f32 v5, v199, v147
	s_delay_alu instid0(VALU_DEP_4) | instskip(SKIP_1) | instid1(VALU_DEP_3)
	v_add_f32_e32 v3, v3, v231
	v_fma_f32 v6, v196, v144, -v6
	v_dual_fmac_f32 v233, v199, v146 :: v_dual_add_f32 v2, v2, v4
	s_delay_alu instid0(VALU_DEP_3) | instskip(SKIP_2) | instid1(VALU_DEP_3)
	v_dual_mul_f32 v4, v201, v149 :: v_dual_add_f32 v3, v3, v232
	v_dual_mul_f32 v235, v202, v151 :: v_dual_mul_f32 v236, v204, v153
	v_fma_f32 v5, v198, v146, -v5
	v_dual_add_f32 v2, v2, v6 :: v_dual_add_f32 v3, v3, v233
	s_delay_alu instid0(VALU_DEP_3) | instskip(SKIP_2) | instid1(VALU_DEP_3)
	v_dual_fmac_f32 v234, v201, v148 :: v_dual_fmac_f32 v235, v203, v150
	v_mul_f32_e32 v6, v203, v151
	v_fma_f32 v4, v200, v148, -v4
	v_dual_add_f32 v2, v2, v5 :: v_dual_add_f32 v3, v3, v234
	v_mul_f32_e32 v5, v205, v153
	s_delay_alu instid0(VALU_DEP_4) | instskip(SKIP_1) | instid1(VALU_DEP_4)
	v_fma_f32 v6, v202, v150, -v6
	v_dual_fmac_f32 v236, v205, v152 :: v_dual_fmac_f32 v237, v211, v206
	v_dual_add_f32 v2, v2, v4 :: v_dual_add_f32 v3, v3, v235
	v_mul_f32_e32 v4, v211, v207
	v_fma_f32 v5, v204, v152, -v5
	s_delay_alu instid0(VALU_DEP_3) | instskip(NEXT) | instid1(VALU_DEP_3)
	v_dual_add_f32 v2, v2, v6 :: v_dual_add_f32 v3, v3, v236
	v_fma_f32 v4, v210, v206, -v4
	s_delay_alu instid0(VALU_DEP_2) | instskip(SKIP_1) | instid1(VALU_DEP_1)
	v_add_f32_e32 v3, v3, v237
	s_wait_loadcnt 0x0
	v_dual_add_f32 v2, v2, v5 :: v_dual_sub_f32 v3, v209, v3
	s_delay_alu instid0(VALU_DEP_1) | instskip(NEXT) | instid1(VALU_DEP_1)
	v_add_f32_e32 v2, v2, v4
	v_sub_f32_e32 v2, v208, v2
	scratch_store_b64 off, v[2:3], off offset:168
	v_cmpx_lt_u32_e32 20, v0
	s_cbranch_execz .LBB48_267
; %bb.266:
	scratch_load_b64 v[3:4], off, off offset:160
	v_mov_b32_e32 v2, v1
	scratch_store_b64 off, v[1:2], off offset:160
	s_wait_loadcnt 0x0
	ds_store_b64 v23, v[3:4]
.LBB48_267:
	s_wait_alu 0xfffe
	s_or_b32 exec_lo, exec_lo, s0
	s_wait_storecnt_dscnt 0x0
	s_barrier_signal -1
	s_barrier_wait -1
	global_inv scope:SCOPE_SE
	s_clause 0xe
	scratch_load_b128 v[2:5], off, off offset:168
	scratch_load_b128 v[6:9], off, off offset:184
	;; [unrolled: 1-line block ×14, first 2 shown]
	scratch_load_b64 v[214:215], off, off offset:160
	ds_load_2addr_b64 v[158:161], v1 offset0:71 offset1:72
	ds_load_2addr_b64 v[162:165], v1 offset0:73 offset1:74
	;; [unrolled: 1-line block ×14, first 2 shown]
	s_mov_b32 s0, exec_lo
	s_wait_loadcnt_dscnt 0xe0d
	v_dual_mul_f32 v1, v158, v3 :: v_dual_mul_f32 v22, v160, v5
	v_mul_f32_e32 v3, v159, v3
	s_wait_loadcnt_dscnt 0xd0c
	v_dual_mul_f32 v5, v161, v5 :: v_dual_mul_f32 v216, v162, v7
	s_delay_alu instid0(VALU_DEP_3) | instskip(NEXT) | instid1(VALU_DEP_3)
	v_dual_mul_f32 v217, v164, v9 :: v_dual_fmac_f32 v22, v161, v4
	v_fma_f32 v3, v158, v2, -v3
	v_fmac_f32_e32 v1, v159, v2
	v_mul_f32_e32 v2, v163, v7
	v_fma_f32 v4, v160, v4, -v5
	s_delay_alu instid0(VALU_DEP_4)
	v_dual_fmac_f32 v216, v163, v6 :: v_dual_add_f32 v3, 0, v3
	s_wait_loadcnt_dscnt 0xa09
	v_dual_mul_f32 v222, v174, v19 :: v_dual_mul_f32 v223, v176, v21
	v_fma_f32 v2, v162, v6, -v2
	v_dual_mul_f32 v218, v166, v11 :: v_dual_mul_f32 v219, v168, v13
	v_add_f32_e32 v3, v3, v4
	v_dual_mul_f32 v5, v165, v9 :: v_dual_mul_f32 v220, v170, v15
	v_dual_mul_f32 v221, v172, v17 :: v_dual_mul_f32 v4, v167, v11
	s_delay_alu instid0(VALU_DEP_3) | instskip(NEXT) | instid1(VALU_DEP_3)
	v_add_f32_e32 v2, v3, v2
	v_fma_f32 v5, v164, v8, -v5
	v_dual_mul_f32 v3, v169, v13 :: v_dual_fmac_f32 v222, v175, v18
	s_delay_alu instid0(VALU_DEP_4) | instskip(SKIP_1) | instid1(VALU_DEP_4)
	v_fma_f32 v4, v166, v10, -v4
	v_dual_fmac_f32 v217, v165, v8 :: v_dual_fmac_f32 v218, v167, v10
	v_add_f32_e32 v2, v2, v5
	v_add_f32_e32 v1, 0, v1
	v_fma_f32 v3, v168, v12, -v3
	v_fmac_f32_e32 v220, v171, v14
	s_wait_loadcnt_dscnt 0x908
	v_dual_mul_f32 v224, v178, v123 :: v_dual_mul_f32 v225, v180, v125
	v_dual_add_f32 v1, v1, v22 :: v_dual_add_f32 v2, v2, v4
	v_mul_f32_e32 v4, v173, v17
	s_wait_loadcnt_dscnt 0x706
	v_dual_mul_f32 v228, v186, v131 :: v_dual_mul_f32 v229, v188, v133
	s_delay_alu instid0(VALU_DEP_3) | instskip(NEXT) | instid1(VALU_DEP_3)
	v_dual_add_f32 v1, v1, v216 :: v_dual_add_f32 v2, v2, v3
	v_fma_f32 v4, v172, v16, -v4
	v_mul_f32_e32 v5, v171, v15
	v_dual_mul_f32 v226, v182, v127 :: v_dual_mul_f32 v227, v184, v129
	s_wait_loadcnt_dscnt 0x403
	v_dual_add_f32 v1, v1, v217 :: v_dual_mul_f32 v234, v198, v143
	v_mul_f32_e32 v235, v200, v145
	v_fma_f32 v5, v170, v14, -v5
	v_fmac_f32_e32 v219, v169, v12
	s_delay_alu instid0(VALU_DEP_4)
	v_add_f32_e32 v1, v1, v218
	v_fmac_f32_e32 v224, v179, v122
	v_dual_mul_f32 v230, v190, v135 :: v_dual_mul_f32 v231, v192, v137
	v_add_f32_e32 v2, v2, v5
	v_dual_fmac_f32 v226, v183, v126 :: v_dual_fmac_f32 v225, v181, v124
	v_dual_mul_f32 v232, v194, v139 :: v_dual_mul_f32 v233, v196, v141
	s_delay_alu instid0(VALU_DEP_3) | instskip(SKIP_2) | instid1(VALU_DEP_4)
	v_add_f32_e32 v2, v2, v4
	v_mul_f32_e32 v4, v179, v123
	v_add_f32_e32 v1, v1, v219
	v_dual_fmac_f32 v227, v185, v128 :: v_dual_fmac_f32 v232, v195, v138
	s_wait_loadcnt_dscnt 0x100
	v_dual_mul_f32 v240, v210, v155 :: v_dual_mul_f32 v241, v212, v157
	v_fma_f32 v4, v178, v122, -v4
	v_mul_f32_e32 v5, v177, v21
	v_dual_add_f32 v1, v1, v220 :: v_dual_fmac_f32 v228, v187, v130
	v_dual_fmac_f32 v229, v189, v132 :: v_dual_mul_f32 v236, v202, v147
	v_mul_f32_e32 v237, v204, v149
	s_delay_alu instid0(VALU_DEP_4) | instskip(SKIP_2) | instid1(VALU_DEP_4)
	v_fma_f32 v5, v176, v20, -v5
	v_mul_f32_e32 v3, v175, v19
	v_dual_mul_f32 v238, v206, v151 :: v_dual_mul_f32 v239, v208, v153
	v_fmac_f32_e32 v237, v205, v148
	v_fmac_f32_e32 v241, v213, v156
	s_delay_alu instid0(VALU_DEP_4) | instskip(SKIP_3) | instid1(VALU_DEP_4)
	v_fma_f32 v3, v174, v18, -v3
	v_fmac_f32_e32 v221, v173, v16
	v_dual_fmac_f32 v239, v209, v152 :: v_dual_fmac_f32 v234, v199, v142
	v_fmac_f32_e32 v230, v191, v134
	v_dual_add_f32 v2, v2, v3 :: v_dual_mul_f32 v3, v181, v125
	v_fmac_f32_e32 v240, v211, v154
	v_fmac_f32_e32 v236, v203, v146
	;; [unrolled: 1-line block ×3, first 2 shown]
	s_delay_alu instid0(VALU_DEP_4) | instskip(SKIP_1) | instid1(VALU_DEP_2)
	v_dual_add_f32 v2, v2, v5 :: v_dual_mul_f32 v5, v183, v127
	v_fma_f32 v3, v180, v124, -v3
	v_dual_add_f32 v2, v2, v4 :: v_dual_add_f32 v1, v1, v221
	v_mul_f32_e32 v4, v185, v129
	s_delay_alu instid0(VALU_DEP_4) | instskip(NEXT) | instid1(VALU_DEP_3)
	v_fma_f32 v5, v182, v126, -v5
	v_dual_add_f32 v2, v2, v3 :: v_dual_fmac_f32 v223, v177, v20
	s_delay_alu instid0(VALU_DEP_3) | instskip(NEXT) | instid1(VALU_DEP_2)
	v_fma_f32 v4, v184, v128, -v4
	v_add_f32_e32 v2, v2, v5
	v_mul_f32_e32 v5, v189, v133
	s_delay_alu instid0(VALU_DEP_2) | instskip(NEXT) | instid1(VALU_DEP_2)
	v_dual_add_f32 v1, v1, v222 :: v_dual_add_f32 v2, v2, v4
	v_fma_f32 v5, v188, v132, -v5
	v_mul_f32_e32 v3, v187, v131
	s_delay_alu instid0(VALU_DEP_3) | instskip(SKIP_1) | instid1(VALU_DEP_3)
	v_add_f32_e32 v1, v1, v223
	v_mul_f32_e32 v4, v191, v135
	v_fma_f32 v3, v186, v130, -v3
	s_delay_alu instid0(VALU_DEP_3) | instskip(NEXT) | instid1(VALU_DEP_3)
	v_add_f32_e32 v1, v1, v224
	v_fma_f32 v4, v190, v134, -v4
	s_delay_alu instid0(VALU_DEP_3) | instskip(NEXT) | instid1(VALU_DEP_1)
	v_add_f32_e32 v2, v2, v3
	v_add_f32_e32 v2, v2, v5
	s_delay_alu instid0(VALU_DEP_4) | instskip(NEXT) | instid1(VALU_DEP_2)
	v_add_f32_e32 v1, v1, v225
	v_dual_mul_f32 v5, v195, v139 :: v_dual_add_f32 v2, v2, v4
	v_mul_f32_e32 v4, v197, v141
	s_delay_alu instid0(VALU_DEP_2) | instskip(NEXT) | instid1(VALU_DEP_2)
	v_fma_f32 v5, v194, v138, -v5
	v_fma_f32 v4, v196, v140, -v4
	v_mul_f32_e32 v3, v193, v137
	s_delay_alu instid0(VALU_DEP_1) | instskip(NEXT) | instid1(VALU_DEP_1)
	v_fma_f32 v3, v192, v136, -v3
	v_dual_add_f32 v1, v1, v226 :: v_dual_add_f32 v2, v2, v3
	s_delay_alu instid0(VALU_DEP_1) | instskip(NEXT) | instid1(VALU_DEP_2)
	v_add_f32_e32 v1, v1, v227
	v_dual_mul_f32 v3, v199, v143 :: v_dual_add_f32 v2, v2, v5
	v_mul_f32_e32 v5, v201, v145
	s_delay_alu instid0(VALU_DEP_2) | instskip(NEXT) | instid1(VALU_DEP_3)
	v_fma_f32 v3, v198, v142, -v3
	v_add_f32_e32 v2, v2, v4
	v_dual_add_f32 v1, v1, v228 :: v_dual_mul_f32 v4, v203, v147
	s_delay_alu instid0(VALU_DEP_4) | instskip(NEXT) | instid1(VALU_DEP_2)
	v_fma_f32 v5, v200, v144, -v5
	v_dual_add_f32 v2, v2, v3 :: v_dual_add_f32 v1, v1, v229
	v_fmac_f32_e32 v231, v193, v136
	v_mul_f32_e32 v3, v205, v149
	v_fma_f32 v4, v202, v146, -v4
	s_delay_alu instid0(VALU_DEP_4) | instskip(SKIP_1) | instid1(VALU_DEP_4)
	v_dual_add_f32 v2, v2, v5 :: v_dual_add_f32 v1, v1, v230
	v_mul_f32_e32 v5, v207, v151
	v_fma_f32 v3, v204, v148, -v3
	s_delay_alu instid0(VALU_DEP_3) | instskip(SKIP_3) | instid1(VALU_DEP_4)
	v_dual_add_f32 v2, v2, v4 :: v_dual_add_f32 v1, v1, v231
	v_fmac_f32_e32 v233, v197, v140
	v_mul_f32_e32 v4, v209, v153
	v_fma_f32 v5, v206, v150, -v5
	v_dual_add_f32 v2, v2, v3 :: v_dual_add_f32 v1, v1, v232
	v_mul_f32_e32 v3, v211, v155
	s_delay_alu instid0(VALU_DEP_4) | instskip(NEXT) | instid1(VALU_DEP_3)
	v_fma_f32 v4, v208, v152, -v4
	v_add_f32_e32 v2, v2, v5
	s_delay_alu instid0(VALU_DEP_4) | instskip(SKIP_2) | instid1(VALU_DEP_4)
	v_add_f32_e32 v1, v1, v233
	v_mul_f32_e32 v5, v213, v157
	v_fma_f32 v3, v210, v154, -v3
	v_add_f32_e32 v2, v2, v4
	v_fmac_f32_e32 v235, v201, v144
	s_delay_alu instid0(VALU_DEP_4) | instskip(NEXT) | instid1(VALU_DEP_3)
	v_fma_f32 v4, v212, v156, -v5
	v_dual_add_f32 v2, v2, v3 :: v_dual_add_f32 v1, v1, v234
	s_delay_alu instid0(VALU_DEP_1) | instskip(NEXT) | instid1(VALU_DEP_1)
	v_dual_add_f32 v2, v2, v4 :: v_dual_add_f32 v1, v1, v235
	v_add_f32_e32 v1, v1, v236
	s_delay_alu instid0(VALU_DEP_1) | instskip(NEXT) | instid1(VALU_DEP_1)
	v_add_f32_e32 v1, v1, v237
	v_add_f32_e32 v1, v1, v238
	s_delay_alu instid0(VALU_DEP_1) | instskip(NEXT) | instid1(VALU_DEP_1)
	v_add_f32_e32 v1, v1, v239
	v_add_f32_e32 v1, v1, v240
	s_delay_alu instid0(VALU_DEP_1) | instskip(SKIP_1) | instid1(VALU_DEP_1)
	v_add_f32_e32 v3, v1, v241
	s_wait_loadcnt 0x0
	v_dual_sub_f32 v1, v214, v2 :: v_dual_sub_f32 v2, v215, v3
	scratch_store_b64 off, v[1:2], off offset:160
	v_cmpx_lt_u32_e32 19, v0
	s_cbranch_execz .LBB48_269
; %bb.268:
	scratch_load_b64 v[1:2], off, off offset:152
	v_mov_b32_e32 v3, 0
	s_delay_alu instid0(VALU_DEP_1)
	v_mov_b32_e32 v4, v3
	scratch_store_b64 off, v[3:4], off offset:152
	s_wait_loadcnt 0x0
	ds_store_b64 v23, v[1:2]
.LBB48_269:
	s_wait_alu 0xfffe
	s_or_b32 exec_lo, exec_lo, s0
	s_wait_storecnt_dscnt 0x0
	s_barrier_signal -1
	s_barrier_wait -1
	global_inv scope:SCOPE_SE
	s_clause 0xf
	scratch_load_b128 v[2:5], off, off offset:160
	scratch_load_b128 v[6:9], off, off offset:176
	;; [unrolled: 1-line block ×14, first 2 shown]
	scratch_load_b64 v[214:215], off, off offset:384
	scratch_load_b64 v[216:217], off, off offset:152
	v_mov_b32_e32 v1, 0
	ds_load_b128 v[158:161], v1 offset:560
	ds_load_b128 v[162:165], v1 offset:576
	;; [unrolled: 1-line block ×14, first 2 shown]
	ds_load_b64 v[218:219], v1 offset:784
	s_mov_b32 s0, exec_lo
	s_wait_loadcnt_dscnt 0xf0e
	v_mul_f32_e32 v22, v158, v3
	s_wait_loadcnt_dscnt 0xe0d
	v_dual_mul_f32 v220, v160, v5 :: v_dual_mul_f32 v221, v162, v7
	v_mul_f32_e32 v5, v161, v5
	s_wait_loadcnt_dscnt 0xd0c
	v_dual_mul_f32 v222, v164, v9 :: v_dual_mul_f32 v223, v166, v11
	s_wait_loadcnt_dscnt 0xc0b
	v_dual_mul_f32 v224, v168, v13 :: v_dual_mul_f32 v225, v170, v15
	v_dual_mul_f32 v3, v159, v3 :: v_dual_mul_f32 v226, v172, v17
	s_wait_loadcnt_dscnt 0xb0a
	v_dual_mul_f32 v227, v174, v19 :: v_dual_fmac_f32 v22, v159, v2
	s_wait_loadcnt_dscnt 0x302
	v_mul_f32_e32 v244, v208, v153
	v_fma_f32 v3, v158, v2, -v3
	s_wait_loadcnt_dscnt 0x100
	v_mul_f32_e32 v247, v218, v215
	v_mul_f32_e32 v2, v163, v7
	v_fmac_f32_e32 v220, v161, v4
	v_fma_f32 v4, v160, v4, -v5
	v_add_f32_e32 v3, 0, v3
	v_dual_add_f32 v5, 0, v22 :: v_dual_fmac_f32 v222, v165, v8
	v_fmac_f32_e32 v221, v163, v6
	v_fma_f32 v2, v162, v6, -v2
	s_delay_alu instid0(VALU_DEP_4) | instskip(SKIP_3) | instid1(VALU_DEP_4)
	v_add_f32_e32 v3, v3, v4
	v_mul_f32_e32 v7, v165, v9
	v_dual_add_f32 v4, v5, v220 :: v_dual_fmac_f32 v223, v167, v10
	v_fmac_f32_e32 v224, v169, v12
	v_add_f32_e32 v2, v3, v2
	s_delay_alu instid0(VALU_DEP_4)
	v_fma_f32 v6, v164, v8, -v7
	v_mul_f32_e32 v5, v167, v11
	v_add_f32_e32 v3, v4, v221
	v_dual_mul_f32 v4, v169, v13 :: v_dual_fmac_f32 v225, v171, v14
	v_fmac_f32_e32 v226, v173, v16
	v_add_f32_e32 v2, v2, v6
	v_fma_f32 v5, v166, v10, -v5
	v_mul_f32_e32 v6, v171, v15
	v_add_f32_e32 v3, v3, v222
	v_fma_f32 v4, v168, v12, -v4
	v_dual_mul_f32 v228, v176, v21 :: v_dual_mul_f32 v229, v178, v123
	s_delay_alu instid0(VALU_DEP_3) | instskip(SKIP_3) | instid1(VALU_DEP_4)
	v_dual_add_f32 v2, v2, v5 :: v_dual_add_f32 v3, v3, v223
	v_mul_f32_e32 v5, v173, v17
	v_fma_f32 v6, v170, v14, -v6
	v_dual_mul_f32 v230, v180, v125 :: v_dual_mul_f32 v231, v182, v127
	v_add_f32_e32 v2, v2, v4
	v_add_f32_e32 v3, v3, v224
	v_mul_f32_e32 v4, v175, v19
	v_fma_f32 v5, v172, v16, -v5
	v_fmac_f32_e32 v227, v175, v18
	s_delay_alu instid0(VALU_DEP_4) | instskip(SKIP_3) | instid1(VALU_DEP_4)
	v_dual_add_f32 v2, v2, v6 :: v_dual_add_f32 v3, v3, v225
	v_fmac_f32_e32 v228, v177, v20
	v_mul_f32_e32 v6, v177, v21
	v_fma_f32 v4, v174, v18, -v4
	v_dual_add_f32 v2, v2, v5 :: v_dual_add_f32 v3, v3, v226
	v_mul_f32_e32 v5, v179, v123
	s_delay_alu instid0(VALU_DEP_4) | instskip(SKIP_1) | instid1(VALU_DEP_4)
	v_fma_f32 v6, v176, v20, -v6
	v_dual_fmac_f32 v229, v179, v122 :: v_dual_fmac_f32 v230, v181, v124
	v_dual_add_f32 v2, v2, v4 :: v_dual_add_f32 v3, v3, v227
	v_mul_f32_e32 v4, v181, v125
	v_fma_f32 v5, v178, v122, -v5
	v_fmac_f32_e32 v231, v183, v126
	s_delay_alu instid0(VALU_DEP_4) | instskip(SKIP_3) | instid1(VALU_DEP_4)
	v_dual_add_f32 v2, v2, v6 :: v_dual_add_f32 v3, v3, v228
	v_mul_f32_e32 v6, v183, v127
	v_fma_f32 v4, v180, v124, -v4
	v_dual_mul_f32 v232, v184, v129 :: v_dual_mul_f32 v233, v186, v131
	v_add_f32_e32 v2, v2, v5
	v_add_f32_e32 v3, v3, v229
	v_mul_f32_e32 v5, v185, v129
	v_fma_f32 v6, v182, v126, -v6
	v_fmac_f32_e32 v232, v185, v128
	s_delay_alu instid0(VALU_DEP_4) | instskip(SKIP_3) | instid1(VALU_DEP_4)
	v_dual_add_f32 v2, v2, v4 :: v_dual_add_f32 v3, v3, v230
	v_mul_f32_e32 v4, v187, v131
	v_fma_f32 v5, v184, v128, -v5
	v_dual_mul_f32 v234, v188, v133 :: v_dual_mul_f32 v235, v190, v135
	v_dual_add_f32 v2, v2, v6 :: v_dual_add_f32 v3, v3, v231
	v_dual_mul_f32 v6, v189, v133 :: v_dual_fmac_f32 v233, v187, v130
	v_fma_f32 v4, v186, v130, -v4
	s_delay_alu instid0(VALU_DEP_3) | instskip(SKIP_3) | instid1(VALU_DEP_4)
	v_dual_add_f32 v2, v2, v5 :: v_dual_add_f32 v3, v3, v232
	v_dual_mul_f32 v236, v192, v137 :: v_dual_mul_f32 v237, v194, v139
	v_dual_mul_f32 v5, v191, v135 :: v_dual_fmac_f32 v234, v189, v132
	v_fma_f32 v6, v188, v132, -v6
	v_dual_add_f32 v2, v2, v4 :: v_dual_add_f32 v3, v3, v233
	v_dual_mul_f32 v4, v193, v137 :: v_dual_fmac_f32 v235, v191, v134
	s_delay_alu instid0(VALU_DEP_4) | instskip(NEXT) | instid1(VALU_DEP_3)
	v_fma_f32 v5, v190, v134, -v5
	v_dual_fmac_f32 v236, v193, v136 :: v_dual_add_f32 v3, v3, v234
	s_delay_alu instid0(VALU_DEP_4) | instskip(SKIP_3) | instid1(VALU_DEP_4)
	v_add_f32_e32 v2, v2, v6
	v_mul_f32_e32 v6, v195, v139
	v_fma_f32 v4, v192, v136, -v4
	v_dual_mul_f32 v238, v196, v141 :: v_dual_mul_f32 v239, v198, v143
	v_dual_add_f32 v3, v3, v235 :: v_dual_add_f32 v2, v2, v5
	v_fmac_f32_e32 v237, v195, v138
	v_mul_f32_e32 v5, v197, v141
	v_fma_f32 v6, v194, v138, -v6
	s_delay_alu instid0(VALU_DEP_4) | instskip(SKIP_4) | instid1(VALU_DEP_4)
	v_add_f32_e32 v3, v3, v236
	v_add_f32_e32 v2, v2, v4
	v_mul_f32_e32 v4, v199, v143
	v_dual_fmac_f32 v238, v197, v140 :: v_dual_fmac_f32 v239, v199, v142
	v_fma_f32 v5, v196, v140, -v5
	v_dual_add_f32 v3, v3, v237 :: v_dual_add_f32 v2, v2, v6
	v_dual_mul_f32 v240, v200, v145 :: v_dual_mul_f32 v241, v202, v147
	s_delay_alu instid0(VALU_DEP_2) | instskip(SKIP_1) | instid1(VALU_DEP_4)
	v_dual_mul_f32 v6, v201, v145 :: v_dual_add_f32 v3, v3, v238
	v_fma_f32 v4, v198, v142, -v4
	v_dual_add_f32 v2, v2, v5 :: v_dual_mul_f32 v5, v203, v147
	s_delay_alu instid0(VALU_DEP_3) | instskip(NEXT) | instid1(VALU_DEP_4)
	v_dual_fmac_f32 v240, v201, v144 :: v_dual_add_f32 v3, v3, v239
	v_fma_f32 v6, v200, v144, -v6
	s_delay_alu instid0(VALU_DEP_3) | instskip(SKIP_1) | instid1(VALU_DEP_4)
	v_dual_add_f32 v2, v2, v4 :: v_dual_fmac_f32 v241, v203, v146
	v_dual_mul_f32 v242, v204, v149 :: v_dual_mul_f32 v243, v206, v151
	v_dual_mul_f32 v4, v205, v149 :: v_dual_add_f32 v3, v3, v240
	v_fma_f32 v5, v202, v146, -v5
	s_delay_alu instid0(VALU_DEP_4)
	v_add_f32_e32 v2, v2, v6
	v_mul_f32_e32 v6, v207, v151
	v_dual_fmac_f32 v242, v205, v148 :: v_dual_fmac_f32 v243, v207, v150
	v_fma_f32 v4, v204, v148, -v4
	v_add_f32_e32 v3, v3, v241
	v_add_f32_e32 v2, v2, v5
	v_dual_mul_f32 v245, v210, v155 :: v_dual_mul_f32 v246, v212, v157
	v_mul_f32_e32 v5, v209, v153
	v_fma_f32 v6, v206, v150, -v6
	s_delay_alu instid0(VALU_DEP_4) | instskip(SKIP_3) | instid1(VALU_DEP_4)
	v_dual_add_f32 v3, v3, v242 :: v_dual_add_f32 v2, v2, v4
	v_mul_f32_e32 v4, v211, v155
	v_dual_fmac_f32 v244, v209, v152 :: v_dual_fmac_f32 v245, v211, v154
	v_fma_f32 v5, v208, v152, -v5
	v_dual_add_f32 v3, v3, v243 :: v_dual_add_f32 v2, v2, v6
	v_mul_f32_e32 v6, v213, v157
	v_fma_f32 v4, v210, v154, -v4
	v_fmac_f32_e32 v247, v219, v214
	s_delay_alu instid0(VALU_DEP_4) | instskip(SKIP_2) | instid1(VALU_DEP_3)
	v_dual_add_f32 v3, v3, v244 :: v_dual_add_f32 v2, v2, v5
	v_dual_mul_f32 v5, v219, v215 :: v_dual_fmac_f32 v246, v213, v156
	v_fma_f32 v6, v212, v156, -v6
	v_dual_add_f32 v3, v3, v245 :: v_dual_add_f32 v2, v2, v4
	s_delay_alu instid0(VALU_DEP_3) | instskip(NEXT) | instid1(VALU_DEP_2)
	v_fma_f32 v4, v218, v214, -v5
	v_add_f32_e32 v3, v3, v246
	s_delay_alu instid0(VALU_DEP_1) | instskip(SKIP_1) | instid1(VALU_DEP_1)
	v_dual_add_f32 v2, v2, v6 :: v_dual_add_f32 v3, v3, v247
	s_wait_loadcnt 0x0
	v_dual_add_f32 v2, v2, v4 :: v_dual_sub_f32 v3, v217, v3
	s_delay_alu instid0(VALU_DEP_1)
	v_sub_f32_e32 v2, v216, v2
	scratch_store_b64 off, v[2:3], off offset:152
	v_cmpx_lt_u32_e32 18, v0
	s_cbranch_execz .LBB48_271
; %bb.270:
	scratch_load_b64 v[3:4], off, off offset:144
	v_mov_b32_e32 v2, v1
	scratch_store_b64 off, v[1:2], off offset:144
	s_wait_loadcnt 0x0
	ds_store_b64 v23, v[3:4]
.LBB48_271:
	s_wait_alu 0xfffe
	s_or_b32 exec_lo, exec_lo, s0
	s_wait_storecnt_dscnt 0x0
	s_barrier_signal -1
	s_barrier_wait -1
	global_inv scope:SCOPE_SE
	s_clause 0xf
	scratch_load_b128 v[2:5], off, off offset:152
	scratch_load_b128 v[6:9], off, off offset:168
	;; [unrolled: 1-line block ×15, first 2 shown]
	scratch_load_b64 v[222:223], off, off offset:144
	ds_load_2addr_b64 v[162:165], v1 offset0:69 offset1:70
	ds_load_2addr_b64 v[166:169], v1 offset0:71 offset1:72
	;; [unrolled: 1-line block ×15, first 2 shown]
	s_mov_b32 s0, exec_lo
	s_wait_loadcnt_dscnt 0xf0e
	v_dual_mul_f32 v1, v162, v3 :: v_dual_mul_f32 v22, v164, v5
	v_mul_f32_e32 v3, v163, v3
	s_wait_loadcnt_dscnt 0xe0d
	v_dual_mul_f32 v5, v165, v5 :: v_dual_mul_f32 v224, v166, v7
	s_delay_alu instid0(VALU_DEP_3) | instskip(NEXT) | instid1(VALU_DEP_3)
	v_dual_mul_f32 v225, v168, v9 :: v_dual_fmac_f32 v22, v165, v4
	v_fma_f32 v3, v162, v2, -v3
	v_fmac_f32_e32 v1, v163, v2
	v_mul_f32_e32 v2, v167, v7
	v_fma_f32 v4, v164, v4, -v5
	s_delay_alu instid0(VALU_DEP_4)
	v_dual_fmac_f32 v224, v167, v6 :: v_dual_add_f32 v3, 0, v3
	s_wait_loadcnt_dscnt 0xb0a
	v_dual_mul_f32 v230, v178, v19 :: v_dual_mul_f32 v231, v180, v21
	v_fma_f32 v2, v166, v6, -v2
	v_dual_mul_f32 v226, v170, v11 :: v_dual_mul_f32 v227, v172, v13
	v_add_f32_e32 v3, v3, v4
	v_dual_mul_f32 v5, v169, v9 :: v_dual_mul_f32 v228, v174, v15
	v_dual_mul_f32 v229, v176, v17 :: v_dual_mul_f32 v4, v171, v11
	s_delay_alu instid0(VALU_DEP_3) | instskip(NEXT) | instid1(VALU_DEP_3)
	v_add_f32_e32 v2, v3, v2
	v_fma_f32 v5, v168, v8, -v5
	v_dual_mul_f32 v3, v173, v13 :: v_dual_fmac_f32 v230, v179, v18
	s_delay_alu instid0(VALU_DEP_4) | instskip(SKIP_1) | instid1(VALU_DEP_4)
	v_fma_f32 v4, v170, v10, -v4
	v_dual_fmac_f32 v225, v169, v8 :: v_dual_fmac_f32 v226, v171, v10
	v_add_f32_e32 v2, v2, v5
	v_add_f32_e32 v1, 0, v1
	v_fma_f32 v3, v172, v12, -v3
	v_fmac_f32_e32 v228, v175, v14
	s_wait_loadcnt_dscnt 0xa09
	v_dual_mul_f32 v232, v182, v123 :: v_dual_mul_f32 v233, v184, v125
	v_dual_add_f32 v1, v1, v22 :: v_dual_add_f32 v2, v2, v4
	v_mul_f32_e32 v4, v177, v17
	s_wait_loadcnt_dscnt 0x807
	v_dual_mul_f32 v236, v190, v131 :: v_dual_mul_f32 v237, v192, v133
	s_delay_alu instid0(VALU_DEP_3) | instskip(NEXT) | instid1(VALU_DEP_3)
	v_dual_add_f32 v1, v1, v224 :: v_dual_add_f32 v2, v2, v3
	v_fma_f32 v4, v176, v16, -v4
	v_mul_f32_e32 v5, v175, v15
	v_dual_mul_f32 v234, v186, v127 :: v_dual_mul_f32 v235, v188, v129
	s_wait_loadcnt_dscnt 0x504
	v_dual_add_f32 v1, v1, v225 :: v_dual_mul_f32 v242, v202, v143
	v_mul_f32_e32 v243, v204, v145
	v_fma_f32 v5, v174, v14, -v5
	v_fmac_f32_e32 v227, v173, v12
	s_delay_alu instid0(VALU_DEP_4)
	v_add_f32_e32 v1, v1, v226
	v_fmac_f32_e32 v232, v183, v122
	v_dual_mul_f32 v238, v194, v135 :: v_dual_mul_f32 v239, v196, v137
	v_add_f32_e32 v2, v2, v5
	v_dual_fmac_f32 v234, v187, v126 :: v_dual_fmac_f32 v233, v185, v124
	v_dual_mul_f32 v240, v198, v139 :: v_dual_mul_f32 v241, v200, v141
	s_delay_alu instid0(VALU_DEP_3) | instskip(SKIP_2) | instid1(VALU_DEP_4)
	v_add_f32_e32 v2, v2, v4
	v_mul_f32_e32 v4, v183, v123
	v_add_f32_e32 v1, v1, v227
	v_dual_fmac_f32 v235, v189, v128 :: v_dual_fmac_f32 v240, v199, v138
	s_wait_loadcnt_dscnt 0x201
	v_dual_mul_f32 v248, v214, v155 :: v_dual_mul_f32 v249, v216, v157
	v_fma_f32 v4, v182, v122, -v4
	v_mul_f32_e32 v5, v181, v21
	v_dual_add_f32 v1, v1, v228 :: v_dual_fmac_f32 v236, v191, v130
	v_dual_fmac_f32 v237, v193, v132 :: v_dual_mul_f32 v244, v206, v147
	v_mul_f32_e32 v245, v208, v149
	s_delay_alu instid0(VALU_DEP_4) | instskip(SKIP_4) | instid1(VALU_DEP_3)
	v_fma_f32 v5, v180, v20, -v5
	v_mul_f32_e32 v3, v179, v19
	s_wait_loadcnt_dscnt 0x100
	v_dual_mul_f32 v250, v218, v159 :: v_dual_mul_f32 v251, v220, v161
	v_dual_mul_f32 v246, v210, v151 :: v_dual_mul_f32 v247, v212, v153
	v_fma_f32 v3, v178, v18, -v3
	v_fmac_f32_e32 v229, v177, v16
	v_fmac_f32_e32 v243, v205, v144
	;; [unrolled: 1-line block ×3, first 2 shown]
	s_delay_alu instid0(VALU_DEP_4) | instskip(SKIP_3) | instid1(VALU_DEP_4)
	v_dual_fmac_f32 v247, v213, v152 :: v_dual_add_f32 v2, v2, v3
	v_mul_f32_e32 v3, v185, v125
	v_dual_fmac_f32 v251, v221, v160 :: v_dual_fmac_f32 v242, v203, v142
	v_fmac_f32_e32 v238, v195, v134
	v_dual_add_f32 v2, v2, v5 :: v_dual_mul_f32 v5, v187, v127
	s_delay_alu instid0(VALU_DEP_4) | instskip(SKIP_2) | instid1(VALU_DEP_4)
	v_fma_f32 v3, v184, v124, -v3
	v_fmac_f32_e32 v248, v215, v154
	v_fmac_f32_e32 v244, v207, v146
	v_dual_add_f32 v2, v2, v4 :: v_dual_add_f32 v1, v1, v229
	v_mul_f32_e32 v4, v189, v129
	v_fma_f32 v5, v186, v126, -v5
	v_fmac_f32_e32 v250, v219, v158
	s_delay_alu instid0(VALU_DEP_4) | instskip(NEXT) | instid1(VALU_DEP_4)
	v_dual_add_f32 v2, v2, v3 :: v_dual_fmac_f32 v231, v181, v20
	v_fma_f32 v4, v188, v128, -v4
	v_fmac_f32_e32 v246, v211, v150
	s_delay_alu instid0(VALU_DEP_3) | instskip(SKIP_1) | instid1(VALU_DEP_2)
	v_add_f32_e32 v2, v2, v5
	v_mul_f32_e32 v5, v193, v133
	v_dual_add_f32 v1, v1, v230 :: v_dual_add_f32 v2, v2, v4
	s_delay_alu instid0(VALU_DEP_2) | instskip(SKIP_1) | instid1(VALU_DEP_3)
	v_fma_f32 v5, v192, v132, -v5
	v_mul_f32_e32 v3, v191, v131
	v_add_f32_e32 v1, v1, v231
	v_mul_f32_e32 v4, v195, v135
	s_delay_alu instid0(VALU_DEP_3) | instskip(NEXT) | instid1(VALU_DEP_3)
	v_fma_f32 v3, v190, v130, -v3
	v_add_f32_e32 v1, v1, v232
	s_delay_alu instid0(VALU_DEP_3) | instskip(NEXT) | instid1(VALU_DEP_3)
	v_fma_f32 v4, v194, v134, -v4
	v_add_f32_e32 v2, v2, v3
	s_delay_alu instid0(VALU_DEP_1) | instskip(NEXT) | instid1(VALU_DEP_4)
	v_add_f32_e32 v2, v2, v5
	v_add_f32_e32 v1, v1, v233
	s_delay_alu instid0(VALU_DEP_2) | instskip(SKIP_1) | instid1(VALU_DEP_2)
	v_dual_mul_f32 v5, v199, v139 :: v_dual_add_f32 v2, v2, v4
	v_mul_f32_e32 v4, v201, v141
	v_fma_f32 v5, v198, v138, -v5
	s_delay_alu instid0(VALU_DEP_2) | instskip(SKIP_1) | instid1(VALU_DEP_1)
	v_fma_f32 v4, v200, v140, -v4
	v_mul_f32_e32 v3, v197, v137
	v_fma_f32 v3, v196, v136, -v3
	s_delay_alu instid0(VALU_DEP_1) | instskip(NEXT) | instid1(VALU_DEP_1)
	v_dual_add_f32 v1, v1, v234 :: v_dual_add_f32 v2, v2, v3
	v_add_f32_e32 v1, v1, v235
	s_delay_alu instid0(VALU_DEP_2) | instskip(SKIP_1) | instid1(VALU_DEP_2)
	v_dual_mul_f32 v3, v203, v143 :: v_dual_add_f32 v2, v2, v5
	v_mul_f32_e32 v5, v205, v145
	v_fma_f32 v3, v202, v142, -v3
	s_delay_alu instid0(VALU_DEP_3) | instskip(SKIP_1) | instid1(VALU_DEP_4)
	v_add_f32_e32 v2, v2, v4
	v_dual_add_f32 v1, v1, v236 :: v_dual_mul_f32 v4, v207, v147
	v_fma_f32 v5, v204, v144, -v5
	s_delay_alu instid0(VALU_DEP_2) | instskip(SKIP_3) | instid1(VALU_DEP_4)
	v_dual_add_f32 v2, v2, v3 :: v_dual_add_f32 v1, v1, v237
	v_fmac_f32_e32 v239, v197, v136
	v_mul_f32_e32 v3, v209, v149
	v_fma_f32 v4, v206, v146, -v4
	v_dual_add_f32 v2, v2, v5 :: v_dual_add_f32 v1, v1, v238
	v_mul_f32_e32 v5, v211, v151
	s_delay_alu instid0(VALU_DEP_4) | instskip(NEXT) | instid1(VALU_DEP_3)
	v_fma_f32 v3, v208, v148, -v3
	v_dual_add_f32 v2, v2, v4 :: v_dual_add_f32 v1, v1, v239
	v_fmac_f32_e32 v241, v201, v140
	v_mul_f32_e32 v4, v213, v153
	v_fma_f32 v5, v210, v150, -v5
	s_delay_alu instid0(VALU_DEP_4) | instskip(SKIP_1) | instid1(VALU_DEP_4)
	v_dual_add_f32 v2, v2, v3 :: v_dual_add_f32 v1, v1, v240
	v_mul_f32_e32 v3, v215, v155
	v_fma_f32 v4, v212, v152, -v4
	s_delay_alu instid0(VALU_DEP_3) | instskip(NEXT) | instid1(VALU_DEP_4)
	v_add_f32_e32 v2, v2, v5
	v_add_f32_e32 v1, v1, v241
	v_mul_f32_e32 v5, v217, v157
	v_fma_f32 v3, v214, v154, -v3
	s_delay_alu instid0(VALU_DEP_3) | instskip(SKIP_1) | instid1(VALU_DEP_4)
	v_dual_add_f32 v2, v2, v4 :: v_dual_add_f32 v1, v1, v242
	v_mul_f32_e32 v4, v219, v159
	v_fma_f32 v5, v216, v156, -v5
	s_delay_alu instid0(VALU_DEP_3) | instskip(NEXT) | instid1(VALU_DEP_4)
	v_add_f32_e32 v2, v2, v3
	v_add_f32_e32 v1, v1, v243
	v_mul_f32_e32 v3, v221, v161
	v_fma_f32 v4, v218, v158, -v4
	s_delay_alu instid0(VALU_DEP_3) | instskip(NEXT) | instid1(VALU_DEP_3)
	v_dual_add_f32 v2, v2, v5 :: v_dual_add_f32 v1, v1, v244
	v_fma_f32 v3, v220, v160, -v3
	s_delay_alu instid0(VALU_DEP_2) | instskip(NEXT) | instid1(VALU_DEP_1)
	v_add_f32_e32 v2, v2, v4
	v_dual_fmac_f32 v245, v209, v148 :: v_dual_add_f32 v2, v2, v3
	s_delay_alu instid0(VALU_DEP_1) | instskip(NEXT) | instid1(VALU_DEP_1)
	v_add_f32_e32 v1, v1, v245
	v_add_f32_e32 v1, v1, v246
	s_delay_alu instid0(VALU_DEP_1) | instskip(NEXT) | instid1(VALU_DEP_1)
	v_add_f32_e32 v1, v1, v247
	v_add_f32_e32 v1, v1, v248
	;; [unrolled: 3-line block ×3, first 2 shown]
	s_delay_alu instid0(VALU_DEP_1) | instskip(SKIP_1) | instid1(VALU_DEP_1)
	v_add_f32_e32 v3, v1, v251
	s_wait_loadcnt 0x0
	v_dual_sub_f32 v1, v222, v2 :: v_dual_sub_f32 v2, v223, v3
	scratch_store_b64 off, v[1:2], off offset:144
	v_cmpx_lt_u32_e32 17, v0
	s_cbranch_execz .LBB48_273
; %bb.272:
	scratch_load_b64 v[1:2], off, off offset:136
	v_mov_b32_e32 v3, 0
	s_delay_alu instid0(VALU_DEP_1)
	v_mov_b32_e32 v4, v3
	scratch_store_b64 off, v[3:4], off offset:136
	s_wait_loadcnt 0x0
	ds_store_b64 v23, v[1:2]
.LBB48_273:
	s_wait_alu 0xfffe
	s_or_b32 exec_lo, exec_lo, s0
	s_wait_storecnt_dscnt 0x0
	s_barrier_signal -1
	s_barrier_wait -1
	global_inv scope:SCOPE_SE
	s_clause 0x4
	scratch_load_b128 v[5:8], off, off offset:144
	scratch_load_b128 v[1:4], off, off offset:160
	;; [unrolled: 1-line block ×5, first 2 shown]
	v_mov_b32_e32 v21, 0
	ds_load_b128 v[122:125], v21 offset:544
	ds_load_b128 v[126:129], v21 offset:560
	;; [unrolled: 1-line block ×3, first 2 shown]
	scratch_load_b64 v[134:135], off, off offset:136
	s_mov_b32 s0, exec_lo
	s_wait_loadcnt_dscnt 0x502
	v_mul_f32_e32 v22, v123, v6
	v_dual_mul_f32 v136, v122, v6 :: v_dual_mul_f32 v137, v124, v8
	v_mul_f32_e32 v6, v125, v8
	s_delay_alu instid0(VALU_DEP_3) | instskip(NEXT) | instid1(VALU_DEP_3)
	v_fma_f32 v22, v122, v5, -v22
	v_dual_fmac_f32 v136, v123, v5 :: v_dual_fmac_f32 v137, v125, v7
	s_wait_loadcnt_dscnt 0x401
	v_mul_f32_e32 v123, v126, v2
	v_fma_f32 v122, v124, v7, -v6
	ds_load_b128 v[5:8], v21 offset:592
	s_wait_loadcnt_dscnt 0x301
	v_dual_mul_f32 v124, v128, v4 :: v_dual_mul_f32 v125, v130, v10
	v_dual_mul_f32 v4, v129, v4 :: v_dual_fmac_f32 v123, v127, v1
	v_mul_f32_e32 v10, v131, v10
	s_delay_alu instid0(VALU_DEP_3)
	v_dual_mul_f32 v138, v132, v12 :: v_dual_fmac_f32 v125, v131, v9
	v_mul_f32_e32 v12, v133, v12
	v_mul_f32_e32 v2, v127, v2
	v_fmac_f32_e32 v124, v129, v3
	v_fma_f32 v127, v128, v3, -v4
	v_fma_f32 v128, v130, v9, -v10
	v_fmac_f32_e32 v138, v133, v11
	v_fma_f32 v129, v132, v11, -v12
	ds_load_b128 v[9:12], v21 offset:608
	s_wait_loadcnt_dscnt 0x201
	v_dual_mul_f32 v131, v7, v16 :: v_dual_mul_f32 v130, v5, v14
	v_mul_f32_e32 v14, v6, v14
	v_mul_f32_e32 v16, v8, v16
	s_delay_alu instid0(VALU_DEP_3)
	v_fmac_f32_e32 v131, v8, v15
	v_fma_f32 v126, v126, v1, -v2
	scratch_load_b128 v[1:4], off, off offset:224
	v_fmac_f32_e32 v130, v6, v13
	v_fma_f32 v13, v5, v13, -v14
	v_fma_f32 v14, v7, v15, -v16
	ds_load_b128 v[5:8], v21 offset:624
	s_wait_loadcnt_dscnt 0x201
	v_mul_f32_e32 v15, v9, v18
	v_mul_f32_e32 v16, v10, v18
	;; [unrolled: 1-line block ×3, first 2 shown]
	s_delay_alu instid0(VALU_DEP_3) | instskip(NEXT) | instid1(VALU_DEP_3)
	v_dual_mul_f32 v20, v12, v20 :: v_dual_fmac_f32 v15, v10, v17
	v_fma_f32 v16, v9, v17, -v16
	s_delay_alu instid0(VALU_DEP_3) | instskip(NEXT) | instid1(VALU_DEP_3)
	v_fmac_f32_e32 v18, v12, v19
	v_fma_f32 v17, v11, v19, -v20
	scratch_load_b128 v[9:12], off, off offset:240
	s_wait_loadcnt_dscnt 0x100
	v_mul_f32_e32 v19, v5, v2
	v_mul_f32_e32 v2, v6, v2
	;; [unrolled: 1-line block ×3, first 2 shown]
	s_delay_alu instid0(VALU_DEP_3) | instskip(NEXT) | instid1(VALU_DEP_3)
	v_dual_mul_f32 v4, v8, v4 :: v_dual_fmac_f32 v19, v6, v1
	v_fma_f32 v132, v5, v1, -v2
	s_delay_alu instid0(VALU_DEP_3) | instskip(NEXT) | instid1(VALU_DEP_3)
	v_fmac_f32_e32 v20, v8, v3
	v_fma_f32 v133, v7, v3, -v4
	ds_load_b128 v[1:4], v21 offset:640
	ds_load_b128 v[5:8], v21 offset:656
	s_wait_loadcnt_dscnt 0x1
	v_mul_f32_e32 v139, v1, v10
	v_mul_f32_e32 v10, v2, v10
	s_delay_alu instid0(VALU_DEP_2) | instskip(NEXT) | instid1(VALU_DEP_2)
	v_dual_mul_f32 v140, v3, v12 :: v_dual_fmac_f32 v139, v2, v9
	v_fma_f32 v141, v1, v9, -v10
	v_mul_f32_e32 v1, v4, v12
	s_delay_alu instid0(VALU_DEP_3) | instskip(NEXT) | instid1(VALU_DEP_2)
	v_fmac_f32_e32 v140, v4, v11
	v_fma_f32 v142, v3, v11, -v1
	s_clause 0x1
	scratch_load_b128 v[1:4], off, off offset:256
	scratch_load_b128 v[9:12], off, off offset:272
	s_wait_loadcnt_dscnt 0x100
	v_mul_f32_e32 v143, v5, v2
	v_dual_mul_f32 v2, v6, v2 :: v_dual_mul_f32 v145, v7, v4
	s_delay_alu instid0(VALU_DEP_2) | instskip(NEXT) | instid1(VALU_DEP_2)
	v_fmac_f32_e32 v143, v6, v1
	v_fma_f32 v144, v5, v1, -v2
	v_mul_f32_e32 v1, v8, v4
	s_delay_alu instid0(VALU_DEP_4) | instskip(NEXT) | instid1(VALU_DEP_2)
	v_fmac_f32_e32 v145, v8, v3
	v_fma_f32 v146, v7, v3, -v1
	ds_load_b128 v[1:4], v21 offset:672
	ds_load_b128 v[5:8], v21 offset:688
	s_wait_loadcnt_dscnt 0x1
	v_mul_f32_e32 v147, v1, v10
	v_mul_f32_e32 v149, v3, v12
	s_delay_alu instid0(VALU_DEP_2) | instskip(NEXT) | instid1(VALU_DEP_2)
	v_fmac_f32_e32 v147, v2, v9
	v_dual_mul_f32 v2, v2, v10 :: v_dual_fmac_f32 v149, v4, v11
	s_delay_alu instid0(VALU_DEP_1) | instskip(SKIP_1) | instid1(VALU_DEP_1)
	v_fma_f32 v148, v1, v9, -v2
	v_mul_f32_e32 v1, v4, v12
	v_fma_f32 v150, v3, v11, -v1
	s_clause 0x1
	scratch_load_b128 v[1:4], off, off offset:288
	scratch_load_b128 v[9:12], off, off offset:304
	s_wait_loadcnt_dscnt 0x100
	v_mul_f32_e32 v151, v5, v2
	v_dual_mul_f32 v153, v7, v4 :: v_dual_mul_f32 v2, v6, v2
	s_delay_alu instid0(VALU_DEP_2) | instskip(NEXT) | instid1(VALU_DEP_2)
	v_fmac_f32_e32 v151, v6, v1
	v_fmac_f32_e32 v153, v8, v3
	s_delay_alu instid0(VALU_DEP_3) | instskip(SKIP_1) | instid1(VALU_DEP_1)
	v_fma_f32 v152, v5, v1, -v2
	v_add_f32_e32 v2, 0, v136
	v_dual_mul_f32 v1, v8, v4 :: v_dual_add_f32 v2, v2, v137
	s_delay_alu instid0(VALU_DEP_1) | instskip(NEXT) | instid1(VALU_DEP_2)
	v_fma_f32 v154, v7, v3, -v1
	v_dual_add_f32 v1, 0, v22 :: v_dual_add_f32 v2, v2, v123
	s_delay_alu instid0(VALU_DEP_1) | instskip(NEXT) | instid1(VALU_DEP_1)
	v_dual_add_f32 v1, v1, v122 :: v_dual_add_f32 v2, v2, v124
	v_dual_add_f32 v1, v1, v126 :: v_dual_add_f32 v2, v2, v125
	s_delay_alu instid0(VALU_DEP_1) | instskip(SKIP_2) | instid1(VALU_DEP_1)
	v_add_f32_e32 v1, v1, v127
	scratch_load_b64 v[126:127], off, off offset:384
	v_add_f32_e32 v1, v1, v128
	v_add_f32_e32 v1, v1, v129
	s_delay_alu instid0(VALU_DEP_1)
	v_dual_add_f32 v5, v2, v138 :: v_dual_add_f32 v6, v1, v13
	scratch_load_b128 v[1:4], off, off offset:320
	v_add_f32_e32 v13, v5, v130
	v_add_f32_e32 v14, v6, v14
	ds_load_b128 v[5:8], v21 offset:704
	v_dual_add_f32 v13, v13, v131 :: v_dual_add_f32 v14, v14, v16
	s_delay_alu instid0(VALU_DEP_1) | instskip(NEXT) | instid1(VALU_DEP_1)
	v_add_f32_e32 v13, v13, v15
	v_dual_add_f32 v17, v14, v17 :: v_dual_add_f32 v18, v13, v18
	ds_load_b128 v[13:16], v21 offset:720
	v_add_f32_e32 v18, v18, v19
	s_wait_loadcnt_dscnt 0x201
	v_mul_f32_e32 v22, v5, v10
	v_dual_add_f32 v17, v17, v132 :: v_dual_mul_f32 v10, v6, v10
	v_mul_f32_e32 v130, v7, v12
	v_mul_f32_e32 v12, v8, v12
	s_delay_alu instid0(VALU_DEP_4) | instskip(NEXT) | instid1(VALU_DEP_4)
	v_fmac_f32_e32 v22, v6, v9
	v_add_f32_e32 v17, v17, v133
	v_fma_f32 v131, v5, v9, -v10
	v_fmac_f32_e32 v130, v8, v11
	v_fma_f32 v132, v7, v11, -v12
	scratch_load_b128 v[5:8], off, off offset:336
	v_dual_add_f32 v17, v17, v141 :: v_dual_add_f32 v18, v18, v20
	scratch_load_b128 v[9:12], off, off offset:352
	v_add_f32_e32 v123, v17, v142
	s_delay_alu instid0(VALU_DEP_1) | instskip(SKIP_2) | instid1(VALU_DEP_1)
	v_dual_add_f32 v123, v123, v144 :: v_dual_add_f32 v122, v18, v139
	scratch_load_b128 v[17:20], off, off offset:368
	v_dual_add_f32 v123, v123, v146 :: v_dual_add_f32 v122, v122, v140
	v_add_f32_e32 v123, v123, v148
	s_wait_loadcnt_dscnt 0x300
	s_delay_alu instid0(VALU_DEP_2) | instskip(SKIP_1) | instid1(VALU_DEP_2)
	v_dual_mul_f32 v133, v13, v2 :: v_dual_add_f32 v122, v122, v143
	v_mul_f32_e32 v2, v14, v2
	v_dual_mul_f32 v136, v15, v4 :: v_dual_fmac_f32 v133, v14, v1
	v_add_f32_e32 v14, v123, v150
	s_delay_alu instid0(VALU_DEP_2) | instskip(NEXT) | instid1(VALU_DEP_2)
	v_fmac_f32_e32 v136, v16, v3
	v_add_f32_e32 v128, v14, v152
	s_delay_alu instid0(VALU_DEP_1) | instskip(NEXT) | instid1(VALU_DEP_1)
	v_dual_add_f32 v122, v122, v145 :: v_dual_add_f32 v139, v128, v154
	v_dual_mul_f32 v4, v16, v4 :: v_dual_add_f32 v131, v139, v131
	v_fma_f32 v137, v13, v1, -v2
	s_delay_alu instid0(VALU_DEP_3) | instskip(NEXT) | instid1(VALU_DEP_3)
	v_add_f32_e32 v13, v122, v147
	v_fma_f32 v138, v15, v3, -v4
	ds_load_b128 v[1:4], v21 offset:736
	v_dual_add_f32 v131, v131, v132 :: v_dual_add_f32 v122, v13, v149
	ds_load_b128 v[13:16], v21 offset:752
	v_add_f32_e32 v131, v131, v137
	v_add_f32_e32 v129, v122, v151
	ds_load_b128 v[122:125], v21 offset:768
	v_dual_add_f32 v131, v131, v138 :: v_dual_add_f32 v140, v129, v153
	ds_load_b64 v[128:129], v21 offset:784
	s_wait_loadcnt_dscnt 0x203
	v_mul_f32_e32 v139, v1, v6
	v_add_f32_e32 v22, v140, v22
	v_mul_f32_e32 v6, v2, v6
	s_delay_alu instid0(VALU_DEP_3) | instskip(NEXT) | instid1(VALU_DEP_3)
	v_fmac_f32_e32 v139, v2, v5
	v_add_f32_e32 v22, v22, v130
	v_mul_f32_e32 v130, v3, v8
	v_mul_f32_e32 v8, v4, v8
	v_fma_f32 v1, v1, v5, -v6
	s_wait_loadcnt_dscnt 0x1
	v_mul_f32_e32 v138, v124, v20
	v_mul_f32_e32 v5, v16, v12
	;; [unrolled: 1-line block ×3, first 2 shown]
	v_fma_f32 v2, v3, v7, -v8
	v_mul_f32_e32 v3, v14, v10
	v_add_f32_e32 v1, v131, v1
	v_add_f32_e32 v22, v22, v133
	v_dual_fmac_f32 v130, v4, v7 :: v_dual_fmac_f32 v137, v123, v17
	s_delay_alu instid0(VALU_DEP_4) | instskip(NEXT) | instid1(VALU_DEP_3)
	v_fma_f32 v3, v13, v9, -v3
	v_dual_add_f32 v1, v1, v2 :: v_dual_add_f32 v22, v22, v136
	s_wait_dscnt 0x0
	v_mul_f32_e32 v136, v128, v127
	v_fma_f32 v5, v15, v11, -v5
	v_mul_f32_e32 v133, v15, v12
	v_add_f32_e32 v1, v1, v3
	v_dual_add_f32 v4, v22, v139 :: v_dual_mul_f32 v3, v125, v20
	s_delay_alu instid0(VALU_DEP_3) | instskip(NEXT) | instid1(VALU_DEP_2)
	v_dual_mul_f32 v132, v13, v10 :: v_dual_fmac_f32 v133, v16, v11
	v_dual_add_f32 v1, v1, v5 :: v_dual_add_f32 v2, v4, v130
	s_delay_alu instid0(VALU_DEP_3) | instskip(SKIP_1) | instid1(VALU_DEP_4)
	v_fma_f32 v3, v124, v19, -v3
	v_mul_f32_e32 v4, v123, v18
	v_dual_fmac_f32 v132, v14, v9 :: v_dual_mul_f32 v5, v129, v127
	v_fmac_f32_e32 v136, v129, v126
	s_delay_alu instid0(VALU_DEP_3) | instskip(NEXT) | instid1(VALU_DEP_1)
	v_fma_f32 v4, v122, v17, -v4
	v_add_f32_e32 v1, v1, v4
	s_delay_alu instid0(VALU_DEP_4) | instskip(SKIP_1) | instid1(VALU_DEP_2)
	v_add_f32_e32 v2, v2, v132
	v_fma_f32 v4, v128, v126, -v5
	v_dual_add_f32 v1, v1, v3 :: v_dual_add_f32 v2, v2, v133
	s_delay_alu instid0(VALU_DEP_1) | instskip(SKIP_1) | instid1(VALU_DEP_3)
	v_add_f32_e32 v1, v1, v4
	v_fmac_f32_e32 v138, v125, v19
	v_add_f32_e32 v2, v2, v137
	s_delay_alu instid0(VALU_DEP_3) | instskip(NEXT) | instid1(VALU_DEP_2)
	v_sub_f32_e32 v1, v134, v1
	v_add_f32_e32 v2, v2, v138
	s_delay_alu instid0(VALU_DEP_1) | instskip(NEXT) | instid1(VALU_DEP_1)
	v_add_f32_e32 v2, v2, v136
	v_sub_f32_e32 v2, v135, v2
	scratch_store_b64 off, v[1:2], off offset:136
	v_cmpx_lt_u32_e32 16, v0
	s_cbranch_execz .LBB48_275
; %bb.274:
	scratch_load_b64 v[1:2], off, off offset:128
	v_mov_b32_e32 v22, v21
	scratch_store_b64 off, v[21:22], off offset:128
	s_wait_loadcnt 0x0
	ds_store_b64 v23, v[1:2]
.LBB48_275:
	s_wait_alu 0xfffe
	s_or_b32 exec_lo, exec_lo, s0
	s_wait_storecnt_dscnt 0x0
	s_barrier_signal -1
	s_barrier_wait -1
	global_inv scope:SCOPE_SE
	s_clause 0x4
	scratch_load_b128 v[5:8], off, off offset:136
	scratch_load_b128 v[1:4], off, off offset:152
	;; [unrolled: 1-line block ×5, first 2 shown]
	ds_load_2addr_b64 v[122:125], v21 offset0:67 offset1:68
	ds_load_2addr_b64 v[126:129], v21 offset0:69 offset1:70
	;; [unrolled: 1-line block ×3, first 2 shown]
	scratch_load_b64 v[134:135], off, off offset:128
	s_mov_b32 s0, exec_lo
	s_wait_loadcnt_dscnt 0x502
	v_dual_mul_f32 v22, v123, v6 :: v_dual_mul_f32 v137, v124, v8
	v_mul_f32_e32 v136, v122, v6
	v_mul_f32_e32 v6, v125, v8
	s_wait_loadcnt_dscnt 0x300
	v_mul_f32_e32 v138, v132, v12
	v_fma_f32 v22, v122, v5, -v22
	v_dual_fmac_f32 v137, v125, v7 :: v_dual_fmac_f32 v136, v123, v5
	v_mul_f32_e32 v125, v130, v10
	v_mul_f32_e32 v123, v126, v2
	v_fma_f32 v122, v124, v7, -v6
	ds_load_2addr_b64 v[5:8], v21 offset0:73 offset1:74
	v_mul_f32_e32 v124, v128, v4
	v_dual_mul_f32 v4, v129, v4 :: v_dual_fmac_f32 v125, v131, v9
	v_mul_f32_e32 v10, v131, v10
	v_mul_f32_e32 v12, v133, v12
	;; [unrolled: 1-line block ×3, first 2 shown]
	v_dual_fmac_f32 v123, v127, v1 :: v_dual_fmac_f32 v124, v129, v3
	v_fma_f32 v127, v128, v3, -v4
	v_fma_f32 v128, v130, v9, -v10
	v_fmac_f32_e32 v138, v133, v11
	v_fma_f32 v129, v132, v11, -v12
	ds_load_2addr_b64 v[9:12], v21 offset0:75 offset1:76
	s_wait_loadcnt_dscnt 0x201
	v_dual_mul_f32 v131, v7, v16 :: v_dual_mul_f32 v130, v5, v14
	s_delay_alu instid0(VALU_DEP_1)
	v_dual_mul_f32 v14, v6, v14 :: v_dual_fmac_f32 v131, v8, v15
	v_fma_f32 v126, v126, v1, -v2
	scratch_load_b128 v[1:4], off, off offset:216
	v_mul_f32_e32 v16, v8, v16
	v_fmac_f32_e32 v130, v6, v13
	v_fma_f32 v13, v5, v13, -v14
	s_delay_alu instid0(VALU_DEP_3)
	v_fma_f32 v14, v7, v15, -v16
	s_wait_loadcnt_dscnt 0x200
	v_mul_f32_e32 v15, v9, v18
	v_mul_f32_e32 v16, v10, v18
	;; [unrolled: 1-line block ×4, first 2 shown]
	ds_load_2addr_b64 v[5:8], v21 offset0:77 offset1:78
	v_fmac_f32_e32 v15, v10, v17
	v_fma_f32 v16, v9, v17, -v16
	v_fmac_f32_e32 v18, v12, v19
	v_fma_f32 v17, v11, v19, -v20
	scratch_load_b128 v[9:12], off, off offset:232
	s_wait_loadcnt_dscnt 0x100
	v_mul_f32_e32 v19, v5, v2
	v_mul_f32_e32 v2, v6, v2
	;; [unrolled: 1-line block ×3, first 2 shown]
	s_delay_alu instid0(VALU_DEP_3) | instskip(NEXT) | instid1(VALU_DEP_3)
	v_dual_mul_f32 v4, v8, v4 :: v_dual_fmac_f32 v19, v6, v1
	v_fma_f32 v132, v5, v1, -v2
	s_delay_alu instid0(VALU_DEP_3) | instskip(NEXT) | instid1(VALU_DEP_3)
	v_fmac_f32_e32 v20, v8, v3
	v_fma_f32 v133, v7, v3, -v4
	ds_load_2addr_b64 v[1:4], v21 offset0:79 offset1:80
	ds_load_2addr_b64 v[5:8], v21 offset0:81 offset1:82
	s_wait_loadcnt_dscnt 0x1
	v_mul_f32_e32 v139, v1, v10
	v_mul_f32_e32 v10, v2, v10
	s_delay_alu instid0(VALU_DEP_2) | instskip(NEXT) | instid1(VALU_DEP_2)
	v_dual_mul_f32 v140, v3, v12 :: v_dual_fmac_f32 v139, v2, v9
	v_fma_f32 v141, v1, v9, -v10
	v_mul_f32_e32 v1, v4, v12
	s_delay_alu instid0(VALU_DEP_3) | instskip(NEXT) | instid1(VALU_DEP_2)
	v_fmac_f32_e32 v140, v4, v11
	v_fma_f32 v142, v3, v11, -v1
	s_clause 0x1
	scratch_load_b128 v[1:4], off, off offset:248
	scratch_load_b128 v[9:12], off, off offset:264
	s_wait_loadcnt_dscnt 0x100
	v_mul_f32_e32 v143, v5, v2
	v_dual_mul_f32 v2, v6, v2 :: v_dual_mul_f32 v145, v7, v4
	s_delay_alu instid0(VALU_DEP_2) | instskip(NEXT) | instid1(VALU_DEP_2)
	v_fmac_f32_e32 v143, v6, v1
	v_fma_f32 v144, v5, v1, -v2
	v_mul_f32_e32 v1, v8, v4
	s_delay_alu instid0(VALU_DEP_4) | instskip(NEXT) | instid1(VALU_DEP_2)
	v_fmac_f32_e32 v145, v8, v3
	v_fma_f32 v146, v7, v3, -v1
	ds_load_2addr_b64 v[1:4], v21 offset0:83 offset1:84
	ds_load_2addr_b64 v[5:8], v21 offset0:85 offset1:86
	s_wait_loadcnt_dscnt 0x1
	v_mul_f32_e32 v147, v1, v10
	v_mul_f32_e32 v149, v3, v12
	s_delay_alu instid0(VALU_DEP_2) | instskip(NEXT) | instid1(VALU_DEP_2)
	v_fmac_f32_e32 v147, v2, v9
	v_dual_mul_f32 v2, v2, v10 :: v_dual_fmac_f32 v149, v4, v11
	s_delay_alu instid0(VALU_DEP_1) | instskip(SKIP_1) | instid1(VALU_DEP_1)
	v_fma_f32 v148, v1, v9, -v2
	v_mul_f32_e32 v1, v4, v12
	v_fma_f32 v150, v3, v11, -v1
	s_clause 0x1
	scratch_load_b128 v[1:4], off, off offset:280
	scratch_load_b128 v[9:12], off, off offset:296
	s_wait_loadcnt_dscnt 0x100
	v_mul_f32_e32 v151, v5, v2
	v_dual_mul_f32 v2, v6, v2 :: v_dual_mul_f32 v153, v7, v4
	s_delay_alu instid0(VALU_DEP_2) | instskip(NEXT) | instid1(VALU_DEP_2)
	v_fmac_f32_e32 v151, v6, v1
	v_fma_f32 v152, v5, v1, -v2
	v_mul_f32_e32 v1, v8, v4
	s_delay_alu instid0(VALU_DEP_4) | instskip(NEXT) | instid1(VALU_DEP_2)
	v_fmac_f32_e32 v153, v8, v3
	v_fma_f32 v154, v7, v3, -v1
	ds_load_2addr_b64 v[1:4], v21 offset0:87 offset1:88
	ds_load_2addr_b64 v[5:8], v21 offset0:89 offset1:90
	s_wait_loadcnt_dscnt 0x1
	v_mul_f32_e32 v155, v1, v10
	v_mul_f32_e32 v157, v3, v12
	s_delay_alu instid0(VALU_DEP_2) | instskip(NEXT) | instid1(VALU_DEP_2)
	v_fmac_f32_e32 v155, v2, v9
	v_dual_mul_f32 v2, v2, v10 :: v_dual_fmac_f32 v157, v4, v11
	s_delay_alu instid0(VALU_DEP_1) | instskip(SKIP_1) | instid1(VALU_DEP_1)
	v_fma_f32 v156, v1, v9, -v2
	v_mul_f32_e32 v1, v4, v12
	v_fma_f32 v158, v3, v11, -v1
	s_clause 0x1
	scratch_load_b128 v[1:4], off, off offset:312
	scratch_load_b128 v[9:12], off, off offset:328
	s_wait_loadcnt_dscnt 0x100
	v_mul_f32_e32 v159, v5, v2
	v_mul_f32_e32 v2, v6, v2
	s_delay_alu instid0(VALU_DEP_1) | instskip(SKIP_1) | instid1(VALU_DEP_1)
	v_fma_f32 v160, v5, v1, -v2
	v_add_f32_e32 v2, 0, v136
	v_add_f32_e32 v2, v2, v137
	s_delay_alu instid0(VALU_DEP_1) | instskip(SKIP_1) | instid1(VALU_DEP_2)
	v_add_f32_e32 v2, v2, v123
	v_fmac_f32_e32 v159, v6, v1
	v_add_f32_e32 v2, v2, v124
	s_delay_alu instid0(VALU_DEP_1) | instskip(NEXT) | instid1(VALU_DEP_1)
	v_dual_mul_f32 v161, v7, v4 :: v_dual_add_f32 v2, v2, v125
	v_dual_fmac_f32 v161, v8, v3 :: v_dual_add_f32 v2, v2, v138
	s_delay_alu instid0(VALU_DEP_1) | instskip(NEXT) | instid1(VALU_DEP_1)
	v_dual_mul_f32 v1, v8, v4 :: v_dual_add_f32 v2, v2, v130
	v_fma_f32 v162, v7, v3, -v1
	s_delay_alu instid0(VALU_DEP_2) | instskip(NEXT) | instid1(VALU_DEP_1)
	v_dual_add_f32 v1, 0, v22 :: v_dual_add_f32 v2, v2, v131
	v_add_f32_e32 v1, v1, v122
	s_delay_alu instid0(VALU_DEP_1) | instskip(NEXT) | instid1(VALU_DEP_1)
	v_add_f32_e32 v1, v1, v126
	v_add_f32_e32 v1, v1, v127
	s_delay_alu instid0(VALU_DEP_1) | instskip(NEXT) | instid1(VALU_DEP_1)
	v_add_f32_e32 v1, v1, v128
	;; [unrolled: 3-line block ×4, first 2 shown]
	v_dual_add_f32 v5, v2, v15 :: v_dual_add_f32 v6, v1, v17
	ds_load_2addr_b64 v[1:4], v21 offset0:91 offset1:92
	v_dual_add_f32 v5, v5, v18 :: v_dual_add_f32 v6, v6, v132
	s_delay_alu instid0(VALU_DEP_1) | instskip(NEXT) | instid1(VALU_DEP_1)
	v_add_f32_e32 v13, v6, v133
	v_add_f32_e32 v13, v13, v141
	s_delay_alu instid0(VALU_DEP_1) | instskip(NEXT) | instid1(VALU_DEP_1)
	v_add_f32_e32 v13, v13, v142
	v_add_f32_e32 v13, v13, v144
	s_delay_alu instid0(VALU_DEP_1) | instskip(NEXT) | instid1(VALU_DEP_1)
	v_add_f32_e32 v18, v13, v146
	v_dual_add_f32 v5, v5, v19 :: v_dual_add_f32 v18, v18, v148
	s_delay_alu instid0(VALU_DEP_1)
	v_add_f32_e32 v14, v5, v20
	ds_load_2addr_b64 v[5:8], v21 offset0:93 offset1:94
	s_wait_loadcnt_dscnt 0x1
	v_mul_f32_e32 v22, v1, v10
	v_mul_f32_e32 v126, v3, v12
	;; [unrolled: 1-line block ×4, first 2 shown]
	v_add_f32_e32 v14, v14, v139
	v_fmac_f32_e32 v22, v2, v9
	v_fmac_f32_e32 v126, v4, v11
	v_fma_f32 v127, v1, v9, -v10
	v_fma_f32 v128, v3, v11, -v12
	s_clause 0x1
	scratch_load_b128 v[1:4], off, off offset:344
	scratch_load_b128 v[9:12], off, off offset:360
	v_add_f32_e32 v14, v14, v140
	v_add_f32_e32 v18, v18, v150
	s_delay_alu instid0(VALU_DEP_2)
	v_add_f32_e32 v17, v14, v143
	scratch_load_b128 v[13:16], off, off offset:376
	v_add_f32_e32 v122, v18, v152
	s_wait_loadcnt_dscnt 0x200
	v_mul_f32_e32 v131, v7, v4
	v_dual_mul_f32 v4, v8, v4 :: v_dual_add_f32 v17, v17, v145
	s_delay_alu instid0(VALU_DEP_1) | instskip(NEXT) | instid1(VALU_DEP_1)
	v_add_f32_e32 v17, v17, v147
	v_add_f32_e32 v17, v17, v149
	s_delay_alu instid0(VALU_DEP_1)
	v_add_f32_e32 v123, v17, v151
	ds_load_2addr_b64 v[17:20], v21 offset0:95 offset1:96
	v_dual_add_f32 v129, v122, v154 :: v_dual_add_f32 v130, v123, v153
	ds_load_2addr_b64 v[122:125], v21 offset0:97 offset1:98
	s_wait_loadcnt_dscnt 0x101
	v_dual_mul_f32 v132, v17, v10 :: v_dual_fmac_f32 v131, v8, v3
	v_fma_f32 v3, v7, v3, -v4
	v_mul_f32_e32 v4, v20, v12
	s_delay_alu instid0(VALU_DEP_3)
	v_dual_add_f32 v21, v129, v156 :: v_dual_fmac_f32 v132, v18, v9
	v_add_f32_e32 v129, v130, v155
	s_wait_loadcnt_dscnt 0x0
	v_mul_f32_e32 v136, v122, v14
	v_mul_f32_e32 v130, v5, v2
	v_add_f32_e32 v21, v21, v158
	v_mul_f32_e32 v133, v19, v12
	v_add_f32_e32 v129, v129, v157
	v_fmac_f32_e32 v136, v123, v13
	s_delay_alu instid0(VALU_DEP_4) | instskip(NEXT) | instid1(VALU_DEP_4)
	v_dual_fmac_f32 v130, v6, v1 :: v_dual_add_f32 v21, v21, v160
	v_fmac_f32_e32 v133, v20, v11
	s_delay_alu instid0(VALU_DEP_4) | instskip(SKIP_1) | instid1(VALU_DEP_4)
	v_dual_add_f32 v129, v129, v159 :: v_dual_mul_f32 v2, v6, v2
	v_mul_f32_e32 v6, v18, v10
	v_add_f32_e32 v21, v21, v162
	v_fma_f32 v4, v19, v11, -v4
	s_delay_alu instid0(VALU_DEP_4) | instskip(NEXT) | instid1(VALU_DEP_3)
	v_fma_f32 v2, v5, v1, -v2
	v_add_f32_e32 v21, v21, v127
	v_mul_f32_e32 v127, v124, v16
	s_delay_alu instid0(VALU_DEP_2) | instskip(NEXT) | instid1(VALU_DEP_2)
	v_add_f32_e32 v1, v21, v128
	v_fmac_f32_e32 v127, v125, v15
	v_add_f32_e32 v129, v129, v161
	s_delay_alu instid0(VALU_DEP_3) | instskip(NEXT) | instid1(VALU_DEP_2)
	v_add_f32_e32 v1, v1, v2
	v_add_f32_e32 v22, v129, v22
	s_delay_alu instid0(VALU_DEP_2) | instskip(SKIP_1) | instid1(VALU_DEP_3)
	v_add_f32_e32 v1, v1, v3
	v_mul_f32_e32 v3, v123, v14
	v_add_f32_e32 v5, v22, v126
	s_delay_alu instid0(VALU_DEP_2) | instskip(NEXT) | instid1(VALU_DEP_2)
	v_fma_f32 v3, v122, v13, -v3
	v_add_f32_e32 v2, v5, v130
	v_fma_f32 v5, v17, v9, -v6
	s_delay_alu instid0(VALU_DEP_1) | instskip(SKIP_1) | instid1(VALU_DEP_2)
	v_dual_add_f32 v2, v2, v131 :: v_dual_add_f32 v1, v1, v5
	v_mul_f32_e32 v5, v125, v16
	v_add_f32_e32 v2, v2, v132
	s_delay_alu instid0(VALU_DEP_3) | instskip(NEXT) | instid1(VALU_DEP_3)
	v_add_f32_e32 v1, v1, v4
	v_fma_f32 v4, v124, v15, -v5
	s_delay_alu instid0(VALU_DEP_2) | instskip(NEXT) | instid1(VALU_DEP_1)
	v_dual_add_f32 v2, v2, v133 :: v_dual_add_f32 v1, v1, v3
	v_add_f32_e32 v2, v2, v136
	s_delay_alu instid0(VALU_DEP_1) | instskip(NEXT) | instid1(VALU_DEP_1)
	v_dual_add_f32 v1, v1, v4 :: v_dual_add_f32 v2, v2, v127
	v_dual_sub_f32 v1, v134, v1 :: v_dual_sub_f32 v2, v135, v2
	scratch_store_b64 off, v[1:2], off offset:128
	v_cmpx_lt_u32_e32 15, v0
	s_cbranch_execz .LBB48_277
; %bb.276:
	scratch_load_b64 v[1:2], off, off offset:120
	v_mov_b32_e32 v3, 0
	s_delay_alu instid0(VALU_DEP_1)
	v_mov_b32_e32 v4, v3
	scratch_store_b64 off, v[3:4], off offset:120
	s_wait_loadcnt 0x0
	ds_store_b64 v23, v[1:2]
.LBB48_277:
	s_wait_alu 0xfffe
	s_or_b32 exec_lo, exec_lo, s0
	s_wait_storecnt_dscnt 0x0
	s_barrier_signal -1
	s_barrier_wait -1
	global_inv scope:SCOPE_SE
	s_clause 0x4
	scratch_load_b128 v[5:8], off, off offset:128
	scratch_load_b128 v[1:4], off, off offset:144
	;; [unrolled: 1-line block ×5, first 2 shown]
	v_mov_b32_e32 v21, 0
	ds_load_b128 v[122:125], v21 offset:528
	ds_load_b128 v[126:129], v21 offset:544
	;; [unrolled: 1-line block ×3, first 2 shown]
	scratch_load_b64 v[134:135], off, off offset:120
	s_mov_b32 s0, exec_lo
	s_wait_loadcnt_dscnt 0x502
	v_mul_f32_e32 v22, v123, v6
	v_dual_mul_f32 v136, v122, v6 :: v_dual_mul_f32 v137, v124, v8
	v_mul_f32_e32 v6, v125, v8
	s_delay_alu instid0(VALU_DEP_3) | instskip(NEXT) | instid1(VALU_DEP_3)
	v_fma_f32 v22, v122, v5, -v22
	v_dual_fmac_f32 v136, v123, v5 :: v_dual_fmac_f32 v137, v125, v7
	s_wait_loadcnt_dscnt 0x401
	v_mul_f32_e32 v123, v126, v2
	v_fma_f32 v122, v124, v7, -v6
	ds_load_b128 v[5:8], v21 offset:576
	s_wait_loadcnt_dscnt 0x301
	v_dual_mul_f32 v124, v128, v4 :: v_dual_mul_f32 v125, v130, v10
	v_dual_mul_f32 v4, v129, v4 :: v_dual_fmac_f32 v123, v127, v1
	v_mul_f32_e32 v10, v131, v10
	s_delay_alu instid0(VALU_DEP_3)
	v_dual_mul_f32 v138, v132, v12 :: v_dual_fmac_f32 v125, v131, v9
	v_mul_f32_e32 v12, v133, v12
	v_mul_f32_e32 v2, v127, v2
	v_fmac_f32_e32 v124, v129, v3
	v_fma_f32 v127, v128, v3, -v4
	v_fma_f32 v128, v130, v9, -v10
	v_fmac_f32_e32 v138, v133, v11
	v_fma_f32 v129, v132, v11, -v12
	ds_load_b128 v[9:12], v21 offset:592
	s_wait_loadcnt_dscnt 0x201
	v_dual_mul_f32 v131, v7, v16 :: v_dual_mul_f32 v130, v5, v14
	v_mul_f32_e32 v14, v6, v14
	v_mul_f32_e32 v16, v8, v16
	s_delay_alu instid0(VALU_DEP_3)
	v_fmac_f32_e32 v131, v8, v15
	v_fma_f32 v126, v126, v1, -v2
	scratch_load_b128 v[1:4], off, off offset:208
	v_fmac_f32_e32 v130, v6, v13
	v_fma_f32 v13, v5, v13, -v14
	v_fma_f32 v14, v7, v15, -v16
	ds_load_b128 v[5:8], v21 offset:608
	s_wait_loadcnt_dscnt 0x201
	v_mul_f32_e32 v15, v9, v18
	v_mul_f32_e32 v16, v10, v18
	;; [unrolled: 1-line block ×3, first 2 shown]
	s_delay_alu instid0(VALU_DEP_3) | instskip(NEXT) | instid1(VALU_DEP_3)
	v_dual_mul_f32 v20, v12, v20 :: v_dual_fmac_f32 v15, v10, v17
	v_fma_f32 v16, v9, v17, -v16
	s_delay_alu instid0(VALU_DEP_3) | instskip(NEXT) | instid1(VALU_DEP_3)
	v_fmac_f32_e32 v18, v12, v19
	v_fma_f32 v17, v11, v19, -v20
	scratch_load_b128 v[9:12], off, off offset:224
	s_wait_loadcnt_dscnt 0x100
	v_mul_f32_e32 v19, v5, v2
	v_mul_f32_e32 v2, v6, v2
	;; [unrolled: 1-line block ×3, first 2 shown]
	s_delay_alu instid0(VALU_DEP_3) | instskip(NEXT) | instid1(VALU_DEP_3)
	v_dual_mul_f32 v4, v8, v4 :: v_dual_fmac_f32 v19, v6, v1
	v_fma_f32 v132, v5, v1, -v2
	s_delay_alu instid0(VALU_DEP_3) | instskip(NEXT) | instid1(VALU_DEP_3)
	v_fmac_f32_e32 v20, v8, v3
	v_fma_f32 v133, v7, v3, -v4
	ds_load_b128 v[1:4], v21 offset:624
	ds_load_b128 v[5:8], v21 offset:640
	s_wait_loadcnt_dscnt 0x1
	v_mul_f32_e32 v139, v1, v10
	v_mul_f32_e32 v10, v2, v10
	s_delay_alu instid0(VALU_DEP_2) | instskip(NEXT) | instid1(VALU_DEP_2)
	v_dual_mul_f32 v140, v3, v12 :: v_dual_fmac_f32 v139, v2, v9
	v_fma_f32 v141, v1, v9, -v10
	v_mul_f32_e32 v1, v4, v12
	s_delay_alu instid0(VALU_DEP_3) | instskip(NEXT) | instid1(VALU_DEP_2)
	v_fmac_f32_e32 v140, v4, v11
	v_fma_f32 v142, v3, v11, -v1
	s_clause 0x1
	scratch_load_b128 v[1:4], off, off offset:240
	scratch_load_b128 v[9:12], off, off offset:256
	s_wait_loadcnt_dscnt 0x100
	v_mul_f32_e32 v143, v5, v2
	v_dual_mul_f32 v2, v6, v2 :: v_dual_mul_f32 v145, v7, v4
	s_delay_alu instid0(VALU_DEP_2) | instskip(NEXT) | instid1(VALU_DEP_2)
	v_fmac_f32_e32 v143, v6, v1
	v_fma_f32 v144, v5, v1, -v2
	v_mul_f32_e32 v1, v8, v4
	s_delay_alu instid0(VALU_DEP_4) | instskip(NEXT) | instid1(VALU_DEP_2)
	v_fmac_f32_e32 v145, v8, v3
	v_fma_f32 v146, v7, v3, -v1
	ds_load_b128 v[1:4], v21 offset:656
	ds_load_b128 v[5:8], v21 offset:672
	s_wait_loadcnt_dscnt 0x1
	v_mul_f32_e32 v147, v1, v10
	v_mul_f32_e32 v149, v3, v12
	s_delay_alu instid0(VALU_DEP_2) | instskip(NEXT) | instid1(VALU_DEP_2)
	v_fmac_f32_e32 v147, v2, v9
	v_dual_mul_f32 v2, v2, v10 :: v_dual_fmac_f32 v149, v4, v11
	s_delay_alu instid0(VALU_DEP_1) | instskip(SKIP_1) | instid1(VALU_DEP_1)
	v_fma_f32 v148, v1, v9, -v2
	v_mul_f32_e32 v1, v4, v12
	v_fma_f32 v150, v3, v11, -v1
	s_clause 0x1
	scratch_load_b128 v[1:4], off, off offset:272
	scratch_load_b128 v[9:12], off, off offset:288
	s_wait_loadcnt_dscnt 0x100
	v_mul_f32_e32 v151, v5, v2
	v_dual_mul_f32 v153, v7, v4 :: v_dual_mul_f32 v2, v6, v2
	s_delay_alu instid0(VALU_DEP_2) | instskip(NEXT) | instid1(VALU_DEP_2)
	v_fmac_f32_e32 v151, v6, v1
	v_fmac_f32_e32 v153, v8, v3
	s_delay_alu instid0(VALU_DEP_3) | instskip(SKIP_1) | instid1(VALU_DEP_1)
	v_fma_f32 v152, v5, v1, -v2
	v_mul_f32_e32 v1, v8, v4
	v_fma_f32 v154, v7, v3, -v1
	ds_load_b128 v[1:4], v21 offset:688
	ds_load_b128 v[5:8], v21 offset:704
	s_wait_loadcnt_dscnt 0x1
	v_mul_f32_e32 v155, v1, v10
	v_mul_f32_e32 v157, v3, v12
	s_delay_alu instid0(VALU_DEP_2) | instskip(NEXT) | instid1(VALU_DEP_2)
	v_fmac_f32_e32 v155, v2, v9
	v_dual_mul_f32 v2, v2, v10 :: v_dual_fmac_f32 v157, v4, v11
	s_delay_alu instid0(VALU_DEP_1) | instskip(SKIP_1) | instid1(VALU_DEP_1)
	v_fma_f32 v156, v1, v9, -v2
	v_mul_f32_e32 v1, v4, v12
	v_fma_f32 v158, v3, v11, -v1
	s_clause 0x1
	scratch_load_b128 v[1:4], off, off offset:304
	scratch_load_b128 v[9:12], off, off offset:320
	s_wait_loadcnt_dscnt 0x100
	v_mul_f32_e32 v159, v5, v2
	v_mul_f32_e32 v2, v6, v2
	s_delay_alu instid0(VALU_DEP_1) | instskip(SKIP_1) | instid1(VALU_DEP_1)
	v_fma_f32 v160, v5, v1, -v2
	v_add_f32_e32 v2, 0, v136
	v_add_f32_e32 v2, v2, v137
	s_delay_alu instid0(VALU_DEP_1) | instskip(NEXT) | instid1(VALU_DEP_1)
	v_add_f32_e32 v2, v2, v123
	v_add_f32_e32 v2, v2, v124
	v_mul_f32_e32 v161, v7, v4
	v_fmac_f32_e32 v159, v6, v1
	s_delay_alu instid0(VALU_DEP_2) | instskip(NEXT) | instid1(VALU_DEP_1)
	v_dual_add_f32 v2, v2, v125 :: v_dual_fmac_f32 v161, v8, v3
	v_dual_add_f32 v2, v2, v138 :: v_dual_mul_f32 v1, v8, v4
	s_delay_alu instid0(VALU_DEP_1) | instskip(NEXT) | instid1(VALU_DEP_2)
	v_add_f32_e32 v2, v2, v130
	v_fma_f32 v162, v7, v3, -v1
	s_delay_alu instid0(VALU_DEP_2) | instskip(NEXT) | instid1(VALU_DEP_1)
	v_dual_add_f32 v1, 0, v22 :: v_dual_add_f32 v2, v2, v131
	v_add_f32_e32 v1, v1, v122
	s_delay_alu instid0(VALU_DEP_1) | instskip(NEXT) | instid1(VALU_DEP_1)
	v_add_f32_e32 v1, v1, v126
	v_add_f32_e32 v1, v1, v127
	scratch_load_b64 v[126:127], off, off offset:384
	v_add_f32_e32 v1, v1, v128
	s_delay_alu instid0(VALU_DEP_1) | instskip(NEXT) | instid1(VALU_DEP_1)
	v_add_f32_e32 v1, v1, v129
	v_add_f32_e32 v1, v1, v13
	s_delay_alu instid0(VALU_DEP_1) | instskip(NEXT) | instid1(VALU_DEP_1)
	v_add_f32_e32 v1, v1, v14
	v_add_f32_e32 v1, v1, v16
	s_delay_alu instid0(VALU_DEP_1) | instskip(SKIP_2) | instid1(VALU_DEP_1)
	v_dual_add_f32 v5, v2, v15 :: v_dual_add_f32 v6, v1, v17
	ds_load_b128 v[1:4], v21 offset:720
	v_dual_add_f32 v5, v5, v18 :: v_dual_add_f32 v6, v6, v132
	v_add_f32_e32 v13, v6, v133
	s_delay_alu instid0(VALU_DEP_1) | instskip(NEXT) | instid1(VALU_DEP_1)
	v_add_f32_e32 v13, v13, v141
	v_add_f32_e32 v13, v13, v142
	s_delay_alu instid0(VALU_DEP_1) | instskip(NEXT) | instid1(VALU_DEP_1)
	v_add_f32_e32 v13, v13, v144
	v_add_f32_e32 v18, v13, v146
	s_delay_alu instid0(VALU_DEP_1) | instskip(NEXT) | instid1(VALU_DEP_1)
	v_dual_add_f32 v5, v5, v19 :: v_dual_add_f32 v18, v18, v148
	v_add_f32_e32 v14, v5, v20
	ds_load_b128 v[5:8], v21 offset:736
	s_wait_loadcnt_dscnt 0x101
	v_mul_f32_e32 v22, v1, v10
	v_mul_f32_e32 v10, v2, v10
	;; [unrolled: 1-line block ×4, first 2 shown]
	v_add_f32_e32 v14, v14, v139
	v_fmac_f32_e32 v22, v2, v9
	v_fma_f32 v131, v1, v9, -v10
	v_fmac_f32_e32 v130, v4, v11
	v_fma_f32 v132, v3, v11, -v12
	s_clause 0x1
	scratch_load_b128 v[1:4], off, off offset:336
	scratch_load_b128 v[9:12], off, off offset:352
	v_add_f32_e32 v14, v14, v140
	v_add_f32_e32 v18, v18, v150
	s_delay_alu instid0(VALU_DEP_2) | instskip(SKIP_2) | instid1(VALU_DEP_1)
	v_add_f32_e32 v17, v14, v143
	scratch_load_b128 v[13:16], off, off offset:368
	v_dual_add_f32 v18, v18, v152 :: v_dual_add_f32 v17, v17, v145
	v_add_f32_e32 v18, v18, v154
	s_delay_alu instid0(VALU_DEP_1) | instskip(NEXT) | instid1(VALU_DEP_1)
	v_add_f32_e32 v128, v18, v156
	v_add_f32_e32 v133, v128, v158
	s_wait_loadcnt_dscnt 0x200
	v_mul_f32_e32 v137, v5, v2
	v_dual_mul_f32 v2, v6, v2 :: v_dual_add_f32 v17, v17, v147
	v_mul_f32_e32 v138, v7, v4
	v_mul_f32_e32 v4, v8, v4
	s_delay_alu instid0(VALU_DEP_3) | instskip(NEXT) | instid1(VALU_DEP_3)
	v_fma_f32 v2, v5, v1, -v2
	v_dual_add_f32 v17, v17, v149 :: v_dual_fmac_f32 v138, v8, v3
	s_delay_alu instid0(VALU_DEP_1) | instskip(NEXT) | instid1(VALU_DEP_1)
	v_add_f32_e32 v17, v17, v151
	v_add_f32_e32 v122, v17, v153
	ds_load_b128 v[17:20], v21 offset:752
	v_add_f32_e32 v129, v122, v155
	ds_load_b128 v[122:125], v21 offset:768
	v_add_f32_e32 v136, v129, v157
	ds_load_b64 v[128:129], v21 offset:784
	v_add_f32_e32 v136, v136, v159
	s_delay_alu instid0(VALU_DEP_1) | instskip(SKIP_2) | instid1(VALU_DEP_2)
	v_dual_add_f32 v136, v136, v161 :: v_dual_add_f32 v133, v133, v160
	s_wait_loadcnt_dscnt 0x102
	v_mul_f32_e32 v5, v20, v12
	v_add_f32_e32 v22, v136, v22
	s_delay_alu instid0(VALU_DEP_3) | instskip(SKIP_3) | instid1(VALU_DEP_3)
	v_dual_add_f32 v133, v133, v162 :: v_dual_mul_f32 v136, v19, v12
	v_fmac_f32_e32 v137, v6, v1
	s_wait_loadcnt_dscnt 0x1
	v_mul_f32_e32 v139, v122, v14
	v_dual_add_f32 v22, v22, v130 :: v_dual_add_f32 v131, v133, v131
	s_wait_dscnt 0x0
	v_dual_mul_f32 v133, v17, v10 :: v_dual_mul_f32 v130, v128, v127
	v_fma_f32 v1, v7, v3, -v4
	v_dual_mul_f32 v3, v18, v10 :: v_dual_fmac_f32 v136, v20, v11
	v_dual_add_f32 v131, v131, v132 :: v_dual_add_f32 v4, v22, v137
	s_delay_alu instid0(VALU_DEP_4) | instskip(NEXT) | instid1(VALU_DEP_3)
	v_dual_mul_f32 v132, v124, v16 :: v_dual_fmac_f32 v133, v18, v9
	v_fma_f32 v3, v17, v9, -v3
	s_delay_alu instid0(VALU_DEP_3) | instskip(SKIP_1) | instid1(VALU_DEP_2)
	v_add_f32_e32 v2, v131, v2
	v_fmac_f32_e32 v130, v129, v126
	v_dual_fmac_f32 v132, v125, v15 :: v_dual_add_f32 v1, v2, v1
	v_add_f32_e32 v2, v4, v138
	v_mul_f32_e32 v4, v123, v14
	v_fma_f32 v5, v19, v11, -v5
	s_delay_alu instid0(VALU_DEP_3) | instskip(SKIP_1) | instid1(VALU_DEP_4)
	v_dual_add_f32 v1, v1, v3 :: v_dual_add_f32 v2, v2, v133
	v_fmac_f32_e32 v139, v123, v13
	v_fma_f32 v4, v122, v13, -v4
	s_delay_alu instid0(VALU_DEP_3) | instskip(NEXT) | instid1(VALU_DEP_1)
	v_add_f32_e32 v2, v2, v136
	v_dual_mul_f32 v3, v125, v16 :: v_dual_add_f32 v2, v2, v139
	v_add_f32_e32 v1, v1, v5
	s_delay_alu instid0(VALU_DEP_2) | instskip(NEXT) | instid1(VALU_DEP_3)
	v_fma_f32 v3, v124, v15, -v3
	v_dual_add_f32 v2, v2, v132 :: v_dual_mul_f32 v5, v129, v127
	s_delay_alu instid0(VALU_DEP_1) | instskip(NEXT) | instid1(VALU_DEP_2)
	v_dual_add_f32 v2, v2, v130 :: v_dual_add_f32 v1, v1, v4
	v_fma_f32 v4, v128, v126, -v5
	s_delay_alu instid0(VALU_DEP_2) | instskip(NEXT) | instid1(VALU_DEP_1)
	v_dual_sub_f32 v2, v135, v2 :: v_dual_add_f32 v1, v1, v3
	v_add_f32_e32 v1, v1, v4
	s_delay_alu instid0(VALU_DEP_1)
	v_sub_f32_e32 v1, v134, v1
	scratch_store_b64 off, v[1:2], off offset:120
	v_cmpx_lt_u32_e32 14, v0
	s_cbranch_execz .LBB48_279
; %bb.278:
	scratch_load_b64 v[1:2], off, off offset:112
	v_mov_b32_e32 v22, v21
	scratch_store_b64 off, v[21:22], off offset:112
	s_wait_loadcnt 0x0
	ds_store_b64 v23, v[1:2]
.LBB48_279:
	s_wait_alu 0xfffe
	s_or_b32 exec_lo, exec_lo, s0
	s_wait_storecnt_dscnt 0x0
	s_barrier_signal -1
	s_barrier_wait -1
	global_inv scope:SCOPE_SE
	s_clause 0x4
	scratch_load_b128 v[5:8], off, off offset:120
	scratch_load_b128 v[1:4], off, off offset:136
	;; [unrolled: 1-line block ×5, first 2 shown]
	ds_load_2addr_b64 v[122:125], v21 offset0:65 offset1:66
	ds_load_2addr_b64 v[126:129], v21 offset0:67 offset1:68
	;; [unrolled: 1-line block ×3, first 2 shown]
	scratch_load_b64 v[134:135], off, off offset:112
	s_mov_b32 s0, exec_lo
	s_wait_loadcnt_dscnt 0x502
	v_dual_mul_f32 v22, v123, v6 :: v_dual_mul_f32 v137, v124, v8
	v_mul_f32_e32 v136, v122, v6
	v_mul_f32_e32 v6, v125, v8
	s_wait_loadcnt_dscnt 0x300
	v_mul_f32_e32 v138, v132, v12
	v_fma_f32 v22, v122, v5, -v22
	v_dual_fmac_f32 v137, v125, v7 :: v_dual_fmac_f32 v136, v123, v5
	v_mul_f32_e32 v125, v130, v10
	v_mul_f32_e32 v123, v126, v2
	v_fma_f32 v122, v124, v7, -v6
	ds_load_2addr_b64 v[5:8], v21 offset0:71 offset1:72
	v_mul_f32_e32 v124, v128, v4
	v_dual_mul_f32 v4, v129, v4 :: v_dual_fmac_f32 v125, v131, v9
	v_mul_f32_e32 v10, v131, v10
	v_mul_f32_e32 v12, v133, v12
	;; [unrolled: 1-line block ×3, first 2 shown]
	v_dual_fmac_f32 v123, v127, v1 :: v_dual_fmac_f32 v124, v129, v3
	v_fma_f32 v127, v128, v3, -v4
	v_fma_f32 v128, v130, v9, -v10
	v_fmac_f32_e32 v138, v133, v11
	v_fma_f32 v129, v132, v11, -v12
	ds_load_2addr_b64 v[9:12], v21 offset0:73 offset1:74
	s_wait_loadcnt_dscnt 0x201
	v_dual_mul_f32 v131, v7, v16 :: v_dual_mul_f32 v130, v5, v14
	s_delay_alu instid0(VALU_DEP_1)
	v_dual_mul_f32 v14, v6, v14 :: v_dual_fmac_f32 v131, v8, v15
	v_fma_f32 v126, v126, v1, -v2
	scratch_load_b128 v[1:4], off, off offset:200
	v_mul_f32_e32 v16, v8, v16
	v_fmac_f32_e32 v130, v6, v13
	v_fma_f32 v13, v5, v13, -v14
	s_delay_alu instid0(VALU_DEP_3)
	v_fma_f32 v14, v7, v15, -v16
	s_wait_loadcnt_dscnt 0x200
	v_mul_f32_e32 v15, v9, v18
	v_mul_f32_e32 v16, v10, v18
	v_mul_f32_e32 v18, v11, v20
	v_mul_f32_e32 v20, v12, v20
	ds_load_2addr_b64 v[5:8], v21 offset0:75 offset1:76
	v_fmac_f32_e32 v15, v10, v17
	v_fma_f32 v16, v9, v17, -v16
	v_fmac_f32_e32 v18, v12, v19
	v_fma_f32 v17, v11, v19, -v20
	scratch_load_b128 v[9:12], off, off offset:216
	s_wait_loadcnt_dscnt 0x100
	v_mul_f32_e32 v19, v5, v2
	v_mul_f32_e32 v2, v6, v2
	;; [unrolled: 1-line block ×3, first 2 shown]
	s_delay_alu instid0(VALU_DEP_3) | instskip(NEXT) | instid1(VALU_DEP_3)
	v_dual_mul_f32 v4, v8, v4 :: v_dual_fmac_f32 v19, v6, v1
	v_fma_f32 v132, v5, v1, -v2
	s_delay_alu instid0(VALU_DEP_3) | instskip(NEXT) | instid1(VALU_DEP_3)
	v_fmac_f32_e32 v20, v8, v3
	v_fma_f32 v133, v7, v3, -v4
	ds_load_2addr_b64 v[1:4], v21 offset0:77 offset1:78
	ds_load_2addr_b64 v[5:8], v21 offset0:79 offset1:80
	s_wait_loadcnt_dscnt 0x1
	v_mul_f32_e32 v139, v1, v10
	v_mul_f32_e32 v10, v2, v10
	s_delay_alu instid0(VALU_DEP_2) | instskip(NEXT) | instid1(VALU_DEP_2)
	v_dual_mul_f32 v140, v3, v12 :: v_dual_fmac_f32 v139, v2, v9
	v_fma_f32 v141, v1, v9, -v10
	v_mul_f32_e32 v1, v4, v12
	s_delay_alu instid0(VALU_DEP_3) | instskip(NEXT) | instid1(VALU_DEP_2)
	v_fmac_f32_e32 v140, v4, v11
	v_fma_f32 v142, v3, v11, -v1
	s_clause 0x1
	scratch_load_b128 v[1:4], off, off offset:232
	scratch_load_b128 v[9:12], off, off offset:248
	s_wait_loadcnt_dscnt 0x100
	v_mul_f32_e32 v143, v5, v2
	v_dual_mul_f32 v2, v6, v2 :: v_dual_mul_f32 v145, v7, v4
	s_delay_alu instid0(VALU_DEP_2) | instskip(NEXT) | instid1(VALU_DEP_2)
	v_fmac_f32_e32 v143, v6, v1
	v_fma_f32 v144, v5, v1, -v2
	v_mul_f32_e32 v1, v8, v4
	s_delay_alu instid0(VALU_DEP_4) | instskip(NEXT) | instid1(VALU_DEP_2)
	v_fmac_f32_e32 v145, v8, v3
	v_fma_f32 v146, v7, v3, -v1
	ds_load_2addr_b64 v[1:4], v21 offset0:81 offset1:82
	ds_load_2addr_b64 v[5:8], v21 offset0:83 offset1:84
	s_wait_loadcnt_dscnt 0x1
	v_mul_f32_e32 v147, v1, v10
	v_mul_f32_e32 v149, v3, v12
	s_delay_alu instid0(VALU_DEP_2) | instskip(NEXT) | instid1(VALU_DEP_2)
	v_fmac_f32_e32 v147, v2, v9
	v_dual_mul_f32 v2, v2, v10 :: v_dual_fmac_f32 v149, v4, v11
	s_delay_alu instid0(VALU_DEP_1) | instskip(SKIP_1) | instid1(VALU_DEP_1)
	v_fma_f32 v148, v1, v9, -v2
	v_mul_f32_e32 v1, v4, v12
	v_fma_f32 v150, v3, v11, -v1
	s_clause 0x1
	scratch_load_b128 v[1:4], off, off offset:264
	scratch_load_b128 v[9:12], off, off offset:280
	s_wait_loadcnt_dscnt 0x100
	v_mul_f32_e32 v151, v5, v2
	v_dual_mul_f32 v2, v6, v2 :: v_dual_mul_f32 v153, v7, v4
	s_delay_alu instid0(VALU_DEP_2) | instskip(NEXT) | instid1(VALU_DEP_2)
	v_fmac_f32_e32 v151, v6, v1
	v_fma_f32 v152, v5, v1, -v2
	v_mul_f32_e32 v1, v8, v4
	s_delay_alu instid0(VALU_DEP_4) | instskip(NEXT) | instid1(VALU_DEP_2)
	v_fmac_f32_e32 v153, v8, v3
	v_fma_f32 v154, v7, v3, -v1
	ds_load_2addr_b64 v[1:4], v21 offset0:85 offset1:86
	ds_load_2addr_b64 v[5:8], v21 offset0:87 offset1:88
	s_wait_loadcnt_dscnt 0x1
	v_mul_f32_e32 v155, v1, v10
	v_mul_f32_e32 v157, v3, v12
	s_delay_alu instid0(VALU_DEP_2) | instskip(NEXT) | instid1(VALU_DEP_2)
	v_fmac_f32_e32 v155, v2, v9
	v_dual_mul_f32 v2, v2, v10 :: v_dual_fmac_f32 v157, v4, v11
	s_delay_alu instid0(VALU_DEP_1) | instskip(SKIP_1) | instid1(VALU_DEP_1)
	v_fma_f32 v156, v1, v9, -v2
	v_mul_f32_e32 v1, v4, v12
	v_fma_f32 v158, v3, v11, -v1
	s_clause 0x1
	scratch_load_b128 v[1:4], off, off offset:296
	scratch_load_b128 v[9:12], off, off offset:312
	s_wait_loadcnt_dscnt 0x100
	v_mul_f32_e32 v159, v5, v2
	v_mul_f32_e32 v2, v6, v2
	s_delay_alu instid0(VALU_DEP_1) | instskip(SKIP_1) | instid1(VALU_DEP_1)
	v_fma_f32 v160, v5, v1, -v2
	v_add_f32_e32 v2, 0, v136
	v_add_f32_e32 v2, v2, v137
	s_delay_alu instid0(VALU_DEP_1) | instskip(SKIP_1) | instid1(VALU_DEP_2)
	v_add_f32_e32 v2, v2, v123
	v_fmac_f32_e32 v159, v6, v1
	v_add_f32_e32 v2, v2, v124
	s_delay_alu instid0(VALU_DEP_1) | instskip(NEXT) | instid1(VALU_DEP_1)
	v_dual_mul_f32 v161, v7, v4 :: v_dual_add_f32 v2, v2, v125
	v_dual_fmac_f32 v161, v8, v3 :: v_dual_add_f32 v2, v2, v138
	s_delay_alu instid0(VALU_DEP_1) | instskip(NEXT) | instid1(VALU_DEP_1)
	v_dual_mul_f32 v1, v8, v4 :: v_dual_add_f32 v2, v2, v130
	v_fma_f32 v162, v7, v3, -v1
	s_delay_alu instid0(VALU_DEP_2) | instskip(NEXT) | instid1(VALU_DEP_1)
	v_dual_add_f32 v1, 0, v22 :: v_dual_add_f32 v2, v2, v131
	v_dual_add_f32 v1, v1, v122 :: v_dual_add_f32 v2, v2, v15
	s_delay_alu instid0(VALU_DEP_1) | instskip(NEXT) | instid1(VALU_DEP_2)
	v_add_f32_e32 v1, v1, v126
	v_add_f32_e32 v5, v2, v18
	s_delay_alu instid0(VALU_DEP_2) | instskip(NEXT) | instid1(VALU_DEP_1)
	v_add_f32_e32 v1, v1, v127
	v_add_f32_e32 v1, v1, v128
	s_delay_alu instid0(VALU_DEP_1) | instskip(NEXT) | instid1(VALU_DEP_1)
	v_add_f32_e32 v1, v1, v129
	v_add_f32_e32 v1, v1, v13
	;; [unrolled: 1-line block ×3, first 2 shown]
	s_delay_alu instid0(VALU_DEP_1) | instskip(NEXT) | instid1(VALU_DEP_1)
	v_add_f32_e32 v13, v13, v20
	v_add_f32_e32 v13, v13, v139
	s_delay_alu instid0(VALU_DEP_1) | instskip(NEXT) | instid1(VALU_DEP_1)
	v_add_f32_e32 v18, v13, v140
	v_dual_add_f32 v18, v18, v143 :: v_dual_add_f32 v1, v1, v14
	s_delay_alu instid0(VALU_DEP_1) | instskip(NEXT) | instid1(VALU_DEP_1)
	v_dual_add_f32 v18, v18, v145 :: v_dual_add_f32 v1, v1, v16
	v_dual_add_f32 v122, v18, v147 :: v_dual_add_f32 v1, v1, v17
	s_delay_alu instid0(VALU_DEP_1) | instskip(NEXT) | instid1(VALU_DEP_2)
	v_add_f32_e32 v122, v122, v149
	v_add_f32_e32 v6, v1, v132
	ds_load_2addr_b64 v[1:4], v21 offset0:89 offset1:90
	v_add_f32_e32 v122, v122, v151
	v_add_f32_e32 v14, v6, v133
	scratch_load_b128 v[5:8], off, off offset:328
	v_add_f32_e32 v14, v14, v141
	s_delay_alu instid0(VALU_DEP_1)
	v_add_f32_e32 v17, v14, v142
	ds_load_2addr_b64 v[13:16], v21 offset0:91 offset1:92
	s_wait_loadcnt_dscnt 0x101
	v_mul_f32_e32 v22, v1, v10
	v_mul_f32_e32 v10, v2, v10
	v_mul_f32_e32 v126, v3, v12
	v_mul_f32_e32 v12, v4, v12
	s_delay_alu instid0(VALU_DEP_4) | instskip(NEXT) | instid1(VALU_DEP_4)
	v_fmac_f32_e32 v22, v2, v9
	v_fma_f32 v127, v1, v9, -v10
	s_delay_alu instid0(VALU_DEP_4) | instskip(NEXT) | instid1(VALU_DEP_4)
	v_fmac_f32_e32 v126, v4, v11
	v_fma_f32 v128, v3, v11, -v12
	s_clause 0x1
	scratch_load_b128 v[1:4], off, off offset:344
	scratch_load_b128 v[9:12], off, off offset:360
	s_wait_loadcnt_dscnt 0x200
	v_mul_f32_e32 v130, v15, v8
	v_add_f32_e32 v17, v17, v144
	v_mul_f32_e32 v129, v13, v6
	v_mul_f32_e32 v6, v14, v6
	v_mul_f32_e32 v8, v16, v8
	s_delay_alu instid0(VALU_DEP_4) | instskip(NEXT) | instid1(VALU_DEP_3)
	v_dual_fmac_f32 v130, v16, v7 :: v_dual_add_f32 v17, v17, v146
	v_fma_f32 v131, v13, v5, -v6
	v_add_f32_e32 v13, v122, v153
	s_delay_alu instid0(VALU_DEP_4) | instskip(NEXT) | instid1(VALU_DEP_4)
	v_fma_f32 v132, v15, v7, -v8
	v_add_f32_e32 v17, v17, v148
	s_delay_alu instid0(VALU_DEP_1) | instskip(SKIP_2) | instid1(VALU_DEP_1)
	v_add_f32_e32 v123, v17, v150
	scratch_load_b128 v[17:20], off, off offset:376
	v_add_f32_e32 v123, v123, v152
	v_add_f32_e32 v123, v123, v154
	s_delay_alu instid0(VALU_DEP_1)
	v_dual_add_f32 v122, v123, v156 :: v_dual_fmac_f32 v129, v14, v5
	ds_load_2addr_b64 v[5:8], v21 offset0:93 offset1:94
	v_add_f32_e32 v123, v13, v155
	ds_load_2addr_b64 v[13:16], v21 offset0:95 offset1:96
	v_dual_add_f32 v133, v122, v158 :: v_dual_add_f32 v136, v123, v157
	ds_load_2addr_b64 v[122:125], v21 offset0:97 offset1:98
	v_add_f32_e32 v21, v133, v160
	s_wait_loadcnt_dscnt 0x202
	v_dual_add_f32 v133, v136, v159 :: v_dual_mul_f32 v136, v5, v2
	s_delay_alu instid0(VALU_DEP_1) | instskip(NEXT) | instid1(VALU_DEP_2)
	v_dual_mul_f32 v2, v6, v2 :: v_dual_add_f32 v133, v133, v161
	v_fmac_f32_e32 v136, v6, v1
	s_wait_loadcnt_dscnt 0x101
	v_mul_f32_e32 v6, v14, v10
	s_delay_alu instid0(VALU_DEP_3) | instskip(SKIP_2) | instid1(VALU_DEP_3)
	v_add_f32_e32 v22, v133, v22
	v_mul_f32_e32 v133, v13, v10
	v_fma_f32 v2, v5, v1, -v2
	v_add_f32_e32 v22, v22, v126
	s_delay_alu instid0(VALU_DEP_1) | instskip(SKIP_2) | instid1(VALU_DEP_1)
	v_add_f32_e32 v22, v22, v129
	s_wait_loadcnt_dscnt 0x0
	v_mul_f32_e32 v126, v122, v18
	v_dual_add_f32 v21, v21, v162 :: v_dual_fmac_f32 v126, v123, v17
	s_delay_alu instid0(VALU_DEP_1) | instskip(SKIP_2) | instid1(VALU_DEP_2)
	v_add_f32_e32 v21, v21, v127
	v_mul_f32_e32 v127, v7, v4
	v_mul_f32_e32 v4, v8, v4
	v_fmac_f32_e32 v127, v8, v3
	s_delay_alu instid0(VALU_DEP_2) | instskip(SKIP_3) | instid1(VALU_DEP_3)
	v_fma_f32 v3, v7, v3, -v4
	v_dual_mul_f32 v4, v16, v12 :: v_dual_fmac_f32 v133, v14, v9
	v_add_f32_e32 v21, v21, v128
	v_dual_mul_f32 v128, v124, v20 :: v_dual_add_f32 v5, v22, v130
	v_fma_f32 v4, v15, v11, -v4
	s_delay_alu instid0(VALU_DEP_3) | instskip(NEXT) | instid1(VALU_DEP_3)
	v_add_f32_e32 v21, v21, v131
	v_fmac_f32_e32 v128, v125, v19
	s_delay_alu instid0(VALU_DEP_2) | instskip(NEXT) | instid1(VALU_DEP_1)
	v_add_f32_e32 v1, v21, v132
	v_add_f32_e32 v1, v1, v2
	;; [unrolled: 1-line block ×3, first 2 shown]
	v_mul_f32_e32 v137, v15, v12
	v_fma_f32 v5, v13, v9, -v6
	s_delay_alu instid0(VALU_DEP_3) | instskip(NEXT) | instid1(VALU_DEP_1)
	v_add_f32_e32 v2, v2, v127
	v_dual_fmac_f32 v137, v16, v11 :: v_dual_add_f32 v2, v2, v133
	s_delay_alu instid0(VALU_DEP_1) | instskip(NEXT) | instid1(VALU_DEP_1)
	v_add_f32_e32 v2, v2, v137
	v_add_f32_e32 v2, v2, v126
	s_delay_alu instid0(VALU_DEP_1) | instskip(SKIP_1) | instid1(VALU_DEP_2)
	v_dual_add_f32 v2, v2, v128 :: v_dual_add_f32 v1, v1, v3
	v_mul_f32_e32 v3, v123, v18
	v_dual_sub_f32 v2, v135, v2 :: v_dual_add_f32 v1, v1, v5
	v_mul_f32_e32 v5, v125, v20
	s_delay_alu instid0(VALU_DEP_3) | instskip(NEXT) | instid1(VALU_DEP_3)
	v_fma_f32 v3, v122, v17, -v3
	v_add_f32_e32 v1, v1, v4
	s_delay_alu instid0(VALU_DEP_3) | instskip(NEXT) | instid1(VALU_DEP_2)
	v_fma_f32 v4, v124, v19, -v5
	v_add_f32_e32 v1, v1, v3
	s_delay_alu instid0(VALU_DEP_1) | instskip(NEXT) | instid1(VALU_DEP_1)
	v_add_f32_e32 v1, v1, v4
	v_sub_f32_e32 v1, v134, v1
	scratch_store_b64 off, v[1:2], off offset:112
	v_cmpx_lt_u32_e32 13, v0
	s_cbranch_execz .LBB48_281
; %bb.280:
	scratch_load_b64 v[1:2], off, off offset:104
	v_mov_b32_e32 v3, 0
	s_delay_alu instid0(VALU_DEP_1)
	v_mov_b32_e32 v4, v3
	scratch_store_b64 off, v[3:4], off offset:104
	s_wait_loadcnt 0x0
	ds_store_b64 v23, v[1:2]
.LBB48_281:
	s_wait_alu 0xfffe
	s_or_b32 exec_lo, exec_lo, s0
	s_wait_storecnt_dscnt 0x0
	s_barrier_signal -1
	s_barrier_wait -1
	global_inv scope:SCOPE_SE
	s_clause 0x4
	scratch_load_b128 v[5:8], off, off offset:112
	scratch_load_b128 v[1:4], off, off offset:128
	;; [unrolled: 1-line block ×5, first 2 shown]
	v_mov_b32_e32 v21, 0
	ds_load_b128 v[122:125], v21 offset:512
	ds_load_b128 v[126:129], v21 offset:528
	ds_load_b128 v[130:133], v21 offset:544
	scratch_load_b64 v[134:135], off, off offset:104
	s_mov_b32 s0, exec_lo
	s_wait_loadcnt_dscnt 0x502
	v_mul_f32_e32 v22, v123, v6
	v_dual_mul_f32 v136, v122, v6 :: v_dual_mul_f32 v137, v124, v8
	v_mul_f32_e32 v6, v125, v8
	s_delay_alu instid0(VALU_DEP_3) | instskip(NEXT) | instid1(VALU_DEP_3)
	v_fma_f32 v22, v122, v5, -v22
	v_dual_fmac_f32 v136, v123, v5 :: v_dual_fmac_f32 v137, v125, v7
	s_wait_loadcnt_dscnt 0x401
	v_mul_f32_e32 v123, v126, v2
	v_fma_f32 v122, v124, v7, -v6
	ds_load_b128 v[5:8], v21 offset:560
	s_wait_loadcnt_dscnt 0x301
	v_dual_mul_f32 v124, v128, v4 :: v_dual_mul_f32 v125, v130, v10
	v_dual_mul_f32 v4, v129, v4 :: v_dual_fmac_f32 v123, v127, v1
	v_mul_f32_e32 v10, v131, v10
	s_delay_alu instid0(VALU_DEP_3)
	v_dual_mul_f32 v138, v132, v12 :: v_dual_fmac_f32 v125, v131, v9
	v_mul_f32_e32 v12, v133, v12
	v_mul_f32_e32 v2, v127, v2
	v_fmac_f32_e32 v124, v129, v3
	v_fma_f32 v127, v128, v3, -v4
	v_fma_f32 v128, v130, v9, -v10
	v_fmac_f32_e32 v138, v133, v11
	v_fma_f32 v129, v132, v11, -v12
	ds_load_b128 v[9:12], v21 offset:576
	s_wait_loadcnt_dscnt 0x201
	v_dual_mul_f32 v131, v7, v16 :: v_dual_mul_f32 v130, v5, v14
	v_mul_f32_e32 v14, v6, v14
	v_mul_f32_e32 v16, v8, v16
	s_delay_alu instid0(VALU_DEP_3)
	v_fmac_f32_e32 v131, v8, v15
	v_fma_f32 v126, v126, v1, -v2
	scratch_load_b128 v[1:4], off, off offset:192
	v_fmac_f32_e32 v130, v6, v13
	v_fma_f32 v13, v5, v13, -v14
	v_fma_f32 v14, v7, v15, -v16
	ds_load_b128 v[5:8], v21 offset:592
	s_wait_loadcnt_dscnt 0x201
	v_mul_f32_e32 v15, v9, v18
	v_mul_f32_e32 v16, v10, v18
	;; [unrolled: 1-line block ×3, first 2 shown]
	s_delay_alu instid0(VALU_DEP_3) | instskip(NEXT) | instid1(VALU_DEP_3)
	v_dual_mul_f32 v20, v12, v20 :: v_dual_fmac_f32 v15, v10, v17
	v_fma_f32 v16, v9, v17, -v16
	s_delay_alu instid0(VALU_DEP_3) | instskip(NEXT) | instid1(VALU_DEP_3)
	v_fmac_f32_e32 v18, v12, v19
	v_fma_f32 v17, v11, v19, -v20
	scratch_load_b128 v[9:12], off, off offset:208
	s_wait_loadcnt_dscnt 0x100
	v_mul_f32_e32 v19, v5, v2
	v_mul_f32_e32 v2, v6, v2
	;; [unrolled: 1-line block ×3, first 2 shown]
	s_delay_alu instid0(VALU_DEP_3) | instskip(NEXT) | instid1(VALU_DEP_3)
	v_dual_mul_f32 v4, v8, v4 :: v_dual_fmac_f32 v19, v6, v1
	v_fma_f32 v132, v5, v1, -v2
	s_delay_alu instid0(VALU_DEP_3) | instskip(NEXT) | instid1(VALU_DEP_3)
	v_fmac_f32_e32 v20, v8, v3
	v_fma_f32 v133, v7, v3, -v4
	ds_load_b128 v[1:4], v21 offset:608
	ds_load_b128 v[5:8], v21 offset:624
	s_wait_loadcnt_dscnt 0x1
	v_mul_f32_e32 v139, v1, v10
	v_mul_f32_e32 v10, v2, v10
	s_delay_alu instid0(VALU_DEP_2) | instskip(NEXT) | instid1(VALU_DEP_2)
	v_dual_mul_f32 v140, v3, v12 :: v_dual_fmac_f32 v139, v2, v9
	v_fma_f32 v141, v1, v9, -v10
	v_mul_f32_e32 v1, v4, v12
	s_delay_alu instid0(VALU_DEP_3) | instskip(NEXT) | instid1(VALU_DEP_2)
	v_fmac_f32_e32 v140, v4, v11
	v_fma_f32 v142, v3, v11, -v1
	s_clause 0x1
	scratch_load_b128 v[1:4], off, off offset:224
	scratch_load_b128 v[9:12], off, off offset:240
	s_wait_loadcnt_dscnt 0x100
	v_mul_f32_e32 v143, v5, v2
	v_dual_mul_f32 v2, v6, v2 :: v_dual_mul_f32 v145, v7, v4
	s_delay_alu instid0(VALU_DEP_2) | instskip(NEXT) | instid1(VALU_DEP_2)
	v_fmac_f32_e32 v143, v6, v1
	v_fma_f32 v144, v5, v1, -v2
	v_mul_f32_e32 v1, v8, v4
	s_delay_alu instid0(VALU_DEP_4) | instskip(NEXT) | instid1(VALU_DEP_2)
	v_fmac_f32_e32 v145, v8, v3
	v_fma_f32 v146, v7, v3, -v1
	ds_load_b128 v[1:4], v21 offset:640
	ds_load_b128 v[5:8], v21 offset:656
	s_wait_loadcnt_dscnt 0x1
	v_mul_f32_e32 v147, v1, v10
	v_mul_f32_e32 v149, v3, v12
	s_delay_alu instid0(VALU_DEP_2) | instskip(NEXT) | instid1(VALU_DEP_2)
	v_fmac_f32_e32 v147, v2, v9
	v_dual_mul_f32 v2, v2, v10 :: v_dual_fmac_f32 v149, v4, v11
	s_delay_alu instid0(VALU_DEP_1) | instskip(SKIP_1) | instid1(VALU_DEP_1)
	v_fma_f32 v148, v1, v9, -v2
	v_mul_f32_e32 v1, v4, v12
	v_fma_f32 v150, v3, v11, -v1
	s_clause 0x1
	scratch_load_b128 v[1:4], off, off offset:256
	scratch_load_b128 v[9:12], off, off offset:272
	s_wait_loadcnt_dscnt 0x100
	v_mul_f32_e32 v151, v5, v2
	v_dual_mul_f32 v153, v7, v4 :: v_dual_mul_f32 v2, v6, v2
	s_delay_alu instid0(VALU_DEP_2) | instskip(NEXT) | instid1(VALU_DEP_2)
	v_fmac_f32_e32 v151, v6, v1
	v_fmac_f32_e32 v153, v8, v3
	s_delay_alu instid0(VALU_DEP_3) | instskip(SKIP_1) | instid1(VALU_DEP_1)
	v_fma_f32 v152, v5, v1, -v2
	v_mul_f32_e32 v1, v8, v4
	v_fma_f32 v154, v7, v3, -v1
	ds_load_b128 v[1:4], v21 offset:672
	ds_load_b128 v[5:8], v21 offset:688
	s_wait_loadcnt_dscnt 0x1
	v_mul_f32_e32 v155, v1, v10
	v_mul_f32_e32 v157, v3, v12
	s_delay_alu instid0(VALU_DEP_2) | instskip(NEXT) | instid1(VALU_DEP_2)
	v_fmac_f32_e32 v155, v2, v9
	v_dual_mul_f32 v2, v2, v10 :: v_dual_fmac_f32 v157, v4, v11
	s_delay_alu instid0(VALU_DEP_1) | instskip(SKIP_1) | instid1(VALU_DEP_1)
	v_fma_f32 v156, v1, v9, -v2
	v_mul_f32_e32 v1, v4, v12
	v_fma_f32 v158, v3, v11, -v1
	s_clause 0x1
	scratch_load_b128 v[1:4], off, off offset:288
	scratch_load_b128 v[9:12], off, off offset:304
	s_wait_loadcnt_dscnt 0x100
	v_mul_f32_e32 v159, v5, v2
	v_mul_f32_e32 v2, v6, v2
	s_delay_alu instid0(VALU_DEP_1) | instskip(SKIP_1) | instid1(VALU_DEP_1)
	v_fma_f32 v160, v5, v1, -v2
	v_add_f32_e32 v2, 0, v136
	v_add_f32_e32 v2, v2, v137
	s_delay_alu instid0(VALU_DEP_1) | instskip(NEXT) | instid1(VALU_DEP_1)
	v_add_f32_e32 v2, v2, v123
	v_add_f32_e32 v2, v2, v124
	v_mul_f32_e32 v161, v7, v4
	v_fmac_f32_e32 v159, v6, v1
	s_delay_alu instid0(VALU_DEP_2) | instskip(NEXT) | instid1(VALU_DEP_1)
	v_dual_add_f32 v2, v2, v125 :: v_dual_fmac_f32 v161, v8, v3
	v_dual_add_f32 v2, v2, v138 :: v_dual_mul_f32 v1, v8, v4
	s_delay_alu instid0(VALU_DEP_1) | instskip(NEXT) | instid1(VALU_DEP_2)
	v_add_f32_e32 v2, v2, v130
	v_fma_f32 v162, v7, v3, -v1
	s_delay_alu instid0(VALU_DEP_2) | instskip(NEXT) | instid1(VALU_DEP_1)
	v_dual_add_f32 v1, 0, v22 :: v_dual_add_f32 v2, v2, v131
	v_dual_add_f32 v1, v1, v122 :: v_dual_add_f32 v2, v2, v15
	s_delay_alu instid0(VALU_DEP_1) | instskip(NEXT) | instid1(VALU_DEP_2)
	v_add_f32_e32 v1, v1, v126
	v_add_f32_e32 v5, v2, v18
	s_delay_alu instid0(VALU_DEP_2) | instskip(SKIP_2) | instid1(VALU_DEP_1)
	v_add_f32_e32 v1, v1, v127
	scratch_load_b64 v[126:127], off, off offset:384
	v_add_f32_e32 v1, v1, v128
	v_add_f32_e32 v1, v1, v129
	s_delay_alu instid0(VALU_DEP_1) | instskip(SKIP_1) | instid1(VALU_DEP_2)
	v_add_f32_e32 v1, v1, v13
	v_add_f32_e32 v13, v5, v19
	v_add_f32_e32 v1, v1, v14
	s_delay_alu instid0(VALU_DEP_2) | instskip(NEXT) | instid1(VALU_DEP_2)
	v_add_f32_e32 v13, v13, v20
	v_add_f32_e32 v1, v1, v16
	s_delay_alu instid0(VALU_DEP_2) | instskip(NEXT) | instid1(VALU_DEP_2)
	v_add_f32_e32 v13, v13, v139
	v_add_f32_e32 v1, v1, v17
	;; [unrolled: 3-line block ×3, first 2 shown]
	scratch_load_b128 v[1:4], off, off offset:320
	v_add_f32_e32 v18, v18, v143
	v_add_f32_e32 v14, v6, v133
	ds_load_b128 v[5:8], v21 offset:704
	v_add_f32_e32 v18, v18, v145
	v_add_f32_e32 v14, v14, v141
	s_delay_alu instid0(VALU_DEP_2) | instskip(NEXT) | instid1(VALU_DEP_2)
	v_add_f32_e32 v122, v18, v147
	v_add_f32_e32 v17, v14, v142
	ds_load_b128 v[13:16], v21 offset:720
	v_add_f32_e32 v122, v122, v149
	s_delay_alu instid0(VALU_DEP_1)
	v_add_f32_e32 v122, v122, v151
	s_wait_loadcnt_dscnt 0x201
	v_mul_f32_e32 v22, v5, v10
	v_mul_f32_e32 v10, v6, v10
	;; [unrolled: 1-line block ×4, first 2 shown]
	v_add_f32_e32 v122, v122, v153
	v_fmac_f32_e32 v22, v6, v9
	v_fma_f32 v131, v5, v9, -v10
	v_fmac_f32_e32 v130, v8, v11
	v_fma_f32 v132, v7, v11, -v12
	s_clause 0x1
	scratch_load_b128 v[5:8], off, off offset:336
	scratch_load_b128 v[9:12], off, off offset:352
	s_wait_loadcnt_dscnt 0x200
	v_mul_f32_e32 v136, v15, v4
	v_mul_f32_e32 v4, v16, v4
	v_add_f32_e32 v17, v17, v144
	v_mul_f32_e32 v133, v13, v2
	v_mul_f32_e32 v2, v14, v2
	v_fmac_f32_e32 v136, v16, v3
	v_fma_f32 v138, v15, v3, -v4
	v_add_f32_e32 v17, v17, v146
	s_delay_alu instid0(VALU_DEP_4) | instskip(SKIP_1) | instid1(VALU_DEP_3)
	v_fma_f32 v137, v13, v1, -v2
	v_add_f32_e32 v13, v122, v155
	v_add_f32_e32 v17, v17, v148
	s_delay_alu instid0(VALU_DEP_2) | instskip(NEXT) | instid1(VALU_DEP_2)
	v_add_f32_e32 v122, v13, v157
	v_add_f32_e32 v123, v17, v150
	scratch_load_b128 v[17:20], off, off offset:368
	v_add_f32_e32 v129, v122, v159
	s_delay_alu instid0(VALU_DEP_1) | instskip(NEXT) | instid1(VALU_DEP_1)
	v_dual_add_f32 v123, v123, v152 :: v_dual_add_f32 v140, v129, v161
	v_add_f32_e32 v123, v123, v154
	s_delay_alu instid0(VALU_DEP_1)
	v_dual_add_f32 v22, v140, v22 :: v_dual_add_f32 v123, v123, v156
	v_fmac_f32_e32 v133, v14, v1
	ds_load_b128 v[1:4], v21 offset:736
	v_add_f32_e32 v22, v22, v130
	v_add_f32_e32 v14, v123, v158
	ds_load_b128 v[122:125], v21 offset:768
	v_add_f32_e32 v22, v22, v133
	v_add_f32_e32 v128, v14, v160
	ds_load_b128 v[13:16], v21 offset:752
	v_dual_add_f32 v22, v22, v136 :: v_dual_add_f32 v139, v128, v162
	ds_load_b64 v[128:129], v21 offset:784
	v_add_f32_e32 v131, v139, v131
	s_wait_loadcnt_dscnt 0x203
	v_mul_f32_e32 v139, v1, v6
	v_mul_f32_e32 v6, v2, v6
	;; [unrolled: 1-line block ×3, first 2 shown]
	v_add_f32_e32 v131, v131, v132
	s_delay_alu instid0(VALU_DEP_4) | instskip(NEXT) | instid1(VALU_DEP_4)
	v_dual_mul_f32 v8, v4, v8 :: v_dual_fmac_f32 v139, v2, v5
	v_fma_f32 v1, v1, v5, -v6
	s_delay_alu instid0(VALU_DEP_4)
	v_fmac_f32_e32 v130, v4, v7
	s_wait_loadcnt_dscnt 0x101
	v_dual_mul_f32 v132, v13, v10 :: v_dual_add_f32 v131, v131, v137
	v_fma_f32 v2, v3, v7, -v8
	v_dual_add_f32 v4, v22, v139 :: v_dual_mul_f32 v133, v15, v12
	s_wait_dscnt 0x0
	s_delay_alu instid0(VALU_DEP_3) | instskip(SKIP_1) | instid1(VALU_DEP_2)
	v_dual_mul_f32 v136, v128, v127 :: v_dual_add_f32 v131, v131, v138
	v_dual_mul_f32 v5, v16, v12 :: v_dual_fmac_f32 v132, v14, v9
	v_dual_fmac_f32 v133, v16, v11 :: v_dual_fmac_f32 v136, v129, v126
	s_delay_alu instid0(VALU_DEP_3) | instskip(NEXT) | instid1(VALU_DEP_3)
	v_add_f32_e32 v1, v131, v1
	v_fma_f32 v5, v15, v11, -v5
	s_delay_alu instid0(VALU_DEP_2) | instskip(SKIP_3) | instid1(VALU_DEP_2)
	v_add_f32_e32 v1, v1, v2
	s_wait_loadcnt 0x0
	v_dual_mul_f32 v137, v122, v18 :: v_dual_mul_f32 v138, v124, v20
	v_mul_f32_e32 v3, v14, v10
	v_dual_fmac_f32 v137, v123, v17 :: v_dual_fmac_f32 v138, v125, v19
	s_delay_alu instid0(VALU_DEP_2) | instskip(SKIP_2) | instid1(VALU_DEP_2)
	v_fma_f32 v3, v13, v9, -v3
	v_add_f32_e32 v2, v4, v130
	v_mul_f32_e32 v4, v123, v18
	v_dual_add_f32 v2, v2, v132 :: v_dual_add_f32 v1, v1, v3
	v_mul_f32_e32 v3, v125, v20
	s_delay_alu instid0(VALU_DEP_3) | instskip(NEXT) | instid1(VALU_DEP_3)
	v_fma_f32 v4, v122, v17, -v4
	v_add_f32_e32 v2, v2, v133
	s_delay_alu instid0(VALU_DEP_3) | instskip(NEXT) | instid1(VALU_DEP_2)
	v_fma_f32 v3, v124, v19, -v3
	v_add_f32_e32 v2, v2, v137
	s_delay_alu instid0(VALU_DEP_1) | instskip(NEXT) | instid1(VALU_DEP_1)
	v_dual_add_f32 v1, v1, v5 :: v_dual_add_f32 v2, v2, v138
	v_dual_mul_f32 v5, v129, v127 :: v_dual_add_f32 v2, v2, v136
	s_delay_alu instid0(VALU_DEP_2) | instskip(NEXT) | instid1(VALU_DEP_2)
	v_add_f32_e32 v1, v1, v4
	v_fma_f32 v4, v128, v126, -v5
	s_delay_alu instid0(VALU_DEP_2) | instskip(NEXT) | instid1(VALU_DEP_1)
	v_dual_sub_f32 v2, v135, v2 :: v_dual_add_f32 v1, v1, v3
	v_add_f32_e32 v1, v1, v4
	s_delay_alu instid0(VALU_DEP_1)
	v_sub_f32_e32 v1, v134, v1
	scratch_store_b64 off, v[1:2], off offset:104
	v_cmpx_lt_u32_e32 12, v0
	s_cbranch_execz .LBB48_283
; %bb.282:
	scratch_load_b64 v[1:2], off, off offset:96
	v_mov_b32_e32 v22, v21
	scratch_store_b64 off, v[21:22], off offset:96
	s_wait_loadcnt 0x0
	ds_store_b64 v23, v[1:2]
.LBB48_283:
	s_wait_alu 0xfffe
	s_or_b32 exec_lo, exec_lo, s0
	s_wait_storecnt_dscnt 0x0
	s_barrier_signal -1
	s_barrier_wait -1
	global_inv scope:SCOPE_SE
	s_clause 0x4
	scratch_load_b128 v[5:8], off, off offset:104
	scratch_load_b128 v[1:4], off, off offset:120
	;; [unrolled: 1-line block ×5, first 2 shown]
	ds_load_2addr_b64 v[122:125], v21 offset0:63 offset1:64
	ds_load_2addr_b64 v[126:129], v21 offset0:65 offset1:66
	;; [unrolled: 1-line block ×3, first 2 shown]
	scratch_load_b64 v[134:135], off, off offset:96
	s_mov_b32 s0, exec_lo
	s_wait_loadcnt_dscnt 0x502
	v_dual_mul_f32 v22, v123, v6 :: v_dual_mul_f32 v137, v124, v8
	v_mul_f32_e32 v136, v122, v6
	v_mul_f32_e32 v6, v125, v8
	s_wait_loadcnt_dscnt 0x300
	v_mul_f32_e32 v138, v132, v12
	v_fma_f32 v22, v122, v5, -v22
	v_dual_fmac_f32 v137, v125, v7 :: v_dual_fmac_f32 v136, v123, v5
	v_mul_f32_e32 v125, v130, v10
	v_mul_f32_e32 v123, v126, v2
	v_fma_f32 v122, v124, v7, -v6
	ds_load_2addr_b64 v[5:8], v21 offset0:69 offset1:70
	v_mul_f32_e32 v124, v128, v4
	v_dual_mul_f32 v4, v129, v4 :: v_dual_fmac_f32 v125, v131, v9
	v_mul_f32_e32 v10, v131, v10
	v_mul_f32_e32 v12, v133, v12
	;; [unrolled: 1-line block ×3, first 2 shown]
	v_dual_fmac_f32 v123, v127, v1 :: v_dual_fmac_f32 v124, v129, v3
	v_fma_f32 v127, v128, v3, -v4
	v_fma_f32 v128, v130, v9, -v10
	v_fmac_f32_e32 v138, v133, v11
	v_fma_f32 v129, v132, v11, -v12
	ds_load_2addr_b64 v[9:12], v21 offset0:71 offset1:72
	s_wait_loadcnt_dscnt 0x201
	v_dual_mul_f32 v131, v7, v16 :: v_dual_mul_f32 v130, v5, v14
	s_delay_alu instid0(VALU_DEP_1)
	v_dual_mul_f32 v14, v6, v14 :: v_dual_fmac_f32 v131, v8, v15
	v_fma_f32 v126, v126, v1, -v2
	scratch_load_b128 v[1:4], off, off offset:184
	v_mul_f32_e32 v16, v8, v16
	v_fmac_f32_e32 v130, v6, v13
	v_fma_f32 v13, v5, v13, -v14
	s_delay_alu instid0(VALU_DEP_3)
	v_fma_f32 v14, v7, v15, -v16
	s_wait_loadcnt_dscnt 0x200
	v_mul_f32_e32 v15, v9, v18
	v_mul_f32_e32 v16, v10, v18
	;; [unrolled: 1-line block ×4, first 2 shown]
	ds_load_2addr_b64 v[5:8], v21 offset0:73 offset1:74
	v_fmac_f32_e32 v15, v10, v17
	v_fma_f32 v16, v9, v17, -v16
	v_fmac_f32_e32 v18, v12, v19
	v_fma_f32 v17, v11, v19, -v20
	scratch_load_b128 v[9:12], off, off offset:200
	s_wait_loadcnt_dscnt 0x100
	v_mul_f32_e32 v19, v5, v2
	v_mul_f32_e32 v2, v6, v2
	;; [unrolled: 1-line block ×3, first 2 shown]
	s_delay_alu instid0(VALU_DEP_3) | instskip(NEXT) | instid1(VALU_DEP_3)
	v_dual_mul_f32 v4, v8, v4 :: v_dual_fmac_f32 v19, v6, v1
	v_fma_f32 v132, v5, v1, -v2
	s_delay_alu instid0(VALU_DEP_3) | instskip(NEXT) | instid1(VALU_DEP_3)
	v_fmac_f32_e32 v20, v8, v3
	v_fma_f32 v133, v7, v3, -v4
	ds_load_2addr_b64 v[1:4], v21 offset0:75 offset1:76
	ds_load_2addr_b64 v[5:8], v21 offset0:77 offset1:78
	s_wait_loadcnt_dscnt 0x1
	v_mul_f32_e32 v139, v1, v10
	v_mul_f32_e32 v10, v2, v10
	s_delay_alu instid0(VALU_DEP_2) | instskip(NEXT) | instid1(VALU_DEP_2)
	v_dual_mul_f32 v140, v3, v12 :: v_dual_fmac_f32 v139, v2, v9
	v_fma_f32 v141, v1, v9, -v10
	v_mul_f32_e32 v1, v4, v12
	s_delay_alu instid0(VALU_DEP_3) | instskip(NEXT) | instid1(VALU_DEP_2)
	v_fmac_f32_e32 v140, v4, v11
	v_fma_f32 v142, v3, v11, -v1
	s_clause 0x1
	scratch_load_b128 v[1:4], off, off offset:216
	scratch_load_b128 v[9:12], off, off offset:232
	s_wait_loadcnt_dscnt 0x100
	v_mul_f32_e32 v143, v5, v2
	v_dual_mul_f32 v2, v6, v2 :: v_dual_mul_f32 v145, v7, v4
	s_delay_alu instid0(VALU_DEP_2) | instskip(NEXT) | instid1(VALU_DEP_2)
	v_fmac_f32_e32 v143, v6, v1
	v_fma_f32 v144, v5, v1, -v2
	v_mul_f32_e32 v1, v8, v4
	s_delay_alu instid0(VALU_DEP_4) | instskip(NEXT) | instid1(VALU_DEP_2)
	v_fmac_f32_e32 v145, v8, v3
	v_fma_f32 v146, v7, v3, -v1
	ds_load_2addr_b64 v[1:4], v21 offset0:79 offset1:80
	ds_load_2addr_b64 v[5:8], v21 offset0:81 offset1:82
	s_wait_loadcnt_dscnt 0x1
	v_mul_f32_e32 v147, v1, v10
	v_mul_f32_e32 v149, v3, v12
	s_delay_alu instid0(VALU_DEP_2) | instskip(NEXT) | instid1(VALU_DEP_2)
	v_fmac_f32_e32 v147, v2, v9
	v_dual_mul_f32 v2, v2, v10 :: v_dual_fmac_f32 v149, v4, v11
	s_delay_alu instid0(VALU_DEP_1) | instskip(SKIP_1) | instid1(VALU_DEP_1)
	v_fma_f32 v148, v1, v9, -v2
	v_mul_f32_e32 v1, v4, v12
	v_fma_f32 v150, v3, v11, -v1
	s_clause 0x1
	scratch_load_b128 v[1:4], off, off offset:248
	scratch_load_b128 v[9:12], off, off offset:264
	s_wait_loadcnt_dscnt 0x100
	v_mul_f32_e32 v151, v5, v2
	v_dual_mul_f32 v2, v6, v2 :: v_dual_mul_f32 v153, v7, v4
	s_delay_alu instid0(VALU_DEP_2) | instskip(NEXT) | instid1(VALU_DEP_2)
	v_fmac_f32_e32 v151, v6, v1
	v_fma_f32 v152, v5, v1, -v2
	v_mul_f32_e32 v1, v8, v4
	s_delay_alu instid0(VALU_DEP_4) | instskip(NEXT) | instid1(VALU_DEP_2)
	v_fmac_f32_e32 v153, v8, v3
	v_fma_f32 v154, v7, v3, -v1
	ds_load_2addr_b64 v[1:4], v21 offset0:83 offset1:84
	ds_load_2addr_b64 v[5:8], v21 offset0:85 offset1:86
	s_wait_loadcnt_dscnt 0x1
	v_mul_f32_e32 v155, v1, v10
	v_mul_f32_e32 v157, v3, v12
	s_delay_alu instid0(VALU_DEP_2) | instskip(NEXT) | instid1(VALU_DEP_2)
	v_fmac_f32_e32 v155, v2, v9
	v_dual_mul_f32 v2, v2, v10 :: v_dual_fmac_f32 v157, v4, v11
	s_delay_alu instid0(VALU_DEP_1) | instskip(SKIP_1) | instid1(VALU_DEP_1)
	v_fma_f32 v156, v1, v9, -v2
	v_mul_f32_e32 v1, v4, v12
	;; [unrolled: 25-line block ×3, first 2 shown]
	v_fma_f32 v166, v3, v11, -v1
	s_clause 0x1
	scratch_load_b128 v[1:4], off, off offset:312
	scratch_load_b128 v[9:12], off, off offset:328
	s_wait_loadcnt_dscnt 0x100
	v_mul_f32_e32 v167, v5, v2
	v_mul_f32_e32 v2, v6, v2
	s_delay_alu instid0(VALU_DEP_1) | instskip(SKIP_1) | instid1(VALU_DEP_1)
	v_fma_f32 v168, v5, v1, -v2
	v_add_f32_e32 v2, 0, v136
	v_add_f32_e32 v2, v2, v137
	s_delay_alu instid0(VALU_DEP_1) | instskip(NEXT) | instid1(VALU_DEP_1)
	v_add_f32_e32 v2, v2, v123
	v_add_f32_e32 v2, v2, v124
	s_delay_alu instid0(VALU_DEP_1) | instskip(NEXT) | instid1(VALU_DEP_1)
	;; [unrolled: 3-line block ×3, first 2 shown]
	v_add_f32_e32 v2, v2, v130
	v_add_f32_e32 v2, v2, v131
	s_delay_alu instid0(VALU_DEP_1) | instskip(SKIP_1) | instid1(VALU_DEP_2)
	v_add_f32_e32 v2, v2, v15
	v_fmac_f32_e32 v167, v6, v1
	v_dual_mul_f32 v169, v7, v4 :: v_dual_add_f32 v2, v2, v18
	s_delay_alu instid0(VALU_DEP_1) | instskip(NEXT) | instid1(VALU_DEP_1)
	v_dual_mul_f32 v1, v8, v4 :: v_dual_add_f32 v2, v2, v19
	v_fma_f32 v170, v7, v3, -v1
	v_add_f32_e32 v1, 0, v22
	s_delay_alu instid0(VALU_DEP_3) | instskip(NEXT) | instid1(VALU_DEP_2)
	v_dual_fmac_f32 v169, v8, v3 :: v_dual_add_f32 v2, v2, v20
	v_add_f32_e32 v1, v1, v122
	s_delay_alu instid0(VALU_DEP_2) | instskip(NEXT) | instid1(VALU_DEP_2)
	v_add_f32_e32 v5, v2, v139
	v_add_f32_e32 v1, v1, v126
	s_delay_alu instid0(VALU_DEP_2) | instskip(NEXT) | instid1(VALU_DEP_2)
	v_add_f32_e32 v5, v5, v140
	;; [unrolled: 3-line block ×3, first 2 shown]
	v_add_f32_e32 v1, v1, v128
	s_delay_alu instid0(VALU_DEP_1) | instskip(NEXT) | instid1(VALU_DEP_1)
	v_add_f32_e32 v1, v1, v129
	v_add_f32_e32 v1, v1, v13
	s_delay_alu instid0(VALU_DEP_1) | instskip(SKIP_1) | instid1(VALU_DEP_1)
	v_add_f32_e32 v1, v1, v14
	v_add_f32_e32 v14, v5, v145
	v_add_f32_e32 v14, v14, v147
	s_delay_alu instid0(VALU_DEP_1) | instskip(NEXT) | instid1(VALU_DEP_1)
	v_dual_add_f32 v14, v14, v149 :: v_dual_add_f32 v1, v1, v16
	v_add_f32_e32 v1, v1, v17
	s_delay_alu instid0(VALU_DEP_1) | instskip(NEXT) | instid1(VALU_DEP_1)
	v_add_f32_e32 v1, v1, v132
	v_add_f32_e32 v1, v1, v133
	s_delay_alu instid0(VALU_DEP_1) | instskip(NEXT) | instid1(VALU_DEP_1)
	v_add_f32_e32 v1, v1, v141
	v_add_f32_e32 v6, v1, v142
	ds_load_2addr_b64 v[1:4], v21 offset0:91 offset1:92
	v_add_f32_e32 v6, v6, v144
	s_delay_alu instid0(VALU_DEP_1)
	v_add_f32_e32 v13, v6, v146
	ds_load_2addr_b64 v[5:8], v21 offset0:93 offset1:94
	s_wait_loadcnt_dscnt 0x1
	v_mul_f32_e32 v22, v1, v10
	v_mul_f32_e32 v126, v3, v12
	;; [unrolled: 1-line block ×4, first 2 shown]
	s_delay_alu instid0(VALU_DEP_4) | instskip(NEXT) | instid1(VALU_DEP_4)
	v_fmac_f32_e32 v22, v2, v9
	v_fmac_f32_e32 v126, v4, v11
	s_delay_alu instid0(VALU_DEP_4) | instskip(NEXT) | instid1(VALU_DEP_4)
	v_fma_f32 v127, v1, v9, -v10
	v_fma_f32 v128, v3, v11, -v12
	s_clause 0x1
	scratch_load_b128 v[1:4], off, off offset:344
	scratch_load_b128 v[9:12], off, off offset:360
	v_add_f32_e32 v13, v13, v148
	v_add_f32_e32 v17, v14, v151
	s_delay_alu instid0(VALU_DEP_1) | instskip(SKIP_3) | instid1(VALU_DEP_2)
	v_add_f32_e32 v17, v17, v153
	s_wait_loadcnt_dscnt 0x100
	v_mul_f32_e32 v131, v7, v4
	v_mul_f32_e32 v4, v8, v4
	v_fmac_f32_e32 v131, v8, v3
	v_add_f32_e32 v13, v13, v150
	s_delay_alu instid0(VALU_DEP_3) | instskip(NEXT) | instid1(VALU_DEP_2)
	v_fma_f32 v3, v7, v3, -v4
	v_add_f32_e32 v13, v13, v152
	s_delay_alu instid0(VALU_DEP_1) | instskip(SKIP_2) | instid1(VALU_DEP_1)
	v_add_f32_e32 v18, v13, v154
	scratch_load_b128 v[13:16], off, off offset:376
	v_dual_add_f32 v17, v17, v155 :: v_dual_add_f32 v18, v18, v156
	v_dual_add_f32 v17, v17, v157 :: v_dual_add_f32 v18, v18, v158
	s_delay_alu instid0(VALU_DEP_1)
	v_dual_add_f32 v123, v17, v159 :: v_dual_add_f32 v122, v18, v160
	ds_load_2addr_b64 v[17:20], v21 offset0:95 offset1:96
	v_dual_add_f32 v130, v123, v161 :: v_dual_add_f32 v129, v122, v162
	ds_load_2addr_b64 v[122:125], v21 offset0:97 offset1:98
	v_add_f32_e32 v21, v129, v164
	v_dual_add_f32 v129, v130, v163 :: v_dual_mul_f32 v130, v5, v2
	v_mul_f32_e32 v2, v6, v2
	s_delay_alu instid0(VALU_DEP_2) | instskip(NEXT) | instid1(VALU_DEP_2)
	v_dual_add_f32 v21, v21, v166 :: v_dual_fmac_f32 v130, v6, v1
	v_fma_f32 v2, v5, v1, -v2
	s_delay_alu instid0(VALU_DEP_2) | instskip(SKIP_3) | instid1(VALU_DEP_3)
	v_add_f32_e32 v21, v21, v168
	s_wait_loadcnt_dscnt 0x101
	v_mul_f32_e32 v132, v17, v10
	v_dual_add_f32 v129, v129, v165 :: v_dual_mul_f32 v6, v18, v10
	v_dual_mul_f32 v4, v20, v12 :: v_dual_add_f32 v21, v21, v170
	s_delay_alu instid0(VALU_DEP_2) | instskip(NEXT) | instid1(VALU_DEP_2)
	v_dual_fmac_f32 v132, v18, v9 :: v_dual_add_f32 v129, v129, v167
	v_fma_f32 v4, v19, v11, -v4
	s_delay_alu instid0(VALU_DEP_3) | instskip(NEXT) | instid1(VALU_DEP_3)
	v_add_f32_e32 v21, v21, v127
	v_add_f32_e32 v129, v129, v169
	s_delay_alu instid0(VALU_DEP_2) | instskip(NEXT) | instid1(VALU_DEP_2)
	v_add_f32_e32 v1, v21, v128
	v_add_f32_e32 v22, v129, v22
	s_delay_alu instid0(VALU_DEP_2) | instskip(NEXT) | instid1(VALU_DEP_2)
	v_add_f32_e32 v1, v1, v2
	v_add_f32_e32 v5, v22, v126
	v_mul_f32_e32 v133, v19, v12
	s_delay_alu instid0(VALU_DEP_3) | instskip(NEXT) | instid1(VALU_DEP_3)
	v_add_f32_e32 v1, v1, v3
	v_add_f32_e32 v2, v5, v130
	v_fma_f32 v5, v17, v9, -v6
	s_delay_alu instid0(VALU_DEP_4) | instskip(NEXT) | instid1(VALU_DEP_2)
	v_fmac_f32_e32 v133, v20, v11
	v_dual_add_f32 v2, v2, v131 :: v_dual_add_f32 v1, v1, v5
	s_delay_alu instid0(VALU_DEP_1) | instskip(NEXT) | instid1(VALU_DEP_1)
	v_add_f32_e32 v2, v2, v132
	v_dual_add_f32 v1, v1, v4 :: v_dual_add_f32 v2, v2, v133
	s_wait_loadcnt_dscnt 0x0
	v_mul_f32_e32 v136, v122, v14
	v_mul_f32_e32 v3, v123, v14
	;; [unrolled: 1-line block ×3, first 2 shown]
	s_delay_alu instid0(VALU_DEP_3) | instskip(NEXT) | instid1(VALU_DEP_3)
	v_dual_mul_f32 v5, v125, v16 :: v_dual_fmac_f32 v136, v123, v13
	v_fma_f32 v3, v122, v13, -v3
	s_delay_alu instid0(VALU_DEP_3) | instskip(NEXT) | instid1(VALU_DEP_3)
	v_fmac_f32_e32 v127, v125, v15
	v_fma_f32 v4, v124, v15, -v5
	s_delay_alu instid0(VALU_DEP_3) | instskip(NEXT) | instid1(VALU_DEP_1)
	v_dual_add_f32 v2, v2, v136 :: v_dual_add_f32 v1, v1, v3
	v_dual_add_f32 v2, v2, v127 :: v_dual_add_f32 v1, v1, v4
	s_delay_alu instid0(VALU_DEP_1)
	v_dual_sub_f32 v2, v135, v2 :: v_dual_sub_f32 v1, v134, v1
	scratch_store_b64 off, v[1:2], off offset:96
	v_cmpx_lt_u32_e32 11, v0
	s_cbranch_execz .LBB48_285
; %bb.284:
	scratch_load_b64 v[1:2], off, off offset:88
	v_mov_b32_e32 v3, 0
	s_delay_alu instid0(VALU_DEP_1)
	v_mov_b32_e32 v4, v3
	scratch_store_b64 off, v[3:4], off offset:88
	s_wait_loadcnt 0x0
	ds_store_b64 v23, v[1:2]
.LBB48_285:
	s_wait_alu 0xfffe
	s_or_b32 exec_lo, exec_lo, s0
	s_wait_storecnt_dscnt 0x0
	s_barrier_signal -1
	s_barrier_wait -1
	global_inv scope:SCOPE_SE
	s_clause 0x4
	scratch_load_b128 v[5:8], off, off offset:96
	scratch_load_b128 v[1:4], off, off offset:112
	;; [unrolled: 1-line block ×5, first 2 shown]
	v_mov_b32_e32 v21, 0
	ds_load_b128 v[122:125], v21 offset:496
	ds_load_b128 v[126:129], v21 offset:512
	;; [unrolled: 1-line block ×3, first 2 shown]
	scratch_load_b64 v[134:135], off, off offset:88
	s_mov_b32 s0, exec_lo
	s_wait_loadcnt_dscnt 0x502
	v_mul_f32_e32 v22, v123, v6
	v_dual_mul_f32 v136, v122, v6 :: v_dual_mul_f32 v137, v124, v8
	v_mul_f32_e32 v6, v125, v8
	s_delay_alu instid0(VALU_DEP_3) | instskip(NEXT) | instid1(VALU_DEP_3)
	v_fma_f32 v22, v122, v5, -v22
	v_dual_fmac_f32 v136, v123, v5 :: v_dual_fmac_f32 v137, v125, v7
	s_wait_loadcnt_dscnt 0x401
	v_mul_f32_e32 v123, v126, v2
	v_fma_f32 v122, v124, v7, -v6
	ds_load_b128 v[5:8], v21 offset:544
	s_wait_loadcnt_dscnt 0x301
	v_dual_mul_f32 v124, v128, v4 :: v_dual_mul_f32 v125, v130, v10
	v_dual_mul_f32 v4, v129, v4 :: v_dual_fmac_f32 v123, v127, v1
	v_mul_f32_e32 v10, v131, v10
	s_delay_alu instid0(VALU_DEP_3)
	v_dual_mul_f32 v138, v132, v12 :: v_dual_fmac_f32 v125, v131, v9
	v_mul_f32_e32 v12, v133, v12
	v_mul_f32_e32 v2, v127, v2
	v_fmac_f32_e32 v124, v129, v3
	v_fma_f32 v127, v128, v3, -v4
	v_fma_f32 v128, v130, v9, -v10
	v_fmac_f32_e32 v138, v133, v11
	v_fma_f32 v129, v132, v11, -v12
	ds_load_b128 v[9:12], v21 offset:560
	s_wait_loadcnt_dscnt 0x201
	v_dual_mul_f32 v131, v7, v16 :: v_dual_mul_f32 v130, v5, v14
	v_mul_f32_e32 v14, v6, v14
	v_mul_f32_e32 v16, v8, v16
	s_delay_alu instid0(VALU_DEP_3)
	v_fmac_f32_e32 v131, v8, v15
	v_fma_f32 v126, v126, v1, -v2
	scratch_load_b128 v[1:4], off, off offset:176
	v_fmac_f32_e32 v130, v6, v13
	v_fma_f32 v13, v5, v13, -v14
	v_fma_f32 v14, v7, v15, -v16
	ds_load_b128 v[5:8], v21 offset:576
	s_wait_loadcnt_dscnt 0x201
	v_mul_f32_e32 v15, v9, v18
	v_mul_f32_e32 v16, v10, v18
	;; [unrolled: 1-line block ×3, first 2 shown]
	s_delay_alu instid0(VALU_DEP_3) | instskip(NEXT) | instid1(VALU_DEP_3)
	v_dual_mul_f32 v20, v12, v20 :: v_dual_fmac_f32 v15, v10, v17
	v_fma_f32 v16, v9, v17, -v16
	s_delay_alu instid0(VALU_DEP_3) | instskip(NEXT) | instid1(VALU_DEP_3)
	v_fmac_f32_e32 v18, v12, v19
	v_fma_f32 v17, v11, v19, -v20
	scratch_load_b128 v[9:12], off, off offset:192
	s_wait_loadcnt_dscnt 0x100
	v_mul_f32_e32 v19, v5, v2
	v_mul_f32_e32 v2, v6, v2
	;; [unrolled: 1-line block ×3, first 2 shown]
	s_delay_alu instid0(VALU_DEP_3) | instskip(NEXT) | instid1(VALU_DEP_3)
	v_dual_mul_f32 v4, v8, v4 :: v_dual_fmac_f32 v19, v6, v1
	v_fma_f32 v132, v5, v1, -v2
	s_delay_alu instid0(VALU_DEP_3) | instskip(NEXT) | instid1(VALU_DEP_3)
	v_fmac_f32_e32 v20, v8, v3
	v_fma_f32 v133, v7, v3, -v4
	ds_load_b128 v[1:4], v21 offset:592
	ds_load_b128 v[5:8], v21 offset:608
	s_wait_loadcnt_dscnt 0x1
	v_mul_f32_e32 v139, v1, v10
	v_mul_f32_e32 v10, v2, v10
	s_delay_alu instid0(VALU_DEP_2) | instskip(NEXT) | instid1(VALU_DEP_2)
	v_dual_mul_f32 v140, v3, v12 :: v_dual_fmac_f32 v139, v2, v9
	v_fma_f32 v141, v1, v9, -v10
	v_mul_f32_e32 v1, v4, v12
	s_delay_alu instid0(VALU_DEP_3) | instskip(NEXT) | instid1(VALU_DEP_2)
	v_fmac_f32_e32 v140, v4, v11
	v_fma_f32 v142, v3, v11, -v1
	s_clause 0x1
	scratch_load_b128 v[1:4], off, off offset:208
	scratch_load_b128 v[9:12], off, off offset:224
	s_wait_loadcnt_dscnt 0x100
	v_mul_f32_e32 v143, v5, v2
	v_dual_mul_f32 v2, v6, v2 :: v_dual_mul_f32 v145, v7, v4
	s_delay_alu instid0(VALU_DEP_2) | instskip(NEXT) | instid1(VALU_DEP_2)
	v_fmac_f32_e32 v143, v6, v1
	v_fma_f32 v144, v5, v1, -v2
	v_mul_f32_e32 v1, v8, v4
	s_delay_alu instid0(VALU_DEP_4) | instskip(NEXT) | instid1(VALU_DEP_2)
	v_fmac_f32_e32 v145, v8, v3
	v_fma_f32 v146, v7, v3, -v1
	ds_load_b128 v[1:4], v21 offset:624
	ds_load_b128 v[5:8], v21 offset:640
	s_wait_loadcnt_dscnt 0x1
	v_mul_f32_e32 v147, v1, v10
	v_mul_f32_e32 v149, v3, v12
	s_delay_alu instid0(VALU_DEP_2) | instskip(NEXT) | instid1(VALU_DEP_2)
	v_fmac_f32_e32 v147, v2, v9
	v_dual_mul_f32 v2, v2, v10 :: v_dual_fmac_f32 v149, v4, v11
	s_delay_alu instid0(VALU_DEP_1) | instskip(SKIP_1) | instid1(VALU_DEP_1)
	v_fma_f32 v148, v1, v9, -v2
	v_mul_f32_e32 v1, v4, v12
	v_fma_f32 v150, v3, v11, -v1
	s_clause 0x1
	scratch_load_b128 v[1:4], off, off offset:240
	scratch_load_b128 v[9:12], off, off offset:256
	s_wait_loadcnt_dscnt 0x100
	v_mul_f32_e32 v151, v5, v2
	v_dual_mul_f32 v153, v7, v4 :: v_dual_mul_f32 v2, v6, v2
	s_delay_alu instid0(VALU_DEP_2) | instskip(NEXT) | instid1(VALU_DEP_2)
	v_fmac_f32_e32 v151, v6, v1
	v_fmac_f32_e32 v153, v8, v3
	s_delay_alu instid0(VALU_DEP_3) | instskip(SKIP_1) | instid1(VALU_DEP_1)
	v_fma_f32 v152, v5, v1, -v2
	v_mul_f32_e32 v1, v8, v4
	v_fma_f32 v154, v7, v3, -v1
	ds_load_b128 v[1:4], v21 offset:656
	ds_load_b128 v[5:8], v21 offset:672
	s_wait_loadcnt_dscnt 0x1
	v_mul_f32_e32 v155, v1, v10
	v_mul_f32_e32 v157, v3, v12
	s_delay_alu instid0(VALU_DEP_2) | instskip(NEXT) | instid1(VALU_DEP_2)
	v_fmac_f32_e32 v155, v2, v9
	v_dual_mul_f32 v2, v2, v10 :: v_dual_fmac_f32 v157, v4, v11
	s_delay_alu instid0(VALU_DEP_1) | instskip(SKIP_1) | instid1(VALU_DEP_1)
	v_fma_f32 v156, v1, v9, -v2
	v_mul_f32_e32 v1, v4, v12
	v_fma_f32 v158, v3, v11, -v1
	s_clause 0x1
	scratch_load_b128 v[1:4], off, off offset:272
	scratch_load_b128 v[9:12], off, off offset:288
	s_wait_loadcnt_dscnt 0x100
	v_mul_f32_e32 v159, v5, v2
	v_dual_mul_f32 v2, v6, v2 :: v_dual_mul_f32 v161, v7, v4
	s_delay_alu instid0(VALU_DEP_2) | instskip(NEXT) | instid1(VALU_DEP_2)
	v_fmac_f32_e32 v159, v6, v1
	v_fma_f32 v160, v5, v1, -v2
	v_mul_f32_e32 v1, v8, v4
	s_delay_alu instid0(VALU_DEP_4) | instskip(NEXT) | instid1(VALU_DEP_2)
	v_fmac_f32_e32 v161, v8, v3
	v_fma_f32 v162, v7, v3, -v1
	ds_load_b128 v[1:4], v21 offset:688
	ds_load_b128 v[5:8], v21 offset:704
	s_wait_loadcnt_dscnt 0x1
	v_mul_f32_e32 v163, v1, v10
	v_mul_f32_e32 v165, v3, v12
	s_delay_alu instid0(VALU_DEP_2) | instskip(NEXT) | instid1(VALU_DEP_2)
	v_fmac_f32_e32 v163, v2, v9
	v_dual_mul_f32 v2, v2, v10 :: v_dual_fmac_f32 v165, v4, v11
	s_delay_alu instid0(VALU_DEP_1) | instskip(SKIP_1) | instid1(VALU_DEP_1)
	v_fma_f32 v164, v1, v9, -v2
	v_mul_f32_e32 v1, v4, v12
	v_fma_f32 v166, v3, v11, -v1
	s_clause 0x1
	scratch_load_b128 v[1:4], off, off offset:304
	scratch_load_b128 v[9:12], off, off offset:320
	s_wait_loadcnt_dscnt 0x100
	v_mul_f32_e32 v167, v5, v2
	v_mul_f32_e32 v2, v6, v2
	s_delay_alu instid0(VALU_DEP_1) | instskip(SKIP_1) | instid1(VALU_DEP_1)
	v_fma_f32 v168, v5, v1, -v2
	v_add_f32_e32 v2, 0, v136
	v_add_f32_e32 v2, v2, v137
	s_delay_alu instid0(VALU_DEP_1) | instskip(NEXT) | instid1(VALU_DEP_1)
	v_add_f32_e32 v2, v2, v123
	v_add_f32_e32 v2, v2, v124
	s_delay_alu instid0(VALU_DEP_1) | instskip(NEXT) | instid1(VALU_DEP_1)
	;; [unrolled: 3-line block ×4, first 2 shown]
	v_dual_add_f32 v2, v2, v15 :: v_dual_mul_f32 v169, v7, v4
	v_add_f32_e32 v2, v2, v18
	s_delay_alu instid0(VALU_DEP_1) | instskip(NEXT) | instid1(VALU_DEP_3)
	v_add_f32_e32 v2, v2, v19
	v_fmac_f32_e32 v169, v8, v3
	v_fmac_f32_e32 v167, v6, v1
	s_delay_alu instid0(VALU_DEP_3) | instskip(NEXT) | instid1(VALU_DEP_1)
	v_add_f32_e32 v2, v2, v20
	v_add_f32_e32 v5, v2, v139
	s_delay_alu instid0(VALU_DEP_1) | instskip(NEXT) | instid1(VALU_DEP_1)
	v_add_f32_e32 v5, v5, v140
	v_add_f32_e32 v5, v5, v143
	v_mul_f32_e32 v1, v8, v4
	s_delay_alu instid0(VALU_DEP_1) | instskip(SKIP_1) | instid1(VALU_DEP_1)
	v_fma_f32 v170, v7, v3, -v1
	v_add_f32_e32 v1, 0, v22
	v_add_f32_e32 v1, v1, v122
	s_delay_alu instid0(VALU_DEP_1) | instskip(NEXT) | instid1(VALU_DEP_1)
	v_add_f32_e32 v1, v1, v126
	v_add_f32_e32 v1, v1, v127
	scratch_load_b64 v[126:127], off, off offset:384
	v_add_f32_e32 v1, v1, v128
	s_delay_alu instid0(VALU_DEP_1) | instskip(NEXT) | instid1(VALU_DEP_1)
	v_add_f32_e32 v1, v1, v129
	v_add_f32_e32 v1, v1, v13
	s_delay_alu instid0(VALU_DEP_1) | instskip(SKIP_1) | instid1(VALU_DEP_1)
	v_add_f32_e32 v1, v1, v14
	v_add_f32_e32 v14, v5, v145
	;; [unrolled: 1-line block ×3, first 2 shown]
	s_delay_alu instid0(VALU_DEP_1) | instskip(NEXT) | instid1(VALU_DEP_1)
	v_dual_add_f32 v14, v14, v149 :: v_dual_add_f32 v1, v1, v16
	v_add_f32_e32 v1, v1, v17
	s_delay_alu instid0(VALU_DEP_2) | instskip(NEXT) | instid1(VALU_DEP_2)
	v_add_f32_e32 v17, v14, v151
	v_add_f32_e32 v1, v1, v132
	s_delay_alu instid0(VALU_DEP_1) | instskip(NEXT) | instid1(VALU_DEP_1)
	v_add_f32_e32 v1, v1, v133
	v_add_f32_e32 v1, v1, v141
	s_delay_alu instid0(VALU_DEP_1) | instskip(SKIP_2) | instid1(VALU_DEP_1)
	v_add_f32_e32 v6, v1, v142
	ds_load_b128 v[1:4], v21 offset:720
	v_add_f32_e32 v6, v6, v144
	v_add_f32_e32 v13, v6, v146
	ds_load_b128 v[5:8], v21 offset:736
	s_wait_loadcnt_dscnt 0x101
	v_mul_f32_e32 v22, v1, v10
	v_mul_f32_e32 v10, v2, v10
	;; [unrolled: 1-line block ×4, first 2 shown]
	s_delay_alu instid0(VALU_DEP_4) | instskip(NEXT) | instid1(VALU_DEP_4)
	v_fmac_f32_e32 v22, v2, v9
	v_fma_f32 v131, v1, v9, -v10
	s_delay_alu instid0(VALU_DEP_4) | instskip(NEXT) | instid1(VALU_DEP_4)
	v_fmac_f32_e32 v130, v4, v11
	v_fma_f32 v132, v3, v11, -v12
	s_clause 0x1
	scratch_load_b128 v[1:4], off, off offset:336
	scratch_load_b128 v[9:12], off, off offset:352
	v_add_f32_e32 v17, v17, v153
	s_delay_alu instid0(VALU_DEP_1) | instskip(SKIP_1) | instid1(VALU_DEP_1)
	v_add_f32_e32 v17, v17, v155
	s_wait_loadcnt_dscnt 0x100
	v_dual_add_f32 v17, v17, v157 :: v_dual_mul_f32 v138, v7, v4
	v_mul_f32_e32 v137, v5, v2
	v_mul_f32_e32 v2, v6, v2
	;; [unrolled: 1-line block ×3, first 2 shown]
	s_delay_alu instid0(VALU_DEP_3) | instskip(NEXT) | instid1(VALU_DEP_3)
	v_dual_fmac_f32 v138, v8, v3 :: v_dual_fmac_f32 v137, v6, v1
	v_fma_f32 v2, v5, v1, -v2
	v_add_f32_e32 v17, v17, v159
	s_delay_alu instid0(VALU_DEP_4) | instskip(NEXT) | instid1(VALU_DEP_2)
	v_fma_f32 v1, v7, v3, -v4
	v_add_f32_e32 v122, v17, v161
	s_delay_alu instid0(VALU_DEP_1) | instskip(SKIP_2) | instid1(VALU_DEP_1)
	v_add_f32_e32 v129, v122, v163
	ds_load_b128 v[122:125], v21 offset:768
	v_add_f32_e32 v136, v129, v165
	v_add_f32_e32 v136, v136, v167
	s_delay_alu instid0(VALU_DEP_1) | instskip(NEXT) | instid1(VALU_DEP_1)
	v_dual_add_f32 v136, v136, v169 :: v_dual_add_f32 v13, v13, v148
	v_add_f32_e32 v22, v136, v22
	s_delay_alu instid0(VALU_DEP_2) | instskip(NEXT) | instid1(VALU_DEP_1)
	v_add_f32_e32 v13, v13, v150
	v_dual_add_f32 v22, v22, v130 :: v_dual_add_f32 v13, v13, v152
	s_delay_alu instid0(VALU_DEP_1) | instskip(SKIP_2) | instid1(VALU_DEP_1)
	v_add_f32_e32 v18, v13, v154
	scratch_load_b128 v[13:16], off, off offset:368
	v_add_f32_e32 v18, v18, v156
	v_add_f32_e32 v18, v18, v158
	s_delay_alu instid0(VALU_DEP_1) | instskip(NEXT) | instid1(VALU_DEP_1)
	v_add_f32_e32 v18, v18, v160
	v_add_f32_e32 v18, v18, v162
	s_delay_alu instid0(VALU_DEP_1)
	v_add_f32_e32 v128, v18, v164
	ds_load_b128 v[17:20], v21 offset:752
	v_add_f32_e32 v133, v128, v166
	ds_load_b64 v[128:129], v21 offset:784
	s_wait_loadcnt_dscnt 0x101
	v_dual_mul_f32 v136, v19, v12 :: v_dual_mul_f32 v3, v18, v10
	s_wait_dscnt 0x0
	v_mul_f32_e32 v130, v128, v127
	s_delay_alu instid0(VALU_DEP_2) | instskip(NEXT) | instid1(VALU_DEP_3)
	v_fma_f32 v3, v17, v9, -v3
	v_fmac_f32_e32 v136, v20, v11
	s_delay_alu instid0(VALU_DEP_3) | instskip(SKIP_1) | instid1(VALU_DEP_1)
	v_fmac_f32_e32 v130, v129, v126
	v_dual_add_f32 v4, v22, v137 :: v_dual_add_f32 v133, v133, v168
	v_add_f32_e32 v133, v133, v170
	s_delay_alu instid0(VALU_DEP_1) | instskip(SKIP_1) | instid1(VALU_DEP_2)
	v_add_f32_e32 v131, v133, v131
	v_mul_f32_e32 v133, v17, v10
	v_add_f32_e32 v131, v131, v132
	s_delay_alu instid0(VALU_DEP_1) | instskip(NEXT) | instid1(VALU_DEP_1)
	v_dual_fmac_f32 v133, v18, v9 :: v_dual_add_f32 v2, v131, v2
	v_dual_add_f32 v1, v2, v1 :: v_dual_add_f32 v2, v4, v138
	s_delay_alu instid0(VALU_DEP_1) | instskip(NEXT) | instid1(VALU_DEP_1)
	v_add_f32_e32 v2, v2, v133
	v_add_f32_e32 v2, v2, v136
	s_wait_loadcnt 0x0
	v_dual_mul_f32 v132, v124, v16 :: v_dual_mul_f32 v139, v122, v14
	v_mul_f32_e32 v4, v123, v14
	s_delay_alu instid0(VALU_DEP_2) | instskip(NEXT) | instid1(VALU_DEP_2)
	v_dual_fmac_f32 v132, v125, v15 :: v_dual_fmac_f32 v139, v123, v13
	v_fma_f32 v4, v122, v13, -v4
	s_delay_alu instid0(VALU_DEP_2) | instskip(SKIP_2) | instid1(VALU_DEP_3)
	v_add_f32_e32 v2, v2, v139
	v_add_f32_e32 v1, v1, v3
	v_mul_f32_e32 v3, v125, v16
	v_add_f32_e32 v2, v2, v132
	v_mul_f32_e32 v5, v20, v12
	s_delay_alu instid0(VALU_DEP_3) | instskip(NEXT) | instid1(VALU_DEP_3)
	v_fma_f32 v3, v124, v15, -v3
	v_add_f32_e32 v2, v2, v130
	s_delay_alu instid0(VALU_DEP_3) | instskip(NEXT) | instid1(VALU_DEP_1)
	v_fma_f32 v5, v19, v11, -v5
	v_dual_sub_f32 v2, v135, v2 :: v_dual_add_f32 v1, v1, v5
	v_mul_f32_e32 v5, v129, v127
	s_delay_alu instid0(VALU_DEP_2) | instskip(NEXT) | instid1(VALU_DEP_2)
	v_add_f32_e32 v1, v1, v4
	v_fma_f32 v4, v128, v126, -v5
	s_delay_alu instid0(VALU_DEP_2) | instskip(NEXT) | instid1(VALU_DEP_1)
	v_add_f32_e32 v1, v1, v3
	v_add_f32_e32 v1, v1, v4
	s_delay_alu instid0(VALU_DEP_1)
	v_sub_f32_e32 v1, v134, v1
	scratch_store_b64 off, v[1:2], off offset:88
	v_cmpx_lt_u32_e32 10, v0
	s_cbranch_execz .LBB48_287
; %bb.286:
	scratch_load_b64 v[1:2], off, off offset:80
	v_mov_b32_e32 v22, v21
	scratch_store_b64 off, v[21:22], off offset:80
	s_wait_loadcnt 0x0
	ds_store_b64 v23, v[1:2]
.LBB48_287:
	s_wait_alu 0xfffe
	s_or_b32 exec_lo, exec_lo, s0
	s_wait_storecnt_dscnt 0x0
	s_barrier_signal -1
	s_barrier_wait -1
	global_inv scope:SCOPE_SE
	s_clause 0x4
	scratch_load_b128 v[5:8], off, off offset:88
	scratch_load_b128 v[1:4], off, off offset:104
	;; [unrolled: 1-line block ×5, first 2 shown]
	ds_load_2addr_b64 v[122:125], v21 offset0:61 offset1:62
	ds_load_2addr_b64 v[126:129], v21 offset0:63 offset1:64
	;; [unrolled: 1-line block ×3, first 2 shown]
	scratch_load_b64 v[134:135], off, off offset:80
	s_mov_b32 s0, exec_lo
	s_wait_loadcnt_dscnt 0x502
	v_dual_mul_f32 v22, v123, v6 :: v_dual_mul_f32 v137, v124, v8
	v_mul_f32_e32 v136, v122, v6
	v_mul_f32_e32 v6, v125, v8
	s_wait_loadcnt_dscnt 0x300
	v_mul_f32_e32 v138, v132, v12
	v_fma_f32 v22, v122, v5, -v22
	v_dual_fmac_f32 v137, v125, v7 :: v_dual_fmac_f32 v136, v123, v5
	v_mul_f32_e32 v125, v130, v10
	v_mul_f32_e32 v123, v126, v2
	v_fma_f32 v122, v124, v7, -v6
	ds_load_2addr_b64 v[5:8], v21 offset0:67 offset1:68
	v_mul_f32_e32 v124, v128, v4
	v_dual_mul_f32 v4, v129, v4 :: v_dual_fmac_f32 v125, v131, v9
	v_mul_f32_e32 v10, v131, v10
	v_mul_f32_e32 v12, v133, v12
	;; [unrolled: 1-line block ×3, first 2 shown]
	v_dual_fmac_f32 v123, v127, v1 :: v_dual_fmac_f32 v124, v129, v3
	v_fma_f32 v127, v128, v3, -v4
	v_fma_f32 v128, v130, v9, -v10
	v_fmac_f32_e32 v138, v133, v11
	v_fma_f32 v129, v132, v11, -v12
	ds_load_2addr_b64 v[9:12], v21 offset0:69 offset1:70
	s_wait_loadcnt_dscnt 0x201
	v_dual_mul_f32 v131, v7, v16 :: v_dual_mul_f32 v130, v5, v14
	s_delay_alu instid0(VALU_DEP_1)
	v_dual_mul_f32 v14, v6, v14 :: v_dual_fmac_f32 v131, v8, v15
	v_fma_f32 v126, v126, v1, -v2
	scratch_load_b128 v[1:4], off, off offset:168
	v_mul_f32_e32 v16, v8, v16
	v_fmac_f32_e32 v130, v6, v13
	v_fma_f32 v13, v5, v13, -v14
	s_delay_alu instid0(VALU_DEP_3)
	v_fma_f32 v14, v7, v15, -v16
	s_wait_loadcnt_dscnt 0x200
	v_mul_f32_e32 v15, v9, v18
	v_mul_f32_e32 v16, v10, v18
	;; [unrolled: 1-line block ×4, first 2 shown]
	ds_load_2addr_b64 v[5:8], v21 offset0:71 offset1:72
	v_fmac_f32_e32 v15, v10, v17
	v_fma_f32 v16, v9, v17, -v16
	v_fmac_f32_e32 v18, v12, v19
	v_fma_f32 v17, v11, v19, -v20
	scratch_load_b128 v[9:12], off, off offset:184
	s_wait_loadcnt_dscnt 0x100
	v_mul_f32_e32 v19, v5, v2
	v_mul_f32_e32 v2, v6, v2
	;; [unrolled: 1-line block ×3, first 2 shown]
	s_delay_alu instid0(VALU_DEP_3) | instskip(NEXT) | instid1(VALU_DEP_3)
	v_dual_mul_f32 v4, v8, v4 :: v_dual_fmac_f32 v19, v6, v1
	v_fma_f32 v132, v5, v1, -v2
	s_delay_alu instid0(VALU_DEP_3) | instskip(NEXT) | instid1(VALU_DEP_3)
	v_fmac_f32_e32 v20, v8, v3
	v_fma_f32 v133, v7, v3, -v4
	ds_load_2addr_b64 v[1:4], v21 offset0:73 offset1:74
	ds_load_2addr_b64 v[5:8], v21 offset0:75 offset1:76
	s_wait_loadcnt_dscnt 0x1
	v_mul_f32_e32 v139, v1, v10
	v_mul_f32_e32 v10, v2, v10
	s_delay_alu instid0(VALU_DEP_2) | instskip(NEXT) | instid1(VALU_DEP_2)
	v_dual_mul_f32 v140, v3, v12 :: v_dual_fmac_f32 v139, v2, v9
	v_fma_f32 v141, v1, v9, -v10
	v_mul_f32_e32 v1, v4, v12
	s_delay_alu instid0(VALU_DEP_3) | instskip(NEXT) | instid1(VALU_DEP_2)
	v_fmac_f32_e32 v140, v4, v11
	v_fma_f32 v142, v3, v11, -v1
	s_clause 0x1
	scratch_load_b128 v[1:4], off, off offset:200
	scratch_load_b128 v[9:12], off, off offset:216
	s_wait_loadcnt_dscnt 0x100
	v_mul_f32_e32 v143, v5, v2
	v_dual_mul_f32 v2, v6, v2 :: v_dual_mul_f32 v145, v7, v4
	s_delay_alu instid0(VALU_DEP_2) | instskip(NEXT) | instid1(VALU_DEP_2)
	v_fmac_f32_e32 v143, v6, v1
	v_fma_f32 v144, v5, v1, -v2
	v_mul_f32_e32 v1, v8, v4
	s_delay_alu instid0(VALU_DEP_4) | instskip(NEXT) | instid1(VALU_DEP_2)
	v_fmac_f32_e32 v145, v8, v3
	v_fma_f32 v146, v7, v3, -v1
	ds_load_2addr_b64 v[1:4], v21 offset0:77 offset1:78
	ds_load_2addr_b64 v[5:8], v21 offset0:79 offset1:80
	s_wait_loadcnt_dscnt 0x1
	v_mul_f32_e32 v147, v1, v10
	v_mul_f32_e32 v149, v3, v12
	s_delay_alu instid0(VALU_DEP_2) | instskip(NEXT) | instid1(VALU_DEP_2)
	v_fmac_f32_e32 v147, v2, v9
	v_dual_mul_f32 v2, v2, v10 :: v_dual_fmac_f32 v149, v4, v11
	s_delay_alu instid0(VALU_DEP_1) | instskip(SKIP_1) | instid1(VALU_DEP_1)
	v_fma_f32 v148, v1, v9, -v2
	v_mul_f32_e32 v1, v4, v12
	v_fma_f32 v150, v3, v11, -v1
	s_clause 0x1
	scratch_load_b128 v[1:4], off, off offset:232
	scratch_load_b128 v[9:12], off, off offset:248
	s_wait_loadcnt_dscnt 0x100
	v_mul_f32_e32 v151, v5, v2
	v_dual_mul_f32 v2, v6, v2 :: v_dual_mul_f32 v153, v7, v4
	s_delay_alu instid0(VALU_DEP_2) | instskip(NEXT) | instid1(VALU_DEP_2)
	v_fmac_f32_e32 v151, v6, v1
	v_fma_f32 v152, v5, v1, -v2
	v_mul_f32_e32 v1, v8, v4
	s_delay_alu instid0(VALU_DEP_4) | instskip(NEXT) | instid1(VALU_DEP_2)
	v_fmac_f32_e32 v153, v8, v3
	v_fma_f32 v154, v7, v3, -v1
	ds_load_2addr_b64 v[1:4], v21 offset0:81 offset1:82
	ds_load_2addr_b64 v[5:8], v21 offset0:83 offset1:84
	s_wait_loadcnt_dscnt 0x1
	v_mul_f32_e32 v155, v1, v10
	v_mul_f32_e32 v157, v3, v12
	s_delay_alu instid0(VALU_DEP_2) | instskip(NEXT) | instid1(VALU_DEP_2)
	v_fmac_f32_e32 v155, v2, v9
	v_dual_mul_f32 v2, v2, v10 :: v_dual_fmac_f32 v157, v4, v11
	s_delay_alu instid0(VALU_DEP_1) | instskip(SKIP_1) | instid1(VALU_DEP_1)
	v_fma_f32 v156, v1, v9, -v2
	v_mul_f32_e32 v1, v4, v12
	;; [unrolled: 25-line block ×3, first 2 shown]
	v_fma_f32 v166, v3, v11, -v1
	s_clause 0x1
	scratch_load_b128 v[1:4], off, off offset:296
	scratch_load_b128 v[9:12], off, off offset:312
	s_wait_loadcnt_dscnt 0x100
	v_mul_f32_e32 v167, v5, v2
	v_mul_f32_e32 v2, v6, v2
	s_delay_alu instid0(VALU_DEP_1) | instskip(SKIP_1) | instid1(VALU_DEP_1)
	v_fma_f32 v168, v5, v1, -v2
	v_add_f32_e32 v2, 0, v136
	v_add_f32_e32 v2, v2, v137
	s_delay_alu instid0(VALU_DEP_1) | instskip(NEXT) | instid1(VALU_DEP_1)
	v_add_f32_e32 v2, v2, v123
	v_add_f32_e32 v2, v2, v124
	s_delay_alu instid0(VALU_DEP_1) | instskip(NEXT) | instid1(VALU_DEP_1)
	;; [unrolled: 3-line block ×3, first 2 shown]
	v_add_f32_e32 v2, v2, v130
	v_add_f32_e32 v2, v2, v131
	s_delay_alu instid0(VALU_DEP_1) | instskip(SKIP_1) | instid1(VALU_DEP_2)
	v_dual_add_f32 v2, v2, v15 :: v_dual_mul_f32 v169, v7, v4
	v_fmac_f32_e32 v167, v6, v1
	v_dual_add_f32 v2, v2, v18 :: v_dual_mul_f32 v1, v8, v4
	s_delay_alu instid0(VALU_DEP_1) | instskip(NEXT) | instid1(VALU_DEP_4)
	v_add_f32_e32 v2, v2, v19
	v_fmac_f32_e32 v169, v8, v3
	s_delay_alu instid0(VALU_DEP_3) | instskip(NEXT) | instid1(VALU_DEP_3)
	v_fma_f32 v170, v7, v3, -v1
	v_dual_add_f32 v2, v2, v20 :: v_dual_add_f32 v1, 0, v22
	s_delay_alu instid0(VALU_DEP_1) | instskip(NEXT) | instid1(VALU_DEP_1)
	v_dual_add_f32 v2, v2, v139 :: v_dual_add_f32 v1, v1, v122
	v_add_f32_e32 v5, v2, v140
	s_delay_alu instid0(VALU_DEP_2) | instskip(NEXT) | instid1(VALU_DEP_1)
	v_add_f32_e32 v1, v1, v126
	v_add_f32_e32 v1, v1, v127
	s_delay_alu instid0(VALU_DEP_1) | instskip(NEXT) | instid1(VALU_DEP_1)
	v_add_f32_e32 v1, v1, v128
	v_add_f32_e32 v1, v1, v129
	s_delay_alu instid0(VALU_DEP_1) | instskip(SKIP_1) | instid1(VALU_DEP_2)
	v_add_f32_e32 v1, v1, v13
	v_add_f32_e32 v13, v5, v143
	;; [unrolled: 1-line block ×3, first 2 shown]
	s_delay_alu instid0(VALU_DEP_2) | instskip(NEXT) | instid1(VALU_DEP_1)
	v_add_f32_e32 v13, v13, v145
	v_add_f32_e32 v13, v13, v147
	s_delay_alu instid0(VALU_DEP_1) | instskip(NEXT) | instid1(VALU_DEP_1)
	v_add_f32_e32 v18, v13, v149
	v_dual_add_f32 v18, v18, v151 :: v_dual_add_f32 v1, v1, v16
	s_delay_alu instid0(VALU_DEP_1) | instskip(NEXT) | instid1(VALU_DEP_2)
	v_add_f32_e32 v18, v18, v153
	v_add_f32_e32 v1, v1, v17
	s_delay_alu instid0(VALU_DEP_1) | instskip(NEXT) | instid1(VALU_DEP_1)
	v_add_f32_e32 v1, v1, v132
	v_add_f32_e32 v1, v1, v133
	s_delay_alu instid0(VALU_DEP_1) | instskip(NEXT) | instid1(VALU_DEP_1)
	v_add_f32_e32 v1, v1, v141
	v_add_f32_e32 v1, v1, v142
	s_delay_alu instid0(VALU_DEP_1)
	v_add_f32_e32 v6, v1, v144
	ds_load_2addr_b64 v[1:4], v21 offset0:89 offset1:90
	v_add_f32_e32 v122, v18, v155
	v_add_f32_e32 v14, v6, v146
	scratch_load_b128 v[5:8], off, off offset:328
	v_add_f32_e32 v122, v122, v157
	v_add_f32_e32 v14, v14, v148
	s_delay_alu instid0(VALU_DEP_1)
	v_add_f32_e32 v17, v14, v150
	ds_load_2addr_b64 v[13:16], v21 offset0:91 offset1:92
	s_wait_loadcnt_dscnt 0x101
	v_mul_f32_e32 v22, v1, v10
	v_mul_f32_e32 v10, v2, v10
	;; [unrolled: 1-line block ×4, first 2 shown]
	v_add_f32_e32 v122, v122, v159
	v_fmac_f32_e32 v22, v2, v9
	v_fma_f32 v127, v1, v9, -v10
	v_fmac_f32_e32 v126, v4, v11
	v_fma_f32 v128, v3, v11, -v12
	s_clause 0x1
	scratch_load_b128 v[9:12], off, off offset:360
	scratch_load_b128 v[1:4], off, off offset:344
	v_add_f32_e32 v17, v17, v152
	s_wait_loadcnt_dscnt 0x200
	v_mul_f32_e32 v129, v13, v6
	v_mul_f32_e32 v6, v14, v6
	;; [unrolled: 1-line block ×3, first 2 shown]
	s_delay_alu instid0(VALU_DEP_3) | instskip(SKIP_1) | instid1(VALU_DEP_4)
	v_dual_mul_f32 v8, v16, v8 :: v_dual_fmac_f32 v129, v14, v5
	v_add_f32_e32 v17, v17, v154
	v_fma_f32 v131, v13, v5, -v6
	s_delay_alu instid0(VALU_DEP_4) | instskip(NEXT) | instid1(VALU_DEP_4)
	v_fmac_f32_e32 v130, v16, v7
	v_fma_f32 v132, v15, v7, -v8
	ds_load_2addr_b64 v[5:8], v21 offset0:93 offset1:94
	v_add_f32_e32 v17, v17, v156
	s_delay_alu instid0(VALU_DEP_1) | instskip(SKIP_3) | instid1(VALU_DEP_1)
	v_add_f32_e32 v123, v17, v158
	scratch_load_b128 v[17:20], off, off offset:376
	v_add_f32_e32 v13, v122, v161
	v_add_f32_e32 v123, v123, v160
	;; [unrolled: 1-line block ×3, first 2 shown]
	s_delay_alu instid0(VALU_DEP_1)
	v_dual_add_f32 v122, v123, v164 :: v_dual_add_f32 v123, v13, v163
	ds_load_2addr_b64 v[13:16], v21 offset0:95 offset1:96
	v_dual_add_f32 v133, v122, v166 :: v_dual_add_f32 v136, v123, v165
	ds_load_2addr_b64 v[122:125], v21 offset0:97 offset1:98
	v_add_f32_e32 v21, v133, v168
	s_wait_loadcnt_dscnt 0x201
	v_mul_f32_e32 v137, v15, v12
	s_delay_alu instid0(VALU_DEP_1) | instskip(SKIP_2) | instid1(VALU_DEP_1)
	v_fmac_f32_e32 v137, v16, v11
	s_wait_loadcnt 0x1
	v_dual_add_f32 v133, v136, v167 :: v_dual_mul_f32 v136, v5, v2
	v_dual_mul_f32 v2, v6, v2 :: v_dual_add_f32 v133, v133, v169
	s_delay_alu instid0(VALU_DEP_2) | instskip(SKIP_2) | instid1(VALU_DEP_4)
	v_fmac_f32_e32 v136, v6, v1
	v_mul_f32_e32 v6, v14, v10
	v_add_f32_e32 v21, v21, v170
	v_fma_f32 v2, v5, v1, -v2
	v_add_f32_e32 v22, v133, v22
	v_mul_f32_e32 v133, v13, v10
	s_delay_alu instid0(VALU_DEP_2) | instskip(NEXT) | instid1(VALU_DEP_2)
	v_add_f32_e32 v22, v22, v126
	v_fmac_f32_e32 v133, v14, v9
	s_delay_alu instid0(VALU_DEP_2) | instskip(NEXT) | instid1(VALU_DEP_1)
	v_dual_add_f32 v21, v21, v127 :: v_dual_add_f32 v22, v22, v129
	v_add_f32_e32 v21, v21, v128
	s_delay_alu instid0(VALU_DEP_2) | instskip(NEXT) | instid1(VALU_DEP_2)
	v_add_f32_e32 v5, v22, v130
	v_add_f32_e32 v21, v21, v131
	s_delay_alu instid0(VALU_DEP_1) | instskip(NEXT) | instid1(VALU_DEP_1)
	v_add_f32_e32 v1, v21, v132
	v_add_f32_e32 v1, v1, v2
	s_delay_alu instid0(VALU_DEP_4)
	v_add_f32_e32 v2, v5, v136
	v_fma_f32 v5, v13, v9, -v6
	s_wait_loadcnt_dscnt 0x0
	v_mul_f32_e32 v128, v124, v20
	v_mul_f32_e32 v127, v7, v4
	;; [unrolled: 1-line block ×4, first 2 shown]
	s_delay_alu instid0(VALU_DEP_4) | instskip(NEXT) | instid1(VALU_DEP_4)
	v_fmac_f32_e32 v128, v125, v19
	v_fmac_f32_e32 v127, v8, v3
	s_delay_alu instid0(VALU_DEP_4) | instskip(SKIP_2) | instid1(VALU_DEP_4)
	v_fma_f32 v3, v7, v3, -v4
	v_mul_f32_e32 v4, v16, v12
	v_fmac_f32_e32 v126, v123, v17
	v_add_f32_e32 v2, v2, v127
	s_delay_alu instid0(VALU_DEP_4) | instskip(SKIP_2) | instid1(VALU_DEP_4)
	v_add_f32_e32 v1, v1, v3
	v_mul_f32_e32 v3, v123, v18
	v_fma_f32 v4, v15, v11, -v4
	v_add_f32_e32 v2, v2, v133
	s_delay_alu instid0(VALU_DEP_4) | instskip(SKIP_2) | instid1(VALU_DEP_3)
	v_add_f32_e32 v1, v1, v5
	v_mul_f32_e32 v5, v125, v20
	v_fma_f32 v3, v122, v17, -v3
	v_dual_add_f32 v2, v2, v137 :: v_dual_add_f32 v1, v1, v4
	s_delay_alu instid0(VALU_DEP_3) | instskip(NEXT) | instid1(VALU_DEP_2)
	v_fma_f32 v4, v124, v19, -v5
	v_dual_add_f32 v2, v2, v126 :: v_dual_add_f32 v1, v1, v3
	s_delay_alu instid0(VALU_DEP_1) | instskip(NEXT) | instid1(VALU_DEP_1)
	v_add_f32_e32 v2, v2, v128
	v_dual_add_f32 v1, v1, v4 :: v_dual_sub_f32 v2, v135, v2
	s_delay_alu instid0(VALU_DEP_1)
	v_sub_f32_e32 v1, v134, v1
	scratch_store_b64 off, v[1:2], off offset:80
	v_cmpx_lt_u32_e32 9, v0
	s_cbranch_execz .LBB48_289
; %bb.288:
	scratch_load_b64 v[1:2], off, off offset:72
	v_mov_b32_e32 v3, 0
	s_delay_alu instid0(VALU_DEP_1)
	v_mov_b32_e32 v4, v3
	scratch_store_b64 off, v[3:4], off offset:72
	s_wait_loadcnt 0x0
	ds_store_b64 v23, v[1:2]
.LBB48_289:
	s_wait_alu 0xfffe
	s_or_b32 exec_lo, exec_lo, s0
	s_wait_storecnt_dscnt 0x0
	s_barrier_signal -1
	s_barrier_wait -1
	global_inv scope:SCOPE_SE
	s_clause 0x4
	scratch_load_b128 v[5:8], off, off offset:80
	scratch_load_b128 v[1:4], off, off offset:96
	scratch_load_b128 v[9:12], off, off offset:112
	scratch_load_b128 v[13:16], off, off offset:128
	scratch_load_b128 v[17:20], off, off offset:144
	v_mov_b32_e32 v21, 0
	ds_load_b128 v[122:125], v21 offset:480
	ds_load_b128 v[126:129], v21 offset:496
	;; [unrolled: 1-line block ×3, first 2 shown]
	scratch_load_b64 v[134:135], off, off offset:72
	s_mov_b32 s0, exec_lo
	s_wait_loadcnt_dscnt 0x502
	v_mul_f32_e32 v22, v123, v6
	v_dual_mul_f32 v136, v122, v6 :: v_dual_mul_f32 v137, v124, v8
	v_mul_f32_e32 v6, v125, v8
	s_delay_alu instid0(VALU_DEP_3) | instskip(NEXT) | instid1(VALU_DEP_3)
	v_fma_f32 v22, v122, v5, -v22
	v_dual_fmac_f32 v136, v123, v5 :: v_dual_fmac_f32 v137, v125, v7
	s_wait_loadcnt_dscnt 0x401
	v_mul_f32_e32 v123, v126, v2
	v_fma_f32 v122, v124, v7, -v6
	ds_load_b128 v[5:8], v21 offset:528
	s_wait_loadcnt_dscnt 0x301
	v_dual_mul_f32 v124, v128, v4 :: v_dual_mul_f32 v125, v130, v10
	v_dual_mul_f32 v4, v129, v4 :: v_dual_fmac_f32 v123, v127, v1
	v_mul_f32_e32 v10, v131, v10
	s_delay_alu instid0(VALU_DEP_3)
	v_dual_mul_f32 v138, v132, v12 :: v_dual_fmac_f32 v125, v131, v9
	v_mul_f32_e32 v12, v133, v12
	v_mul_f32_e32 v2, v127, v2
	v_fmac_f32_e32 v124, v129, v3
	v_fma_f32 v127, v128, v3, -v4
	v_fma_f32 v128, v130, v9, -v10
	v_fmac_f32_e32 v138, v133, v11
	v_fma_f32 v129, v132, v11, -v12
	ds_load_b128 v[9:12], v21 offset:544
	s_wait_loadcnt_dscnt 0x201
	v_dual_mul_f32 v131, v7, v16 :: v_dual_mul_f32 v130, v5, v14
	v_mul_f32_e32 v14, v6, v14
	v_mul_f32_e32 v16, v8, v16
	s_delay_alu instid0(VALU_DEP_3)
	v_fmac_f32_e32 v131, v8, v15
	v_fma_f32 v126, v126, v1, -v2
	scratch_load_b128 v[1:4], off, off offset:160
	v_fmac_f32_e32 v130, v6, v13
	v_fma_f32 v13, v5, v13, -v14
	v_fma_f32 v14, v7, v15, -v16
	ds_load_b128 v[5:8], v21 offset:560
	s_wait_loadcnt_dscnt 0x201
	v_mul_f32_e32 v15, v9, v18
	v_mul_f32_e32 v16, v10, v18
	;; [unrolled: 1-line block ×3, first 2 shown]
	s_delay_alu instid0(VALU_DEP_3) | instskip(NEXT) | instid1(VALU_DEP_3)
	v_dual_mul_f32 v20, v12, v20 :: v_dual_fmac_f32 v15, v10, v17
	v_fma_f32 v16, v9, v17, -v16
	s_delay_alu instid0(VALU_DEP_3) | instskip(NEXT) | instid1(VALU_DEP_3)
	v_fmac_f32_e32 v18, v12, v19
	v_fma_f32 v17, v11, v19, -v20
	scratch_load_b128 v[9:12], off, off offset:176
	s_wait_loadcnt_dscnt 0x100
	v_mul_f32_e32 v19, v5, v2
	v_mul_f32_e32 v2, v6, v2
	;; [unrolled: 1-line block ×3, first 2 shown]
	s_delay_alu instid0(VALU_DEP_3) | instskip(NEXT) | instid1(VALU_DEP_3)
	v_dual_mul_f32 v4, v8, v4 :: v_dual_fmac_f32 v19, v6, v1
	v_fma_f32 v132, v5, v1, -v2
	s_delay_alu instid0(VALU_DEP_3) | instskip(NEXT) | instid1(VALU_DEP_3)
	v_fmac_f32_e32 v20, v8, v3
	v_fma_f32 v133, v7, v3, -v4
	ds_load_b128 v[1:4], v21 offset:576
	ds_load_b128 v[5:8], v21 offset:592
	s_wait_loadcnt_dscnt 0x1
	v_mul_f32_e32 v139, v1, v10
	v_mul_f32_e32 v10, v2, v10
	s_delay_alu instid0(VALU_DEP_2) | instskip(NEXT) | instid1(VALU_DEP_2)
	v_dual_mul_f32 v140, v3, v12 :: v_dual_fmac_f32 v139, v2, v9
	v_fma_f32 v141, v1, v9, -v10
	v_mul_f32_e32 v1, v4, v12
	s_delay_alu instid0(VALU_DEP_3) | instskip(NEXT) | instid1(VALU_DEP_2)
	v_fmac_f32_e32 v140, v4, v11
	v_fma_f32 v142, v3, v11, -v1
	s_clause 0x1
	scratch_load_b128 v[1:4], off, off offset:192
	scratch_load_b128 v[9:12], off, off offset:208
	s_wait_loadcnt_dscnt 0x100
	v_mul_f32_e32 v143, v5, v2
	v_dual_mul_f32 v2, v6, v2 :: v_dual_mul_f32 v145, v7, v4
	s_delay_alu instid0(VALU_DEP_2) | instskip(NEXT) | instid1(VALU_DEP_2)
	v_fmac_f32_e32 v143, v6, v1
	v_fma_f32 v144, v5, v1, -v2
	v_mul_f32_e32 v1, v8, v4
	s_delay_alu instid0(VALU_DEP_4) | instskip(NEXT) | instid1(VALU_DEP_2)
	v_fmac_f32_e32 v145, v8, v3
	v_fma_f32 v146, v7, v3, -v1
	ds_load_b128 v[1:4], v21 offset:608
	ds_load_b128 v[5:8], v21 offset:624
	s_wait_loadcnt_dscnt 0x1
	v_mul_f32_e32 v147, v1, v10
	v_mul_f32_e32 v149, v3, v12
	s_delay_alu instid0(VALU_DEP_2) | instskip(NEXT) | instid1(VALU_DEP_2)
	v_fmac_f32_e32 v147, v2, v9
	v_dual_mul_f32 v2, v2, v10 :: v_dual_fmac_f32 v149, v4, v11
	s_delay_alu instid0(VALU_DEP_1) | instskip(SKIP_1) | instid1(VALU_DEP_1)
	v_fma_f32 v148, v1, v9, -v2
	v_mul_f32_e32 v1, v4, v12
	v_fma_f32 v150, v3, v11, -v1
	s_clause 0x1
	scratch_load_b128 v[1:4], off, off offset:224
	scratch_load_b128 v[9:12], off, off offset:240
	s_wait_loadcnt_dscnt 0x100
	v_mul_f32_e32 v151, v5, v2
	v_dual_mul_f32 v153, v7, v4 :: v_dual_mul_f32 v2, v6, v2
	s_delay_alu instid0(VALU_DEP_2) | instskip(NEXT) | instid1(VALU_DEP_2)
	v_fmac_f32_e32 v151, v6, v1
	v_fmac_f32_e32 v153, v8, v3
	s_delay_alu instid0(VALU_DEP_3) | instskip(SKIP_1) | instid1(VALU_DEP_1)
	v_fma_f32 v152, v5, v1, -v2
	v_mul_f32_e32 v1, v8, v4
	v_fma_f32 v154, v7, v3, -v1
	ds_load_b128 v[1:4], v21 offset:640
	ds_load_b128 v[5:8], v21 offset:656
	s_wait_loadcnt_dscnt 0x1
	v_mul_f32_e32 v155, v1, v10
	v_mul_f32_e32 v157, v3, v12
	s_delay_alu instid0(VALU_DEP_2) | instskip(NEXT) | instid1(VALU_DEP_2)
	v_fmac_f32_e32 v155, v2, v9
	v_dual_mul_f32 v2, v2, v10 :: v_dual_fmac_f32 v157, v4, v11
	s_delay_alu instid0(VALU_DEP_1) | instskip(SKIP_1) | instid1(VALU_DEP_1)
	v_fma_f32 v156, v1, v9, -v2
	v_mul_f32_e32 v1, v4, v12
	v_fma_f32 v158, v3, v11, -v1
	s_clause 0x1
	scratch_load_b128 v[1:4], off, off offset:256
	scratch_load_b128 v[9:12], off, off offset:272
	s_wait_loadcnt_dscnt 0x100
	v_mul_f32_e32 v159, v5, v2
	v_dual_mul_f32 v2, v6, v2 :: v_dual_mul_f32 v161, v7, v4
	s_delay_alu instid0(VALU_DEP_2) | instskip(NEXT) | instid1(VALU_DEP_2)
	v_fmac_f32_e32 v159, v6, v1
	v_fma_f32 v160, v5, v1, -v2
	v_mul_f32_e32 v1, v8, v4
	s_delay_alu instid0(VALU_DEP_4) | instskip(NEXT) | instid1(VALU_DEP_2)
	v_fmac_f32_e32 v161, v8, v3
	v_fma_f32 v162, v7, v3, -v1
	ds_load_b128 v[1:4], v21 offset:672
	ds_load_b128 v[5:8], v21 offset:688
	s_wait_loadcnt_dscnt 0x1
	v_mul_f32_e32 v163, v1, v10
	v_mul_f32_e32 v165, v3, v12
	s_delay_alu instid0(VALU_DEP_2) | instskip(NEXT) | instid1(VALU_DEP_2)
	v_fmac_f32_e32 v163, v2, v9
	v_dual_mul_f32 v2, v2, v10 :: v_dual_fmac_f32 v165, v4, v11
	s_delay_alu instid0(VALU_DEP_1) | instskip(SKIP_1) | instid1(VALU_DEP_1)
	v_fma_f32 v164, v1, v9, -v2
	v_mul_f32_e32 v1, v4, v12
	v_fma_f32 v166, v3, v11, -v1
	s_clause 0x1
	scratch_load_b128 v[1:4], off, off offset:288
	scratch_load_b128 v[9:12], off, off offset:304
	s_wait_loadcnt_dscnt 0x100
	v_mul_f32_e32 v167, v5, v2
	v_mul_f32_e32 v2, v6, v2
	s_delay_alu instid0(VALU_DEP_1) | instskip(SKIP_1) | instid1(VALU_DEP_1)
	v_fma_f32 v168, v5, v1, -v2
	v_add_f32_e32 v2, 0, v136
	v_add_f32_e32 v2, v2, v137
	s_delay_alu instid0(VALU_DEP_1) | instskip(NEXT) | instid1(VALU_DEP_1)
	v_add_f32_e32 v2, v2, v123
	v_add_f32_e32 v2, v2, v124
	s_delay_alu instid0(VALU_DEP_1) | instskip(NEXT) | instid1(VALU_DEP_1)
	v_add_f32_e32 v2, v2, v125
	v_add_f32_e32 v2, v2, v138
	s_delay_alu instid0(VALU_DEP_1) | instskip(NEXT) | instid1(VALU_DEP_1)
	v_add_f32_e32 v2, v2, v130
	v_add_f32_e32 v2, v2, v131
	s_delay_alu instid0(VALU_DEP_1) | instskip(NEXT) | instid1(VALU_DEP_1)
	v_dual_add_f32 v2, v2, v15 :: v_dual_mul_f32 v169, v7, v4
	v_add_f32_e32 v2, v2, v18
	s_delay_alu instid0(VALU_DEP_1) | instskip(SKIP_1) | instid1(VALU_DEP_2)
	v_add_f32_e32 v2, v2, v19
	v_fmac_f32_e32 v167, v6, v1
	v_dual_fmac_f32 v169, v8, v3 :: v_dual_add_f32 v2, v2, v20
	s_delay_alu instid0(VALU_DEP_1) | instskip(NEXT) | instid1(VALU_DEP_1)
	v_dual_mul_f32 v1, v8, v4 :: v_dual_add_f32 v2, v2, v139
	v_fma_f32 v170, v7, v3, -v1
	v_add_f32_e32 v1, 0, v22
	s_delay_alu instid0(VALU_DEP_3) | instskip(NEXT) | instid1(VALU_DEP_2)
	v_add_f32_e32 v5, v2, v140
	v_add_f32_e32 v1, v1, v122
	s_delay_alu instid0(VALU_DEP_1) | instskip(NEXT) | instid1(VALU_DEP_1)
	v_add_f32_e32 v1, v1, v126
	v_add_f32_e32 v1, v1, v127
	scratch_load_b64 v[126:127], off, off offset:384
	v_add_f32_e32 v1, v1, v128
	s_delay_alu instid0(VALU_DEP_1) | instskip(NEXT) | instid1(VALU_DEP_1)
	v_add_f32_e32 v1, v1, v129
	v_add_f32_e32 v1, v1, v13
	;; [unrolled: 1-line block ×3, first 2 shown]
	s_delay_alu instid0(VALU_DEP_1) | instskip(NEXT) | instid1(VALU_DEP_1)
	v_add_f32_e32 v13, v13, v145
	v_add_f32_e32 v13, v13, v147
	s_delay_alu instid0(VALU_DEP_1) | instskip(NEXT) | instid1(VALU_DEP_1)
	v_add_f32_e32 v18, v13, v149
	v_dual_add_f32 v18, v18, v151 :: v_dual_add_f32 v1, v1, v14
	s_delay_alu instid0(VALU_DEP_1) | instskip(NEXT) | instid1(VALU_DEP_1)
	v_dual_add_f32 v18, v18, v153 :: v_dual_add_f32 v1, v1, v16
	v_add_f32_e32 v1, v1, v17
	s_delay_alu instid0(VALU_DEP_1) | instskip(NEXT) | instid1(VALU_DEP_1)
	v_add_f32_e32 v1, v1, v132
	v_add_f32_e32 v1, v1, v133
	s_delay_alu instid0(VALU_DEP_1) | instskip(NEXT) | instid1(VALU_DEP_1)
	v_add_f32_e32 v1, v1, v141
	v_add_f32_e32 v1, v1, v142
	s_delay_alu instid0(VALU_DEP_1)
	v_add_f32_e32 v6, v1, v144
	scratch_load_b128 v[1:4], off, off offset:320
	v_add_f32_e32 v122, v18, v155
	v_add_f32_e32 v14, v6, v146
	ds_load_b128 v[5:8], v21 offset:704
	v_add_f32_e32 v122, v122, v157
	v_add_f32_e32 v14, v14, v148
	s_delay_alu instid0(VALU_DEP_1)
	v_add_f32_e32 v17, v14, v150
	ds_load_b128 v[13:16], v21 offset:720
	s_wait_loadcnt_dscnt 0x201
	v_mul_f32_e32 v22, v5, v10
	v_mul_f32_e32 v10, v6, v10
	;; [unrolled: 1-line block ×4, first 2 shown]
	v_add_f32_e32 v122, v122, v159
	v_fmac_f32_e32 v22, v6, v9
	v_fma_f32 v131, v5, v9, -v10
	v_fmac_f32_e32 v130, v8, v11
	v_fma_f32 v132, v7, v11, -v12
	scratch_load_b128 v[5:8], off, off offset:336
	v_add_f32_e32 v122, v122, v161
	scratch_load_b128 v[9:12], off, off offset:352
	s_wait_loadcnt_dscnt 0x200
	v_mul_f32_e32 v133, v13, v2
	v_mul_f32_e32 v2, v14, v2
	;; [unrolled: 1-line block ×3, first 2 shown]
	s_delay_alu instid0(VALU_DEP_3) | instskip(NEXT) | instid1(VALU_DEP_3)
	v_dual_mul_f32 v4, v16, v4 :: v_dual_fmac_f32 v133, v14, v1
	v_fma_f32 v137, v13, v1, -v2
	v_add_f32_e32 v13, v122, v163
	s_delay_alu instid0(VALU_DEP_4) | instskip(NEXT) | instid1(VALU_DEP_4)
	v_fmac_f32_e32 v136, v16, v3
	v_fma_f32 v138, v15, v3, -v4
	ds_load_b128 v[1:4], v21 offset:736
	v_add_f32_e32 v122, v13, v165
	s_delay_alu instid0(VALU_DEP_1) | instskip(NEXT) | instid1(VALU_DEP_1)
	v_add_f32_e32 v129, v122, v167
	v_add_f32_e32 v140, v129, v169
	s_delay_alu instid0(VALU_DEP_1) | instskip(NEXT) | instid1(VALU_DEP_1)
	v_dual_add_f32 v17, v17, v152 :: v_dual_add_f32 v22, v140, v22
	v_add_f32_e32 v17, v17, v154
	s_delay_alu instid0(VALU_DEP_1) | instskip(NEXT) | instid1(VALU_DEP_1)
	v_dual_add_f32 v22, v22, v130 :: v_dual_add_f32 v17, v17, v156
	v_dual_add_f32 v22, v22, v133 :: v_dual_add_f32 v123, v17, v158
	scratch_load_b128 v[17:20], off, off offset:368
	v_add_f32_e32 v22, v22, v136
	v_add_f32_e32 v123, v123, v160
	s_delay_alu instid0(VALU_DEP_1) | instskip(NEXT) | instid1(VALU_DEP_1)
	v_add_f32_e32 v123, v123, v162
	v_add_f32_e32 v123, v123, v164
	s_delay_alu instid0(VALU_DEP_1)
	v_add_f32_e32 v14, v123, v166
	ds_load_b128 v[122:125], v21 offset:768
	v_add_f32_e32 v128, v14, v168
	ds_load_b128 v[13:16], v21 offset:752
	s_wait_loadcnt_dscnt 0x202
	v_mul_f32_e32 v130, v3, v8
	v_mul_f32_e32 v8, v4, v8
	v_add_f32_e32 v139, v128, v170
	ds_load_b64 v[128:129], v21 offset:784
	v_fmac_f32_e32 v130, v4, v7
	v_add_f32_e32 v131, v139, v131
	v_mul_f32_e32 v139, v1, v6
	v_mul_f32_e32 v6, v2, v6
	s_delay_alu instid0(VALU_DEP_2) | instskip(NEXT) | instid1(VALU_DEP_4)
	v_fmac_f32_e32 v139, v2, v5
	v_add_f32_e32 v131, v131, v132
	s_delay_alu instid0(VALU_DEP_3)
	v_fma_f32 v1, v1, v5, -v6
	v_fma_f32 v2, v3, v7, -v8
	s_wait_loadcnt_dscnt 0x101
	v_mul_f32_e32 v132, v13, v10
	v_add_f32_e32 v4, v22, v139
	v_mul_f32_e32 v3, v14, v10
	s_delay_alu instid0(VALU_DEP_3) | instskip(SKIP_2) | instid1(VALU_DEP_3)
	v_fmac_f32_e32 v132, v14, v9
	s_wait_dscnt 0x0
	v_dual_add_f32 v131, v131, v137 :: v_dual_mul_f32 v136, v128, v127
	v_fma_f32 v3, v13, v9, -v3
	s_delay_alu instid0(VALU_DEP_2) | instskip(NEXT) | instid1(VALU_DEP_1)
	v_add_f32_e32 v131, v131, v138
	v_dual_fmac_f32 v136, v129, v126 :: v_dual_add_f32 v1, v131, v1
	s_delay_alu instid0(VALU_DEP_1) | instskip(SKIP_1) | instid1(VALU_DEP_1)
	v_add_f32_e32 v1, v1, v2
	v_add_f32_e32 v2, v4, v130
	;; [unrolled: 1-line block ×3, first 2 shown]
	s_wait_loadcnt 0x0
	v_mul_f32_e32 v138, v124, v20
	v_mul_f32_e32 v133, v15, v12
	;; [unrolled: 1-line block ×4, first 2 shown]
	s_delay_alu instid0(VALU_DEP_4) | instskip(NEXT) | instid1(VALU_DEP_4)
	v_fmac_f32_e32 v138, v125, v19
	v_fmac_f32_e32 v133, v16, v11
	s_delay_alu instid0(VALU_DEP_4) | instskip(NEXT) | instid1(VALU_DEP_4)
	v_fmac_f32_e32 v137, v123, v17
	v_fma_f32 v4, v122, v17, -v4
	s_delay_alu instid0(VALU_DEP_3) | instskip(NEXT) | instid1(VALU_DEP_1)
	v_dual_add_f32 v2, v2, v133 :: v_dual_mul_f32 v5, v16, v12
	v_add_f32_e32 v2, v2, v137
	s_delay_alu instid0(VALU_DEP_2) | instskip(NEXT) | instid1(VALU_DEP_2)
	v_fma_f32 v5, v15, v11, -v5
	v_add_f32_e32 v2, v2, v138
	s_delay_alu instid0(VALU_DEP_1) | instskip(NEXT) | instid1(VALU_DEP_1)
	v_dual_add_f32 v2, v2, v136 :: v_dual_add_f32 v1, v1, v3
	v_dual_mul_f32 v3, v125, v20 :: v_dual_sub_f32 v2, v135, v2
	s_delay_alu instid0(VALU_DEP_2) | instskip(SKIP_1) | instid1(VALU_DEP_3)
	v_add_f32_e32 v1, v1, v5
	v_mul_f32_e32 v5, v129, v127
	v_fma_f32 v3, v124, v19, -v3
	s_delay_alu instid0(VALU_DEP_3) | instskip(NEXT) | instid1(VALU_DEP_3)
	v_add_f32_e32 v1, v1, v4
	v_fma_f32 v4, v128, v126, -v5
	s_delay_alu instid0(VALU_DEP_2) | instskip(NEXT) | instid1(VALU_DEP_1)
	v_add_f32_e32 v1, v1, v3
	v_add_f32_e32 v1, v1, v4
	s_delay_alu instid0(VALU_DEP_1)
	v_sub_f32_e32 v1, v134, v1
	scratch_store_b64 off, v[1:2], off offset:72
	v_cmpx_lt_u32_e32 8, v0
	s_cbranch_execz .LBB48_291
; %bb.290:
	scratch_load_b64 v[1:2], off, off offset:64
	v_mov_b32_e32 v22, v21
	scratch_store_b64 off, v[21:22], off offset:64
	s_wait_loadcnt 0x0
	ds_store_b64 v23, v[1:2]
.LBB48_291:
	s_wait_alu 0xfffe
	s_or_b32 exec_lo, exec_lo, s0
	s_wait_storecnt_dscnt 0x0
	s_barrier_signal -1
	s_barrier_wait -1
	global_inv scope:SCOPE_SE
	s_clause 0x4
	scratch_load_b128 v[5:8], off, off offset:72
	scratch_load_b128 v[1:4], off, off offset:88
	scratch_load_b128 v[9:12], off, off offset:104
	scratch_load_b128 v[13:16], off, off offset:120
	scratch_load_b128 v[17:20], off, off offset:136
	ds_load_2addr_b64 v[122:125], v21 offset0:59 offset1:60
	ds_load_2addr_b64 v[126:129], v21 offset0:61 offset1:62
	;; [unrolled: 1-line block ×3, first 2 shown]
	scratch_load_b64 v[134:135], off, off offset:64
	s_mov_b32 s0, exec_lo
	s_wait_loadcnt_dscnt 0x502
	v_dual_mul_f32 v22, v123, v6 :: v_dual_mul_f32 v137, v124, v8
	v_mul_f32_e32 v136, v122, v6
	v_mul_f32_e32 v6, v125, v8
	s_wait_loadcnt_dscnt 0x300
	v_mul_f32_e32 v138, v132, v12
	v_fma_f32 v22, v122, v5, -v22
	v_dual_fmac_f32 v137, v125, v7 :: v_dual_fmac_f32 v136, v123, v5
	v_mul_f32_e32 v125, v130, v10
	v_mul_f32_e32 v123, v126, v2
	v_fma_f32 v122, v124, v7, -v6
	ds_load_2addr_b64 v[5:8], v21 offset0:65 offset1:66
	v_mul_f32_e32 v124, v128, v4
	v_dual_mul_f32 v4, v129, v4 :: v_dual_fmac_f32 v125, v131, v9
	v_mul_f32_e32 v10, v131, v10
	v_mul_f32_e32 v12, v133, v12
	;; [unrolled: 1-line block ×3, first 2 shown]
	v_dual_fmac_f32 v123, v127, v1 :: v_dual_fmac_f32 v124, v129, v3
	v_fma_f32 v127, v128, v3, -v4
	v_fma_f32 v128, v130, v9, -v10
	v_fmac_f32_e32 v138, v133, v11
	v_fma_f32 v129, v132, v11, -v12
	ds_load_2addr_b64 v[9:12], v21 offset0:67 offset1:68
	s_wait_loadcnt_dscnt 0x201
	v_dual_mul_f32 v131, v7, v16 :: v_dual_mul_f32 v130, v5, v14
	s_delay_alu instid0(VALU_DEP_1)
	v_dual_mul_f32 v14, v6, v14 :: v_dual_fmac_f32 v131, v8, v15
	v_fma_f32 v126, v126, v1, -v2
	scratch_load_b128 v[1:4], off, off offset:152
	v_mul_f32_e32 v16, v8, v16
	v_fmac_f32_e32 v130, v6, v13
	v_fma_f32 v13, v5, v13, -v14
	s_delay_alu instid0(VALU_DEP_3)
	v_fma_f32 v14, v7, v15, -v16
	s_wait_loadcnt_dscnt 0x200
	v_mul_f32_e32 v15, v9, v18
	v_mul_f32_e32 v16, v10, v18
	;; [unrolled: 1-line block ×4, first 2 shown]
	ds_load_2addr_b64 v[5:8], v21 offset0:69 offset1:70
	v_fmac_f32_e32 v15, v10, v17
	v_fma_f32 v16, v9, v17, -v16
	v_fmac_f32_e32 v18, v12, v19
	v_fma_f32 v17, v11, v19, -v20
	scratch_load_b128 v[9:12], off, off offset:168
	s_wait_loadcnt_dscnt 0x100
	v_mul_f32_e32 v19, v5, v2
	v_mul_f32_e32 v2, v6, v2
	;; [unrolled: 1-line block ×3, first 2 shown]
	s_delay_alu instid0(VALU_DEP_3) | instskip(NEXT) | instid1(VALU_DEP_3)
	v_dual_mul_f32 v4, v8, v4 :: v_dual_fmac_f32 v19, v6, v1
	v_fma_f32 v132, v5, v1, -v2
	s_delay_alu instid0(VALU_DEP_3) | instskip(NEXT) | instid1(VALU_DEP_3)
	v_fmac_f32_e32 v20, v8, v3
	v_fma_f32 v133, v7, v3, -v4
	ds_load_2addr_b64 v[1:4], v21 offset0:71 offset1:72
	ds_load_2addr_b64 v[5:8], v21 offset0:73 offset1:74
	s_wait_loadcnt_dscnt 0x1
	v_mul_f32_e32 v139, v1, v10
	v_mul_f32_e32 v10, v2, v10
	s_delay_alu instid0(VALU_DEP_2) | instskip(NEXT) | instid1(VALU_DEP_2)
	v_dual_mul_f32 v140, v3, v12 :: v_dual_fmac_f32 v139, v2, v9
	v_fma_f32 v141, v1, v9, -v10
	v_mul_f32_e32 v1, v4, v12
	s_delay_alu instid0(VALU_DEP_3) | instskip(NEXT) | instid1(VALU_DEP_2)
	v_fmac_f32_e32 v140, v4, v11
	v_fma_f32 v142, v3, v11, -v1
	s_clause 0x1
	scratch_load_b128 v[1:4], off, off offset:184
	scratch_load_b128 v[9:12], off, off offset:200
	s_wait_loadcnt_dscnt 0x100
	v_mul_f32_e32 v143, v5, v2
	v_dual_mul_f32 v2, v6, v2 :: v_dual_mul_f32 v145, v7, v4
	s_delay_alu instid0(VALU_DEP_2) | instskip(NEXT) | instid1(VALU_DEP_2)
	v_fmac_f32_e32 v143, v6, v1
	v_fma_f32 v144, v5, v1, -v2
	v_mul_f32_e32 v1, v8, v4
	s_delay_alu instid0(VALU_DEP_4) | instskip(NEXT) | instid1(VALU_DEP_2)
	v_fmac_f32_e32 v145, v8, v3
	v_fma_f32 v146, v7, v3, -v1
	ds_load_2addr_b64 v[1:4], v21 offset0:75 offset1:76
	ds_load_2addr_b64 v[5:8], v21 offset0:77 offset1:78
	s_wait_loadcnt_dscnt 0x1
	v_mul_f32_e32 v147, v1, v10
	v_mul_f32_e32 v149, v3, v12
	s_delay_alu instid0(VALU_DEP_2) | instskip(NEXT) | instid1(VALU_DEP_2)
	v_fmac_f32_e32 v147, v2, v9
	v_dual_mul_f32 v2, v2, v10 :: v_dual_fmac_f32 v149, v4, v11
	s_delay_alu instid0(VALU_DEP_1) | instskip(SKIP_1) | instid1(VALU_DEP_1)
	v_fma_f32 v148, v1, v9, -v2
	v_mul_f32_e32 v1, v4, v12
	v_fma_f32 v150, v3, v11, -v1
	s_clause 0x1
	scratch_load_b128 v[1:4], off, off offset:216
	scratch_load_b128 v[9:12], off, off offset:232
	s_wait_loadcnt_dscnt 0x100
	v_mul_f32_e32 v151, v5, v2
	v_dual_mul_f32 v2, v6, v2 :: v_dual_mul_f32 v153, v7, v4
	s_delay_alu instid0(VALU_DEP_2) | instskip(NEXT) | instid1(VALU_DEP_2)
	v_fmac_f32_e32 v151, v6, v1
	v_fma_f32 v152, v5, v1, -v2
	v_mul_f32_e32 v1, v8, v4
	s_delay_alu instid0(VALU_DEP_4) | instskip(NEXT) | instid1(VALU_DEP_2)
	v_fmac_f32_e32 v153, v8, v3
	v_fma_f32 v154, v7, v3, -v1
	ds_load_2addr_b64 v[1:4], v21 offset0:79 offset1:80
	ds_load_2addr_b64 v[5:8], v21 offset0:81 offset1:82
	s_wait_loadcnt_dscnt 0x1
	v_mul_f32_e32 v155, v1, v10
	v_mul_f32_e32 v157, v3, v12
	s_delay_alu instid0(VALU_DEP_2) | instskip(NEXT) | instid1(VALU_DEP_2)
	v_fmac_f32_e32 v155, v2, v9
	v_dual_mul_f32 v2, v2, v10 :: v_dual_fmac_f32 v157, v4, v11
	s_delay_alu instid0(VALU_DEP_1) | instskip(SKIP_1) | instid1(VALU_DEP_1)
	v_fma_f32 v156, v1, v9, -v2
	v_mul_f32_e32 v1, v4, v12
	;; [unrolled: 25-line block ×4, first 2 shown]
	v_fma_f32 v174, v3, v11, -v1
	s_clause 0x1
	scratch_load_b128 v[1:4], off, off offset:312
	scratch_load_b128 v[9:12], off, off offset:328
	s_wait_loadcnt_dscnt 0x100
	v_mul_f32_e32 v175, v5, v2
	v_mul_f32_e32 v2, v6, v2
	s_delay_alu instid0(VALU_DEP_1) | instskip(SKIP_1) | instid1(VALU_DEP_1)
	v_fma_f32 v176, v5, v1, -v2
	v_add_f32_e32 v2, 0, v136
	v_add_f32_e32 v2, v2, v137
	s_delay_alu instid0(VALU_DEP_1) | instskip(NEXT) | instid1(VALU_DEP_1)
	v_add_f32_e32 v2, v2, v123
	v_add_f32_e32 v2, v2, v124
	s_delay_alu instid0(VALU_DEP_1) | instskip(NEXT) | instid1(VALU_DEP_1)
	;; [unrolled: 3-line block ×6, first 2 shown]
	v_add_f32_e32 v2, v2, v139
	v_add_f32_e32 v2, v2, v140
	v_fmac_f32_e32 v175, v6, v1
	s_delay_alu instid0(VALU_DEP_2) | instskip(NEXT) | instid1(VALU_DEP_1)
	v_dual_add_f32 v2, v2, v143 :: v_dual_mul_f32 v177, v7, v4
	v_add_f32_e32 v2, v2, v145
	s_delay_alu instid0(VALU_DEP_1) | instskip(NEXT) | instid1(VALU_DEP_1)
	v_add_f32_e32 v5, v2, v147
	v_add_f32_e32 v5, v5, v149
	s_delay_alu instid0(VALU_DEP_1) | instskip(SKIP_1) | instid1(VALU_DEP_1)
	v_add_f32_e32 v5, v5, v151
	v_mul_f32_e32 v1, v8, v4
	v_fma_f32 v178, v7, v3, -v1
	v_add_f32_e32 v1, 0, v22
	s_delay_alu instid0(VALU_DEP_1) | instskip(NEXT) | instid1(VALU_DEP_1)
	v_add_f32_e32 v1, v1, v122
	v_add_f32_e32 v1, v1, v126
	s_delay_alu instid0(VALU_DEP_1) | instskip(NEXT) | instid1(VALU_DEP_1)
	v_add_f32_e32 v1, v1, v127
	;; [unrolled: 3-line block ×3, first 2 shown]
	v_add_f32_e32 v1, v1, v13
	s_delay_alu instid0(VALU_DEP_1) | instskip(SKIP_1) | instid1(VALU_DEP_2)
	v_add_f32_e32 v1, v1, v14
	v_add_f32_e32 v14, v5, v153
	;; [unrolled: 1-line block ×3, first 2 shown]
	s_delay_alu instid0(VALU_DEP_1) | instskip(NEXT) | instid1(VALU_DEP_1)
	v_add_f32_e32 v1, v1, v17
	v_add_f32_e32 v1, v1, v132
	s_delay_alu instid0(VALU_DEP_1) | instskip(NEXT) | instid1(VALU_DEP_1)
	v_add_f32_e32 v1, v1, v133
	v_add_f32_e32 v1, v1, v141
	;; [unrolled: 3-line block ×4, first 2 shown]
	s_delay_alu instid0(VALU_DEP_1) | instskip(SKIP_3) | instid1(VALU_DEP_2)
	v_dual_add_f32 v6, v1, v150 :: v_dual_fmac_f32 v177, v8, v3
	ds_load_2addr_b64 v[1:4], v21 offset0:91 offset1:92
	v_add_f32_e32 v14, v14, v155
	v_add_f32_e32 v6, v6, v152
	;; [unrolled: 1-line block ×3, first 2 shown]
	s_delay_alu instid0(VALU_DEP_2) | instskip(SKIP_2) | instid1(VALU_DEP_1)
	v_add_f32_e32 v13, v6, v154
	ds_load_2addr_b64 v[5:8], v21 offset0:93 offset1:94
	v_add_f32_e32 v13, v13, v156
	v_add_f32_e32 v13, v13, v158
	s_wait_loadcnt_dscnt 0x1
	v_mul_f32_e32 v22, v1, v10
	v_mul_f32_e32 v126, v3, v12
	;; [unrolled: 1-line block ×4, first 2 shown]
	s_delay_alu instid0(VALU_DEP_4) | instskip(NEXT) | instid1(VALU_DEP_4)
	v_dual_add_f32 v13, v13, v160 :: v_dual_fmac_f32 v22, v2, v9
	v_fmac_f32_e32 v126, v4, v11
	s_delay_alu instid0(VALU_DEP_4) | instskip(NEXT) | instid1(VALU_DEP_4)
	v_fma_f32 v127, v1, v9, -v10
	v_fma_f32 v128, v3, v11, -v12
	s_clause 0x1
	scratch_load_b128 v[1:4], off, off offset:344
	scratch_load_b128 v[9:12], off, off offset:360
	v_dual_add_f32 v17, v14, v159 :: v_dual_add_f32 v18, v13, v162
	scratch_load_b128 v[13:16], off, off offset:376
	v_dual_add_f32 v17, v17, v161 :: v_dual_add_f32 v18, v18, v164
	s_delay_alu instid0(VALU_DEP_1) | instskip(NEXT) | instid1(VALU_DEP_1)
	v_dual_add_f32 v17, v17, v163 :: v_dual_add_f32 v18, v18, v166
	v_dual_add_f32 v17, v17, v165 :: v_dual_add_f32 v122, v18, v168
	s_delay_alu instid0(VALU_DEP_1) | instskip(NEXT) | instid1(VALU_DEP_2)
	v_add_f32_e32 v123, v17, v167
	v_add_f32_e32 v129, v122, v170
	ds_load_2addr_b64 v[17:20], v21 offset0:95 offset1:96
	v_add_f32_e32 v130, v123, v169
	ds_load_2addr_b64 v[122:125], v21 offset0:97 offset1:98
	v_add_f32_e32 v21, v129, v172
	v_add_f32_e32 v129, v130, v171
	s_delay_alu instid0(VALU_DEP_2) | instskip(NEXT) | instid1(VALU_DEP_2)
	v_add_f32_e32 v21, v21, v174
	v_add_f32_e32 v129, v129, v173
	s_delay_alu instid0(VALU_DEP_2) | instskip(NEXT) | instid1(VALU_DEP_2)
	;; [unrolled: 3-line block ×3, first 2 shown]
	v_add_f32_e32 v21, v21, v178
	v_add_f32_e32 v129, v129, v177
	s_delay_alu instid0(VALU_DEP_2) | instskip(SKIP_1) | instid1(VALU_DEP_2)
	v_add_f32_e32 v21, v21, v127
	s_wait_loadcnt_dscnt 0x202
	v_dual_add_f32 v22, v129, v22 :: v_dual_mul_f32 v131, v7, v4
	v_mul_f32_e32 v130, v5, v2
	v_mul_f32_e32 v2, v6, v2
	;; [unrolled: 1-line block ×3, first 2 shown]
	s_wait_loadcnt_dscnt 0x101
	v_dual_mul_f32 v132, v17, v10 :: v_dual_fmac_f32 v131, v8, v3
	v_fmac_f32_e32 v130, v6, v1
	v_fma_f32 v2, v5, v1, -v2
	v_add_f32_e32 v1, v21, v128
	v_add_f32_e32 v5, v22, v126
	v_mul_f32_e32 v6, v18, v10
	v_fma_f32 v3, v7, v3, -v4
	v_mul_f32_e32 v133, v19, v12
	v_add_f32_e32 v1, v1, v2
	v_add_f32_e32 v2, v5, v130
	v_mul_f32_e32 v4, v20, v12
	v_fmac_f32_e32 v132, v18, v9
	v_fma_f32 v5, v17, v9, -v6
	v_add_f32_e32 v1, v1, v3
	v_add_f32_e32 v2, v2, v131
	s_wait_loadcnt_dscnt 0x0
	v_mul_f32_e32 v136, v122, v14
	v_mul_f32_e32 v3, v123, v14
	v_fmac_f32_e32 v133, v20, v11
	v_fma_f32 v4, v19, v11, -v4
	v_dual_add_f32 v1, v1, v5 :: v_dual_add_f32 v2, v2, v132
	v_mul_f32_e32 v127, v124, v16
	v_dual_mul_f32 v5, v125, v16 :: v_dual_fmac_f32 v136, v123, v13
	v_fma_f32 v3, v122, v13, -v3
	s_delay_alu instid0(VALU_DEP_4) | instskip(NEXT) | instid1(VALU_DEP_4)
	v_dual_add_f32 v1, v1, v4 :: v_dual_add_f32 v2, v2, v133
	v_fmac_f32_e32 v127, v125, v15
	s_delay_alu instid0(VALU_DEP_4) | instskip(NEXT) | instid1(VALU_DEP_3)
	v_fma_f32 v4, v124, v15, -v5
	v_dual_add_f32 v1, v1, v3 :: v_dual_add_f32 v2, v2, v136
	s_delay_alu instid0(VALU_DEP_1) | instskip(NEXT) | instid1(VALU_DEP_1)
	v_dual_add_f32 v1, v1, v4 :: v_dual_add_f32 v2, v2, v127
	v_dual_sub_f32 v1, v134, v1 :: v_dual_sub_f32 v2, v135, v2
	scratch_store_b64 off, v[1:2], off offset:64
	v_cmpx_lt_u32_e32 7, v0
	s_cbranch_execz .LBB48_293
; %bb.292:
	scratch_load_b64 v[1:2], off, off offset:56
	v_mov_b32_e32 v3, 0
	s_delay_alu instid0(VALU_DEP_1)
	v_mov_b32_e32 v4, v3
	scratch_store_b64 off, v[3:4], off offset:56
	s_wait_loadcnt 0x0
	ds_store_b64 v23, v[1:2]
.LBB48_293:
	s_wait_alu 0xfffe
	s_or_b32 exec_lo, exec_lo, s0
	s_wait_storecnt_dscnt 0x0
	s_barrier_signal -1
	s_barrier_wait -1
	global_inv scope:SCOPE_SE
	s_clause 0x4
	scratch_load_b128 v[5:8], off, off offset:64
	scratch_load_b128 v[1:4], off, off offset:80
	;; [unrolled: 1-line block ×5, first 2 shown]
	v_mov_b32_e32 v21, 0
	ds_load_b128 v[122:125], v21 offset:464
	ds_load_b128 v[126:129], v21 offset:480
	;; [unrolled: 1-line block ×3, first 2 shown]
	scratch_load_b64 v[134:135], off, off offset:56
	s_mov_b32 s0, exec_lo
	s_wait_loadcnt_dscnt 0x502
	v_mul_f32_e32 v22, v123, v6
	v_dual_mul_f32 v136, v122, v6 :: v_dual_mul_f32 v137, v124, v8
	v_mul_f32_e32 v6, v125, v8
	s_delay_alu instid0(VALU_DEP_3) | instskip(NEXT) | instid1(VALU_DEP_3)
	v_fma_f32 v22, v122, v5, -v22
	v_dual_fmac_f32 v136, v123, v5 :: v_dual_fmac_f32 v137, v125, v7
	s_wait_loadcnt_dscnt 0x401
	v_mul_f32_e32 v123, v126, v2
	v_fma_f32 v122, v124, v7, -v6
	ds_load_b128 v[5:8], v21 offset:512
	s_wait_loadcnt_dscnt 0x301
	v_dual_mul_f32 v124, v128, v4 :: v_dual_mul_f32 v125, v130, v10
	v_dual_mul_f32 v4, v129, v4 :: v_dual_fmac_f32 v123, v127, v1
	v_mul_f32_e32 v10, v131, v10
	s_delay_alu instid0(VALU_DEP_3)
	v_dual_mul_f32 v138, v132, v12 :: v_dual_fmac_f32 v125, v131, v9
	v_mul_f32_e32 v12, v133, v12
	v_mul_f32_e32 v2, v127, v2
	v_fmac_f32_e32 v124, v129, v3
	v_fma_f32 v127, v128, v3, -v4
	v_fma_f32 v128, v130, v9, -v10
	v_fmac_f32_e32 v138, v133, v11
	v_fma_f32 v129, v132, v11, -v12
	ds_load_b128 v[9:12], v21 offset:528
	s_wait_loadcnt_dscnt 0x201
	v_dual_mul_f32 v131, v7, v16 :: v_dual_mul_f32 v130, v5, v14
	v_mul_f32_e32 v14, v6, v14
	v_mul_f32_e32 v16, v8, v16
	s_delay_alu instid0(VALU_DEP_3)
	v_fmac_f32_e32 v131, v8, v15
	v_fma_f32 v126, v126, v1, -v2
	scratch_load_b128 v[1:4], off, off offset:144
	v_fmac_f32_e32 v130, v6, v13
	v_fma_f32 v13, v5, v13, -v14
	v_fma_f32 v14, v7, v15, -v16
	ds_load_b128 v[5:8], v21 offset:544
	s_wait_loadcnt_dscnt 0x201
	v_mul_f32_e32 v15, v9, v18
	v_mul_f32_e32 v16, v10, v18
	;; [unrolled: 1-line block ×3, first 2 shown]
	s_delay_alu instid0(VALU_DEP_3) | instskip(NEXT) | instid1(VALU_DEP_3)
	v_dual_mul_f32 v20, v12, v20 :: v_dual_fmac_f32 v15, v10, v17
	v_fma_f32 v16, v9, v17, -v16
	s_delay_alu instid0(VALU_DEP_3) | instskip(NEXT) | instid1(VALU_DEP_3)
	v_fmac_f32_e32 v18, v12, v19
	v_fma_f32 v17, v11, v19, -v20
	scratch_load_b128 v[9:12], off, off offset:160
	s_wait_loadcnt_dscnt 0x100
	v_mul_f32_e32 v19, v5, v2
	v_mul_f32_e32 v2, v6, v2
	;; [unrolled: 1-line block ×3, first 2 shown]
	s_delay_alu instid0(VALU_DEP_3) | instskip(NEXT) | instid1(VALU_DEP_3)
	v_dual_mul_f32 v4, v8, v4 :: v_dual_fmac_f32 v19, v6, v1
	v_fma_f32 v132, v5, v1, -v2
	s_delay_alu instid0(VALU_DEP_3) | instskip(NEXT) | instid1(VALU_DEP_3)
	v_fmac_f32_e32 v20, v8, v3
	v_fma_f32 v133, v7, v3, -v4
	ds_load_b128 v[1:4], v21 offset:560
	ds_load_b128 v[5:8], v21 offset:576
	s_wait_loadcnt_dscnt 0x1
	v_mul_f32_e32 v139, v1, v10
	v_mul_f32_e32 v10, v2, v10
	s_delay_alu instid0(VALU_DEP_2) | instskip(NEXT) | instid1(VALU_DEP_2)
	v_dual_mul_f32 v140, v3, v12 :: v_dual_fmac_f32 v139, v2, v9
	v_fma_f32 v141, v1, v9, -v10
	v_mul_f32_e32 v1, v4, v12
	s_delay_alu instid0(VALU_DEP_3) | instskip(NEXT) | instid1(VALU_DEP_2)
	v_fmac_f32_e32 v140, v4, v11
	v_fma_f32 v142, v3, v11, -v1
	s_clause 0x1
	scratch_load_b128 v[1:4], off, off offset:176
	scratch_load_b128 v[9:12], off, off offset:192
	s_wait_loadcnt_dscnt 0x100
	v_mul_f32_e32 v143, v5, v2
	v_dual_mul_f32 v2, v6, v2 :: v_dual_mul_f32 v145, v7, v4
	s_delay_alu instid0(VALU_DEP_2) | instskip(NEXT) | instid1(VALU_DEP_2)
	v_fmac_f32_e32 v143, v6, v1
	v_fma_f32 v144, v5, v1, -v2
	v_mul_f32_e32 v1, v8, v4
	s_delay_alu instid0(VALU_DEP_4) | instskip(NEXT) | instid1(VALU_DEP_2)
	v_fmac_f32_e32 v145, v8, v3
	v_fma_f32 v146, v7, v3, -v1
	ds_load_b128 v[1:4], v21 offset:592
	ds_load_b128 v[5:8], v21 offset:608
	s_wait_loadcnt_dscnt 0x1
	v_mul_f32_e32 v147, v1, v10
	v_mul_f32_e32 v149, v3, v12
	s_delay_alu instid0(VALU_DEP_2) | instskip(NEXT) | instid1(VALU_DEP_2)
	v_fmac_f32_e32 v147, v2, v9
	v_dual_mul_f32 v2, v2, v10 :: v_dual_fmac_f32 v149, v4, v11
	s_delay_alu instid0(VALU_DEP_1) | instskip(SKIP_1) | instid1(VALU_DEP_1)
	v_fma_f32 v148, v1, v9, -v2
	v_mul_f32_e32 v1, v4, v12
	v_fma_f32 v150, v3, v11, -v1
	s_clause 0x1
	scratch_load_b128 v[1:4], off, off offset:208
	scratch_load_b128 v[9:12], off, off offset:224
	s_wait_loadcnt_dscnt 0x100
	v_mul_f32_e32 v151, v5, v2
	v_dual_mul_f32 v153, v7, v4 :: v_dual_mul_f32 v2, v6, v2
	s_delay_alu instid0(VALU_DEP_2) | instskip(NEXT) | instid1(VALU_DEP_2)
	v_fmac_f32_e32 v151, v6, v1
	v_fmac_f32_e32 v153, v8, v3
	s_delay_alu instid0(VALU_DEP_3) | instskip(SKIP_1) | instid1(VALU_DEP_1)
	v_fma_f32 v152, v5, v1, -v2
	v_mul_f32_e32 v1, v8, v4
	v_fma_f32 v154, v7, v3, -v1
	ds_load_b128 v[1:4], v21 offset:624
	ds_load_b128 v[5:8], v21 offset:640
	s_wait_loadcnt_dscnt 0x1
	v_mul_f32_e32 v155, v1, v10
	v_mul_f32_e32 v157, v3, v12
	s_delay_alu instid0(VALU_DEP_2) | instskip(NEXT) | instid1(VALU_DEP_2)
	v_fmac_f32_e32 v155, v2, v9
	v_dual_mul_f32 v2, v2, v10 :: v_dual_fmac_f32 v157, v4, v11
	s_delay_alu instid0(VALU_DEP_1) | instskip(SKIP_1) | instid1(VALU_DEP_1)
	v_fma_f32 v156, v1, v9, -v2
	v_mul_f32_e32 v1, v4, v12
	v_fma_f32 v158, v3, v11, -v1
	s_clause 0x1
	scratch_load_b128 v[1:4], off, off offset:240
	scratch_load_b128 v[9:12], off, off offset:256
	s_wait_loadcnt_dscnt 0x100
	v_mul_f32_e32 v159, v5, v2
	v_dual_mul_f32 v2, v6, v2 :: v_dual_mul_f32 v161, v7, v4
	s_delay_alu instid0(VALU_DEP_2) | instskip(NEXT) | instid1(VALU_DEP_2)
	v_fmac_f32_e32 v159, v6, v1
	v_fma_f32 v160, v5, v1, -v2
	v_mul_f32_e32 v1, v8, v4
	s_delay_alu instid0(VALU_DEP_4) | instskip(NEXT) | instid1(VALU_DEP_2)
	v_fmac_f32_e32 v161, v8, v3
	v_fma_f32 v162, v7, v3, -v1
	ds_load_b128 v[1:4], v21 offset:656
	ds_load_b128 v[5:8], v21 offset:672
	s_wait_loadcnt_dscnt 0x1
	v_mul_f32_e32 v163, v1, v10
	v_mul_f32_e32 v165, v3, v12
	s_delay_alu instid0(VALU_DEP_2) | instskip(NEXT) | instid1(VALU_DEP_2)
	v_fmac_f32_e32 v163, v2, v9
	v_dual_mul_f32 v2, v2, v10 :: v_dual_fmac_f32 v165, v4, v11
	s_delay_alu instid0(VALU_DEP_1) | instskip(SKIP_1) | instid1(VALU_DEP_1)
	v_fma_f32 v164, v1, v9, -v2
	v_mul_f32_e32 v1, v4, v12
	v_fma_f32 v166, v3, v11, -v1
	s_clause 0x1
	scratch_load_b128 v[1:4], off, off offset:272
	scratch_load_b128 v[9:12], off, off offset:288
	s_wait_loadcnt_dscnt 0x100
	v_mul_f32_e32 v167, v5, v2
	v_dual_mul_f32 v2, v6, v2 :: v_dual_mul_f32 v169, v7, v4
	s_delay_alu instid0(VALU_DEP_2) | instskip(NEXT) | instid1(VALU_DEP_2)
	v_fmac_f32_e32 v167, v6, v1
	v_fma_f32 v168, v5, v1, -v2
	v_mul_f32_e32 v1, v8, v4
	s_delay_alu instid0(VALU_DEP_4) | instskip(NEXT) | instid1(VALU_DEP_2)
	v_fmac_f32_e32 v169, v8, v3
	v_fma_f32 v170, v7, v3, -v1
	ds_load_b128 v[1:4], v21 offset:688
	ds_load_b128 v[5:8], v21 offset:704
	s_wait_loadcnt_dscnt 0x1
	v_mul_f32_e32 v171, v1, v10
	v_mul_f32_e32 v173, v3, v12
	s_delay_alu instid0(VALU_DEP_2) | instskip(NEXT) | instid1(VALU_DEP_2)
	v_fmac_f32_e32 v171, v2, v9
	v_dual_mul_f32 v2, v2, v10 :: v_dual_fmac_f32 v173, v4, v11
	s_delay_alu instid0(VALU_DEP_1) | instskip(SKIP_1) | instid1(VALU_DEP_1)
	v_fma_f32 v172, v1, v9, -v2
	v_mul_f32_e32 v1, v4, v12
	v_fma_f32 v174, v3, v11, -v1
	s_clause 0x1
	scratch_load_b128 v[1:4], off, off offset:304
	scratch_load_b128 v[9:12], off, off offset:320
	s_wait_loadcnt_dscnt 0x100
	v_mul_f32_e32 v175, v5, v2
	v_mul_f32_e32 v2, v6, v2
	s_delay_alu instid0(VALU_DEP_1) | instskip(SKIP_1) | instid1(VALU_DEP_1)
	v_fma_f32 v176, v5, v1, -v2
	v_add_f32_e32 v2, 0, v136
	v_add_f32_e32 v2, v2, v137
	s_delay_alu instid0(VALU_DEP_1) | instskip(NEXT) | instid1(VALU_DEP_1)
	v_add_f32_e32 v2, v2, v123
	v_add_f32_e32 v2, v2, v124
	s_delay_alu instid0(VALU_DEP_1) | instskip(NEXT) | instid1(VALU_DEP_1)
	;; [unrolled: 3-line block ×7, first 2 shown]
	v_add_f32_e32 v2, v2, v143
	v_add_f32_e32 v2, v2, v145
	v_fmac_f32_e32 v175, v6, v1
	v_mul_f32_e32 v1, v8, v4
	s_delay_alu instid0(VALU_DEP_3) | instskip(NEXT) | instid1(VALU_DEP_2)
	v_add_f32_e32 v5, v2, v147
	v_fma_f32 v178, v7, v3, -v1
	v_add_f32_e32 v1, 0, v22
	s_delay_alu instid0(VALU_DEP_3) | instskip(NEXT) | instid1(VALU_DEP_2)
	v_add_f32_e32 v5, v5, v149
	v_add_f32_e32 v1, v1, v122
	s_delay_alu instid0(VALU_DEP_2) | instskip(SKIP_1) | instid1(VALU_DEP_3)
	v_add_f32_e32 v5, v5, v151
	v_mul_f32_e32 v177, v7, v4
	v_add_f32_e32 v1, v1, v126
	s_delay_alu instid0(VALU_DEP_1) | instskip(SKIP_2) | instid1(VALU_DEP_1)
	v_add_f32_e32 v1, v1, v127
	scratch_load_b64 v[126:127], off, off offset:384
	v_add_f32_e32 v1, v1, v128
	v_add_f32_e32 v1, v1, v129
	s_delay_alu instid0(VALU_DEP_1) | instskip(NEXT) | instid1(VALU_DEP_1)
	v_add_f32_e32 v1, v1, v13
	v_add_f32_e32 v1, v1, v14
	;; [unrolled: 1-line block ×3, first 2 shown]
	s_delay_alu instid0(VALU_DEP_2) | instskip(NEXT) | instid1(VALU_DEP_1)
	v_add_f32_e32 v1, v1, v16
	v_add_f32_e32 v1, v1, v17
	s_delay_alu instid0(VALU_DEP_1) | instskip(NEXT) | instid1(VALU_DEP_1)
	v_add_f32_e32 v1, v1, v132
	v_add_f32_e32 v1, v1, v133
	s_delay_alu instid0(VALU_DEP_1) | instskip(NEXT) | instid1(VALU_DEP_1)
	;; [unrolled: 3-line block ×4, first 2 shown]
	v_add_f32_e32 v1, v1, v148
	v_dual_add_f32 v6, v1, v150 :: v_dual_fmac_f32 v177, v8, v3
	ds_load_b128 v[1:4], v21 offset:720
	v_add_f32_e32 v14, v14, v155
	v_add_f32_e32 v6, v6, v152
	s_delay_alu instid0(VALU_DEP_2) | instskip(NEXT) | instid1(VALU_DEP_2)
	v_add_f32_e32 v14, v14, v157
	v_add_f32_e32 v13, v6, v154
	ds_load_b128 v[5:8], v21 offset:736
	s_wait_loadcnt_dscnt 0x101
	v_mul_f32_e32 v22, v1, v10
	v_mul_f32_e32 v10, v2, v10
	;; [unrolled: 1-line block ×3, first 2 shown]
	v_dual_mul_f32 v12, v4, v12 :: v_dual_add_f32 v17, v14, v159
	s_delay_alu instid0(VALU_DEP_4) | instskip(NEXT) | instid1(VALU_DEP_4)
	v_fmac_f32_e32 v22, v2, v9
	v_fma_f32 v131, v1, v9, -v10
	s_delay_alu instid0(VALU_DEP_4) | instskip(NEXT) | instid1(VALU_DEP_4)
	v_fmac_f32_e32 v130, v4, v11
	v_fma_f32 v132, v3, v11, -v12
	s_clause 0x1
	scratch_load_b128 v[1:4], off, off offset:336
	scratch_load_b128 v[9:12], off, off offset:352
	v_add_f32_e32 v17, v17, v161
	s_delay_alu instid0(VALU_DEP_1) | instskip(NEXT) | instid1(VALU_DEP_1)
	v_add_f32_e32 v17, v17, v163
	v_add_f32_e32 v17, v17, v165
	s_delay_alu instid0(VALU_DEP_1) | instskip(NEXT) | instid1(VALU_DEP_1)
	v_add_f32_e32 v17, v17, v167
	v_add_f32_e32 v122, v17, v169
	s_delay_alu instid0(VALU_DEP_1)
	v_add_f32_e32 v129, v122, v171
	ds_load_b128 v[122:125], v21 offset:768
	v_add_f32_e32 v136, v129, v173
	s_wait_loadcnt_dscnt 0x101
	v_dual_mul_f32 v137, v5, v2 :: v_dual_mul_f32 v138, v7, v4
	v_dual_add_f32 v13, v13, v156 :: v_dual_mul_f32 v2, v6, v2
	s_delay_alu instid0(VALU_DEP_2) | instskip(NEXT) | instid1(VALU_DEP_2)
	v_dual_mul_f32 v4, v8, v4 :: v_dual_fmac_f32 v137, v6, v1
	v_dual_fmac_f32 v138, v8, v3 :: v_dual_add_f32 v13, v13, v158
	s_delay_alu instid0(VALU_DEP_3) | instskip(NEXT) | instid1(VALU_DEP_3)
	v_fma_f32 v2, v5, v1, -v2
	v_fma_f32 v1, v7, v3, -v4
	s_delay_alu instid0(VALU_DEP_3) | instskip(NEXT) | instid1(VALU_DEP_1)
	v_add_f32_e32 v13, v13, v160
	v_add_f32_e32 v18, v13, v162
	scratch_load_b128 v[13:16], off, off offset:368
	v_add_f32_e32 v136, v136, v175
	v_add_f32_e32 v18, v18, v164
	s_delay_alu instid0(VALU_DEP_2) | instskip(NEXT) | instid1(VALU_DEP_2)
	v_add_f32_e32 v136, v136, v177
	v_add_f32_e32 v18, v18, v166
	s_delay_alu instid0(VALU_DEP_2) | instskip(NEXT) | instid1(VALU_DEP_2)
	;; [unrolled: 3-line block ×3, first 2 shown]
	v_add_f32_e32 v22, v22, v130
	v_add_f32_e32 v18, v18, v170
	s_delay_alu instid0(VALU_DEP_1)
	v_add_f32_e32 v128, v18, v172
	ds_load_b128 v[17:20], v21 offset:752
	v_add_f32_e32 v133, v128, v174
	ds_load_b64 v[128:129], v21 offset:784
	s_wait_loadcnt_dscnt 0x101
	v_dual_mul_f32 v3, v18, v10 :: v_dual_mul_f32 v136, v19, v12
	v_mul_f32_e32 v5, v20, v12
	s_delay_alu instid0(VALU_DEP_2) | instskip(NEXT) | instid1(VALU_DEP_3)
	v_fma_f32 v3, v17, v9, -v3
	v_fmac_f32_e32 v136, v20, v11
	s_delay_alu instid0(VALU_DEP_3) | instskip(SKIP_2) | instid1(VALU_DEP_1)
	v_fma_f32 v5, v19, v11, -v5
	s_wait_dscnt 0x0
	v_mul_f32_e32 v130, v128, v127
	v_fmac_f32_e32 v130, v129, v126
	v_add_f32_e32 v4, v22, v137
	s_wait_loadcnt 0x0
	v_mul_f32_e32 v139, v122, v14
	s_delay_alu instid0(VALU_DEP_1) | instskip(SKIP_1) | instid1(VALU_DEP_1)
	v_fmac_f32_e32 v139, v123, v13
	v_add_f32_e32 v133, v133, v176
	v_add_f32_e32 v133, v133, v178
	s_delay_alu instid0(VALU_DEP_1) | instskip(SKIP_1) | instid1(VALU_DEP_2)
	v_add_f32_e32 v131, v133, v131
	v_mul_f32_e32 v133, v17, v10
	v_add_f32_e32 v131, v131, v132
	s_delay_alu instid0(VALU_DEP_2) | instskip(NEXT) | instid1(VALU_DEP_2)
	v_dual_fmac_f32 v133, v18, v9 :: v_dual_mul_f32 v132, v124, v16
	v_add_f32_e32 v2, v131, v2
	s_delay_alu instid0(VALU_DEP_1) | instskip(SKIP_1) | instid1(VALU_DEP_2)
	v_dual_fmac_f32 v132, v125, v15 :: v_dual_add_f32 v1, v2, v1
	v_add_f32_e32 v2, v4, v138
	v_dual_mul_f32 v4, v123, v14 :: v_dual_add_f32 v1, v1, v3
	s_delay_alu instid0(VALU_DEP_2) | instskip(NEXT) | instid1(VALU_DEP_2)
	v_dual_add_f32 v2, v2, v133 :: v_dual_mul_f32 v3, v125, v16
	v_fma_f32 v4, v122, v13, -v4
	s_delay_alu instid0(VALU_DEP_2) | instskip(SKIP_1) | instid1(VALU_DEP_4)
	v_dual_add_f32 v1, v1, v5 :: v_dual_add_f32 v2, v2, v136
	v_mul_f32_e32 v5, v129, v127
	v_fma_f32 v3, v124, v15, -v3
	s_delay_alu instid0(VALU_DEP_3) | instskip(NEXT) | instid1(VALU_DEP_3)
	v_dual_add_f32 v1, v1, v4 :: v_dual_add_f32 v2, v2, v139
	v_fma_f32 v4, v128, v126, -v5
	s_delay_alu instid0(VALU_DEP_2) | instskip(NEXT) | instid1(VALU_DEP_1)
	v_dual_add_f32 v1, v1, v3 :: v_dual_add_f32 v2, v2, v132
	v_dual_add_f32 v1, v1, v4 :: v_dual_add_f32 v2, v2, v130
	s_delay_alu instid0(VALU_DEP_1)
	v_dual_sub_f32 v1, v134, v1 :: v_dual_sub_f32 v2, v135, v2
	scratch_store_b64 off, v[1:2], off offset:56
	v_cmpx_lt_u32_e32 6, v0
	s_cbranch_execz .LBB48_295
; %bb.294:
	scratch_load_b64 v[1:2], off, off offset:48
	v_mov_b32_e32 v22, v21
	scratch_store_b64 off, v[21:22], off offset:48
	s_wait_loadcnt 0x0
	ds_store_b64 v23, v[1:2]
.LBB48_295:
	s_wait_alu 0xfffe
	s_or_b32 exec_lo, exec_lo, s0
	s_wait_storecnt_dscnt 0x0
	s_barrier_signal -1
	s_barrier_wait -1
	global_inv scope:SCOPE_SE
	s_clause 0x4
	scratch_load_b128 v[5:8], off, off offset:56
	scratch_load_b128 v[1:4], off, off offset:72
	;; [unrolled: 1-line block ×5, first 2 shown]
	ds_load_2addr_b64 v[122:125], v21 offset0:57 offset1:58
	ds_load_2addr_b64 v[126:129], v21 offset0:59 offset1:60
	;; [unrolled: 1-line block ×3, first 2 shown]
	scratch_load_b64 v[134:135], off, off offset:48
	s_mov_b32 s0, exec_lo
	s_wait_loadcnt_dscnt 0x502
	v_dual_mul_f32 v22, v123, v6 :: v_dual_mul_f32 v137, v124, v8
	v_mul_f32_e32 v136, v122, v6
	v_mul_f32_e32 v6, v125, v8
	s_wait_loadcnt_dscnt 0x300
	v_mul_f32_e32 v138, v132, v12
	v_fma_f32 v22, v122, v5, -v22
	v_dual_fmac_f32 v137, v125, v7 :: v_dual_fmac_f32 v136, v123, v5
	v_mul_f32_e32 v125, v130, v10
	v_mul_f32_e32 v123, v126, v2
	v_fma_f32 v122, v124, v7, -v6
	ds_load_2addr_b64 v[5:8], v21 offset0:63 offset1:64
	v_mul_f32_e32 v124, v128, v4
	v_dual_mul_f32 v4, v129, v4 :: v_dual_fmac_f32 v125, v131, v9
	v_mul_f32_e32 v10, v131, v10
	v_mul_f32_e32 v12, v133, v12
	;; [unrolled: 1-line block ×3, first 2 shown]
	v_dual_fmac_f32 v123, v127, v1 :: v_dual_fmac_f32 v124, v129, v3
	v_fma_f32 v127, v128, v3, -v4
	v_fma_f32 v128, v130, v9, -v10
	v_fmac_f32_e32 v138, v133, v11
	v_fma_f32 v129, v132, v11, -v12
	ds_load_2addr_b64 v[9:12], v21 offset0:65 offset1:66
	s_wait_loadcnt_dscnt 0x201
	v_dual_mul_f32 v131, v7, v16 :: v_dual_mul_f32 v130, v5, v14
	s_delay_alu instid0(VALU_DEP_1)
	v_dual_mul_f32 v14, v6, v14 :: v_dual_fmac_f32 v131, v8, v15
	v_fma_f32 v126, v126, v1, -v2
	scratch_load_b128 v[1:4], off, off offset:136
	v_mul_f32_e32 v16, v8, v16
	v_fmac_f32_e32 v130, v6, v13
	v_fma_f32 v13, v5, v13, -v14
	s_delay_alu instid0(VALU_DEP_3)
	v_fma_f32 v14, v7, v15, -v16
	s_wait_loadcnt_dscnt 0x200
	v_mul_f32_e32 v15, v9, v18
	v_mul_f32_e32 v16, v10, v18
	;; [unrolled: 1-line block ×4, first 2 shown]
	ds_load_2addr_b64 v[5:8], v21 offset0:67 offset1:68
	v_fmac_f32_e32 v15, v10, v17
	v_fma_f32 v16, v9, v17, -v16
	v_fmac_f32_e32 v18, v12, v19
	v_fma_f32 v17, v11, v19, -v20
	scratch_load_b128 v[9:12], off, off offset:152
	s_wait_loadcnt_dscnt 0x100
	v_mul_f32_e32 v19, v5, v2
	v_mul_f32_e32 v2, v6, v2
	;; [unrolled: 1-line block ×3, first 2 shown]
	s_delay_alu instid0(VALU_DEP_3) | instskip(NEXT) | instid1(VALU_DEP_3)
	v_dual_mul_f32 v4, v8, v4 :: v_dual_fmac_f32 v19, v6, v1
	v_fma_f32 v132, v5, v1, -v2
	s_delay_alu instid0(VALU_DEP_3) | instskip(NEXT) | instid1(VALU_DEP_3)
	v_fmac_f32_e32 v20, v8, v3
	v_fma_f32 v133, v7, v3, -v4
	ds_load_2addr_b64 v[1:4], v21 offset0:69 offset1:70
	ds_load_2addr_b64 v[5:8], v21 offset0:71 offset1:72
	s_wait_loadcnt_dscnt 0x1
	v_mul_f32_e32 v139, v1, v10
	v_mul_f32_e32 v10, v2, v10
	s_delay_alu instid0(VALU_DEP_2) | instskip(NEXT) | instid1(VALU_DEP_2)
	v_dual_mul_f32 v140, v3, v12 :: v_dual_fmac_f32 v139, v2, v9
	v_fma_f32 v141, v1, v9, -v10
	v_mul_f32_e32 v1, v4, v12
	s_delay_alu instid0(VALU_DEP_3) | instskip(NEXT) | instid1(VALU_DEP_2)
	v_fmac_f32_e32 v140, v4, v11
	v_fma_f32 v142, v3, v11, -v1
	s_clause 0x1
	scratch_load_b128 v[1:4], off, off offset:168
	scratch_load_b128 v[9:12], off, off offset:184
	s_wait_loadcnt_dscnt 0x100
	v_mul_f32_e32 v143, v5, v2
	v_dual_mul_f32 v2, v6, v2 :: v_dual_mul_f32 v145, v7, v4
	s_delay_alu instid0(VALU_DEP_2) | instskip(NEXT) | instid1(VALU_DEP_2)
	v_fmac_f32_e32 v143, v6, v1
	v_fma_f32 v144, v5, v1, -v2
	v_mul_f32_e32 v1, v8, v4
	s_delay_alu instid0(VALU_DEP_4) | instskip(NEXT) | instid1(VALU_DEP_2)
	v_fmac_f32_e32 v145, v8, v3
	v_fma_f32 v146, v7, v3, -v1
	ds_load_2addr_b64 v[1:4], v21 offset0:73 offset1:74
	ds_load_2addr_b64 v[5:8], v21 offset0:75 offset1:76
	s_wait_loadcnt_dscnt 0x1
	v_mul_f32_e32 v147, v1, v10
	v_mul_f32_e32 v149, v3, v12
	s_delay_alu instid0(VALU_DEP_2) | instskip(NEXT) | instid1(VALU_DEP_2)
	v_fmac_f32_e32 v147, v2, v9
	v_dual_mul_f32 v2, v2, v10 :: v_dual_fmac_f32 v149, v4, v11
	s_delay_alu instid0(VALU_DEP_1) | instskip(SKIP_1) | instid1(VALU_DEP_1)
	v_fma_f32 v148, v1, v9, -v2
	v_mul_f32_e32 v1, v4, v12
	v_fma_f32 v150, v3, v11, -v1
	s_clause 0x1
	scratch_load_b128 v[1:4], off, off offset:200
	scratch_load_b128 v[9:12], off, off offset:216
	s_wait_loadcnt_dscnt 0x100
	v_mul_f32_e32 v151, v5, v2
	v_dual_mul_f32 v2, v6, v2 :: v_dual_mul_f32 v153, v7, v4
	s_delay_alu instid0(VALU_DEP_2) | instskip(NEXT) | instid1(VALU_DEP_2)
	v_fmac_f32_e32 v151, v6, v1
	v_fma_f32 v152, v5, v1, -v2
	v_mul_f32_e32 v1, v8, v4
	s_delay_alu instid0(VALU_DEP_4) | instskip(NEXT) | instid1(VALU_DEP_2)
	v_fmac_f32_e32 v153, v8, v3
	v_fma_f32 v154, v7, v3, -v1
	ds_load_2addr_b64 v[1:4], v21 offset0:77 offset1:78
	ds_load_2addr_b64 v[5:8], v21 offset0:79 offset1:80
	s_wait_loadcnt_dscnt 0x1
	v_mul_f32_e32 v155, v1, v10
	v_mul_f32_e32 v157, v3, v12
	s_delay_alu instid0(VALU_DEP_2) | instskip(NEXT) | instid1(VALU_DEP_2)
	v_fmac_f32_e32 v155, v2, v9
	v_dual_mul_f32 v2, v2, v10 :: v_dual_fmac_f32 v157, v4, v11
	s_delay_alu instid0(VALU_DEP_1) | instskip(SKIP_1) | instid1(VALU_DEP_1)
	v_fma_f32 v156, v1, v9, -v2
	v_mul_f32_e32 v1, v4, v12
	;; [unrolled: 25-line block ×4, first 2 shown]
	v_fma_f32 v174, v3, v11, -v1
	s_clause 0x1
	scratch_load_b128 v[1:4], off, off offset:296
	scratch_load_b128 v[9:12], off, off offset:312
	s_wait_loadcnt_dscnt 0x100
	v_mul_f32_e32 v175, v5, v2
	v_mul_f32_e32 v2, v6, v2
	s_delay_alu instid0(VALU_DEP_1) | instskip(SKIP_1) | instid1(VALU_DEP_1)
	v_fma_f32 v176, v5, v1, -v2
	v_add_f32_e32 v2, 0, v136
	v_add_f32_e32 v2, v2, v137
	s_delay_alu instid0(VALU_DEP_1) | instskip(NEXT) | instid1(VALU_DEP_1)
	v_add_f32_e32 v2, v2, v123
	v_add_f32_e32 v2, v2, v124
	s_delay_alu instid0(VALU_DEP_1) | instskip(NEXT) | instid1(VALU_DEP_1)
	;; [unrolled: 3-line block ×6, first 2 shown]
	v_add_f32_e32 v2, v2, v139
	v_add_f32_e32 v2, v2, v140
	v_fmac_f32_e32 v175, v6, v1
	s_delay_alu instid0(VALU_DEP_2) | instskip(NEXT) | instid1(VALU_DEP_1)
	v_dual_add_f32 v2, v2, v143 :: v_dual_mul_f32 v177, v7, v4
	v_dual_add_f32 v2, v2, v145 :: v_dual_mul_f32 v1, v8, v4
	s_delay_alu instid0(VALU_DEP_1) | instskip(NEXT) | instid1(VALU_DEP_2)
	v_add_f32_e32 v2, v2, v147
	v_fma_f32 v178, v7, v3, -v1
	v_add_f32_e32 v1, 0, v22
	s_delay_alu instid0(VALU_DEP_3) | instskip(NEXT) | instid1(VALU_DEP_2)
	v_add_f32_e32 v5, v2, v149
	v_add_f32_e32 v1, v1, v122
	s_delay_alu instid0(VALU_DEP_1) | instskip(NEXT) | instid1(VALU_DEP_1)
	v_add_f32_e32 v1, v1, v126
	v_add_f32_e32 v1, v1, v127
	s_delay_alu instid0(VALU_DEP_1) | instskip(NEXT) | instid1(VALU_DEP_1)
	v_add_f32_e32 v1, v1, v128
	v_add_f32_e32 v1, v1, v129
	s_delay_alu instid0(VALU_DEP_1) | instskip(SKIP_1) | instid1(VALU_DEP_2)
	v_add_f32_e32 v1, v1, v13
	v_add_f32_e32 v13, v5, v151
	;; [unrolled: 1-line block ×3, first 2 shown]
	s_delay_alu instid0(VALU_DEP_2) | instskip(NEXT) | instid1(VALU_DEP_2)
	v_add_f32_e32 v13, v13, v153
	v_add_f32_e32 v1, v1, v16
	s_delay_alu instid0(VALU_DEP_1) | instskip(NEXT) | instid1(VALU_DEP_1)
	v_add_f32_e32 v1, v1, v17
	v_add_f32_e32 v1, v1, v132
	s_delay_alu instid0(VALU_DEP_1) | instskip(NEXT) | instid1(VALU_DEP_1)
	;; [unrolled: 3-line block ×5, first 2 shown]
	v_add_f32_e32 v1, v1, v150
	v_dual_add_f32 v6, v1, v152 :: v_dual_fmac_f32 v177, v8, v3
	ds_load_2addr_b64 v[1:4], v21 offset0:89 offset1:90
	v_dual_add_f32 v13, v13, v155 :: v_dual_add_f32 v14, v6, v154
	scratch_load_b128 v[5:8], off, off offset:328
	v_add_f32_e32 v18, v13, v157
	v_add_f32_e32 v14, v14, v156
	s_delay_alu instid0(VALU_DEP_1)
	v_add_f32_e32 v17, v14, v158
	ds_load_2addr_b64 v[13:16], v21 offset0:91 offset1:92
	v_add_f32_e32 v17, v17, v160
	s_wait_loadcnt_dscnt 0x101
	v_mul_f32_e32 v22, v1, v10
	v_mul_f32_e32 v10, v2, v10
	;; [unrolled: 1-line block ×4, first 2 shown]
	v_add_f32_e32 v18, v18, v159
	v_fmac_f32_e32 v22, v2, v9
	v_fma_f32 v127, v1, v9, -v10
	v_fmac_f32_e32 v126, v4, v11
	v_fma_f32 v128, v3, v11, -v12
	scratch_load_b128 v[9:12], off, off offset:360
	v_dual_add_f32 v17, v17, v162 :: v_dual_add_f32 v18, v18, v161
	scratch_load_b128 v[1:4], off, off offset:344
	v_dual_add_f32 v17, v17, v164 :: v_dual_add_f32 v122, v18, v163
	s_delay_alu instid0(VALU_DEP_1) | instskip(SKIP_3) | instid1(VALU_DEP_1)
	v_add_f32_e32 v123, v17, v166
	scratch_load_b128 v[17:20], off, off offset:376
	v_add_f32_e32 v122, v122, v165
	s_wait_loadcnt_dscnt 0x300
	v_dual_add_f32 v122, v122, v167 :: v_dual_mul_f32 v129, v13, v6
	v_mul_f32_e32 v6, v14, v6
	v_mul_f32_e32 v130, v15, v8
	s_delay_alu instid0(VALU_DEP_3) | instskip(NEXT) | instid1(VALU_DEP_3)
	v_dual_mul_f32 v8, v16, v8 :: v_dual_fmac_f32 v129, v14, v5
	v_fma_f32 v131, v13, v5, -v6
	s_delay_alu instid0(VALU_DEP_3) | instskip(NEXT) | instid1(VALU_DEP_3)
	v_fmac_f32_e32 v130, v16, v7
	v_fma_f32 v132, v15, v7, -v8
	ds_load_2addr_b64 v[5:8], v21 offset0:93 offset1:94
	v_add_f32_e32 v123, v123, v168
	v_add_f32_e32 v13, v122, v169
	s_delay_alu instid0(VALU_DEP_2) | instskip(NEXT) | instid1(VALU_DEP_1)
	v_add_f32_e32 v123, v123, v170
	v_dual_add_f32 v122, v123, v172 :: v_dual_add_f32 v123, v13, v171
	ds_load_2addr_b64 v[13:16], v21 offset0:95 offset1:96
	v_dual_add_f32 v133, v122, v174 :: v_dual_add_f32 v136, v123, v173
	ds_load_2addr_b64 v[122:125], v21 offset0:97 offset1:98
	v_add_f32_e32 v21, v133, v176
	s_delay_alu instid0(VALU_DEP_1) | instskip(NEXT) | instid1(VALU_DEP_1)
	v_add_f32_e32 v21, v21, v178
	v_add_f32_e32 v21, v21, v127
	s_wait_loadcnt_dscnt 0x102
	v_mul_f32_e32 v127, v7, v4
	v_mul_f32_e32 v4, v8, v4
	s_wait_dscnt 0x1
	v_mul_f32_e32 v137, v15, v12
	v_add_f32_e32 v21, v21, v128
	v_fmac_f32_e32 v127, v8, v3
	s_wait_loadcnt_dscnt 0x0
	v_mul_f32_e32 v128, v124, v20
	v_fma_f32 v3, v7, v3, -v4
	v_dual_mul_f32 v4, v16, v12 :: v_dual_add_f32 v21, v21, v131
	v_fmac_f32_e32 v137, v16, v11
	s_delay_alu instid0(VALU_DEP_4) | instskip(SKIP_3) | instid1(VALU_DEP_3)
	v_fmac_f32_e32 v128, v125, v19
	v_dual_add_f32 v133, v136, v175 :: v_dual_mul_f32 v136, v5, v2
	v_mul_f32_e32 v2, v6, v2
	v_fma_f32 v4, v15, v11, -v4
	v_add_f32_e32 v133, v133, v177
	s_delay_alu instid0(VALU_DEP_4) | instskip(NEXT) | instid1(VALU_DEP_4)
	v_fmac_f32_e32 v136, v6, v1
	v_fma_f32 v2, v5, v1, -v2
	v_dual_add_f32 v1, v21, v132 :: v_dual_mul_f32 v6, v14, v10
	s_delay_alu instid0(VALU_DEP_4) | instskip(SKIP_1) | instid1(VALU_DEP_3)
	v_add_f32_e32 v22, v133, v22
	v_mul_f32_e32 v133, v13, v10
	v_add_f32_e32 v1, v1, v2
	s_delay_alu instid0(VALU_DEP_3) | instskip(NEXT) | instid1(VALU_DEP_3)
	v_add_f32_e32 v22, v22, v126
	v_fmac_f32_e32 v133, v14, v9
	s_delay_alu instid0(VALU_DEP_3) | instskip(NEXT) | instid1(VALU_DEP_3)
	v_dual_mul_f32 v126, v122, v18 :: v_dual_add_f32 v1, v1, v3
	v_dual_mul_f32 v3, v123, v18 :: v_dual_add_f32 v22, v22, v129
	s_delay_alu instid0(VALU_DEP_2) | instskip(NEXT) | instid1(VALU_DEP_2)
	v_fmac_f32_e32 v126, v123, v17
	v_fma_f32 v3, v122, v17, -v3
	s_delay_alu instid0(VALU_DEP_3) | instskip(NEXT) | instid1(VALU_DEP_1)
	v_add_f32_e32 v5, v22, v130
	v_add_f32_e32 v2, v5, v136
	v_fma_f32 v5, v13, v9, -v6
	s_delay_alu instid0(VALU_DEP_1) | instskip(NEXT) | instid1(VALU_DEP_1)
	v_dual_add_f32 v2, v2, v127 :: v_dual_add_f32 v1, v1, v5
	v_dual_mul_f32 v5, v125, v20 :: v_dual_add_f32 v2, v2, v133
	s_delay_alu instid0(VALU_DEP_2) | instskip(NEXT) | instid1(VALU_DEP_2)
	v_add_f32_e32 v1, v1, v4
	v_fma_f32 v4, v124, v19, -v5
	s_delay_alu instid0(VALU_DEP_2) | instskip(NEXT) | instid1(VALU_DEP_1)
	v_dual_add_f32 v2, v2, v137 :: v_dual_add_f32 v1, v1, v3
	v_dual_add_f32 v2, v2, v126 :: v_dual_add_f32 v1, v1, v4
	s_delay_alu instid0(VALU_DEP_1) | instskip(NEXT) | instid1(VALU_DEP_1)
	v_add_f32_e32 v2, v2, v128
	v_dual_sub_f32 v1, v134, v1 :: v_dual_sub_f32 v2, v135, v2
	scratch_store_b64 off, v[1:2], off offset:48
	v_cmpx_lt_u32_e32 5, v0
	s_cbranch_execz .LBB48_297
; %bb.296:
	scratch_load_b64 v[1:2], off, off offset:40
	v_mov_b32_e32 v3, 0
	s_delay_alu instid0(VALU_DEP_1)
	v_mov_b32_e32 v4, v3
	scratch_store_b64 off, v[3:4], off offset:40
	s_wait_loadcnt 0x0
	ds_store_b64 v23, v[1:2]
.LBB48_297:
	s_wait_alu 0xfffe
	s_or_b32 exec_lo, exec_lo, s0
	s_wait_storecnt_dscnt 0x0
	s_barrier_signal -1
	s_barrier_wait -1
	global_inv scope:SCOPE_SE
	s_clause 0x4
	scratch_load_b128 v[5:8], off, off offset:48
	scratch_load_b128 v[1:4], off, off offset:64
	;; [unrolled: 1-line block ×5, first 2 shown]
	v_mov_b32_e32 v21, 0
	ds_load_b128 v[122:125], v21 offset:448
	ds_load_b128 v[126:129], v21 offset:464
	ds_load_b128 v[130:133], v21 offset:480
	scratch_load_b64 v[134:135], off, off offset:40
	s_mov_b32 s0, exec_lo
	s_wait_loadcnt_dscnt 0x502
	v_mul_f32_e32 v22, v123, v6
	v_dual_mul_f32 v136, v122, v6 :: v_dual_mul_f32 v137, v124, v8
	v_mul_f32_e32 v6, v125, v8
	s_delay_alu instid0(VALU_DEP_3) | instskip(NEXT) | instid1(VALU_DEP_3)
	v_fma_f32 v22, v122, v5, -v22
	v_dual_fmac_f32 v136, v123, v5 :: v_dual_fmac_f32 v137, v125, v7
	s_wait_loadcnt_dscnt 0x401
	v_mul_f32_e32 v123, v126, v2
	v_fma_f32 v122, v124, v7, -v6
	ds_load_b128 v[5:8], v21 offset:496
	s_wait_loadcnt_dscnt 0x301
	v_dual_mul_f32 v124, v128, v4 :: v_dual_mul_f32 v125, v130, v10
	v_dual_mul_f32 v4, v129, v4 :: v_dual_fmac_f32 v123, v127, v1
	v_mul_f32_e32 v10, v131, v10
	s_delay_alu instid0(VALU_DEP_3)
	v_dual_mul_f32 v138, v132, v12 :: v_dual_fmac_f32 v125, v131, v9
	v_mul_f32_e32 v12, v133, v12
	v_mul_f32_e32 v2, v127, v2
	v_fmac_f32_e32 v124, v129, v3
	v_fma_f32 v127, v128, v3, -v4
	v_fma_f32 v128, v130, v9, -v10
	v_fmac_f32_e32 v138, v133, v11
	v_fma_f32 v129, v132, v11, -v12
	ds_load_b128 v[9:12], v21 offset:512
	s_wait_loadcnt_dscnt 0x201
	v_dual_mul_f32 v131, v7, v16 :: v_dual_mul_f32 v130, v5, v14
	v_mul_f32_e32 v14, v6, v14
	v_mul_f32_e32 v16, v8, v16
	s_delay_alu instid0(VALU_DEP_3)
	v_fmac_f32_e32 v131, v8, v15
	v_fma_f32 v126, v126, v1, -v2
	scratch_load_b128 v[1:4], off, off offset:128
	v_fmac_f32_e32 v130, v6, v13
	v_fma_f32 v13, v5, v13, -v14
	v_fma_f32 v14, v7, v15, -v16
	ds_load_b128 v[5:8], v21 offset:528
	s_wait_loadcnt_dscnt 0x201
	v_mul_f32_e32 v15, v9, v18
	v_mul_f32_e32 v16, v10, v18
	;; [unrolled: 1-line block ×3, first 2 shown]
	s_delay_alu instid0(VALU_DEP_3) | instskip(NEXT) | instid1(VALU_DEP_3)
	v_dual_mul_f32 v20, v12, v20 :: v_dual_fmac_f32 v15, v10, v17
	v_fma_f32 v16, v9, v17, -v16
	s_delay_alu instid0(VALU_DEP_3) | instskip(NEXT) | instid1(VALU_DEP_3)
	v_fmac_f32_e32 v18, v12, v19
	v_fma_f32 v17, v11, v19, -v20
	scratch_load_b128 v[9:12], off, off offset:144
	s_wait_loadcnt_dscnt 0x100
	v_mul_f32_e32 v19, v5, v2
	v_mul_f32_e32 v2, v6, v2
	v_mul_f32_e32 v20, v7, v4
	s_delay_alu instid0(VALU_DEP_3) | instskip(NEXT) | instid1(VALU_DEP_3)
	v_dual_mul_f32 v4, v8, v4 :: v_dual_fmac_f32 v19, v6, v1
	v_fma_f32 v132, v5, v1, -v2
	s_delay_alu instid0(VALU_DEP_3) | instskip(NEXT) | instid1(VALU_DEP_3)
	v_fmac_f32_e32 v20, v8, v3
	v_fma_f32 v133, v7, v3, -v4
	ds_load_b128 v[1:4], v21 offset:544
	ds_load_b128 v[5:8], v21 offset:560
	s_wait_loadcnt_dscnt 0x1
	v_mul_f32_e32 v139, v1, v10
	v_mul_f32_e32 v10, v2, v10
	s_delay_alu instid0(VALU_DEP_2) | instskip(NEXT) | instid1(VALU_DEP_2)
	v_dual_mul_f32 v140, v3, v12 :: v_dual_fmac_f32 v139, v2, v9
	v_fma_f32 v141, v1, v9, -v10
	v_mul_f32_e32 v1, v4, v12
	s_delay_alu instid0(VALU_DEP_3) | instskip(NEXT) | instid1(VALU_DEP_2)
	v_fmac_f32_e32 v140, v4, v11
	v_fma_f32 v142, v3, v11, -v1
	s_clause 0x1
	scratch_load_b128 v[1:4], off, off offset:160
	scratch_load_b128 v[9:12], off, off offset:176
	s_wait_loadcnt_dscnt 0x100
	v_mul_f32_e32 v143, v5, v2
	v_dual_mul_f32 v2, v6, v2 :: v_dual_mul_f32 v145, v7, v4
	s_delay_alu instid0(VALU_DEP_2) | instskip(NEXT) | instid1(VALU_DEP_2)
	v_fmac_f32_e32 v143, v6, v1
	v_fma_f32 v144, v5, v1, -v2
	v_mul_f32_e32 v1, v8, v4
	s_delay_alu instid0(VALU_DEP_4) | instskip(NEXT) | instid1(VALU_DEP_2)
	v_fmac_f32_e32 v145, v8, v3
	v_fma_f32 v146, v7, v3, -v1
	ds_load_b128 v[1:4], v21 offset:576
	ds_load_b128 v[5:8], v21 offset:592
	s_wait_loadcnt_dscnt 0x1
	v_mul_f32_e32 v147, v1, v10
	v_mul_f32_e32 v149, v3, v12
	s_delay_alu instid0(VALU_DEP_2) | instskip(NEXT) | instid1(VALU_DEP_2)
	v_fmac_f32_e32 v147, v2, v9
	v_dual_mul_f32 v2, v2, v10 :: v_dual_fmac_f32 v149, v4, v11
	s_delay_alu instid0(VALU_DEP_1) | instskip(SKIP_1) | instid1(VALU_DEP_1)
	v_fma_f32 v148, v1, v9, -v2
	v_mul_f32_e32 v1, v4, v12
	v_fma_f32 v150, v3, v11, -v1
	s_clause 0x1
	scratch_load_b128 v[1:4], off, off offset:192
	scratch_load_b128 v[9:12], off, off offset:208
	s_wait_loadcnt_dscnt 0x100
	v_mul_f32_e32 v151, v5, v2
	v_dual_mul_f32 v153, v7, v4 :: v_dual_mul_f32 v2, v6, v2
	s_delay_alu instid0(VALU_DEP_2) | instskip(NEXT) | instid1(VALU_DEP_2)
	v_fmac_f32_e32 v151, v6, v1
	v_fmac_f32_e32 v153, v8, v3
	s_delay_alu instid0(VALU_DEP_3) | instskip(SKIP_1) | instid1(VALU_DEP_1)
	v_fma_f32 v152, v5, v1, -v2
	v_mul_f32_e32 v1, v8, v4
	v_fma_f32 v154, v7, v3, -v1
	ds_load_b128 v[1:4], v21 offset:608
	ds_load_b128 v[5:8], v21 offset:624
	s_wait_loadcnt_dscnt 0x1
	v_mul_f32_e32 v155, v1, v10
	v_mul_f32_e32 v157, v3, v12
	s_delay_alu instid0(VALU_DEP_2) | instskip(NEXT) | instid1(VALU_DEP_2)
	v_fmac_f32_e32 v155, v2, v9
	v_dual_mul_f32 v2, v2, v10 :: v_dual_fmac_f32 v157, v4, v11
	s_delay_alu instid0(VALU_DEP_1) | instskip(SKIP_1) | instid1(VALU_DEP_1)
	v_fma_f32 v156, v1, v9, -v2
	v_mul_f32_e32 v1, v4, v12
	v_fma_f32 v158, v3, v11, -v1
	s_clause 0x1
	scratch_load_b128 v[1:4], off, off offset:224
	scratch_load_b128 v[9:12], off, off offset:240
	s_wait_loadcnt_dscnt 0x100
	v_mul_f32_e32 v159, v5, v2
	v_dual_mul_f32 v2, v6, v2 :: v_dual_mul_f32 v161, v7, v4
	s_delay_alu instid0(VALU_DEP_2) | instskip(NEXT) | instid1(VALU_DEP_2)
	v_fmac_f32_e32 v159, v6, v1
	v_fma_f32 v160, v5, v1, -v2
	v_mul_f32_e32 v1, v8, v4
	s_delay_alu instid0(VALU_DEP_4) | instskip(NEXT) | instid1(VALU_DEP_2)
	v_fmac_f32_e32 v161, v8, v3
	v_fma_f32 v162, v7, v3, -v1
	ds_load_b128 v[1:4], v21 offset:640
	ds_load_b128 v[5:8], v21 offset:656
	s_wait_loadcnt_dscnt 0x1
	v_mul_f32_e32 v163, v1, v10
	v_mul_f32_e32 v165, v3, v12
	s_delay_alu instid0(VALU_DEP_2) | instskip(NEXT) | instid1(VALU_DEP_2)
	v_fmac_f32_e32 v163, v2, v9
	v_dual_mul_f32 v2, v2, v10 :: v_dual_fmac_f32 v165, v4, v11
	s_delay_alu instid0(VALU_DEP_1) | instskip(SKIP_1) | instid1(VALU_DEP_1)
	v_fma_f32 v164, v1, v9, -v2
	v_mul_f32_e32 v1, v4, v12
	v_fma_f32 v166, v3, v11, -v1
	s_clause 0x1
	scratch_load_b128 v[1:4], off, off offset:256
	scratch_load_b128 v[9:12], off, off offset:272
	s_wait_loadcnt_dscnt 0x100
	v_mul_f32_e32 v167, v5, v2
	v_dual_mul_f32 v2, v6, v2 :: v_dual_mul_f32 v169, v7, v4
	s_delay_alu instid0(VALU_DEP_2) | instskip(NEXT) | instid1(VALU_DEP_2)
	v_fmac_f32_e32 v167, v6, v1
	v_fma_f32 v168, v5, v1, -v2
	v_mul_f32_e32 v1, v8, v4
	s_delay_alu instid0(VALU_DEP_4) | instskip(NEXT) | instid1(VALU_DEP_2)
	v_fmac_f32_e32 v169, v8, v3
	v_fma_f32 v170, v7, v3, -v1
	ds_load_b128 v[1:4], v21 offset:672
	ds_load_b128 v[5:8], v21 offset:688
	s_wait_loadcnt_dscnt 0x1
	v_mul_f32_e32 v171, v1, v10
	v_mul_f32_e32 v173, v3, v12
	s_delay_alu instid0(VALU_DEP_2) | instskip(NEXT) | instid1(VALU_DEP_2)
	v_fmac_f32_e32 v171, v2, v9
	v_dual_mul_f32 v2, v2, v10 :: v_dual_fmac_f32 v173, v4, v11
	s_delay_alu instid0(VALU_DEP_1) | instskip(SKIP_1) | instid1(VALU_DEP_1)
	v_fma_f32 v172, v1, v9, -v2
	v_mul_f32_e32 v1, v4, v12
	v_fma_f32 v174, v3, v11, -v1
	s_clause 0x1
	scratch_load_b128 v[1:4], off, off offset:288
	scratch_load_b128 v[9:12], off, off offset:304
	s_wait_loadcnt_dscnt 0x100
	v_mul_f32_e32 v175, v5, v2
	v_mul_f32_e32 v2, v6, v2
	s_delay_alu instid0(VALU_DEP_1) | instskip(SKIP_1) | instid1(VALU_DEP_1)
	v_fma_f32 v176, v5, v1, -v2
	v_add_f32_e32 v2, 0, v136
	v_add_f32_e32 v2, v2, v137
	s_delay_alu instid0(VALU_DEP_1) | instskip(NEXT) | instid1(VALU_DEP_1)
	v_add_f32_e32 v2, v2, v123
	v_add_f32_e32 v2, v2, v124
	s_delay_alu instid0(VALU_DEP_1) | instskip(NEXT) | instid1(VALU_DEP_1)
	v_add_f32_e32 v2, v2, v125
	v_add_f32_e32 v2, v2, v138
	s_delay_alu instid0(VALU_DEP_1) | instskip(NEXT) | instid1(VALU_DEP_1)
	v_add_f32_e32 v2, v2, v130
	v_add_f32_e32 v2, v2, v131
	s_delay_alu instid0(VALU_DEP_1) | instskip(NEXT) | instid1(VALU_DEP_1)
	v_add_f32_e32 v2, v2, v15
	v_add_f32_e32 v2, v2, v18
	s_delay_alu instid0(VALU_DEP_1) | instskip(NEXT) | instid1(VALU_DEP_1)
	v_add_f32_e32 v2, v2, v19
	v_add_f32_e32 v2, v2, v20
	s_delay_alu instid0(VALU_DEP_1) | instskip(NEXT) | instid1(VALU_DEP_1)
	v_add_f32_e32 v2, v2, v139
	v_add_f32_e32 v2, v2, v140
	s_delay_alu instid0(VALU_DEP_1) | instskip(NEXT) | instid1(VALU_DEP_1)
	v_add_f32_e32 v2, v2, v143
	v_add_f32_e32 v2, v2, v145
	v_fmac_f32_e32 v175, v6, v1
	v_mul_f32_e32 v1, v8, v4
	s_delay_alu instid0(VALU_DEP_3) | instskip(NEXT) | instid1(VALU_DEP_2)
	v_dual_mul_f32 v177, v7, v4 :: v_dual_add_f32 v2, v2, v147
	v_fma_f32 v178, v7, v3, -v1
	v_add_f32_e32 v1, 0, v22
	s_delay_alu instid0(VALU_DEP_3) | instskip(NEXT) | instid1(VALU_DEP_2)
	v_add_f32_e32 v5, v2, v149
	v_add_f32_e32 v1, v1, v122
	s_delay_alu instid0(VALU_DEP_1) | instskip(NEXT) | instid1(VALU_DEP_1)
	v_add_f32_e32 v1, v1, v126
	v_add_f32_e32 v1, v1, v127
	scratch_load_b64 v[126:127], off, off offset:384
	v_add_f32_e32 v1, v1, v128
	s_delay_alu instid0(VALU_DEP_1) | instskip(NEXT) | instid1(VALU_DEP_1)
	v_add_f32_e32 v1, v1, v129
	v_add_f32_e32 v1, v1, v13
	;; [unrolled: 1-line block ×3, first 2 shown]
	s_delay_alu instid0(VALU_DEP_2) | instskip(NEXT) | instid1(VALU_DEP_2)
	v_add_f32_e32 v1, v1, v14
	v_add_f32_e32 v13, v13, v153
	s_delay_alu instid0(VALU_DEP_2) | instskip(NEXT) | instid1(VALU_DEP_1)
	v_add_f32_e32 v1, v1, v16
	v_add_f32_e32 v1, v1, v17
	s_delay_alu instid0(VALU_DEP_1) | instskip(NEXT) | instid1(VALU_DEP_1)
	v_add_f32_e32 v1, v1, v132
	v_add_f32_e32 v1, v1, v133
	s_delay_alu instid0(VALU_DEP_1) | instskip(NEXT) | instid1(VALU_DEP_1)
	;; [unrolled: 3-line block ×4, first 2 shown]
	v_add_f32_e32 v1, v1, v148
	v_add_f32_e32 v1, v1, v150
	s_delay_alu instid0(VALU_DEP_1)
	v_dual_add_f32 v6, v1, v152 :: v_dual_fmac_f32 v177, v8, v3
	scratch_load_b128 v[1:4], off, off offset:320
	v_dual_add_f32 v13, v13, v155 :: v_dual_add_f32 v14, v6, v154
	ds_load_b128 v[5:8], v21 offset:704
	v_add_f32_e32 v18, v13, v157
	v_add_f32_e32 v14, v14, v156
	s_delay_alu instid0(VALU_DEP_1)
	v_add_f32_e32 v17, v14, v158
	ds_load_b128 v[13:16], v21 offset:720
	s_wait_loadcnt_dscnt 0x201
	v_mul_f32_e32 v22, v5, v10
	v_add_f32_e32 v18, v18, v159
	v_mul_f32_e32 v10, v6, v10
	v_mul_f32_e32 v130, v7, v12
	;; [unrolled: 1-line block ×3, first 2 shown]
	v_fmac_f32_e32 v22, v6, v9
	v_add_f32_e32 v18, v18, v161
	v_fma_f32 v131, v5, v9, -v10
	v_fmac_f32_e32 v130, v8, v11
	v_fma_f32 v132, v7, v11, -v12
	scratch_load_b128 v[9:12], off, off offset:352
	v_add_f32_e32 v122, v18, v163
	scratch_load_b128 v[5:8], off, off offset:336
	v_add_f32_e32 v122, v122, v165
	s_delay_alu instid0(VALU_DEP_1) | instskip(SKIP_1) | instid1(VALU_DEP_1)
	v_add_f32_e32 v122, v122, v167
	s_wait_loadcnt_dscnt 0x200
	v_dual_add_f32 v122, v122, v169 :: v_dual_mul_f32 v133, v13, v2
	v_mul_f32_e32 v2, v14, v2
	v_mul_f32_e32 v136, v15, v4
	s_delay_alu instid0(VALU_DEP_3) | instskip(NEXT) | instid1(VALU_DEP_3)
	v_dual_mul_f32 v4, v16, v4 :: v_dual_fmac_f32 v133, v14, v1
	v_fma_f32 v137, v13, v1, -v2
	v_add_f32_e32 v13, v122, v171
	s_delay_alu instid0(VALU_DEP_4) | instskip(NEXT) | instid1(VALU_DEP_4)
	v_fmac_f32_e32 v136, v16, v3
	v_fma_f32 v138, v15, v3, -v4
	ds_load_b128 v[1:4], v21 offset:736
	v_add_f32_e32 v122, v13, v173
	v_add_f32_e32 v17, v17, v160
	s_delay_alu instid0(VALU_DEP_2) | instskip(NEXT) | instid1(VALU_DEP_1)
	v_add_f32_e32 v129, v122, v175
	v_add_f32_e32 v140, v129, v177
	s_delay_alu instid0(VALU_DEP_1) | instskip(NEXT) | instid1(VALU_DEP_1)
	v_add_f32_e32 v22, v140, v22
	v_add_f32_e32 v22, v22, v130
	s_delay_alu instid0(VALU_DEP_1) | instskip(NEXT) | instid1(VALU_DEP_1)
	v_dual_add_f32 v22, v22, v133 :: v_dual_add_f32 v17, v17, v162
	v_add_f32_e32 v22, v22, v136
	s_delay_alu instid0(VALU_DEP_2) | instskip(NEXT) | instid1(VALU_DEP_1)
	v_add_f32_e32 v17, v17, v164
	v_add_f32_e32 v123, v17, v166
	scratch_load_b128 v[17:20], off, off offset:368
	v_add_f32_e32 v123, v123, v168
	s_delay_alu instid0(VALU_DEP_1) | instskip(NEXT) | instid1(VALU_DEP_1)
	v_add_f32_e32 v123, v123, v170
	v_add_f32_e32 v123, v123, v172
	s_delay_alu instid0(VALU_DEP_1)
	v_add_f32_e32 v14, v123, v174
	ds_load_b128 v[122:125], v21 offset:768
	v_add_f32_e32 v128, v14, v176
	ds_load_b128 v[13:16], v21 offset:752
	s_wait_loadcnt_dscnt 0x102
	v_mul_f32_e32 v130, v3, v8
	v_mul_f32_e32 v8, v4, v8
	s_wait_dscnt 0x0
	s_delay_alu instid0(VALU_DEP_2) | instskip(NEXT) | instid1(VALU_DEP_1)
	v_dual_fmac_f32 v130, v4, v7 :: v_dual_mul_f32 v133, v15, v12
	v_fmac_f32_e32 v133, v16, v11
	v_add_f32_e32 v139, v128, v178
	ds_load_b64 v[128:129], v21 offset:784
	s_wait_dscnt 0x0
	v_mul_f32_e32 v136, v128, v127
	s_delay_alu instid0(VALU_DEP_1) | instskip(NEXT) | instid1(VALU_DEP_1)
	v_dual_add_f32 v131, v139, v131 :: v_dual_fmac_f32 v136, v129, v126
	v_add_f32_e32 v131, v131, v132
	v_mul_f32_e32 v139, v1, v6
	v_mul_f32_e32 v6, v2, v6
	s_delay_alu instid0(VALU_DEP_3) | instskip(NEXT) | instid1(VALU_DEP_3)
	v_dual_mul_f32 v132, v13, v10 :: v_dual_add_f32 v131, v131, v137
	v_fmac_f32_e32 v139, v2, v5
	s_delay_alu instid0(VALU_DEP_3) | instskip(SKIP_2) | instid1(VALU_DEP_4)
	v_fma_f32 v1, v1, v5, -v6
	v_fma_f32 v2, v3, v7, -v8
	v_mul_f32_e32 v3, v14, v10
	v_dual_add_f32 v131, v131, v138 :: v_dual_add_f32 v4, v22, v139
	v_dual_mul_f32 v5, v16, v12 :: v_dual_fmac_f32 v132, v14, v9
	s_delay_alu instid0(VALU_DEP_3) | instskip(NEXT) | instid1(VALU_DEP_3)
	v_fma_f32 v3, v13, v9, -v3
	v_add_f32_e32 v1, v131, v1
	s_delay_alu instid0(VALU_DEP_3) | instskip(NEXT) | instid1(VALU_DEP_2)
	v_fma_f32 v5, v15, v11, -v5
	v_add_f32_e32 v1, v1, v2
	s_delay_alu instid0(VALU_DEP_1) | instskip(NEXT) | instid1(VALU_DEP_1)
	v_dual_add_f32 v2, v4, v130 :: v_dual_add_f32 v1, v1, v3
	v_dual_add_f32 v2, v2, v132 :: v_dual_add_f32 v1, v1, v5
	s_delay_alu instid0(VALU_DEP_1)
	v_dual_add_f32 v2, v2, v133 :: v_dual_mul_f32 v5, v129, v127
	s_wait_loadcnt 0x0
	v_mul_f32_e32 v137, v122, v18
	v_mul_f32_e32 v4, v123, v18
	;; [unrolled: 1-line block ×4, first 2 shown]
	s_delay_alu instid0(VALU_DEP_4) | instskip(NEXT) | instid1(VALU_DEP_4)
	v_fmac_f32_e32 v137, v123, v17
	v_fma_f32 v4, v122, v17, -v4
	s_delay_alu instid0(VALU_DEP_4) | instskip(NEXT) | instid1(VALU_DEP_4)
	v_fmac_f32_e32 v138, v125, v19
	v_fma_f32 v3, v124, v19, -v3
	s_delay_alu instid0(VALU_DEP_3) | instskip(SKIP_1) | instid1(VALU_DEP_2)
	v_dual_add_f32 v2, v2, v137 :: v_dual_add_f32 v1, v1, v4
	v_fma_f32 v4, v128, v126, -v5
	v_dual_add_f32 v2, v2, v138 :: v_dual_add_f32 v1, v1, v3
	s_delay_alu instid0(VALU_DEP_1) | instskip(NEXT) | instid1(VALU_DEP_1)
	v_add_f32_e32 v2, v2, v136
	v_dual_add_f32 v1, v1, v4 :: v_dual_sub_f32 v2, v135, v2
	s_delay_alu instid0(VALU_DEP_1)
	v_sub_f32_e32 v1, v134, v1
	scratch_store_b64 off, v[1:2], off offset:40
	v_cmpx_lt_u32_e32 4, v0
	s_cbranch_execz .LBB48_299
; %bb.298:
	scratch_load_b64 v[1:2], off, off offset:32
	v_mov_b32_e32 v22, v21
	scratch_store_b64 off, v[21:22], off offset:32
	s_wait_loadcnt 0x0
	ds_store_b64 v23, v[1:2]
.LBB48_299:
	s_wait_alu 0xfffe
	s_or_b32 exec_lo, exec_lo, s0
	s_wait_storecnt_dscnt 0x0
	s_barrier_signal -1
	s_barrier_wait -1
	global_inv scope:SCOPE_SE
	s_clause 0x4
	scratch_load_b128 v[5:8], off, off offset:40
	scratch_load_b128 v[1:4], off, off offset:56
	;; [unrolled: 1-line block ×5, first 2 shown]
	ds_load_2addr_b64 v[122:125], v21 offset0:55 offset1:56
	ds_load_2addr_b64 v[126:129], v21 offset0:57 offset1:58
	;; [unrolled: 1-line block ×3, first 2 shown]
	scratch_load_b64 v[134:135], off, off offset:32
	s_mov_b32 s0, exec_lo
	s_wait_loadcnt_dscnt 0x502
	v_dual_mul_f32 v22, v123, v6 :: v_dual_mul_f32 v137, v124, v8
	v_mul_f32_e32 v136, v122, v6
	v_mul_f32_e32 v6, v125, v8
	s_wait_loadcnt_dscnt 0x300
	v_mul_f32_e32 v138, v132, v12
	v_fma_f32 v22, v122, v5, -v22
	v_dual_fmac_f32 v137, v125, v7 :: v_dual_fmac_f32 v136, v123, v5
	v_mul_f32_e32 v125, v130, v10
	v_mul_f32_e32 v123, v126, v2
	v_fma_f32 v122, v124, v7, -v6
	ds_load_2addr_b64 v[5:8], v21 offset0:61 offset1:62
	v_mul_f32_e32 v124, v128, v4
	v_dual_mul_f32 v4, v129, v4 :: v_dual_fmac_f32 v125, v131, v9
	v_mul_f32_e32 v10, v131, v10
	v_mul_f32_e32 v12, v133, v12
	;; [unrolled: 1-line block ×3, first 2 shown]
	v_dual_fmac_f32 v123, v127, v1 :: v_dual_fmac_f32 v124, v129, v3
	v_fma_f32 v127, v128, v3, -v4
	v_fma_f32 v128, v130, v9, -v10
	v_fmac_f32_e32 v138, v133, v11
	v_fma_f32 v129, v132, v11, -v12
	ds_load_2addr_b64 v[9:12], v21 offset0:63 offset1:64
	s_wait_loadcnt_dscnt 0x201
	v_dual_mul_f32 v131, v7, v16 :: v_dual_mul_f32 v130, v5, v14
	s_delay_alu instid0(VALU_DEP_1)
	v_dual_mul_f32 v14, v6, v14 :: v_dual_fmac_f32 v131, v8, v15
	v_fma_f32 v126, v126, v1, -v2
	scratch_load_b128 v[1:4], off, off offset:120
	v_mul_f32_e32 v16, v8, v16
	v_fmac_f32_e32 v130, v6, v13
	v_fma_f32 v13, v5, v13, -v14
	s_delay_alu instid0(VALU_DEP_3)
	v_fma_f32 v14, v7, v15, -v16
	s_wait_loadcnt_dscnt 0x200
	v_mul_f32_e32 v15, v9, v18
	v_mul_f32_e32 v16, v10, v18
	;; [unrolled: 1-line block ×4, first 2 shown]
	ds_load_2addr_b64 v[5:8], v21 offset0:65 offset1:66
	v_fmac_f32_e32 v15, v10, v17
	v_fma_f32 v16, v9, v17, -v16
	v_fmac_f32_e32 v18, v12, v19
	v_fma_f32 v17, v11, v19, -v20
	scratch_load_b128 v[9:12], off, off offset:136
	s_wait_loadcnt_dscnt 0x100
	v_mul_f32_e32 v19, v5, v2
	v_mul_f32_e32 v2, v6, v2
	v_mul_f32_e32 v20, v7, v4
	s_delay_alu instid0(VALU_DEP_3) | instskip(NEXT) | instid1(VALU_DEP_3)
	v_dual_mul_f32 v4, v8, v4 :: v_dual_fmac_f32 v19, v6, v1
	v_fma_f32 v132, v5, v1, -v2
	s_delay_alu instid0(VALU_DEP_3) | instskip(NEXT) | instid1(VALU_DEP_3)
	v_fmac_f32_e32 v20, v8, v3
	v_fma_f32 v133, v7, v3, -v4
	ds_load_2addr_b64 v[1:4], v21 offset0:67 offset1:68
	ds_load_2addr_b64 v[5:8], v21 offset0:69 offset1:70
	s_wait_loadcnt_dscnt 0x1
	v_mul_f32_e32 v139, v1, v10
	v_mul_f32_e32 v10, v2, v10
	s_delay_alu instid0(VALU_DEP_2) | instskip(NEXT) | instid1(VALU_DEP_2)
	v_dual_mul_f32 v140, v3, v12 :: v_dual_fmac_f32 v139, v2, v9
	v_fma_f32 v141, v1, v9, -v10
	v_mul_f32_e32 v1, v4, v12
	s_delay_alu instid0(VALU_DEP_3) | instskip(NEXT) | instid1(VALU_DEP_2)
	v_fmac_f32_e32 v140, v4, v11
	v_fma_f32 v142, v3, v11, -v1
	s_clause 0x1
	scratch_load_b128 v[1:4], off, off offset:152
	scratch_load_b128 v[9:12], off, off offset:168
	s_wait_loadcnt_dscnt 0x100
	v_mul_f32_e32 v143, v5, v2
	v_dual_mul_f32 v2, v6, v2 :: v_dual_mul_f32 v145, v7, v4
	s_delay_alu instid0(VALU_DEP_2) | instskip(NEXT) | instid1(VALU_DEP_2)
	v_fmac_f32_e32 v143, v6, v1
	v_fma_f32 v144, v5, v1, -v2
	v_mul_f32_e32 v1, v8, v4
	s_delay_alu instid0(VALU_DEP_4) | instskip(NEXT) | instid1(VALU_DEP_2)
	v_fmac_f32_e32 v145, v8, v3
	v_fma_f32 v146, v7, v3, -v1
	ds_load_2addr_b64 v[1:4], v21 offset0:71 offset1:72
	ds_load_2addr_b64 v[5:8], v21 offset0:73 offset1:74
	s_wait_loadcnt_dscnt 0x1
	v_mul_f32_e32 v147, v1, v10
	v_mul_f32_e32 v149, v3, v12
	s_delay_alu instid0(VALU_DEP_2) | instskip(NEXT) | instid1(VALU_DEP_2)
	v_fmac_f32_e32 v147, v2, v9
	v_dual_mul_f32 v2, v2, v10 :: v_dual_fmac_f32 v149, v4, v11
	s_delay_alu instid0(VALU_DEP_1) | instskip(SKIP_1) | instid1(VALU_DEP_1)
	v_fma_f32 v148, v1, v9, -v2
	v_mul_f32_e32 v1, v4, v12
	v_fma_f32 v150, v3, v11, -v1
	s_clause 0x1
	scratch_load_b128 v[1:4], off, off offset:184
	scratch_load_b128 v[9:12], off, off offset:200
	s_wait_loadcnt_dscnt 0x100
	v_mul_f32_e32 v151, v5, v2
	v_dual_mul_f32 v2, v6, v2 :: v_dual_mul_f32 v153, v7, v4
	s_delay_alu instid0(VALU_DEP_2) | instskip(NEXT) | instid1(VALU_DEP_2)
	v_fmac_f32_e32 v151, v6, v1
	v_fma_f32 v152, v5, v1, -v2
	v_mul_f32_e32 v1, v8, v4
	s_delay_alu instid0(VALU_DEP_4) | instskip(NEXT) | instid1(VALU_DEP_2)
	v_fmac_f32_e32 v153, v8, v3
	v_fma_f32 v154, v7, v3, -v1
	ds_load_2addr_b64 v[1:4], v21 offset0:75 offset1:76
	ds_load_2addr_b64 v[5:8], v21 offset0:77 offset1:78
	s_wait_loadcnt_dscnt 0x1
	v_mul_f32_e32 v155, v1, v10
	v_mul_f32_e32 v157, v3, v12
	s_delay_alu instid0(VALU_DEP_2) | instskip(NEXT) | instid1(VALU_DEP_2)
	v_fmac_f32_e32 v155, v2, v9
	v_dual_mul_f32 v2, v2, v10 :: v_dual_fmac_f32 v157, v4, v11
	s_delay_alu instid0(VALU_DEP_1) | instskip(SKIP_1) | instid1(VALU_DEP_1)
	v_fma_f32 v156, v1, v9, -v2
	v_mul_f32_e32 v1, v4, v12
	;; [unrolled: 25-line block ×5, first 2 shown]
	v_fma_f32 v182, v3, v11, -v1
	s_clause 0x1
	scratch_load_b128 v[1:4], off, off offset:312
	scratch_load_b128 v[9:12], off, off offset:328
	s_wait_loadcnt_dscnt 0x100
	v_mul_f32_e32 v183, v5, v2
	v_mul_f32_e32 v2, v6, v2
	s_delay_alu instid0(VALU_DEP_2) | instskip(NEXT) | instid1(VALU_DEP_2)
	v_fmac_f32_e32 v183, v6, v1
	v_fma_f32 v184, v5, v1, -v2
	v_add_f32_e32 v2, 0, v136
	s_delay_alu instid0(VALU_DEP_1) | instskip(NEXT) | instid1(VALU_DEP_1)
	v_dual_mul_f32 v1, v8, v4 :: v_dual_add_f32 v2, v2, v137
	v_fma_f32 v186, v7, v3, -v1
	s_delay_alu instid0(VALU_DEP_2) | instskip(NEXT) | instid1(VALU_DEP_1)
	v_dual_add_f32 v1, 0, v22 :: v_dual_add_f32 v2, v2, v123
	v_dual_add_f32 v1, v1, v122 :: v_dual_add_f32 v2, v2, v124
	s_delay_alu instid0(VALU_DEP_1) | instskip(NEXT) | instid1(VALU_DEP_1)
	v_dual_add_f32 v1, v1, v126 :: v_dual_add_f32 v2, v2, v125
	v_dual_add_f32 v1, v1, v127 :: v_dual_add_f32 v2, v2, v138
	s_delay_alu instid0(VALU_DEP_1) | instskip(NEXT) | instid1(VALU_DEP_1)
	v_add_f32_e32 v2, v2, v130
	v_add_f32_e32 v2, v2, v131
	s_delay_alu instid0(VALU_DEP_1) | instskip(NEXT) | instid1(VALU_DEP_1)
	v_add_f32_e32 v2, v2, v15
	v_add_f32_e32 v2, v2, v18
	;; [unrolled: 3-line block ×4, first 2 shown]
	s_delay_alu instid0(VALU_DEP_1) | instskip(NEXT) | instid1(VALU_DEP_1)
	v_dual_add_f32 v1, v1, v128 :: v_dual_add_f32 v2, v2, v143
	v_add_f32_e32 v1, v1, v129
	s_delay_alu instid0(VALU_DEP_2) | instskip(NEXT) | instid1(VALU_DEP_1)
	v_add_f32_e32 v2, v2, v145
	v_dual_add_f32 v1, v1, v13 :: v_dual_add_f32 v2, v2, v147
	s_delay_alu instid0(VALU_DEP_1) | instskip(NEXT) | instid1(VALU_DEP_1)
	v_dual_add_f32 v1, v1, v14 :: v_dual_add_f32 v2, v2, v149
	v_dual_add_f32 v1, v1, v16 :: v_dual_add_f32 v2, v2, v151
	s_delay_alu instid0(VALU_DEP_1) | instskip(NEXT) | instid1(VALU_DEP_1)
	v_add_f32_e32 v1, v1, v17
	v_dual_add_f32 v2, v2, v153 :: v_dual_add_f32 v1, v1, v132
	s_delay_alu instid0(VALU_DEP_1) | instskip(NEXT) | instid1(VALU_DEP_1)
	v_add_f32_e32 v1, v1, v133
	v_add_f32_e32 v1, v1, v141
	s_delay_alu instid0(VALU_DEP_1) | instskip(NEXT) | instid1(VALU_DEP_1)
	v_add_f32_e32 v1, v1, v142
	v_add_f32_e32 v1, v1, v144
	;; [unrolled: 3-line block ×5, first 2 shown]
	s_delay_alu instid0(VALU_DEP_1) | instskip(NEXT) | instid1(VALU_DEP_1)
	v_dual_add_f32 v6, v1, v158 :: v_dual_add_f32 v5, v2, v155
	v_dual_add_f32 v6, v6, v160 :: v_dual_add_f32 v5, v5, v157
	s_delay_alu instid0(VALU_DEP_1) | instskip(NEXT) | instid1(VALU_DEP_2)
	v_add_f32_e32 v13, v6, v162
	v_add_f32_e32 v5, v5, v159
	v_mul_f32_e32 v185, v7, v4
	s_delay_alu instid0(VALU_DEP_3) | instskip(NEXT) | instid1(VALU_DEP_2)
	v_add_f32_e32 v13, v13, v164
	v_dual_add_f32 v14, v5, v161 :: v_dual_fmac_f32 v185, v8, v3
	ds_load_2addr_b64 v[1:4], v21 offset0:91 offset1:92
	ds_load_2addr_b64 v[5:8], v21 offset0:93 offset1:94
	v_add_f32_e32 v13, v13, v166
	s_delay_alu instid0(VALU_DEP_1) | instskip(NEXT) | instid1(VALU_DEP_1)
	v_add_f32_e32 v13, v13, v168
	v_add_f32_e32 v18, v13, v170
	s_delay_alu instid0(VALU_DEP_1)
	v_add_f32_e32 v18, v18, v172
	s_wait_loadcnt_dscnt 0x1
	v_mul_f32_e32 v22, v1, v10
	v_mul_f32_e32 v126, v3, v12
	;; [unrolled: 1-line block ×4, first 2 shown]
	v_add_f32_e32 v14, v14, v163
	v_fmac_f32_e32 v22, v2, v9
	v_fmac_f32_e32 v126, v4, v11
	v_fma_f32 v127, v1, v9, -v10
	v_fma_f32 v128, v3, v11, -v12
	s_clause 0x1
	scratch_load_b128 v[1:4], off, off offset:344
	scratch_load_b128 v[9:12], off, off offset:360
	v_add_f32_e32 v14, v14, v165
	v_add_f32_e32 v18, v18, v174
	s_delay_alu instid0(VALU_DEP_2) | instskip(SKIP_2) | instid1(VALU_DEP_1)
	v_add_f32_e32 v17, v14, v167
	scratch_load_b128 v[13:16], off, off offset:376
	v_dual_add_f32 v122, v18, v176 :: v_dual_add_f32 v17, v17, v169
	v_add_f32_e32 v129, v122, v178
	s_delay_alu instid0(VALU_DEP_2) | instskip(NEXT) | instid1(VALU_DEP_1)
	v_add_f32_e32 v17, v17, v171
	v_add_f32_e32 v17, v17, v173
	s_delay_alu instid0(VALU_DEP_1)
	v_add_f32_e32 v123, v17, v175
	ds_load_2addr_b64 v[17:20], v21 offset0:95 offset1:96
	v_add_f32_e32 v130, v123, v177
	ds_load_2addr_b64 v[122:125], v21 offset0:97 offset1:98
	v_add_f32_e32 v21, v129, v180
	v_add_f32_e32 v129, v130, v179
	s_delay_alu instid0(VALU_DEP_2) | instskip(NEXT) | instid1(VALU_DEP_2)
	v_add_f32_e32 v21, v21, v182
	v_add_f32_e32 v129, v129, v181
	s_delay_alu instid0(VALU_DEP_2) | instskip(NEXT) | instid1(VALU_DEP_1)
	v_add_f32_e32 v21, v21, v184
	v_add_f32_e32 v21, v21, v186
	s_delay_alu instid0(VALU_DEP_1)
	v_add_f32_e32 v21, v21, v127
	s_wait_loadcnt_dscnt 0x202
	v_mul_f32_e32 v130, v5, v2
	s_wait_loadcnt_dscnt 0x101
	v_mul_f32_e32 v132, v17, v10
	v_dual_add_f32 v129, v129, v183 :: v_dual_mul_f32 v2, v6, v2
	v_mul_f32_e32 v131, v7, v4
	v_mul_f32_e32 v4, v8, v4
	v_fmac_f32_e32 v130, v6, v1
	s_delay_alu instid0(VALU_DEP_4) | instskip(SKIP_2) | instid1(VALU_DEP_3)
	v_add_f32_e32 v129, v129, v185
	v_fma_f32 v2, v5, v1, -v2
	v_dual_add_f32 v1, v21, v128 :: v_dual_mul_f32 v6, v18, v10
	v_dual_fmac_f32 v131, v8, v3 :: v_dual_add_f32 v22, v129, v22
	v_fma_f32 v3, v7, v3, -v4
	s_delay_alu instid0(VALU_DEP_3) | instskip(SKIP_1) | instid1(VALU_DEP_4)
	v_add_f32_e32 v1, v1, v2
	v_mul_f32_e32 v133, v19, v12
	v_dual_mul_f32 v4, v20, v12 :: v_dual_add_f32 v5, v22, v126
	s_delay_alu instid0(VALU_DEP_3)
	v_dual_fmac_f32 v132, v18, v9 :: v_dual_add_f32 v1, v1, v3
	s_wait_loadcnt_dscnt 0x0
	v_mul_f32_e32 v136, v122, v14
	v_mul_f32_e32 v3, v123, v14
	v_add_f32_e32 v2, v5, v130
	v_fma_f32 v5, v17, v9, -v6
	v_fmac_f32_e32 v133, v20, v11
	v_fma_f32 v4, v19, v11, -v4
	s_delay_alu instid0(VALU_DEP_4) | instskip(NEXT) | instid1(VALU_DEP_4)
	v_dual_mul_f32 v127, v124, v16 :: v_dual_add_f32 v2, v2, v131
	v_add_f32_e32 v1, v1, v5
	v_dual_mul_f32 v5, v125, v16 :: v_dual_fmac_f32 v136, v123, v13
	v_fma_f32 v3, v122, v13, -v3
	s_delay_alu instid0(VALU_DEP_4) | instskip(NEXT) | instid1(VALU_DEP_4)
	v_add_f32_e32 v2, v2, v132
	v_add_f32_e32 v1, v1, v4
	v_fmac_f32_e32 v127, v125, v15
	v_fma_f32 v4, v124, v15, -v5
	s_delay_alu instid0(VALU_DEP_3) | instskip(NEXT) | instid1(VALU_DEP_1)
	v_dual_add_f32 v2, v2, v133 :: v_dual_add_f32 v1, v1, v3
	v_add_f32_e32 v2, v2, v136
	s_delay_alu instid0(VALU_DEP_1) | instskip(NEXT) | instid1(VALU_DEP_1)
	v_dual_add_f32 v1, v1, v4 :: v_dual_add_f32 v2, v2, v127
	v_dual_sub_f32 v1, v134, v1 :: v_dual_sub_f32 v2, v135, v2
	scratch_store_b64 off, v[1:2], off offset:32
	v_cmpx_lt_u32_e32 3, v0
	s_cbranch_execz .LBB48_301
; %bb.300:
	scratch_load_b64 v[1:2], off, off offset:24
	v_mov_b32_e32 v3, 0
	s_delay_alu instid0(VALU_DEP_1)
	v_mov_b32_e32 v4, v3
	scratch_store_b64 off, v[3:4], off offset:24
	s_wait_loadcnt 0x0
	ds_store_b64 v23, v[1:2]
.LBB48_301:
	s_wait_alu 0xfffe
	s_or_b32 exec_lo, exec_lo, s0
	s_wait_storecnt_dscnt 0x0
	s_barrier_signal -1
	s_barrier_wait -1
	global_inv scope:SCOPE_SE
	s_clause 0x4
	scratch_load_b128 v[5:8], off, off offset:32
	scratch_load_b128 v[1:4], off, off offset:48
	;; [unrolled: 1-line block ×5, first 2 shown]
	v_mov_b32_e32 v21, 0
	ds_load_b128 v[122:125], v21 offset:432
	ds_load_b128 v[126:129], v21 offset:448
	;; [unrolled: 1-line block ×3, first 2 shown]
	scratch_load_b64 v[134:135], off, off offset:24
	s_mov_b32 s0, exec_lo
	s_wait_loadcnt_dscnt 0x502
	v_mul_f32_e32 v22, v123, v6
	v_dual_mul_f32 v136, v122, v6 :: v_dual_mul_f32 v137, v124, v8
	v_mul_f32_e32 v6, v125, v8
	s_delay_alu instid0(VALU_DEP_3) | instskip(NEXT) | instid1(VALU_DEP_3)
	v_fma_f32 v22, v122, v5, -v22
	v_dual_fmac_f32 v136, v123, v5 :: v_dual_fmac_f32 v137, v125, v7
	s_wait_loadcnt_dscnt 0x401
	v_mul_f32_e32 v123, v126, v2
	v_fma_f32 v122, v124, v7, -v6
	ds_load_b128 v[5:8], v21 offset:480
	s_wait_loadcnt_dscnt 0x301
	v_dual_mul_f32 v124, v128, v4 :: v_dual_mul_f32 v125, v130, v10
	v_dual_mul_f32 v4, v129, v4 :: v_dual_fmac_f32 v123, v127, v1
	v_mul_f32_e32 v10, v131, v10
	s_delay_alu instid0(VALU_DEP_3)
	v_dual_mul_f32 v138, v132, v12 :: v_dual_fmac_f32 v125, v131, v9
	v_mul_f32_e32 v12, v133, v12
	v_mul_f32_e32 v2, v127, v2
	v_fmac_f32_e32 v124, v129, v3
	v_fma_f32 v127, v128, v3, -v4
	v_fma_f32 v128, v130, v9, -v10
	v_fmac_f32_e32 v138, v133, v11
	v_fma_f32 v129, v132, v11, -v12
	ds_load_b128 v[9:12], v21 offset:496
	s_wait_loadcnt_dscnt 0x201
	v_dual_mul_f32 v131, v7, v16 :: v_dual_mul_f32 v130, v5, v14
	v_mul_f32_e32 v14, v6, v14
	v_mul_f32_e32 v16, v8, v16
	s_delay_alu instid0(VALU_DEP_3)
	v_fmac_f32_e32 v131, v8, v15
	v_fma_f32 v126, v126, v1, -v2
	scratch_load_b128 v[1:4], off, off offset:112
	v_fmac_f32_e32 v130, v6, v13
	v_fma_f32 v13, v5, v13, -v14
	v_fma_f32 v14, v7, v15, -v16
	ds_load_b128 v[5:8], v21 offset:512
	s_wait_loadcnt_dscnt 0x201
	v_mul_f32_e32 v15, v9, v18
	v_mul_f32_e32 v16, v10, v18
	;; [unrolled: 1-line block ×3, first 2 shown]
	s_delay_alu instid0(VALU_DEP_3) | instskip(NEXT) | instid1(VALU_DEP_3)
	v_dual_mul_f32 v20, v12, v20 :: v_dual_fmac_f32 v15, v10, v17
	v_fma_f32 v16, v9, v17, -v16
	s_delay_alu instid0(VALU_DEP_3) | instskip(NEXT) | instid1(VALU_DEP_3)
	v_fmac_f32_e32 v18, v12, v19
	v_fma_f32 v17, v11, v19, -v20
	scratch_load_b128 v[9:12], off, off offset:128
	s_wait_loadcnt_dscnt 0x100
	v_mul_f32_e32 v19, v5, v2
	v_mul_f32_e32 v2, v6, v2
	;; [unrolled: 1-line block ×3, first 2 shown]
	s_delay_alu instid0(VALU_DEP_3) | instskip(NEXT) | instid1(VALU_DEP_3)
	v_dual_mul_f32 v4, v8, v4 :: v_dual_fmac_f32 v19, v6, v1
	v_fma_f32 v132, v5, v1, -v2
	s_delay_alu instid0(VALU_DEP_3) | instskip(NEXT) | instid1(VALU_DEP_3)
	v_fmac_f32_e32 v20, v8, v3
	v_fma_f32 v133, v7, v3, -v4
	ds_load_b128 v[1:4], v21 offset:528
	ds_load_b128 v[5:8], v21 offset:544
	s_wait_loadcnt_dscnt 0x1
	v_mul_f32_e32 v139, v1, v10
	v_mul_f32_e32 v10, v2, v10
	s_delay_alu instid0(VALU_DEP_2) | instskip(NEXT) | instid1(VALU_DEP_2)
	v_dual_mul_f32 v140, v3, v12 :: v_dual_fmac_f32 v139, v2, v9
	v_fma_f32 v141, v1, v9, -v10
	v_mul_f32_e32 v1, v4, v12
	s_delay_alu instid0(VALU_DEP_3) | instskip(NEXT) | instid1(VALU_DEP_2)
	v_fmac_f32_e32 v140, v4, v11
	v_fma_f32 v142, v3, v11, -v1
	s_clause 0x1
	scratch_load_b128 v[1:4], off, off offset:144
	scratch_load_b128 v[9:12], off, off offset:160
	s_wait_loadcnt_dscnt 0x100
	v_mul_f32_e32 v143, v5, v2
	v_dual_mul_f32 v2, v6, v2 :: v_dual_mul_f32 v145, v7, v4
	s_delay_alu instid0(VALU_DEP_2) | instskip(NEXT) | instid1(VALU_DEP_2)
	v_fmac_f32_e32 v143, v6, v1
	v_fma_f32 v144, v5, v1, -v2
	v_mul_f32_e32 v1, v8, v4
	s_delay_alu instid0(VALU_DEP_4) | instskip(NEXT) | instid1(VALU_DEP_2)
	v_fmac_f32_e32 v145, v8, v3
	v_fma_f32 v146, v7, v3, -v1
	ds_load_b128 v[1:4], v21 offset:560
	ds_load_b128 v[5:8], v21 offset:576
	s_wait_loadcnt_dscnt 0x1
	v_mul_f32_e32 v147, v1, v10
	v_mul_f32_e32 v149, v3, v12
	s_delay_alu instid0(VALU_DEP_2) | instskip(NEXT) | instid1(VALU_DEP_2)
	v_fmac_f32_e32 v147, v2, v9
	v_dual_mul_f32 v2, v2, v10 :: v_dual_fmac_f32 v149, v4, v11
	s_delay_alu instid0(VALU_DEP_1) | instskip(SKIP_1) | instid1(VALU_DEP_1)
	v_fma_f32 v148, v1, v9, -v2
	v_mul_f32_e32 v1, v4, v12
	v_fma_f32 v150, v3, v11, -v1
	s_clause 0x1
	scratch_load_b128 v[1:4], off, off offset:176
	scratch_load_b128 v[9:12], off, off offset:192
	s_wait_loadcnt_dscnt 0x100
	v_mul_f32_e32 v151, v5, v2
	v_dual_mul_f32 v153, v7, v4 :: v_dual_mul_f32 v2, v6, v2
	s_delay_alu instid0(VALU_DEP_2) | instskip(NEXT) | instid1(VALU_DEP_2)
	v_fmac_f32_e32 v151, v6, v1
	v_fmac_f32_e32 v153, v8, v3
	s_delay_alu instid0(VALU_DEP_3) | instskip(SKIP_1) | instid1(VALU_DEP_1)
	v_fma_f32 v152, v5, v1, -v2
	v_mul_f32_e32 v1, v8, v4
	v_fma_f32 v154, v7, v3, -v1
	ds_load_b128 v[1:4], v21 offset:592
	ds_load_b128 v[5:8], v21 offset:608
	s_wait_loadcnt_dscnt 0x1
	v_mul_f32_e32 v155, v1, v10
	v_mul_f32_e32 v157, v3, v12
	s_delay_alu instid0(VALU_DEP_2) | instskip(NEXT) | instid1(VALU_DEP_2)
	v_fmac_f32_e32 v155, v2, v9
	v_dual_mul_f32 v2, v2, v10 :: v_dual_fmac_f32 v157, v4, v11
	s_delay_alu instid0(VALU_DEP_1) | instskip(SKIP_1) | instid1(VALU_DEP_1)
	v_fma_f32 v156, v1, v9, -v2
	v_mul_f32_e32 v1, v4, v12
	v_fma_f32 v158, v3, v11, -v1
	s_clause 0x1
	scratch_load_b128 v[1:4], off, off offset:208
	scratch_load_b128 v[9:12], off, off offset:224
	s_wait_loadcnt_dscnt 0x100
	v_mul_f32_e32 v159, v5, v2
	v_dual_mul_f32 v2, v6, v2 :: v_dual_mul_f32 v161, v7, v4
	s_delay_alu instid0(VALU_DEP_2) | instskip(NEXT) | instid1(VALU_DEP_2)
	v_fmac_f32_e32 v159, v6, v1
	v_fma_f32 v160, v5, v1, -v2
	v_mul_f32_e32 v1, v8, v4
	s_delay_alu instid0(VALU_DEP_4) | instskip(NEXT) | instid1(VALU_DEP_2)
	v_fmac_f32_e32 v161, v8, v3
	v_fma_f32 v162, v7, v3, -v1
	ds_load_b128 v[1:4], v21 offset:624
	ds_load_b128 v[5:8], v21 offset:640
	s_wait_loadcnt_dscnt 0x1
	v_mul_f32_e32 v163, v1, v10
	v_mul_f32_e32 v165, v3, v12
	s_delay_alu instid0(VALU_DEP_2) | instskip(NEXT) | instid1(VALU_DEP_2)
	v_fmac_f32_e32 v163, v2, v9
	v_dual_mul_f32 v2, v2, v10 :: v_dual_fmac_f32 v165, v4, v11
	s_delay_alu instid0(VALU_DEP_1) | instskip(SKIP_1) | instid1(VALU_DEP_1)
	v_fma_f32 v164, v1, v9, -v2
	v_mul_f32_e32 v1, v4, v12
	v_fma_f32 v166, v3, v11, -v1
	s_clause 0x1
	scratch_load_b128 v[1:4], off, off offset:240
	scratch_load_b128 v[9:12], off, off offset:256
	s_wait_loadcnt_dscnt 0x100
	v_mul_f32_e32 v167, v5, v2
	v_dual_mul_f32 v2, v6, v2 :: v_dual_mul_f32 v169, v7, v4
	s_delay_alu instid0(VALU_DEP_2) | instskip(NEXT) | instid1(VALU_DEP_2)
	v_fmac_f32_e32 v167, v6, v1
	v_fma_f32 v168, v5, v1, -v2
	v_mul_f32_e32 v1, v8, v4
	s_delay_alu instid0(VALU_DEP_4) | instskip(NEXT) | instid1(VALU_DEP_2)
	v_fmac_f32_e32 v169, v8, v3
	;; [unrolled: 25-line block ×3, first 2 shown]
	v_fma_f32 v178, v7, v3, -v1
	ds_load_b128 v[1:4], v21 offset:688
	ds_load_b128 v[5:8], v21 offset:704
	s_wait_loadcnt_dscnt 0x1
	v_mul_f32_e32 v179, v1, v10
	v_mul_f32_e32 v181, v3, v12
	s_delay_alu instid0(VALU_DEP_2) | instskip(NEXT) | instid1(VALU_DEP_2)
	v_fmac_f32_e32 v179, v2, v9
	v_dual_mul_f32 v2, v2, v10 :: v_dual_fmac_f32 v181, v4, v11
	s_delay_alu instid0(VALU_DEP_1) | instskip(SKIP_1) | instid1(VALU_DEP_1)
	v_fma_f32 v180, v1, v9, -v2
	v_mul_f32_e32 v1, v4, v12
	v_fma_f32 v182, v3, v11, -v1
	s_clause 0x1
	scratch_load_b128 v[1:4], off, off offset:304
	scratch_load_b128 v[9:12], off, off offset:320
	s_wait_loadcnt_dscnt 0x100
	v_mul_f32_e32 v183, v5, v2
	v_dual_mul_f32 v2, v6, v2 :: v_dual_mul_f32 v185, v7, v4
	s_delay_alu instid0(VALU_DEP_2) | instskip(NEXT) | instid1(VALU_DEP_2)
	v_fmac_f32_e32 v183, v6, v1
	v_fma_f32 v184, v5, v1, -v2
	v_add_f32_e32 v2, 0, v136
	v_mul_f32_e32 v1, v8, v4
	s_delay_alu instid0(VALU_DEP_2) | instskip(NEXT) | instid1(VALU_DEP_2)
	v_dual_fmac_f32 v185, v8, v3 :: v_dual_add_f32 v2, v2, v137
	v_fma_f32 v186, v7, v3, -v1
	s_delay_alu instid0(VALU_DEP_2) | instskip(NEXT) | instid1(VALU_DEP_1)
	v_add_f32_e32 v2, v2, v123
	v_dual_add_f32 v2, v2, v124 :: v_dual_add_f32 v1, 0, v22
	s_delay_alu instid0(VALU_DEP_1) | instskip(NEXT) | instid1(VALU_DEP_1)
	v_dual_add_f32 v2, v2, v125 :: v_dual_add_f32 v1, v1, v122
	v_add_f32_e32 v2, v2, v138
	s_delay_alu instid0(VALU_DEP_2) | instskip(NEXT) | instid1(VALU_DEP_1)
	v_add_f32_e32 v1, v1, v126
	v_dual_add_f32 v2, v2, v130 :: v_dual_add_f32 v1, v1, v127
	scratch_load_b64 v[126:127], off, off offset:384
	v_dual_add_f32 v2, v2, v131 :: v_dual_add_f32 v1, v1, v128
	s_delay_alu instid0(VALU_DEP_1) | instskip(NEXT) | instid1(VALU_DEP_1)
	v_dual_add_f32 v2, v2, v15 :: v_dual_add_f32 v1, v1, v129
	v_dual_add_f32 v2, v2, v18 :: v_dual_add_f32 v1, v1, v13
	s_delay_alu instid0(VALU_DEP_1) | instskip(NEXT) | instid1(VALU_DEP_1)
	v_dual_add_f32 v2, v2, v19 :: v_dual_add_f32 v1, v1, v14
	v_add_f32_e32 v2, v2, v20
	s_delay_alu instid0(VALU_DEP_1) | instskip(NEXT) | instid1(VALU_DEP_1)
	v_dual_add_f32 v1, v1, v16 :: v_dual_add_f32 v2, v2, v139
	v_dual_add_f32 v1, v1, v17 :: v_dual_add_f32 v2, v2, v140
	s_delay_alu instid0(VALU_DEP_1) | instskip(NEXT) | instid1(VALU_DEP_1)
	v_dual_add_f32 v1, v1, v132 :: v_dual_add_f32 v2, v2, v143
	v_add_f32_e32 v1, v1, v133
	s_delay_alu instid0(VALU_DEP_2) | instskip(NEXT) | instid1(VALU_DEP_1)
	v_add_f32_e32 v2, v2, v145
	v_dual_add_f32 v1, v1, v141 :: v_dual_add_f32 v2, v2, v147
	s_delay_alu instid0(VALU_DEP_1) | instskip(NEXT) | instid1(VALU_DEP_1)
	v_dual_add_f32 v1, v1, v142 :: v_dual_add_f32 v2, v2, v149
	v_dual_add_f32 v1, v1, v144 :: v_dual_add_f32 v2, v2, v151
	s_delay_alu instid0(VALU_DEP_1) | instskip(NEXT) | instid1(VALU_DEP_1)
	v_dual_add_f32 v1, v1, v146 :: v_dual_add_f32 v2, v2, v153
	v_add_f32_e32 v1, v1, v148
	s_delay_alu instid0(VALU_DEP_1) | instskip(NEXT) | instid1(VALU_DEP_1)
	v_add_f32_e32 v1, v1, v150
	v_add_f32_e32 v1, v1, v152
	s_delay_alu instid0(VALU_DEP_1) | instskip(NEXT) | instid1(VALU_DEP_1)
	v_add_f32_e32 v1, v1, v154
	v_add_f32_e32 v1, v1, v156
	s_delay_alu instid0(VALU_DEP_1) | instskip(SKIP_2) | instid1(VALU_DEP_1)
	v_dual_add_f32 v6, v1, v158 :: v_dual_add_f32 v5, v2, v155
	ds_load_b128 v[1:4], v21 offset:720
	v_dual_add_f32 v6, v6, v160 :: v_dual_add_f32 v5, v5, v157
	v_add_f32_e32 v13, v6, v162
	s_delay_alu instid0(VALU_DEP_2) | instskip(NEXT) | instid1(VALU_DEP_2)
	v_add_f32_e32 v5, v5, v159
	v_add_f32_e32 v13, v13, v164
	s_delay_alu instid0(VALU_DEP_2)
	v_add_f32_e32 v14, v5, v161
	ds_load_b128 v[5:8], v21 offset:736
	v_add_f32_e32 v13, v13, v166
	s_wait_loadcnt_dscnt 0x101
	v_mul_f32_e32 v22, v1, v10
	v_mul_f32_e32 v10, v2, v10
	;; [unrolled: 1-line block ×4, first 2 shown]
	v_add_f32_e32 v14, v14, v163
	v_fmac_f32_e32 v22, v2, v9
	v_fma_f32 v131, v1, v9, -v10
	v_fmac_f32_e32 v130, v4, v11
	v_fma_f32 v132, v3, v11, -v12
	s_clause 0x1
	scratch_load_b128 v[1:4], off, off offset:336
	scratch_load_b128 v[9:12], off, off offset:352
	v_dual_add_f32 v14, v14, v165 :: v_dual_add_f32 v13, v13, v168
	s_delay_alu instid0(VALU_DEP_1) | instskip(SKIP_2) | instid1(VALU_DEP_1)
	v_dual_add_f32 v17, v14, v167 :: v_dual_add_f32 v18, v13, v170
	scratch_load_b128 v[13:16], off, off offset:368
	v_dual_add_f32 v17, v17, v169 :: v_dual_add_f32 v18, v18, v172
	v_dual_add_f32 v17, v17, v171 :: v_dual_add_f32 v18, v18, v174
	s_delay_alu instid0(VALU_DEP_1) | instskip(NEXT) | instid1(VALU_DEP_1)
	v_dual_add_f32 v17, v17, v173 :: v_dual_add_f32 v18, v18, v176
	v_dual_add_f32 v17, v17, v175 :: v_dual_add_f32 v18, v18, v178
	s_delay_alu instid0(VALU_DEP_1) | instskip(NEXT) | instid1(VALU_DEP_2)
	v_add_f32_e32 v122, v17, v177
	v_add_f32_e32 v128, v18, v180
	ds_load_b128 v[17:20], v21 offset:752
	v_add_f32_e32 v129, v122, v179
	ds_load_b128 v[122:125], v21 offset:768
	v_dual_add_f32 v133, v128, v182 :: v_dual_add_f32 v136, v129, v181
	ds_load_b64 v[128:129], v21 offset:784
	v_add_f32_e32 v133, v133, v184
	s_delay_alu instid0(VALU_DEP_1) | instskip(NEXT) | instid1(VALU_DEP_1)
	v_add_f32_e32 v133, v133, v186
	v_add_f32_e32 v131, v133, v131
	s_delay_alu instid0(VALU_DEP_1)
	v_add_f32_e32 v131, v131, v132
	s_wait_loadcnt_dscnt 0x203
	v_mul_f32_e32 v138, v7, v4
	v_dual_add_f32 v136, v136, v183 :: v_dual_mul_f32 v137, v5, v2
	v_mul_f32_e32 v2, v6, v2
	s_wait_loadcnt_dscnt 0x102
	v_dual_mul_f32 v4, v8, v4 :: v_dual_mul_f32 v133, v17, v10
	s_delay_alu instid0(VALU_DEP_3)
	v_add_f32_e32 v136, v136, v185
	v_fmac_f32_e32 v137, v6, v1
	v_fma_f32 v2, v5, v1, -v2
	v_fmac_f32_e32 v138, v8, v3
	v_fma_f32 v1, v7, v3, -v4
	v_add_f32_e32 v22, v136, v22
	v_mul_f32_e32 v3, v18, v10
	v_add_f32_e32 v2, v131, v2
	v_mul_f32_e32 v136, v19, v12
	s_delay_alu instid0(VALU_DEP_4)
	v_dual_mul_f32 v5, v20, v12 :: v_dual_add_f32 v22, v22, v130
	v_fmac_f32_e32 v133, v18, v9
	v_fma_f32 v3, v17, v9, -v3
	v_add_f32_e32 v1, v2, v1
	s_wait_loadcnt_dscnt 0x1
	v_mul_f32_e32 v139, v122, v14
	v_add_f32_e32 v4, v22, v137
	v_fmac_f32_e32 v136, v20, v11
	v_fma_f32 v5, v19, v11, -v5
	v_dual_add_f32 v1, v1, v3 :: v_dual_mul_f32 v132, v124, v16
	s_delay_alu instid0(VALU_DEP_4) | instskip(SKIP_2) | instid1(VALU_DEP_4)
	v_add_f32_e32 v2, v4, v138
	v_dual_mul_f32 v4, v123, v14 :: v_dual_mul_f32 v3, v125, v16
	v_fmac_f32_e32 v139, v123, v13
	v_add_f32_e32 v1, v1, v5
	s_delay_alu instid0(VALU_DEP_4) | instskip(NEXT) | instid1(VALU_DEP_4)
	v_add_f32_e32 v2, v2, v133
	v_fma_f32 v4, v122, v13, -v4
	s_wait_dscnt 0x0
	v_mul_f32_e32 v130, v128, v127
	v_mul_f32_e32 v5, v129, v127
	v_fmac_f32_e32 v132, v125, v15
	v_add_f32_e32 v2, v2, v136
	v_fma_f32 v3, v124, v15, -v3
	v_add_f32_e32 v1, v1, v4
	v_fmac_f32_e32 v130, v129, v126
	v_fma_f32 v4, v128, v126, -v5
	v_add_f32_e32 v2, v2, v139
	s_delay_alu instid0(VALU_DEP_1) | instskip(NEXT) | instid1(VALU_DEP_1)
	v_dual_add_f32 v1, v1, v3 :: v_dual_add_f32 v2, v2, v132
	v_dual_add_f32 v1, v1, v4 :: v_dual_add_f32 v2, v2, v130
	s_delay_alu instid0(VALU_DEP_1)
	v_dual_sub_f32 v1, v134, v1 :: v_dual_sub_f32 v2, v135, v2
	scratch_store_b64 off, v[1:2], off offset:24
	v_cmpx_lt_u32_e32 2, v0
	s_cbranch_execz .LBB48_303
; %bb.302:
	scratch_load_b64 v[1:2], off, off offset:16
	v_mov_b32_e32 v22, v21
	scratch_store_b64 off, v[21:22], off offset:16
	s_wait_loadcnt 0x0
	ds_store_b64 v23, v[1:2]
.LBB48_303:
	s_wait_alu 0xfffe
	s_or_b32 exec_lo, exec_lo, s0
	s_wait_storecnt_dscnt 0x0
	s_barrier_signal -1
	s_barrier_wait -1
	global_inv scope:SCOPE_SE
	s_clause 0x4
	scratch_load_b128 v[5:8], off, off offset:24
	scratch_load_b128 v[1:4], off, off offset:40
	;; [unrolled: 1-line block ×5, first 2 shown]
	ds_load_2addr_b64 v[122:125], v21 offset0:53 offset1:54
	ds_load_2addr_b64 v[126:129], v21 offset0:55 offset1:56
	;; [unrolled: 1-line block ×3, first 2 shown]
	scratch_load_b64 v[134:135], off, off offset:16
	s_mov_b32 s0, exec_lo
	s_wait_loadcnt_dscnt 0x502
	v_dual_mul_f32 v22, v123, v6 :: v_dual_mul_f32 v137, v124, v8
	v_mul_f32_e32 v136, v122, v6
	v_mul_f32_e32 v6, v125, v8
	s_wait_loadcnt_dscnt 0x300
	v_mul_f32_e32 v138, v132, v12
	v_fma_f32 v22, v122, v5, -v22
	v_dual_fmac_f32 v137, v125, v7 :: v_dual_fmac_f32 v136, v123, v5
	v_mul_f32_e32 v125, v130, v10
	v_mul_f32_e32 v123, v126, v2
	v_fma_f32 v122, v124, v7, -v6
	ds_load_2addr_b64 v[5:8], v21 offset0:59 offset1:60
	v_mul_f32_e32 v124, v128, v4
	v_dual_mul_f32 v4, v129, v4 :: v_dual_fmac_f32 v125, v131, v9
	v_mul_f32_e32 v10, v131, v10
	v_mul_f32_e32 v12, v133, v12
	;; [unrolled: 1-line block ×3, first 2 shown]
	v_dual_fmac_f32 v123, v127, v1 :: v_dual_fmac_f32 v124, v129, v3
	v_fma_f32 v127, v128, v3, -v4
	v_fma_f32 v128, v130, v9, -v10
	v_fmac_f32_e32 v138, v133, v11
	v_fma_f32 v129, v132, v11, -v12
	ds_load_2addr_b64 v[9:12], v21 offset0:61 offset1:62
	s_wait_loadcnt_dscnt 0x201
	v_dual_mul_f32 v131, v7, v16 :: v_dual_mul_f32 v130, v5, v14
	s_delay_alu instid0(VALU_DEP_1)
	v_dual_mul_f32 v14, v6, v14 :: v_dual_fmac_f32 v131, v8, v15
	v_fma_f32 v126, v126, v1, -v2
	scratch_load_b128 v[1:4], off, off offset:104
	v_mul_f32_e32 v16, v8, v16
	v_fmac_f32_e32 v130, v6, v13
	v_fma_f32 v13, v5, v13, -v14
	s_delay_alu instid0(VALU_DEP_3)
	v_fma_f32 v14, v7, v15, -v16
	s_wait_loadcnt_dscnt 0x200
	v_mul_f32_e32 v15, v9, v18
	v_mul_f32_e32 v16, v10, v18
	;; [unrolled: 1-line block ×4, first 2 shown]
	ds_load_2addr_b64 v[5:8], v21 offset0:63 offset1:64
	v_fmac_f32_e32 v15, v10, v17
	v_fma_f32 v16, v9, v17, -v16
	v_fmac_f32_e32 v18, v12, v19
	v_fma_f32 v17, v11, v19, -v20
	scratch_load_b128 v[9:12], off, off offset:120
	s_wait_loadcnt_dscnt 0x100
	v_mul_f32_e32 v19, v5, v2
	v_mul_f32_e32 v2, v6, v2
	;; [unrolled: 1-line block ×3, first 2 shown]
	s_delay_alu instid0(VALU_DEP_3) | instskip(NEXT) | instid1(VALU_DEP_3)
	v_dual_mul_f32 v4, v8, v4 :: v_dual_fmac_f32 v19, v6, v1
	v_fma_f32 v132, v5, v1, -v2
	s_delay_alu instid0(VALU_DEP_3) | instskip(NEXT) | instid1(VALU_DEP_3)
	v_fmac_f32_e32 v20, v8, v3
	v_fma_f32 v133, v7, v3, -v4
	ds_load_2addr_b64 v[1:4], v21 offset0:65 offset1:66
	ds_load_2addr_b64 v[5:8], v21 offset0:67 offset1:68
	s_wait_loadcnt_dscnt 0x1
	v_mul_f32_e32 v139, v1, v10
	v_mul_f32_e32 v10, v2, v10
	s_delay_alu instid0(VALU_DEP_2) | instskip(NEXT) | instid1(VALU_DEP_2)
	v_dual_mul_f32 v140, v3, v12 :: v_dual_fmac_f32 v139, v2, v9
	v_fma_f32 v141, v1, v9, -v10
	v_mul_f32_e32 v1, v4, v12
	s_delay_alu instid0(VALU_DEP_3) | instskip(NEXT) | instid1(VALU_DEP_2)
	v_fmac_f32_e32 v140, v4, v11
	v_fma_f32 v142, v3, v11, -v1
	s_clause 0x1
	scratch_load_b128 v[1:4], off, off offset:136
	scratch_load_b128 v[9:12], off, off offset:152
	s_wait_loadcnt_dscnt 0x100
	v_mul_f32_e32 v143, v5, v2
	v_dual_mul_f32 v2, v6, v2 :: v_dual_mul_f32 v145, v7, v4
	s_delay_alu instid0(VALU_DEP_2) | instskip(NEXT) | instid1(VALU_DEP_2)
	v_fmac_f32_e32 v143, v6, v1
	v_fma_f32 v144, v5, v1, -v2
	v_mul_f32_e32 v1, v8, v4
	s_delay_alu instid0(VALU_DEP_4) | instskip(NEXT) | instid1(VALU_DEP_2)
	v_fmac_f32_e32 v145, v8, v3
	v_fma_f32 v146, v7, v3, -v1
	ds_load_2addr_b64 v[1:4], v21 offset0:69 offset1:70
	ds_load_2addr_b64 v[5:8], v21 offset0:71 offset1:72
	s_wait_loadcnt_dscnt 0x1
	v_mul_f32_e32 v147, v1, v10
	v_mul_f32_e32 v149, v3, v12
	s_delay_alu instid0(VALU_DEP_2) | instskip(NEXT) | instid1(VALU_DEP_2)
	v_fmac_f32_e32 v147, v2, v9
	v_dual_mul_f32 v2, v2, v10 :: v_dual_fmac_f32 v149, v4, v11
	s_delay_alu instid0(VALU_DEP_1) | instskip(SKIP_1) | instid1(VALU_DEP_1)
	v_fma_f32 v148, v1, v9, -v2
	v_mul_f32_e32 v1, v4, v12
	v_fma_f32 v150, v3, v11, -v1
	s_clause 0x1
	scratch_load_b128 v[1:4], off, off offset:168
	scratch_load_b128 v[9:12], off, off offset:184
	s_wait_loadcnt_dscnt 0x100
	v_mul_f32_e32 v151, v5, v2
	v_dual_mul_f32 v2, v6, v2 :: v_dual_mul_f32 v153, v7, v4
	s_delay_alu instid0(VALU_DEP_2) | instskip(NEXT) | instid1(VALU_DEP_2)
	v_fmac_f32_e32 v151, v6, v1
	v_fma_f32 v152, v5, v1, -v2
	v_mul_f32_e32 v1, v8, v4
	s_delay_alu instid0(VALU_DEP_4) | instskip(NEXT) | instid1(VALU_DEP_2)
	v_fmac_f32_e32 v153, v8, v3
	v_fma_f32 v154, v7, v3, -v1
	ds_load_2addr_b64 v[1:4], v21 offset0:73 offset1:74
	ds_load_2addr_b64 v[5:8], v21 offset0:75 offset1:76
	s_wait_loadcnt_dscnt 0x1
	v_mul_f32_e32 v155, v1, v10
	v_mul_f32_e32 v157, v3, v12
	s_delay_alu instid0(VALU_DEP_2) | instskip(NEXT) | instid1(VALU_DEP_2)
	v_fmac_f32_e32 v155, v2, v9
	v_dual_mul_f32 v2, v2, v10 :: v_dual_fmac_f32 v157, v4, v11
	s_delay_alu instid0(VALU_DEP_1) | instskip(SKIP_1) | instid1(VALU_DEP_1)
	v_fma_f32 v156, v1, v9, -v2
	v_mul_f32_e32 v1, v4, v12
	;; [unrolled: 25-line block ×5, first 2 shown]
	v_fma_f32 v182, v3, v11, -v1
	s_clause 0x1
	scratch_load_b128 v[1:4], off, off offset:296
	scratch_load_b128 v[9:12], off, off offset:312
	s_wait_loadcnt_dscnt 0x100
	v_mul_f32_e32 v183, v5, v2
	v_mul_f32_e32 v2, v6, v2
	s_delay_alu instid0(VALU_DEP_2) | instskip(NEXT) | instid1(VALU_DEP_2)
	v_fmac_f32_e32 v183, v6, v1
	v_fma_f32 v184, v5, v1, -v2
	v_add_f32_e32 v2, 0, v136
	s_delay_alu instid0(VALU_DEP_1) | instskip(NEXT) | instid1(VALU_DEP_1)
	v_dual_mul_f32 v1, v8, v4 :: v_dual_add_f32 v2, v2, v137
	v_fma_f32 v186, v7, v3, -v1
	s_delay_alu instid0(VALU_DEP_2) | instskip(NEXT) | instid1(VALU_DEP_1)
	v_dual_add_f32 v1, 0, v22 :: v_dual_add_f32 v2, v2, v123
	v_dual_add_f32 v1, v1, v122 :: v_dual_add_f32 v2, v2, v124
	s_delay_alu instid0(VALU_DEP_1) | instskip(NEXT) | instid1(VALU_DEP_1)
	v_add_f32_e32 v2, v2, v125
	v_add_f32_e32 v2, v2, v138
	s_delay_alu instid0(VALU_DEP_1) | instskip(NEXT) | instid1(VALU_DEP_1)
	v_add_f32_e32 v2, v2, v130
	v_dual_add_f32 v1, v1, v126 :: v_dual_add_f32 v2, v2, v131
	s_delay_alu instid0(VALU_DEP_1) | instskip(NEXT) | instid1(VALU_DEP_1)
	v_add_f32_e32 v1, v1, v127
	v_dual_add_f32 v2, v2, v15 :: v_dual_add_f32 v1, v1, v128
	s_delay_alu instid0(VALU_DEP_1) | instskip(NEXT) | instid1(VALU_DEP_1)
	v_dual_add_f32 v2, v2, v18 :: v_dual_add_f32 v1, v1, v129
	v_dual_add_f32 v2, v2, v19 :: v_dual_add_f32 v1, v1, v13
	s_delay_alu instid0(VALU_DEP_1) | instskip(NEXT) | instid1(VALU_DEP_1)
	v_dual_add_f32 v2, v2, v20 :: v_dual_add_f32 v1, v1, v14
	v_add_f32_e32 v2, v2, v139
	s_delay_alu instid0(VALU_DEP_1) | instskip(NEXT) | instid1(VALU_DEP_1)
	v_add_f32_e32 v2, v2, v140
	v_add_f32_e32 v2, v2, v143
	s_delay_alu instid0(VALU_DEP_1) | instskip(NEXT) | instid1(VALU_DEP_1)
	v_add_f32_e32 v2, v2, v145
	;; [unrolled: 3-line block ×3, first 2 shown]
	v_add_f32_e32 v2, v2, v151
	s_delay_alu instid0(VALU_DEP_1) | instskip(NEXT) | instid1(VALU_DEP_1)
	v_dual_add_f32 v2, v2, v153 :: v_dual_add_f32 v1, v1, v16
	v_add_f32_e32 v1, v1, v17
	s_delay_alu instid0(VALU_DEP_1) | instskip(NEXT) | instid1(VALU_DEP_1)
	v_add_f32_e32 v1, v1, v132
	v_add_f32_e32 v1, v1, v133
	s_delay_alu instid0(VALU_DEP_1) | instskip(NEXT) | instid1(VALU_DEP_1)
	v_add_f32_e32 v1, v1, v141
	;; [unrolled: 3-line block ×6, first 2 shown]
	v_add_f32_e32 v1, v1, v158
	s_delay_alu instid0(VALU_DEP_1) | instskip(SKIP_1) | instid1(VALU_DEP_2)
	v_add_f32_e32 v6, v1, v160
	v_dual_add_f32 v2, v2, v155 :: v_dual_mul_f32 v185, v7, v4
	v_add_f32_e32 v14, v6, v162
	s_delay_alu instid0(VALU_DEP_2) | instskip(NEXT) | instid1(VALU_DEP_3)
	v_add_f32_e32 v5, v2, v157
	v_fmac_f32_e32 v185, v8, v3
	ds_load_2addr_b64 v[1:4], v21 offset0:89 offset1:90
	v_dual_add_f32 v14, v14, v164 :: v_dual_add_f32 v13, v5, v159
	scratch_load_b128 v[5:8], off, off offset:328
	v_add_f32_e32 v17, v14, v166
	v_add_f32_e32 v13, v13, v161
	s_delay_alu instid0(VALU_DEP_2) | instskip(NEXT) | instid1(VALU_DEP_2)
	v_add_f32_e32 v17, v17, v168
	v_add_f32_e32 v13, v13, v163
	s_delay_alu instid0(VALU_DEP_2) | instskip(NEXT) | instid1(VALU_DEP_2)
	v_add_f32_e32 v17, v17, v170
	v_add_f32_e32 v18, v13, v165
	ds_load_2addr_b64 v[13:16], v21 offset0:91 offset1:92
	s_wait_loadcnt_dscnt 0x101
	v_mul_f32_e32 v22, v1, v10
	v_mul_f32_e32 v10, v2, v10
	;; [unrolled: 1-line block ×4, first 2 shown]
	v_add_f32_e32 v18, v18, v167
	v_fmac_f32_e32 v22, v2, v9
	v_fma_f32 v127, v1, v9, -v10
	v_fmac_f32_e32 v126, v4, v11
	v_fma_f32 v128, v3, v11, -v12
	s_clause 0x1
	scratch_load_b128 v[1:4], off, off offset:344
	scratch_load_b128 v[9:12], off, off offset:360
	v_dual_add_f32 v18, v18, v169 :: v_dual_add_f32 v17, v17, v172
	s_delay_alu instid0(VALU_DEP_1)
	v_dual_add_f32 v122, v18, v171 :: v_dual_add_f32 v123, v17, v174
	scratch_load_b128 v[17:20], off, off offset:376
	s_wait_loadcnt_dscnt 0x300
	v_dual_add_f32 v122, v122, v173 :: v_dual_mul_f32 v129, v13, v6
	v_mul_f32_e32 v6, v14, v6
	v_mul_f32_e32 v130, v15, v8
	;; [unrolled: 1-line block ×3, first 2 shown]
	s_delay_alu instid0(VALU_DEP_4)
	v_add_f32_e32 v122, v122, v175
	v_fmac_f32_e32 v129, v14, v5
	v_fma_f32 v131, v13, v5, -v6
	v_fmac_f32_e32 v130, v16, v7
	v_fma_f32 v132, v15, v7, -v8
	ds_load_2addr_b64 v[5:8], v21 offset0:93 offset1:94
	v_add_f32_e32 v123, v123, v176
	v_add_f32_e32 v13, v122, v177
	s_delay_alu instid0(VALU_DEP_2) | instskip(NEXT) | instid1(VALU_DEP_1)
	v_add_f32_e32 v123, v123, v178
	v_dual_add_f32 v122, v123, v180 :: v_dual_add_f32 v123, v13, v179
	ds_load_2addr_b64 v[13:16], v21 offset0:95 offset1:96
	v_dual_add_f32 v133, v122, v182 :: v_dual_add_f32 v136, v123, v181
	ds_load_2addr_b64 v[122:125], v21 offset0:97 offset1:98
	v_add_f32_e32 v21, v133, v184
	s_wait_loadcnt_dscnt 0x202
	v_dual_add_f32 v133, v136, v183 :: v_dual_mul_f32 v136, v5, v2
	v_mul_f32_e32 v2, v6, v2
	s_delay_alu instid0(VALU_DEP_3) | instskip(NEXT) | instid1(VALU_DEP_3)
	v_add_f32_e32 v21, v21, v186
	v_add_f32_e32 v133, v133, v185
	s_delay_alu instid0(VALU_DEP_4) | instskip(NEXT) | instid1(VALU_DEP_4)
	v_fmac_f32_e32 v136, v6, v1
	v_fma_f32 v2, v5, v1, -v2
	s_delay_alu instid0(VALU_DEP_4) | instskip(NEXT) | instid1(VALU_DEP_4)
	v_add_f32_e32 v21, v21, v127
	v_dual_add_f32 v22, v133, v22 :: v_dual_mul_f32 v127, v7, v4
	s_wait_loadcnt_dscnt 0x101
	v_dual_mul_f32 v4, v8, v4 :: v_dual_mul_f32 v133, v13, v10
	s_delay_alu instid0(VALU_DEP_2) | instskip(NEXT) | instid1(VALU_DEP_3)
	v_dual_add_f32 v21, v21, v128 :: v_dual_add_f32 v22, v22, v126
	v_dual_mul_f32 v6, v14, v10 :: v_dual_fmac_f32 v127, v8, v3
	s_delay_alu instid0(VALU_DEP_3) | instskip(NEXT) | instid1(VALU_DEP_3)
	v_fma_f32 v3, v7, v3, -v4
	v_dual_add_f32 v21, v21, v131 :: v_dual_add_f32 v22, v22, v129
	v_mul_f32_e32 v137, v15, v12
	v_dual_mul_f32 v4, v16, v12 :: v_dual_fmac_f32 v133, v14, v9
	s_delay_alu instid0(VALU_DEP_3) | instskip(NEXT) | instid1(VALU_DEP_4)
	v_add_f32_e32 v1, v21, v132
	v_add_f32_e32 v5, v22, v130
	s_wait_loadcnt_dscnt 0x0
	v_dual_mul_f32 v126, v122, v18 :: v_dual_fmac_f32 v137, v16, v11
	v_fma_f32 v4, v15, v11, -v4
	v_add_f32_e32 v1, v1, v2
	v_add_f32_e32 v2, v5, v136
	v_fma_f32 v5, v13, v9, -v6
	v_mul_f32_e32 v128, v124, v20
	s_delay_alu instid0(VALU_DEP_4) | instskip(NEXT) | instid1(VALU_DEP_4)
	v_dual_fmac_f32 v126, v123, v17 :: v_dual_add_f32 v1, v1, v3
	v_dual_add_f32 v2, v2, v127 :: v_dual_mul_f32 v3, v123, v18
	s_delay_alu instid0(VALU_DEP_3) | instskip(NEXT) | instid1(VALU_DEP_3)
	v_fmac_f32_e32 v128, v125, v19
	v_add_f32_e32 v1, v1, v5
	s_delay_alu instid0(VALU_DEP_3) | instskip(NEXT) | instid1(VALU_DEP_4)
	v_dual_add_f32 v2, v2, v133 :: v_dual_mul_f32 v5, v125, v20
	v_fma_f32 v3, v122, v17, -v3
	s_delay_alu instid0(VALU_DEP_2) | instskip(NEXT) | instid1(VALU_DEP_3)
	v_dual_add_f32 v1, v1, v4 :: v_dual_add_f32 v2, v2, v137
	v_fma_f32 v4, v124, v19, -v5
	s_delay_alu instid0(VALU_DEP_2) | instskip(NEXT) | instid1(VALU_DEP_1)
	v_dual_add_f32 v1, v1, v3 :: v_dual_add_f32 v2, v2, v126
	v_add_f32_e32 v1, v1, v4
	s_delay_alu instid0(VALU_DEP_2) | instskip(NEXT) | instid1(VALU_DEP_1)
	v_add_f32_e32 v2, v2, v128
	v_dual_sub_f32 v1, v134, v1 :: v_dual_sub_f32 v2, v135, v2
	scratch_store_b64 off, v[1:2], off offset:16
	v_cmpx_lt_u32_e32 1, v0
	s_cbranch_execz .LBB48_305
; %bb.304:
	scratch_load_b64 v[1:2], off, off offset:8
	v_mov_b32_e32 v3, 0
	s_delay_alu instid0(VALU_DEP_1)
	v_mov_b32_e32 v4, v3
	scratch_store_b64 off, v[3:4], off offset:8
	s_wait_loadcnt 0x0
	ds_store_b64 v23, v[1:2]
.LBB48_305:
	s_wait_alu 0xfffe
	s_or_b32 exec_lo, exec_lo, s0
	s_wait_storecnt_dscnt 0x0
	s_barrier_signal -1
	s_barrier_wait -1
	global_inv scope:SCOPE_SE
	s_clause 0x4
	scratch_load_b128 v[5:8], off, off offset:16
	scratch_load_b128 v[1:4], off, off offset:32
	;; [unrolled: 1-line block ×5, first 2 shown]
	v_mov_b32_e32 v122, 0
	ds_load_b128 v[123:126], v122 offset:416
	ds_load_b128 v[127:130], v122 offset:432
	;; [unrolled: 1-line block ×3, first 2 shown]
	scratch_load_b64 v[21:22], off, off offset:8
	s_mov_b32 s0, exec_lo
	s_wait_loadcnt_dscnt 0x502
	v_mul_f32_e32 v135, v124, v6
	v_dual_mul_f32 v136, v123, v6 :: v_dual_mul_f32 v137, v125, v8
	v_mul_f32_e32 v6, v126, v8
	s_delay_alu instid0(VALU_DEP_3) | instskip(NEXT) | instid1(VALU_DEP_3)
	v_fma_f32 v123, v123, v5, -v135
	v_dual_fmac_f32 v136, v124, v5 :: v_dual_fmac_f32 v137, v126, v7
	s_delay_alu instid0(VALU_DEP_3)
	v_fma_f32 v124, v125, v7, -v6
	ds_load_b128 v[5:8], v122 offset:464
	s_wait_loadcnt_dscnt 0x402
	v_dual_mul_f32 v125, v127, v2 :: v_dual_mul_f32 v126, v129, v4
	s_wait_loadcnt_dscnt 0x301
	v_dual_mul_f32 v135, v131, v10 :: v_dual_mul_f32 v4, v130, v4
	v_mul_f32_e32 v10, v132, v10
	v_mul_f32_e32 v138, v133, v12
	v_mul_f32_e32 v12, v134, v12
	v_mul_f32_e32 v2, v128, v2
	v_dual_fmac_f32 v125, v128, v1 :: v_dual_fmac_f32 v126, v130, v3
	v_fma_f32 v128, v129, v3, -v4
	v_fmac_f32_e32 v135, v132, v9
	v_fma_f32 v129, v131, v9, -v10
	v_fmac_f32_e32 v138, v134, v11
	v_fma_f32 v130, v133, v11, -v12
	ds_load_b128 v[9:12], v122 offset:480
	s_wait_loadcnt_dscnt 0x201
	v_mul_f32_e32 v131, v5, v14
	v_mul_f32_e32 v14, v6, v14
	;; [unrolled: 1-line block ×3, first 2 shown]
	s_delay_alu instid0(VALU_DEP_3)
	v_dual_mul_f32 v16, v8, v16 :: v_dual_fmac_f32 v131, v6, v13
	v_fma_f32 v127, v127, v1, -v2
	scratch_load_b128 v[1:4], off, off offset:96
	v_fma_f32 v13, v5, v13, -v14
	v_fmac_f32_e32 v132, v8, v15
	v_fma_f32 v14, v7, v15, -v16
	ds_load_b128 v[5:8], v122 offset:496
	s_wait_loadcnt_dscnt 0x201
	v_mul_f32_e32 v15, v9, v18
	v_mul_f32_e32 v16, v10, v18
	;; [unrolled: 1-line block ×3, first 2 shown]
	s_delay_alu instid0(VALU_DEP_3) | instskip(NEXT) | instid1(VALU_DEP_3)
	v_dual_mul_f32 v20, v12, v20 :: v_dual_fmac_f32 v15, v10, v17
	v_fma_f32 v16, v9, v17, -v16
	s_delay_alu instid0(VALU_DEP_3) | instskip(NEXT) | instid1(VALU_DEP_3)
	v_fmac_f32_e32 v18, v12, v19
	v_fma_f32 v17, v11, v19, -v20
	scratch_load_b128 v[9:12], off, off offset:112
	s_wait_loadcnt_dscnt 0x100
	v_mul_f32_e32 v19, v5, v2
	v_mul_f32_e32 v2, v6, v2
	;; [unrolled: 1-line block ×3, first 2 shown]
	s_delay_alu instid0(VALU_DEP_3) | instskip(NEXT) | instid1(VALU_DEP_3)
	v_dual_mul_f32 v4, v8, v4 :: v_dual_fmac_f32 v19, v6, v1
	v_fma_f32 v133, v5, v1, -v2
	s_delay_alu instid0(VALU_DEP_3) | instskip(NEXT) | instid1(VALU_DEP_3)
	v_fmac_f32_e32 v20, v8, v3
	v_fma_f32 v134, v7, v3, -v4
	ds_load_b128 v[1:4], v122 offset:512
	ds_load_b128 v[5:8], v122 offset:528
	s_wait_loadcnt_dscnt 0x1
	v_mul_f32_e32 v139, v1, v10
	v_mul_f32_e32 v10, v2, v10
	s_delay_alu instid0(VALU_DEP_2) | instskip(NEXT) | instid1(VALU_DEP_2)
	v_dual_mul_f32 v140, v3, v12 :: v_dual_fmac_f32 v139, v2, v9
	v_fma_f32 v141, v1, v9, -v10
	v_mul_f32_e32 v1, v4, v12
	s_delay_alu instid0(VALU_DEP_3) | instskip(NEXT) | instid1(VALU_DEP_2)
	v_fmac_f32_e32 v140, v4, v11
	v_fma_f32 v142, v3, v11, -v1
	s_clause 0x1
	scratch_load_b128 v[1:4], off, off offset:128
	scratch_load_b128 v[9:12], off, off offset:144
	s_wait_loadcnt_dscnt 0x100
	v_mul_f32_e32 v143, v5, v2
	v_dual_mul_f32 v2, v6, v2 :: v_dual_mul_f32 v145, v7, v4
	s_delay_alu instid0(VALU_DEP_2) | instskip(NEXT) | instid1(VALU_DEP_2)
	v_fmac_f32_e32 v143, v6, v1
	v_fma_f32 v144, v5, v1, -v2
	v_mul_f32_e32 v1, v8, v4
	s_delay_alu instid0(VALU_DEP_4) | instskip(NEXT) | instid1(VALU_DEP_2)
	v_fmac_f32_e32 v145, v8, v3
	v_fma_f32 v146, v7, v3, -v1
	ds_load_b128 v[1:4], v122 offset:544
	ds_load_b128 v[5:8], v122 offset:560
	s_wait_loadcnt_dscnt 0x1
	v_mul_f32_e32 v147, v1, v10
	v_mul_f32_e32 v149, v3, v12
	s_delay_alu instid0(VALU_DEP_2) | instskip(NEXT) | instid1(VALU_DEP_2)
	v_fmac_f32_e32 v147, v2, v9
	v_dual_mul_f32 v2, v2, v10 :: v_dual_fmac_f32 v149, v4, v11
	s_delay_alu instid0(VALU_DEP_1) | instskip(SKIP_1) | instid1(VALU_DEP_1)
	v_fma_f32 v148, v1, v9, -v2
	v_mul_f32_e32 v1, v4, v12
	v_fma_f32 v150, v3, v11, -v1
	s_clause 0x1
	scratch_load_b128 v[1:4], off, off offset:160
	scratch_load_b128 v[9:12], off, off offset:176
	s_wait_loadcnt_dscnt 0x100
	v_mul_f32_e32 v151, v5, v2
	v_dual_mul_f32 v153, v7, v4 :: v_dual_mul_f32 v2, v6, v2
	s_delay_alu instid0(VALU_DEP_2) | instskip(NEXT) | instid1(VALU_DEP_2)
	v_fmac_f32_e32 v151, v6, v1
	v_fmac_f32_e32 v153, v8, v3
	s_delay_alu instid0(VALU_DEP_3) | instskip(SKIP_1) | instid1(VALU_DEP_1)
	v_fma_f32 v152, v5, v1, -v2
	v_mul_f32_e32 v1, v8, v4
	v_fma_f32 v154, v7, v3, -v1
	ds_load_b128 v[1:4], v122 offset:576
	ds_load_b128 v[5:8], v122 offset:592
	s_wait_loadcnt_dscnt 0x1
	v_mul_f32_e32 v155, v1, v10
	v_mul_f32_e32 v157, v3, v12
	s_delay_alu instid0(VALU_DEP_2) | instskip(NEXT) | instid1(VALU_DEP_2)
	v_fmac_f32_e32 v155, v2, v9
	v_dual_mul_f32 v2, v2, v10 :: v_dual_fmac_f32 v157, v4, v11
	s_delay_alu instid0(VALU_DEP_1) | instskip(SKIP_1) | instid1(VALU_DEP_1)
	v_fma_f32 v156, v1, v9, -v2
	v_mul_f32_e32 v1, v4, v12
	v_fma_f32 v158, v3, v11, -v1
	s_clause 0x1
	scratch_load_b128 v[1:4], off, off offset:192
	scratch_load_b128 v[9:12], off, off offset:208
	s_wait_loadcnt_dscnt 0x100
	v_mul_f32_e32 v159, v5, v2
	v_dual_mul_f32 v2, v6, v2 :: v_dual_mul_f32 v161, v7, v4
	s_delay_alu instid0(VALU_DEP_2) | instskip(NEXT) | instid1(VALU_DEP_2)
	v_fmac_f32_e32 v159, v6, v1
	v_fma_f32 v160, v5, v1, -v2
	v_mul_f32_e32 v1, v8, v4
	s_delay_alu instid0(VALU_DEP_4) | instskip(NEXT) | instid1(VALU_DEP_2)
	v_fmac_f32_e32 v161, v8, v3
	v_fma_f32 v162, v7, v3, -v1
	ds_load_b128 v[1:4], v122 offset:608
	ds_load_b128 v[5:8], v122 offset:624
	s_wait_loadcnt_dscnt 0x1
	v_mul_f32_e32 v163, v1, v10
	v_mul_f32_e32 v165, v3, v12
	s_delay_alu instid0(VALU_DEP_2) | instskip(NEXT) | instid1(VALU_DEP_2)
	v_fmac_f32_e32 v163, v2, v9
	v_dual_mul_f32 v2, v2, v10 :: v_dual_fmac_f32 v165, v4, v11
	s_delay_alu instid0(VALU_DEP_1) | instskip(SKIP_1) | instid1(VALU_DEP_1)
	v_fma_f32 v164, v1, v9, -v2
	v_mul_f32_e32 v1, v4, v12
	v_fma_f32 v166, v3, v11, -v1
	s_clause 0x1
	scratch_load_b128 v[1:4], off, off offset:224
	scratch_load_b128 v[9:12], off, off offset:240
	s_wait_loadcnt_dscnt 0x100
	v_mul_f32_e32 v167, v5, v2
	v_dual_mul_f32 v2, v6, v2 :: v_dual_mul_f32 v169, v7, v4
	s_delay_alu instid0(VALU_DEP_2) | instskip(NEXT) | instid1(VALU_DEP_2)
	v_fmac_f32_e32 v167, v6, v1
	v_fma_f32 v168, v5, v1, -v2
	v_mul_f32_e32 v1, v8, v4
	s_delay_alu instid0(VALU_DEP_4) | instskip(NEXT) | instid1(VALU_DEP_2)
	v_fmac_f32_e32 v169, v8, v3
	v_fma_f32 v170, v7, v3, -v1
	ds_load_b128 v[1:4], v122 offset:640
	ds_load_b128 v[5:8], v122 offset:656
	s_wait_loadcnt_dscnt 0x1
	v_mul_f32_e32 v171, v1, v10
	v_mul_f32_e32 v173, v3, v12
	s_delay_alu instid0(VALU_DEP_2) | instskip(NEXT) | instid1(VALU_DEP_2)
	v_fmac_f32_e32 v171, v2, v9
	v_dual_mul_f32 v2, v2, v10 :: v_dual_fmac_f32 v173, v4, v11
	s_delay_alu instid0(VALU_DEP_1) | instskip(SKIP_1) | instid1(VALU_DEP_1)
	v_fma_f32 v172, v1, v9, -v2
	v_mul_f32_e32 v1, v4, v12
	v_fma_f32 v174, v3, v11, -v1
	s_clause 0x1
	scratch_load_b128 v[1:4], off, off offset:256
	scratch_load_b128 v[9:12], off, off offset:272
	s_wait_loadcnt_dscnt 0x100
	v_mul_f32_e32 v175, v5, v2
	v_dual_mul_f32 v2, v6, v2 :: v_dual_mul_f32 v177, v7, v4
	s_delay_alu instid0(VALU_DEP_1) | instskip(NEXT) | instid1(VALU_DEP_3)
	v_fma_f32 v176, v5, v1, -v2
	v_fmac_f32_e32 v175, v6, v1
	v_mul_f32_e32 v1, v8, v4
	s_delay_alu instid0(VALU_DEP_4) | instskip(NEXT) | instid1(VALU_DEP_2)
	v_fmac_f32_e32 v177, v8, v3
	v_fma_f32 v178, v7, v3, -v1
	ds_load_b128 v[1:4], v122 offset:672
	ds_load_b128 v[5:8], v122 offset:688
	s_wait_loadcnt_dscnt 0x1
	v_mul_f32_e32 v179, v1, v10
	v_mul_f32_e32 v181, v3, v12
	s_delay_alu instid0(VALU_DEP_2) | instskip(NEXT) | instid1(VALU_DEP_2)
	v_fmac_f32_e32 v179, v2, v9
	v_dual_mul_f32 v2, v2, v10 :: v_dual_fmac_f32 v181, v4, v11
	s_delay_alu instid0(VALU_DEP_1) | instskip(SKIP_1) | instid1(VALU_DEP_1)
	v_fma_f32 v180, v1, v9, -v2
	v_mul_f32_e32 v1, v4, v12
	v_fma_f32 v182, v3, v11, -v1
	s_clause 0x1
	scratch_load_b128 v[1:4], off, off offset:288
	scratch_load_b128 v[9:12], off, off offset:304
	s_wait_loadcnt_dscnt 0x100
	v_mul_f32_e32 v183, v5, v2
	v_mul_f32_e32 v2, v6, v2
	s_delay_alu instid0(VALU_DEP_2) | instskip(NEXT) | instid1(VALU_DEP_2)
	v_fmac_f32_e32 v183, v6, v1
	v_fma_f32 v184, v5, v1, -v2
	v_add_f32_e32 v2, 0, v136
	s_delay_alu instid0(VALU_DEP_1) | instskip(NEXT) | instid1(VALU_DEP_1)
	v_dual_mul_f32 v1, v8, v4 :: v_dual_add_f32 v2, v2, v137
	v_fma_f32 v186, v7, v3, -v1
	s_delay_alu instid0(VALU_DEP_2) | instskip(NEXT) | instid1(VALU_DEP_1)
	v_add_f32_e32 v2, v2, v125
	v_add_f32_e32 v2, v2, v126
	s_delay_alu instid0(VALU_DEP_1) | instskip(NEXT) | instid1(VALU_DEP_1)
	v_add_f32_e32 v2, v2, v135
	v_add_f32_e32 v2, v2, v138
	s_delay_alu instid0(VALU_DEP_1) | instskip(NEXT) | instid1(VALU_DEP_1)
	v_add_f32_e32 v2, v2, v131
	v_dual_add_f32 v2, v2, v132 :: v_dual_add_f32 v1, 0, v123
	s_delay_alu instid0(VALU_DEP_1) | instskip(NEXT) | instid1(VALU_DEP_1)
	v_dual_add_f32 v2, v2, v15 :: v_dual_add_f32 v1, v1, v124
	v_dual_add_f32 v2, v2, v18 :: v_dual_add_f32 v1, v1, v127
	s_delay_alu instid0(VALU_DEP_1) | instskip(SKIP_2) | instid1(VALU_DEP_1)
	v_dual_add_f32 v2, v2, v19 :: v_dual_add_f32 v1, v1, v128
	scratch_load_b64 v[127:128], off, off offset:384
	v_dual_add_f32 v2, v2, v20 :: v_dual_add_f32 v1, v1, v129
	v_dual_add_f32 v2, v2, v139 :: v_dual_add_f32 v1, v1, v130
	s_delay_alu instid0(VALU_DEP_1) | instskip(NEXT) | instid1(VALU_DEP_1)
	v_dual_add_f32 v2, v2, v140 :: v_dual_add_f32 v1, v1, v13
	v_dual_add_f32 v2, v2, v143 :: v_dual_add_f32 v1, v1, v14
	s_delay_alu instid0(VALU_DEP_1) | instskip(NEXT) | instid1(VALU_DEP_1)
	v_dual_add_f32 v2, v2, v145 :: v_dual_add_f32 v1, v1, v16
	v_dual_add_f32 v2, v2, v147 :: v_dual_add_f32 v1, v1, v17
	s_delay_alu instid0(VALU_DEP_1) | instskip(NEXT) | instid1(VALU_DEP_1)
	v_add_f32_e32 v2, v2, v149
	v_dual_add_f32 v1, v1, v133 :: v_dual_add_f32 v2, v2, v151
	s_delay_alu instid0(VALU_DEP_1) | instskip(NEXT) | instid1(VALU_DEP_1)
	v_dual_add_f32 v1, v1, v134 :: v_dual_add_f32 v2, v2, v153
	v_add_f32_e32 v1, v1, v141
	s_delay_alu instid0(VALU_DEP_1) | instskip(NEXT) | instid1(VALU_DEP_1)
	v_add_f32_e32 v1, v1, v142
	v_add_f32_e32 v1, v1, v144
	s_delay_alu instid0(VALU_DEP_1) | instskip(NEXT) | instid1(VALU_DEP_1)
	v_add_f32_e32 v1, v1, v146
	;; [unrolled: 3-line block ×5, first 2 shown]
	v_add_f32_e32 v6, v1, v160
	v_dual_add_f32 v2, v2, v155 :: v_dual_mul_f32 v185, v7, v4
	s_delay_alu instid0(VALU_DEP_2) | instskip(NEXT) | instid1(VALU_DEP_2)
	v_add_f32_e32 v14, v6, v162
	v_add_f32_e32 v5, v2, v157
	s_delay_alu instid0(VALU_DEP_1) | instskip(NEXT) | instid1(VALU_DEP_1)
	v_dual_add_f32 v14, v14, v164 :: v_dual_add_f32 v13, v5, v159
	v_add_f32_e32 v17, v14, v166
	s_delay_alu instid0(VALU_DEP_2) | instskip(NEXT) | instid1(VALU_DEP_2)
	v_add_f32_e32 v13, v13, v161
	v_add_f32_e32 v17, v17, v168
	s_delay_alu instid0(VALU_DEP_2)
	v_add_f32_e32 v13, v13, v163
	v_fmac_f32_e32 v185, v8, v3
	scratch_load_b128 v[1:4], off, off offset:320
	ds_load_b128 v[5:8], v122 offset:704
	v_add_f32_e32 v17, v17, v170
	v_add_f32_e32 v18, v13, v165
	ds_load_b128 v[13:16], v122 offset:720
	v_add_f32_e32 v17, v17, v172
	s_delay_alu instid0(VALU_DEP_1) | instskip(SKIP_1) | instid1(VALU_DEP_1)
	v_add_f32_e32 v124, v17, v174
	s_wait_loadcnt_dscnt 0x201
	v_dual_add_f32 v124, v124, v176 :: v_dual_mul_f32 v131, v5, v10
	v_mul_f32_e32 v10, v6, v10
	v_mul_f32_e32 v132, v7, v12
	;; [unrolled: 1-line block ×3, first 2 shown]
	s_delay_alu instid0(VALU_DEP_4) | instskip(NEXT) | instid1(VALU_DEP_4)
	v_dual_add_f32 v124, v124, v178 :: v_dual_fmac_f32 v131, v6, v9
	v_fma_f32 v133, v5, v9, -v10
	s_delay_alu instid0(VALU_DEP_4) | instskip(NEXT) | instid1(VALU_DEP_4)
	v_fmac_f32_e32 v132, v8, v11
	v_fma_f32 v134, v7, v11, -v12
	scratch_load_b128 v[5:8], off, off offset:336
	v_add_f32_e32 v18, v18, v167
	scratch_load_b128 v[9:12], off, off offset:352
	v_add_f32_e32 v124, v124, v180
	v_add_f32_e32 v18, v18, v169
	s_delay_alu instid0(VALU_DEP_1) | instskip(SKIP_2) | instid1(VALU_DEP_1)
	v_add_f32_e32 v123, v18, v171
	scratch_load_b128 v[17:20], off, off offset:368
	v_add_f32_e32 v123, v123, v173
	v_add_f32_e32 v123, v123, v175
	s_delay_alu instid0(VALU_DEP_1) | instskip(SKIP_4) | instid1(VALU_DEP_3)
	v_add_f32_e32 v123, v123, v177
	s_wait_loadcnt_dscnt 0x300
	v_mul_f32_e32 v135, v13, v2
	v_mul_f32_e32 v2, v14, v2
	;; [unrolled: 1-line block ×3, first 2 shown]
	v_dual_mul_f32 v4, v16, v4 :: v_dual_fmac_f32 v135, v14, v1
	s_delay_alu instid0(VALU_DEP_3) | instskip(SKIP_1) | instid1(VALU_DEP_4)
	v_fma_f32 v137, v13, v1, -v2
	v_dual_add_f32 v13, v123, v179 :: v_dual_add_f32 v14, v124, v182
	v_fmac_f32_e32 v136, v16, v3
	s_delay_alu instid0(VALU_DEP_4)
	v_fma_f32 v138, v15, v3, -v4
	ds_load_b128 v[1:4], v122 offset:736
	v_add_f32_e32 v123, v13, v181
	v_add_f32_e32 v129, v14, v184
	ds_load_b128 v[13:16], v122 offset:752
	v_dual_add_f32 v130, v123, v183 :: v_dual_add_f32 v139, v129, v186
	ds_load_b128 v[123:126], v122 offset:768
	v_add_f32_e32 v140, v130, v185
	v_add_f32_e32 v133, v139, v133
	ds_load_b64 v[129:130], v122 offset:784
	v_add_f32_e32 v131, v140, v131
	v_add_f32_e32 v133, v133, v134
	s_wait_loadcnt_dscnt 0x203
	v_mul_f32_e32 v139, v1, v6
	s_delay_alu instid0(VALU_DEP_3) | instskip(NEXT) | instid1(VALU_DEP_3)
	v_dual_add_f32 v131, v131, v132 :: v_dual_mul_f32 v6, v2, v6
	v_dual_add_f32 v133, v133, v137 :: v_dual_mul_f32 v132, v3, v8
	s_delay_alu instid0(VALU_DEP_2) | instskip(NEXT) | instid1(VALU_DEP_3)
	v_dual_mul_f32 v8, v4, v8 :: v_dual_add_f32 v131, v131, v135
	v_fma_f32 v1, v1, v5, -v6
	s_delay_alu instid0(VALU_DEP_3)
	v_add_f32_e32 v133, v133, v138
	s_wait_loadcnt_dscnt 0x102
	v_dual_fmac_f32 v139, v2, v5 :: v_dual_mul_f32 v134, v13, v10
	v_dual_add_f32 v131, v131, v136 :: v_dual_fmac_f32 v132, v4, v7
	v_fma_f32 v2, v3, v7, -v8
	v_mul_f32_e32 v3, v14, v10
	s_delay_alu instid0(VALU_DEP_3) | instskip(SKIP_2) | instid1(VALU_DEP_4)
	v_dual_add_f32 v1, v133, v1 :: v_dual_add_f32 v4, v131, v139
	v_mul_f32_e32 v135, v15, v12
	v_dual_mul_f32 v5, v16, v12 :: v_dual_fmac_f32 v134, v14, v9
	v_fma_f32 v3, v13, v9, -v3
	s_delay_alu instid0(VALU_DEP_4)
	v_dual_add_f32 v1, v1, v2 :: v_dual_add_f32 v2, v4, v132
	s_wait_loadcnt_dscnt 0x1
	v_mul_f32_e32 v137, v123, v18
	v_mul_f32_e32 v4, v124, v18
	v_fmac_f32_e32 v135, v16, v11
	v_fma_f32 v5, v15, v11, -v5
	v_dual_add_f32 v1, v1, v3 :: v_dual_add_f32 v2, v2, v134
	v_mul_f32_e32 v138, v125, v20
	v_mul_f32_e32 v3, v126, v20
	v_fmac_f32_e32 v137, v124, v17
	v_fma_f32 v4, v123, v17, -v4
	v_dual_add_f32 v1, v1, v5 :: v_dual_add_f32 v2, v2, v135
	s_wait_dscnt 0x0
	v_mul_f32_e32 v136, v129, v128
	v_mul_f32_e32 v5, v130, v128
	v_fmac_f32_e32 v138, v126, v19
	v_fma_f32 v3, v125, v19, -v3
	v_dual_add_f32 v1, v1, v4 :: v_dual_add_f32 v2, v2, v137
	v_fmac_f32_e32 v136, v130, v127
	v_fma_f32 v4, v129, v127, -v5
	s_delay_alu instid0(VALU_DEP_3) | instskip(NEXT) | instid1(VALU_DEP_1)
	v_dual_add_f32 v1, v1, v3 :: v_dual_add_f32 v2, v2, v138
	v_add_f32_e32 v1, v1, v4
	s_delay_alu instid0(VALU_DEP_1) | instskip(NEXT) | instid1(VALU_DEP_1)
	v_dual_add_f32 v2, v2, v136 :: v_dual_sub_f32 v1, v21, v1
	v_sub_f32_e32 v2, v22, v2
	scratch_store_b64 off, v[1:2], off offset:8
	v_cmpx_ne_u32_e32 0, v0
	s_cbranch_execz .LBB48_307
; %bb.306:
	scratch_load_b64 v[0:1], off, off
	v_mov_b32_e32 v123, v122
	scratch_store_b64 off, v[122:123], off
	s_wait_loadcnt 0x0
	ds_store_b64 v23, v[0:1]
.LBB48_307:
	s_wait_alu 0xfffe
	s_or_b32 exec_lo, exec_lo, s0
	s_wait_storecnt_dscnt 0x0
	s_barrier_signal -1
	s_barrier_wait -1
	global_inv scope:SCOPE_SE
	s_clause 0x6
	scratch_load_b128 v[0:3], off, off offset:8
	scratch_load_b128 v[4:7], off, off offset:24
	;; [unrolled: 1-line block ×7, first 2 shown]
	ds_load_2addr_b64 v[127:130], v122 offset0:51 offset1:52
	ds_load_2addr_b64 v[131:134], v122 offset0:53 offset1:54
	scratch_load_b64 v[135:136], off, off
	s_and_b32 vcc_lo, exec_lo, s18
	s_wait_loadcnt_dscnt 0x701
	v_mul_f32_e32 v137, v128, v1
	v_dual_mul_f32 v138, v127, v1 :: v_dual_mul_f32 v139, v129, v3
	s_delay_alu instid0(VALU_DEP_1) | instskip(NEXT) | instid1(VALU_DEP_2)
	v_dual_mul_f32 v1, v130, v3 :: v_dual_fmac_f32 v138, v128, v0
	v_fmac_f32_e32 v139, v130, v2
	s_delay_alu instid0(VALU_DEP_2)
	v_fma_f32 v128, v129, v2, -v1
	s_wait_loadcnt_dscnt 0x600
	v_mul_f32_e32 v130, v133, v7
	v_fma_f32 v127, v127, v0, -v137
	ds_load_2addr_b64 v[0:3], v122 offset0:55 offset1:56
	v_mul_f32_e32 v129, v131, v5
	v_mul_f32_e32 v5, v132, v5
	;; [unrolled: 1-line block ×3, first 2 shown]
	s_delay_alu instid0(VALU_DEP_3) | instskip(NEXT) | instid1(VALU_DEP_3)
	v_dual_fmac_f32 v130, v134, v6 :: v_dual_fmac_f32 v129, v132, v4
	v_fma_f32 v131, v131, v4, -v5
	s_delay_alu instid0(VALU_DEP_3)
	v_fma_f32 v132, v133, v6, -v7
	ds_load_2addr_b64 v[4:7], v122 offset0:57 offset1:58
	s_wait_loadcnt_dscnt 0x501
	v_mul_f32_e32 v133, v0, v9
	v_dual_mul_f32 v9, v1, v9 :: v_dual_mul_f32 v134, v2, v11
	v_mul_f32_e32 v11, v3, v11
	s_delay_alu instid0(VALU_DEP_3) | instskip(NEXT) | instid1(VALU_DEP_3)
	v_fmac_f32_e32 v133, v1, v8
	v_fma_f32 v137, v0, v8, -v9
	s_delay_alu instid0(VALU_DEP_4) | instskip(NEXT) | instid1(VALU_DEP_4)
	v_fmac_f32_e32 v134, v3, v10
	v_fma_f32 v140, v2, v10, -v11
	ds_load_2addr_b64 v[0:3], v122 offset0:59 offset1:60
	s_wait_loadcnt_dscnt 0x401
	v_mul_f32_e32 v141, v4, v13
	v_dual_mul_f32 v8, v5, v13 :: v_dual_mul_f32 v13, v6, v15
	v_mul_f32_e32 v9, v7, v15
	s_delay_alu instid0(VALU_DEP_3) | instskip(NEXT) | instid1(VALU_DEP_3)
	v_fmac_f32_e32 v141, v5, v12
	v_fma_f32 v12, v4, v12, -v8
	s_delay_alu instid0(VALU_DEP_4) | instskip(NEXT) | instid1(VALU_DEP_4)
	v_fmac_f32_e32 v13, v7, v14
	;; [unrolled: 11-line block ×4, first 2 shown]
	v_fma_f32 v22, v6, v22, -v9
	ds_load_2addr_b64 v[4:7], v122 offset0:65 offset1:66
	s_wait_loadcnt_dscnt 0x101
	v_mul_f32_e32 v23, v0, v124
	v_mul_f32_e32 v8, v1, v124
	;; [unrolled: 1-line block ×4, first 2 shown]
	s_delay_alu instid0(VALU_DEP_4) | instskip(NEXT) | instid1(VALU_DEP_4)
	v_fmac_f32_e32 v23, v1, v123
	v_fma_f32 v123, v0, v123, -v8
	s_delay_alu instid0(VALU_DEP_4) | instskip(NEXT) | instid1(VALU_DEP_4)
	v_fmac_f32_e32 v124, v3, v125
	v_fma_f32 v125, v2, v125, -v9
	s_clause 0x1
	scratch_load_b128 v[0:3], off, off offset:120
	scratch_load_b128 v[8:11], off, off offset:136
	s_wait_loadcnt_dscnt 0x100
	v_mul_f32_e32 v126, v4, v1
	v_mul_f32_e32 v1, v5, v1
	s_delay_alu instid0(VALU_DEP_2) | instskip(NEXT) | instid1(VALU_DEP_2)
	v_dual_mul_f32 v143, v6, v3 :: v_dual_fmac_f32 v126, v5, v0
	v_fma_f32 v142, v4, v0, -v1
	v_mul_f32_e32 v0, v7, v3
	s_delay_alu instid0(VALU_DEP_3) | instskip(NEXT) | instid1(VALU_DEP_2)
	v_fmac_f32_e32 v143, v7, v2
	v_fma_f32 v144, v6, v2, -v0
	ds_load_2addr_b64 v[0:3], v122 offset0:67 offset1:68
	ds_load_2addr_b64 v[4:7], v122 offset0:69 offset1:70
	s_wait_loadcnt_dscnt 0x1
	v_mul_f32_e32 v145, v0, v9
	v_mul_f32_e32 v147, v2, v11
	s_delay_alu instid0(VALU_DEP_2) | instskip(SKIP_1) | instid1(VALU_DEP_3)
	v_fmac_f32_e32 v145, v1, v8
	v_mul_f32_e32 v1, v1, v9
	v_fmac_f32_e32 v147, v3, v10
	s_delay_alu instid0(VALU_DEP_2) | instskip(SKIP_1) | instid1(VALU_DEP_1)
	v_fma_f32 v146, v0, v8, -v1
	v_mul_f32_e32 v0, v3, v11
	v_fma_f32 v148, v2, v10, -v0
	s_clause 0x1
	scratch_load_b128 v[0:3], off, off offset:152
	scratch_load_b128 v[8:11], off, off offset:168
	s_wait_loadcnt_dscnt 0x100
	v_mul_f32_e32 v149, v4, v1
	v_mul_f32_e32 v1, v5, v1
	;; [unrolled: 1-line block ×3, first 2 shown]
	s_delay_alu instid0(VALU_DEP_3) | instskip(NEXT) | instid1(VALU_DEP_3)
	v_fmac_f32_e32 v149, v5, v0
	v_fma_f32 v150, v4, v0, -v1
	v_mul_f32_e32 v0, v7, v3
	s_delay_alu instid0(VALU_DEP_4) | instskip(NEXT) | instid1(VALU_DEP_2)
	v_fmac_f32_e32 v151, v7, v2
	v_fma_f32 v152, v6, v2, -v0
	ds_load_2addr_b64 v[0:3], v122 offset0:71 offset1:72
	ds_load_2addr_b64 v[4:7], v122 offset0:73 offset1:74
	s_wait_loadcnt_dscnt 0x1
	v_mul_f32_e32 v153, v0, v9
	s_delay_alu instid0(VALU_DEP_1) | instskip(SKIP_1) | instid1(VALU_DEP_1)
	v_fmac_f32_e32 v153, v1, v8
	v_mul_f32_e32 v1, v1, v9
	v_fma_f32 v154, v0, v8, -v1
	v_mul_f32_e32 v155, v2, v11
	v_mul_f32_e32 v0, v3, v11
	s_delay_alu instid0(VALU_DEP_1) | instskip(NEXT) | instid1(VALU_DEP_3)
	v_fma_f32 v156, v2, v10, -v0
	v_fmac_f32_e32 v155, v3, v10
	s_clause 0x1
	scratch_load_b128 v[0:3], off, off offset:184
	scratch_load_b128 v[8:11], off, off offset:200
	s_wait_loadcnt_dscnt 0x100
	v_mul_f32_e32 v157, v4, v1
	v_mul_f32_e32 v1, v5, v1
	;; [unrolled: 1-line block ×3, first 2 shown]
	s_delay_alu instid0(VALU_DEP_2) | instskip(NEXT) | instid1(VALU_DEP_4)
	v_fma_f32 v158, v4, v0, -v1
	v_dual_fmac_f32 v157, v5, v0 :: v_dual_mul_f32 v0, v7, v3
	s_delay_alu instid0(VALU_DEP_3) | instskip(NEXT) | instid1(VALU_DEP_2)
	v_fmac_f32_e32 v159, v7, v2
	v_fma_f32 v160, v6, v2, -v0
	ds_load_2addr_b64 v[0:3], v122 offset0:75 offset1:76
	ds_load_2addr_b64 v[4:7], v122 offset0:77 offset1:78
	s_wait_loadcnt_dscnt 0x1
	v_mul_f32_e32 v161, v0, v9
	v_mul_f32_e32 v163, v2, v11
	s_delay_alu instid0(VALU_DEP_1) | instskip(NEXT) | instid1(VALU_DEP_3)
	v_fmac_f32_e32 v163, v3, v10
	v_fmac_f32_e32 v161, v1, v8
	v_mul_f32_e32 v1, v1, v9
	s_delay_alu instid0(VALU_DEP_1) | instskip(SKIP_1) | instid1(VALU_DEP_1)
	v_fma_f32 v162, v0, v8, -v1
	v_mul_f32_e32 v0, v3, v11
	v_fma_f32 v164, v2, v10, -v0
	s_clause 0x1
	scratch_load_b128 v[0:3], off, off offset:216
	scratch_load_b128 v[8:11], off, off offset:232
	s_wait_loadcnt_dscnt 0x100
	v_mul_f32_e32 v165, v4, v1
	v_mul_f32_e32 v1, v5, v1
	;; [unrolled: 1-line block ×3, first 2 shown]
	s_delay_alu instid0(VALU_DEP_3) | instskip(NEXT) | instid1(VALU_DEP_3)
	v_fmac_f32_e32 v165, v5, v0
	v_fma_f32 v166, v4, v0, -v1
	v_mul_f32_e32 v0, v7, v3
	s_delay_alu instid0(VALU_DEP_4) | instskip(NEXT) | instid1(VALU_DEP_2)
	v_fmac_f32_e32 v167, v7, v2
	v_fma_f32 v168, v6, v2, -v0
	ds_load_2addr_b64 v[0:3], v122 offset0:79 offset1:80
	ds_load_2addr_b64 v[4:7], v122 offset0:81 offset1:82
	s_wait_loadcnt_dscnt 0x1
	v_mul_f32_e32 v169, v0, v9
	v_mul_f32_e32 v171, v2, v11
	s_delay_alu instid0(VALU_DEP_2) | instskip(SKIP_1) | instid1(VALU_DEP_3)
	v_fmac_f32_e32 v169, v1, v8
	v_mul_f32_e32 v1, v1, v9
	v_fmac_f32_e32 v171, v3, v10
	s_delay_alu instid0(VALU_DEP_2) | instskip(SKIP_1) | instid1(VALU_DEP_1)
	v_fma_f32 v170, v0, v8, -v1
	v_mul_f32_e32 v0, v3, v11
	v_fma_f32 v172, v2, v10, -v0
	s_clause 0x1
	scratch_load_b128 v[0:3], off, off offset:248
	scratch_load_b128 v[8:11], off, off offset:264
	s_wait_loadcnt_dscnt 0x100
	v_mul_f32_e32 v173, v4, v1
	v_mul_f32_e32 v1, v5, v1
	;; [unrolled: 1-line block ×3, first 2 shown]
	s_delay_alu instid0(VALU_DEP_3) | instskip(NEXT) | instid1(VALU_DEP_3)
	v_fmac_f32_e32 v173, v5, v0
	v_fma_f32 v174, v4, v0, -v1
	v_mul_f32_e32 v0, v7, v3
	s_delay_alu instid0(VALU_DEP_4) | instskip(NEXT) | instid1(VALU_DEP_2)
	v_fmac_f32_e32 v175, v7, v2
	v_fma_f32 v176, v6, v2, -v0
	ds_load_2addr_b64 v[0:3], v122 offset0:83 offset1:84
	ds_load_2addr_b64 v[4:7], v122 offset0:85 offset1:86
	s_wait_loadcnt_dscnt 0x1
	v_mul_f32_e32 v177, v0, v9
	v_mul_f32_e32 v179, v2, v11
	s_delay_alu instid0(VALU_DEP_2) | instskip(SKIP_1) | instid1(VALU_DEP_3)
	v_fmac_f32_e32 v177, v1, v8
	v_mul_f32_e32 v1, v1, v9
	v_fmac_f32_e32 v179, v3, v10
	s_delay_alu instid0(VALU_DEP_2) | instskip(SKIP_1) | instid1(VALU_DEP_1)
	v_fma_f32 v178, v0, v8, -v1
	v_mul_f32_e32 v0, v3, v11
	v_fma_f32 v180, v2, v10, -v0
	s_clause 0x1
	scratch_load_b128 v[0:3], off, off offset:280
	scratch_load_b128 v[8:11], off, off offset:296
	s_wait_loadcnt_dscnt 0x100
	v_mul_f32_e32 v181, v4, v1
	v_mul_f32_e32 v1, v5, v1
	;; [unrolled: 1-line block ×3, first 2 shown]
	s_delay_alu instid0(VALU_DEP_3) | instskip(NEXT) | instid1(VALU_DEP_3)
	v_fmac_f32_e32 v181, v5, v0
	v_fma_f32 v182, v4, v0, -v1
	v_dual_mul_f32 v0, v7, v3 :: v_dual_add_f32 v1, 0, v138
	s_delay_alu instid0(VALU_DEP_4) | instskip(NEXT) | instid1(VALU_DEP_2)
	v_fmac_f32_e32 v183, v7, v2
	v_fma_f32 v184, v6, v2, -v0
	v_add_f32_e32 v0, 0, v127
	s_delay_alu instid0(VALU_DEP_1) | instskip(NEXT) | instid1(VALU_DEP_1)
	v_dual_add_f32 v1, v1, v139 :: v_dual_add_f32 v0, v0, v128
	v_dual_add_f32 v1, v1, v129 :: v_dual_add_f32 v0, v0, v131
	s_delay_alu instid0(VALU_DEP_1) | instskip(NEXT) | instid1(VALU_DEP_1)
	v_dual_add_f32 v1, v1, v130 :: v_dual_add_f32 v0, v0, v132
	v_add_f32_e32 v1, v1, v133
	s_delay_alu instid0(VALU_DEP_1) | instskip(NEXT) | instid1(VALU_DEP_1)
	v_dual_add_f32 v0, v0, v137 :: v_dual_add_f32 v1, v1, v134
	v_dual_add_f32 v0, v0, v140 :: v_dual_add_f32 v1, v1, v141
	s_delay_alu instid0(VALU_DEP_1) | instskip(NEXT) | instid1(VALU_DEP_1)
	v_dual_add_f32 v0, v0, v12 :: v_dual_add_f32 v1, v1, v13
	v_dual_add_f32 v0, v0, v14 :: v_dual_add_f32 v1, v1, v15
	;; [unrolled: 3-line block ×8, first 2 shown]
	s_delay_alu instid0(VALU_DEP_1) | instskip(NEXT) | instid1(VALU_DEP_1)
	v_add_f32_e32 v0, v0, v154
	v_dual_add_f32 v4, v0, v156 :: v_dual_add_f32 v5, v1, v155
	ds_load_2addr_b64 v[0:3], v122 offset0:87 offset1:88
	v_dual_add_f32 v12, v4, v158 :: v_dual_add_f32 v13, v5, v157
	scratch_load_b128 v[4:7], off, off offset:312
	v_dual_add_f32 v12, v12, v160 :: v_dual_add_f32 v13, v13, v159
	s_delay_alu instid0(VALU_DEP_1) | instskip(NEXT) | instid1(VALU_DEP_1)
	v_add_f32_e32 v12, v12, v162
	v_dual_add_f32 v16, v13, v161 :: v_dual_add_f32 v17, v12, v164
	ds_load_2addr_b64 v[12:15], v122 offset0:89 offset1:90
	s_wait_loadcnt_dscnt 0x101
	v_mul_f32_e32 v131, v0, v9
	v_dual_mul_f32 v9, v1, v9 :: v_dual_mul_f32 v132, v2, v11
	v_mul_f32_e32 v11, v3, v11
	s_delay_alu instid0(VALU_DEP_3) | instskip(NEXT) | instid1(VALU_DEP_3)
	v_dual_add_f32 v16, v16, v163 :: v_dual_fmac_f32 v131, v1, v8
	v_fma_f32 v127, v0, v8, -v9
	s_delay_alu instid0(VALU_DEP_4) | instskip(NEXT) | instid1(VALU_DEP_4)
	v_fmac_f32_e32 v132, v3, v10
	v_fma_f32 v133, v2, v10, -v11
	scratch_load_b128 v[0:3], off, off offset:328
	v_dual_add_f32 v17, v17, v166 :: v_dual_add_f32 v16, v16, v165
	scratch_load_b128 v[8:11], off, off offset:344
	v_add_f32_e32 v17, v17, v168
	s_delay_alu instid0(VALU_DEP_1) | instskip(NEXT) | instid1(VALU_DEP_1)
	v_add_f32_e32 v17, v17, v170
	v_add_f32_e32 v20, v17, v172
	s_delay_alu instid0(VALU_DEP_1) | instskip(NEXT) | instid1(VALU_DEP_1)
	v_add_f32_e32 v123, v20, v174
	v_add_f32_e32 v123, v123, v176
	s_wait_loadcnt_dscnt 0x200
	s_delay_alu instid0(VALU_DEP_1) | instskip(SKIP_2) | instid1(VALU_DEP_3)
	v_dual_add_f32 v123, v123, v178 :: v_dual_mul_f32 v134, v12, v5
	v_dual_add_f32 v16, v16, v167 :: v_dual_mul_f32 v5, v13, v5
	v_mul_f32_e32 v137, v14, v7
	v_dual_mul_f32 v7, v15, v7 :: v_dual_fmac_f32 v134, v13, v4
	s_delay_alu instid0(VALU_DEP_3) | instskip(NEXT) | instid1(VALU_DEP_4)
	v_add_f32_e32 v16, v16, v169
	v_fma_f32 v138, v12, v4, -v5
	v_add_f32_e32 v12, v123, v180
	v_fmac_f32_e32 v137, v15, v6
	v_fma_f32 v139, v14, v6, -v7
	v_add_f32_e32 v21, v16, v171
	scratch_load_b128 v[16:19], off, off offset:360
	ds_load_2addr_b64 v[4:7], v122 offset0:91 offset1:92
	v_add_f32_e32 v124, v21, v173
	scratch_load_b128 v[20:23], off, off offset:376
	v_add_f32_e32 v124, v124, v175
	s_delay_alu instid0(VALU_DEP_1) | instskip(NEXT) | instid1(VALU_DEP_1)
	v_add_f32_e32 v124, v124, v177
	v_add_f32_e32 v123, v124, v179
	;; [unrolled: 1-line block ×3, first 2 shown]
	ds_load_2addr_b64 v[12:15], v122 offset0:93 offset1:94
	v_dual_add_f32 v123, v123, v181 :: v_dual_add_f32 v128, v124, v184
	s_delay_alu instid0(VALU_DEP_1)
	v_add_f32_e32 v140, v123, v183
	ds_load_2addr_b64 v[123:126], v122 offset0:95 offset1:96
	v_add_f32_e32 v141, v128, v127
	ds_load_2addr_b64 v[127:130], v122 offset0:97 offset1:98
	v_add_f32_e32 v122, v140, v131
	s_wait_loadcnt_dscnt 0x303
	v_mul_f32_e32 v131, v4, v1
	v_add_f32_e32 v133, v141, v133
	v_dual_mul_f32 v1, v5, v1 :: v_dual_mul_f32 v140, v6, v3
	v_dual_add_f32 v122, v122, v132 :: v_dual_mul_f32 v3, v7, v3
	s_delay_alu instid0(VALU_DEP_3) | instskip(SKIP_1) | instid1(VALU_DEP_4)
	v_add_f32_e32 v132, v133, v138
	v_fmac_f32_e32 v131, v5, v0
	v_fma_f32 v0, v4, v0, -v1
	s_wait_loadcnt_dscnt 0x202
	v_dual_add_f32 v122, v122, v134 :: v_dual_mul_f32 v133, v12, v9
	v_add_f32_e32 v4, v132, v139
	v_fmac_f32_e32 v140, v7, v2
	v_fma_f32 v1, v6, v2, -v3
	s_delay_alu instid0(VALU_DEP_4) | instskip(NEXT) | instid1(VALU_DEP_4)
	v_add_f32_e32 v5, v122, v137
	v_dual_mul_f32 v7, v13, v9 :: v_dual_add_f32 v0, v4, v0
	v_dual_mul_f32 v134, v14, v11 :: v_dual_fmac_f32 v133, v13, v8
	s_delay_alu instid0(VALU_DEP_3) | instskip(SKIP_1) | instid1(VALU_DEP_4)
	v_add_f32_e32 v4, v5, v131
	v_mul_f32_e32 v5, v15, v11
	v_fma_f32 v7, v12, v8, -v7
	v_add_f32_e32 v0, v0, v1
	s_delay_alu instid0(VALU_DEP_4) | instskip(NEXT) | instid1(VALU_DEP_4)
	v_dual_fmac_f32 v134, v15, v10 :: v_dual_add_f32 v1, v4, v140
	v_fma_f32 v5, v14, v10, -v5
	s_delay_alu instid0(VALU_DEP_2) | instskip(NEXT) | instid1(VALU_DEP_1)
	v_dual_add_f32 v0, v0, v7 :: v_dual_add_f32 v1, v1, v133
	v_dual_add_f32 v0, v0, v5 :: v_dual_add_f32 v1, v1, v134
	s_wait_loadcnt_dscnt 0x101
	v_mul_f32_e32 v2, v123, v17
	v_dual_mul_f32 v4, v124, v17 :: v_dual_mul_f32 v3, v125, v19
	s_delay_alu instid0(VALU_DEP_2) | instskip(NEXT) | instid1(VALU_DEP_2)
	v_dual_mul_f32 v7, v126, v19 :: v_dual_fmac_f32 v2, v124, v16
	v_fma_f32 v4, v123, v16, -v4
	s_wait_loadcnt_dscnt 0x0
	v_mul_f32_e32 v6, v127, v21
	v_mul_f32_e32 v5, v128, v21
	v_fmac_f32_e32 v3, v126, v18
	v_fma_f32 v7, v125, v18, -v7
	v_dual_add_f32 v0, v0, v4 :: v_dual_add_f32 v1, v1, v2
	v_mul_f32_e32 v9, v129, v23
	v_mul_f32_e32 v2, v130, v23
	v_fmac_f32_e32 v6, v128, v20
	v_fma_f32 v4, v127, v20, -v5
	v_add_f32_e32 v0, v0, v7
	v_add_f32_e32 v1, v1, v3
	v_fmac_f32_e32 v9, v130, v22
	v_fma_f32 v2, v129, v22, -v2
	s_delay_alu instid0(VALU_DEP_3) | instskip(NEXT) | instid1(VALU_DEP_1)
	v_dual_add_f32 v0, v0, v4 :: v_dual_add_f32 v1, v1, v6
	v_dual_add_f32 v0, v0, v2 :: v_dual_add_f32 v1, v1, v9
	s_delay_alu instid0(VALU_DEP_1)
	v_dual_sub_f32 v0, v135, v0 :: v_dual_sub_f32 v1, v136, v1
	scratch_store_b64 off, v[0:1], off
	s_wait_alu 0xfffe
	s_cbranch_vccz .LBB48_404
; %bb.308:
	v_mov_b32_e32 v0, 0
	global_load_b32 v1, v0, s[2:3] offset:188
	s_wait_loadcnt 0x0
	v_cmp_ne_u32_e32 vcc_lo, 48, v1
	s_cbranch_vccz .LBB48_310
; %bb.309:
	v_lshlrev_b32_e32 v1, 3, v1
	s_delay_alu instid0(VALU_DEP_1)
	v_mov_b32_e32 v5, v1
	scratch_load_b64 v[1:2], v5, off offset:-8
	scratch_load_b64 v[3:4], off, off offset:376
	s_wait_loadcnt 0x1
	scratch_store_b64 off, v[1:2], off offset:376
	s_wait_loadcnt 0x0
	scratch_store_b64 v5, v[3:4], off offset:-8
.LBB48_310:
	global_load_b32 v0, v0, s[2:3] offset:184
	s_wait_loadcnt 0x0
	v_cmp_eq_u32_e32 vcc_lo, 47, v0
	s_cbranch_vccnz .LBB48_312
; %bb.311:
	v_lshlrev_b32_e32 v0, 3, v0
	s_delay_alu instid0(VALU_DEP_1)
	v_mov_b32_e32 v4, v0
	scratch_load_b64 v[0:1], v4, off offset:-8
	scratch_load_b64 v[2:3], off, off offset:368
	s_wait_loadcnt 0x1
	scratch_store_b64 off, v[0:1], off offset:368
	s_wait_loadcnt 0x0
	scratch_store_b64 v4, v[2:3], off offset:-8
.LBB48_312:
	v_mov_b32_e32 v0, 0
	global_load_b32 v1, v0, s[2:3] offset:180
	s_wait_loadcnt 0x0
	v_cmp_eq_u32_e32 vcc_lo, 46, v1
	s_cbranch_vccnz .LBB48_314
; %bb.313:
	v_lshlrev_b32_e32 v1, 3, v1
	s_delay_alu instid0(VALU_DEP_1)
	v_mov_b32_e32 v5, v1
	scratch_load_b64 v[1:2], v5, off offset:-8
	scratch_load_b64 v[3:4], off, off offset:360
	s_wait_loadcnt 0x1
	scratch_store_b64 off, v[1:2], off offset:360
	s_wait_loadcnt 0x0
	scratch_store_b64 v5, v[3:4], off offset:-8
.LBB48_314:
	global_load_b32 v0, v0, s[2:3] offset:176
	s_wait_loadcnt 0x0
	v_cmp_eq_u32_e32 vcc_lo, 45, v0
	s_cbranch_vccnz .LBB48_316
; %bb.315:
	v_lshlrev_b32_e32 v0, 3, v0
	s_delay_alu instid0(VALU_DEP_1)
	v_mov_b32_e32 v4, v0
	scratch_load_b64 v[0:1], v4, off offset:-8
	scratch_load_b64 v[2:3], off, off offset:352
	s_wait_loadcnt 0x1
	scratch_store_b64 off, v[0:1], off offset:352
	s_wait_loadcnt 0x0
	scratch_store_b64 v4, v[2:3], off offset:-8
.LBB48_316:
	v_mov_b32_e32 v0, 0
	global_load_b32 v1, v0, s[2:3] offset:172
	s_wait_loadcnt 0x0
	v_cmp_eq_u32_e32 vcc_lo, 44, v1
	s_cbranch_vccnz .LBB48_318
; %bb.317:
	v_lshlrev_b32_e32 v1, 3, v1
	s_delay_alu instid0(VALU_DEP_1)
	v_mov_b32_e32 v5, v1
	scratch_load_b64 v[1:2], v5, off offset:-8
	scratch_load_b64 v[3:4], off, off offset:344
	s_wait_loadcnt 0x1
	scratch_store_b64 off, v[1:2], off offset:344
	s_wait_loadcnt 0x0
	scratch_store_b64 v5, v[3:4], off offset:-8
.LBB48_318:
	;; [unrolled: 31-line block ×23, first 2 shown]
	global_load_b32 v0, v0, s[2:3]
	s_wait_loadcnt 0x0
	v_cmp_eq_u32_e32 vcc_lo, 1, v0
	s_cbranch_vccnz .LBB48_404
; %bb.403:
	v_lshlrev_b32_e32 v0, 3, v0
	s_delay_alu instid0(VALU_DEP_1)
	v_mov_b32_e32 v4, v0
	scratch_load_b64 v[0:1], v4, off offset:-8
	scratch_load_b64 v[2:3], off, off
	s_wait_loadcnt 0x1
	scratch_store_b64 off, v[0:1], off
	s_wait_loadcnt 0x0
	scratch_store_b64 v4, v[2:3], off offset:-8
.LBB48_404:
	s_clause 0x18
	scratch_load_b128 v[0:3], off, off
	scratch_load_b128 v[4:7], off, off offset:16
	scratch_load_b128 v[8:11], off, off offset:32
	;; [unrolled: 1-line block ×23, first 2 shown]
	scratch_load_b64 v[194:195], off, off offset:384
	s_wait_loadcnt 0x18
	s_clause 0x1
	global_store_b64 v[24:25], v[0:1], off
	global_store_b64 v[26:27], v[2:3], off
	s_wait_loadcnt 0x17
	s_clause 0x1
	global_store_b64 v[28:29], v[4:5], off
	global_store_b64 v[30:31], v[6:7], off
	;; [unrolled: 4-line block ×24, first 2 shown]
	s_wait_loadcnt 0x0
	global_store_b64 v[120:121], v[194:195], off
	s_nop 0
	s_sendmsg sendmsg(MSG_DEALLOC_VGPRS)
	s_endpgm
	.section	.rodata,"a",@progbits
	.p2align	6, 0x0
	.amdhsa_kernel _ZN9rocsolver6v33100L18getri_kernel_smallILi49E19rocblas_complex_numIfEPS3_EEvT1_iilPiilS6_bb
		.amdhsa_group_segment_fixed_size 792
		.amdhsa_private_segment_fixed_size 400
		.amdhsa_kernarg_size 60
		.amdhsa_user_sgpr_count 2
		.amdhsa_user_sgpr_dispatch_ptr 0
		.amdhsa_user_sgpr_queue_ptr 0
		.amdhsa_user_sgpr_kernarg_segment_ptr 1
		.amdhsa_user_sgpr_dispatch_id 0
		.amdhsa_user_sgpr_private_segment_size 0
		.amdhsa_wavefront_size32 1
		.amdhsa_uses_dynamic_stack 0
		.amdhsa_enable_private_segment 1
		.amdhsa_system_sgpr_workgroup_id_x 1
		.amdhsa_system_sgpr_workgroup_id_y 0
		.amdhsa_system_sgpr_workgroup_id_z 0
		.amdhsa_system_sgpr_workgroup_info 0
		.amdhsa_system_vgpr_workitem_id 0
		.amdhsa_next_free_vgpr 252
		.amdhsa_next_free_sgpr 19
		.amdhsa_reserve_vcc 1
		.amdhsa_float_round_mode_32 0
		.amdhsa_float_round_mode_16_64 0
		.amdhsa_float_denorm_mode_32 3
		.amdhsa_float_denorm_mode_16_64 3
		.amdhsa_fp16_overflow 0
		.amdhsa_workgroup_processor_mode 1
		.amdhsa_memory_ordered 1
		.amdhsa_forward_progress 1
		.amdhsa_inst_pref_size 255
		.amdhsa_round_robin_scheduling 0
		.amdhsa_exception_fp_ieee_invalid_op 0
		.amdhsa_exception_fp_denorm_src 0
		.amdhsa_exception_fp_ieee_div_zero 0
		.amdhsa_exception_fp_ieee_overflow 0
		.amdhsa_exception_fp_ieee_underflow 0
		.amdhsa_exception_fp_ieee_inexact 0
		.amdhsa_exception_int_div_zero 0
	.end_amdhsa_kernel
	.section	.text._ZN9rocsolver6v33100L18getri_kernel_smallILi49E19rocblas_complex_numIfEPS3_EEvT1_iilPiilS6_bb,"axG",@progbits,_ZN9rocsolver6v33100L18getri_kernel_smallILi49E19rocblas_complex_numIfEPS3_EEvT1_iilPiilS6_bb,comdat
.Lfunc_end48:
	.size	_ZN9rocsolver6v33100L18getri_kernel_smallILi49E19rocblas_complex_numIfEPS3_EEvT1_iilPiilS6_bb, .Lfunc_end48-_ZN9rocsolver6v33100L18getri_kernel_smallILi49E19rocblas_complex_numIfEPS3_EEvT1_iilPiilS6_bb
                                        ; -- End function
	.set _ZN9rocsolver6v33100L18getri_kernel_smallILi49E19rocblas_complex_numIfEPS3_EEvT1_iilPiilS6_bb.num_vgpr, 252
	.set _ZN9rocsolver6v33100L18getri_kernel_smallILi49E19rocblas_complex_numIfEPS3_EEvT1_iilPiilS6_bb.num_agpr, 0
	.set _ZN9rocsolver6v33100L18getri_kernel_smallILi49E19rocblas_complex_numIfEPS3_EEvT1_iilPiilS6_bb.numbered_sgpr, 19
	.set _ZN9rocsolver6v33100L18getri_kernel_smallILi49E19rocblas_complex_numIfEPS3_EEvT1_iilPiilS6_bb.num_named_barrier, 0
	.set _ZN9rocsolver6v33100L18getri_kernel_smallILi49E19rocblas_complex_numIfEPS3_EEvT1_iilPiilS6_bb.private_seg_size, 400
	.set _ZN9rocsolver6v33100L18getri_kernel_smallILi49E19rocblas_complex_numIfEPS3_EEvT1_iilPiilS6_bb.uses_vcc, 1
	.set _ZN9rocsolver6v33100L18getri_kernel_smallILi49E19rocblas_complex_numIfEPS3_EEvT1_iilPiilS6_bb.uses_flat_scratch, 1
	.set _ZN9rocsolver6v33100L18getri_kernel_smallILi49E19rocblas_complex_numIfEPS3_EEvT1_iilPiilS6_bb.has_dyn_sized_stack, 0
	.set _ZN9rocsolver6v33100L18getri_kernel_smallILi49E19rocblas_complex_numIfEPS3_EEvT1_iilPiilS6_bb.has_recursion, 0
	.set _ZN9rocsolver6v33100L18getri_kernel_smallILi49E19rocblas_complex_numIfEPS3_EEvT1_iilPiilS6_bb.has_indirect_call, 0
	.section	.AMDGPU.csdata,"",@progbits
; Kernel info:
; codeLenInByte = 81772
; TotalNumSgprs: 21
; NumVgprs: 252
; ScratchSize: 400
; MemoryBound: 0
; FloatMode: 240
; IeeeMode: 1
; LDSByteSize: 792 bytes/workgroup (compile time only)
; SGPRBlocks: 0
; VGPRBlocks: 31
; NumSGPRsForWavesPerEU: 21
; NumVGPRsForWavesPerEU: 252
; Occupancy: 5
; WaveLimiterHint : 1
; COMPUTE_PGM_RSRC2:SCRATCH_EN: 1
; COMPUTE_PGM_RSRC2:USER_SGPR: 2
; COMPUTE_PGM_RSRC2:TRAP_HANDLER: 0
; COMPUTE_PGM_RSRC2:TGID_X_EN: 1
; COMPUTE_PGM_RSRC2:TGID_Y_EN: 0
; COMPUTE_PGM_RSRC2:TGID_Z_EN: 0
; COMPUTE_PGM_RSRC2:TIDIG_COMP_CNT: 0
	.section	.text._ZN9rocsolver6v33100L18getri_kernel_smallILi50E19rocblas_complex_numIfEPS3_EEvT1_iilPiilS6_bb,"axG",@progbits,_ZN9rocsolver6v33100L18getri_kernel_smallILi50E19rocblas_complex_numIfEPS3_EEvT1_iilPiilS6_bb,comdat
	.globl	_ZN9rocsolver6v33100L18getri_kernel_smallILi50E19rocblas_complex_numIfEPS3_EEvT1_iilPiilS6_bb ; -- Begin function _ZN9rocsolver6v33100L18getri_kernel_smallILi50E19rocblas_complex_numIfEPS3_EEvT1_iilPiilS6_bb
	.p2align	8
	.type	_ZN9rocsolver6v33100L18getri_kernel_smallILi50E19rocblas_complex_numIfEPS3_EEvT1_iilPiilS6_bb,@function
_ZN9rocsolver6v33100L18getri_kernel_smallILi50E19rocblas_complex_numIfEPS3_EEvT1_iilPiilS6_bb: ; @_ZN9rocsolver6v33100L18getri_kernel_smallILi50E19rocblas_complex_numIfEPS3_EEvT1_iilPiilS6_bb
; %bb.0:
	s_mov_b32 s2, exec_lo
	v_cmpx_gt_u32_e32 50, v0
	s_cbranch_execz .LBB49_214
; %bb.1:
	s_clause 0x2
	s_load_b32 s2, s[0:1], 0x38
	s_load_b128 s[12:15], s[0:1], 0x10
	s_load_b128 s[4:7], s[0:1], 0x28
	s_mov_b32 s16, ttmp9
	s_wait_kmcnt 0x0
	s_bitcmp1_b32 s2, 8
	s_cselect_b32 s18, -1, 0
	s_bfe_u32 s2, s2, 0x10008
	s_ashr_i32 s17, ttmp9, 31
	s_cmp_eq_u32 s2, 0
                                        ; implicit-def: $sgpr2_sgpr3
	s_cbranch_scc1 .LBB49_3
; %bb.2:
	s_load_b32 s2, s[0:1], 0x20
	s_mul_u64 s[4:5], s[4:5], s[16:17]
	s_delay_alu instid0(SALU_CYCLE_1) | instskip(NEXT) | instid1(SALU_CYCLE_1)
	s_lshl_b64 s[4:5], s[4:5], 2
	s_add_nc_u64 s[4:5], s[14:15], s[4:5]
	s_wait_kmcnt 0x0
	s_ashr_i32 s3, s2, 31
	s_delay_alu instid0(SALU_CYCLE_1) | instskip(NEXT) | instid1(SALU_CYCLE_1)
	s_lshl_b64 s[2:3], s[2:3], 2
	s_add_nc_u64 s[2:3], s[4:5], s[2:3]
.LBB49_3:
	s_clause 0x1
	s_load_b128 s[8:11], s[0:1], 0x0
	s_load_b32 s4, s[0:1], 0x38
	s_mul_u64 s[0:1], s[12:13], s[16:17]
	v_lshlrev_b32_e32 v13, 3, v0
	s_lshl_b64 s[0:1], s[0:1], 3
	s_wait_kmcnt 0x0
	v_add3_u32 v3, s11, s11, v0
	s_ashr_i32 s13, s10, 31
	s_mov_b32 s12, s10
	s_add_nc_u64 s[0:1], s[8:9], s[0:1]
	s_lshl_b64 s[12:13], s[12:13], 3
	v_add_nc_u32_e32 v5, s11, v3
	v_ashrrev_i32_e32 v4, 31, v3
	s_add_nc_u64 s[0:1], s[0:1], s[12:13]
	s_ashr_i32 s9, s11, 31
	v_add_co_u32 v28, s5, s0, v13
	v_add_nc_u32_e32 v7, s11, v5
	s_mov_b32 s8, s11
	v_lshlrev_b64_e32 v[3:4], 3, v[3:4]
	v_add_co_ci_u32_e64 v29, null, s1, 0, s5
	s_delay_alu instid0(VALU_DEP_3) | instskip(SKIP_3) | instid1(VALU_DEP_1)
	v_add_nc_u32_e32 v9, s11, v7
	s_lshl_b64 s[8:9], s[8:9], 3
	v_ashrrev_i32_e32 v6, 31, v5
	v_add_co_u32 v30, vcc_lo, v28, s8
	v_add_co_ci_u32_e64 v31, null, s9, v29, vcc_lo
	v_add_co_u32 v32, vcc_lo, s0, v3
	v_add_nc_u32_e32 v3, s11, v9
	v_lshlrev_b64_e32 v[5:6], 3, v[5:6]
	v_ashrrev_i32_e32 v8, 31, v7
	v_ashrrev_i32_e32 v10, 31, v9
	s_wait_alu 0xfffd
	v_add_co_ci_u32_e64 v33, null, s1, v4, vcc_lo
	v_add_nc_u32_e32 v11, s11, v3
	v_ashrrev_i32_e32 v4, 31, v3
	v_lshlrev_b64_e32 v[7:8], 3, v[7:8]
	v_add_co_u32 v34, vcc_lo, s0, v5
	s_wait_alu 0xfffd
	v_add_co_ci_u32_e64 v35, null, s1, v6, vcc_lo
	v_lshlrev_b64_e32 v[5:6], 3, v[9:10]
	v_add_nc_u32_e32 v16, s11, v11
	v_lshlrev_b64_e32 v[14:15], 3, v[3:4]
	v_ashrrev_i32_e32 v12, 31, v11
	v_add_co_u32 v36, vcc_lo, s0, v7
	s_delay_alu instid0(VALU_DEP_4)
	v_ashrrev_i32_e32 v17, 31, v16
	v_add_nc_u32_e32 v18, s11, v16
	s_wait_alu 0xfffd
	v_add_co_ci_u32_e64 v37, null, s1, v8, vcc_lo
	v_add_co_u32 v38, vcc_lo, s0, v5
	v_lshlrev_b64_e32 v[11:12], 3, v[11:12]
	s_wait_alu 0xfffd
	v_add_co_ci_u32_e64 v39, null, s1, v6, vcc_lo
	v_add_co_u32 v40, vcc_lo, s0, v14
	s_wait_alu 0xfffd
	v_add_co_ci_u32_e64 v41, null, s1, v15, vcc_lo
	v_lshlrev_b64_e32 v[14:15], 3, v[16:17]
	v_ashrrev_i32_e32 v19, 31, v18
	v_add_nc_u32_e32 v16, s11, v18
	v_add_co_u32 v42, vcc_lo, s0, v11
	s_wait_alu 0xfffd
	v_add_co_ci_u32_e64 v43, null, s1, v12, vcc_lo
	v_lshlrev_b64_e32 v[11:12], 3, v[18:19]
	v_ashrrev_i32_e32 v17, 31, v16
	v_add_nc_u32_e32 v18, s11, v16
	;; [unrolled: 6-line block ×24, first 2 shown]
	v_add_co_u32 v88, vcc_lo, s0, v14
	s_wait_alu 0xfffd
	v_add_co_ci_u32_e64 v89, null, s1, v15, vcc_lo
	v_lshlrev_b64_e32 v[14:15], 3, v[16:17]
	v_add_nc_u32_e32 v16, s11, v18
	v_ashrrev_i32_e32 v19, 31, v18
	v_add_co_u32 v90, vcc_lo, s0, v11
	s_wait_alu 0xfffd
	v_add_co_ci_u32_e64 v91, null, s1, v12, vcc_lo
	v_add_nc_u32_e32 v26, s11, v16
	v_lshlrev_b64_e32 v[11:12], 3, v[18:19]
	v_add_co_u32 v92, vcc_lo, s0, v14
	s_wait_alu 0xfffd
	v_add_co_ci_u32_e64 v93, null, s1, v15, vcc_lo
	v_ashrrev_i32_e32 v27, 31, v26
	s_delay_alu instid0(VALU_DEP_4) | instskip(SKIP_2) | instid1(VALU_DEP_3)
	v_add_co_u32 v94, vcc_lo, s0, v11
	s_wait_alu 0xfffd
	v_add_co_ci_u32_e64 v95, null, s1, v12, vcc_lo
	v_lshlrev_b64_e32 v[11:12], 3, v[26:27]
	v_add_nc_u32_e32 v26, s11, v26
	v_ashrrev_i32_e32 v17, 31, v16
	s_clause 0x4
	global_load_b64 v[1:2], v13, s[0:1]
	global_load_b64 v[3:4], v[30:31], off
	global_load_b64 v[5:6], v[32:33], off
	;; [unrolled: 1-line block ×4, first 2 shown]
	s_bitcmp0_b32 s4, 0
	v_add_nc_u32_e32 v102, s11, v26
	v_ashrrev_i32_e32 v27, 31, v26
	v_lshlrev_b64_e32 v[14:15], 3, v[16:17]
	s_delay_alu instid0(VALU_DEP_3) | instskip(NEXT) | instid1(VALU_DEP_3)
	v_add_nc_u32_e32 v104, s11, v102
	v_lshlrev_b64_e32 v[26:27], 3, v[26:27]
	v_ashrrev_i32_e32 v103, 31, v102
	s_delay_alu instid0(VALU_DEP_4)
	v_add_co_u32 v96, vcc_lo, s0, v14
	s_wait_alu 0xfffd
	v_add_co_ci_u32_e64 v97, null, s1, v15, vcc_lo
	v_add_co_u32 v98, vcc_lo, s0, v11
	v_add_nc_u32_e32 v106, s11, v104
	s_wait_alu 0xfffd
	v_add_co_ci_u32_e64 v99, null, s1, v12, vcc_lo
	v_add_co_u32 v100, vcc_lo, s0, v26
	s_wait_alu 0xfffd
	v_add_co_ci_u32_e64 v101, null, s1, v27, vcc_lo
	v_lshlrev_b64_e32 v[26:27], 3, v[102:103]
	v_ashrrev_i32_e32 v105, 31, v104
	v_add_nc_u32_e32 v108, s11, v106
	v_ashrrev_i32_e32 v107, 31, v106
	s_clause 0x13
	global_load_b64 v[11:12], v[38:39], off
	global_load_b64 v[14:15], v[40:41], off
	;; [unrolled: 1-line block ×20, first 2 shown]
	v_lshlrev_b64_e32 v[104:105], 3, v[104:105]
	v_add_co_u32 v102, vcc_lo, s0, v26
	v_ashrrev_i32_e32 v109, 31, v108
	s_wait_alu 0xfffd
	v_add_co_ci_u32_e64 v103, null, s1, v27, vcc_lo
	v_lshlrev_b64_e32 v[26:27], 3, v[106:107]
	v_add_nc_u32_e32 v111, s11, v108
	v_lshlrev_b64_e32 v[109:110], 3, v[108:109]
	v_add_co_u32 v104, vcc_lo, s0, v104
	s_wait_alu 0xfffd
	v_add_co_ci_u32_e64 v105, null, s1, v105, vcc_lo
	v_add_co_u32 v106, vcc_lo, s0, v26
	v_ashrrev_i32_e32 v112, 31, v111
	v_add_nc_u32_e32 v26, s11, v111
	s_wait_alu 0xfffd
	v_add_co_ci_u32_e64 v107, null, s1, v27, vcc_lo
	v_add_co_u32 v108, vcc_lo, s0, v109
	s_wait_alu 0xfffd
	v_add_co_ci_u32_e64 v109, null, s1, v110, vcc_lo
	v_lshlrev_b64_e32 v[110:111], 3, v[111:112]
	v_add_nc_u32_e32 v112, s11, v26
	v_ashrrev_i32_e32 v27, 31, v26
	s_clause 0xb
	global_load_b64 v[154:155], v[78:79], off
	global_load_b64 v[156:157], v[80:81], off
	;; [unrolled: 1-line block ×12, first 2 shown]
	v_add_nc_u32_e32 v114, s11, v112
	v_lshlrev_b64_e32 v[26:27], 3, v[26:27]
	v_ashrrev_i32_e32 v113, 31, v112
	v_add_co_u32 v110, vcc_lo, s0, v110
	s_delay_alu instid0(VALU_DEP_4)
	v_add_nc_u32_e32 v118, s11, v114
	v_ashrrev_i32_e32 v115, 31, v114
	s_wait_alu 0xfffd
	v_add_co_ci_u32_e64 v111, null, s1, v111, vcc_lo
	v_lshlrev_b64_e32 v[116:117], 3, v[112:113]
	v_add_co_u32 v112, vcc_lo, s0, v26
	v_add_nc_u32_e32 v120, s11, v118
	s_wait_alu 0xfffd
	v_add_co_ci_u32_e64 v113, null, s1, v27, vcc_lo
	v_lshlrev_b64_e32 v[26:27], 3, v[114:115]
	v_ashrrev_i32_e32 v119, 31, v118
	v_add_co_u32 v114, vcc_lo, s0, v116
	v_add_nc_u32_e32 v122, s11, v120
	s_wait_alu 0xfffd
	v_add_co_ci_u32_e64 v115, null, s1, v117, vcc_lo
	v_add_co_u32 v116, vcc_lo, s0, v26
	s_wait_alu 0xfffd
	v_add_co_ci_u32_e64 v117, null, s1, v27, vcc_lo
	v_lshlrev_b64_e32 v[26:27], 3, v[118:119]
	v_ashrrev_i32_e32 v121, 31, v120
	v_add_nc_u32_e32 v124, s11, v122
	v_ashrrev_i32_e32 v123, 31, v122
	s_clause 0x7
	global_load_b64 v[178:179], v[102:103], off
	global_load_b64 v[180:181], v[104:105], off
	;; [unrolled: 1-line block ×8, first 2 shown]
	v_lshlrev_b64_e32 v[120:121], 3, v[120:121]
	v_add_co_u32 v118, vcc_lo, s0, v26
	v_add_nc_u32_e32 v126, s11, v124
	s_wait_alu 0xfffd
	v_add_co_ci_u32_e64 v119, null, s1, v27, vcc_lo
	v_lshlrev_b64_e32 v[26:27], 3, v[122:123]
	v_ashrrev_i32_e32 v125, 31, v124
	v_ashrrev_i32_e32 v127, 31, v126
	v_add_co_u32 v120, vcc_lo, s0, v120
	s_wait_alu 0xfffd
	v_add_co_ci_u32_e64 v121, null, s1, v121, vcc_lo
	v_lshlrev_b64_e32 v[124:125], 3, v[124:125]
	v_add_co_u32 v122, vcc_lo, s0, v26
	s_wait_alu 0xfffd
	v_add_co_ci_u32_e64 v123, null, s1, v27, vcc_lo
	v_lshlrev_b64_e32 v[26:27], 3, v[126:127]
	s_delay_alu instid0(VALU_DEP_4) | instskip(SKIP_2) | instid1(VALU_DEP_3)
	v_add_co_u32 v124, vcc_lo, s0, v124
	s_wait_alu 0xfffd
	v_add_co_ci_u32_e64 v125, null, s1, v125, vcc_lo
	v_add_co_u32 v126, vcc_lo, s0, v26
	s_wait_alu 0xfffd
	v_add_co_ci_u32_e64 v127, null, s1, v27, vcc_lo
	s_clause 0x4
	global_load_b64 v[194:195], v[118:119], off
	global_load_b64 v[196:197], v[120:121], off
	global_load_b64 v[198:199], v[122:123], off
	global_load_b64 v[200:201], v[124:125], off
	global_load_b64 v[202:203], v[126:127], off
	s_mov_b32 s1, -1
	s_wait_loadcnt 0x30
	scratch_store_b128 off, v[1:4], off
	s_wait_loadcnt 0x2e
	scratch_store_b128 off, v[5:8], off offset:16
	s_wait_loadcnt 0x2c
	scratch_store_b128 off, v[9:12], off offset:32
	;; [unrolled: 2-line block ×24, first 2 shown]
	s_cbranch_scc1 .LBB49_212
; %bb.4:
	v_cmp_eq_u32_e64 s0, 0, v0
	s_and_saveexec_b32 s1, s0
; %bb.5:
	v_mov_b32_e32 v1, 0
	ds_store_b32 v1, v1 offset:800
; %bb.6:
	s_wait_alu 0xfffe
	s_or_b32 exec_lo, exec_lo, s1
	s_wait_storecnt_dscnt 0x0
	s_barrier_signal -1
	s_barrier_wait -1
	global_inv scope:SCOPE_SE
	scratch_load_b64 v[1:2], v13, off
	s_wait_loadcnt 0x0
	v_cmp_eq_f32_e32 vcc_lo, 0, v1
	v_cmp_eq_f32_e64 s1, 0, v2
	s_and_b32 s1, vcc_lo, s1
	s_wait_alu 0xfffe
	s_and_saveexec_b32 s4, s1
	s_cbranch_execz .LBB49_10
; %bb.7:
	v_mov_b32_e32 v1, 0
	s_mov_b32 s5, 0
	ds_load_b32 v2, v1 offset:800
	s_wait_dscnt 0x0
	v_readfirstlane_b32 s1, v2
	v_add_nc_u32_e32 v2, 1, v0
	s_cmp_eq_u32 s1, 0
	s_delay_alu instid0(VALU_DEP_1)
	v_cmp_gt_i32_e32 vcc_lo, s1, v2
	s_cselect_b32 s8, -1, 0
	s_wait_alu 0xfffe
	s_or_b32 s8, s8, vcc_lo
	s_wait_alu 0xfffe
	s_and_b32 exec_lo, exec_lo, s8
	s_cbranch_execz .LBB49_10
; %bb.8:
	v_mov_b32_e32 v3, s1
.LBB49_9:                               ; =>This Inner Loop Header: Depth=1
	ds_cmpstore_rtn_b32 v3, v1, v2, v3 offset:800
	s_wait_dscnt 0x0
	v_cmp_ne_u32_e32 vcc_lo, 0, v3
	v_cmp_le_i32_e64 s1, v3, v2
	s_and_b32 s1, vcc_lo, s1
	s_wait_alu 0xfffe
	s_and_b32 s1, exec_lo, s1
	s_wait_alu 0xfffe
	s_or_b32 s5, s1, s5
	s_wait_alu 0xfffe
	s_and_not1_b32 exec_lo, exec_lo, s5
	s_cbranch_execnz .LBB49_9
.LBB49_10:
	s_wait_alu 0xfffe
	s_or_b32 exec_lo, exec_lo, s4
	v_mov_b32_e32 v1, 0
	s_barrier_signal -1
	s_barrier_wait -1
	global_inv scope:SCOPE_SE
	ds_load_b32 v2, v1 offset:800
	s_and_saveexec_b32 s1, s0
	s_cbranch_execz .LBB49_12
; %bb.11:
	s_lshl_b64 s[4:5], s[16:17], 2
	s_wait_alu 0xfffe
	s_add_nc_u64 s[4:5], s[6:7], s[4:5]
	s_wait_dscnt 0x0
	global_store_b32 v1, v2, s[4:5]
.LBB49_12:
	s_wait_alu 0xfffe
	s_or_b32 exec_lo, exec_lo, s1
	s_wait_dscnt 0x0
	v_cmp_ne_u32_e32 vcc_lo, 0, v2
	s_mov_b32 s1, 0
	s_cbranch_vccnz .LBB49_212
; %bb.13:
	v_mov_b32_e32 v7, v13
                                        ; implicit-def: $vgpr3
                                        ; implicit-def: $vgpr5
	scratch_load_b64 v[1:2], v7, off
	s_wait_loadcnt 0x0
	v_cmp_ngt_f32_e64 s1, |v1|, |v2|
	s_wait_alu 0xfffe
	s_and_saveexec_b32 s4, s1
	s_wait_alu 0xfffe
	s_xor_b32 s1, exec_lo, s4
	s_cbranch_execz .LBB49_15
; %bb.14:
	v_div_scale_f32 v3, null, v2, v2, v1
	v_div_scale_f32 v6, vcc_lo, v1, v2, v1
	s_delay_alu instid0(VALU_DEP_2) | instskip(NEXT) | instid1(TRANS32_DEP_1)
	v_rcp_f32_e32 v4, v3
	v_fma_f32 v5, -v3, v4, 1.0
	s_delay_alu instid0(VALU_DEP_1) | instskip(NEXT) | instid1(VALU_DEP_1)
	v_fmac_f32_e32 v4, v5, v4
	v_mul_f32_e32 v5, v6, v4
	s_delay_alu instid0(VALU_DEP_1) | instskip(NEXT) | instid1(VALU_DEP_1)
	v_fma_f32 v8, -v3, v5, v6
	v_fmac_f32_e32 v5, v8, v4
	s_delay_alu instid0(VALU_DEP_1) | instskip(SKIP_1) | instid1(VALU_DEP_1)
	v_fma_f32 v3, -v3, v5, v6
	s_wait_alu 0xfffd
	v_div_fmas_f32 v3, v3, v4, v5
	s_delay_alu instid0(VALU_DEP_1) | instskip(NEXT) | instid1(VALU_DEP_1)
	v_div_fixup_f32 v3, v3, v2, v1
	v_fmac_f32_e32 v2, v1, v3
	s_delay_alu instid0(VALU_DEP_1) | instskip(NEXT) | instid1(VALU_DEP_1)
	v_div_scale_f32 v1, null, v2, v2, 1.0
	v_rcp_f32_e32 v4, v1
	s_delay_alu instid0(TRANS32_DEP_1) | instskip(NEXT) | instid1(VALU_DEP_1)
	v_fma_f32 v5, -v1, v4, 1.0
	v_fmac_f32_e32 v4, v5, v4
	v_div_scale_f32 v5, vcc_lo, 1.0, v2, 1.0
	s_delay_alu instid0(VALU_DEP_1) | instskip(NEXT) | instid1(VALU_DEP_1)
	v_mul_f32_e32 v6, v5, v4
	v_fma_f32 v8, -v1, v6, v5
	s_delay_alu instid0(VALU_DEP_1) | instskip(NEXT) | instid1(VALU_DEP_1)
	v_fmac_f32_e32 v6, v8, v4
	v_fma_f32 v1, -v1, v6, v5
	s_wait_alu 0xfffd
	s_delay_alu instid0(VALU_DEP_1) | instskip(NEXT) | instid1(VALU_DEP_1)
	v_div_fmas_f32 v1, v1, v4, v6
	v_div_fixup_f32 v1, v1, v2, 1.0
	s_delay_alu instid0(VALU_DEP_1) | instskip(SKIP_1) | instid1(VALU_DEP_2)
	v_mul_f32_e32 v3, v3, v1
	v_xor_b32_e32 v4, 0x80000000, v1
                                        ; implicit-def: $vgpr1_vgpr2
	v_xor_b32_e32 v5, 0x80000000, v3
.LBB49_15:
	s_wait_alu 0xfffe
	s_and_not1_saveexec_b32 s1, s1
	s_cbranch_execz .LBB49_17
; %bb.16:
	v_div_scale_f32 v3, null, v1, v1, v2
	v_div_scale_f32 v6, vcc_lo, v2, v1, v2
	s_delay_alu instid0(VALU_DEP_2) | instskip(NEXT) | instid1(TRANS32_DEP_1)
	v_rcp_f32_e32 v4, v3
	v_fma_f32 v5, -v3, v4, 1.0
	s_delay_alu instid0(VALU_DEP_1) | instskip(NEXT) | instid1(VALU_DEP_1)
	v_fmac_f32_e32 v4, v5, v4
	v_mul_f32_e32 v5, v6, v4
	s_delay_alu instid0(VALU_DEP_1) | instskip(NEXT) | instid1(VALU_DEP_1)
	v_fma_f32 v8, -v3, v5, v6
	v_fmac_f32_e32 v5, v8, v4
	s_delay_alu instid0(VALU_DEP_1) | instskip(SKIP_1) | instid1(VALU_DEP_1)
	v_fma_f32 v3, -v3, v5, v6
	s_wait_alu 0xfffd
	v_div_fmas_f32 v3, v3, v4, v5
	s_delay_alu instid0(VALU_DEP_1) | instskip(NEXT) | instid1(VALU_DEP_1)
	v_div_fixup_f32 v4, v3, v1, v2
	v_fmac_f32_e32 v1, v2, v4
	s_delay_alu instid0(VALU_DEP_1) | instskip(SKIP_1) | instid1(VALU_DEP_2)
	v_div_scale_f32 v2, null, v1, v1, 1.0
	v_div_scale_f32 v6, vcc_lo, 1.0, v1, 1.0
	v_rcp_f32_e32 v3, v2
	s_delay_alu instid0(TRANS32_DEP_1) | instskip(NEXT) | instid1(VALU_DEP_1)
	v_fma_f32 v5, -v2, v3, 1.0
	v_fmac_f32_e32 v3, v5, v3
	s_delay_alu instid0(VALU_DEP_1) | instskip(NEXT) | instid1(VALU_DEP_1)
	v_mul_f32_e32 v5, v6, v3
	v_fma_f32 v8, -v2, v5, v6
	s_delay_alu instid0(VALU_DEP_1) | instskip(NEXT) | instid1(VALU_DEP_1)
	v_fmac_f32_e32 v5, v8, v3
	v_fma_f32 v2, -v2, v5, v6
	s_wait_alu 0xfffd
	s_delay_alu instid0(VALU_DEP_1) | instskip(NEXT) | instid1(VALU_DEP_1)
	v_div_fmas_f32 v2, v2, v3, v5
	v_div_fixup_f32 v3, v2, v1, 1.0
	s_delay_alu instid0(VALU_DEP_1)
	v_xor_b32_e32 v5, 0x80000000, v3
	v_mul_f32_e64 v4, v4, -v3
.LBB49_17:
	s_wait_alu 0xfffe
	s_or_b32 exec_lo, exec_lo, s1
	scratch_store_b64 v7, v[3:4], off
	scratch_load_b64 v[2:3], off, off offset:8
	v_xor_b32_e32 v6, 0x80000000, v4
	v_add_nc_u32_e32 v1, 0x190, v13
	s_wait_loadcnt 0x0
	ds_store_2addr_b64 v13, v[5:6], v[2:3] offset1:50
	s_wait_storecnt_dscnt 0x0
	s_barrier_signal -1
	s_barrier_wait -1
	global_inv scope:SCOPE_SE
	s_and_saveexec_b32 s1, s0
	s_cbranch_execz .LBB49_19
; %bb.18:
	scratch_load_b64 v[2:3], v7, off
	ds_load_b64 v[4:5], v1
	v_mov_b32_e32 v6, 0
	ds_load_b64 v[8:9], v6 offset:8
	s_wait_loadcnt_dscnt 0x1
	v_mul_f32_e32 v6, v4, v3
	v_mul_f32_e32 v3, v5, v3
	s_delay_alu instid0(VALU_DEP_2) | instskip(NEXT) | instid1(VALU_DEP_2)
	v_fmac_f32_e32 v6, v5, v2
	v_fma_f32 v2, v4, v2, -v3
	s_delay_alu instid0(VALU_DEP_2) | instskip(SKIP_1) | instid1(VALU_DEP_1)
	v_add_f32_e32 v4, 0, v6
	s_wait_dscnt 0x0
	v_dual_add_f32 v2, 0, v2 :: v_dual_mul_f32 v5, v4, v9
	s_delay_alu instid0(VALU_DEP_1) | instskip(NEXT) | instid1(VALU_DEP_1)
	v_mul_f32_e32 v3, v2, v9
	v_fmac_f32_e32 v3, v4, v8
	s_delay_alu instid0(VALU_DEP_3)
	v_fma_f32 v2, v2, v8, -v5
	scratch_store_b64 off, v[2:3], off offset:8
.LBB49_19:
	s_wait_alu 0xfffe
	s_or_b32 exec_lo, exec_lo, s1
	s_wait_loadcnt 0x0
	s_wait_storecnt 0x0
	s_barrier_signal -1
	s_barrier_wait -1
	global_inv scope:SCOPE_SE
	scratch_load_b64 v[2:3], off, off offset:16
	s_mov_b32 s1, exec_lo
	s_wait_loadcnt 0x0
	ds_store_b64 v1, v[2:3]
	s_wait_dscnt 0x0
	s_barrier_signal -1
	s_barrier_wait -1
	global_inv scope:SCOPE_SE
	v_cmpx_gt_u32_e32 2, v0
	s_cbranch_execz .LBB49_23
; %bb.20:
	scratch_load_b64 v[2:3], v7, off
	ds_load_b64 v[4:5], v1
	s_wait_loadcnt_dscnt 0x0
	v_mul_f32_e32 v6, v5, v3
	v_mul_f32_e32 v8, v4, v3
	s_delay_alu instid0(VALU_DEP_2) | instskip(NEXT) | instid1(VALU_DEP_1)
	v_fma_f32 v3, v4, v2, -v6
	v_dual_fmac_f32 v8, v5, v2 :: v_dual_add_f32 v3, 0, v3
	s_delay_alu instid0(VALU_DEP_1)
	v_add_f32_e32 v2, 0, v8
	s_and_saveexec_b32 s4, s0
	s_cbranch_execz .LBB49_22
; %bb.21:
	scratch_load_b64 v[4:5], off, off offset:8
	v_mov_b32_e32 v6, 0
	ds_load_b64 v[8:9], v6 offset:408
	s_wait_loadcnt_dscnt 0x0
	v_mul_f32_e32 v6, v8, v5
	v_mul_f32_e32 v5, v9, v5
	s_delay_alu instid0(VALU_DEP_2) | instskip(NEXT) | instid1(VALU_DEP_2)
	v_fmac_f32_e32 v6, v9, v4
	v_fma_f32 v4, v8, v4, -v5
	s_delay_alu instid0(VALU_DEP_1)
	v_dual_add_f32 v2, v2, v6 :: v_dual_add_f32 v3, v3, v4
.LBB49_22:
	s_wait_alu 0xfffe
	s_or_b32 exec_lo, exec_lo, s4
	v_mov_b32_e32 v4, 0
	ds_load_b64 v[4:5], v4 offset:16
	s_wait_dscnt 0x0
	v_mul_f32_e32 v8, v2, v5
	v_mul_f32_e32 v6, v3, v5
	s_delay_alu instid0(VALU_DEP_2) | instskip(NEXT) | instid1(VALU_DEP_2)
	v_fma_f32 v5, v3, v4, -v8
	v_fmac_f32_e32 v6, v2, v4
	scratch_store_b64 off, v[5:6], off offset:16
.LBB49_23:
	s_wait_alu 0xfffe
	s_or_b32 exec_lo, exec_lo, s1
	s_wait_loadcnt 0x0
	s_wait_storecnt 0x0
	s_barrier_signal -1
	s_barrier_wait -1
	global_inv scope:SCOPE_SE
	scratch_load_b64 v[3:4], off, off offset:24
	v_add_nc_u32_e32 v2, -1, v0
	s_mov_b32 s0, exec_lo
	s_wait_loadcnt 0x0
	ds_store_b64 v1, v[3:4]
	s_wait_dscnt 0x0
	s_barrier_signal -1
	s_barrier_wait -1
	global_inv scope:SCOPE_SE
	v_cmpx_gt_u32_e32 3, v0
	s_cbranch_execz .LBB49_27
; %bb.24:
	v_dual_mov_b32 v3, 0 :: v_dual_add_nc_u32 v4, -1, v0
	v_dual_mov_b32 v6, v13 :: v_dual_add_nc_u32 v5, 0x190, v13
	v_mov_b32_e32 v8, 0
	s_mov_b32 s1, 0
.LBB49_25:                              ; =>This Inner Loop Header: Depth=1
	scratch_load_b64 v[9:10], v6, off
	ds_load_b64 v[11:12], v5
	v_add_nc_u32_e32 v6, 8, v6
	s_wait_loadcnt_dscnt 0x0
	v_dual_mul_f32 v14, v12, v10 :: v_dual_add_nc_u32 v5, 8, v5
	v_mul_f32_e32 v10, v11, v10
	s_delay_alu instid0(VALU_DEP_2) | instskip(NEXT) | instid1(VALU_DEP_2)
	v_fma_f32 v11, v11, v9, -v14
	v_fmac_f32_e32 v10, v12, v9
	v_add_nc_u32_e32 v4, 1, v4
	s_delay_alu instid0(VALU_DEP_2) | instskip(NEXT) | instid1(VALU_DEP_2)
	v_dual_add_f32 v8, v8, v11 :: v_dual_add_f32 v3, v3, v10
	v_cmp_lt_u32_e32 vcc_lo, 1, v4
	s_wait_alu 0xfffe
	s_or_b32 s1, vcc_lo, s1
	s_wait_alu 0xfffe
	s_and_not1_b32 exec_lo, exec_lo, s1
	s_cbranch_execnz .LBB49_25
; %bb.26:
	s_or_b32 exec_lo, exec_lo, s1
	v_mov_b32_e32 v4, 0
	ds_load_b64 v[4:5], v4 offset:24
	s_wait_dscnt 0x0
	v_mul_f32_e32 v9, v3, v5
	v_mul_f32_e32 v6, v8, v5
	s_delay_alu instid0(VALU_DEP_2) | instskip(NEXT) | instid1(VALU_DEP_2)
	v_fma_f32 v5, v8, v4, -v9
	v_fmac_f32_e32 v6, v3, v4
	scratch_store_b64 off, v[5:6], off offset:24
.LBB49_27:
	s_wait_alu 0xfffe
	s_or_b32 exec_lo, exec_lo, s0
	s_wait_loadcnt 0x0
	s_wait_storecnt 0x0
	s_barrier_signal -1
	s_barrier_wait -1
	global_inv scope:SCOPE_SE
	scratch_load_b64 v[3:4], off, off offset:32
	s_mov_b32 s0, exec_lo
	s_wait_loadcnt 0x0
	ds_store_b64 v1, v[3:4]
	s_wait_dscnt 0x0
	s_barrier_signal -1
	s_barrier_wait -1
	global_inv scope:SCOPE_SE
	v_cmpx_gt_u32_e32 4, v0
	s_cbranch_execz .LBB49_31
; %bb.28:
	v_dual_mov_b32 v3, 0 :: v_dual_add_nc_u32 v4, -1, v0
	v_dual_mov_b32 v6, v13 :: v_dual_add_nc_u32 v5, 0x190, v13
	v_mov_b32_e32 v8, 0
	s_mov_b32 s1, 0
.LBB49_29:                              ; =>This Inner Loop Header: Depth=1
	scratch_load_b64 v[9:10], v6, off
	ds_load_b64 v[11:12], v5
	v_add_nc_u32_e32 v6, 8, v6
	s_wait_loadcnt_dscnt 0x0
	v_dual_mul_f32 v14, v12, v10 :: v_dual_add_nc_u32 v5, 8, v5
	v_mul_f32_e32 v10, v11, v10
	s_delay_alu instid0(VALU_DEP_2) | instskip(NEXT) | instid1(VALU_DEP_2)
	v_fma_f32 v11, v11, v9, -v14
	v_fmac_f32_e32 v10, v12, v9
	v_add_nc_u32_e32 v4, 1, v4
	s_delay_alu instid0(VALU_DEP_2) | instskip(NEXT) | instid1(VALU_DEP_2)
	v_dual_add_f32 v8, v8, v11 :: v_dual_add_f32 v3, v3, v10
	v_cmp_lt_u32_e32 vcc_lo, 2, v4
	s_wait_alu 0xfffe
	s_or_b32 s1, vcc_lo, s1
	s_wait_alu 0xfffe
	s_and_not1_b32 exec_lo, exec_lo, s1
	s_cbranch_execnz .LBB49_29
; %bb.30:
	s_or_b32 exec_lo, exec_lo, s1
	v_mov_b32_e32 v4, 0
	ds_load_b64 v[4:5], v4 offset:32
	s_wait_dscnt 0x0
	v_mul_f32_e32 v9, v3, v5
	v_mul_f32_e32 v6, v8, v5
	s_delay_alu instid0(VALU_DEP_2) | instskip(NEXT) | instid1(VALU_DEP_2)
	v_fma_f32 v5, v8, v4, -v9
	v_fmac_f32_e32 v6, v3, v4
	scratch_store_b64 off, v[5:6], off offset:32
.LBB49_31:
	s_wait_alu 0xfffe
	s_or_b32 exec_lo, exec_lo, s0
	s_wait_loadcnt 0x0
	s_wait_storecnt 0x0
	s_barrier_signal -1
	s_barrier_wait -1
	global_inv scope:SCOPE_SE
	scratch_load_b64 v[3:4], off, off offset:40
	;; [unrolled: 53-line block ×19, first 2 shown]
	s_mov_b32 s0, exec_lo
	s_wait_loadcnt 0x0
	ds_store_b64 v1, v[3:4]
	s_wait_dscnt 0x0
	s_barrier_signal -1
	s_barrier_wait -1
	global_inv scope:SCOPE_SE
	v_cmpx_gt_u32_e32 22, v0
	s_cbranch_execz .LBB49_103
; %bb.100:
	v_dual_mov_b32 v3, 0 :: v_dual_add_nc_u32 v4, -1, v0
	v_dual_mov_b32 v6, v13 :: v_dual_add_nc_u32 v5, 0x190, v13
	v_mov_b32_e32 v8, 0
	s_mov_b32 s1, 0
.LBB49_101:                             ; =>This Inner Loop Header: Depth=1
	scratch_load_b64 v[9:10], v6, off
	ds_load_b64 v[11:12], v5
	v_add_nc_u32_e32 v6, 8, v6
	s_wait_loadcnt_dscnt 0x0
	v_dual_mul_f32 v14, v12, v10 :: v_dual_add_nc_u32 v5, 8, v5
	v_mul_f32_e32 v10, v11, v10
	s_delay_alu instid0(VALU_DEP_2) | instskip(NEXT) | instid1(VALU_DEP_2)
	v_fma_f32 v11, v11, v9, -v14
	v_fmac_f32_e32 v10, v12, v9
	v_add_nc_u32_e32 v4, 1, v4
	s_delay_alu instid0(VALU_DEP_2) | instskip(NEXT) | instid1(VALU_DEP_2)
	v_dual_add_f32 v8, v8, v11 :: v_dual_add_f32 v3, v3, v10
	v_cmp_lt_u32_e32 vcc_lo, 20, v4
	s_wait_alu 0xfffe
	s_or_b32 s1, vcc_lo, s1
	s_wait_alu 0xfffe
	s_and_not1_b32 exec_lo, exec_lo, s1
	s_cbranch_execnz .LBB49_101
; %bb.102:
	s_or_b32 exec_lo, exec_lo, s1
	v_mov_b32_e32 v4, 0
	ds_load_b64 v[4:5], v4 offset:176
	s_wait_dscnt 0x0
	v_mul_f32_e32 v9, v3, v5
	v_mul_f32_e32 v6, v8, v5
	s_delay_alu instid0(VALU_DEP_2) | instskip(NEXT) | instid1(VALU_DEP_2)
	v_fma_f32 v5, v8, v4, -v9
	v_fmac_f32_e32 v6, v3, v4
	scratch_store_b64 off, v[5:6], off offset:176
.LBB49_103:
	s_wait_alu 0xfffe
	s_or_b32 exec_lo, exec_lo, s0
	s_wait_loadcnt 0x0
	s_wait_storecnt 0x0
	s_barrier_signal -1
	s_barrier_wait -1
	global_inv scope:SCOPE_SE
	scratch_load_b64 v[3:4], off, off offset:184
	s_mov_b32 s0, exec_lo
	s_wait_loadcnt 0x0
	ds_store_b64 v1, v[3:4]
	s_wait_dscnt 0x0
	s_barrier_signal -1
	s_barrier_wait -1
	global_inv scope:SCOPE_SE
	v_cmpx_gt_u32_e32 23, v0
	s_cbranch_execz .LBB49_107
; %bb.104:
	v_dual_mov_b32 v3, 0 :: v_dual_add_nc_u32 v4, -1, v0
	v_dual_mov_b32 v6, v13 :: v_dual_add_nc_u32 v5, 0x190, v13
	v_mov_b32_e32 v8, 0
	s_mov_b32 s1, 0
.LBB49_105:                             ; =>This Inner Loop Header: Depth=1
	scratch_load_b64 v[9:10], v6, off
	ds_load_b64 v[11:12], v5
	v_add_nc_u32_e32 v6, 8, v6
	s_wait_loadcnt_dscnt 0x0
	v_dual_mul_f32 v14, v12, v10 :: v_dual_add_nc_u32 v5, 8, v5
	v_mul_f32_e32 v10, v11, v10
	s_delay_alu instid0(VALU_DEP_2) | instskip(NEXT) | instid1(VALU_DEP_2)
	v_fma_f32 v11, v11, v9, -v14
	v_fmac_f32_e32 v10, v12, v9
	v_add_nc_u32_e32 v4, 1, v4
	s_delay_alu instid0(VALU_DEP_2) | instskip(NEXT) | instid1(VALU_DEP_2)
	v_dual_add_f32 v8, v8, v11 :: v_dual_add_f32 v3, v3, v10
	v_cmp_lt_u32_e32 vcc_lo, 21, v4
	s_wait_alu 0xfffe
	s_or_b32 s1, vcc_lo, s1
	s_wait_alu 0xfffe
	s_and_not1_b32 exec_lo, exec_lo, s1
	s_cbranch_execnz .LBB49_105
; %bb.106:
	s_or_b32 exec_lo, exec_lo, s1
	v_mov_b32_e32 v4, 0
	ds_load_b64 v[4:5], v4 offset:184
	s_wait_dscnt 0x0
	v_mul_f32_e32 v9, v3, v5
	v_mul_f32_e32 v6, v8, v5
	s_delay_alu instid0(VALU_DEP_2) | instskip(NEXT) | instid1(VALU_DEP_2)
	v_fma_f32 v5, v8, v4, -v9
	v_fmac_f32_e32 v6, v3, v4
	scratch_store_b64 off, v[5:6], off offset:184
.LBB49_107:
	s_wait_alu 0xfffe
	s_or_b32 exec_lo, exec_lo, s0
	s_wait_loadcnt 0x0
	s_wait_storecnt 0x0
	s_barrier_signal -1
	s_barrier_wait -1
	global_inv scope:SCOPE_SE
	scratch_load_b64 v[3:4], off, off offset:192
	s_mov_b32 s0, exec_lo
	s_wait_loadcnt 0x0
	ds_store_b64 v1, v[3:4]
	s_wait_dscnt 0x0
	s_barrier_signal -1
	s_barrier_wait -1
	global_inv scope:SCOPE_SE
	v_cmpx_gt_u32_e32 24, v0
	s_cbranch_execz .LBB49_111
; %bb.108:
	v_dual_mov_b32 v3, 0 :: v_dual_add_nc_u32 v4, -1, v0
	v_dual_mov_b32 v6, v13 :: v_dual_add_nc_u32 v5, 0x190, v13
	v_mov_b32_e32 v8, 0
	s_mov_b32 s1, 0
.LBB49_109:                             ; =>This Inner Loop Header: Depth=1
	scratch_load_b64 v[9:10], v6, off
	ds_load_b64 v[11:12], v5
	v_add_nc_u32_e32 v6, 8, v6
	s_wait_loadcnt_dscnt 0x0
	v_dual_mul_f32 v14, v12, v10 :: v_dual_add_nc_u32 v5, 8, v5
	v_mul_f32_e32 v10, v11, v10
	s_delay_alu instid0(VALU_DEP_2) | instskip(NEXT) | instid1(VALU_DEP_2)
	v_fma_f32 v11, v11, v9, -v14
	v_fmac_f32_e32 v10, v12, v9
	v_add_nc_u32_e32 v4, 1, v4
	s_delay_alu instid0(VALU_DEP_2) | instskip(NEXT) | instid1(VALU_DEP_2)
	v_dual_add_f32 v8, v8, v11 :: v_dual_add_f32 v3, v3, v10
	v_cmp_lt_u32_e32 vcc_lo, 22, v4
	s_wait_alu 0xfffe
	s_or_b32 s1, vcc_lo, s1
	s_wait_alu 0xfffe
	s_and_not1_b32 exec_lo, exec_lo, s1
	s_cbranch_execnz .LBB49_109
; %bb.110:
	s_or_b32 exec_lo, exec_lo, s1
	v_mov_b32_e32 v4, 0
	ds_load_b64 v[4:5], v4 offset:192
	s_wait_dscnt 0x0
	v_mul_f32_e32 v9, v3, v5
	v_mul_f32_e32 v6, v8, v5
	s_delay_alu instid0(VALU_DEP_2) | instskip(NEXT) | instid1(VALU_DEP_2)
	v_fma_f32 v5, v8, v4, -v9
	v_fmac_f32_e32 v6, v3, v4
	scratch_store_b64 off, v[5:6], off offset:192
.LBB49_111:
	s_wait_alu 0xfffe
	s_or_b32 exec_lo, exec_lo, s0
	s_wait_loadcnt 0x0
	s_wait_storecnt 0x0
	s_barrier_signal -1
	s_barrier_wait -1
	global_inv scope:SCOPE_SE
	scratch_load_b64 v[3:4], off, off offset:200
	s_mov_b32 s0, exec_lo
	s_wait_loadcnt 0x0
	ds_store_b64 v1, v[3:4]
	s_wait_dscnt 0x0
	s_barrier_signal -1
	s_barrier_wait -1
	global_inv scope:SCOPE_SE
	v_cmpx_gt_u32_e32 25, v0
	s_cbranch_execz .LBB49_115
; %bb.112:
	v_dual_mov_b32 v3, 0 :: v_dual_add_nc_u32 v4, -1, v0
	v_dual_mov_b32 v6, v13 :: v_dual_add_nc_u32 v5, 0x190, v13
	v_mov_b32_e32 v8, 0
	s_mov_b32 s1, 0
.LBB49_113:                             ; =>This Inner Loop Header: Depth=1
	scratch_load_b64 v[9:10], v6, off
	ds_load_b64 v[11:12], v5
	v_add_nc_u32_e32 v6, 8, v6
	s_wait_loadcnt_dscnt 0x0
	v_dual_mul_f32 v14, v12, v10 :: v_dual_add_nc_u32 v5, 8, v5
	v_mul_f32_e32 v10, v11, v10
	s_delay_alu instid0(VALU_DEP_2) | instskip(NEXT) | instid1(VALU_DEP_2)
	v_fma_f32 v11, v11, v9, -v14
	v_fmac_f32_e32 v10, v12, v9
	v_add_nc_u32_e32 v4, 1, v4
	s_delay_alu instid0(VALU_DEP_2) | instskip(NEXT) | instid1(VALU_DEP_2)
	v_dual_add_f32 v8, v8, v11 :: v_dual_add_f32 v3, v3, v10
	v_cmp_lt_u32_e32 vcc_lo, 23, v4
	s_wait_alu 0xfffe
	s_or_b32 s1, vcc_lo, s1
	s_wait_alu 0xfffe
	s_and_not1_b32 exec_lo, exec_lo, s1
	s_cbranch_execnz .LBB49_113
; %bb.114:
	s_or_b32 exec_lo, exec_lo, s1
	v_mov_b32_e32 v4, 0
	ds_load_b64 v[4:5], v4 offset:200
	s_wait_dscnt 0x0
	v_mul_f32_e32 v9, v3, v5
	v_mul_f32_e32 v6, v8, v5
	s_delay_alu instid0(VALU_DEP_2) | instskip(NEXT) | instid1(VALU_DEP_2)
	v_fma_f32 v5, v8, v4, -v9
	v_fmac_f32_e32 v6, v3, v4
	scratch_store_b64 off, v[5:6], off offset:200
.LBB49_115:
	s_wait_alu 0xfffe
	s_or_b32 exec_lo, exec_lo, s0
	s_wait_loadcnt 0x0
	s_wait_storecnt 0x0
	s_barrier_signal -1
	s_barrier_wait -1
	global_inv scope:SCOPE_SE
	scratch_load_b64 v[3:4], off, off offset:208
	s_mov_b32 s0, exec_lo
	s_wait_loadcnt 0x0
	ds_store_b64 v1, v[3:4]
	s_wait_dscnt 0x0
	s_barrier_signal -1
	s_barrier_wait -1
	global_inv scope:SCOPE_SE
	v_cmpx_gt_u32_e32 26, v0
	s_cbranch_execz .LBB49_119
; %bb.116:
	v_dual_mov_b32 v3, 0 :: v_dual_add_nc_u32 v4, -1, v0
	v_dual_mov_b32 v6, v13 :: v_dual_add_nc_u32 v5, 0x190, v13
	v_mov_b32_e32 v8, 0
	s_mov_b32 s1, 0
.LBB49_117:                             ; =>This Inner Loop Header: Depth=1
	scratch_load_b64 v[9:10], v6, off
	ds_load_b64 v[11:12], v5
	v_add_nc_u32_e32 v6, 8, v6
	s_wait_loadcnt_dscnt 0x0
	v_dual_mul_f32 v14, v12, v10 :: v_dual_add_nc_u32 v5, 8, v5
	v_mul_f32_e32 v10, v11, v10
	s_delay_alu instid0(VALU_DEP_2) | instskip(NEXT) | instid1(VALU_DEP_2)
	v_fma_f32 v11, v11, v9, -v14
	v_fmac_f32_e32 v10, v12, v9
	v_add_nc_u32_e32 v4, 1, v4
	s_delay_alu instid0(VALU_DEP_2) | instskip(NEXT) | instid1(VALU_DEP_2)
	v_dual_add_f32 v8, v8, v11 :: v_dual_add_f32 v3, v3, v10
	v_cmp_lt_u32_e32 vcc_lo, 24, v4
	s_wait_alu 0xfffe
	s_or_b32 s1, vcc_lo, s1
	s_wait_alu 0xfffe
	s_and_not1_b32 exec_lo, exec_lo, s1
	s_cbranch_execnz .LBB49_117
; %bb.118:
	s_or_b32 exec_lo, exec_lo, s1
	v_mov_b32_e32 v4, 0
	ds_load_b64 v[4:5], v4 offset:208
	s_wait_dscnt 0x0
	v_mul_f32_e32 v9, v3, v5
	v_mul_f32_e32 v6, v8, v5
	s_delay_alu instid0(VALU_DEP_2) | instskip(NEXT) | instid1(VALU_DEP_2)
	v_fma_f32 v5, v8, v4, -v9
	v_fmac_f32_e32 v6, v3, v4
	scratch_store_b64 off, v[5:6], off offset:208
.LBB49_119:
	s_wait_alu 0xfffe
	s_or_b32 exec_lo, exec_lo, s0
	s_wait_loadcnt 0x0
	s_wait_storecnt 0x0
	s_barrier_signal -1
	s_barrier_wait -1
	global_inv scope:SCOPE_SE
	scratch_load_b64 v[3:4], off, off offset:216
	s_mov_b32 s0, exec_lo
	s_wait_loadcnt 0x0
	ds_store_b64 v1, v[3:4]
	s_wait_dscnt 0x0
	s_barrier_signal -1
	s_barrier_wait -1
	global_inv scope:SCOPE_SE
	v_cmpx_gt_u32_e32 27, v0
	s_cbranch_execz .LBB49_123
; %bb.120:
	v_dual_mov_b32 v3, 0 :: v_dual_add_nc_u32 v4, -1, v0
	v_dual_mov_b32 v6, v13 :: v_dual_add_nc_u32 v5, 0x190, v13
	v_mov_b32_e32 v8, 0
	s_mov_b32 s1, 0
.LBB49_121:                             ; =>This Inner Loop Header: Depth=1
	scratch_load_b64 v[9:10], v6, off
	ds_load_b64 v[11:12], v5
	v_add_nc_u32_e32 v6, 8, v6
	s_wait_loadcnt_dscnt 0x0
	v_dual_mul_f32 v14, v12, v10 :: v_dual_add_nc_u32 v5, 8, v5
	v_mul_f32_e32 v10, v11, v10
	s_delay_alu instid0(VALU_DEP_2) | instskip(NEXT) | instid1(VALU_DEP_2)
	v_fma_f32 v11, v11, v9, -v14
	v_fmac_f32_e32 v10, v12, v9
	v_add_nc_u32_e32 v4, 1, v4
	s_delay_alu instid0(VALU_DEP_2) | instskip(NEXT) | instid1(VALU_DEP_2)
	v_dual_add_f32 v8, v8, v11 :: v_dual_add_f32 v3, v3, v10
	v_cmp_lt_u32_e32 vcc_lo, 25, v4
	s_wait_alu 0xfffe
	s_or_b32 s1, vcc_lo, s1
	s_wait_alu 0xfffe
	s_and_not1_b32 exec_lo, exec_lo, s1
	s_cbranch_execnz .LBB49_121
; %bb.122:
	s_or_b32 exec_lo, exec_lo, s1
	v_mov_b32_e32 v4, 0
	ds_load_b64 v[4:5], v4 offset:216
	s_wait_dscnt 0x0
	v_mul_f32_e32 v9, v3, v5
	v_mul_f32_e32 v6, v8, v5
	s_delay_alu instid0(VALU_DEP_2) | instskip(NEXT) | instid1(VALU_DEP_2)
	v_fma_f32 v5, v8, v4, -v9
	v_fmac_f32_e32 v6, v3, v4
	scratch_store_b64 off, v[5:6], off offset:216
.LBB49_123:
	s_wait_alu 0xfffe
	s_or_b32 exec_lo, exec_lo, s0
	s_wait_loadcnt 0x0
	s_wait_storecnt 0x0
	s_barrier_signal -1
	s_barrier_wait -1
	global_inv scope:SCOPE_SE
	scratch_load_b64 v[3:4], off, off offset:224
	s_mov_b32 s0, exec_lo
	s_wait_loadcnt 0x0
	ds_store_b64 v1, v[3:4]
	s_wait_dscnt 0x0
	s_barrier_signal -1
	s_barrier_wait -1
	global_inv scope:SCOPE_SE
	v_cmpx_gt_u32_e32 28, v0
	s_cbranch_execz .LBB49_127
; %bb.124:
	v_dual_mov_b32 v3, 0 :: v_dual_add_nc_u32 v4, -1, v0
	v_dual_mov_b32 v6, v13 :: v_dual_add_nc_u32 v5, 0x190, v13
	v_mov_b32_e32 v8, 0
	s_mov_b32 s1, 0
.LBB49_125:                             ; =>This Inner Loop Header: Depth=1
	scratch_load_b64 v[9:10], v6, off
	ds_load_b64 v[11:12], v5
	v_add_nc_u32_e32 v6, 8, v6
	s_wait_loadcnt_dscnt 0x0
	v_dual_mul_f32 v14, v12, v10 :: v_dual_add_nc_u32 v5, 8, v5
	v_mul_f32_e32 v10, v11, v10
	s_delay_alu instid0(VALU_DEP_2) | instskip(NEXT) | instid1(VALU_DEP_2)
	v_fma_f32 v11, v11, v9, -v14
	v_fmac_f32_e32 v10, v12, v9
	v_add_nc_u32_e32 v4, 1, v4
	s_delay_alu instid0(VALU_DEP_2) | instskip(NEXT) | instid1(VALU_DEP_2)
	v_dual_add_f32 v8, v8, v11 :: v_dual_add_f32 v3, v3, v10
	v_cmp_lt_u32_e32 vcc_lo, 26, v4
	s_wait_alu 0xfffe
	s_or_b32 s1, vcc_lo, s1
	s_wait_alu 0xfffe
	s_and_not1_b32 exec_lo, exec_lo, s1
	s_cbranch_execnz .LBB49_125
; %bb.126:
	s_or_b32 exec_lo, exec_lo, s1
	v_mov_b32_e32 v4, 0
	ds_load_b64 v[4:5], v4 offset:224
	s_wait_dscnt 0x0
	v_mul_f32_e32 v9, v3, v5
	v_mul_f32_e32 v6, v8, v5
	s_delay_alu instid0(VALU_DEP_2) | instskip(NEXT) | instid1(VALU_DEP_2)
	v_fma_f32 v5, v8, v4, -v9
	v_fmac_f32_e32 v6, v3, v4
	scratch_store_b64 off, v[5:6], off offset:224
.LBB49_127:
	s_wait_alu 0xfffe
	s_or_b32 exec_lo, exec_lo, s0
	s_wait_loadcnt 0x0
	s_wait_storecnt 0x0
	s_barrier_signal -1
	s_barrier_wait -1
	global_inv scope:SCOPE_SE
	scratch_load_b64 v[3:4], off, off offset:232
	s_mov_b32 s0, exec_lo
	s_wait_loadcnt 0x0
	ds_store_b64 v1, v[3:4]
	s_wait_dscnt 0x0
	s_barrier_signal -1
	s_barrier_wait -1
	global_inv scope:SCOPE_SE
	v_cmpx_gt_u32_e32 29, v0
	s_cbranch_execz .LBB49_131
; %bb.128:
	v_dual_mov_b32 v3, 0 :: v_dual_add_nc_u32 v4, -1, v0
	v_dual_mov_b32 v6, v13 :: v_dual_add_nc_u32 v5, 0x190, v13
	v_mov_b32_e32 v8, 0
	s_mov_b32 s1, 0
.LBB49_129:                             ; =>This Inner Loop Header: Depth=1
	scratch_load_b64 v[9:10], v6, off
	ds_load_b64 v[11:12], v5
	v_add_nc_u32_e32 v6, 8, v6
	s_wait_loadcnt_dscnt 0x0
	v_dual_mul_f32 v14, v12, v10 :: v_dual_add_nc_u32 v5, 8, v5
	v_mul_f32_e32 v10, v11, v10
	s_delay_alu instid0(VALU_DEP_2) | instskip(NEXT) | instid1(VALU_DEP_2)
	v_fma_f32 v11, v11, v9, -v14
	v_fmac_f32_e32 v10, v12, v9
	v_add_nc_u32_e32 v4, 1, v4
	s_delay_alu instid0(VALU_DEP_2) | instskip(NEXT) | instid1(VALU_DEP_2)
	v_dual_add_f32 v8, v8, v11 :: v_dual_add_f32 v3, v3, v10
	v_cmp_lt_u32_e32 vcc_lo, 27, v4
	s_wait_alu 0xfffe
	s_or_b32 s1, vcc_lo, s1
	s_wait_alu 0xfffe
	s_and_not1_b32 exec_lo, exec_lo, s1
	s_cbranch_execnz .LBB49_129
; %bb.130:
	s_or_b32 exec_lo, exec_lo, s1
	v_mov_b32_e32 v4, 0
	ds_load_b64 v[4:5], v4 offset:232
	s_wait_dscnt 0x0
	v_mul_f32_e32 v9, v3, v5
	v_mul_f32_e32 v6, v8, v5
	s_delay_alu instid0(VALU_DEP_2) | instskip(NEXT) | instid1(VALU_DEP_2)
	v_fma_f32 v5, v8, v4, -v9
	v_fmac_f32_e32 v6, v3, v4
	scratch_store_b64 off, v[5:6], off offset:232
.LBB49_131:
	s_wait_alu 0xfffe
	s_or_b32 exec_lo, exec_lo, s0
	s_wait_loadcnt 0x0
	s_wait_storecnt 0x0
	s_barrier_signal -1
	s_barrier_wait -1
	global_inv scope:SCOPE_SE
	scratch_load_b64 v[3:4], off, off offset:240
	s_mov_b32 s0, exec_lo
	s_wait_loadcnt 0x0
	ds_store_b64 v1, v[3:4]
	s_wait_dscnt 0x0
	s_barrier_signal -1
	s_barrier_wait -1
	global_inv scope:SCOPE_SE
	v_cmpx_gt_u32_e32 30, v0
	s_cbranch_execz .LBB49_135
; %bb.132:
	v_dual_mov_b32 v3, 0 :: v_dual_add_nc_u32 v4, -1, v0
	v_dual_mov_b32 v6, v13 :: v_dual_add_nc_u32 v5, 0x190, v13
	v_mov_b32_e32 v8, 0
	s_mov_b32 s1, 0
.LBB49_133:                             ; =>This Inner Loop Header: Depth=1
	scratch_load_b64 v[9:10], v6, off
	ds_load_b64 v[11:12], v5
	v_add_nc_u32_e32 v6, 8, v6
	s_wait_loadcnt_dscnt 0x0
	v_dual_mul_f32 v14, v12, v10 :: v_dual_add_nc_u32 v5, 8, v5
	v_mul_f32_e32 v10, v11, v10
	s_delay_alu instid0(VALU_DEP_2) | instskip(NEXT) | instid1(VALU_DEP_2)
	v_fma_f32 v11, v11, v9, -v14
	v_fmac_f32_e32 v10, v12, v9
	v_add_nc_u32_e32 v4, 1, v4
	s_delay_alu instid0(VALU_DEP_2) | instskip(NEXT) | instid1(VALU_DEP_2)
	v_dual_add_f32 v8, v8, v11 :: v_dual_add_f32 v3, v3, v10
	v_cmp_lt_u32_e32 vcc_lo, 28, v4
	s_wait_alu 0xfffe
	s_or_b32 s1, vcc_lo, s1
	s_wait_alu 0xfffe
	s_and_not1_b32 exec_lo, exec_lo, s1
	s_cbranch_execnz .LBB49_133
; %bb.134:
	s_or_b32 exec_lo, exec_lo, s1
	v_mov_b32_e32 v4, 0
	ds_load_b64 v[4:5], v4 offset:240
	s_wait_dscnt 0x0
	v_mul_f32_e32 v9, v3, v5
	v_mul_f32_e32 v6, v8, v5
	s_delay_alu instid0(VALU_DEP_2) | instskip(NEXT) | instid1(VALU_DEP_2)
	v_fma_f32 v5, v8, v4, -v9
	v_fmac_f32_e32 v6, v3, v4
	scratch_store_b64 off, v[5:6], off offset:240
.LBB49_135:
	s_wait_alu 0xfffe
	s_or_b32 exec_lo, exec_lo, s0
	s_wait_loadcnt 0x0
	s_wait_storecnt 0x0
	s_barrier_signal -1
	s_barrier_wait -1
	global_inv scope:SCOPE_SE
	scratch_load_b64 v[3:4], off, off offset:248
	s_mov_b32 s0, exec_lo
	s_wait_loadcnt 0x0
	ds_store_b64 v1, v[3:4]
	s_wait_dscnt 0x0
	s_barrier_signal -1
	s_barrier_wait -1
	global_inv scope:SCOPE_SE
	v_cmpx_gt_u32_e32 31, v0
	s_cbranch_execz .LBB49_139
; %bb.136:
	v_dual_mov_b32 v3, 0 :: v_dual_add_nc_u32 v4, -1, v0
	v_dual_mov_b32 v6, v13 :: v_dual_add_nc_u32 v5, 0x190, v13
	v_mov_b32_e32 v8, 0
	s_mov_b32 s1, 0
.LBB49_137:                             ; =>This Inner Loop Header: Depth=1
	scratch_load_b64 v[9:10], v6, off
	ds_load_b64 v[11:12], v5
	v_add_nc_u32_e32 v6, 8, v6
	s_wait_loadcnt_dscnt 0x0
	v_dual_mul_f32 v14, v12, v10 :: v_dual_add_nc_u32 v5, 8, v5
	v_mul_f32_e32 v10, v11, v10
	s_delay_alu instid0(VALU_DEP_2) | instskip(NEXT) | instid1(VALU_DEP_2)
	v_fma_f32 v11, v11, v9, -v14
	v_fmac_f32_e32 v10, v12, v9
	v_add_nc_u32_e32 v4, 1, v4
	s_delay_alu instid0(VALU_DEP_2) | instskip(NEXT) | instid1(VALU_DEP_2)
	v_dual_add_f32 v8, v8, v11 :: v_dual_add_f32 v3, v3, v10
	v_cmp_lt_u32_e32 vcc_lo, 29, v4
	s_wait_alu 0xfffe
	s_or_b32 s1, vcc_lo, s1
	s_wait_alu 0xfffe
	s_and_not1_b32 exec_lo, exec_lo, s1
	s_cbranch_execnz .LBB49_137
; %bb.138:
	s_or_b32 exec_lo, exec_lo, s1
	v_mov_b32_e32 v4, 0
	ds_load_b64 v[4:5], v4 offset:248
	s_wait_dscnt 0x0
	v_mul_f32_e32 v9, v3, v5
	v_mul_f32_e32 v6, v8, v5
	s_delay_alu instid0(VALU_DEP_2) | instskip(NEXT) | instid1(VALU_DEP_2)
	v_fma_f32 v5, v8, v4, -v9
	v_fmac_f32_e32 v6, v3, v4
	scratch_store_b64 off, v[5:6], off offset:248
.LBB49_139:
	s_wait_alu 0xfffe
	s_or_b32 exec_lo, exec_lo, s0
	s_wait_loadcnt 0x0
	s_wait_storecnt 0x0
	s_barrier_signal -1
	s_barrier_wait -1
	global_inv scope:SCOPE_SE
	scratch_load_b64 v[3:4], off, off offset:256
	s_mov_b32 s0, exec_lo
	s_wait_loadcnt 0x0
	ds_store_b64 v1, v[3:4]
	s_wait_dscnt 0x0
	s_barrier_signal -1
	s_barrier_wait -1
	global_inv scope:SCOPE_SE
	v_cmpx_gt_u32_e32 32, v0
	s_cbranch_execz .LBB49_143
; %bb.140:
	v_dual_mov_b32 v3, 0 :: v_dual_add_nc_u32 v4, -1, v0
	v_dual_mov_b32 v6, v13 :: v_dual_add_nc_u32 v5, 0x190, v13
	v_mov_b32_e32 v8, 0
	s_mov_b32 s1, 0
.LBB49_141:                             ; =>This Inner Loop Header: Depth=1
	scratch_load_b64 v[9:10], v6, off
	ds_load_b64 v[11:12], v5
	v_add_nc_u32_e32 v6, 8, v6
	s_wait_loadcnt_dscnt 0x0
	v_dual_mul_f32 v14, v12, v10 :: v_dual_add_nc_u32 v5, 8, v5
	v_mul_f32_e32 v10, v11, v10
	s_delay_alu instid0(VALU_DEP_2) | instskip(NEXT) | instid1(VALU_DEP_2)
	v_fma_f32 v11, v11, v9, -v14
	v_fmac_f32_e32 v10, v12, v9
	v_add_nc_u32_e32 v4, 1, v4
	s_delay_alu instid0(VALU_DEP_2) | instskip(NEXT) | instid1(VALU_DEP_2)
	v_dual_add_f32 v8, v8, v11 :: v_dual_add_f32 v3, v3, v10
	v_cmp_lt_u32_e32 vcc_lo, 30, v4
	s_wait_alu 0xfffe
	s_or_b32 s1, vcc_lo, s1
	s_wait_alu 0xfffe
	s_and_not1_b32 exec_lo, exec_lo, s1
	s_cbranch_execnz .LBB49_141
; %bb.142:
	s_or_b32 exec_lo, exec_lo, s1
	v_mov_b32_e32 v4, 0
	ds_load_b64 v[4:5], v4 offset:256
	s_wait_dscnt 0x0
	v_mul_f32_e32 v9, v3, v5
	v_mul_f32_e32 v6, v8, v5
	s_delay_alu instid0(VALU_DEP_2) | instskip(NEXT) | instid1(VALU_DEP_2)
	v_fma_f32 v5, v8, v4, -v9
	v_fmac_f32_e32 v6, v3, v4
	scratch_store_b64 off, v[5:6], off offset:256
.LBB49_143:
	s_wait_alu 0xfffe
	s_or_b32 exec_lo, exec_lo, s0
	s_wait_loadcnt 0x0
	s_wait_storecnt 0x0
	s_barrier_signal -1
	s_barrier_wait -1
	global_inv scope:SCOPE_SE
	scratch_load_b64 v[3:4], off, off offset:264
	s_mov_b32 s0, exec_lo
	s_wait_loadcnt 0x0
	ds_store_b64 v1, v[3:4]
	s_wait_dscnt 0x0
	s_barrier_signal -1
	s_barrier_wait -1
	global_inv scope:SCOPE_SE
	v_cmpx_gt_u32_e32 33, v0
	s_cbranch_execz .LBB49_147
; %bb.144:
	v_dual_mov_b32 v3, 0 :: v_dual_add_nc_u32 v4, -1, v0
	v_dual_mov_b32 v6, v13 :: v_dual_add_nc_u32 v5, 0x190, v13
	v_mov_b32_e32 v8, 0
	s_mov_b32 s1, 0
.LBB49_145:                             ; =>This Inner Loop Header: Depth=1
	scratch_load_b64 v[9:10], v6, off
	ds_load_b64 v[11:12], v5
	v_add_nc_u32_e32 v6, 8, v6
	s_wait_loadcnt_dscnt 0x0
	v_dual_mul_f32 v14, v12, v10 :: v_dual_add_nc_u32 v5, 8, v5
	v_mul_f32_e32 v10, v11, v10
	s_delay_alu instid0(VALU_DEP_2) | instskip(NEXT) | instid1(VALU_DEP_2)
	v_fma_f32 v11, v11, v9, -v14
	v_fmac_f32_e32 v10, v12, v9
	v_add_nc_u32_e32 v4, 1, v4
	s_delay_alu instid0(VALU_DEP_2) | instskip(NEXT) | instid1(VALU_DEP_2)
	v_dual_add_f32 v8, v8, v11 :: v_dual_add_f32 v3, v3, v10
	v_cmp_lt_u32_e32 vcc_lo, 31, v4
	s_wait_alu 0xfffe
	s_or_b32 s1, vcc_lo, s1
	s_wait_alu 0xfffe
	s_and_not1_b32 exec_lo, exec_lo, s1
	s_cbranch_execnz .LBB49_145
; %bb.146:
	s_or_b32 exec_lo, exec_lo, s1
	v_mov_b32_e32 v4, 0
	ds_load_b64 v[4:5], v4 offset:264
	s_wait_dscnt 0x0
	v_mul_f32_e32 v9, v3, v5
	v_mul_f32_e32 v6, v8, v5
	s_delay_alu instid0(VALU_DEP_2) | instskip(NEXT) | instid1(VALU_DEP_2)
	v_fma_f32 v5, v8, v4, -v9
	v_fmac_f32_e32 v6, v3, v4
	scratch_store_b64 off, v[5:6], off offset:264
.LBB49_147:
	s_wait_alu 0xfffe
	s_or_b32 exec_lo, exec_lo, s0
	s_wait_loadcnt 0x0
	s_wait_storecnt 0x0
	s_barrier_signal -1
	s_barrier_wait -1
	global_inv scope:SCOPE_SE
	scratch_load_b64 v[3:4], off, off offset:272
	s_mov_b32 s0, exec_lo
	s_wait_loadcnt 0x0
	ds_store_b64 v1, v[3:4]
	s_wait_dscnt 0x0
	s_barrier_signal -1
	s_barrier_wait -1
	global_inv scope:SCOPE_SE
	v_cmpx_gt_u32_e32 34, v0
	s_cbranch_execz .LBB49_151
; %bb.148:
	v_dual_mov_b32 v3, 0 :: v_dual_add_nc_u32 v4, -1, v0
	v_dual_mov_b32 v6, v13 :: v_dual_add_nc_u32 v5, 0x190, v13
	v_mov_b32_e32 v8, 0
	s_mov_b32 s1, 0
.LBB49_149:                             ; =>This Inner Loop Header: Depth=1
	scratch_load_b64 v[9:10], v6, off
	ds_load_b64 v[11:12], v5
	v_add_nc_u32_e32 v6, 8, v6
	s_wait_loadcnt_dscnt 0x0
	v_dual_mul_f32 v14, v12, v10 :: v_dual_add_nc_u32 v5, 8, v5
	v_mul_f32_e32 v10, v11, v10
	s_delay_alu instid0(VALU_DEP_2) | instskip(NEXT) | instid1(VALU_DEP_2)
	v_fma_f32 v11, v11, v9, -v14
	v_fmac_f32_e32 v10, v12, v9
	v_add_nc_u32_e32 v4, 1, v4
	s_delay_alu instid0(VALU_DEP_2) | instskip(NEXT) | instid1(VALU_DEP_2)
	v_dual_add_f32 v8, v8, v11 :: v_dual_add_f32 v3, v3, v10
	v_cmp_lt_u32_e32 vcc_lo, 32, v4
	s_wait_alu 0xfffe
	s_or_b32 s1, vcc_lo, s1
	s_wait_alu 0xfffe
	s_and_not1_b32 exec_lo, exec_lo, s1
	s_cbranch_execnz .LBB49_149
; %bb.150:
	s_or_b32 exec_lo, exec_lo, s1
	v_mov_b32_e32 v4, 0
	ds_load_b64 v[4:5], v4 offset:272
	s_wait_dscnt 0x0
	v_mul_f32_e32 v9, v3, v5
	v_mul_f32_e32 v6, v8, v5
	s_delay_alu instid0(VALU_DEP_2) | instskip(NEXT) | instid1(VALU_DEP_2)
	v_fma_f32 v5, v8, v4, -v9
	v_fmac_f32_e32 v6, v3, v4
	scratch_store_b64 off, v[5:6], off offset:272
.LBB49_151:
	s_wait_alu 0xfffe
	s_or_b32 exec_lo, exec_lo, s0
	s_wait_loadcnt 0x0
	s_wait_storecnt 0x0
	s_barrier_signal -1
	s_barrier_wait -1
	global_inv scope:SCOPE_SE
	scratch_load_b64 v[3:4], off, off offset:280
	s_mov_b32 s0, exec_lo
	s_wait_loadcnt 0x0
	ds_store_b64 v1, v[3:4]
	s_wait_dscnt 0x0
	s_barrier_signal -1
	s_barrier_wait -1
	global_inv scope:SCOPE_SE
	v_cmpx_gt_u32_e32 35, v0
	s_cbranch_execz .LBB49_155
; %bb.152:
	v_dual_mov_b32 v3, 0 :: v_dual_add_nc_u32 v4, -1, v0
	v_dual_mov_b32 v6, v13 :: v_dual_add_nc_u32 v5, 0x190, v13
	v_mov_b32_e32 v8, 0
	s_mov_b32 s1, 0
.LBB49_153:                             ; =>This Inner Loop Header: Depth=1
	scratch_load_b64 v[9:10], v6, off
	ds_load_b64 v[11:12], v5
	v_add_nc_u32_e32 v6, 8, v6
	s_wait_loadcnt_dscnt 0x0
	v_dual_mul_f32 v14, v12, v10 :: v_dual_add_nc_u32 v5, 8, v5
	v_mul_f32_e32 v10, v11, v10
	s_delay_alu instid0(VALU_DEP_2) | instskip(NEXT) | instid1(VALU_DEP_2)
	v_fma_f32 v11, v11, v9, -v14
	v_fmac_f32_e32 v10, v12, v9
	v_add_nc_u32_e32 v4, 1, v4
	s_delay_alu instid0(VALU_DEP_2) | instskip(NEXT) | instid1(VALU_DEP_2)
	v_dual_add_f32 v8, v8, v11 :: v_dual_add_f32 v3, v3, v10
	v_cmp_lt_u32_e32 vcc_lo, 33, v4
	s_wait_alu 0xfffe
	s_or_b32 s1, vcc_lo, s1
	s_wait_alu 0xfffe
	s_and_not1_b32 exec_lo, exec_lo, s1
	s_cbranch_execnz .LBB49_153
; %bb.154:
	s_or_b32 exec_lo, exec_lo, s1
	v_mov_b32_e32 v4, 0
	ds_load_b64 v[4:5], v4 offset:280
	s_wait_dscnt 0x0
	v_mul_f32_e32 v9, v3, v5
	v_mul_f32_e32 v6, v8, v5
	s_delay_alu instid0(VALU_DEP_2) | instskip(NEXT) | instid1(VALU_DEP_2)
	v_fma_f32 v5, v8, v4, -v9
	v_fmac_f32_e32 v6, v3, v4
	scratch_store_b64 off, v[5:6], off offset:280
.LBB49_155:
	s_wait_alu 0xfffe
	s_or_b32 exec_lo, exec_lo, s0
	s_wait_loadcnt 0x0
	s_wait_storecnt 0x0
	s_barrier_signal -1
	s_barrier_wait -1
	global_inv scope:SCOPE_SE
	scratch_load_b64 v[3:4], off, off offset:288
	s_mov_b32 s0, exec_lo
	s_wait_loadcnt 0x0
	ds_store_b64 v1, v[3:4]
	s_wait_dscnt 0x0
	s_barrier_signal -1
	s_barrier_wait -1
	global_inv scope:SCOPE_SE
	v_cmpx_gt_u32_e32 36, v0
	s_cbranch_execz .LBB49_159
; %bb.156:
	v_dual_mov_b32 v3, 0 :: v_dual_add_nc_u32 v4, -1, v0
	v_dual_mov_b32 v6, v13 :: v_dual_add_nc_u32 v5, 0x190, v13
	v_mov_b32_e32 v8, 0
	s_mov_b32 s1, 0
.LBB49_157:                             ; =>This Inner Loop Header: Depth=1
	scratch_load_b64 v[9:10], v6, off
	ds_load_b64 v[11:12], v5
	v_add_nc_u32_e32 v6, 8, v6
	s_wait_loadcnt_dscnt 0x0
	v_dual_mul_f32 v14, v12, v10 :: v_dual_add_nc_u32 v5, 8, v5
	v_mul_f32_e32 v10, v11, v10
	s_delay_alu instid0(VALU_DEP_2) | instskip(NEXT) | instid1(VALU_DEP_2)
	v_fma_f32 v11, v11, v9, -v14
	v_fmac_f32_e32 v10, v12, v9
	v_add_nc_u32_e32 v4, 1, v4
	s_delay_alu instid0(VALU_DEP_2) | instskip(NEXT) | instid1(VALU_DEP_2)
	v_dual_add_f32 v8, v8, v11 :: v_dual_add_f32 v3, v3, v10
	v_cmp_lt_u32_e32 vcc_lo, 34, v4
	s_wait_alu 0xfffe
	s_or_b32 s1, vcc_lo, s1
	s_wait_alu 0xfffe
	s_and_not1_b32 exec_lo, exec_lo, s1
	s_cbranch_execnz .LBB49_157
; %bb.158:
	s_or_b32 exec_lo, exec_lo, s1
	v_mov_b32_e32 v4, 0
	ds_load_b64 v[4:5], v4 offset:288
	s_wait_dscnt 0x0
	v_mul_f32_e32 v9, v3, v5
	v_mul_f32_e32 v6, v8, v5
	s_delay_alu instid0(VALU_DEP_2) | instskip(NEXT) | instid1(VALU_DEP_2)
	v_fma_f32 v5, v8, v4, -v9
	v_fmac_f32_e32 v6, v3, v4
	scratch_store_b64 off, v[5:6], off offset:288
.LBB49_159:
	s_wait_alu 0xfffe
	s_or_b32 exec_lo, exec_lo, s0
	s_wait_loadcnt 0x0
	s_wait_storecnt 0x0
	s_barrier_signal -1
	s_barrier_wait -1
	global_inv scope:SCOPE_SE
	scratch_load_b64 v[3:4], off, off offset:296
	s_mov_b32 s0, exec_lo
	s_wait_loadcnt 0x0
	ds_store_b64 v1, v[3:4]
	s_wait_dscnt 0x0
	s_barrier_signal -1
	s_barrier_wait -1
	global_inv scope:SCOPE_SE
	v_cmpx_gt_u32_e32 37, v0
	s_cbranch_execz .LBB49_163
; %bb.160:
	v_dual_mov_b32 v3, 0 :: v_dual_add_nc_u32 v4, -1, v0
	v_dual_mov_b32 v6, v13 :: v_dual_add_nc_u32 v5, 0x190, v13
	v_mov_b32_e32 v8, 0
	s_mov_b32 s1, 0
.LBB49_161:                             ; =>This Inner Loop Header: Depth=1
	scratch_load_b64 v[9:10], v6, off
	ds_load_b64 v[11:12], v5
	v_add_nc_u32_e32 v6, 8, v6
	s_wait_loadcnt_dscnt 0x0
	v_dual_mul_f32 v14, v12, v10 :: v_dual_add_nc_u32 v5, 8, v5
	v_mul_f32_e32 v10, v11, v10
	s_delay_alu instid0(VALU_DEP_2) | instskip(NEXT) | instid1(VALU_DEP_2)
	v_fma_f32 v11, v11, v9, -v14
	v_fmac_f32_e32 v10, v12, v9
	v_add_nc_u32_e32 v4, 1, v4
	s_delay_alu instid0(VALU_DEP_2) | instskip(NEXT) | instid1(VALU_DEP_2)
	v_dual_add_f32 v8, v8, v11 :: v_dual_add_f32 v3, v3, v10
	v_cmp_lt_u32_e32 vcc_lo, 35, v4
	s_wait_alu 0xfffe
	s_or_b32 s1, vcc_lo, s1
	s_wait_alu 0xfffe
	s_and_not1_b32 exec_lo, exec_lo, s1
	s_cbranch_execnz .LBB49_161
; %bb.162:
	s_or_b32 exec_lo, exec_lo, s1
	v_mov_b32_e32 v4, 0
	ds_load_b64 v[4:5], v4 offset:296
	s_wait_dscnt 0x0
	v_mul_f32_e32 v9, v3, v5
	v_mul_f32_e32 v6, v8, v5
	s_delay_alu instid0(VALU_DEP_2) | instskip(NEXT) | instid1(VALU_DEP_2)
	v_fma_f32 v5, v8, v4, -v9
	v_fmac_f32_e32 v6, v3, v4
	scratch_store_b64 off, v[5:6], off offset:296
.LBB49_163:
	s_wait_alu 0xfffe
	s_or_b32 exec_lo, exec_lo, s0
	s_wait_loadcnt 0x0
	s_wait_storecnt 0x0
	s_barrier_signal -1
	s_barrier_wait -1
	global_inv scope:SCOPE_SE
	scratch_load_b64 v[3:4], off, off offset:304
	s_mov_b32 s0, exec_lo
	s_wait_loadcnt 0x0
	ds_store_b64 v1, v[3:4]
	s_wait_dscnt 0x0
	s_barrier_signal -1
	s_barrier_wait -1
	global_inv scope:SCOPE_SE
	v_cmpx_gt_u32_e32 38, v0
	s_cbranch_execz .LBB49_167
; %bb.164:
	v_dual_mov_b32 v3, 0 :: v_dual_add_nc_u32 v4, -1, v0
	v_dual_mov_b32 v6, v13 :: v_dual_add_nc_u32 v5, 0x190, v13
	v_mov_b32_e32 v8, 0
	s_mov_b32 s1, 0
.LBB49_165:                             ; =>This Inner Loop Header: Depth=1
	scratch_load_b64 v[9:10], v6, off
	ds_load_b64 v[11:12], v5
	v_add_nc_u32_e32 v6, 8, v6
	s_wait_loadcnt_dscnt 0x0
	v_dual_mul_f32 v14, v12, v10 :: v_dual_add_nc_u32 v5, 8, v5
	v_mul_f32_e32 v10, v11, v10
	s_delay_alu instid0(VALU_DEP_2) | instskip(NEXT) | instid1(VALU_DEP_2)
	v_fma_f32 v11, v11, v9, -v14
	v_fmac_f32_e32 v10, v12, v9
	v_add_nc_u32_e32 v4, 1, v4
	s_delay_alu instid0(VALU_DEP_2) | instskip(NEXT) | instid1(VALU_DEP_2)
	v_dual_add_f32 v8, v8, v11 :: v_dual_add_f32 v3, v3, v10
	v_cmp_lt_u32_e32 vcc_lo, 36, v4
	s_wait_alu 0xfffe
	s_or_b32 s1, vcc_lo, s1
	s_wait_alu 0xfffe
	s_and_not1_b32 exec_lo, exec_lo, s1
	s_cbranch_execnz .LBB49_165
; %bb.166:
	s_or_b32 exec_lo, exec_lo, s1
	v_mov_b32_e32 v4, 0
	ds_load_b64 v[4:5], v4 offset:304
	s_wait_dscnt 0x0
	v_mul_f32_e32 v9, v3, v5
	v_mul_f32_e32 v6, v8, v5
	s_delay_alu instid0(VALU_DEP_2) | instskip(NEXT) | instid1(VALU_DEP_2)
	v_fma_f32 v5, v8, v4, -v9
	v_fmac_f32_e32 v6, v3, v4
	scratch_store_b64 off, v[5:6], off offset:304
.LBB49_167:
	s_wait_alu 0xfffe
	s_or_b32 exec_lo, exec_lo, s0
	s_wait_loadcnt 0x0
	s_wait_storecnt 0x0
	s_barrier_signal -1
	s_barrier_wait -1
	global_inv scope:SCOPE_SE
	scratch_load_b64 v[3:4], off, off offset:312
	s_mov_b32 s0, exec_lo
	s_wait_loadcnt 0x0
	ds_store_b64 v1, v[3:4]
	s_wait_dscnt 0x0
	s_barrier_signal -1
	s_barrier_wait -1
	global_inv scope:SCOPE_SE
	v_cmpx_gt_u32_e32 39, v0
	s_cbranch_execz .LBB49_171
; %bb.168:
	v_dual_mov_b32 v3, 0 :: v_dual_add_nc_u32 v4, -1, v0
	v_dual_mov_b32 v6, v13 :: v_dual_add_nc_u32 v5, 0x190, v13
	v_mov_b32_e32 v8, 0
	s_mov_b32 s1, 0
.LBB49_169:                             ; =>This Inner Loop Header: Depth=1
	scratch_load_b64 v[9:10], v6, off
	ds_load_b64 v[11:12], v5
	v_add_nc_u32_e32 v6, 8, v6
	s_wait_loadcnt_dscnt 0x0
	v_dual_mul_f32 v14, v12, v10 :: v_dual_add_nc_u32 v5, 8, v5
	v_mul_f32_e32 v10, v11, v10
	s_delay_alu instid0(VALU_DEP_2) | instskip(NEXT) | instid1(VALU_DEP_2)
	v_fma_f32 v11, v11, v9, -v14
	v_fmac_f32_e32 v10, v12, v9
	v_add_nc_u32_e32 v4, 1, v4
	s_delay_alu instid0(VALU_DEP_2) | instskip(NEXT) | instid1(VALU_DEP_2)
	v_dual_add_f32 v8, v8, v11 :: v_dual_add_f32 v3, v3, v10
	v_cmp_lt_u32_e32 vcc_lo, 37, v4
	s_wait_alu 0xfffe
	s_or_b32 s1, vcc_lo, s1
	s_wait_alu 0xfffe
	s_and_not1_b32 exec_lo, exec_lo, s1
	s_cbranch_execnz .LBB49_169
; %bb.170:
	s_or_b32 exec_lo, exec_lo, s1
	v_mov_b32_e32 v4, 0
	ds_load_b64 v[4:5], v4 offset:312
	s_wait_dscnt 0x0
	v_mul_f32_e32 v9, v3, v5
	v_mul_f32_e32 v6, v8, v5
	s_delay_alu instid0(VALU_DEP_2) | instskip(NEXT) | instid1(VALU_DEP_2)
	v_fma_f32 v5, v8, v4, -v9
	v_fmac_f32_e32 v6, v3, v4
	scratch_store_b64 off, v[5:6], off offset:312
.LBB49_171:
	s_wait_alu 0xfffe
	s_or_b32 exec_lo, exec_lo, s0
	s_wait_loadcnt 0x0
	s_wait_storecnt 0x0
	s_barrier_signal -1
	s_barrier_wait -1
	global_inv scope:SCOPE_SE
	scratch_load_b64 v[3:4], off, off offset:320
	s_mov_b32 s0, exec_lo
	s_wait_loadcnt 0x0
	ds_store_b64 v1, v[3:4]
	s_wait_dscnt 0x0
	s_barrier_signal -1
	s_barrier_wait -1
	global_inv scope:SCOPE_SE
	v_cmpx_gt_u32_e32 40, v0
	s_cbranch_execz .LBB49_175
; %bb.172:
	v_dual_mov_b32 v3, 0 :: v_dual_add_nc_u32 v4, -1, v0
	v_dual_mov_b32 v6, v13 :: v_dual_add_nc_u32 v5, 0x190, v13
	v_mov_b32_e32 v8, 0
	s_mov_b32 s1, 0
.LBB49_173:                             ; =>This Inner Loop Header: Depth=1
	scratch_load_b64 v[9:10], v6, off
	ds_load_b64 v[11:12], v5
	v_add_nc_u32_e32 v6, 8, v6
	s_wait_loadcnt_dscnt 0x0
	v_dual_mul_f32 v14, v12, v10 :: v_dual_add_nc_u32 v5, 8, v5
	v_mul_f32_e32 v10, v11, v10
	s_delay_alu instid0(VALU_DEP_2) | instskip(NEXT) | instid1(VALU_DEP_2)
	v_fma_f32 v11, v11, v9, -v14
	v_fmac_f32_e32 v10, v12, v9
	v_add_nc_u32_e32 v4, 1, v4
	s_delay_alu instid0(VALU_DEP_2) | instskip(NEXT) | instid1(VALU_DEP_2)
	v_dual_add_f32 v8, v8, v11 :: v_dual_add_f32 v3, v3, v10
	v_cmp_lt_u32_e32 vcc_lo, 38, v4
	s_wait_alu 0xfffe
	s_or_b32 s1, vcc_lo, s1
	s_wait_alu 0xfffe
	s_and_not1_b32 exec_lo, exec_lo, s1
	s_cbranch_execnz .LBB49_173
; %bb.174:
	s_or_b32 exec_lo, exec_lo, s1
	v_mov_b32_e32 v4, 0
	ds_load_b64 v[4:5], v4 offset:320
	s_wait_dscnt 0x0
	v_mul_f32_e32 v9, v3, v5
	v_mul_f32_e32 v6, v8, v5
	s_delay_alu instid0(VALU_DEP_2) | instskip(NEXT) | instid1(VALU_DEP_2)
	v_fma_f32 v5, v8, v4, -v9
	v_fmac_f32_e32 v6, v3, v4
	scratch_store_b64 off, v[5:6], off offset:320
.LBB49_175:
	s_wait_alu 0xfffe
	s_or_b32 exec_lo, exec_lo, s0
	s_wait_loadcnt 0x0
	s_wait_storecnt 0x0
	s_barrier_signal -1
	s_barrier_wait -1
	global_inv scope:SCOPE_SE
	scratch_load_b64 v[3:4], off, off offset:328
	s_mov_b32 s0, exec_lo
	s_wait_loadcnt 0x0
	ds_store_b64 v1, v[3:4]
	s_wait_dscnt 0x0
	s_barrier_signal -1
	s_barrier_wait -1
	global_inv scope:SCOPE_SE
	v_cmpx_gt_u32_e32 41, v0
	s_cbranch_execz .LBB49_179
; %bb.176:
	v_dual_mov_b32 v3, 0 :: v_dual_add_nc_u32 v4, -1, v0
	v_dual_mov_b32 v6, v13 :: v_dual_add_nc_u32 v5, 0x190, v13
	v_mov_b32_e32 v8, 0
	s_mov_b32 s1, 0
.LBB49_177:                             ; =>This Inner Loop Header: Depth=1
	scratch_load_b64 v[9:10], v6, off
	ds_load_b64 v[11:12], v5
	v_add_nc_u32_e32 v6, 8, v6
	s_wait_loadcnt_dscnt 0x0
	v_dual_mul_f32 v14, v12, v10 :: v_dual_add_nc_u32 v5, 8, v5
	v_mul_f32_e32 v10, v11, v10
	s_delay_alu instid0(VALU_DEP_2) | instskip(NEXT) | instid1(VALU_DEP_2)
	v_fma_f32 v11, v11, v9, -v14
	v_fmac_f32_e32 v10, v12, v9
	v_add_nc_u32_e32 v4, 1, v4
	s_delay_alu instid0(VALU_DEP_2) | instskip(NEXT) | instid1(VALU_DEP_2)
	v_dual_add_f32 v8, v8, v11 :: v_dual_add_f32 v3, v3, v10
	v_cmp_lt_u32_e32 vcc_lo, 39, v4
	s_wait_alu 0xfffe
	s_or_b32 s1, vcc_lo, s1
	s_wait_alu 0xfffe
	s_and_not1_b32 exec_lo, exec_lo, s1
	s_cbranch_execnz .LBB49_177
; %bb.178:
	s_or_b32 exec_lo, exec_lo, s1
	v_mov_b32_e32 v4, 0
	ds_load_b64 v[4:5], v4 offset:328
	s_wait_dscnt 0x0
	v_mul_f32_e32 v9, v3, v5
	v_mul_f32_e32 v6, v8, v5
	s_delay_alu instid0(VALU_DEP_2) | instskip(NEXT) | instid1(VALU_DEP_2)
	v_fma_f32 v5, v8, v4, -v9
	v_fmac_f32_e32 v6, v3, v4
	scratch_store_b64 off, v[5:6], off offset:328
.LBB49_179:
	s_wait_alu 0xfffe
	s_or_b32 exec_lo, exec_lo, s0
	s_wait_loadcnt 0x0
	s_wait_storecnt 0x0
	s_barrier_signal -1
	s_barrier_wait -1
	global_inv scope:SCOPE_SE
	scratch_load_b64 v[3:4], off, off offset:336
	s_mov_b32 s0, exec_lo
	s_wait_loadcnt 0x0
	ds_store_b64 v1, v[3:4]
	s_wait_dscnt 0x0
	s_barrier_signal -1
	s_barrier_wait -1
	global_inv scope:SCOPE_SE
	v_cmpx_gt_u32_e32 42, v0
	s_cbranch_execz .LBB49_183
; %bb.180:
	v_dual_mov_b32 v3, 0 :: v_dual_add_nc_u32 v4, -1, v0
	v_dual_mov_b32 v6, v13 :: v_dual_add_nc_u32 v5, 0x190, v13
	v_mov_b32_e32 v8, 0
	s_mov_b32 s1, 0
.LBB49_181:                             ; =>This Inner Loop Header: Depth=1
	scratch_load_b64 v[9:10], v6, off
	ds_load_b64 v[11:12], v5
	v_add_nc_u32_e32 v6, 8, v6
	s_wait_loadcnt_dscnt 0x0
	v_dual_mul_f32 v14, v12, v10 :: v_dual_add_nc_u32 v5, 8, v5
	v_mul_f32_e32 v10, v11, v10
	s_delay_alu instid0(VALU_DEP_2) | instskip(NEXT) | instid1(VALU_DEP_2)
	v_fma_f32 v11, v11, v9, -v14
	v_fmac_f32_e32 v10, v12, v9
	v_add_nc_u32_e32 v4, 1, v4
	s_delay_alu instid0(VALU_DEP_2) | instskip(NEXT) | instid1(VALU_DEP_2)
	v_dual_add_f32 v8, v8, v11 :: v_dual_add_f32 v3, v3, v10
	v_cmp_lt_u32_e32 vcc_lo, 40, v4
	s_wait_alu 0xfffe
	s_or_b32 s1, vcc_lo, s1
	s_wait_alu 0xfffe
	s_and_not1_b32 exec_lo, exec_lo, s1
	s_cbranch_execnz .LBB49_181
; %bb.182:
	s_or_b32 exec_lo, exec_lo, s1
	v_mov_b32_e32 v4, 0
	ds_load_b64 v[4:5], v4 offset:336
	s_wait_dscnt 0x0
	v_mul_f32_e32 v9, v3, v5
	v_mul_f32_e32 v6, v8, v5
	s_delay_alu instid0(VALU_DEP_2) | instskip(NEXT) | instid1(VALU_DEP_2)
	v_fma_f32 v5, v8, v4, -v9
	v_fmac_f32_e32 v6, v3, v4
	scratch_store_b64 off, v[5:6], off offset:336
.LBB49_183:
	s_wait_alu 0xfffe
	s_or_b32 exec_lo, exec_lo, s0
	s_wait_loadcnt 0x0
	s_wait_storecnt 0x0
	s_barrier_signal -1
	s_barrier_wait -1
	global_inv scope:SCOPE_SE
	scratch_load_b64 v[3:4], off, off offset:344
	s_mov_b32 s0, exec_lo
	s_wait_loadcnt 0x0
	ds_store_b64 v1, v[3:4]
	s_wait_dscnt 0x0
	s_barrier_signal -1
	s_barrier_wait -1
	global_inv scope:SCOPE_SE
	v_cmpx_gt_u32_e32 43, v0
	s_cbranch_execz .LBB49_187
; %bb.184:
	v_dual_mov_b32 v3, 0 :: v_dual_add_nc_u32 v4, -1, v0
	v_dual_mov_b32 v6, v13 :: v_dual_add_nc_u32 v5, 0x190, v13
	v_mov_b32_e32 v8, 0
	s_mov_b32 s1, 0
.LBB49_185:                             ; =>This Inner Loop Header: Depth=1
	scratch_load_b64 v[9:10], v6, off
	ds_load_b64 v[11:12], v5
	v_add_nc_u32_e32 v6, 8, v6
	s_wait_loadcnt_dscnt 0x0
	v_dual_mul_f32 v14, v12, v10 :: v_dual_add_nc_u32 v5, 8, v5
	v_mul_f32_e32 v10, v11, v10
	s_delay_alu instid0(VALU_DEP_2) | instskip(NEXT) | instid1(VALU_DEP_2)
	v_fma_f32 v11, v11, v9, -v14
	v_fmac_f32_e32 v10, v12, v9
	v_add_nc_u32_e32 v4, 1, v4
	s_delay_alu instid0(VALU_DEP_2) | instskip(NEXT) | instid1(VALU_DEP_2)
	v_dual_add_f32 v8, v8, v11 :: v_dual_add_f32 v3, v3, v10
	v_cmp_lt_u32_e32 vcc_lo, 41, v4
	s_wait_alu 0xfffe
	s_or_b32 s1, vcc_lo, s1
	s_wait_alu 0xfffe
	s_and_not1_b32 exec_lo, exec_lo, s1
	s_cbranch_execnz .LBB49_185
; %bb.186:
	s_or_b32 exec_lo, exec_lo, s1
	v_mov_b32_e32 v4, 0
	ds_load_b64 v[4:5], v4 offset:344
	s_wait_dscnt 0x0
	v_mul_f32_e32 v9, v3, v5
	v_mul_f32_e32 v6, v8, v5
	s_delay_alu instid0(VALU_DEP_2) | instskip(NEXT) | instid1(VALU_DEP_2)
	v_fma_f32 v5, v8, v4, -v9
	v_fmac_f32_e32 v6, v3, v4
	scratch_store_b64 off, v[5:6], off offset:344
.LBB49_187:
	s_wait_alu 0xfffe
	s_or_b32 exec_lo, exec_lo, s0
	s_wait_loadcnt 0x0
	s_wait_storecnt 0x0
	s_barrier_signal -1
	s_barrier_wait -1
	global_inv scope:SCOPE_SE
	scratch_load_b64 v[3:4], off, off offset:352
	s_mov_b32 s0, exec_lo
	s_wait_loadcnt 0x0
	ds_store_b64 v1, v[3:4]
	s_wait_dscnt 0x0
	s_barrier_signal -1
	s_barrier_wait -1
	global_inv scope:SCOPE_SE
	v_cmpx_gt_u32_e32 44, v0
	s_cbranch_execz .LBB49_191
; %bb.188:
	v_dual_mov_b32 v3, 0 :: v_dual_add_nc_u32 v4, -1, v0
	v_dual_mov_b32 v6, v13 :: v_dual_add_nc_u32 v5, 0x190, v13
	v_mov_b32_e32 v8, 0
	s_mov_b32 s1, 0
.LBB49_189:                             ; =>This Inner Loop Header: Depth=1
	scratch_load_b64 v[9:10], v6, off
	ds_load_b64 v[11:12], v5
	v_add_nc_u32_e32 v6, 8, v6
	s_wait_loadcnt_dscnt 0x0
	v_dual_mul_f32 v14, v12, v10 :: v_dual_add_nc_u32 v5, 8, v5
	v_mul_f32_e32 v10, v11, v10
	s_delay_alu instid0(VALU_DEP_2) | instskip(NEXT) | instid1(VALU_DEP_2)
	v_fma_f32 v11, v11, v9, -v14
	v_fmac_f32_e32 v10, v12, v9
	v_add_nc_u32_e32 v4, 1, v4
	s_delay_alu instid0(VALU_DEP_2) | instskip(NEXT) | instid1(VALU_DEP_2)
	v_dual_add_f32 v8, v8, v11 :: v_dual_add_f32 v3, v3, v10
	v_cmp_lt_u32_e32 vcc_lo, 42, v4
	s_wait_alu 0xfffe
	s_or_b32 s1, vcc_lo, s1
	s_wait_alu 0xfffe
	s_and_not1_b32 exec_lo, exec_lo, s1
	s_cbranch_execnz .LBB49_189
; %bb.190:
	s_or_b32 exec_lo, exec_lo, s1
	v_mov_b32_e32 v4, 0
	ds_load_b64 v[4:5], v4 offset:352
	s_wait_dscnt 0x0
	v_mul_f32_e32 v9, v3, v5
	v_mul_f32_e32 v6, v8, v5
	s_delay_alu instid0(VALU_DEP_2) | instskip(NEXT) | instid1(VALU_DEP_2)
	v_fma_f32 v5, v8, v4, -v9
	v_fmac_f32_e32 v6, v3, v4
	scratch_store_b64 off, v[5:6], off offset:352
.LBB49_191:
	s_wait_alu 0xfffe
	s_or_b32 exec_lo, exec_lo, s0
	s_wait_loadcnt 0x0
	s_wait_storecnt 0x0
	s_barrier_signal -1
	s_barrier_wait -1
	global_inv scope:SCOPE_SE
	scratch_load_b64 v[3:4], off, off offset:360
	s_mov_b32 s0, exec_lo
	s_wait_loadcnt 0x0
	ds_store_b64 v1, v[3:4]
	s_wait_dscnt 0x0
	s_barrier_signal -1
	s_barrier_wait -1
	global_inv scope:SCOPE_SE
	v_cmpx_gt_u32_e32 45, v0
	s_cbranch_execz .LBB49_195
; %bb.192:
	v_dual_mov_b32 v3, 0 :: v_dual_add_nc_u32 v4, -1, v0
	v_dual_mov_b32 v6, v13 :: v_dual_add_nc_u32 v5, 0x190, v13
	v_mov_b32_e32 v8, 0
	s_mov_b32 s1, 0
.LBB49_193:                             ; =>This Inner Loop Header: Depth=1
	scratch_load_b64 v[9:10], v6, off
	ds_load_b64 v[11:12], v5
	v_add_nc_u32_e32 v6, 8, v6
	s_wait_loadcnt_dscnt 0x0
	v_dual_mul_f32 v14, v12, v10 :: v_dual_add_nc_u32 v5, 8, v5
	v_mul_f32_e32 v10, v11, v10
	s_delay_alu instid0(VALU_DEP_2) | instskip(NEXT) | instid1(VALU_DEP_2)
	v_fma_f32 v11, v11, v9, -v14
	v_fmac_f32_e32 v10, v12, v9
	v_add_nc_u32_e32 v4, 1, v4
	s_delay_alu instid0(VALU_DEP_2) | instskip(NEXT) | instid1(VALU_DEP_2)
	v_dual_add_f32 v8, v8, v11 :: v_dual_add_f32 v3, v3, v10
	v_cmp_lt_u32_e32 vcc_lo, 43, v4
	s_wait_alu 0xfffe
	s_or_b32 s1, vcc_lo, s1
	s_wait_alu 0xfffe
	s_and_not1_b32 exec_lo, exec_lo, s1
	s_cbranch_execnz .LBB49_193
; %bb.194:
	s_or_b32 exec_lo, exec_lo, s1
	v_mov_b32_e32 v4, 0
	ds_load_b64 v[4:5], v4 offset:360
	s_wait_dscnt 0x0
	v_mul_f32_e32 v9, v3, v5
	v_mul_f32_e32 v6, v8, v5
	s_delay_alu instid0(VALU_DEP_2) | instskip(NEXT) | instid1(VALU_DEP_2)
	v_fma_f32 v5, v8, v4, -v9
	v_fmac_f32_e32 v6, v3, v4
	scratch_store_b64 off, v[5:6], off offset:360
.LBB49_195:
	s_wait_alu 0xfffe
	s_or_b32 exec_lo, exec_lo, s0
	s_wait_loadcnt 0x0
	s_wait_storecnt 0x0
	s_barrier_signal -1
	s_barrier_wait -1
	global_inv scope:SCOPE_SE
	scratch_load_b64 v[3:4], off, off offset:368
	s_mov_b32 s0, exec_lo
	s_wait_loadcnt 0x0
	ds_store_b64 v1, v[3:4]
	s_wait_dscnt 0x0
	s_barrier_signal -1
	s_barrier_wait -1
	global_inv scope:SCOPE_SE
	v_cmpx_gt_u32_e32 46, v0
	s_cbranch_execz .LBB49_199
; %bb.196:
	v_dual_mov_b32 v3, 0 :: v_dual_add_nc_u32 v4, -1, v0
	v_dual_mov_b32 v6, v13 :: v_dual_add_nc_u32 v5, 0x190, v13
	v_mov_b32_e32 v8, 0
	s_mov_b32 s1, 0
.LBB49_197:                             ; =>This Inner Loop Header: Depth=1
	scratch_load_b64 v[9:10], v6, off
	ds_load_b64 v[11:12], v5
	v_add_nc_u32_e32 v6, 8, v6
	s_wait_loadcnt_dscnt 0x0
	v_dual_mul_f32 v14, v12, v10 :: v_dual_add_nc_u32 v5, 8, v5
	v_mul_f32_e32 v10, v11, v10
	s_delay_alu instid0(VALU_DEP_2) | instskip(NEXT) | instid1(VALU_DEP_2)
	v_fma_f32 v11, v11, v9, -v14
	v_fmac_f32_e32 v10, v12, v9
	v_add_nc_u32_e32 v4, 1, v4
	s_delay_alu instid0(VALU_DEP_2) | instskip(NEXT) | instid1(VALU_DEP_2)
	v_dual_add_f32 v8, v8, v11 :: v_dual_add_f32 v3, v3, v10
	v_cmp_lt_u32_e32 vcc_lo, 44, v4
	s_wait_alu 0xfffe
	s_or_b32 s1, vcc_lo, s1
	s_wait_alu 0xfffe
	s_and_not1_b32 exec_lo, exec_lo, s1
	s_cbranch_execnz .LBB49_197
; %bb.198:
	s_or_b32 exec_lo, exec_lo, s1
	v_mov_b32_e32 v4, 0
	ds_load_b64 v[4:5], v4 offset:368
	s_wait_dscnt 0x0
	v_mul_f32_e32 v9, v3, v5
	v_mul_f32_e32 v6, v8, v5
	s_delay_alu instid0(VALU_DEP_2) | instskip(NEXT) | instid1(VALU_DEP_2)
	v_fma_f32 v5, v8, v4, -v9
	v_fmac_f32_e32 v6, v3, v4
	scratch_store_b64 off, v[5:6], off offset:368
.LBB49_199:
	s_wait_alu 0xfffe
	s_or_b32 exec_lo, exec_lo, s0
	s_wait_loadcnt 0x0
	s_wait_storecnt 0x0
	s_barrier_signal -1
	s_barrier_wait -1
	global_inv scope:SCOPE_SE
	scratch_load_b64 v[3:4], off, off offset:376
	s_mov_b32 s0, exec_lo
	s_wait_loadcnt 0x0
	ds_store_b64 v1, v[3:4]
	s_wait_dscnt 0x0
	s_barrier_signal -1
	s_barrier_wait -1
	global_inv scope:SCOPE_SE
	v_cmpx_gt_u32_e32 47, v0
	s_cbranch_execz .LBB49_203
; %bb.200:
	v_dual_mov_b32 v3, 0 :: v_dual_add_nc_u32 v4, -1, v0
	v_dual_mov_b32 v6, v13 :: v_dual_add_nc_u32 v5, 0x190, v13
	v_mov_b32_e32 v8, 0
	s_mov_b32 s1, 0
.LBB49_201:                             ; =>This Inner Loop Header: Depth=1
	scratch_load_b64 v[9:10], v6, off
	ds_load_b64 v[11:12], v5
	v_add_nc_u32_e32 v6, 8, v6
	s_wait_loadcnt_dscnt 0x0
	v_dual_mul_f32 v14, v12, v10 :: v_dual_add_nc_u32 v5, 8, v5
	v_mul_f32_e32 v10, v11, v10
	s_delay_alu instid0(VALU_DEP_2) | instskip(NEXT) | instid1(VALU_DEP_2)
	v_fma_f32 v11, v11, v9, -v14
	v_fmac_f32_e32 v10, v12, v9
	v_add_nc_u32_e32 v4, 1, v4
	s_delay_alu instid0(VALU_DEP_2) | instskip(NEXT) | instid1(VALU_DEP_2)
	v_dual_add_f32 v8, v8, v11 :: v_dual_add_f32 v3, v3, v10
	v_cmp_lt_u32_e32 vcc_lo, 45, v4
	s_wait_alu 0xfffe
	s_or_b32 s1, vcc_lo, s1
	s_wait_alu 0xfffe
	s_and_not1_b32 exec_lo, exec_lo, s1
	s_cbranch_execnz .LBB49_201
; %bb.202:
	s_or_b32 exec_lo, exec_lo, s1
	v_mov_b32_e32 v4, 0
	ds_load_b64 v[4:5], v4 offset:376
	s_wait_dscnt 0x0
	v_mul_f32_e32 v9, v3, v5
	v_mul_f32_e32 v6, v8, v5
	s_delay_alu instid0(VALU_DEP_2) | instskip(NEXT) | instid1(VALU_DEP_2)
	v_fma_f32 v5, v8, v4, -v9
	v_fmac_f32_e32 v6, v3, v4
	scratch_store_b64 off, v[5:6], off offset:376
.LBB49_203:
	s_wait_alu 0xfffe
	s_or_b32 exec_lo, exec_lo, s0
	s_wait_loadcnt 0x0
	s_wait_storecnt 0x0
	s_barrier_signal -1
	s_barrier_wait -1
	global_inv scope:SCOPE_SE
	scratch_load_b64 v[3:4], off, off offset:384
	s_mov_b32 s0, exec_lo
	s_wait_loadcnt 0x0
	ds_store_b64 v1, v[3:4]
	s_wait_dscnt 0x0
	s_barrier_signal -1
	s_barrier_wait -1
	global_inv scope:SCOPE_SE
	v_cmpx_gt_u32_e32 48, v0
	s_cbranch_execz .LBB49_207
; %bb.204:
	v_dual_mov_b32 v3, 0 :: v_dual_add_nc_u32 v4, -1, v0
	v_dual_mov_b32 v6, v13 :: v_dual_add_nc_u32 v5, 0x190, v13
	v_mov_b32_e32 v8, 0
	s_mov_b32 s1, 0
.LBB49_205:                             ; =>This Inner Loop Header: Depth=1
	scratch_load_b64 v[9:10], v6, off
	ds_load_b64 v[11:12], v5
	v_add_nc_u32_e32 v6, 8, v6
	v_add_nc_u32_e32 v4, 1, v4
	;; [unrolled: 1-line block ×3, first 2 shown]
	s_delay_alu instid0(VALU_DEP_2)
	v_cmp_lt_u32_e32 vcc_lo, 46, v4
	s_wait_alu 0xfffe
	s_or_b32 s1, vcc_lo, s1
	s_wait_loadcnt_dscnt 0x0
	v_mul_f32_e32 v13, v12, v10
	v_mul_f32_e32 v10, v11, v10
	s_delay_alu instid0(VALU_DEP_2) | instskip(NEXT) | instid1(VALU_DEP_2)
	v_fma_f32 v11, v11, v9, -v13
	v_fmac_f32_e32 v10, v12, v9
	s_delay_alu instid0(VALU_DEP_1)
	v_dual_add_f32 v8, v8, v11 :: v_dual_add_f32 v3, v3, v10
	s_wait_alu 0xfffe
	s_and_not1_b32 exec_lo, exec_lo, s1
	s_cbranch_execnz .LBB49_205
; %bb.206:
	s_or_b32 exec_lo, exec_lo, s1
	v_mov_b32_e32 v4, 0
	ds_load_b64 v[4:5], v4 offset:384
	s_wait_dscnt 0x0
	v_mul_f32_e32 v9, v3, v5
	v_mul_f32_e32 v6, v8, v5
	s_delay_alu instid0(VALU_DEP_2) | instskip(NEXT) | instid1(VALU_DEP_2)
	v_fma_f32 v5, v8, v4, -v9
	v_fmac_f32_e32 v6, v3, v4
	scratch_store_b64 off, v[5:6], off offset:384
.LBB49_207:
	s_wait_alu 0xfffe
	s_or_b32 exec_lo, exec_lo, s0
	s_wait_loadcnt 0x0
	s_wait_storecnt 0x0
	s_barrier_signal -1
	s_barrier_wait -1
	global_inv scope:SCOPE_SE
	scratch_load_b64 v[3:4], off, off offset:392
	s_mov_b32 s0, exec_lo
	s_wait_loadcnt 0x0
	ds_store_b64 v1, v[3:4]
	s_wait_dscnt 0x0
	s_barrier_signal -1
	s_barrier_wait -1
	global_inv scope:SCOPE_SE
	v_cmpx_ne_u32_e32 49, v0
	s_cbranch_execz .LBB49_211
; %bb.208:
	v_dual_mov_b32 v3, 0 :: v_dual_mov_b32 v4, 0
	s_mov_b32 s1, 0
.LBB49_209:                             ; =>This Inner Loop Header: Depth=1
	scratch_load_b64 v[5:6], v7, off
	ds_load_b64 v[8:9], v1
	v_add_nc_u32_e32 v2, 1, v2
	v_add_nc_u32_e32 v1, 8, v1
	;; [unrolled: 1-line block ×3, first 2 shown]
	s_delay_alu instid0(VALU_DEP_3)
	v_cmp_lt_u32_e32 vcc_lo, 47, v2
	s_wait_alu 0xfffe
	s_or_b32 s1, vcc_lo, s1
	s_wait_loadcnt_dscnt 0x0
	v_mul_f32_e32 v10, v9, v6
	v_mul_f32_e32 v6, v8, v6
	s_delay_alu instid0(VALU_DEP_2) | instskip(NEXT) | instid1(VALU_DEP_2)
	v_fma_f32 v8, v8, v5, -v10
	v_fmac_f32_e32 v6, v9, v5
	s_delay_alu instid0(VALU_DEP_1)
	v_dual_add_f32 v4, v4, v8 :: v_dual_add_f32 v3, v3, v6
	s_wait_alu 0xfffe
	s_and_not1_b32 exec_lo, exec_lo, s1
	s_cbranch_execnz .LBB49_209
; %bb.210:
	s_or_b32 exec_lo, exec_lo, s1
	v_mov_b32_e32 v1, 0
	ds_load_b64 v[1:2], v1 offset:392
	s_wait_dscnt 0x0
	v_mul_f32_e32 v6, v3, v2
	v_mul_f32_e32 v5, v4, v2
	s_delay_alu instid0(VALU_DEP_2) | instskip(NEXT) | instid1(VALU_DEP_2)
	v_fma_f32 v4, v4, v1, -v6
	v_fmac_f32_e32 v5, v3, v1
	scratch_store_b64 off, v[4:5], off offset:392
.LBB49_211:
	s_wait_alu 0xfffe
	s_or_b32 exec_lo, exec_lo, s0
	s_mov_b32 s1, -1
	s_wait_loadcnt 0x0
	s_wait_storecnt 0x0
	s_barrier_signal -1
	s_barrier_wait -1
	global_inv scope:SCOPE_SE
.LBB49_212:
	s_wait_alu 0xfffe
	s_and_b32 vcc_lo, exec_lo, s1
	s_wait_alu 0xfffe
	s_cbranch_vccz .LBB49_214
; %bb.213:
	v_mov_b32_e32 v1, 0
	s_lshl_b64 s[0:1], s[16:17], 2
	s_wait_alu 0xfffe
	s_add_nc_u64 s[0:1], s[6:7], s[0:1]
	global_load_b32 v1, v1, s[0:1]
	s_wait_loadcnt 0x0
	v_cmp_ne_u32_e32 vcc_lo, 0, v1
	s_cbranch_vccz .LBB49_215
.LBB49_214:
	s_nop 0
	s_sendmsg sendmsg(MSG_DEALLOC_VGPRS)
	s_endpgm
.LBB49_215:
	v_lshl_add_u32 v23, v0, 3, 0x190
	s_mov_b32 s0, exec_lo
	v_cmpx_eq_u32_e32 49, v0
	s_cbranch_execz .LBB49_217
; %bb.216:
	scratch_load_b64 v[1:2], off, off offset:384
	v_mov_b32_e32 v3, 0
	s_delay_alu instid0(VALU_DEP_1)
	v_mov_b32_e32 v4, v3
	scratch_store_b64 off, v[3:4], off offset:384
	s_wait_loadcnt 0x0
	ds_store_b64 v23, v[1:2]
.LBB49_217:
	s_wait_alu 0xfffe
	s_or_b32 exec_lo, exec_lo, s0
	s_wait_storecnt_dscnt 0x0
	s_barrier_signal -1
	s_barrier_wait -1
	global_inv scope:SCOPE_SE
	s_clause 0x1
	scratch_load_b64 v[2:3], off, off offset:392
	scratch_load_b64 v[4:5], off, off offset:384
	v_mov_b32_e32 v1, 0
	s_mov_b32 s0, exec_lo
	ds_load_b64 v[6:7], v1 offset:792
	s_wait_loadcnt_dscnt 0x100
	v_mul_f32_e32 v8, v7, v3
	v_mul_f32_e32 v3, v6, v3
	s_delay_alu instid0(VALU_DEP_2) | instskip(NEXT) | instid1(VALU_DEP_2)
	v_fma_f32 v6, v6, v2, -v8
	v_fmac_f32_e32 v3, v7, v2
	s_delay_alu instid0(VALU_DEP_1) | instskip(SKIP_1) | instid1(VALU_DEP_1)
	v_dual_add_f32 v2, 0, v6 :: v_dual_add_f32 v3, 0, v3
	s_wait_loadcnt 0x0
	v_dual_sub_f32 v2, v4, v2 :: v_dual_sub_f32 v3, v5, v3
	scratch_store_b64 off, v[2:3], off offset:384
	v_cmpx_lt_u32_e32 47, v0
	s_cbranch_execz .LBB49_219
; %bb.218:
	scratch_load_b64 v[3:4], off, off offset:376
	v_mov_b32_e32 v2, v1
	scratch_store_b64 off, v[1:2], off offset:376
	s_wait_loadcnt 0x0
	ds_store_b64 v23, v[3:4]
.LBB49_219:
	s_wait_alu 0xfffe
	s_or_b32 exec_lo, exec_lo, s0
	s_wait_storecnt_dscnt 0x0
	s_barrier_signal -1
	s_barrier_wait -1
	global_inv scope:SCOPE_SE
	s_clause 0x1
	scratch_load_b128 v[2:5], off, off offset:384
	scratch_load_b64 v[10:11], off, off offset:376
	ds_load_b128 v[6:9], v1 offset:784
	s_mov_b32 s0, exec_lo
	s_wait_loadcnt_dscnt 0x100
	v_dual_mul_f32 v1, v7, v3 :: v_dual_mul_f32 v12, v8, v5
	v_mul_f32_e32 v3, v6, v3
	s_delay_alu instid0(VALU_DEP_2) | instskip(NEXT) | instid1(VALU_DEP_2)
	v_fma_f32 v1, v6, v2, -v1
	v_dual_fmac_f32 v12, v9, v4 :: v_dual_fmac_f32 v3, v7, v2
	s_delay_alu instid0(VALU_DEP_2) | instskip(NEXT) | instid1(VALU_DEP_2)
	v_add_f32_e32 v1, 0, v1
	v_add_f32_e32 v3, 0, v3
	v_mul_f32_e32 v5, v9, v5
	s_delay_alu instid0(VALU_DEP_1) | instskip(NEXT) | instid1(VALU_DEP_1)
	v_fma_f32 v2, v8, v4, -v5
	v_dual_add_f32 v1, v1, v2 :: v_dual_add_f32 v2, v3, v12
	s_wait_loadcnt 0x0
	s_delay_alu instid0(VALU_DEP_1)
	v_dual_sub_f32 v1, v10, v1 :: v_dual_sub_f32 v2, v11, v2
	scratch_store_b64 off, v[1:2], off offset:376
	v_cmpx_lt_u32_e32 46, v0
	s_cbranch_execz .LBB49_221
; %bb.220:
	scratch_load_b64 v[1:2], off, off offset:368
	v_mov_b32_e32 v3, 0
	s_delay_alu instid0(VALU_DEP_1)
	v_mov_b32_e32 v4, v3
	scratch_store_b64 off, v[3:4], off offset:368
	s_wait_loadcnt 0x0
	ds_store_b64 v23, v[1:2]
.LBB49_221:
	s_wait_alu 0xfffe
	s_or_b32 exec_lo, exec_lo, s0
	s_wait_storecnt_dscnt 0x0
	s_barrier_signal -1
	s_barrier_wait -1
	global_inv scope:SCOPE_SE
	s_clause 0x2
	scratch_load_b128 v[2:5], off, off offset:376
	scratch_load_b64 v[10:11], off, off offset:392
	scratch_load_b64 v[12:13], off, off offset:368
	v_mov_b32_e32 v1, 0
	ds_load_2addr_b64 v[6:9], v1 offset0:97 offset1:98
	ds_load_b64 v[14:15], v1 offset:792
	s_mov_b32 s0, exec_lo
	s_wait_loadcnt_dscnt 0x201
	v_dual_mul_f32 v16, v7, v3 :: v_dual_mul_f32 v17, v8, v5
	s_wait_loadcnt_dscnt 0x100
	v_mul_f32_e32 v18, v14, v11
	v_mul_f32_e32 v3, v6, v3
	;; [unrolled: 1-line block ×3, first 2 shown]
	v_fma_f32 v6, v6, v2, -v16
	s_delay_alu instid0(VALU_DEP_4) | instskip(NEXT) | instid1(VALU_DEP_4)
	v_fmac_f32_e32 v18, v15, v10
	v_fmac_f32_e32 v3, v7, v2
	v_mul_f32_e32 v2, v15, v11
	s_delay_alu instid0(VALU_DEP_1) | instskip(SKIP_3) | instid1(VALU_DEP_1)
	v_fma_f32 v2, v14, v10, -v2
	v_fmac_f32_e32 v17, v9, v4
	v_fma_f32 v4, v8, v4, -v5
	v_add_f32_e32 v5, 0, v6
	v_add_f32_e32 v4, v5, v4
	s_delay_alu instid0(VALU_DEP_1) | instskip(SKIP_1) | instid1(VALU_DEP_1)
	v_dual_add_f32 v2, v4, v2 :: v_dual_add_f32 v3, 0, v3
	s_wait_loadcnt 0x0
	v_dual_sub_f32 v2, v12, v2 :: v_dual_add_f32 v3, v3, v17
	s_delay_alu instid0(VALU_DEP_1) | instskip(NEXT) | instid1(VALU_DEP_1)
	v_add_f32_e32 v3, v3, v18
	v_sub_f32_e32 v3, v13, v3
	scratch_store_b64 off, v[2:3], off offset:368
	v_cmpx_lt_u32_e32 45, v0
	s_cbranch_execz .LBB49_223
; %bb.222:
	scratch_load_b64 v[3:4], off, off offset:360
	v_mov_b32_e32 v2, v1
	scratch_store_b64 off, v[1:2], off offset:360
	s_wait_loadcnt 0x0
	ds_store_b64 v23, v[3:4]
.LBB49_223:
	s_wait_alu 0xfffe
	s_or_b32 exec_lo, exec_lo, s0
	s_wait_storecnt_dscnt 0x0
	s_barrier_signal -1
	s_barrier_wait -1
	global_inv scope:SCOPE_SE
	s_clause 0x2
	scratch_load_b128 v[2:5], off, off offset:368
	scratch_load_b128 v[6:9], off, off offset:384
	scratch_load_b64 v[18:19], off, off offset:360
	ds_load_b128 v[10:13], v1 offset:768
	ds_load_b128 v[14:17], v1 offset:784
	s_mov_b32 s0, exec_lo
	s_wait_loadcnt_dscnt 0x201
	v_dual_mul_f32 v1, v10, v3 :: v_dual_mul_f32 v20, v12, v5
	s_wait_loadcnt_dscnt 0x100
	v_dual_mul_f32 v3, v11, v3 :: v_dual_mul_f32 v22, v16, v9
	v_mul_f32_e32 v5, v13, v5
	s_delay_alu instid0(VALU_DEP_3) | instskip(NEXT) | instid1(VALU_DEP_3)
	v_dual_mul_f32 v21, v14, v7 :: v_dual_fmac_f32 v20, v13, v4
	v_fma_f32 v3, v10, v2, -v3
	s_delay_alu instid0(VALU_DEP_4) | instskip(SKIP_2) | instid1(VALU_DEP_4)
	v_dual_fmac_f32 v1, v11, v2 :: v_dual_fmac_f32 v22, v17, v8
	v_mul_f32_e32 v2, v15, v7
	v_fma_f32 v4, v12, v4, -v5
	v_add_f32_e32 v3, 0, v3
	v_fmac_f32_e32 v21, v15, v6
	s_delay_alu instid0(VALU_DEP_4) | instskip(NEXT) | instid1(VALU_DEP_3)
	v_fma_f32 v2, v14, v6, -v2
	v_add_f32_e32 v3, v3, v4
	s_delay_alu instid0(VALU_DEP_1) | instskip(NEXT) | instid1(VALU_DEP_1)
	v_dual_add_f32 v1, 0, v1 :: v_dual_add_f32 v2, v3, v2
	v_add_f32_e32 v1, v1, v20
	s_delay_alu instid0(VALU_DEP_1) | instskip(NEXT) | instid1(VALU_DEP_1)
	v_add_f32_e32 v1, v1, v21
	v_add_f32_e32 v3, v1, v22
	v_mul_f32_e32 v5, v17, v9
	s_delay_alu instid0(VALU_DEP_1) | instskip(NEXT) | instid1(VALU_DEP_1)
	v_fma_f32 v4, v16, v8, -v5
	v_add_f32_e32 v2, v2, v4
	s_wait_loadcnt 0x0
	s_delay_alu instid0(VALU_DEP_1)
	v_dual_sub_f32 v1, v18, v2 :: v_dual_sub_f32 v2, v19, v3
	scratch_store_b64 off, v[1:2], off offset:360
	v_cmpx_lt_u32_e32 44, v0
	s_cbranch_execz .LBB49_225
; %bb.224:
	scratch_load_b64 v[1:2], off, off offset:352
	v_mov_b32_e32 v3, 0
	s_delay_alu instid0(VALU_DEP_1)
	v_mov_b32_e32 v4, v3
	scratch_store_b64 off, v[3:4], off offset:352
	s_wait_loadcnt 0x0
	ds_store_b64 v23, v[1:2]
.LBB49_225:
	s_wait_alu 0xfffe
	s_or_b32 exec_lo, exec_lo, s0
	s_wait_storecnt_dscnt 0x0
	s_barrier_signal -1
	s_barrier_wait -1
	global_inv scope:SCOPE_SE
	s_clause 0x3
	scratch_load_b128 v[2:5], off, off offset:360
	scratch_load_b128 v[6:9], off, off offset:376
	scratch_load_b64 v[18:19], off, off offset:392
	scratch_load_b64 v[20:21], off, off offset:352
	v_mov_b32_e32 v1, 0
	ds_load_2addr_b64 v[10:13], v1 offset0:95 offset1:96
	ds_load_2addr_b64 v[14:17], v1 offset0:97 offset1:98
	ds_load_b64 v[24:25], v1 offset:792
	s_mov_b32 s0, exec_lo
	s_wait_loadcnt_dscnt 0x302
	v_mul_f32_e32 v22, v10, v3
	v_dual_mul_f32 v26, v12, v5 :: v_dual_mul_f32 v3, v11, v3
	s_wait_loadcnt_dscnt 0x100
	v_mul_f32_e32 v129, v24, v19
	s_delay_alu instid0(VALU_DEP_3)
	v_dual_mul_f32 v5, v13, v5 :: v_dual_fmac_f32 v22, v11, v2
	v_dual_mul_f32 v27, v14, v7 :: v_dual_mul_f32 v128, v16, v9
	v_fma_f32 v3, v10, v2, -v3
	v_mul_f32_e32 v2, v15, v7
	v_fmac_f32_e32 v26, v13, v4
	v_fma_f32 v4, v12, v4, -v5
	v_dual_add_f32 v5, 0, v22 :: v_dual_fmac_f32 v128, v17, v8
	v_add_f32_e32 v3, 0, v3
	v_fma_f32 v2, v14, v6, -v2
	v_fmac_f32_e32 v27, v15, v6
	v_fmac_f32_e32 v129, v25, v18
	s_delay_alu instid0(VALU_DEP_4) | instskip(NEXT) | instid1(VALU_DEP_1)
	v_dual_add_f32 v3, v3, v4 :: v_dual_add_f32 v4, v5, v26
	v_dual_mul_f32 v7, v17, v9 :: v_dual_add_f32 v2, v3, v2
	s_delay_alu instid0(VALU_DEP_2) | instskip(NEXT) | instid1(VALU_DEP_2)
	v_add_f32_e32 v3, v4, v27
	v_fma_f32 v6, v16, v8, -v7
	s_delay_alu instid0(VALU_DEP_1) | instskip(NEXT) | instid1(VALU_DEP_1)
	v_dual_mul_f32 v5, v25, v19 :: v_dual_add_f32 v2, v2, v6
	v_fma_f32 v4, v24, v18, -v5
	s_delay_alu instid0(VALU_DEP_1) | instskip(SKIP_1) | instid1(VALU_DEP_1)
	v_add_f32_e32 v2, v2, v4
	s_wait_loadcnt 0x0
	v_dual_add_f32 v3, v3, v128 :: v_dual_sub_f32 v2, v20, v2
	s_delay_alu instid0(VALU_DEP_1) | instskip(NEXT) | instid1(VALU_DEP_1)
	v_add_f32_e32 v3, v3, v129
	v_sub_f32_e32 v3, v21, v3
	scratch_store_b64 off, v[2:3], off offset:352
	v_cmpx_lt_u32_e32 43, v0
	s_cbranch_execz .LBB49_227
; %bb.226:
	scratch_load_b64 v[3:4], off, off offset:344
	v_mov_b32_e32 v2, v1
	scratch_store_b64 off, v[1:2], off offset:344
	s_wait_loadcnt 0x0
	ds_store_b64 v23, v[3:4]
.LBB49_227:
	s_wait_alu 0xfffe
	s_or_b32 exec_lo, exec_lo, s0
	s_wait_storecnt_dscnt 0x0
	s_barrier_signal -1
	s_barrier_wait -1
	global_inv scope:SCOPE_SE
	s_clause 0x3
	scratch_load_b128 v[2:5], off, off offset:352
	scratch_load_b128 v[6:9], off, off offset:368
	;; [unrolled: 1-line block ×3, first 2 shown]
	scratch_load_b64 v[128:129], off, off offset:344
	ds_load_b128 v[14:17], v1 offset:752
	ds_load_b128 v[18:21], v1 offset:768
	;; [unrolled: 1-line block ×3, first 2 shown]
	s_mov_b32 s0, exec_lo
	s_wait_loadcnt_dscnt 0x302
	v_dual_mul_f32 v1, v14, v3 :: v_dual_mul_f32 v22, v16, v5
	v_mul_f32_e32 v3, v15, v3
	s_wait_loadcnt_dscnt 0x201
	v_dual_mul_f32 v5, v17, v5 :: v_dual_mul_f32 v130, v18, v7
	s_delay_alu instid0(VALU_DEP_3) | instskip(NEXT) | instid1(VALU_DEP_3)
	v_dual_mul_f32 v131, v20, v9 :: v_dual_fmac_f32 v22, v17, v4
	v_fma_f32 v3, v14, v2, -v3
	v_fmac_f32_e32 v1, v15, v2
	v_mul_f32_e32 v2, v19, v7
	v_fma_f32 v4, v16, v4, -v5
	s_wait_loadcnt_dscnt 0x100
	v_dual_mul_f32 v132, v24, v11 :: v_dual_mul_f32 v133, v26, v13
	v_dual_add_f32 v3, 0, v3 :: v_dual_fmac_f32 v130, v19, v6
	v_fma_f32 v2, v18, v6, -v2
	s_delay_alu instid0(VALU_DEP_3) | instskip(NEXT) | instid1(VALU_DEP_3)
	v_dual_fmac_f32 v132, v25, v10 :: v_dual_fmac_f32 v133, v27, v12
	v_dual_add_f32 v3, v3, v4 :: v_dual_mul_f32 v4, v25, v11
	s_delay_alu instid0(VALU_DEP_1) | instskip(NEXT) | instid1(VALU_DEP_2)
	v_dual_add_f32 v1, 0, v1 :: v_dual_add_f32 v2, v3, v2
	v_fma_f32 v4, v24, v10, -v4
	v_mul_f32_e32 v5, v21, v9
	v_mul_f32_e32 v3, v27, v13
	s_delay_alu instid0(VALU_DEP_2) | instskip(SKIP_1) | instid1(VALU_DEP_3)
	v_fma_f32 v5, v20, v8, -v5
	v_add_f32_e32 v1, v1, v22
	v_fma_f32 v3, v26, v12, -v3
	s_delay_alu instid0(VALU_DEP_2) | instskip(NEXT) | instid1(VALU_DEP_1)
	v_dual_add_f32 v2, v2, v5 :: v_dual_add_f32 v1, v1, v130
	v_add_f32_e32 v2, v2, v4
	s_delay_alu instid0(VALU_DEP_1) | instskip(NEXT) | instid1(VALU_DEP_1)
	v_dual_fmac_f32 v131, v21, v8 :: v_dual_add_f32 v2, v2, v3
	v_add_f32_e32 v1, v1, v131
	s_delay_alu instid0(VALU_DEP_1) | instskip(NEXT) | instid1(VALU_DEP_1)
	v_add_f32_e32 v1, v1, v132
	v_add_f32_e32 v3, v1, v133
	s_wait_loadcnt 0x0
	s_delay_alu instid0(VALU_DEP_1)
	v_dual_sub_f32 v1, v128, v2 :: v_dual_sub_f32 v2, v129, v3
	scratch_store_b64 off, v[1:2], off offset:344
	v_cmpx_lt_u32_e32 42, v0
	s_cbranch_execz .LBB49_229
; %bb.228:
	scratch_load_b64 v[1:2], off, off offset:336
	v_mov_b32_e32 v3, 0
	s_delay_alu instid0(VALU_DEP_1)
	v_mov_b32_e32 v4, v3
	scratch_store_b64 off, v[3:4], off offset:336
	s_wait_loadcnt 0x0
	ds_store_b64 v23, v[1:2]
.LBB49_229:
	s_wait_alu 0xfffe
	s_or_b32 exec_lo, exec_lo, s0
	s_wait_storecnt_dscnt 0x0
	s_barrier_signal -1
	s_barrier_wait -1
	global_inv scope:SCOPE_SE
	s_clause 0x4
	scratch_load_b128 v[2:5], off, off offset:344
	scratch_load_b128 v[6:9], off, off offset:360
	;; [unrolled: 1-line block ×3, first 2 shown]
	scratch_load_b64 v[128:129], off, off offset:392
	scratch_load_b64 v[130:131], off, off offset:336
	v_mov_b32_e32 v1, 0
	ds_load_2addr_b64 v[14:17], v1 offset0:93 offset1:94
	ds_load_2addr_b64 v[18:21], v1 offset0:95 offset1:96
	;; [unrolled: 1-line block ×3, first 2 shown]
	ds_load_b64 v[132:133], v1 offset:792
	s_mov_b32 s0, exec_lo
	s_wait_loadcnt_dscnt 0x403
	v_mul_f32_e32 v22, v14, v3
	s_wait_loadcnt_dscnt 0x302
	v_dual_mul_f32 v136, v20, v9 :: v_dual_mul_f32 v3, v15, v3
	v_dual_mul_f32 v134, v16, v5 :: v_dual_mul_f32 v135, v18, v7
	s_wait_loadcnt_dscnt 0x100
	v_dual_mul_f32 v139, v132, v129 :: v_dual_fmac_f32 v22, v15, v2
	v_mul_f32_e32 v5, v17, v5
	v_fma_f32 v3, v14, v2, -v3
	v_mul_f32_e32 v2, v19, v7
	v_fmac_f32_e32 v134, v17, v4
	v_fmac_f32_e32 v136, v21, v8
	v_fma_f32 v4, v16, v4, -v5
	v_add_f32_e32 v3, 0, v3
	v_add_f32_e32 v5, 0, v22
	v_fma_f32 v2, v18, v6, -v2
	v_fmac_f32_e32 v135, v19, v6
	v_dual_mul_f32 v137, v24, v11 :: v_dual_mul_f32 v138, v26, v13
	s_delay_alu instid0(VALU_DEP_4) | instskip(SKIP_1) | instid1(VALU_DEP_3)
	v_dual_add_f32 v3, v3, v4 :: v_dual_add_f32 v4, v5, v134
	v_mul_f32_e32 v7, v21, v9
	v_dual_mul_f32 v5, v25, v11 :: v_dual_fmac_f32 v138, v27, v12
	s_delay_alu instid0(VALU_DEP_3) | instskip(NEXT) | instid1(VALU_DEP_3)
	v_add_f32_e32 v2, v3, v2
	v_fma_f32 v6, v20, v8, -v7
	s_delay_alu instid0(VALU_DEP_1) | instskip(SKIP_3) | instid1(VALU_DEP_3)
	v_add_f32_e32 v2, v2, v6
	v_dual_mul_f32 v6, v133, v129 :: v_dual_add_f32 v3, v4, v135
	v_mul_f32_e32 v4, v27, v13
	v_fma_f32 v5, v24, v10, -v5
	v_add_f32_e32 v3, v3, v136
	s_delay_alu instid0(VALU_DEP_2) | instskip(NEXT) | instid1(VALU_DEP_4)
	v_dual_fmac_f32 v137, v25, v10 :: v_dual_add_f32 v2, v2, v5
	v_fma_f32 v4, v26, v12, -v4
	v_fma_f32 v5, v132, v128, -v6
	s_delay_alu instid0(VALU_DEP_2) | instskip(SKIP_1) | instid1(VALU_DEP_2)
	v_dual_add_f32 v3, v3, v137 :: v_dual_add_f32 v2, v2, v4
	v_fmac_f32_e32 v139, v133, v128
	v_dual_add_f32 v3, v3, v138 :: v_dual_add_f32 v2, v2, v5
	s_wait_loadcnt 0x0
	s_delay_alu instid0(VALU_DEP_1) | instskip(NEXT) | instid1(VALU_DEP_1)
	v_dual_add_f32 v3, v3, v139 :: v_dual_sub_f32 v2, v130, v2
	v_sub_f32_e32 v3, v131, v3
	scratch_store_b64 off, v[2:3], off offset:336
	v_cmpx_lt_u32_e32 41, v0
	s_cbranch_execz .LBB49_231
; %bb.230:
	scratch_load_b64 v[3:4], off, off offset:328
	v_mov_b32_e32 v2, v1
	scratch_store_b64 off, v[1:2], off offset:328
	s_wait_loadcnt 0x0
	ds_store_b64 v23, v[3:4]
.LBB49_231:
	s_wait_alu 0xfffe
	s_or_b32 exec_lo, exec_lo, s0
	s_wait_storecnt_dscnt 0x0
	s_barrier_signal -1
	s_barrier_wait -1
	global_inv scope:SCOPE_SE
	s_clause 0x4
	scratch_load_b128 v[2:5], off, off offset:336
	scratch_load_b128 v[6:9], off, off offset:352
	;; [unrolled: 1-line block ×4, first 2 shown]
	scratch_load_b64 v[136:137], off, off offset:328
	ds_load_b128 v[18:21], v1 offset:736
	ds_load_b128 v[24:27], v1 offset:752
	;; [unrolled: 1-line block ×4, first 2 shown]
	s_mov_b32 s0, exec_lo
	s_wait_loadcnt_dscnt 0x403
	v_dual_mul_f32 v1, v18, v3 :: v_dual_mul_f32 v22, v20, v5
	v_mul_f32_e32 v3, v19, v3
	s_wait_loadcnt_dscnt 0x302
	v_dual_mul_f32 v138, v24, v7 :: v_dual_mul_f32 v139, v26, v9
	s_delay_alu instid0(VALU_DEP_3) | instskip(NEXT) | instid1(VALU_DEP_3)
	v_dual_fmac_f32 v1, v19, v2 :: v_dual_fmac_f32 v22, v21, v4
	v_fma_f32 v3, v18, v2, -v3
	v_mul_f32_e32 v2, v25, v7
	s_wait_loadcnt_dscnt 0x201
	v_dual_mul_f32 v140, v128, v11 :: v_dual_mul_f32 v141, v130, v13
	s_delay_alu instid0(VALU_DEP_3) | instskip(NEXT) | instid1(VALU_DEP_3)
	v_dual_fmac_f32 v138, v25, v6 :: v_dual_add_f32 v3, 0, v3
	v_fma_f32 v2, v24, v6, -v2
	v_mul_f32_e32 v5, v21, v5
	s_delay_alu instid0(VALU_DEP_4) | instskip(SKIP_2) | instid1(VALU_DEP_3)
	v_dual_fmac_f32 v140, v129, v10 :: v_dual_add_f32 v1, 0, v1
	s_wait_loadcnt_dscnt 0x100
	v_dual_mul_f32 v142, v132, v15 :: v_dual_mul_f32 v143, v134, v17
	v_fma_f32 v4, v20, v4, -v5
	v_mul_f32_e32 v5, v27, v9
	s_delay_alu instid0(VALU_DEP_3) | instskip(NEXT) | instid1(VALU_DEP_4)
	v_dual_fmac_f32 v139, v27, v8 :: v_dual_fmac_f32 v142, v133, v14
	v_fmac_f32_e32 v143, v135, v16
	s_delay_alu instid0(VALU_DEP_3) | instskip(SKIP_1) | instid1(VALU_DEP_1)
	v_fma_f32 v5, v26, v8, -v5
	v_dual_add_f32 v3, v3, v4 :: v_dual_mul_f32 v4, v129, v11
	v_add_f32_e32 v2, v3, v2
	v_mul_f32_e32 v3, v131, v13
	s_delay_alu instid0(VALU_DEP_3) | instskip(NEXT) | instid1(VALU_DEP_3)
	v_fma_f32 v4, v128, v10, -v4
	v_dual_add_f32 v2, v2, v5 :: v_dual_add_f32 v1, v1, v22
	v_mul_f32_e32 v5, v133, v15
	s_delay_alu instid0(VALU_DEP_4) | instskip(NEXT) | instid1(VALU_DEP_3)
	v_fma_f32 v3, v130, v12, -v3
	v_dual_add_f32 v2, v2, v4 :: v_dual_add_f32 v1, v1, v138
	v_mul_f32_e32 v4, v135, v17
	v_fmac_f32_e32 v141, v131, v12
	v_fma_f32 v5, v132, v14, -v5
	s_delay_alu instid0(VALU_DEP_4) | instskip(SKIP_2) | instid1(VALU_DEP_2)
	v_add_f32_e32 v2, v2, v3
	v_add_f32_e32 v1, v1, v139
	v_fma_f32 v3, v134, v16, -v4
	v_dual_add_f32 v2, v2, v5 :: v_dual_add_f32 v1, v1, v140
	s_delay_alu instid0(VALU_DEP_1) | instskip(NEXT) | instid1(VALU_DEP_1)
	v_dual_add_f32 v2, v2, v3 :: v_dual_add_f32 v1, v1, v141
	v_add_f32_e32 v1, v1, v142
	s_delay_alu instid0(VALU_DEP_1) | instskip(SKIP_1) | instid1(VALU_DEP_1)
	v_add_f32_e32 v3, v1, v143
	s_wait_loadcnt 0x0
	v_dual_sub_f32 v1, v136, v2 :: v_dual_sub_f32 v2, v137, v3
	scratch_store_b64 off, v[1:2], off offset:328
	v_cmpx_lt_u32_e32 40, v0
	s_cbranch_execz .LBB49_233
; %bb.232:
	scratch_load_b64 v[1:2], off, off offset:320
	v_mov_b32_e32 v3, 0
	s_delay_alu instid0(VALU_DEP_1)
	v_mov_b32_e32 v4, v3
	scratch_store_b64 off, v[3:4], off offset:320
	s_wait_loadcnt 0x0
	ds_store_b64 v23, v[1:2]
.LBB49_233:
	s_wait_alu 0xfffe
	s_or_b32 exec_lo, exec_lo, s0
	s_wait_storecnt_dscnt 0x0
	s_barrier_signal -1
	s_barrier_wait -1
	global_inv scope:SCOPE_SE
	s_clause 0x5
	scratch_load_b128 v[2:5], off, off offset:328
	scratch_load_b128 v[6:9], off, off offset:344
	;; [unrolled: 1-line block ×4, first 2 shown]
	scratch_load_b64 v[136:137], off, off offset:392
	scratch_load_b64 v[138:139], off, off offset:320
	v_mov_b32_e32 v1, 0
	ds_load_2addr_b64 v[18:21], v1 offset0:91 offset1:92
	ds_load_2addr_b64 v[24:27], v1 offset0:93 offset1:94
	;; [unrolled: 1-line block ×4, first 2 shown]
	ds_load_b64 v[140:141], v1 offset:792
	s_mov_b32 s0, exec_lo
	s_wait_loadcnt_dscnt 0x504
	v_mul_f32_e32 v22, v18, v3
	v_dual_mul_f32 v142, v20, v5 :: v_dual_mul_f32 v3, v19, v3
	s_wait_loadcnt_dscnt 0x403
	v_dual_mul_f32 v143, v24, v7 :: v_dual_mul_f32 v144, v26, v9
	v_mul_f32_e32 v5, v21, v5
	s_wait_loadcnt_dscnt 0x100
	v_dual_mul_f32 v149, v140, v137 :: v_dual_fmac_f32 v22, v19, v2
	v_fma_f32 v3, v18, v2, -v3
	v_mul_f32_e32 v2, v25, v7
	v_fmac_f32_e32 v142, v21, v4
	v_fmac_f32_e32 v144, v27, v8
	v_fma_f32 v4, v20, v4, -v5
	v_add_f32_e32 v3, 0, v3
	v_add_f32_e32 v5, 0, v22
	v_mul_f32_e32 v7, v27, v9
	v_fma_f32 v2, v24, v6, -v2
	v_fmac_f32_e32 v143, v25, v6
	s_delay_alu instid0(VALU_DEP_4) | instskip(SKIP_3) | instid1(VALU_DEP_4)
	v_dual_add_f32 v3, v3, v4 :: v_dual_add_f32 v4, v5, v142
	v_mul_f32_e32 v5, v129, v11
	v_fma_f32 v6, v26, v8, -v7
	v_dual_mul_f32 v145, v128, v11 :: v_dual_mul_f32 v146, v130, v13
	v_dual_add_f32 v2, v3, v2 :: v_dual_add_f32 v3, v4, v143
	v_mul_f32_e32 v4, v131, v13
	v_fma_f32 v5, v128, v10, -v5
	s_delay_alu instid0(VALU_DEP_4) | instskip(NEXT) | instid1(VALU_DEP_4)
	v_fmac_f32_e32 v146, v131, v12
	v_add_f32_e32 v2, v2, v6
	v_fmac_f32_e32 v145, v129, v10
	v_dual_add_f32 v3, v3, v144 :: v_dual_mul_f32 v6, v133, v15
	v_fma_f32 v4, v130, v12, -v4
	s_delay_alu instid0(VALU_DEP_4) | instskip(SKIP_1) | instid1(VALU_DEP_4)
	v_dual_add_f32 v2, v2, v5 :: v_dual_mul_f32 v147, v132, v15
	v_mul_f32_e32 v148, v134, v17
	v_add_f32_e32 v3, v3, v145
	v_fma_f32 v6, v132, v14, -v6
	s_delay_alu instid0(VALU_DEP_4) | instskip(NEXT) | instid1(VALU_DEP_4)
	v_dual_add_f32 v2, v2, v4 :: v_dual_mul_f32 v5, v135, v17
	v_dual_fmac_f32 v147, v133, v14 :: v_dual_fmac_f32 v148, v135, v16
	s_delay_alu instid0(VALU_DEP_4) | instskip(NEXT) | instid1(VALU_DEP_3)
	v_dual_add_f32 v3, v3, v146 :: v_dual_mul_f32 v4, v141, v137
	v_add_f32_e32 v2, v2, v6
	s_delay_alu instid0(VALU_DEP_4) | instskip(NEXT) | instid1(VALU_DEP_3)
	v_fma_f32 v5, v134, v16, -v5
	v_add_f32_e32 v3, v3, v147
	s_delay_alu instid0(VALU_DEP_4) | instskip(NEXT) | instid1(VALU_DEP_2)
	v_fma_f32 v4, v140, v136, -v4
	v_dual_add_f32 v2, v2, v5 :: v_dual_add_f32 v3, v3, v148
	s_delay_alu instid0(VALU_DEP_1) | instskip(SKIP_1) | instid1(VALU_DEP_1)
	v_add_f32_e32 v2, v2, v4
	s_wait_loadcnt 0x0
	v_dual_fmac_f32 v149, v141, v136 :: v_dual_sub_f32 v2, v138, v2
	s_delay_alu instid0(VALU_DEP_1) | instskip(NEXT) | instid1(VALU_DEP_1)
	v_add_f32_e32 v3, v3, v149
	v_sub_f32_e32 v3, v139, v3
	scratch_store_b64 off, v[2:3], off offset:320
	v_cmpx_lt_u32_e32 39, v0
	s_cbranch_execz .LBB49_235
; %bb.234:
	scratch_load_b64 v[3:4], off, off offset:312
	v_mov_b32_e32 v2, v1
	scratch_store_b64 off, v[1:2], off offset:312
	s_wait_loadcnt 0x0
	ds_store_b64 v23, v[3:4]
.LBB49_235:
	s_wait_alu 0xfffe
	s_or_b32 exec_lo, exec_lo, s0
	s_wait_storecnt_dscnt 0x0
	s_barrier_signal -1
	s_barrier_wait -1
	global_inv scope:SCOPE_SE
	s_clause 0x5
	scratch_load_b128 v[2:5], off, off offset:320
	scratch_load_b128 v[6:9], off, off offset:336
	;; [unrolled: 1-line block ×5, first 2 shown]
	scratch_load_b64 v[144:145], off, off offset:312
	ds_load_b128 v[24:27], v1 offset:720
	ds_load_b128 v[128:131], v1 offset:736
	ds_load_b128 v[132:135], v1 offset:752
	ds_load_b128 v[136:139], v1 offset:768
	ds_load_b128 v[140:143], v1 offset:784
	s_mov_b32 s0, exec_lo
	s_wait_loadcnt_dscnt 0x504
	v_dual_mul_f32 v1, v24, v3 :: v_dual_mul_f32 v22, v26, v5
	v_mul_f32_e32 v3, v25, v3
	s_wait_loadcnt_dscnt 0x403
	v_dual_mul_f32 v5, v27, v5 :: v_dual_mul_f32 v146, v128, v7
	s_delay_alu instid0(VALU_DEP_3) | instskip(NEXT) | instid1(VALU_DEP_3)
	v_dual_mul_f32 v147, v130, v9 :: v_dual_fmac_f32 v22, v27, v4
	v_fma_f32 v3, v24, v2, -v3
	v_fmac_f32_e32 v1, v25, v2
	v_mul_f32_e32 v2, v129, v7
	v_fma_f32 v4, v26, v4, -v5
	s_wait_loadcnt_dscnt 0x302
	v_dual_mul_f32 v148, v132, v11 :: v_dual_mul_f32 v149, v134, v13
	v_dual_add_f32 v3, 0, v3 :: v_dual_fmac_f32 v146, v129, v6
	s_wait_loadcnt_dscnt 0x201
	v_dual_mul_f32 v150, v136, v15 :: v_dual_mul_f32 v151, v138, v17
	s_delay_alu instid0(VALU_DEP_3) | instskip(SKIP_1) | instid1(VALU_DEP_3)
	v_dual_mul_f32 v5, v131, v9 :: v_dual_fmac_f32 v148, v133, v10
	v_fma_f32 v2, v128, v6, -v2
	v_dual_add_f32 v3, v3, v4 :: v_dual_fmac_f32 v150, v137, v14
	s_delay_alu instid0(VALU_DEP_3)
	v_fma_f32 v5, v130, v8, -v5
	v_mul_f32_e32 v4, v133, v11
	s_wait_loadcnt_dscnt 0x100
	v_dual_mul_f32 v152, v140, v19 :: v_dual_mul_f32 v153, v142, v21
	v_add_f32_e32 v2, v3, v2
	v_mul_f32_e32 v3, v135, v13
	v_fma_f32 v4, v132, v10, -v4
	s_delay_alu instid0(VALU_DEP_4) | instskip(NEXT) | instid1(VALU_DEP_4)
	v_dual_fmac_f32 v152, v141, v18 :: v_dual_fmac_f32 v151, v139, v16
	v_add_f32_e32 v2, v2, v5
	v_add_f32_e32 v1, 0, v1
	v_fma_f32 v3, v134, v12, -v3
	v_fmac_f32_e32 v153, v143, v20
	s_delay_alu instid0(VALU_DEP_3) | instskip(SKIP_1) | instid1(VALU_DEP_2)
	v_dual_add_f32 v2, v2, v4 :: v_dual_add_f32 v1, v1, v22
	v_mul_f32_e32 v4, v139, v17
	v_dual_fmac_f32 v147, v131, v8 :: v_dual_add_f32 v2, v2, v3
	s_delay_alu instid0(VALU_DEP_3) | instskip(NEXT) | instid1(VALU_DEP_3)
	v_add_f32_e32 v1, v1, v146
	v_fma_f32 v4, v138, v16, -v4
	v_mul_f32_e32 v5, v137, v15
	v_mul_f32_e32 v3, v141, v19
	s_delay_alu instid0(VALU_DEP_4) | instskip(NEXT) | instid1(VALU_DEP_3)
	v_add_f32_e32 v1, v1, v147
	v_fma_f32 v5, v136, v14, -v5
	v_fmac_f32_e32 v149, v135, v12
	s_delay_alu instid0(VALU_DEP_4) | instskip(NEXT) | instid1(VALU_DEP_3)
	v_fma_f32 v3, v140, v18, -v3
	v_add_f32_e32 v2, v2, v5
	s_delay_alu instid0(VALU_DEP_1) | instskip(SKIP_1) | instid1(VALU_DEP_2)
	v_dual_mul_f32 v5, v143, v21 :: v_dual_add_f32 v2, v2, v4
	v_add_f32_e32 v1, v1, v148
	v_fma_f32 v4, v142, v20, -v5
	s_delay_alu instid0(VALU_DEP_2) | instskip(NEXT) | instid1(VALU_DEP_1)
	v_dual_add_f32 v2, v2, v3 :: v_dual_add_f32 v1, v1, v149
	v_dual_add_f32 v2, v2, v4 :: v_dual_add_f32 v1, v1, v150
	s_delay_alu instid0(VALU_DEP_1) | instskip(NEXT) | instid1(VALU_DEP_1)
	v_add_f32_e32 v1, v1, v151
	v_add_f32_e32 v1, v1, v152
	s_delay_alu instid0(VALU_DEP_1) | instskip(SKIP_1) | instid1(VALU_DEP_1)
	v_add_f32_e32 v3, v1, v153
	s_wait_loadcnt 0x0
	v_dual_sub_f32 v1, v144, v2 :: v_dual_sub_f32 v2, v145, v3
	scratch_store_b64 off, v[1:2], off offset:312
	v_cmpx_lt_u32_e32 38, v0
	s_cbranch_execz .LBB49_237
; %bb.236:
	scratch_load_b64 v[1:2], off, off offset:304
	v_mov_b32_e32 v3, 0
	s_delay_alu instid0(VALU_DEP_1)
	v_mov_b32_e32 v4, v3
	scratch_store_b64 off, v[3:4], off offset:304
	s_wait_loadcnt 0x0
	ds_store_b64 v23, v[1:2]
.LBB49_237:
	s_wait_alu 0xfffe
	s_or_b32 exec_lo, exec_lo, s0
	s_wait_storecnt_dscnt 0x0
	s_barrier_signal -1
	s_barrier_wait -1
	global_inv scope:SCOPE_SE
	s_clause 0x6
	scratch_load_b128 v[2:5], off, off offset:312
	scratch_load_b128 v[6:9], off, off offset:328
	;; [unrolled: 1-line block ×5, first 2 shown]
	scratch_load_b64 v[144:145], off, off offset:392
	scratch_load_b64 v[146:147], off, off offset:304
	v_mov_b32_e32 v1, 0
	ds_load_2addr_b64 v[24:27], v1 offset0:89 offset1:90
	ds_load_2addr_b64 v[128:131], v1 offset0:91 offset1:92
	;; [unrolled: 1-line block ×5, first 2 shown]
	ds_load_b64 v[148:149], v1 offset:792
	s_mov_b32 s0, exec_lo
	s_wait_loadcnt_dscnt 0x605
	v_mul_f32_e32 v22, v24, v3
	v_dual_mul_f32 v3, v25, v3 :: v_dual_mul_f32 v150, v26, v5
	s_wait_loadcnt_dscnt 0x302
	v_dual_mul_f32 v151, v128, v7 :: v_dual_mul_f32 v156, v138, v17
	v_mul_f32_e32 v5, v27, v5
	s_delay_alu instid0(VALU_DEP_3)
	v_fma_f32 v3, v24, v2, -v3
	v_dual_mul_f32 v152, v130, v9 :: v_dual_mul_f32 v153, v132, v11
	s_wait_loadcnt_dscnt 0x100
	v_dual_mul_f32 v159, v148, v145 :: v_dual_fmac_f32 v22, v25, v2
	v_mul_f32_e32 v2, v129, v7
	v_dual_fmac_f32 v150, v27, v4 :: v_dual_add_f32 v3, 0, v3
	v_fma_f32 v4, v26, v4, -v5
	s_delay_alu instid0(VALU_DEP_4) | instskip(SKIP_2) | instid1(VALU_DEP_4)
	v_dual_add_f32 v5, 0, v22 :: v_dual_fmac_f32 v152, v131, v8
	v_mul_f32_e32 v7, v131, v9
	v_fma_f32 v2, v128, v6, -v2
	v_add_f32_e32 v3, v3, v4
	v_fmac_f32_e32 v151, v129, v6
	v_add_f32_e32 v4, v5, v150
	v_mul_f32_e32 v5, v133, v11
	v_fma_f32 v6, v130, v8, -v7
	v_add_f32_e32 v2, v3, v2
	v_dual_mul_f32 v154, v134, v13 :: v_dual_mul_f32 v155, v136, v15
	v_dual_add_f32 v3, v4, v151 :: v_dual_mul_f32 v4, v135, v13
	v_fma_f32 v5, v132, v10, -v5
	s_delay_alu instid0(VALU_DEP_4)
	v_add_f32_e32 v2, v2, v6
	v_fmac_f32_e32 v153, v133, v10
	v_mul_f32_e32 v6, v137, v15
	v_fmac_f32_e32 v154, v135, v12
	v_add_f32_e32 v3, v3, v152
	v_fma_f32 v4, v134, v12, -v4
	v_add_f32_e32 v2, v2, v5
	v_mul_f32_e32 v5, v139, v17
	v_fma_f32 v6, v136, v14, -v6
	v_add_f32_e32 v3, v3, v153
	v_dual_fmac_f32 v155, v137, v14 :: v_dual_fmac_f32 v156, v139, v16
	v_add_f32_e32 v2, v2, v4
	v_mul_f32_e32 v4, v141, v19
	v_fma_f32 v5, v138, v16, -v5
	v_dual_mul_f32 v157, v140, v19 :: v_dual_mul_f32 v158, v142, v21
	s_delay_alu instid0(VALU_DEP_4) | instskip(SKIP_1) | instid1(VALU_DEP_3)
	v_add_f32_e32 v2, v2, v6
	v_add_f32_e32 v3, v3, v154
	v_dual_mul_f32 v6, v143, v21 :: v_dual_fmac_f32 v157, v141, v18
	v_fma_f32 v4, v140, v18, -v4
	s_delay_alu instid0(VALU_DEP_3) | instskip(SKIP_1) | instid1(VALU_DEP_4)
	v_dual_add_f32 v2, v2, v5 :: v_dual_add_f32 v3, v3, v155
	v_dual_mul_f32 v5, v149, v145 :: v_dual_fmac_f32 v158, v143, v20
	v_fma_f32 v6, v142, v20, -v6
	s_delay_alu instid0(VALU_DEP_3) | instskip(NEXT) | instid1(VALU_DEP_4)
	v_add_f32_e32 v2, v2, v4
	v_add_f32_e32 v3, v3, v156
	s_delay_alu instid0(VALU_DEP_4) | instskip(NEXT) | instid1(VALU_DEP_2)
	v_fma_f32 v4, v148, v144, -v5
	v_dual_add_f32 v2, v2, v6 :: v_dual_add_f32 v3, v3, v157
	s_delay_alu instid0(VALU_DEP_1) | instskip(SKIP_1) | instid1(VALU_DEP_1)
	v_dual_add_f32 v2, v2, v4 :: v_dual_add_f32 v3, v3, v158
	s_wait_loadcnt 0x0
	v_dual_fmac_f32 v159, v149, v144 :: v_dual_sub_f32 v2, v146, v2
	s_delay_alu instid0(VALU_DEP_1) | instskip(NEXT) | instid1(VALU_DEP_1)
	v_add_f32_e32 v3, v3, v159
	v_sub_f32_e32 v3, v147, v3
	scratch_store_b64 off, v[2:3], off offset:304
	v_cmpx_lt_u32_e32 37, v0
	s_cbranch_execz .LBB49_239
; %bb.238:
	scratch_load_b64 v[3:4], off, off offset:296
	v_mov_b32_e32 v2, v1
	scratch_store_b64 off, v[1:2], off offset:296
	s_wait_loadcnt 0x0
	ds_store_b64 v23, v[3:4]
.LBB49_239:
	s_wait_alu 0xfffe
	s_or_b32 exec_lo, exec_lo, s0
	s_wait_storecnt_dscnt 0x0
	s_barrier_signal -1
	s_barrier_wait -1
	global_inv scope:SCOPE_SE
	s_clause 0x6
	scratch_load_b128 v[2:5], off, off offset:304
	scratch_load_b128 v[6:9], off, off offset:320
	scratch_load_b128 v[10:13], off, off offset:336
	scratch_load_b128 v[14:17], off, off offset:352
	scratch_load_b128 v[18:21], off, off offset:368
	scratch_load_b128 v[24:27], off, off offset:384
	scratch_load_b64 v[152:153], off, off offset:296
	ds_load_b128 v[128:131], v1 offset:704
	ds_load_b128 v[132:135], v1 offset:720
	;; [unrolled: 1-line block ×6, first 2 shown]
	s_mov_b32 s0, exec_lo
	s_wait_loadcnt_dscnt 0x605
	v_dual_mul_f32 v1, v128, v3 :: v_dual_mul_f32 v22, v130, v5
	v_mul_f32_e32 v3, v129, v3
	s_wait_loadcnt_dscnt 0x504
	v_dual_mul_f32 v5, v131, v5 :: v_dual_mul_f32 v154, v132, v7
	v_mul_f32_e32 v155, v134, v9
	s_wait_loadcnt_dscnt 0x100
	v_mul_f32_e32 v162, v148, v25
	v_fma_f32 v3, v128, v2, -v3
	v_dual_mul_f32 v163, v150, v27 :: v_dual_fmac_f32 v22, v131, v4
	v_fmac_f32_e32 v1, v129, v2
	v_mul_f32_e32 v2, v133, v7
	v_fma_f32 v4, v130, v4, -v5
	v_dual_add_f32 v3, 0, v3 :: v_dual_fmac_f32 v154, v133, v6
	v_dual_mul_f32 v156, v136, v11 :: v_dual_mul_f32 v157, v138, v13
	v_dual_mul_f32 v158, v140, v15 :: v_dual_mul_f32 v159, v142, v17
	s_delay_alu instid0(VALU_DEP_2) | instskip(SKIP_1) | instid1(VALU_DEP_3)
	v_dual_mul_f32 v5, v135, v9 :: v_dual_fmac_f32 v156, v137, v10
	v_fma_f32 v2, v132, v6, -v2
	v_dual_add_f32 v3, v3, v4 :: v_dual_fmac_f32 v158, v141, v14
	s_delay_alu instid0(VALU_DEP_3) | instskip(SKIP_2) | instid1(VALU_DEP_4)
	v_fma_f32 v5, v134, v8, -v5
	v_mul_f32_e32 v4, v137, v11
	v_dual_mul_f32 v160, v144, v19 :: v_dual_mul_f32 v161, v146, v21
	v_add_f32_e32 v2, v3, v2
	v_mul_f32_e32 v3, v139, v13
	s_delay_alu instid0(VALU_DEP_4) | instskip(NEXT) | instid1(VALU_DEP_4)
	v_fma_f32 v4, v136, v10, -v4
	v_dual_fmac_f32 v160, v145, v18 :: v_dual_fmac_f32 v159, v143, v16
	s_delay_alu instid0(VALU_DEP_4) | instskip(SKIP_3) | instid1(VALU_DEP_4)
	v_add_f32_e32 v2, v2, v5
	v_add_f32_e32 v1, 0, v1
	v_fma_f32 v3, v138, v12, -v3
	v_fmac_f32_e32 v161, v147, v20
	v_dual_fmac_f32 v163, v151, v26 :: v_dual_add_f32 v2, v2, v4
	s_delay_alu instid0(VALU_DEP_4) | instskip(SKIP_2) | instid1(VALU_DEP_3)
	v_dual_add_f32 v1, v1, v22 :: v_dual_mul_f32 v4, v143, v17
	v_fmac_f32_e32 v155, v135, v8
	v_fmac_f32_e32 v162, v149, v24
	v_dual_add_f32 v2, v2, v3 :: v_dual_add_f32 v1, v1, v154
	s_delay_alu instid0(VALU_DEP_4) | instskip(SKIP_1) | instid1(VALU_DEP_3)
	v_fma_f32 v4, v142, v16, -v4
	v_mul_f32_e32 v5, v141, v15
	v_add_f32_e32 v1, v1, v155
	s_delay_alu instid0(VALU_DEP_2) | instskip(NEXT) | instid1(VALU_DEP_1)
	v_fma_f32 v5, v140, v14, -v5
	v_dual_fmac_f32 v157, v139, v12 :: v_dual_add_f32 v2, v2, v5
	s_delay_alu instid0(VALU_DEP_1) | instskip(NEXT) | instid1(VALU_DEP_1)
	v_dual_mul_f32 v5, v147, v21 :: v_dual_add_f32 v2, v2, v4
	v_fma_f32 v5, v146, v20, -v5
	v_mul_f32_e32 v3, v145, v19
	v_mul_f32_e32 v4, v149, v25
	s_delay_alu instid0(VALU_DEP_2) | instskip(SKIP_1) | instid1(VALU_DEP_3)
	v_fma_f32 v3, v144, v18, -v3
	v_add_f32_e32 v1, v1, v156
	v_fma_f32 v4, v148, v24, -v4
	s_delay_alu instid0(VALU_DEP_3) | instskip(NEXT) | instid1(VALU_DEP_1)
	v_add_f32_e32 v2, v2, v3
	v_dual_mul_f32 v3, v151, v27 :: v_dual_add_f32 v2, v2, v5
	s_delay_alu instid0(VALU_DEP_4) | instskip(NEXT) | instid1(VALU_DEP_2)
	v_add_f32_e32 v1, v1, v157
	v_fma_f32 v3, v150, v26, -v3
	s_delay_alu instid0(VALU_DEP_2) | instskip(NEXT) | instid1(VALU_DEP_1)
	v_dual_add_f32 v2, v2, v4 :: v_dual_add_f32 v1, v1, v158
	v_add_f32_e32 v2, v2, v3
	s_delay_alu instid0(VALU_DEP_2) | instskip(NEXT) | instid1(VALU_DEP_1)
	v_add_f32_e32 v1, v1, v159
	v_add_f32_e32 v1, v1, v160
	s_delay_alu instid0(VALU_DEP_1) | instskip(NEXT) | instid1(VALU_DEP_1)
	v_add_f32_e32 v1, v1, v161
	v_add_f32_e32 v1, v1, v162
	s_delay_alu instid0(VALU_DEP_1) | instskip(SKIP_1) | instid1(VALU_DEP_1)
	v_add_f32_e32 v3, v1, v163
	s_wait_loadcnt 0x0
	v_dual_sub_f32 v1, v152, v2 :: v_dual_sub_f32 v2, v153, v3
	scratch_store_b64 off, v[1:2], off offset:296
	v_cmpx_lt_u32_e32 36, v0
	s_cbranch_execz .LBB49_241
; %bb.240:
	scratch_load_b64 v[1:2], off, off offset:288
	v_mov_b32_e32 v3, 0
	s_delay_alu instid0(VALU_DEP_1)
	v_mov_b32_e32 v4, v3
	scratch_store_b64 off, v[3:4], off offset:288
	s_wait_loadcnt 0x0
	ds_store_b64 v23, v[1:2]
.LBB49_241:
	s_wait_alu 0xfffe
	s_or_b32 exec_lo, exec_lo, s0
	s_wait_storecnt_dscnt 0x0
	s_barrier_signal -1
	s_barrier_wait -1
	global_inv scope:SCOPE_SE
	s_clause 0x7
	scratch_load_b128 v[2:5], off, off offset:296
	scratch_load_b128 v[6:9], off, off offset:312
	;; [unrolled: 1-line block ×6, first 2 shown]
	scratch_load_b64 v[152:153], off, off offset:392
	scratch_load_b64 v[154:155], off, off offset:288
	v_mov_b32_e32 v1, 0
	ds_load_2addr_b64 v[128:131], v1 offset0:87 offset1:88
	ds_load_2addr_b64 v[132:135], v1 offset0:89 offset1:90
	;; [unrolled: 1-line block ×6, first 2 shown]
	ds_load_b64 v[156:157], v1 offset:792
	s_mov_b32 s0, exec_lo
	s_wait_loadcnt_dscnt 0x706
	v_mul_f32_e32 v22, v128, v3
	v_dual_mul_f32 v3, v129, v3 :: v_dual_mul_f32 v158, v130, v5
	s_wait_loadcnt_dscnt 0x302
	v_dual_mul_f32 v159, v132, v7 :: v_dual_mul_f32 v166, v146, v21
	v_mul_f32_e32 v5, v131, v5
	s_delay_alu instid0(VALU_DEP_3)
	v_fma_f32 v3, v128, v2, -v3
	v_dual_mul_f32 v160, v134, v9 :: v_dual_mul_f32 v161, v136, v11
	s_wait_loadcnt_dscnt 0x100
	v_dual_mul_f32 v169, v156, v153 :: v_dual_fmac_f32 v22, v129, v2
	v_mul_f32_e32 v2, v133, v7
	v_dual_fmac_f32 v158, v131, v4 :: v_dual_add_f32 v3, 0, v3
	v_fma_f32 v4, v130, v4, -v5
	s_delay_alu instid0(VALU_DEP_4) | instskip(SKIP_2) | instid1(VALU_DEP_4)
	v_dual_add_f32 v5, 0, v22 :: v_dual_fmac_f32 v160, v135, v8
	v_mul_f32_e32 v7, v135, v9
	v_fma_f32 v2, v132, v6, -v2
	v_add_f32_e32 v3, v3, v4
	v_fmac_f32_e32 v159, v133, v6
	v_add_f32_e32 v4, v5, v158
	v_mul_f32_e32 v5, v137, v11
	v_fma_f32 v6, v134, v8, -v7
	v_add_f32_e32 v2, v3, v2
	v_dual_mul_f32 v162, v138, v13 :: v_dual_mul_f32 v163, v140, v15
	v_dual_add_f32 v3, v4, v159 :: v_dual_mul_f32 v4, v139, v13
	v_fma_f32 v5, v136, v10, -v5
	s_delay_alu instid0(VALU_DEP_4)
	v_add_f32_e32 v2, v2, v6
	v_fmac_f32_e32 v161, v137, v10
	v_mul_f32_e32 v6, v141, v15
	v_fmac_f32_e32 v162, v139, v12
	v_add_f32_e32 v3, v3, v160
	v_fma_f32 v4, v138, v12, -v4
	v_add_f32_e32 v2, v2, v5
	v_dual_mul_f32 v164, v142, v17 :: v_dual_mul_f32 v165, v144, v19
	s_delay_alu instid0(VALU_DEP_4)
	v_add_f32_e32 v3, v3, v161
	v_mul_f32_e32 v5, v143, v17
	v_fma_f32 v6, v140, v14, -v6
	v_dual_add_f32 v2, v2, v4 :: v_dual_fmac_f32 v163, v141, v14
	v_fmac_f32_e32 v164, v143, v16
	v_mul_f32_e32 v4, v145, v19
	v_fma_f32 v5, v142, v16, -v5
	s_delay_alu instid0(VALU_DEP_4) | instskip(SKIP_3) | instid1(VALU_DEP_3)
	v_add_f32_e32 v2, v2, v6
	v_add_f32_e32 v3, v3, v162
	v_dual_mul_f32 v6, v147, v21 :: v_dual_fmac_f32 v165, v145, v18
	v_fma_f32 v4, v144, v18, -v4
	v_dual_add_f32 v2, v2, v5 :: v_dual_add_f32 v3, v3, v163
	s_delay_alu instid0(VALU_DEP_3) | instskip(SKIP_1) | instid1(VALU_DEP_3)
	v_fma_f32 v6, v146, v20, -v6
	v_dual_mul_f32 v167, v148, v25 :: v_dual_mul_f32 v168, v150, v27
	v_add_f32_e32 v2, v2, v4
	s_delay_alu instid0(VALU_DEP_4) | instskip(SKIP_1) | instid1(VALU_DEP_4)
	v_add_f32_e32 v3, v3, v164
	v_dual_mul_f32 v5, v149, v25 :: v_dual_fmac_f32 v166, v147, v20
	v_dual_mul_f32 v4, v151, v27 :: v_dual_fmac_f32 v167, v149, v24
	s_delay_alu instid0(VALU_DEP_3) | instskip(NEXT) | instid1(VALU_DEP_3)
	v_dual_add_f32 v2, v2, v6 :: v_dual_add_f32 v3, v3, v165
	v_fma_f32 v5, v148, v24, -v5
	v_mul_f32_e32 v6, v157, v153
	v_dual_fmac_f32 v168, v151, v26 :: v_dual_fmac_f32 v169, v157, v152
	s_delay_alu instid0(VALU_DEP_4) | instskip(SKIP_3) | instid1(VALU_DEP_4)
	v_add_f32_e32 v3, v3, v166
	v_fma_f32 v4, v150, v26, -v4
	v_add_f32_e32 v2, v2, v5
	v_fma_f32 v5, v156, v152, -v6
	v_add_f32_e32 v3, v3, v167
	s_delay_alu instid0(VALU_DEP_1) | instskip(NEXT) | instid1(VALU_DEP_1)
	v_add_f32_e32 v3, v3, v168
	v_dual_add_f32 v2, v2, v4 :: v_dual_add_f32 v3, v3, v169
	s_wait_loadcnt 0x0
	s_delay_alu instid0(VALU_DEP_1) | instskip(NEXT) | instid1(VALU_DEP_1)
	v_dual_add_f32 v2, v2, v5 :: v_dual_sub_f32 v3, v155, v3
	v_sub_f32_e32 v2, v154, v2
	scratch_store_b64 off, v[2:3], off offset:288
	v_cmpx_lt_u32_e32 35, v0
	s_cbranch_execz .LBB49_243
; %bb.242:
	scratch_load_b64 v[3:4], off, off offset:280
	v_mov_b32_e32 v2, v1
	scratch_store_b64 off, v[1:2], off offset:280
	s_wait_loadcnt 0x0
	ds_store_b64 v23, v[3:4]
.LBB49_243:
	s_wait_alu 0xfffe
	s_or_b32 exec_lo, exec_lo, s0
	s_wait_storecnt_dscnt 0x0
	s_barrier_signal -1
	s_barrier_wait -1
	global_inv scope:SCOPE_SE
	s_clause 0x7
	scratch_load_b128 v[2:5], off, off offset:288
	scratch_load_b128 v[6:9], off, off offset:304
	;; [unrolled: 1-line block ×7, first 2 shown]
	scratch_load_b64 v[160:161], off, off offset:280
	ds_load_b128 v[132:135], v1 offset:688
	ds_load_b128 v[136:139], v1 offset:704
	;; [unrolled: 1-line block ×7, first 2 shown]
	s_mov_b32 s0, exec_lo
	s_wait_loadcnt_dscnt 0x706
	v_dual_mul_f32 v1, v132, v3 :: v_dual_mul_f32 v22, v134, v5
	v_mul_f32_e32 v3, v133, v3
	s_wait_loadcnt_dscnt 0x605
	v_dual_mul_f32 v5, v135, v5 :: v_dual_mul_f32 v162, v136, v7
	v_mul_f32_e32 v163, v138, v9
	s_wait_loadcnt_dscnt 0x201
	v_mul_f32_e32 v170, v152, v25
	v_fma_f32 v3, v132, v2, -v3
	s_wait_loadcnt_dscnt 0x100
	v_dual_mul_f32 v173, v158, v131 :: v_dual_fmac_f32 v22, v135, v4
	v_fmac_f32_e32 v1, v133, v2
	v_mul_f32_e32 v2, v137, v7
	v_fma_f32 v4, v134, v4, -v5
	v_dual_add_f32 v3, 0, v3 :: v_dual_fmac_f32 v162, v137, v6
	v_dual_mul_f32 v164, v140, v11 :: v_dual_mul_f32 v165, v142, v13
	v_dual_mul_f32 v166, v144, v15 :: v_dual_mul_f32 v167, v146, v17
	s_delay_alu instid0(VALU_DEP_2) | instskip(SKIP_1) | instid1(VALU_DEP_3)
	v_dual_mul_f32 v5, v139, v9 :: v_dual_fmac_f32 v164, v141, v10
	v_fma_f32 v2, v136, v6, -v2
	v_dual_add_f32 v3, v3, v4 :: v_dual_fmac_f32 v166, v145, v14
	s_delay_alu instid0(VALU_DEP_3) | instskip(SKIP_1) | instid1(VALU_DEP_3)
	v_fma_f32 v5, v138, v8, -v5
	v_dual_mul_f32 v168, v148, v19 :: v_dual_mul_f32 v169, v150, v21
	v_add_f32_e32 v2, v3, v2
	v_dual_mul_f32 v4, v141, v11 :: v_dual_mul_f32 v3, v143, v13
	s_delay_alu instid0(VALU_DEP_3) | instskip(NEXT) | instid1(VALU_DEP_3)
	v_dual_fmac_f32 v168, v149, v18 :: v_dual_fmac_f32 v167, v147, v16
	v_add_f32_e32 v2, v2, v5
	v_add_f32_e32 v1, 0, v1
	s_delay_alu instid0(VALU_DEP_4) | instskip(SKIP_2) | instid1(VALU_DEP_3)
	v_fma_f32 v4, v140, v10, -v4
	v_fma_f32 v3, v142, v12, -v3
	v_dual_mul_f32 v171, v154, v27 :: v_dual_mul_f32 v172, v156, v129
	v_dual_add_f32 v1, v1, v22 :: v_dual_add_f32 v2, v2, v4
	v_mul_f32_e32 v4, v147, v17
	v_fmac_f32_e32 v163, v139, v8
	s_delay_alu instid0(VALU_DEP_4) | instskip(NEXT) | instid1(VALU_DEP_4)
	v_fmac_f32_e32 v171, v155, v26
	v_dual_add_f32 v1, v1, v162 :: v_dual_add_f32 v2, v2, v3
	s_delay_alu instid0(VALU_DEP_4) | instskip(SKIP_2) | instid1(VALU_DEP_4)
	v_fma_f32 v4, v146, v16, -v4
	v_mul_f32_e32 v5, v145, v15
	v_fmac_f32_e32 v173, v159, v130
	v_add_f32_e32 v1, v1, v163
	v_fmac_f32_e32 v170, v153, v24
	v_fmac_f32_e32 v172, v157, v128
	v_fma_f32 v5, v144, v14, -v5
	s_delay_alu instid0(VALU_DEP_1) | instskip(NEXT) | instid1(VALU_DEP_1)
	v_dual_fmac_f32 v165, v143, v12 :: v_dual_add_f32 v2, v2, v5
	v_dual_mul_f32 v5, v151, v21 :: v_dual_add_f32 v2, v2, v4
	s_delay_alu instid0(VALU_DEP_1) | instskip(SKIP_2) | instid1(VALU_DEP_2)
	v_fma_f32 v5, v150, v20, -v5
	v_mul_f32_e32 v3, v149, v19
	v_mul_f32_e32 v4, v153, v25
	v_fma_f32 v3, v148, v18, -v3
	v_add_f32_e32 v1, v1, v164
	s_delay_alu instid0(VALU_DEP_3) | instskip(NEXT) | instid1(VALU_DEP_3)
	v_fma_f32 v4, v152, v24, -v4
	v_add_f32_e32 v2, v2, v3
	s_delay_alu instid0(VALU_DEP_1) | instskip(NEXT) | instid1(VALU_DEP_4)
	v_dual_mul_f32 v3, v155, v27 :: v_dual_add_f32 v2, v2, v5
	v_add_f32_e32 v1, v1, v165
	v_mul_f32_e32 v5, v157, v129
	s_delay_alu instid0(VALU_DEP_3) | instskip(NEXT) | instid1(VALU_DEP_3)
	v_fma_f32 v3, v154, v26, -v3
	v_dual_add_f32 v2, v2, v4 :: v_dual_add_f32 v1, v1, v166
	v_mul_f32_e32 v4, v159, v131
	v_fmac_f32_e32 v169, v151, v20
	v_fma_f32 v5, v156, v128, -v5
	s_delay_alu instid0(VALU_DEP_4) | instskip(SKIP_2) | instid1(VALU_DEP_2)
	v_add_f32_e32 v2, v2, v3
	v_add_f32_e32 v1, v1, v167
	v_fma_f32 v3, v158, v130, -v4
	v_dual_add_f32 v2, v2, v5 :: v_dual_add_f32 v1, v1, v168
	s_delay_alu instid0(VALU_DEP_1) | instskip(NEXT) | instid1(VALU_DEP_1)
	v_dual_add_f32 v2, v2, v3 :: v_dual_add_f32 v1, v1, v169
	v_add_f32_e32 v1, v1, v170
	s_delay_alu instid0(VALU_DEP_1) | instskip(NEXT) | instid1(VALU_DEP_1)
	v_add_f32_e32 v1, v1, v171
	v_add_f32_e32 v1, v1, v172
	s_delay_alu instid0(VALU_DEP_1) | instskip(SKIP_1) | instid1(VALU_DEP_1)
	v_add_f32_e32 v3, v1, v173
	s_wait_loadcnt 0x0
	v_dual_sub_f32 v1, v160, v2 :: v_dual_sub_f32 v2, v161, v3
	scratch_store_b64 off, v[1:2], off offset:280
	v_cmpx_lt_u32_e32 34, v0
	s_cbranch_execz .LBB49_245
; %bb.244:
	scratch_load_b64 v[1:2], off, off offset:272
	v_mov_b32_e32 v3, 0
	s_delay_alu instid0(VALU_DEP_1)
	v_mov_b32_e32 v4, v3
	scratch_store_b64 off, v[3:4], off offset:272
	s_wait_loadcnt 0x0
	ds_store_b64 v23, v[1:2]
.LBB49_245:
	s_wait_alu 0xfffe
	s_or_b32 exec_lo, exec_lo, s0
	s_wait_storecnt_dscnt 0x0
	s_barrier_signal -1
	s_barrier_wait -1
	global_inv scope:SCOPE_SE
	s_clause 0x8
	scratch_load_b128 v[2:5], off, off offset:280
	scratch_load_b128 v[6:9], off, off offset:296
	;; [unrolled: 1-line block ×7, first 2 shown]
	scratch_load_b64 v[160:161], off, off offset:392
	scratch_load_b64 v[162:163], off, off offset:272
	v_mov_b32_e32 v1, 0
	ds_load_2addr_b64 v[132:135], v1 offset0:85 offset1:86
	ds_load_2addr_b64 v[136:139], v1 offset0:87 offset1:88
	;; [unrolled: 1-line block ×7, first 2 shown]
	ds_load_b64 v[164:165], v1 offset:792
	s_mov_b32 s0, exec_lo
	s_wait_loadcnt_dscnt 0x807
	v_mul_f32_e32 v22, v132, v3
	v_dual_mul_f32 v3, v133, v3 :: v_dual_mul_f32 v166, v134, v5
	s_wait_loadcnt_dscnt 0x403
	v_dual_mul_f32 v167, v136, v7 :: v_dual_mul_f32 v174, v150, v21
	v_mul_f32_e32 v5, v135, v5
	s_delay_alu instid0(VALU_DEP_3)
	v_fma_f32 v3, v132, v2, -v3
	v_dual_mul_f32 v168, v138, v9 :: v_dual_mul_f32 v169, v140, v11
	s_wait_loadcnt_dscnt 0x100
	v_dual_mul_f32 v179, v164, v161 :: v_dual_fmac_f32 v22, v133, v2
	v_mul_f32_e32 v2, v137, v7
	v_dual_fmac_f32 v166, v135, v4 :: v_dual_add_f32 v3, 0, v3
	v_fma_f32 v4, v134, v4, -v5
	s_delay_alu instid0(VALU_DEP_4) | instskip(SKIP_2) | instid1(VALU_DEP_4)
	v_dual_add_f32 v5, 0, v22 :: v_dual_fmac_f32 v168, v139, v8
	v_mul_f32_e32 v7, v139, v9
	v_fma_f32 v2, v136, v6, -v2
	v_add_f32_e32 v3, v3, v4
	v_fmac_f32_e32 v167, v137, v6
	v_add_f32_e32 v4, v5, v166
	v_mul_f32_e32 v5, v141, v11
	v_fma_f32 v6, v138, v8, -v7
	v_add_f32_e32 v2, v3, v2
	v_dual_mul_f32 v170, v142, v13 :: v_dual_mul_f32 v171, v144, v15
	v_dual_add_f32 v3, v4, v167 :: v_dual_mul_f32 v4, v143, v13
	v_fma_f32 v5, v140, v10, -v5
	s_delay_alu instid0(VALU_DEP_4)
	v_add_f32_e32 v2, v2, v6
	v_fmac_f32_e32 v169, v141, v10
	v_mul_f32_e32 v6, v145, v15
	v_fmac_f32_e32 v170, v143, v12
	v_add_f32_e32 v3, v3, v168
	v_fma_f32 v4, v142, v12, -v4
	v_add_f32_e32 v2, v2, v5
	v_dual_mul_f32 v172, v146, v17 :: v_dual_mul_f32 v173, v148, v19
	s_delay_alu instid0(VALU_DEP_4)
	v_add_f32_e32 v3, v3, v169
	v_mul_f32_e32 v5, v147, v17
	v_fma_f32 v6, v144, v14, -v6
	v_dual_add_f32 v2, v2, v4 :: v_dual_fmac_f32 v171, v145, v14
	v_fmac_f32_e32 v172, v147, v16
	v_mul_f32_e32 v4, v149, v19
	v_fma_f32 v5, v146, v16, -v5
	s_delay_alu instid0(VALU_DEP_4) | instskip(SKIP_3) | instid1(VALU_DEP_3)
	v_add_f32_e32 v2, v2, v6
	v_add_f32_e32 v3, v3, v170
	v_dual_mul_f32 v6, v151, v21 :: v_dual_fmac_f32 v173, v149, v18
	v_fma_f32 v4, v148, v18, -v4
	v_dual_add_f32 v2, v2, v5 :: v_dual_add_f32 v3, v3, v171
	s_delay_alu instid0(VALU_DEP_3) | instskip(SKIP_1) | instid1(VALU_DEP_3)
	v_fma_f32 v6, v150, v20, -v6
	v_dual_mul_f32 v175, v152, v25 :: v_dual_mul_f32 v176, v154, v27
	v_add_f32_e32 v2, v2, v4
	s_delay_alu instid0(VALU_DEP_4) | instskip(SKIP_1) | instid1(VALU_DEP_4)
	v_add_f32_e32 v3, v3, v172
	v_dual_mul_f32 v5, v153, v25 :: v_dual_fmac_f32 v174, v151, v20
	v_dual_mul_f32 v4, v155, v27 :: v_dual_fmac_f32 v175, v153, v24
	s_delay_alu instid0(VALU_DEP_3) | instskip(NEXT) | instid1(VALU_DEP_3)
	v_dual_add_f32 v2, v2, v6 :: v_dual_add_f32 v3, v3, v173
	v_fma_f32 v5, v152, v24, -v5
	v_dual_mul_f32 v177, v156, v129 :: v_dual_mul_f32 v178, v158, v131
	s_delay_alu instid0(VALU_DEP_3) | instskip(NEXT) | instid1(VALU_DEP_2)
	v_dual_mul_f32 v6, v157, v129 :: v_dual_add_f32 v3, v3, v174
	v_dual_fmac_f32 v176, v155, v26 :: v_dual_fmac_f32 v177, v157, v128
	v_fma_f32 v4, v154, v26, -v4
	s_delay_alu instid0(VALU_DEP_3) | instskip(SKIP_3) | instid1(VALU_DEP_4)
	v_dual_add_f32 v2, v2, v5 :: v_dual_add_f32 v3, v3, v175
	v_mul_f32_e32 v5, v159, v131
	v_fma_f32 v6, v156, v128, -v6
	v_dual_fmac_f32 v178, v159, v130 :: v_dual_fmac_f32 v179, v165, v160
	v_add_f32_e32 v2, v2, v4
	v_dual_add_f32 v3, v3, v176 :: v_dual_mul_f32 v4, v165, v161
	v_fma_f32 v5, v158, v130, -v5
	s_delay_alu instid0(VALU_DEP_2) | instskip(NEXT) | instid1(VALU_DEP_3)
	v_dual_add_f32 v2, v2, v6 :: v_dual_add_f32 v3, v3, v177
	v_fma_f32 v4, v164, v160, -v4
	s_delay_alu instid0(VALU_DEP_2) | instskip(NEXT) | instid1(VALU_DEP_1)
	v_dual_add_f32 v2, v2, v5 :: v_dual_add_f32 v3, v3, v178
	v_dual_add_f32 v2, v2, v4 :: v_dual_add_f32 v3, v3, v179
	s_wait_loadcnt 0x0
	s_delay_alu instid0(VALU_DEP_1)
	v_dual_sub_f32 v2, v162, v2 :: v_dual_sub_f32 v3, v163, v3
	scratch_store_b64 off, v[2:3], off offset:272
	v_cmpx_lt_u32_e32 33, v0
	s_cbranch_execz .LBB49_247
; %bb.246:
	scratch_load_b64 v[3:4], off, off offset:264
	v_mov_b32_e32 v2, v1
	scratch_store_b64 off, v[1:2], off offset:264
	s_wait_loadcnt 0x0
	ds_store_b64 v23, v[3:4]
.LBB49_247:
	s_wait_alu 0xfffe
	s_or_b32 exec_lo, exec_lo, s0
	s_wait_storecnt_dscnt 0x0
	s_barrier_signal -1
	s_barrier_wait -1
	global_inv scope:SCOPE_SE
	s_clause 0x8
	scratch_load_b128 v[2:5], off, off offset:272
	scratch_load_b128 v[6:9], off, off offset:288
	;; [unrolled: 1-line block ×8, first 2 shown]
	scratch_load_b64 v[168:169], off, off offset:264
	ds_load_b128 v[136:139], v1 offset:672
	ds_load_b128 v[140:143], v1 offset:688
	;; [unrolled: 1-line block ×8, first 2 shown]
	s_mov_b32 s0, exec_lo
	s_wait_loadcnt_dscnt 0x807
	v_dual_mul_f32 v1, v136, v3 :: v_dual_mul_f32 v22, v138, v5
	v_mul_f32_e32 v3, v137, v3
	s_wait_loadcnt_dscnt 0x706
	v_dual_mul_f32 v5, v139, v5 :: v_dual_mul_f32 v170, v140, v7
	v_mul_f32_e32 v171, v142, v9
	s_wait_loadcnt_dscnt 0x201
	v_mul_f32_e32 v180, v160, v129
	v_fma_f32 v3, v136, v2, -v3
	s_wait_loadcnt_dscnt 0x100
	v_dual_mul_f32 v183, v166, v135 :: v_dual_fmac_f32 v22, v139, v4
	v_fmac_f32_e32 v1, v137, v2
	v_mul_f32_e32 v2, v141, v7
	v_fma_f32 v4, v138, v4, -v5
	v_dual_add_f32 v3, 0, v3 :: v_dual_fmac_f32 v170, v141, v6
	v_dual_mul_f32 v172, v144, v11 :: v_dual_mul_f32 v173, v146, v13
	v_dual_mul_f32 v174, v148, v15 :: v_dual_mul_f32 v175, v150, v17
	s_delay_alu instid0(VALU_DEP_2) | instskip(SKIP_1) | instid1(VALU_DEP_3)
	v_dual_mul_f32 v5, v143, v9 :: v_dual_fmac_f32 v172, v145, v10
	v_fma_f32 v2, v140, v6, -v2
	v_dual_add_f32 v3, v3, v4 :: v_dual_fmac_f32 v174, v149, v14
	s_delay_alu instid0(VALU_DEP_3) | instskip(SKIP_1) | instid1(VALU_DEP_3)
	v_fma_f32 v5, v142, v8, -v5
	v_dual_mul_f32 v176, v152, v19 :: v_dual_mul_f32 v177, v154, v21
	v_add_f32_e32 v2, v3, v2
	v_dual_mul_f32 v4, v145, v11 :: v_dual_mul_f32 v3, v147, v13
	s_delay_alu instid0(VALU_DEP_3) | instskip(SKIP_1) | instid1(VALU_DEP_4)
	v_fmac_f32_e32 v176, v153, v18
	v_dual_mul_f32 v178, v156, v25 :: v_dual_mul_f32 v179, v158, v27
	v_add_f32_e32 v2, v2, v5
	v_add_f32_e32 v1, 0, v1
	v_fma_f32 v4, v144, v10, -v4
	v_fma_f32 v3, v146, v12, -v3
	v_fmac_f32_e32 v175, v151, v16
	v_dual_mul_f32 v181, v162, v131 :: v_dual_mul_f32 v182, v164, v133
	s_delay_alu instid0(VALU_DEP_4) | instskip(SKIP_2) | instid1(VALU_DEP_4)
	v_dual_add_f32 v1, v1, v22 :: v_dual_add_f32 v2, v2, v4
	v_mul_f32_e32 v4, v151, v17
	v_fmac_f32_e32 v171, v143, v8
	v_dual_fmac_f32 v179, v159, v26 :: v_dual_fmac_f32 v182, v165, v132
	s_delay_alu instid0(VALU_DEP_4) | instskip(NEXT) | instid1(VALU_DEP_4)
	v_add_f32_e32 v1, v1, v170
	v_fma_f32 v4, v150, v16, -v4
	v_mul_f32_e32 v5, v149, v15
	v_dual_add_f32 v2, v2, v3 :: v_dual_fmac_f32 v181, v163, v130
	s_delay_alu instid0(VALU_DEP_4) | instskip(SKIP_1) | instid1(VALU_DEP_4)
	v_add_f32_e32 v1, v1, v171
	v_fmac_f32_e32 v178, v157, v24
	v_fma_f32 v5, v148, v14, -v5
	v_fmac_f32_e32 v173, v147, v12
	v_dual_fmac_f32 v183, v167, v134 :: v_dual_fmac_f32 v180, v161, v128
	s_delay_alu instid0(VALU_DEP_3) | instskip(NEXT) | instid1(VALU_DEP_1)
	v_add_f32_e32 v2, v2, v5
	v_dual_mul_f32 v5, v155, v21 :: v_dual_add_f32 v2, v2, v4
	s_delay_alu instid0(VALU_DEP_1) | instskip(SKIP_2) | instid1(VALU_DEP_2)
	v_fma_f32 v5, v154, v20, -v5
	v_mul_f32_e32 v3, v153, v19
	v_mul_f32_e32 v4, v157, v25
	v_fma_f32 v3, v152, v18, -v3
	v_add_f32_e32 v1, v1, v172
	s_delay_alu instid0(VALU_DEP_3) | instskip(NEXT) | instid1(VALU_DEP_3)
	v_fma_f32 v4, v156, v24, -v4
	v_add_f32_e32 v2, v2, v3
	s_delay_alu instid0(VALU_DEP_1) | instskip(NEXT) | instid1(VALU_DEP_4)
	v_dual_mul_f32 v3, v159, v27 :: v_dual_add_f32 v2, v2, v5
	v_add_f32_e32 v1, v1, v173
	s_delay_alu instid0(VALU_DEP_2) | instskip(NEXT) | instid1(VALU_DEP_2)
	v_fma_f32 v3, v158, v26, -v3
	v_dual_add_f32 v2, v2, v4 :: v_dual_add_f32 v1, v1, v174
	v_mul_f32_e32 v4, v163, v131
	s_delay_alu instid0(VALU_DEP_2) | instskip(SKIP_1) | instid1(VALU_DEP_3)
	v_dual_fmac_f32 v177, v155, v20 :: v_dual_add_f32 v2, v2, v3
	v_mul_f32_e32 v3, v165, v133
	v_fma_f32 v4, v162, v130, -v4
	v_mul_f32_e32 v5, v161, v129
	s_delay_alu instid0(VALU_DEP_3) | instskip(NEXT) | instid1(VALU_DEP_2)
	v_fma_f32 v3, v164, v132, -v3
	v_fma_f32 v5, v160, v128, -v5
	s_delay_alu instid0(VALU_DEP_1) | instskip(NEXT) | instid1(VALU_DEP_1)
	v_dual_add_f32 v1, v1, v175 :: v_dual_add_f32 v2, v2, v5
	v_dual_mul_f32 v5, v167, v135 :: v_dual_add_f32 v2, v2, v4
	s_delay_alu instid0(VALU_DEP_2) | instskip(NEXT) | instid1(VALU_DEP_2)
	v_add_f32_e32 v1, v1, v176
	v_fma_f32 v4, v166, v134, -v5
	s_delay_alu instid0(VALU_DEP_2) | instskip(NEXT) | instid1(VALU_DEP_1)
	v_dual_add_f32 v2, v2, v3 :: v_dual_add_f32 v1, v1, v177
	v_dual_add_f32 v2, v2, v4 :: v_dual_add_f32 v1, v1, v178
	s_delay_alu instid0(VALU_DEP_1) | instskip(NEXT) | instid1(VALU_DEP_1)
	v_add_f32_e32 v1, v1, v179
	v_add_f32_e32 v1, v1, v180
	s_delay_alu instid0(VALU_DEP_1) | instskip(NEXT) | instid1(VALU_DEP_1)
	v_add_f32_e32 v1, v1, v181
	v_add_f32_e32 v1, v1, v182
	s_delay_alu instid0(VALU_DEP_1) | instskip(SKIP_1) | instid1(VALU_DEP_1)
	v_add_f32_e32 v3, v1, v183
	s_wait_loadcnt 0x0
	v_dual_sub_f32 v1, v168, v2 :: v_dual_sub_f32 v2, v169, v3
	scratch_store_b64 off, v[1:2], off offset:264
	v_cmpx_lt_u32_e32 32, v0
	s_cbranch_execz .LBB49_249
; %bb.248:
	scratch_load_b64 v[1:2], off, off offset:256
	v_mov_b32_e32 v3, 0
	s_delay_alu instid0(VALU_DEP_1)
	v_mov_b32_e32 v4, v3
	scratch_store_b64 off, v[3:4], off offset:256
	s_wait_loadcnt 0x0
	ds_store_b64 v23, v[1:2]
.LBB49_249:
	s_wait_alu 0xfffe
	s_or_b32 exec_lo, exec_lo, s0
	s_wait_storecnt_dscnt 0x0
	s_barrier_signal -1
	s_barrier_wait -1
	global_inv scope:SCOPE_SE
	s_clause 0x9
	scratch_load_b128 v[2:5], off, off offset:264
	scratch_load_b128 v[6:9], off, off offset:280
	;; [unrolled: 1-line block ×8, first 2 shown]
	scratch_load_b64 v[168:169], off, off offset:392
	scratch_load_b64 v[170:171], off, off offset:256
	v_mov_b32_e32 v1, 0
	ds_load_2addr_b64 v[136:139], v1 offset0:83 offset1:84
	ds_load_2addr_b64 v[140:143], v1 offset0:85 offset1:86
	;; [unrolled: 1-line block ×8, first 2 shown]
	ds_load_b64 v[172:173], v1 offset:792
	s_mov_b32 s0, exec_lo
	s_wait_loadcnt_dscnt 0x908
	v_mul_f32_e32 v22, v136, v3
	v_dual_mul_f32 v3, v137, v3 :: v_dual_mul_f32 v174, v138, v5
	s_wait_loadcnt_dscnt 0x504
	v_dual_mul_f32 v175, v140, v7 :: v_dual_mul_f32 v182, v154, v21
	v_mul_f32_e32 v5, v139, v5
	s_delay_alu instid0(VALU_DEP_3)
	v_fma_f32 v3, v136, v2, -v3
	v_dual_mul_f32 v176, v142, v9 :: v_dual_mul_f32 v177, v144, v11
	s_wait_loadcnt_dscnt 0x100
	v_dual_mul_f32 v189, v172, v169 :: v_dual_fmac_f32 v22, v137, v2
	v_mul_f32_e32 v2, v141, v7
	v_dual_fmac_f32 v174, v139, v4 :: v_dual_add_f32 v3, 0, v3
	v_fma_f32 v4, v138, v4, -v5
	s_delay_alu instid0(VALU_DEP_4) | instskip(SKIP_2) | instid1(VALU_DEP_4)
	v_dual_add_f32 v5, 0, v22 :: v_dual_fmac_f32 v176, v143, v8
	v_mul_f32_e32 v7, v143, v9
	v_fma_f32 v2, v140, v6, -v2
	v_add_f32_e32 v3, v3, v4
	v_fmac_f32_e32 v175, v141, v6
	v_add_f32_e32 v4, v5, v174
	v_mul_f32_e32 v5, v145, v11
	v_fma_f32 v6, v142, v8, -v7
	v_add_f32_e32 v2, v3, v2
	v_dual_mul_f32 v178, v146, v13 :: v_dual_mul_f32 v179, v148, v15
	v_dual_add_f32 v3, v4, v175 :: v_dual_mul_f32 v4, v147, v13
	v_fma_f32 v5, v144, v10, -v5
	s_delay_alu instid0(VALU_DEP_4)
	v_add_f32_e32 v2, v2, v6
	v_fmac_f32_e32 v177, v145, v10
	v_mul_f32_e32 v6, v149, v15
	v_fmac_f32_e32 v178, v147, v12
	v_add_f32_e32 v3, v3, v176
	v_fma_f32 v4, v146, v12, -v4
	v_add_f32_e32 v2, v2, v5
	v_dual_mul_f32 v180, v150, v17 :: v_dual_mul_f32 v181, v152, v19
	s_delay_alu instid0(VALU_DEP_4)
	v_add_f32_e32 v3, v3, v177
	v_mul_f32_e32 v5, v151, v17
	v_fma_f32 v6, v148, v14, -v6
	v_dual_add_f32 v2, v2, v4 :: v_dual_fmac_f32 v179, v149, v14
	v_fmac_f32_e32 v180, v151, v16
	v_mul_f32_e32 v4, v153, v19
	v_fma_f32 v5, v150, v16, -v5
	s_delay_alu instid0(VALU_DEP_4) | instskip(SKIP_3) | instid1(VALU_DEP_3)
	v_add_f32_e32 v2, v2, v6
	v_add_f32_e32 v3, v3, v178
	v_dual_mul_f32 v6, v155, v21 :: v_dual_fmac_f32 v181, v153, v18
	v_fma_f32 v4, v152, v18, -v4
	v_dual_add_f32 v2, v2, v5 :: v_dual_add_f32 v3, v3, v179
	s_delay_alu instid0(VALU_DEP_3) | instskip(SKIP_1) | instid1(VALU_DEP_3)
	v_fma_f32 v6, v154, v20, -v6
	v_dual_mul_f32 v183, v156, v25 :: v_dual_mul_f32 v184, v158, v27
	v_add_f32_e32 v2, v2, v4
	s_delay_alu instid0(VALU_DEP_4) | instskip(SKIP_1) | instid1(VALU_DEP_4)
	v_add_f32_e32 v3, v3, v180
	v_dual_mul_f32 v5, v157, v25 :: v_dual_fmac_f32 v182, v155, v20
	v_dual_mul_f32 v4, v159, v27 :: v_dual_fmac_f32 v183, v157, v24
	s_delay_alu instid0(VALU_DEP_3) | instskip(NEXT) | instid1(VALU_DEP_3)
	v_dual_add_f32 v2, v2, v6 :: v_dual_add_f32 v3, v3, v181
	v_fma_f32 v5, v156, v24, -v5
	v_dual_mul_f32 v185, v160, v129 :: v_dual_mul_f32 v186, v162, v131
	s_delay_alu instid0(VALU_DEP_3) | instskip(NEXT) | instid1(VALU_DEP_2)
	v_dual_mul_f32 v6, v161, v129 :: v_dual_add_f32 v3, v3, v182
	v_dual_fmac_f32 v184, v159, v26 :: v_dual_fmac_f32 v185, v161, v128
	v_fma_f32 v4, v158, v26, -v4
	s_delay_alu instid0(VALU_DEP_3) | instskip(SKIP_3) | instid1(VALU_DEP_4)
	v_dual_add_f32 v2, v2, v5 :: v_dual_add_f32 v3, v3, v183
	v_mul_f32_e32 v5, v163, v131
	v_fma_f32 v6, v160, v128, -v6
	v_dual_mul_f32 v187, v164, v133 :: v_dual_mul_f32 v188, v166, v135
	v_add_f32_e32 v2, v2, v4
	v_dual_add_f32 v3, v3, v184 :: v_dual_mul_f32 v4, v165, v133
	s_delay_alu instid0(VALU_DEP_3) | instskip(SKIP_1) | instid1(VALU_DEP_3)
	v_dual_fmac_f32 v186, v163, v130 :: v_dual_fmac_f32 v187, v165, v132
	v_fma_f32 v5, v162, v130, -v5
	v_dual_add_f32 v2, v2, v6 :: v_dual_add_f32 v3, v3, v185
	v_mul_f32_e32 v6, v167, v135
	v_fma_f32 v4, v164, v132, -v4
	v_dual_fmac_f32 v188, v167, v134 :: v_dual_fmac_f32 v189, v173, v168
	s_delay_alu instid0(VALU_DEP_4) | instskip(SKIP_2) | instid1(VALU_DEP_3)
	v_dual_add_f32 v2, v2, v5 :: v_dual_add_f32 v3, v3, v186
	v_mul_f32_e32 v5, v173, v169
	v_fma_f32 v6, v166, v134, -v6
	v_dual_add_f32 v2, v2, v4 :: v_dual_add_f32 v3, v3, v187
	s_delay_alu instid0(VALU_DEP_3) | instskip(NEXT) | instid1(VALU_DEP_2)
	v_fma_f32 v4, v172, v168, -v5
	v_dual_add_f32 v2, v2, v6 :: v_dual_add_f32 v3, v3, v188
	s_delay_alu instid0(VALU_DEP_1) | instskip(SKIP_1) | instid1(VALU_DEP_1)
	v_dual_add_f32 v2, v2, v4 :: v_dual_add_f32 v3, v3, v189
	s_wait_loadcnt 0x0
	v_dual_sub_f32 v2, v170, v2 :: v_dual_sub_f32 v3, v171, v3
	scratch_store_b64 off, v[2:3], off offset:256
	v_cmpx_lt_u32_e32 31, v0
	s_cbranch_execz .LBB49_251
; %bb.250:
	scratch_load_b64 v[3:4], off, off offset:248
	v_mov_b32_e32 v2, v1
	scratch_store_b64 off, v[1:2], off offset:248
	s_wait_loadcnt 0x0
	ds_store_b64 v23, v[3:4]
.LBB49_251:
	s_wait_alu 0xfffe
	s_or_b32 exec_lo, exec_lo, s0
	s_wait_storecnt_dscnt 0x0
	s_barrier_signal -1
	s_barrier_wait -1
	global_inv scope:SCOPE_SE
	s_clause 0x9
	scratch_load_b128 v[2:5], off, off offset:256
	scratch_load_b128 v[6:9], off, off offset:272
	scratch_load_b128 v[10:13], off, off offset:288
	scratch_load_b128 v[14:17], off, off offset:304
	scratch_load_b128 v[18:21], off, off offset:320
	scratch_load_b128 v[24:27], off, off offset:336
	scratch_load_b128 v[128:131], off, off offset:352
	scratch_load_b128 v[132:135], off, off offset:368
	scratch_load_b128 v[136:139], off, off offset:384
	scratch_load_b64 v[176:177], off, off offset:248
	ds_load_b128 v[140:143], v1 offset:656
	ds_load_b128 v[144:147], v1 offset:672
	;; [unrolled: 1-line block ×9, first 2 shown]
	s_mov_b32 s0, exec_lo
	s_wait_loadcnt_dscnt 0x908
	v_dual_mul_f32 v1, v140, v3 :: v_dual_mul_f32 v22, v142, v5
	v_mul_f32_e32 v5, v143, v5
	v_mul_f32_e32 v3, v141, v3
	s_wait_loadcnt_dscnt 0x807
	v_dual_mul_f32 v178, v144, v7 :: v_dual_mul_f32 v179, v146, v9
	s_wait_loadcnt_dscnt 0x201
	v_dual_fmac_f32 v1, v141, v2 :: v_dual_mul_f32 v190, v168, v133
	v_fma_f32 v3, v140, v2, -v3
	s_wait_loadcnt_dscnt 0x100
	v_dual_mul_f32 v193, v174, v139 :: v_dual_fmac_f32 v22, v143, v4
	v_mul_f32_e32 v2, v145, v7
	v_fma_f32 v4, v142, v4, -v5
	v_dual_add_f32 v3, 0, v3 :: v_dual_fmac_f32 v178, v145, v6
	v_dual_mul_f32 v180, v148, v11 :: v_dual_mul_f32 v181, v150, v13
	v_dual_mul_f32 v182, v152, v15 :: v_dual_mul_f32 v183, v154, v17
	s_delay_alu instid0(VALU_DEP_2) | instskip(SKIP_1) | instid1(VALU_DEP_3)
	v_dual_mul_f32 v5, v147, v9 :: v_dual_fmac_f32 v180, v149, v10
	v_fma_f32 v2, v144, v6, -v2
	v_dual_add_f32 v3, v3, v4 :: v_dual_fmac_f32 v182, v153, v14
	s_delay_alu instid0(VALU_DEP_3) | instskip(SKIP_1) | instid1(VALU_DEP_3)
	v_fma_f32 v5, v146, v8, -v5
	v_dual_mul_f32 v184, v156, v19 :: v_dual_mul_f32 v185, v158, v21
	v_add_f32_e32 v2, v3, v2
	v_dual_mul_f32 v4, v149, v11 :: v_dual_mul_f32 v3, v151, v13
	s_delay_alu instid0(VALU_DEP_3) | instskip(SKIP_1) | instid1(VALU_DEP_4)
	v_fmac_f32_e32 v184, v157, v18
	v_dual_mul_f32 v186, v160, v25 :: v_dual_mul_f32 v187, v162, v27
	v_add_f32_e32 v2, v2, v5
	v_add_f32_e32 v1, 0, v1
	v_fma_f32 v4, v148, v10, -v4
	v_fma_f32 v3, v150, v12, -v3
	v_dual_fmac_f32 v183, v155, v16 :: v_dual_mul_f32 v188, v164, v129
	v_mul_f32_e32 v189, v166, v131
	s_delay_alu instid0(VALU_DEP_4) | instskip(SKIP_3) | instid1(VALU_DEP_4)
	v_dual_add_f32 v1, v1, v22 :: v_dual_add_f32 v2, v2, v4
	v_mul_f32_e32 v4, v155, v17
	v_fmac_f32_e32 v179, v147, v8
	v_dual_mul_f32 v191, v170, v135 :: v_dual_mul_f32 v192, v172, v137
	v_add_f32_e32 v1, v1, v178
	s_delay_alu instid0(VALU_DEP_4) | instskip(SKIP_2) | instid1(VALU_DEP_4)
	v_fma_f32 v4, v154, v16, -v4
	v_mul_f32_e32 v5, v153, v15
	v_dual_add_f32 v2, v2, v3 :: v_dual_fmac_f32 v189, v167, v130
	v_add_f32_e32 v1, v1, v179
	v_dual_fmac_f32 v187, v163, v26 :: v_dual_fmac_f32 v190, v169, v132
	s_delay_alu instid0(VALU_DEP_4) | instskip(SKIP_3) | instid1(VALU_DEP_4)
	v_fma_f32 v5, v152, v14, -v5
	v_fmac_f32_e32 v181, v151, v12
	v_dual_fmac_f32 v186, v161, v24 :: v_dual_fmac_f32 v193, v175, v138
	v_fmac_f32_e32 v188, v165, v128
	v_add_f32_e32 v2, v2, v5
	v_dual_mul_f32 v5, v159, v21 :: v_dual_fmac_f32 v192, v173, v136
	s_delay_alu instid0(VALU_DEP_2) | instskip(NEXT) | instid1(VALU_DEP_2)
	v_add_f32_e32 v2, v2, v4
	v_fma_f32 v5, v158, v20, -v5
	v_mul_f32_e32 v3, v157, v19
	v_mul_f32_e32 v4, v161, v25
	s_delay_alu instid0(VALU_DEP_2) | instskip(SKIP_1) | instid1(VALU_DEP_3)
	v_fma_f32 v3, v156, v18, -v3
	v_add_f32_e32 v1, v1, v180
	v_fma_f32 v4, v160, v24, -v4
	s_delay_alu instid0(VALU_DEP_3) | instskip(NEXT) | instid1(VALU_DEP_1)
	v_add_f32_e32 v2, v2, v3
	v_dual_mul_f32 v3, v163, v27 :: v_dual_add_f32 v2, v2, v5
	s_delay_alu instid0(VALU_DEP_4) | instskip(NEXT) | instid1(VALU_DEP_2)
	v_add_f32_e32 v1, v1, v181
	v_fma_f32 v3, v162, v26, -v3
	s_delay_alu instid0(VALU_DEP_2) | instskip(SKIP_1) | instid1(VALU_DEP_2)
	v_dual_add_f32 v2, v2, v4 :: v_dual_add_f32 v1, v1, v182
	v_mul_f32_e32 v4, v167, v131
	v_dual_fmac_f32 v185, v159, v20 :: v_dual_add_f32 v2, v2, v3
	v_mul_f32_e32 v3, v169, v133
	s_delay_alu instid0(VALU_DEP_3) | instskip(SKIP_1) | instid1(VALU_DEP_3)
	v_fma_f32 v4, v166, v130, -v4
	v_mul_f32_e32 v5, v165, v129
	v_fma_f32 v3, v168, v132, -v3
	s_delay_alu instid0(VALU_DEP_2) | instskip(NEXT) | instid1(VALU_DEP_1)
	v_fma_f32 v5, v164, v128, -v5
	v_dual_add_f32 v1, v1, v183 :: v_dual_add_f32 v2, v2, v5
	s_delay_alu instid0(VALU_DEP_1) | instskip(NEXT) | instid1(VALU_DEP_2)
	v_dual_mul_f32 v5, v171, v135 :: v_dual_add_f32 v2, v2, v4
	v_add_f32_e32 v1, v1, v184
	v_mul_f32_e32 v4, v173, v137
	s_delay_alu instid0(VALU_DEP_3) | instskip(NEXT) | instid1(VALU_DEP_4)
	v_fma_f32 v5, v170, v134, -v5
	v_dual_add_f32 v2, v2, v3 :: v_dual_fmac_f32 v191, v171, v134
	v_mul_f32_e32 v3, v175, v139
	s_delay_alu instid0(VALU_DEP_4) | instskip(NEXT) | instid1(VALU_DEP_3)
	v_fma_f32 v4, v172, v136, -v4
	v_add_f32_e32 v2, v2, v5
	v_add_f32_e32 v1, v1, v185
	s_delay_alu instid0(VALU_DEP_4) | instskip(NEXT) | instid1(VALU_DEP_2)
	v_fma_f32 v3, v174, v138, -v3
	v_dual_add_f32 v2, v2, v4 :: v_dual_add_f32 v1, v1, v186
	s_delay_alu instid0(VALU_DEP_1) | instskip(NEXT) | instid1(VALU_DEP_2)
	v_add_f32_e32 v2, v2, v3
	v_add_f32_e32 v1, v1, v187
	s_delay_alu instid0(VALU_DEP_1) | instskip(NEXT) | instid1(VALU_DEP_1)
	v_add_f32_e32 v1, v1, v188
	v_add_f32_e32 v1, v1, v189
	s_delay_alu instid0(VALU_DEP_1) | instskip(NEXT) | instid1(VALU_DEP_1)
	;; [unrolled: 3-line block ×3, first 2 shown]
	v_add_f32_e32 v1, v1, v192
	v_add_f32_e32 v3, v1, v193
	s_wait_loadcnt 0x0
	s_delay_alu instid0(VALU_DEP_1)
	v_dual_sub_f32 v1, v176, v2 :: v_dual_sub_f32 v2, v177, v3
	scratch_store_b64 off, v[1:2], off offset:248
	v_cmpx_lt_u32_e32 30, v0
	s_cbranch_execz .LBB49_253
; %bb.252:
	scratch_load_b64 v[1:2], off, off offset:240
	v_mov_b32_e32 v3, 0
	s_delay_alu instid0(VALU_DEP_1)
	v_mov_b32_e32 v4, v3
	scratch_store_b64 off, v[3:4], off offset:240
	s_wait_loadcnt 0x0
	ds_store_b64 v23, v[1:2]
.LBB49_253:
	s_wait_alu 0xfffe
	s_or_b32 exec_lo, exec_lo, s0
	s_wait_storecnt_dscnt 0x0
	s_barrier_signal -1
	s_barrier_wait -1
	global_inv scope:SCOPE_SE
	s_clause 0xa
	scratch_load_b128 v[2:5], off, off offset:248
	scratch_load_b128 v[6:9], off, off offset:264
	;; [unrolled: 1-line block ×9, first 2 shown]
	scratch_load_b64 v[176:177], off, off offset:392
	scratch_load_b64 v[178:179], off, off offset:240
	v_mov_b32_e32 v1, 0
	ds_load_2addr_b64 v[140:143], v1 offset0:81 offset1:82
	ds_load_2addr_b64 v[144:147], v1 offset0:83 offset1:84
	;; [unrolled: 1-line block ×9, first 2 shown]
	ds_load_b64 v[180:181], v1 offset:792
	s_mov_b32 s0, exec_lo
	s_wait_loadcnt_dscnt 0xa09
	v_mul_f32_e32 v22, v140, v3
	v_dual_mul_f32 v3, v141, v3 :: v_dual_mul_f32 v182, v142, v5
	s_wait_loadcnt_dscnt 0x605
	v_dual_mul_f32 v183, v144, v7 :: v_dual_mul_f32 v190, v158, v21
	v_mul_f32_e32 v5, v143, v5
	s_delay_alu instid0(VALU_DEP_3)
	v_fma_f32 v3, v140, v2, -v3
	v_dual_mul_f32 v184, v146, v9 :: v_dual_mul_f32 v185, v148, v11
	s_wait_loadcnt_dscnt 0x100
	v_dual_mul_f32 v199, v180, v177 :: v_dual_fmac_f32 v22, v141, v2
	v_mul_f32_e32 v2, v145, v7
	v_dual_fmac_f32 v182, v143, v4 :: v_dual_add_f32 v3, 0, v3
	v_fma_f32 v4, v142, v4, -v5
	s_delay_alu instid0(VALU_DEP_4) | instskip(SKIP_2) | instid1(VALU_DEP_4)
	v_dual_add_f32 v5, 0, v22 :: v_dual_fmac_f32 v184, v147, v8
	v_mul_f32_e32 v7, v147, v9
	v_fma_f32 v2, v144, v6, -v2
	v_add_f32_e32 v3, v3, v4
	v_fmac_f32_e32 v183, v145, v6
	v_add_f32_e32 v4, v5, v182
	v_mul_f32_e32 v5, v149, v11
	v_fma_f32 v6, v146, v8, -v7
	v_add_f32_e32 v2, v3, v2
	v_dual_mul_f32 v186, v150, v13 :: v_dual_mul_f32 v187, v152, v15
	v_dual_add_f32 v3, v4, v183 :: v_dual_mul_f32 v4, v151, v13
	v_fma_f32 v5, v148, v10, -v5
	s_delay_alu instid0(VALU_DEP_4)
	v_add_f32_e32 v2, v2, v6
	v_fmac_f32_e32 v185, v149, v10
	v_mul_f32_e32 v6, v153, v15
	v_fmac_f32_e32 v186, v151, v12
	v_add_f32_e32 v3, v3, v184
	v_fma_f32 v4, v150, v12, -v4
	v_add_f32_e32 v2, v2, v5
	v_dual_mul_f32 v188, v154, v17 :: v_dual_mul_f32 v189, v156, v19
	s_delay_alu instid0(VALU_DEP_4)
	v_add_f32_e32 v3, v3, v185
	v_mul_f32_e32 v5, v155, v17
	v_fma_f32 v6, v152, v14, -v6
	v_dual_add_f32 v2, v2, v4 :: v_dual_fmac_f32 v187, v153, v14
	v_fmac_f32_e32 v188, v155, v16
	v_mul_f32_e32 v4, v157, v19
	v_fma_f32 v5, v154, v16, -v5
	s_delay_alu instid0(VALU_DEP_4) | instskip(SKIP_3) | instid1(VALU_DEP_3)
	v_add_f32_e32 v2, v2, v6
	v_add_f32_e32 v3, v3, v186
	v_dual_mul_f32 v6, v159, v21 :: v_dual_fmac_f32 v189, v157, v18
	v_fma_f32 v4, v156, v18, -v4
	v_dual_add_f32 v2, v2, v5 :: v_dual_add_f32 v3, v3, v187
	s_delay_alu instid0(VALU_DEP_3) | instskip(SKIP_1) | instid1(VALU_DEP_3)
	v_fma_f32 v6, v158, v20, -v6
	v_dual_mul_f32 v191, v160, v25 :: v_dual_mul_f32 v192, v162, v27
	v_add_f32_e32 v2, v2, v4
	s_delay_alu instid0(VALU_DEP_4) | instskip(SKIP_1) | instid1(VALU_DEP_4)
	v_add_f32_e32 v3, v3, v188
	v_dual_mul_f32 v5, v161, v25 :: v_dual_fmac_f32 v190, v159, v20
	v_dual_mul_f32 v4, v163, v27 :: v_dual_fmac_f32 v191, v161, v24
	s_delay_alu instid0(VALU_DEP_3) | instskip(NEXT) | instid1(VALU_DEP_3)
	v_dual_add_f32 v2, v2, v6 :: v_dual_add_f32 v3, v3, v189
	v_fma_f32 v5, v160, v24, -v5
	v_dual_mul_f32 v193, v164, v129 :: v_dual_mul_f32 v194, v166, v131
	s_delay_alu instid0(VALU_DEP_3) | instskip(NEXT) | instid1(VALU_DEP_2)
	v_dual_mul_f32 v6, v165, v129 :: v_dual_add_f32 v3, v3, v190
	v_dual_fmac_f32 v192, v163, v26 :: v_dual_fmac_f32 v193, v165, v128
	v_fma_f32 v4, v162, v26, -v4
	s_delay_alu instid0(VALU_DEP_3) | instskip(SKIP_3) | instid1(VALU_DEP_4)
	v_dual_add_f32 v2, v2, v5 :: v_dual_add_f32 v3, v3, v191
	v_mul_f32_e32 v5, v167, v131
	v_fma_f32 v6, v164, v128, -v6
	v_dual_mul_f32 v195, v168, v133 :: v_dual_mul_f32 v196, v170, v135
	v_add_f32_e32 v2, v2, v4
	v_dual_add_f32 v3, v3, v192 :: v_dual_mul_f32 v4, v169, v133
	s_delay_alu instid0(VALU_DEP_3) | instskip(SKIP_1) | instid1(VALU_DEP_3)
	v_dual_fmac_f32 v194, v167, v130 :: v_dual_fmac_f32 v195, v169, v132
	v_fma_f32 v5, v166, v130, -v5
	v_dual_add_f32 v2, v2, v6 :: v_dual_add_f32 v3, v3, v193
	v_mul_f32_e32 v6, v171, v135
	v_fma_f32 v4, v168, v132, -v4
	v_dual_mul_f32 v197, v172, v137 :: v_dual_mul_f32 v198, v174, v139
	s_delay_alu instid0(VALU_DEP_4) | instskip(SKIP_1) | instid1(VALU_DEP_3)
	v_dual_add_f32 v2, v2, v5 :: v_dual_add_f32 v3, v3, v194
	v_dual_mul_f32 v5, v173, v137 :: v_dual_fmac_f32 v196, v171, v134
	v_fmac_f32_e32 v197, v173, v136
	v_fma_f32 v6, v170, v134, -v6
	s_delay_alu instid0(VALU_DEP_4) | instskip(SKIP_2) | instid1(VALU_DEP_3)
	v_dual_add_f32 v2, v2, v4 :: v_dual_add_f32 v3, v3, v195
	v_dual_mul_f32 v4, v175, v139 :: v_dual_fmac_f32 v199, v181, v176
	v_fma_f32 v5, v172, v136, -v5
	v_dual_add_f32 v2, v2, v6 :: v_dual_add_f32 v3, v3, v196
	v_fmac_f32_e32 v198, v175, v138
	s_delay_alu instid0(VALU_DEP_4) | instskip(NEXT) | instid1(VALU_DEP_3)
	v_fma_f32 v4, v174, v138, -v4
	v_add_f32_e32 v3, v3, v197
	s_delay_alu instid0(VALU_DEP_1) | instskip(SKIP_1) | instid1(VALU_DEP_2)
	v_dual_mul_f32 v6, v181, v177 :: v_dual_add_f32 v3, v3, v198
	v_add_f32_e32 v2, v2, v5
	v_fma_f32 v5, v180, v176, -v6
	s_delay_alu instid0(VALU_DEP_2) | instskip(SKIP_1) | instid1(VALU_DEP_1)
	v_dual_add_f32 v3, v3, v199 :: v_dual_add_f32 v2, v2, v4
	s_wait_loadcnt 0x0
	v_dual_sub_f32 v3, v179, v3 :: v_dual_add_f32 v2, v2, v5
	s_delay_alu instid0(VALU_DEP_1)
	v_sub_f32_e32 v2, v178, v2
	scratch_store_b64 off, v[2:3], off offset:240
	v_cmpx_lt_u32_e32 29, v0
	s_cbranch_execz .LBB49_255
; %bb.254:
	scratch_load_b64 v[3:4], off, off offset:232
	v_mov_b32_e32 v2, v1
	scratch_store_b64 off, v[1:2], off offset:232
	s_wait_loadcnt 0x0
	ds_store_b64 v23, v[3:4]
.LBB49_255:
	s_wait_alu 0xfffe
	s_or_b32 exec_lo, exec_lo, s0
	s_wait_storecnt_dscnt 0x0
	s_barrier_signal -1
	s_barrier_wait -1
	global_inv scope:SCOPE_SE
	s_clause 0xa
	scratch_load_b128 v[2:5], off, off offset:240
	scratch_load_b128 v[6:9], off, off offset:256
	;; [unrolled: 1-line block ×10, first 2 shown]
	scratch_load_b64 v[184:185], off, off offset:232
	ds_load_b128 v[144:147], v1 offset:640
	ds_load_b128 v[148:151], v1 offset:656
	;; [unrolled: 1-line block ×10, first 2 shown]
	s_mov_b32 s0, exec_lo
	s_wait_loadcnt_dscnt 0xa09
	v_dual_mul_f32 v1, v144, v3 :: v_dual_mul_f32 v22, v146, v5
	s_wait_loadcnt_dscnt 0x908
	v_dual_mul_f32 v5, v147, v5 :: v_dual_mul_f32 v186, v148, v7
	v_mul_f32_e32 v187, v150, v9
	v_mul_f32_e32 v3, v145, v3
	v_dual_fmac_f32 v1, v145, v2 :: v_dual_fmac_f32 v22, v147, v4
	s_wait_loadcnt_dscnt 0x100
	v_dual_mul_f32 v200, v176, v137 :: v_dual_mul_f32 v203, v182, v143
	s_delay_alu instid0(VALU_DEP_3) | instskip(SKIP_3) | instid1(VALU_DEP_4)
	v_fma_f32 v3, v144, v2, -v3
	v_mul_f32_e32 v2, v149, v7
	v_fma_f32 v4, v146, v4, -v5
	v_dual_mul_f32 v188, v152, v11 :: v_dual_mul_f32 v189, v154, v13
	v_dual_add_f32 v3, 0, v3 :: v_dual_fmac_f32 v186, v149, v6
	v_dual_mul_f32 v190, v156, v15 :: v_dual_mul_f32 v191, v158, v17
	s_delay_alu instid0(VALU_DEP_3) | instskip(SKIP_1) | instid1(VALU_DEP_3)
	v_dual_mul_f32 v5, v151, v9 :: v_dual_fmac_f32 v188, v153, v10
	v_fma_f32 v2, v148, v6, -v2
	v_dual_add_f32 v3, v3, v4 :: v_dual_fmac_f32 v190, v157, v14
	s_delay_alu instid0(VALU_DEP_3) | instskip(SKIP_1) | instid1(VALU_DEP_3)
	v_fma_f32 v5, v150, v8, -v5
	v_dual_mul_f32 v192, v160, v19 :: v_dual_mul_f32 v193, v162, v21
	v_add_f32_e32 v2, v3, v2
	v_dual_mul_f32 v3, v155, v13 :: v_dual_mul_f32 v4, v153, v11
	s_delay_alu instid0(VALU_DEP_3) | instskip(SKIP_1) | instid1(VALU_DEP_4)
	v_fmac_f32_e32 v192, v161, v18
	v_dual_mul_f32 v194, v164, v25 :: v_dual_mul_f32 v195, v166, v27
	v_add_f32_e32 v2, v2, v5
	v_add_f32_e32 v1, 0, v1
	v_fma_f32 v4, v152, v10, -v4
	v_fma_f32 v3, v154, v12, -v3
	v_dual_fmac_f32 v191, v159, v16 :: v_dual_mul_f32 v196, v168, v129
	v_mul_f32_e32 v197, v170, v131
	s_delay_alu instid0(VALU_DEP_4) | instskip(SKIP_3) | instid1(VALU_DEP_4)
	v_dual_add_f32 v1, v1, v22 :: v_dual_add_f32 v2, v2, v4
	v_mul_f32_e32 v4, v159, v17
	v_dual_fmac_f32 v187, v151, v8 :: v_dual_mul_f32 v198, v172, v133
	v_mul_f32_e32 v199, v174, v135
	v_add_f32_e32 v1, v1, v186
	s_delay_alu instid0(VALU_DEP_4) | instskip(SKIP_2) | instid1(VALU_DEP_4)
	v_fma_f32 v4, v158, v16, -v4
	v_mul_f32_e32 v5, v157, v15
	v_dual_add_f32 v2, v2, v3 :: v_dual_fmac_f32 v197, v171, v130
	v_add_f32_e32 v1, v1, v187
	v_dual_mul_f32 v201, v178, v139 :: v_dual_mul_f32 v202, v180, v141
	s_delay_alu instid0(VALU_DEP_4) | instskip(SKIP_3) | instid1(VALU_DEP_4)
	v_fma_f32 v5, v156, v14, -v5
	v_fmac_f32_e32 v189, v155, v12
	v_dual_fmac_f32 v194, v165, v24 :: v_dual_fmac_f32 v195, v167, v26
	v_fmac_f32_e32 v198, v173, v132
	v_add_f32_e32 v2, v2, v5
	v_mul_f32_e32 v5, v163, v21
	v_fmac_f32_e32 v201, v179, v138
	v_dual_fmac_f32 v203, v183, v142 :: v_dual_fmac_f32 v196, v169, v128
	s_delay_alu instid0(VALU_DEP_4) | instskip(NEXT) | instid1(VALU_DEP_4)
	v_add_f32_e32 v2, v2, v4
	v_fma_f32 v5, v162, v20, -v5
	v_mul_f32_e32 v3, v161, v19
	v_mul_f32_e32 v4, v165, v25
	v_fmac_f32_e32 v200, v177, v136
	v_fmac_f32_e32 v202, v181, v140
	s_delay_alu instid0(VALU_DEP_4) | instskip(SKIP_2) | instid1(VALU_DEP_3)
	v_fma_f32 v3, v160, v18, -v3
	v_add_f32_e32 v1, v1, v188
	v_fma_f32 v4, v164, v24, -v4
	v_add_f32_e32 v2, v2, v3
	s_delay_alu instid0(VALU_DEP_1) | instskip(NEXT) | instid1(VALU_DEP_4)
	v_dual_mul_f32 v3, v167, v27 :: v_dual_add_f32 v2, v2, v5
	v_add_f32_e32 v1, v1, v189
	s_delay_alu instid0(VALU_DEP_2) | instskip(NEXT) | instid1(VALU_DEP_2)
	v_fma_f32 v3, v166, v26, -v3
	v_dual_add_f32 v2, v2, v4 :: v_dual_add_f32 v1, v1, v190
	v_mul_f32_e32 v4, v171, v131
	s_delay_alu instid0(VALU_DEP_2) | instskip(SKIP_1) | instid1(VALU_DEP_3)
	v_dual_fmac_f32 v193, v163, v20 :: v_dual_add_f32 v2, v2, v3
	v_mul_f32_e32 v3, v173, v133
	v_fma_f32 v4, v170, v130, -v4
	v_mul_f32_e32 v5, v169, v129
	s_delay_alu instid0(VALU_DEP_3) | instskip(NEXT) | instid1(VALU_DEP_2)
	v_fma_f32 v3, v172, v132, -v3
	v_fma_f32 v5, v168, v128, -v5
	s_delay_alu instid0(VALU_DEP_1) | instskip(NEXT) | instid1(VALU_DEP_1)
	v_dual_add_f32 v1, v1, v191 :: v_dual_add_f32 v2, v2, v5
	v_dual_mul_f32 v5, v175, v135 :: v_dual_add_f32 v2, v2, v4
	s_delay_alu instid0(VALU_DEP_2) | instskip(SKIP_1) | instid1(VALU_DEP_3)
	v_add_f32_e32 v1, v1, v192
	v_mul_f32_e32 v4, v177, v137
	v_fma_f32 v5, v174, v134, -v5
	s_delay_alu instid0(VALU_DEP_4) | instskip(SKIP_1) | instid1(VALU_DEP_4)
	v_dual_add_f32 v2, v2, v3 :: v_dual_fmac_f32 v199, v175, v134
	v_mul_f32_e32 v3, v179, v139
	v_fma_f32 v4, v176, v136, -v4
	s_delay_alu instid0(VALU_DEP_3) | instskip(SKIP_1) | instid1(VALU_DEP_4)
	v_add_f32_e32 v2, v2, v5
	v_add_f32_e32 v1, v1, v193
	v_fma_f32 v3, v178, v138, -v3
	s_delay_alu instid0(VALU_DEP_2) | instskip(SKIP_1) | instid1(VALU_DEP_2)
	v_dual_add_f32 v2, v2, v4 :: v_dual_add_f32 v1, v1, v194
	v_dual_mul_f32 v4, v183, v143 :: v_dual_mul_f32 v5, v181, v141
	v_add_f32_e32 v2, v2, v3
	s_delay_alu instid0(VALU_DEP_2) | instskip(NEXT) | instid1(VALU_DEP_3)
	v_fma_f32 v3, v182, v142, -v4
	v_fma_f32 v5, v180, v140, -v5
	s_delay_alu instid0(VALU_DEP_1) | instskip(NEXT) | instid1(VALU_DEP_1)
	v_dual_add_f32 v1, v1, v195 :: v_dual_add_f32 v2, v2, v5
	v_dual_add_f32 v1, v1, v196 :: v_dual_add_f32 v2, v2, v3
	s_delay_alu instid0(VALU_DEP_1) | instskip(NEXT) | instid1(VALU_DEP_1)
	v_add_f32_e32 v1, v1, v197
	v_add_f32_e32 v1, v1, v198
	s_delay_alu instid0(VALU_DEP_1) | instskip(NEXT) | instid1(VALU_DEP_1)
	v_add_f32_e32 v1, v1, v199
	v_add_f32_e32 v1, v1, v200
	;; [unrolled: 3-line block ×3, first 2 shown]
	s_delay_alu instid0(VALU_DEP_1) | instskip(SKIP_1) | instid1(VALU_DEP_1)
	v_add_f32_e32 v3, v1, v203
	s_wait_loadcnt 0x0
	v_dual_sub_f32 v1, v184, v2 :: v_dual_sub_f32 v2, v185, v3
	scratch_store_b64 off, v[1:2], off offset:232
	v_cmpx_lt_u32_e32 28, v0
	s_cbranch_execz .LBB49_257
; %bb.256:
	scratch_load_b64 v[1:2], off, off offset:224
	v_mov_b32_e32 v3, 0
	s_delay_alu instid0(VALU_DEP_1)
	v_mov_b32_e32 v4, v3
	scratch_store_b64 off, v[3:4], off offset:224
	s_wait_loadcnt 0x0
	ds_store_b64 v23, v[1:2]
.LBB49_257:
	s_wait_alu 0xfffe
	s_or_b32 exec_lo, exec_lo, s0
	s_wait_storecnt_dscnt 0x0
	s_barrier_signal -1
	s_barrier_wait -1
	global_inv scope:SCOPE_SE
	s_clause 0xb
	scratch_load_b128 v[2:5], off, off offset:232
	scratch_load_b128 v[6:9], off, off offset:248
	;; [unrolled: 1-line block ×10, first 2 shown]
	scratch_load_b64 v[184:185], off, off offset:392
	scratch_load_b64 v[186:187], off, off offset:224
	v_mov_b32_e32 v1, 0
	ds_load_2addr_b64 v[144:147], v1 offset0:79 offset1:80
	ds_load_2addr_b64 v[148:151], v1 offset0:81 offset1:82
	;; [unrolled: 1-line block ×10, first 2 shown]
	ds_load_b64 v[188:189], v1 offset:792
	s_mov_b32 s0, exec_lo
	s_wait_loadcnt_dscnt 0xb0a
	v_mul_f32_e32 v22, v144, v3
	v_dual_mul_f32 v3, v145, v3 :: v_dual_mul_f32 v190, v146, v5
	s_wait_loadcnt_dscnt 0x706
	v_dual_mul_f32 v191, v148, v7 :: v_dual_mul_f32 v198, v162, v21
	v_mul_f32_e32 v5, v147, v5
	s_delay_alu instid0(VALU_DEP_3)
	v_fma_f32 v3, v144, v2, -v3
	v_dual_mul_f32 v192, v150, v9 :: v_dual_mul_f32 v193, v152, v11
	s_wait_loadcnt_dscnt 0x100
	v_dual_fmac_f32 v22, v145, v2 :: v_dual_mul_f32 v209, v188, v185
	v_mul_f32_e32 v2, v149, v7
	v_dual_fmac_f32 v190, v147, v4 :: v_dual_add_f32 v3, 0, v3
	v_fma_f32 v4, v146, v4, -v5
	s_delay_alu instid0(VALU_DEP_4) | instskip(SKIP_2) | instid1(VALU_DEP_4)
	v_dual_add_f32 v5, 0, v22 :: v_dual_fmac_f32 v192, v151, v8
	v_mul_f32_e32 v7, v151, v9
	v_fma_f32 v2, v148, v6, -v2
	v_add_f32_e32 v3, v3, v4
	v_fmac_f32_e32 v191, v149, v6
	v_add_f32_e32 v4, v5, v190
	v_mul_f32_e32 v5, v153, v11
	v_fma_f32 v6, v150, v8, -v7
	v_add_f32_e32 v2, v3, v2
	v_dual_mul_f32 v194, v154, v13 :: v_dual_mul_f32 v195, v156, v15
	v_dual_add_f32 v3, v4, v191 :: v_dual_mul_f32 v4, v155, v13
	v_fma_f32 v5, v152, v10, -v5
	s_delay_alu instid0(VALU_DEP_4)
	v_add_f32_e32 v2, v2, v6
	v_fmac_f32_e32 v193, v153, v10
	v_mul_f32_e32 v6, v157, v15
	v_fmac_f32_e32 v194, v155, v12
	v_add_f32_e32 v3, v3, v192
	v_fma_f32 v4, v154, v12, -v4
	v_add_f32_e32 v2, v2, v5
	v_dual_mul_f32 v196, v158, v17 :: v_dual_mul_f32 v197, v160, v19
	s_delay_alu instid0(VALU_DEP_4)
	v_add_f32_e32 v3, v3, v193
	v_mul_f32_e32 v5, v159, v17
	v_fma_f32 v6, v156, v14, -v6
	v_dual_add_f32 v2, v2, v4 :: v_dual_fmac_f32 v195, v157, v14
	v_fmac_f32_e32 v196, v159, v16
	v_mul_f32_e32 v4, v161, v19
	v_fma_f32 v5, v158, v16, -v5
	s_delay_alu instid0(VALU_DEP_4) | instskip(SKIP_3) | instid1(VALU_DEP_3)
	v_add_f32_e32 v2, v2, v6
	v_add_f32_e32 v3, v3, v194
	v_dual_mul_f32 v6, v163, v21 :: v_dual_fmac_f32 v197, v161, v18
	v_fma_f32 v4, v160, v18, -v4
	v_dual_add_f32 v2, v2, v5 :: v_dual_add_f32 v3, v3, v195
	s_delay_alu instid0(VALU_DEP_3) | instskip(SKIP_1) | instid1(VALU_DEP_3)
	v_fma_f32 v6, v162, v20, -v6
	v_dual_mul_f32 v199, v164, v25 :: v_dual_mul_f32 v200, v166, v27
	v_add_f32_e32 v2, v2, v4
	s_delay_alu instid0(VALU_DEP_4) | instskip(SKIP_1) | instid1(VALU_DEP_4)
	v_add_f32_e32 v3, v3, v196
	v_dual_mul_f32 v5, v165, v25 :: v_dual_fmac_f32 v198, v163, v20
	v_dual_mul_f32 v4, v167, v27 :: v_dual_fmac_f32 v199, v165, v24
	s_delay_alu instid0(VALU_DEP_3) | instskip(NEXT) | instid1(VALU_DEP_3)
	v_dual_add_f32 v2, v2, v6 :: v_dual_add_f32 v3, v3, v197
	v_fma_f32 v5, v164, v24, -v5
	v_dual_mul_f32 v201, v168, v129 :: v_dual_mul_f32 v202, v170, v131
	s_delay_alu instid0(VALU_DEP_3) | instskip(NEXT) | instid1(VALU_DEP_2)
	v_dual_mul_f32 v6, v169, v129 :: v_dual_add_f32 v3, v3, v198
	v_dual_fmac_f32 v200, v167, v26 :: v_dual_fmac_f32 v201, v169, v128
	v_fma_f32 v4, v166, v26, -v4
	s_delay_alu instid0(VALU_DEP_3) | instskip(SKIP_3) | instid1(VALU_DEP_4)
	v_dual_add_f32 v2, v2, v5 :: v_dual_add_f32 v3, v3, v199
	v_mul_f32_e32 v5, v171, v131
	v_fma_f32 v6, v168, v128, -v6
	v_dual_mul_f32 v203, v172, v133 :: v_dual_mul_f32 v204, v174, v135
	v_add_f32_e32 v2, v2, v4
	v_dual_add_f32 v3, v3, v200 :: v_dual_mul_f32 v4, v173, v133
	s_delay_alu instid0(VALU_DEP_3) | instskip(SKIP_1) | instid1(VALU_DEP_3)
	v_dual_fmac_f32 v202, v171, v130 :: v_dual_fmac_f32 v203, v173, v132
	v_fma_f32 v5, v170, v130, -v5
	v_dual_add_f32 v2, v2, v6 :: v_dual_add_f32 v3, v3, v201
	v_mul_f32_e32 v6, v175, v135
	v_fma_f32 v4, v172, v132, -v4
	v_dual_mul_f32 v205, v176, v137 :: v_dual_mul_f32 v206, v178, v139
	s_delay_alu instid0(VALU_DEP_4) | instskip(SKIP_1) | instid1(VALU_DEP_3)
	v_dual_add_f32 v2, v2, v5 :: v_dual_add_f32 v3, v3, v202
	v_dual_mul_f32 v5, v177, v137 :: v_dual_fmac_f32 v204, v175, v134
	v_fmac_f32_e32 v205, v177, v136
	v_fma_f32 v6, v174, v134, -v6
	s_delay_alu instid0(VALU_DEP_4) | instskip(SKIP_2) | instid1(VALU_DEP_3)
	v_dual_add_f32 v2, v2, v4 :: v_dual_add_f32 v3, v3, v203
	v_dual_mul_f32 v207, v180, v141 :: v_dual_mul_f32 v208, v182, v143
	v_mul_f32_e32 v4, v179, v139
	v_dual_add_f32 v2, v2, v6 :: v_dual_add_f32 v3, v3, v204
	v_fma_f32 v5, v176, v136, -v5
	v_dual_fmac_f32 v206, v179, v138 :: v_dual_fmac_f32 v209, v189, v184
	v_fmac_f32_e32 v207, v181, v140
	v_fma_f32 v4, v178, v138, -v4
	v_add_f32_e32 v3, v3, v205
	v_mul_f32_e32 v6, v181, v141
	v_dual_add_f32 v2, v2, v5 :: v_dual_mul_f32 v5, v183, v143
	v_fmac_f32_e32 v208, v183, v142
	s_delay_alu instid0(VALU_DEP_4) | instskip(NEXT) | instid1(VALU_DEP_4)
	v_add_f32_e32 v3, v3, v206
	v_fma_f32 v6, v180, v140, -v6
	s_delay_alu instid0(VALU_DEP_4) | instskip(SKIP_2) | instid1(VALU_DEP_3)
	v_add_f32_e32 v2, v2, v4
	v_mul_f32_e32 v4, v189, v185
	v_fma_f32 v5, v182, v142, -v5
	v_dual_add_f32 v3, v3, v207 :: v_dual_add_f32 v2, v2, v6
	s_delay_alu instid0(VALU_DEP_3) | instskip(NEXT) | instid1(VALU_DEP_2)
	v_fma_f32 v4, v188, v184, -v4
	v_add_f32_e32 v3, v3, v208
	s_delay_alu instid0(VALU_DEP_1) | instskip(SKIP_1) | instid1(VALU_DEP_1)
	v_add_f32_e32 v3, v3, v209
	s_wait_loadcnt 0x0
	v_dual_add_f32 v2, v2, v5 :: v_dual_sub_f32 v3, v187, v3
	s_delay_alu instid0(VALU_DEP_1) | instskip(NEXT) | instid1(VALU_DEP_1)
	v_add_f32_e32 v2, v2, v4
	v_sub_f32_e32 v2, v186, v2
	scratch_store_b64 off, v[2:3], off offset:224
	v_cmpx_lt_u32_e32 27, v0
	s_cbranch_execz .LBB49_259
; %bb.258:
	scratch_load_b64 v[3:4], off, off offset:216
	v_mov_b32_e32 v2, v1
	scratch_store_b64 off, v[1:2], off offset:216
	s_wait_loadcnt 0x0
	ds_store_b64 v23, v[3:4]
.LBB49_259:
	s_wait_alu 0xfffe
	s_or_b32 exec_lo, exec_lo, s0
	s_wait_storecnt_dscnt 0x0
	s_barrier_signal -1
	s_barrier_wait -1
	global_inv scope:SCOPE_SE
	s_clause 0xb
	scratch_load_b128 v[2:5], off, off offset:224
	scratch_load_b128 v[6:9], off, off offset:240
	;; [unrolled: 1-line block ×11, first 2 shown]
	scratch_load_b64 v[192:193], off, off offset:216
	ds_load_b128 v[148:151], v1 offset:624
	ds_load_b128 v[152:155], v1 offset:640
	;; [unrolled: 1-line block ×11, first 2 shown]
	s_mov_b32 s0, exec_lo
	s_wait_loadcnt_dscnt 0xb0a
	v_dual_mul_f32 v1, v148, v3 :: v_dual_mul_f32 v22, v150, v5
	s_wait_loadcnt_dscnt 0xa09
	v_dual_mul_f32 v5, v151, v5 :: v_dual_mul_f32 v194, v152, v7
	v_mul_f32_e32 v195, v154, v9
	v_mul_f32_e32 v3, v149, v3
	v_dual_fmac_f32 v1, v149, v2 :: v_dual_fmac_f32 v22, v151, v4
	s_wait_loadcnt_dscnt 0x908
	v_dual_mul_f32 v196, v156, v11 :: v_dual_mul_f32 v197, v158, v13
	s_wait_loadcnt_dscnt 0x201
	v_mul_f32_e32 v210, v184, v141
	v_fma_f32 v3, v148, v2, -v3
	s_wait_loadcnt_dscnt 0x100
	v_mul_f32_e32 v213, v190, v147
	v_mul_f32_e32 v2, v153, v7
	v_fma_f32 v4, v150, v4, -v5
	v_dual_mul_f32 v198, v160, v15 :: v_dual_mul_f32 v199, v162, v17
	v_dual_add_f32 v3, 0, v3 :: v_dual_fmac_f32 v194, v153, v6
	v_dual_mul_f32 v5, v155, v9 :: v_dual_fmac_f32 v196, v157, v10
	v_fma_f32 v2, v152, v6, -v2
	s_delay_alu instid0(VALU_DEP_3) | instskip(NEXT) | instid1(VALU_DEP_3)
	v_dual_add_f32 v3, v3, v4 :: v_dual_fmac_f32 v198, v161, v14
	v_fma_f32 v5, v154, v8, -v5
	v_dual_mul_f32 v200, v164, v19 :: v_dual_mul_f32 v201, v166, v21
	s_delay_alu instid0(VALU_DEP_3) | instskip(SKIP_3) | instid1(VALU_DEP_4)
	v_add_f32_e32 v2, v3, v2
	v_mul_f32_e32 v3, v159, v13
	v_dual_mul_f32 v202, v168, v25 :: v_dual_mul_f32 v203, v170, v27
	v_mul_f32_e32 v4, v157, v11
	v_add_f32_e32 v2, v2, v5
	v_dual_add_f32 v1, 0, v1 :: v_dual_fmac_f32 v200, v165, v18
	v_fma_f32 v3, v158, v12, -v3
	s_delay_alu instid0(VALU_DEP_4) | instskip(SKIP_1) | instid1(VALU_DEP_4)
	v_fma_f32 v4, v156, v10, -v4
	v_fmac_f32_e32 v199, v163, v16
	v_dual_add_f32 v1, v1, v22 :: v_dual_mul_f32 v204, v172, v129
	v_mul_f32_e32 v205, v174, v131
	s_delay_alu instid0(VALU_DEP_4) | instskip(NEXT) | instid1(VALU_DEP_3)
	v_add_f32_e32 v2, v2, v4
	v_dual_mul_f32 v4, v163, v17 :: v_dual_add_f32 v1, v1, v194
	v_dual_fmac_f32 v195, v155, v8 :: v_dual_mul_f32 v208, v180, v137
	v_mul_f32_e32 v209, v182, v139
	s_delay_alu instid0(VALU_DEP_3) | instskip(SKIP_4) | instid1(VALU_DEP_4)
	v_fma_f32 v4, v162, v16, -v4
	v_mul_f32_e32 v5, v161, v15
	v_add_f32_e32 v2, v2, v3
	v_dual_add_f32 v1, v1, v195 :: v_dual_mul_f32 v206, v176, v133
	v_mul_f32_e32 v207, v178, v135
	v_fma_f32 v5, v160, v14, -v5
	v_fmac_f32_e32 v197, v159, v12
	v_dual_fmac_f32 v202, v169, v24 :: v_dual_fmac_f32 v205, v175, v130
	v_dual_fmac_f32 v203, v171, v26 :: v_dual_fmac_f32 v206, v177, v132
	s_delay_alu instid0(VALU_DEP_4) | instskip(SKIP_2) | instid1(VALU_DEP_3)
	v_add_f32_e32 v2, v2, v5
	v_mul_f32_e32 v5, v167, v21
	v_dual_mul_f32 v211, v186, v143 :: v_dual_mul_f32 v212, v188, v145
	v_dual_fmac_f32 v209, v183, v138 :: v_dual_add_f32 v2, v2, v4
	s_delay_alu instid0(VALU_DEP_3) | instskip(SKIP_4) | instid1(VALU_DEP_4)
	v_fma_f32 v5, v166, v20, -v5
	v_mul_f32_e32 v3, v165, v19
	v_mul_f32_e32 v4, v169, v25
	v_dual_fmac_f32 v212, v189, v144 :: v_dual_fmac_f32 v211, v187, v142
	v_fmac_f32_e32 v204, v173, v128
	v_fma_f32 v3, v164, v18, -v3
	v_add_f32_e32 v1, v1, v196
	v_fma_f32 v4, v168, v24, -v4
	v_dual_fmac_f32 v213, v191, v146 :: v_dual_fmac_f32 v208, v181, v136
	s_delay_alu instid0(VALU_DEP_4) | instskip(SKIP_1) | instid1(VALU_DEP_2)
	v_add_f32_e32 v2, v2, v3
	v_dual_mul_f32 v3, v171, v27 :: v_dual_fmac_f32 v210, v185, v140
	v_add_f32_e32 v2, v2, v5
	v_add_f32_e32 v1, v1, v197
	s_delay_alu instid0(VALU_DEP_3) | instskip(NEXT) | instid1(VALU_DEP_2)
	v_fma_f32 v3, v170, v26, -v3
	v_dual_add_f32 v2, v2, v4 :: v_dual_add_f32 v1, v1, v198
	v_mul_f32_e32 v4, v175, v131
	s_delay_alu instid0(VALU_DEP_2) | instskip(SKIP_1) | instid1(VALU_DEP_3)
	v_dual_fmac_f32 v201, v167, v20 :: v_dual_add_f32 v2, v2, v3
	v_mul_f32_e32 v3, v177, v133
	v_fma_f32 v4, v174, v130, -v4
	v_mul_f32_e32 v5, v173, v129
	s_delay_alu instid0(VALU_DEP_3) | instskip(NEXT) | instid1(VALU_DEP_2)
	v_fma_f32 v3, v176, v132, -v3
	v_fma_f32 v5, v172, v128, -v5
	s_delay_alu instid0(VALU_DEP_1) | instskip(NEXT) | instid1(VALU_DEP_1)
	v_dual_add_f32 v1, v1, v199 :: v_dual_add_f32 v2, v2, v5
	v_dual_mul_f32 v5, v179, v135 :: v_dual_add_f32 v2, v2, v4
	s_delay_alu instid0(VALU_DEP_2) | instskip(SKIP_1) | instid1(VALU_DEP_3)
	v_add_f32_e32 v1, v1, v200
	v_mul_f32_e32 v4, v181, v137
	v_fma_f32 v5, v178, v134, -v5
	s_delay_alu instid0(VALU_DEP_4) | instskip(SKIP_1) | instid1(VALU_DEP_4)
	v_dual_add_f32 v2, v2, v3 :: v_dual_fmac_f32 v207, v179, v134
	v_mul_f32_e32 v3, v183, v139
	v_fma_f32 v4, v180, v136, -v4
	s_delay_alu instid0(VALU_DEP_3) | instskip(SKIP_1) | instid1(VALU_DEP_4)
	v_add_f32_e32 v2, v2, v5
	v_add_f32_e32 v1, v1, v201
	v_fma_f32 v3, v182, v138, -v3
	s_delay_alu instid0(VALU_DEP_3) | instskip(NEXT) | instid1(VALU_DEP_3)
	v_dual_add_f32 v2, v2, v4 :: v_dual_mul_f32 v5, v185, v141
	v_dual_add_f32 v1, v1, v202 :: v_dual_mul_f32 v4, v187, v143
	s_delay_alu instid0(VALU_DEP_2) | instskip(NEXT) | instid1(VALU_DEP_3)
	v_add_f32_e32 v2, v2, v3
	v_fma_f32 v5, v184, v140, -v5
	s_delay_alu instid0(VALU_DEP_3) | instskip(SKIP_2) | instid1(VALU_DEP_4)
	v_add_f32_e32 v1, v1, v203
	v_mul_f32_e32 v3, v189, v145
	v_fma_f32 v4, v186, v142, -v4
	v_dual_add_f32 v2, v2, v5 :: v_dual_mul_f32 v5, v191, v147
	s_delay_alu instid0(VALU_DEP_3) | instskip(NEXT) | instid1(VALU_DEP_2)
	v_fma_f32 v3, v188, v144, -v3
	v_add_f32_e32 v2, v2, v4
	v_add_f32_e32 v1, v1, v204
	s_delay_alu instid0(VALU_DEP_4) | instskip(NEXT) | instid1(VALU_DEP_2)
	v_fma_f32 v4, v190, v146, -v5
	v_dual_add_f32 v2, v2, v3 :: v_dual_add_f32 v1, v1, v205
	s_delay_alu instid0(VALU_DEP_1) | instskip(NEXT) | instid1(VALU_DEP_1)
	v_dual_add_f32 v2, v2, v4 :: v_dual_add_f32 v1, v1, v206
	v_add_f32_e32 v1, v1, v207
	s_delay_alu instid0(VALU_DEP_1) | instskip(NEXT) | instid1(VALU_DEP_1)
	v_add_f32_e32 v1, v1, v208
	v_add_f32_e32 v1, v1, v209
	s_delay_alu instid0(VALU_DEP_1) | instskip(NEXT) | instid1(VALU_DEP_1)
	v_add_f32_e32 v1, v1, v210
	;; [unrolled: 3-line block ×3, first 2 shown]
	v_add_f32_e32 v3, v1, v213
	s_wait_loadcnt 0x0
	s_delay_alu instid0(VALU_DEP_1)
	v_dual_sub_f32 v1, v192, v2 :: v_dual_sub_f32 v2, v193, v3
	scratch_store_b64 off, v[1:2], off offset:216
	v_cmpx_lt_u32_e32 26, v0
	s_cbranch_execz .LBB49_261
; %bb.260:
	scratch_load_b64 v[1:2], off, off offset:208
	v_mov_b32_e32 v3, 0
	s_delay_alu instid0(VALU_DEP_1)
	v_mov_b32_e32 v4, v3
	scratch_store_b64 off, v[3:4], off offset:208
	s_wait_loadcnt 0x0
	ds_store_b64 v23, v[1:2]
.LBB49_261:
	s_wait_alu 0xfffe
	s_or_b32 exec_lo, exec_lo, s0
	s_wait_storecnt_dscnt 0x0
	s_barrier_signal -1
	s_barrier_wait -1
	global_inv scope:SCOPE_SE
	s_clause 0xc
	scratch_load_b128 v[2:5], off, off offset:216
	scratch_load_b128 v[6:9], off, off offset:232
	;; [unrolled: 1-line block ×11, first 2 shown]
	scratch_load_b64 v[192:193], off, off offset:392
	scratch_load_b64 v[194:195], off, off offset:208
	v_mov_b32_e32 v1, 0
	ds_load_2addr_b64 v[148:151], v1 offset0:77 offset1:78
	ds_load_2addr_b64 v[152:155], v1 offset0:79 offset1:80
	;; [unrolled: 1-line block ×11, first 2 shown]
	ds_load_b64 v[196:197], v1 offset:792
	s_mov_b32 s0, exec_lo
	s_wait_loadcnt_dscnt 0xc0b
	v_mul_f32_e32 v22, v148, v3
	v_dual_mul_f32 v3, v149, v3 :: v_dual_mul_f32 v198, v150, v5
	s_wait_loadcnt_dscnt 0x807
	v_dual_mul_f32 v199, v152, v7 :: v_dual_mul_f32 v206, v166, v21
	v_mul_f32_e32 v5, v151, v5
	s_delay_alu instid0(VALU_DEP_3)
	v_fma_f32 v3, v148, v2, -v3
	v_dual_mul_f32 v200, v154, v9 :: v_dual_mul_f32 v201, v156, v11
	v_fmac_f32_e32 v22, v149, v2
	s_wait_loadcnt_dscnt 0x100
	v_dual_mul_f32 v2, v153, v7 :: v_dual_mul_f32 v219, v196, v193
	v_dual_fmac_f32 v198, v151, v4 :: v_dual_add_f32 v3, 0, v3
	v_fma_f32 v4, v150, v4, -v5
	v_dual_add_f32 v5, 0, v22 :: v_dual_fmac_f32 v200, v155, v8
	v_mul_f32_e32 v7, v155, v9
	v_fma_f32 v2, v152, v6, -v2
	s_delay_alu instid0(VALU_DEP_4)
	v_add_f32_e32 v3, v3, v4
	v_fmac_f32_e32 v199, v153, v6
	v_add_f32_e32 v4, v5, v198
	v_mul_f32_e32 v5, v157, v11
	v_fma_f32 v6, v154, v8, -v7
	v_add_f32_e32 v2, v3, v2
	v_dual_mul_f32 v202, v158, v13 :: v_dual_mul_f32 v203, v160, v15
	v_dual_add_f32 v3, v4, v199 :: v_dual_mul_f32 v4, v159, v13
	v_fma_f32 v5, v156, v10, -v5
	s_delay_alu instid0(VALU_DEP_4)
	v_add_f32_e32 v2, v2, v6
	v_fmac_f32_e32 v201, v157, v10
	v_mul_f32_e32 v6, v161, v15
	v_fmac_f32_e32 v202, v159, v12
	v_add_f32_e32 v3, v3, v200
	v_fma_f32 v4, v158, v12, -v4
	v_add_f32_e32 v2, v2, v5
	v_dual_mul_f32 v204, v162, v17 :: v_dual_mul_f32 v205, v164, v19
	s_delay_alu instid0(VALU_DEP_4)
	v_add_f32_e32 v3, v3, v201
	v_mul_f32_e32 v5, v163, v17
	v_fma_f32 v6, v160, v14, -v6
	v_dual_add_f32 v2, v2, v4 :: v_dual_fmac_f32 v203, v161, v14
	v_fmac_f32_e32 v204, v163, v16
	v_mul_f32_e32 v4, v165, v19
	v_fma_f32 v5, v162, v16, -v5
	s_delay_alu instid0(VALU_DEP_4) | instskip(SKIP_3) | instid1(VALU_DEP_3)
	v_add_f32_e32 v2, v2, v6
	v_add_f32_e32 v3, v3, v202
	v_dual_mul_f32 v6, v167, v21 :: v_dual_fmac_f32 v205, v165, v18
	v_fma_f32 v4, v164, v18, -v4
	v_dual_add_f32 v2, v2, v5 :: v_dual_add_f32 v3, v3, v203
	s_delay_alu instid0(VALU_DEP_3) | instskip(SKIP_1) | instid1(VALU_DEP_3)
	v_fma_f32 v6, v166, v20, -v6
	v_dual_mul_f32 v207, v168, v25 :: v_dual_mul_f32 v208, v170, v27
	v_add_f32_e32 v2, v2, v4
	s_delay_alu instid0(VALU_DEP_4) | instskip(SKIP_1) | instid1(VALU_DEP_4)
	v_add_f32_e32 v3, v3, v204
	v_dual_mul_f32 v5, v169, v25 :: v_dual_fmac_f32 v206, v167, v20
	v_dual_mul_f32 v4, v171, v27 :: v_dual_fmac_f32 v207, v169, v24
	s_delay_alu instid0(VALU_DEP_3) | instskip(NEXT) | instid1(VALU_DEP_3)
	v_dual_add_f32 v2, v2, v6 :: v_dual_add_f32 v3, v3, v205
	v_fma_f32 v5, v168, v24, -v5
	v_dual_mul_f32 v209, v172, v129 :: v_dual_mul_f32 v210, v174, v131
	s_delay_alu instid0(VALU_DEP_3) | instskip(NEXT) | instid1(VALU_DEP_2)
	v_dual_mul_f32 v6, v173, v129 :: v_dual_add_f32 v3, v3, v206
	v_dual_fmac_f32 v208, v171, v26 :: v_dual_fmac_f32 v209, v173, v128
	v_fma_f32 v4, v170, v26, -v4
	s_delay_alu instid0(VALU_DEP_3) | instskip(SKIP_3) | instid1(VALU_DEP_4)
	v_dual_add_f32 v2, v2, v5 :: v_dual_add_f32 v3, v3, v207
	v_mul_f32_e32 v5, v175, v131
	v_fma_f32 v6, v172, v128, -v6
	v_dual_mul_f32 v211, v176, v133 :: v_dual_mul_f32 v212, v178, v135
	v_add_f32_e32 v2, v2, v4
	v_dual_add_f32 v3, v3, v208 :: v_dual_mul_f32 v4, v177, v133
	s_delay_alu instid0(VALU_DEP_3) | instskip(SKIP_1) | instid1(VALU_DEP_3)
	v_dual_fmac_f32 v210, v175, v130 :: v_dual_fmac_f32 v211, v177, v132
	v_fma_f32 v5, v174, v130, -v5
	v_dual_add_f32 v2, v2, v6 :: v_dual_add_f32 v3, v3, v209
	v_mul_f32_e32 v6, v179, v135
	v_fma_f32 v4, v176, v132, -v4
	v_dual_mul_f32 v213, v180, v137 :: v_dual_mul_f32 v214, v182, v139
	s_delay_alu instid0(VALU_DEP_4) | instskip(SKIP_1) | instid1(VALU_DEP_3)
	v_dual_add_f32 v2, v2, v5 :: v_dual_add_f32 v3, v3, v210
	v_dual_mul_f32 v5, v181, v137 :: v_dual_fmac_f32 v212, v179, v134
	v_fmac_f32_e32 v213, v181, v136
	v_fma_f32 v6, v178, v134, -v6
	s_delay_alu instid0(VALU_DEP_4) | instskip(SKIP_2) | instid1(VALU_DEP_2)
	v_dual_add_f32 v2, v2, v4 :: v_dual_add_f32 v3, v3, v211
	v_dual_mul_f32 v215, v184, v141 :: v_dual_mul_f32 v216, v186, v143
	v_dual_mul_f32 v217, v188, v145 :: v_dual_mul_f32 v218, v190, v147
	v_dual_mul_f32 v4, v183, v139 :: v_dual_fmac_f32 v215, v185, v140
	v_fma_f32 v5, v180, v136, -v5
	v_dual_add_f32 v2, v2, v6 :: v_dual_add_f32 v3, v3, v212
	v_mul_f32_e32 v6, v185, v141
	v_dual_fmac_f32 v214, v183, v138 :: v_dual_fmac_f32 v217, v189, v144
	v_fma_f32 v4, v182, v138, -v4
	s_delay_alu instid0(VALU_DEP_4) | instskip(SKIP_3) | instid1(VALU_DEP_3)
	v_add_f32_e32 v3, v3, v213
	v_dual_add_f32 v2, v2, v5 :: v_dual_mul_f32 v5, v187, v143
	v_fma_f32 v6, v184, v140, -v6
	v_fmac_f32_e32 v216, v187, v142
	v_dual_add_f32 v3, v3, v214 :: v_dual_add_f32 v2, v2, v4
	v_mul_f32_e32 v4, v189, v145
	v_fma_f32 v5, v186, v142, -v5
	v_fmac_f32_e32 v218, v191, v146
	s_delay_alu instid0(VALU_DEP_4) | instskip(SKIP_2) | instid1(VALU_DEP_3)
	v_dual_add_f32 v3, v3, v215 :: v_dual_add_f32 v2, v2, v6
	v_dual_mul_f32 v6, v191, v147 :: v_dual_fmac_f32 v219, v197, v192
	v_fma_f32 v4, v188, v144, -v4
	v_add_f32_e32 v2, v2, v5
	v_mul_f32_e32 v5, v197, v193
	v_add_f32_e32 v3, v3, v216
	v_fma_f32 v6, v190, v146, -v6
	s_delay_alu instid0(VALU_DEP_2) | instskip(NEXT) | instid1(VALU_DEP_1)
	v_add_f32_e32 v3, v3, v217
	v_dual_add_f32 v3, v3, v218 :: v_dual_add_f32 v2, v2, v4
	v_fma_f32 v4, v196, v192, -v5
	s_delay_alu instid0(VALU_DEP_2) | instskip(SKIP_1) | instid1(VALU_DEP_1)
	v_dual_add_f32 v3, v3, v219 :: v_dual_add_f32 v2, v2, v6
	s_wait_loadcnt 0x0
	v_dual_sub_f32 v3, v195, v3 :: v_dual_add_f32 v2, v2, v4
	s_delay_alu instid0(VALU_DEP_1)
	v_sub_f32_e32 v2, v194, v2
	scratch_store_b64 off, v[2:3], off offset:208
	v_cmpx_lt_u32_e32 25, v0
	s_cbranch_execz .LBB49_263
; %bb.262:
	scratch_load_b64 v[3:4], off, off offset:200
	v_mov_b32_e32 v2, v1
	scratch_store_b64 off, v[1:2], off offset:200
	s_wait_loadcnt 0x0
	ds_store_b64 v23, v[3:4]
.LBB49_263:
	s_wait_alu 0xfffe
	s_or_b32 exec_lo, exec_lo, s0
	s_wait_storecnt_dscnt 0x0
	s_barrier_signal -1
	s_barrier_wait -1
	global_inv scope:SCOPE_SE
	s_clause 0xc
	scratch_load_b128 v[2:5], off, off offset:208
	scratch_load_b128 v[6:9], off, off offset:224
	;; [unrolled: 1-line block ×12, first 2 shown]
	scratch_load_b64 v[200:201], off, off offset:200
	ds_load_b128 v[152:155], v1 offset:608
	ds_load_b128 v[156:159], v1 offset:624
	;; [unrolled: 1-line block ×12, first 2 shown]
	s_mov_b32 s0, exec_lo
	s_wait_loadcnt_dscnt 0xc0b
	v_dual_mul_f32 v1, v152, v3 :: v_dual_mul_f32 v22, v154, v5
	s_wait_loadcnt_dscnt 0xb0a
	v_dual_mul_f32 v5, v155, v5 :: v_dual_mul_f32 v202, v156, v7
	v_mul_f32_e32 v203, v158, v9
	s_delay_alu instid0(VALU_DEP_3)
	v_fmac_f32_e32 v1, v153, v2
	v_dual_mul_f32 v3, v153, v3 :: v_dual_fmac_f32 v22, v155, v4
	s_wait_loadcnt_dscnt 0xa09
	v_dual_mul_f32 v204, v160, v11 :: v_dual_mul_f32 v205, v162, v13
	s_wait_loadcnt_dscnt 0x201
	v_mul_f32_e32 v220, v192, v145
	v_fma_f32 v3, v152, v2, -v3
	s_wait_loadcnt_dscnt 0x100
	v_mul_f32_e32 v223, v198, v151
	v_mul_f32_e32 v2, v157, v7
	v_fma_f32 v4, v154, v4, -v5
	v_dual_mul_f32 v206, v164, v15 :: v_dual_mul_f32 v207, v166, v17
	v_dual_add_f32 v3, 0, v3 :: v_dual_fmac_f32 v202, v157, v6
	v_dual_mul_f32 v5, v159, v9 :: v_dual_fmac_f32 v204, v161, v10
	v_fma_f32 v2, v156, v6, -v2
	s_delay_alu instid0(VALU_DEP_3) | instskip(NEXT) | instid1(VALU_DEP_3)
	v_dual_add_f32 v3, v3, v4 :: v_dual_fmac_f32 v206, v165, v14
	v_fma_f32 v5, v158, v8, -v5
	v_dual_mul_f32 v208, v168, v19 :: v_dual_mul_f32 v209, v170, v21
	s_delay_alu instid0(VALU_DEP_3) | instskip(SKIP_3) | instid1(VALU_DEP_4)
	v_add_f32_e32 v2, v3, v2
	v_mul_f32_e32 v3, v163, v13
	v_dual_mul_f32 v210, v172, v25 :: v_dual_mul_f32 v211, v174, v27
	v_mul_f32_e32 v4, v161, v11
	v_add_f32_e32 v2, v2, v5
	v_dual_add_f32 v1, 0, v1 :: v_dual_fmac_f32 v208, v169, v18
	v_fma_f32 v3, v162, v12, -v3
	s_delay_alu instid0(VALU_DEP_4) | instskip(SKIP_1) | instid1(VALU_DEP_4)
	v_fma_f32 v4, v160, v10, -v4
	v_fmac_f32_e32 v207, v167, v16
	v_dual_add_f32 v1, v1, v22 :: v_dual_mul_f32 v212, v176, v129
	v_mul_f32_e32 v213, v178, v131
	s_delay_alu instid0(VALU_DEP_4) | instskip(NEXT) | instid1(VALU_DEP_3)
	v_add_f32_e32 v2, v2, v4
	v_dual_mul_f32 v4, v167, v17 :: v_dual_add_f32 v1, v1, v202
	v_dual_fmac_f32 v203, v159, v8 :: v_dual_mul_f32 v216, v184, v137
	v_mul_f32_e32 v217, v186, v139
	s_delay_alu instid0(VALU_DEP_3) | instskip(SKIP_4) | instid1(VALU_DEP_4)
	v_fma_f32 v4, v166, v16, -v4
	v_mul_f32_e32 v5, v165, v15
	v_add_f32_e32 v2, v2, v3
	v_dual_add_f32 v1, v1, v203 :: v_dual_mul_f32 v214, v180, v133
	v_mul_f32_e32 v215, v182, v135
	v_fma_f32 v5, v164, v14, -v5
	v_fmac_f32_e32 v205, v163, v12
	v_dual_fmac_f32 v213, v179, v130 :: v_dual_fmac_f32 v210, v173, v24
	v_dual_mul_f32 v218, v188, v141 :: v_dual_mul_f32 v219, v190, v143
	s_delay_alu instid0(VALU_DEP_4) | instskip(SKIP_3) | instid1(VALU_DEP_3)
	v_add_f32_e32 v2, v2, v5
	v_mul_f32_e32 v5, v171, v21
	v_dual_fmac_f32 v211, v175, v26 :: v_dual_fmac_f32 v214, v181, v132
	v_dual_mul_f32 v221, v194, v147 :: v_dual_mul_f32 v222, v196, v149
	v_fma_f32 v5, v170, v20, -v5
	v_dual_mul_f32 v3, v169, v19 :: v_dual_add_f32 v2, v2, v4
	v_dual_mul_f32 v4, v173, v25 :: v_dual_fmac_f32 v219, v191, v142
	v_dual_fmac_f32 v217, v187, v138 :: v_dual_fmac_f32 v220, v193, v144
	s_delay_alu instid0(VALU_DEP_3) | instskip(SKIP_1) | instid1(VALU_DEP_4)
	v_fma_f32 v3, v168, v18, -v3
	v_add_f32_e32 v1, v1, v204
	v_fma_f32 v4, v172, v24, -v4
	v_dual_fmac_f32 v212, v177, v128 :: v_dual_fmac_f32 v223, v199, v150
	s_delay_alu instid0(VALU_DEP_4) | instskip(SKIP_3) | instid1(VALU_DEP_4)
	v_add_f32_e32 v2, v2, v3
	v_dual_mul_f32 v3, v175, v27 :: v_dual_fmac_f32 v216, v185, v136
	v_fmac_f32_e32 v218, v189, v140
	v_fmac_f32_e32 v222, v197, v148
	v_add_f32_e32 v2, v2, v5
	v_add_f32_e32 v1, v1, v205
	v_fma_f32 v3, v174, v26, -v3
	s_delay_alu instid0(VALU_DEP_2) | instskip(SKIP_1) | instid1(VALU_DEP_2)
	v_dual_add_f32 v2, v2, v4 :: v_dual_add_f32 v1, v1, v206
	v_mul_f32_e32 v4, v179, v131
	v_dual_fmac_f32 v209, v171, v20 :: v_dual_add_f32 v2, v2, v3
	v_mul_f32_e32 v3, v181, v133
	s_delay_alu instid0(VALU_DEP_3) | instskip(SKIP_1) | instid1(VALU_DEP_3)
	v_fma_f32 v4, v178, v130, -v4
	v_mul_f32_e32 v5, v177, v129
	v_fma_f32 v3, v180, v132, -v3
	s_delay_alu instid0(VALU_DEP_2) | instskip(NEXT) | instid1(VALU_DEP_1)
	v_fma_f32 v5, v176, v128, -v5
	v_dual_add_f32 v1, v1, v207 :: v_dual_add_f32 v2, v2, v5
	s_delay_alu instid0(VALU_DEP_1) | instskip(NEXT) | instid1(VALU_DEP_2)
	v_dual_mul_f32 v5, v183, v135 :: v_dual_add_f32 v2, v2, v4
	v_add_f32_e32 v1, v1, v208
	v_mul_f32_e32 v4, v185, v137
	s_delay_alu instid0(VALU_DEP_3) | instskip(NEXT) | instid1(VALU_DEP_4)
	v_fma_f32 v5, v182, v134, -v5
	v_dual_add_f32 v2, v2, v3 :: v_dual_fmac_f32 v215, v183, v134
	v_mul_f32_e32 v3, v187, v139
	s_delay_alu instid0(VALU_DEP_4) | instskip(NEXT) | instid1(VALU_DEP_3)
	v_fma_f32 v4, v184, v136, -v4
	v_add_f32_e32 v2, v2, v5
	v_add_f32_e32 v1, v1, v209
	s_delay_alu instid0(VALU_DEP_4) | instskip(NEXT) | instid1(VALU_DEP_3)
	v_fma_f32 v3, v186, v138, -v3
	v_dual_add_f32 v2, v2, v4 :: v_dual_mul_f32 v5, v189, v141
	s_delay_alu instid0(VALU_DEP_3) | instskip(NEXT) | instid1(VALU_DEP_2)
	v_dual_add_f32 v1, v1, v210 :: v_dual_mul_f32 v4, v191, v143
	v_add_f32_e32 v2, v2, v3
	s_delay_alu instid0(VALU_DEP_3) | instskip(NEXT) | instid1(VALU_DEP_3)
	v_fma_f32 v5, v188, v140, -v5
	v_add_f32_e32 v1, v1, v211
	v_mul_f32_e32 v3, v193, v145
	v_fma_f32 v4, v190, v142, -v4
	s_delay_alu instid0(VALU_DEP_4) | instskip(NEXT) | instid1(VALU_DEP_3)
	v_dual_add_f32 v2, v2, v5 :: v_dual_mul_f32 v5, v195, v147
	v_fma_f32 v3, v192, v144, -v3
	s_delay_alu instid0(VALU_DEP_2) | instskip(SKIP_3) | instid1(VALU_DEP_4)
	v_add_f32_e32 v2, v2, v4
	v_add_f32_e32 v1, v1, v212
	v_mul_f32_e32 v4, v197, v149
	v_fma_f32 v5, v194, v146, -v5
	v_dual_add_f32 v2, v2, v3 :: v_dual_fmac_f32 v221, v195, v146
	v_mul_f32_e32 v3, v199, v151
	s_delay_alu instid0(VALU_DEP_4) | instskip(NEXT) | instid1(VALU_DEP_3)
	v_fma_f32 v4, v196, v148, -v4
	v_add_f32_e32 v2, v2, v5
	v_add_f32_e32 v1, v1, v213
	s_delay_alu instid0(VALU_DEP_4) | instskip(NEXT) | instid1(VALU_DEP_2)
	v_fma_f32 v3, v198, v150, -v3
	v_dual_add_f32 v2, v2, v4 :: v_dual_add_f32 v1, v1, v214
	s_delay_alu instid0(VALU_DEP_1) | instskip(NEXT) | instid1(VALU_DEP_2)
	v_add_f32_e32 v2, v2, v3
	v_add_f32_e32 v1, v1, v215
	s_delay_alu instid0(VALU_DEP_1) | instskip(NEXT) | instid1(VALU_DEP_1)
	v_add_f32_e32 v1, v1, v216
	v_add_f32_e32 v1, v1, v217
	s_delay_alu instid0(VALU_DEP_1) | instskip(NEXT) | instid1(VALU_DEP_1)
	;; [unrolled: 3-line block ×4, first 2 shown]
	v_add_f32_e32 v1, v1, v222
	v_add_f32_e32 v3, v1, v223
	s_wait_loadcnt 0x0
	s_delay_alu instid0(VALU_DEP_1)
	v_dual_sub_f32 v1, v200, v2 :: v_dual_sub_f32 v2, v201, v3
	scratch_store_b64 off, v[1:2], off offset:200
	v_cmpx_lt_u32_e32 24, v0
	s_cbranch_execz .LBB49_265
; %bb.264:
	scratch_load_b64 v[1:2], off, off offset:192
	v_mov_b32_e32 v3, 0
	s_delay_alu instid0(VALU_DEP_1)
	v_mov_b32_e32 v4, v3
	scratch_store_b64 off, v[3:4], off offset:192
	s_wait_loadcnt 0x0
	ds_store_b64 v23, v[1:2]
.LBB49_265:
	s_wait_alu 0xfffe
	s_or_b32 exec_lo, exec_lo, s0
	s_wait_storecnt_dscnt 0x0
	s_barrier_signal -1
	s_barrier_wait -1
	global_inv scope:SCOPE_SE
	s_clause 0xd
	scratch_load_b128 v[2:5], off, off offset:200
	scratch_load_b128 v[6:9], off, off offset:216
	scratch_load_b128 v[10:13], off, off offset:232
	scratch_load_b128 v[14:17], off, off offset:248
	scratch_load_b128 v[18:21], off, off offset:264
	scratch_load_b128 v[24:27], off, off offset:280
	scratch_load_b128 v[128:131], off, off offset:296
	scratch_load_b128 v[132:135], off, off offset:312
	scratch_load_b128 v[136:139], off, off offset:328
	scratch_load_b128 v[140:143], off, off offset:344
	scratch_load_b128 v[144:147], off, off offset:360
	scratch_load_b128 v[148:151], off, off offset:376
	scratch_load_b64 v[200:201], off, off offset:392
	scratch_load_b64 v[202:203], off, off offset:192
	v_mov_b32_e32 v1, 0
	ds_load_2addr_b64 v[152:155], v1 offset0:75 offset1:76
	ds_load_2addr_b64 v[156:159], v1 offset0:77 offset1:78
	ds_load_2addr_b64 v[160:163], v1 offset0:79 offset1:80
	ds_load_2addr_b64 v[164:167], v1 offset0:81 offset1:82
	ds_load_2addr_b64 v[168:171], v1 offset0:83 offset1:84
	ds_load_2addr_b64 v[172:175], v1 offset0:85 offset1:86
	ds_load_2addr_b64 v[176:179], v1 offset0:87 offset1:88
	ds_load_2addr_b64 v[180:183], v1 offset0:89 offset1:90
	ds_load_2addr_b64 v[184:187], v1 offset0:91 offset1:92
	ds_load_2addr_b64 v[188:191], v1 offset0:93 offset1:94
	ds_load_2addr_b64 v[192:195], v1 offset0:95 offset1:96
	ds_load_2addr_b64 v[196:199], v1 offset0:97 offset1:98
	ds_load_b64 v[204:205], v1 offset:792
	s_mov_b32 s0, exec_lo
	s_wait_loadcnt_dscnt 0xd0c
	v_mul_f32_e32 v22, v152, v3
	v_dual_mul_f32 v3, v153, v3 :: v_dual_mul_f32 v206, v154, v5
	s_wait_loadcnt_dscnt 0x908
	v_dual_mul_f32 v207, v156, v7 :: v_dual_mul_f32 v214, v170, v21
	v_mul_f32_e32 v5, v155, v5
	s_delay_alu instid0(VALU_DEP_3) | instskip(SKIP_3) | instid1(VALU_DEP_4)
	v_fma_f32 v3, v152, v2, -v3
	v_dual_mul_f32 v208, v158, v9 :: v_dual_mul_f32 v209, v160, v11
	v_fmac_f32_e32 v22, v153, v2
	v_mul_f32_e32 v2, v157, v7
	v_dual_fmac_f32 v206, v155, v4 :: v_dual_add_f32 v3, 0, v3
	s_wait_loadcnt_dscnt 0x100
	v_mul_f32_e32 v229, v204, v201
	v_fma_f32 v4, v154, v4, -v5
	v_dual_add_f32 v5, 0, v22 :: v_dual_fmac_f32 v208, v159, v8
	v_mul_f32_e32 v7, v159, v9
	v_fma_f32 v2, v156, v6, -v2
	s_delay_alu instid0(VALU_DEP_4)
	v_add_f32_e32 v3, v3, v4
	v_fmac_f32_e32 v207, v157, v6
	v_add_f32_e32 v4, v5, v206
	v_mul_f32_e32 v5, v161, v11
	v_fma_f32 v6, v158, v8, -v7
	v_add_f32_e32 v2, v3, v2
	v_dual_mul_f32 v210, v162, v13 :: v_dual_mul_f32 v211, v164, v15
	v_dual_add_f32 v3, v4, v207 :: v_dual_mul_f32 v4, v163, v13
	v_fma_f32 v5, v160, v10, -v5
	s_delay_alu instid0(VALU_DEP_4)
	v_add_f32_e32 v2, v2, v6
	v_fmac_f32_e32 v209, v161, v10
	v_mul_f32_e32 v6, v165, v15
	v_fmac_f32_e32 v210, v163, v12
	v_add_f32_e32 v3, v3, v208
	v_fma_f32 v4, v162, v12, -v4
	v_add_f32_e32 v2, v2, v5
	v_dual_mul_f32 v212, v166, v17 :: v_dual_mul_f32 v213, v168, v19
	s_delay_alu instid0(VALU_DEP_4)
	v_add_f32_e32 v3, v3, v209
	v_mul_f32_e32 v5, v167, v17
	v_fma_f32 v6, v164, v14, -v6
	v_dual_add_f32 v2, v2, v4 :: v_dual_fmac_f32 v211, v165, v14
	v_fmac_f32_e32 v212, v167, v16
	v_mul_f32_e32 v4, v169, v19
	v_fma_f32 v5, v166, v16, -v5
	s_delay_alu instid0(VALU_DEP_4) | instskip(SKIP_3) | instid1(VALU_DEP_3)
	v_add_f32_e32 v2, v2, v6
	v_add_f32_e32 v3, v3, v210
	v_dual_mul_f32 v6, v171, v21 :: v_dual_fmac_f32 v213, v169, v18
	v_fma_f32 v4, v168, v18, -v4
	v_dual_add_f32 v2, v2, v5 :: v_dual_add_f32 v3, v3, v211
	s_delay_alu instid0(VALU_DEP_3) | instskip(SKIP_1) | instid1(VALU_DEP_3)
	v_fma_f32 v6, v170, v20, -v6
	v_dual_mul_f32 v215, v172, v25 :: v_dual_mul_f32 v216, v174, v27
	v_add_f32_e32 v2, v2, v4
	s_delay_alu instid0(VALU_DEP_4) | instskip(SKIP_1) | instid1(VALU_DEP_4)
	v_add_f32_e32 v3, v3, v212
	v_dual_mul_f32 v5, v173, v25 :: v_dual_fmac_f32 v214, v171, v20
	v_dual_mul_f32 v4, v175, v27 :: v_dual_fmac_f32 v215, v173, v24
	s_delay_alu instid0(VALU_DEP_3) | instskip(NEXT) | instid1(VALU_DEP_3)
	v_dual_add_f32 v2, v2, v6 :: v_dual_add_f32 v3, v3, v213
	v_fma_f32 v5, v172, v24, -v5
	v_dual_mul_f32 v217, v176, v129 :: v_dual_mul_f32 v218, v178, v131
	s_delay_alu instid0(VALU_DEP_3) | instskip(NEXT) | instid1(VALU_DEP_2)
	v_dual_mul_f32 v6, v177, v129 :: v_dual_add_f32 v3, v3, v214
	v_dual_fmac_f32 v216, v175, v26 :: v_dual_fmac_f32 v217, v177, v128
	v_fma_f32 v4, v174, v26, -v4
	s_delay_alu instid0(VALU_DEP_3) | instskip(SKIP_3) | instid1(VALU_DEP_4)
	v_dual_add_f32 v2, v2, v5 :: v_dual_add_f32 v3, v3, v215
	v_mul_f32_e32 v5, v179, v131
	v_fma_f32 v6, v176, v128, -v6
	v_dual_mul_f32 v219, v180, v133 :: v_dual_mul_f32 v220, v182, v135
	v_add_f32_e32 v2, v2, v4
	v_dual_add_f32 v3, v3, v216 :: v_dual_mul_f32 v4, v181, v133
	s_delay_alu instid0(VALU_DEP_3) | instskip(SKIP_1) | instid1(VALU_DEP_3)
	v_dual_fmac_f32 v218, v179, v130 :: v_dual_fmac_f32 v219, v181, v132
	v_fma_f32 v5, v178, v130, -v5
	v_dual_add_f32 v2, v2, v6 :: v_dual_add_f32 v3, v3, v217
	v_mul_f32_e32 v6, v183, v135
	v_fma_f32 v4, v180, v132, -v4
	v_dual_mul_f32 v221, v184, v137 :: v_dual_mul_f32 v222, v186, v139
	s_delay_alu instid0(VALU_DEP_4) | instskip(SKIP_1) | instid1(VALU_DEP_3)
	v_dual_add_f32 v2, v2, v5 :: v_dual_add_f32 v3, v3, v218
	v_dual_mul_f32 v5, v185, v137 :: v_dual_fmac_f32 v220, v183, v134
	v_fmac_f32_e32 v221, v185, v136
	v_fma_f32 v6, v182, v134, -v6
	s_delay_alu instid0(VALU_DEP_4) | instskip(SKIP_2) | instid1(VALU_DEP_2)
	v_dual_add_f32 v2, v2, v4 :: v_dual_add_f32 v3, v3, v219
	v_dual_mul_f32 v223, v188, v141 :: v_dual_mul_f32 v224, v190, v143
	v_dual_mul_f32 v225, v192, v145 :: v_dual_mul_f32 v226, v194, v147
	v_dual_mul_f32 v4, v187, v139 :: v_dual_fmac_f32 v223, v189, v140
	v_fma_f32 v5, v184, v136, -v5
	v_dual_add_f32 v2, v2, v6 :: v_dual_add_f32 v3, v3, v220
	v_mul_f32_e32 v6, v189, v141
	v_dual_fmac_f32 v222, v187, v138 :: v_dual_fmac_f32 v225, v193, v144
	v_fma_f32 v4, v186, v138, -v4
	s_delay_alu instid0(VALU_DEP_4) | instskip(SKIP_3) | instid1(VALU_DEP_3)
	v_add_f32_e32 v3, v3, v221
	v_dual_add_f32 v2, v2, v5 :: v_dual_mul_f32 v5, v191, v143
	v_fma_f32 v6, v188, v140, -v6
	v_fmac_f32_e32 v224, v191, v142
	v_dual_add_f32 v3, v3, v222 :: v_dual_add_f32 v2, v2, v4
	v_mul_f32_e32 v4, v193, v145
	v_fma_f32 v5, v190, v142, -v5
	v_dual_mul_f32 v227, v196, v149 :: v_dual_mul_f32 v228, v198, v151
	s_delay_alu instid0(VALU_DEP_4) | instskip(NEXT) | instid1(VALU_DEP_2)
	v_dual_add_f32 v3, v3, v223 :: v_dual_add_f32 v2, v2, v6
	v_dual_mul_f32 v6, v195, v147 :: v_dual_fmac_f32 v227, v197, v148
	v_dual_fmac_f32 v226, v195, v146 :: v_dual_fmac_f32 v229, v205, v200
	s_delay_alu instid0(VALU_DEP_3)
	v_add_f32_e32 v2, v2, v5
	v_mul_f32_e32 v5, v197, v149
	v_add_f32_e32 v3, v3, v224
	v_fma_f32 v6, v194, v146, -v6
	v_fma_f32 v4, v192, v144, -v4
	v_fmac_f32_e32 v228, v199, v150
	v_fma_f32 v5, v196, v148, -v5
	v_add_f32_e32 v3, v3, v225
	s_delay_alu instid0(VALU_DEP_1) | instskip(SKIP_1) | instid1(VALU_DEP_2)
	v_dual_add_f32 v3, v3, v226 :: v_dual_add_f32 v2, v2, v4
	v_mul_f32_e32 v4, v199, v151
	v_dual_add_f32 v3, v3, v227 :: v_dual_add_f32 v2, v2, v6
	v_mul_f32_e32 v6, v205, v201
	s_delay_alu instid0(VALU_DEP_3) | instskip(NEXT) | instid1(VALU_DEP_3)
	v_fma_f32 v4, v198, v150, -v4
	v_add_f32_e32 v3, v3, v228
	s_delay_alu instid0(VALU_DEP_1) | instskip(SKIP_3) | instid1(VALU_DEP_2)
	v_add_f32_e32 v3, v3, v229
	v_add_f32_e32 v2, v2, v5
	v_fma_f32 v5, v204, v200, -v6
	s_wait_loadcnt 0x0
	v_dual_sub_f32 v3, v203, v3 :: v_dual_add_f32 v2, v2, v4
	s_delay_alu instid0(VALU_DEP_1) | instskip(NEXT) | instid1(VALU_DEP_1)
	v_add_f32_e32 v2, v2, v5
	v_sub_f32_e32 v2, v202, v2
	scratch_store_b64 off, v[2:3], off offset:192
	v_cmpx_lt_u32_e32 23, v0
	s_cbranch_execz .LBB49_267
; %bb.266:
	scratch_load_b64 v[3:4], off, off offset:184
	v_mov_b32_e32 v2, v1
	scratch_store_b64 off, v[1:2], off offset:184
	s_wait_loadcnt 0x0
	ds_store_b64 v23, v[3:4]
.LBB49_267:
	s_wait_alu 0xfffe
	s_or_b32 exec_lo, exec_lo, s0
	s_wait_storecnt_dscnt 0x0
	s_barrier_signal -1
	s_barrier_wait -1
	global_inv scope:SCOPE_SE
	s_clause 0xd
	scratch_load_b128 v[2:5], off, off offset:192
	scratch_load_b128 v[6:9], off, off offset:208
	;; [unrolled: 1-line block ×13, first 2 shown]
	scratch_load_b64 v[208:209], off, off offset:184
	ds_load_b128 v[156:159], v1 offset:592
	ds_load_b128 v[160:163], v1 offset:608
	;; [unrolled: 1-line block ×13, first 2 shown]
	s_mov_b32 s0, exec_lo
	s_wait_loadcnt_dscnt 0xd0c
	v_dual_mul_f32 v1, v156, v3 :: v_dual_mul_f32 v22, v158, v5
	s_wait_loadcnt_dscnt 0xc0b
	v_dual_mul_f32 v5, v159, v5 :: v_dual_mul_f32 v210, v160, v7
	v_mul_f32_e32 v211, v162, v9
	s_wait_loadcnt_dscnt 0xb0a
	v_dual_fmac_f32 v1, v157, v2 :: v_dual_mul_f32 v212, v164, v11
	v_mul_f32_e32 v213, v166, v13
	v_dual_mul_f32 v3, v157, v3 :: v_dual_fmac_f32 v22, v159, v4
	s_wait_loadcnt_dscnt 0xa09
	v_dual_mul_f32 v214, v168, v15 :: v_dual_mul_f32 v215, v170, v17
	s_wait_loadcnt_dscnt 0x201
	v_mul_f32_e32 v230, v200, v149
	v_fma_f32 v3, v156, v2, -v3
	s_wait_loadcnt_dscnt 0x100
	v_mul_f32_e32 v233, v206, v155
	v_mul_f32_e32 v2, v161, v7
	v_fma_f32 v4, v158, v4, -v5
	v_dual_mul_f32 v5, v163, v9 :: v_dual_fmac_f32 v212, v165, v10
	v_dual_add_f32 v3, 0, v3 :: v_dual_fmac_f32 v210, v161, v6
	s_delay_alu instid0(VALU_DEP_4) | instskip(NEXT) | instid1(VALU_DEP_3)
	v_fma_f32 v2, v160, v6, -v2
	v_fma_f32 v5, v162, v8, -v5
	s_delay_alu instid0(VALU_DEP_3) | instskip(SKIP_2) | instid1(VALU_DEP_3)
	v_dual_fmac_f32 v214, v169, v14 :: v_dual_add_f32 v3, v3, v4
	v_dual_mul_f32 v216, v172, v19 :: v_dual_mul_f32 v217, v174, v21
	v_dual_mul_f32 v218, v176, v25 :: v_dual_mul_f32 v219, v178, v27
	v_add_f32_e32 v2, v3, v2
	s_delay_alu instid0(VALU_DEP_3) | instskip(SKIP_1) | instid1(VALU_DEP_3)
	v_dual_mul_f32 v3, v167, v13 :: v_dual_fmac_f32 v216, v173, v18
	v_dual_mul_f32 v4, v165, v11 :: v_dual_fmac_f32 v215, v171, v16
	v_add_f32_e32 v2, v2, v5
	v_add_f32_e32 v1, 0, v1
	s_delay_alu instid0(VALU_DEP_4) | instskip(NEXT) | instid1(VALU_DEP_4)
	v_fma_f32 v3, v166, v12, -v3
	v_fma_f32 v4, v164, v10, -v4
	v_dual_mul_f32 v220, v180, v129 :: v_dual_mul_f32 v221, v182, v131
	s_delay_alu instid0(VALU_DEP_4) | instskip(SKIP_1) | instid1(VALU_DEP_4)
	v_dual_add_f32 v1, v1, v22 :: v_dual_mul_f32 v224, v188, v137
	v_mul_f32_e32 v225, v190, v139
	v_add_f32_e32 v2, v2, v4
	s_delay_alu instid0(VALU_DEP_3) | instskip(SKIP_2) | instid1(VALU_DEP_3)
	v_dual_mul_f32 v4, v171, v17 :: v_dual_add_f32 v1, v1, v210
	v_dual_fmac_f32 v211, v163, v8 :: v_dual_mul_f32 v222, v184, v133
	v_mul_f32_e32 v223, v186, v135
	v_fma_f32 v4, v170, v16, -v4
	v_mul_f32_e32 v5, v169, v15
	v_add_f32_e32 v2, v2, v3
	v_add_f32_e32 v1, v1, v211
	v_dual_fmac_f32 v221, v183, v130 :: v_dual_mul_f32 v226, v192, v141
	v_mul_f32_e32 v227, v194, v143
	v_fma_f32 v5, v168, v14, -v5
	v_fmac_f32_e32 v213, v167, v12
	v_dual_fmac_f32 v218, v177, v24 :: v_dual_fmac_f32 v219, v179, v26
	v_fmac_f32_e32 v222, v185, v132
	s_delay_alu instid0(VALU_DEP_4) | instskip(SKIP_2) | instid1(VALU_DEP_3)
	v_add_f32_e32 v2, v2, v5
	v_mul_f32_e32 v5, v175, v21
	v_dual_mul_f32 v228, v196, v145 :: v_dual_mul_f32 v229, v198, v147
	v_dual_fmac_f32 v227, v195, v142 :: v_dual_add_f32 v2, v2, v4
	s_delay_alu instid0(VALU_DEP_3) | instskip(SKIP_4) | instid1(VALU_DEP_4)
	v_fma_f32 v5, v174, v20, -v5
	v_mul_f32_e32 v3, v173, v19
	v_dual_mul_f32 v4, v177, v25 :: v_dual_mul_f32 v231, v202, v151
	v_mul_f32_e32 v232, v204, v153
	v_fmac_f32_e32 v220, v181, v128
	v_fma_f32 v3, v172, v18, -v3
	v_add_f32_e32 v1, v1, v212
	v_fma_f32 v4, v176, v24, -v4
	v_dual_fmac_f32 v225, v191, v138 :: v_dual_fmac_f32 v228, v197, v144
	s_delay_alu instid0(VALU_DEP_4) | instskip(SKIP_3) | instid1(VALU_DEP_4)
	v_add_f32_e32 v2, v2, v3
	v_mul_f32_e32 v3, v179, v27
	v_fmac_f32_e32 v231, v203, v150
	v_dual_fmac_f32 v233, v207, v154 :: v_dual_fmac_f32 v224, v189, v136
	v_add_f32_e32 v2, v2, v5
	v_add_f32_e32 v1, v1, v213
	v_fma_f32 v3, v178, v26, -v3
	v_fmac_f32_e32 v226, v193, v140
	v_fmac_f32_e32 v230, v201, v148
	s_delay_alu instid0(VALU_DEP_4) | instskip(SKIP_3) | instid1(VALU_DEP_4)
	v_dual_add_f32 v2, v2, v4 :: v_dual_add_f32 v1, v1, v214
	v_mul_f32_e32 v4, v183, v131
	v_fmac_f32_e32 v217, v175, v20
	v_fmac_f32_e32 v232, v205, v152
	v_dual_add_f32 v2, v2, v3 :: v_dual_mul_f32 v3, v185, v133
	s_delay_alu instid0(VALU_DEP_4) | instskip(SKIP_1) | instid1(VALU_DEP_3)
	v_fma_f32 v4, v182, v130, -v4
	v_mul_f32_e32 v5, v181, v129
	v_fma_f32 v3, v184, v132, -v3
	s_delay_alu instid0(VALU_DEP_2) | instskip(NEXT) | instid1(VALU_DEP_1)
	v_fma_f32 v5, v180, v128, -v5
	v_dual_add_f32 v1, v1, v215 :: v_dual_add_f32 v2, v2, v5
	s_delay_alu instid0(VALU_DEP_1) | instskip(NEXT) | instid1(VALU_DEP_2)
	v_dual_mul_f32 v5, v187, v135 :: v_dual_add_f32 v2, v2, v4
	v_add_f32_e32 v1, v1, v216
	v_mul_f32_e32 v4, v189, v137
	s_delay_alu instid0(VALU_DEP_3) | instskip(NEXT) | instid1(VALU_DEP_4)
	v_fma_f32 v5, v186, v134, -v5
	v_dual_add_f32 v2, v2, v3 :: v_dual_fmac_f32 v223, v187, v134
	v_mul_f32_e32 v3, v191, v139
	s_delay_alu instid0(VALU_DEP_4) | instskip(NEXT) | instid1(VALU_DEP_3)
	v_fma_f32 v4, v188, v136, -v4
	v_add_f32_e32 v2, v2, v5
	v_add_f32_e32 v1, v1, v217
	s_delay_alu instid0(VALU_DEP_4) | instskip(NEXT) | instid1(VALU_DEP_3)
	v_fma_f32 v3, v190, v138, -v3
	v_dual_add_f32 v2, v2, v4 :: v_dual_mul_f32 v5, v193, v141
	s_delay_alu instid0(VALU_DEP_3) | instskip(NEXT) | instid1(VALU_DEP_2)
	v_dual_add_f32 v1, v1, v218 :: v_dual_mul_f32 v4, v195, v143
	v_add_f32_e32 v2, v2, v3
	s_delay_alu instid0(VALU_DEP_3) | instskip(NEXT) | instid1(VALU_DEP_3)
	v_fma_f32 v5, v192, v140, -v5
	v_add_f32_e32 v1, v1, v219
	v_mul_f32_e32 v3, v197, v145
	v_fma_f32 v4, v194, v142, -v4
	s_delay_alu instid0(VALU_DEP_4) | instskip(NEXT) | instid1(VALU_DEP_3)
	v_dual_add_f32 v2, v2, v5 :: v_dual_mul_f32 v5, v199, v147
	v_fma_f32 v3, v196, v144, -v3
	s_delay_alu instid0(VALU_DEP_2) | instskip(SKIP_3) | instid1(VALU_DEP_4)
	v_add_f32_e32 v2, v2, v4
	v_add_f32_e32 v1, v1, v220
	v_mul_f32_e32 v4, v201, v149
	v_fma_f32 v5, v198, v146, -v5
	v_dual_add_f32 v2, v2, v3 :: v_dual_fmac_f32 v229, v199, v146
	v_mul_f32_e32 v3, v203, v151
	s_delay_alu instid0(VALU_DEP_4) | instskip(NEXT) | instid1(VALU_DEP_3)
	v_fma_f32 v4, v200, v148, -v4
	v_add_f32_e32 v2, v2, v5
	v_add_f32_e32 v1, v1, v221
	s_delay_alu instid0(VALU_DEP_4) | instskip(NEXT) | instid1(VALU_DEP_2)
	v_fma_f32 v3, v202, v150, -v3
	v_dual_add_f32 v2, v2, v4 :: v_dual_add_f32 v1, v1, v222
	v_dual_mul_f32 v4, v207, v155 :: v_dual_mul_f32 v5, v205, v153
	s_delay_alu instid0(VALU_DEP_2) | instskip(NEXT) | instid1(VALU_DEP_2)
	v_add_f32_e32 v2, v2, v3
	v_fma_f32 v3, v206, v154, -v4
	s_delay_alu instid0(VALU_DEP_3) | instskip(NEXT) | instid1(VALU_DEP_1)
	v_fma_f32 v5, v204, v152, -v5
	v_dual_add_f32 v1, v1, v223 :: v_dual_add_f32 v2, v2, v5
	s_delay_alu instid0(VALU_DEP_1) | instskip(NEXT) | instid1(VALU_DEP_1)
	v_dual_add_f32 v1, v1, v224 :: v_dual_add_f32 v2, v2, v3
	v_add_f32_e32 v1, v1, v225
	s_delay_alu instid0(VALU_DEP_1) | instskip(NEXT) | instid1(VALU_DEP_1)
	v_add_f32_e32 v1, v1, v226
	v_add_f32_e32 v1, v1, v227
	s_delay_alu instid0(VALU_DEP_1) | instskip(NEXT) | instid1(VALU_DEP_1)
	v_add_f32_e32 v1, v1, v228
	;; [unrolled: 3-line block ×4, first 2 shown]
	v_add_f32_e32 v3, v1, v233
	s_wait_loadcnt 0x0
	s_delay_alu instid0(VALU_DEP_1)
	v_dual_sub_f32 v1, v208, v2 :: v_dual_sub_f32 v2, v209, v3
	scratch_store_b64 off, v[1:2], off offset:184
	v_cmpx_lt_u32_e32 22, v0
	s_cbranch_execz .LBB49_269
; %bb.268:
	scratch_load_b64 v[1:2], off, off offset:176
	v_mov_b32_e32 v3, 0
	s_delay_alu instid0(VALU_DEP_1)
	v_mov_b32_e32 v4, v3
	scratch_store_b64 off, v[3:4], off offset:176
	s_wait_loadcnt 0x0
	ds_store_b64 v23, v[1:2]
.LBB49_269:
	s_wait_alu 0xfffe
	s_or_b32 exec_lo, exec_lo, s0
	s_wait_storecnt_dscnt 0x0
	s_barrier_signal -1
	s_barrier_wait -1
	global_inv scope:SCOPE_SE
	s_clause 0xe
	scratch_load_b128 v[2:5], off, off offset:184
	scratch_load_b128 v[6:9], off, off offset:200
	;; [unrolled: 1-line block ×13, first 2 shown]
	scratch_load_b64 v[208:209], off, off offset:392
	scratch_load_b64 v[210:211], off, off offset:176
	v_mov_b32_e32 v1, 0
	ds_load_2addr_b64 v[156:159], v1 offset0:73 offset1:74
	ds_load_2addr_b64 v[160:163], v1 offset0:75 offset1:76
	;; [unrolled: 1-line block ×13, first 2 shown]
	ds_load_b64 v[212:213], v1 offset:792
	s_mov_b32 s0, exec_lo
	s_wait_loadcnt_dscnt 0xe0d
	v_mul_f32_e32 v22, v156, v3
	v_dual_mul_f32 v3, v157, v3 :: v_dual_mul_f32 v214, v158, v5
	s_wait_loadcnt_dscnt 0xa09
	v_dual_mul_f32 v215, v160, v7 :: v_dual_mul_f32 v222, v174, v21
	v_mul_f32_e32 v5, v159, v5
	s_delay_alu instid0(VALU_DEP_3) | instskip(SKIP_3) | instid1(VALU_DEP_4)
	v_fma_f32 v3, v156, v2, -v3
	v_dual_mul_f32 v216, v162, v9 :: v_dual_mul_f32 v217, v164, v11
	v_fmac_f32_e32 v22, v157, v2
	v_mul_f32_e32 v2, v161, v7
	v_dual_fmac_f32 v214, v159, v4 :: v_dual_add_f32 v3, 0, v3
	s_wait_loadcnt_dscnt 0x100
	v_mul_f32_e32 v239, v212, v209
	v_fma_f32 v4, v158, v4, -v5
	v_dual_add_f32 v5, 0, v22 :: v_dual_fmac_f32 v216, v163, v8
	v_mul_f32_e32 v7, v163, v9
	v_fma_f32 v2, v160, v6, -v2
	s_delay_alu instid0(VALU_DEP_4)
	v_add_f32_e32 v3, v3, v4
	v_fmac_f32_e32 v215, v161, v6
	v_add_f32_e32 v4, v5, v214
	v_mul_f32_e32 v5, v165, v11
	v_fma_f32 v6, v162, v8, -v7
	v_add_f32_e32 v2, v3, v2
	v_dual_mul_f32 v218, v166, v13 :: v_dual_mul_f32 v219, v168, v15
	v_dual_add_f32 v3, v4, v215 :: v_dual_mul_f32 v4, v167, v13
	v_fma_f32 v5, v164, v10, -v5
	s_delay_alu instid0(VALU_DEP_4)
	v_add_f32_e32 v2, v2, v6
	v_fmac_f32_e32 v217, v165, v10
	v_mul_f32_e32 v6, v169, v15
	v_fmac_f32_e32 v218, v167, v12
	v_add_f32_e32 v3, v3, v216
	v_fma_f32 v4, v166, v12, -v4
	v_add_f32_e32 v2, v2, v5
	v_dual_mul_f32 v220, v170, v17 :: v_dual_mul_f32 v221, v172, v19
	s_delay_alu instid0(VALU_DEP_4)
	v_add_f32_e32 v3, v3, v217
	v_mul_f32_e32 v5, v171, v17
	v_fma_f32 v6, v168, v14, -v6
	v_dual_add_f32 v2, v2, v4 :: v_dual_fmac_f32 v219, v169, v14
	v_fmac_f32_e32 v220, v171, v16
	v_mul_f32_e32 v4, v173, v19
	v_fma_f32 v5, v170, v16, -v5
	s_delay_alu instid0(VALU_DEP_4) | instskip(SKIP_3) | instid1(VALU_DEP_3)
	v_add_f32_e32 v2, v2, v6
	v_add_f32_e32 v3, v3, v218
	v_dual_mul_f32 v6, v175, v21 :: v_dual_fmac_f32 v221, v173, v18
	v_fma_f32 v4, v172, v18, -v4
	v_dual_add_f32 v2, v2, v5 :: v_dual_add_f32 v3, v3, v219
	s_delay_alu instid0(VALU_DEP_3) | instskip(SKIP_1) | instid1(VALU_DEP_3)
	v_fma_f32 v6, v174, v20, -v6
	v_dual_mul_f32 v223, v176, v25 :: v_dual_mul_f32 v224, v178, v27
	v_add_f32_e32 v2, v2, v4
	s_delay_alu instid0(VALU_DEP_4) | instskip(SKIP_1) | instid1(VALU_DEP_4)
	v_add_f32_e32 v3, v3, v220
	v_dual_mul_f32 v5, v177, v25 :: v_dual_fmac_f32 v222, v175, v20
	v_dual_mul_f32 v4, v179, v27 :: v_dual_fmac_f32 v223, v177, v24
	s_delay_alu instid0(VALU_DEP_3) | instskip(NEXT) | instid1(VALU_DEP_3)
	v_dual_add_f32 v2, v2, v6 :: v_dual_add_f32 v3, v3, v221
	v_fma_f32 v5, v176, v24, -v5
	v_dual_mul_f32 v225, v180, v129 :: v_dual_mul_f32 v226, v182, v131
	s_delay_alu instid0(VALU_DEP_3) | instskip(NEXT) | instid1(VALU_DEP_2)
	v_dual_mul_f32 v6, v181, v129 :: v_dual_add_f32 v3, v3, v222
	v_dual_fmac_f32 v224, v179, v26 :: v_dual_fmac_f32 v225, v181, v128
	v_fma_f32 v4, v178, v26, -v4
	s_delay_alu instid0(VALU_DEP_3) | instskip(SKIP_3) | instid1(VALU_DEP_4)
	v_dual_add_f32 v2, v2, v5 :: v_dual_add_f32 v3, v3, v223
	v_mul_f32_e32 v5, v183, v131
	v_fma_f32 v6, v180, v128, -v6
	v_dual_mul_f32 v227, v184, v133 :: v_dual_mul_f32 v228, v186, v135
	v_add_f32_e32 v2, v2, v4
	v_dual_add_f32 v3, v3, v224 :: v_dual_mul_f32 v4, v185, v133
	s_delay_alu instid0(VALU_DEP_3) | instskip(SKIP_1) | instid1(VALU_DEP_3)
	v_dual_fmac_f32 v226, v183, v130 :: v_dual_fmac_f32 v227, v185, v132
	v_fma_f32 v5, v182, v130, -v5
	v_dual_add_f32 v2, v2, v6 :: v_dual_add_f32 v3, v3, v225
	v_mul_f32_e32 v6, v187, v135
	v_fma_f32 v4, v184, v132, -v4
	v_dual_mul_f32 v229, v188, v137 :: v_dual_mul_f32 v230, v190, v139
	s_delay_alu instid0(VALU_DEP_4) | instskip(SKIP_1) | instid1(VALU_DEP_3)
	v_dual_add_f32 v2, v2, v5 :: v_dual_add_f32 v3, v3, v226
	v_dual_mul_f32 v5, v189, v137 :: v_dual_fmac_f32 v228, v187, v134
	v_fmac_f32_e32 v229, v189, v136
	v_fma_f32 v6, v186, v134, -v6
	s_delay_alu instid0(VALU_DEP_4) | instskip(SKIP_2) | instid1(VALU_DEP_2)
	v_dual_add_f32 v2, v2, v4 :: v_dual_add_f32 v3, v3, v227
	v_dual_mul_f32 v231, v192, v141 :: v_dual_mul_f32 v232, v194, v143
	v_dual_mul_f32 v233, v196, v145 :: v_dual_mul_f32 v234, v198, v147
	v_dual_mul_f32 v4, v191, v139 :: v_dual_fmac_f32 v231, v193, v140
	v_fma_f32 v5, v188, v136, -v5
	v_dual_add_f32 v2, v2, v6 :: v_dual_add_f32 v3, v3, v228
	v_mul_f32_e32 v6, v193, v141
	v_dual_fmac_f32 v230, v191, v138 :: v_dual_fmac_f32 v233, v197, v144
	v_fma_f32 v4, v190, v138, -v4
	s_delay_alu instid0(VALU_DEP_4) | instskip(SKIP_3) | instid1(VALU_DEP_3)
	v_add_f32_e32 v3, v3, v229
	v_dual_add_f32 v2, v2, v5 :: v_dual_mul_f32 v5, v195, v143
	v_fma_f32 v6, v192, v140, -v6
	v_dual_mul_f32 v237, v204, v153 :: v_dual_mul_f32 v238, v206, v155
	v_dual_add_f32 v3, v3, v230 :: v_dual_add_f32 v2, v2, v4
	v_mul_f32_e32 v4, v197, v145
	v_fmac_f32_e32 v232, v195, v142
	v_fma_f32 v5, v194, v142, -v5
	s_delay_alu instid0(VALU_DEP_4) | instskip(SKIP_3) | instid1(VALU_DEP_4)
	v_dual_add_f32 v3, v3, v231 :: v_dual_add_f32 v2, v2, v6
	v_dual_mul_f32 v235, v200, v149 :: v_dual_mul_f32 v236, v202, v151
	v_mul_f32_e32 v6, v199, v147
	v_dual_fmac_f32 v234, v199, v146 :: v_dual_fmac_f32 v237, v205, v152
	v_add_f32_e32 v2, v2, v5
	v_mul_f32_e32 v5, v201, v149
	v_add_f32_e32 v3, v3, v232
	v_fma_f32 v4, v196, v144, -v4
	v_fmac_f32_e32 v235, v201, v148
	v_fma_f32 v6, v198, v146, -v6
	v_fma_f32 v5, v200, v148, -v5
	v_add_f32_e32 v3, v3, v233
	v_dual_fmac_f32 v236, v203, v150 :: v_dual_fmac_f32 v239, v213, v208
	v_fmac_f32_e32 v238, v207, v154
	s_delay_alu instid0(VALU_DEP_3) | instskip(SKIP_1) | instid1(VALU_DEP_2)
	v_dual_add_f32 v3, v3, v234 :: v_dual_add_f32 v2, v2, v4
	v_mul_f32_e32 v4, v203, v151
	v_dual_add_f32 v3, v3, v235 :: v_dual_add_f32 v2, v2, v6
	v_mul_f32_e32 v6, v205, v153
	s_delay_alu instid0(VALU_DEP_3) | instskip(NEXT) | instid1(VALU_DEP_3)
	v_fma_f32 v4, v202, v150, -v4
	v_dual_add_f32 v3, v3, v236 :: v_dual_add_f32 v2, v2, v5
	v_mul_f32_e32 v5, v207, v155
	s_delay_alu instid0(VALU_DEP_4) | instskip(NEXT) | instid1(VALU_DEP_3)
	v_fma_f32 v6, v204, v152, -v6
	v_dual_add_f32 v3, v3, v237 :: v_dual_add_f32 v2, v2, v4
	v_mul_f32_e32 v4, v213, v209
	s_delay_alu instid0(VALU_DEP_4) | instskip(NEXT) | instid1(VALU_DEP_3)
	v_fma_f32 v5, v206, v154, -v5
	v_add_f32_e32 v3, v3, v238
	s_delay_alu instid0(VALU_DEP_4) | instskip(NEXT) | instid1(VALU_DEP_4)
	v_add_f32_e32 v2, v2, v6
	v_fma_f32 v4, v212, v208, -v4
	s_delay_alu instid0(VALU_DEP_2) | instskip(SKIP_1) | instid1(VALU_DEP_1)
	v_dual_add_f32 v3, v3, v239 :: v_dual_add_f32 v2, v2, v5
	s_wait_loadcnt 0x0
	v_dual_sub_f32 v3, v211, v3 :: v_dual_add_f32 v2, v2, v4
	s_delay_alu instid0(VALU_DEP_1)
	v_sub_f32_e32 v2, v210, v2
	scratch_store_b64 off, v[2:3], off offset:176
	v_cmpx_lt_u32_e32 21, v0
	s_cbranch_execz .LBB49_271
; %bb.270:
	scratch_load_b64 v[3:4], off, off offset:168
	v_mov_b32_e32 v2, v1
	scratch_store_b64 off, v[1:2], off offset:168
	s_wait_loadcnt 0x0
	ds_store_b64 v23, v[3:4]
.LBB49_271:
	s_wait_alu 0xfffe
	s_or_b32 exec_lo, exec_lo, s0
	s_wait_storecnt_dscnt 0x0
	s_barrier_signal -1
	s_barrier_wait -1
	global_inv scope:SCOPE_SE
	s_clause 0xe
	scratch_load_b128 v[2:5], off, off offset:176
	scratch_load_b128 v[6:9], off, off offset:192
	;; [unrolled: 1-line block ×14, first 2 shown]
	scratch_load_b64 v[216:217], off, off offset:168
	ds_load_b128 v[160:163], v1 offset:576
	ds_load_b128 v[164:167], v1 offset:592
	;; [unrolled: 1-line block ×14, first 2 shown]
	s_mov_b32 s0, exec_lo
	s_wait_loadcnt_dscnt 0xe0d
	v_dual_mul_f32 v1, v160, v3 :: v_dual_mul_f32 v22, v162, v5
	s_wait_loadcnt_dscnt 0xd0c
	v_dual_mul_f32 v5, v163, v5 :: v_dual_mul_f32 v218, v164, v7
	v_mul_f32_e32 v219, v166, v9
	s_wait_loadcnt_dscnt 0xc0b
	v_dual_fmac_f32 v1, v161, v2 :: v_dual_mul_f32 v220, v168, v11
	v_mul_f32_e32 v221, v170, v13
	v_dual_mul_f32 v3, v161, v3 :: v_dual_fmac_f32 v22, v163, v4
	s_wait_loadcnt_dscnt 0xb0a
	v_dual_mul_f32 v222, v172, v15 :: v_dual_mul_f32 v223, v174, v17
	s_wait_loadcnt_dscnt 0x201
	v_mul_f32_e32 v240, v208, v153
	v_fma_f32 v3, v160, v2, -v3
	s_wait_loadcnt_dscnt 0x100
	v_mul_f32_e32 v243, v214, v159
	v_mul_f32_e32 v2, v165, v7
	v_fma_f32 v4, v162, v4, -v5
	v_dual_mul_f32 v5, v167, v9 :: v_dual_fmac_f32 v220, v169, v10
	v_dual_add_f32 v3, 0, v3 :: v_dual_fmac_f32 v218, v165, v6
	s_delay_alu instid0(VALU_DEP_4) | instskip(NEXT) | instid1(VALU_DEP_3)
	v_fma_f32 v2, v164, v6, -v2
	v_fma_f32 v5, v166, v8, -v5
	s_delay_alu instid0(VALU_DEP_3) | instskip(SKIP_2) | instid1(VALU_DEP_3)
	v_dual_fmac_f32 v222, v173, v14 :: v_dual_add_f32 v3, v3, v4
	v_dual_mul_f32 v224, v176, v19 :: v_dual_mul_f32 v225, v178, v21
	v_dual_mul_f32 v226, v180, v25 :: v_dual_mul_f32 v227, v182, v27
	v_add_f32_e32 v2, v3, v2
	s_delay_alu instid0(VALU_DEP_3) | instskip(SKIP_1) | instid1(VALU_DEP_3)
	v_dual_mul_f32 v3, v171, v13 :: v_dual_fmac_f32 v224, v177, v18
	v_dual_fmac_f32 v223, v175, v16 :: v_dual_mul_f32 v4, v169, v11
	v_add_f32_e32 v2, v2, v5
	v_add_f32_e32 v1, 0, v1
	s_delay_alu instid0(VALU_DEP_4) | instskip(SKIP_2) | instid1(VALU_DEP_4)
	v_fma_f32 v3, v170, v12, -v3
	v_dual_mul_f32 v228, v184, v129 :: v_dual_mul_f32 v229, v186, v131
	v_fma_f32 v4, v168, v10, -v4
	v_dual_add_f32 v1, v1, v22 :: v_dual_mul_f32 v232, v192, v137
	v_dual_mul_f32 v233, v194, v139 :: v_dual_mul_f32 v230, v188, v133
	v_mul_f32_e32 v231, v190, v135
	s_delay_alu instid0(VALU_DEP_3) | instskip(SKIP_2) | instid1(VALU_DEP_3)
	v_dual_add_f32 v2, v2, v4 :: v_dual_add_f32 v1, v1, v218
	v_mul_f32_e32 v4, v175, v17
	v_fmac_f32_e32 v219, v167, v8
	v_dual_fmac_f32 v229, v187, v130 :: v_dual_add_f32 v2, v2, v3
	v_dual_mul_f32 v234, v196, v141 :: v_dual_mul_f32 v235, v198, v143
	s_delay_alu instid0(VALU_DEP_4) | instskip(SKIP_4) | instid1(VALU_DEP_4)
	v_fma_f32 v4, v174, v16, -v4
	v_mul_f32_e32 v5, v173, v15
	v_add_f32_e32 v1, v1, v219
	v_dual_fmac_f32 v227, v183, v26 :: v_dual_fmac_f32 v230, v189, v132
	v_fmac_f32_e32 v226, v181, v24
	v_fma_f32 v5, v172, v14, -v5
	v_dual_fmac_f32 v221, v171, v12 :: v_dual_mul_f32 v238, v204, v149
	v_dual_mul_f32 v239, v206, v151 :: v_dual_mul_f32 v236, v200, v145
	v_mul_f32_e32 v237, v202, v147
	s_delay_alu instid0(VALU_DEP_4) | instskip(SKIP_3) | instid1(VALU_DEP_4)
	v_add_f32_e32 v2, v2, v5
	v_mul_f32_e32 v5, v179, v21
	v_fmac_f32_e32 v235, v199, v142
	v_dual_fmac_f32 v233, v195, v138 :: v_dual_fmac_f32 v236, v201, v144
	v_add_f32_e32 v2, v2, v4
	s_delay_alu instid0(VALU_DEP_4) | instskip(SKIP_4) | instid1(VALU_DEP_4)
	v_fma_f32 v5, v178, v20, -v5
	v_mul_f32_e32 v3, v177, v19
	v_mul_f32_e32 v4, v181, v25
	v_dual_fmac_f32 v228, v185, v128 :: v_dual_mul_f32 v241, v210, v155
	v_mul_f32_e32 v242, v212, v157
	v_fma_f32 v3, v176, v18, -v3
	v_add_f32_e32 v1, v1, v220
	v_fma_f32 v4, v180, v24, -v4
	s_delay_alu instid0(VALU_DEP_4) | instskip(NEXT) | instid1(VALU_DEP_4)
	v_dual_fmac_f32 v239, v207, v150 :: v_dual_fmac_f32 v242, v213, v156
	v_add_f32_e32 v2, v2, v3
	v_mul_f32_e32 v3, v183, v27
	v_fmac_f32_e32 v241, v211, v154
	v_dual_fmac_f32 v243, v215, v158 :: v_dual_fmac_f32 v232, v193, v136
	s_delay_alu instid0(VALU_DEP_4) | instskip(SKIP_4) | instid1(VALU_DEP_4)
	v_add_f32_e32 v2, v2, v5
	v_add_f32_e32 v1, v1, v221
	v_fma_f32 v3, v182, v26, -v3
	v_fmac_f32_e32 v234, v197, v140
	v_fmac_f32_e32 v238, v205, v148
	v_dual_add_f32 v2, v2, v4 :: v_dual_add_f32 v1, v1, v222
	v_mul_f32_e32 v4, v187, v131
	v_fmac_f32_e32 v225, v179, v20
	v_fmac_f32_e32 v240, v209, v152
	s_delay_alu instid0(VALU_DEP_4) | instskip(NEXT) | instid1(VALU_DEP_4)
	v_dual_add_f32 v2, v2, v3 :: v_dual_mul_f32 v3, v189, v133
	v_fma_f32 v4, v186, v130, -v4
	v_mul_f32_e32 v5, v185, v129
	s_delay_alu instid0(VALU_DEP_3) | instskip(NEXT) | instid1(VALU_DEP_2)
	v_fma_f32 v3, v188, v132, -v3
	v_fma_f32 v5, v184, v128, -v5
	s_delay_alu instid0(VALU_DEP_1) | instskip(NEXT) | instid1(VALU_DEP_1)
	v_dual_add_f32 v1, v1, v223 :: v_dual_add_f32 v2, v2, v5
	v_dual_mul_f32 v5, v191, v135 :: v_dual_add_f32 v2, v2, v4
	s_delay_alu instid0(VALU_DEP_2) | instskip(SKIP_1) | instid1(VALU_DEP_3)
	v_add_f32_e32 v1, v1, v224
	v_mul_f32_e32 v4, v193, v137
	v_fma_f32 v5, v190, v134, -v5
	s_delay_alu instid0(VALU_DEP_4) | instskip(SKIP_1) | instid1(VALU_DEP_4)
	v_dual_add_f32 v2, v2, v3 :: v_dual_fmac_f32 v231, v191, v134
	v_mul_f32_e32 v3, v195, v139
	v_fma_f32 v4, v192, v136, -v4
	s_delay_alu instid0(VALU_DEP_3) | instskip(SKIP_1) | instid1(VALU_DEP_4)
	v_add_f32_e32 v2, v2, v5
	v_add_f32_e32 v1, v1, v225
	v_fma_f32 v3, v194, v138, -v3
	s_delay_alu instid0(VALU_DEP_3) | instskip(NEXT) | instid1(VALU_DEP_3)
	v_dual_add_f32 v2, v2, v4 :: v_dual_mul_f32 v5, v197, v141
	v_dual_add_f32 v1, v1, v226 :: v_dual_mul_f32 v4, v199, v143
	s_delay_alu instid0(VALU_DEP_2) | instskip(NEXT) | instid1(VALU_DEP_3)
	v_add_f32_e32 v2, v2, v3
	v_fma_f32 v5, v196, v140, -v5
	s_delay_alu instid0(VALU_DEP_3) | instskip(SKIP_2) | instid1(VALU_DEP_4)
	v_add_f32_e32 v1, v1, v227
	v_mul_f32_e32 v3, v201, v145
	v_fma_f32 v4, v198, v142, -v4
	v_dual_add_f32 v2, v2, v5 :: v_dual_mul_f32 v5, v203, v147
	s_delay_alu instid0(VALU_DEP_3) | instskip(NEXT) | instid1(VALU_DEP_2)
	v_fma_f32 v3, v200, v144, -v3
	v_add_f32_e32 v2, v2, v4
	v_add_f32_e32 v1, v1, v228
	v_mul_f32_e32 v4, v205, v149
	v_fma_f32 v5, v202, v146, -v5
	s_delay_alu instid0(VALU_DEP_4) | instskip(SKIP_1) | instid1(VALU_DEP_4)
	v_dual_add_f32 v2, v2, v3 :: v_dual_fmac_f32 v237, v203, v146
	v_mul_f32_e32 v3, v207, v151
	v_fma_f32 v4, v204, v148, -v4
	s_delay_alu instid0(VALU_DEP_3) | instskip(SKIP_1) | instid1(VALU_DEP_4)
	v_add_f32_e32 v2, v2, v5
	v_add_f32_e32 v1, v1, v229
	v_fma_f32 v3, v206, v150, -v3
	s_delay_alu instid0(VALU_DEP_3) | instskip(NEXT) | instid1(VALU_DEP_3)
	v_dual_add_f32 v2, v2, v4 :: v_dual_mul_f32 v5, v209, v153
	v_dual_add_f32 v1, v1, v230 :: v_dual_mul_f32 v4, v211, v155
	s_delay_alu instid0(VALU_DEP_2) | instskip(NEXT) | instid1(VALU_DEP_3)
	v_add_f32_e32 v2, v2, v3
	v_fma_f32 v5, v208, v152, -v5
	s_delay_alu instid0(VALU_DEP_3) | instskip(SKIP_2) | instid1(VALU_DEP_4)
	v_add_f32_e32 v1, v1, v231
	v_mul_f32_e32 v3, v213, v157
	v_fma_f32 v4, v210, v154, -v4
	v_dual_add_f32 v2, v2, v5 :: v_dual_mul_f32 v5, v215, v159
	s_delay_alu instid0(VALU_DEP_3) | instskip(NEXT) | instid1(VALU_DEP_2)
	v_fma_f32 v3, v212, v156, -v3
	v_add_f32_e32 v2, v2, v4
	v_add_f32_e32 v1, v1, v232
	s_delay_alu instid0(VALU_DEP_4) | instskip(NEXT) | instid1(VALU_DEP_2)
	v_fma_f32 v4, v214, v158, -v5
	v_dual_add_f32 v2, v2, v3 :: v_dual_add_f32 v1, v1, v233
	s_delay_alu instid0(VALU_DEP_1) | instskip(NEXT) | instid1(VALU_DEP_1)
	v_dual_add_f32 v2, v2, v4 :: v_dual_add_f32 v1, v1, v234
	v_add_f32_e32 v1, v1, v235
	s_delay_alu instid0(VALU_DEP_1) | instskip(NEXT) | instid1(VALU_DEP_1)
	v_add_f32_e32 v1, v1, v236
	v_add_f32_e32 v1, v1, v237
	s_delay_alu instid0(VALU_DEP_1) | instskip(NEXT) | instid1(VALU_DEP_1)
	v_add_f32_e32 v1, v1, v238
	;; [unrolled: 3-line block ×4, first 2 shown]
	v_add_f32_e32 v3, v1, v243
	s_wait_loadcnt 0x0
	s_delay_alu instid0(VALU_DEP_1)
	v_dual_sub_f32 v1, v216, v2 :: v_dual_sub_f32 v2, v217, v3
	scratch_store_b64 off, v[1:2], off offset:168
	v_cmpx_lt_u32_e32 20, v0
	s_cbranch_execz .LBB49_273
; %bb.272:
	scratch_load_b64 v[1:2], off, off offset:160
	v_mov_b32_e32 v3, 0
	s_delay_alu instid0(VALU_DEP_1)
	v_mov_b32_e32 v4, v3
	scratch_store_b64 off, v[3:4], off offset:160
	s_wait_loadcnt 0x0
	ds_store_b64 v23, v[1:2]
.LBB49_273:
	s_wait_alu 0xfffe
	s_or_b32 exec_lo, exec_lo, s0
	s_wait_storecnt_dscnt 0x0
	s_barrier_signal -1
	s_barrier_wait -1
	global_inv scope:SCOPE_SE
	s_clause 0xf
	scratch_load_b128 v[2:5], off, off offset:168
	scratch_load_b128 v[6:9], off, off offset:184
	;; [unrolled: 1-line block ×14, first 2 shown]
	scratch_load_b64 v[216:217], off, off offset:392
	scratch_load_b64 v[218:219], off, off offset:160
	v_mov_b32_e32 v1, 0
	ds_load_2addr_b64 v[160:163], v1 offset0:71 offset1:72
	ds_load_2addr_b64 v[164:167], v1 offset0:73 offset1:74
	;; [unrolled: 1-line block ×14, first 2 shown]
	ds_load_b64 v[220:221], v1 offset:792
	s_mov_b32 s0, exec_lo
	s_wait_loadcnt_dscnt 0xf0e
	v_mul_f32_e32 v22, v160, v3
	v_dual_mul_f32 v3, v161, v3 :: v_dual_mul_f32 v222, v162, v5
	s_wait_loadcnt_dscnt 0xb0a
	v_dual_mul_f32 v223, v164, v7 :: v_dual_mul_f32 v230, v178, v21
	v_mul_f32_e32 v5, v163, v5
	s_delay_alu instid0(VALU_DEP_3)
	v_fma_f32 v3, v160, v2, -v3
	v_dual_mul_f32 v224, v166, v9 :: v_dual_mul_f32 v225, v168, v11
	v_fmac_f32_e32 v222, v163, v4
	v_fmac_f32_e32 v22, v161, v2
	v_mul_f32_e32 v2, v165, v7
	v_fma_f32 v4, v162, v4, -v5
	v_add_f32_e32 v3, 0, v3
	s_wait_loadcnt_dscnt 0x100
	v_mul_f32_e32 v249, v220, v217
	v_dual_add_f32 v5, 0, v22 :: v_dual_fmac_f32 v224, v167, v8
	v_mul_f32_e32 v7, v167, v9
	v_fma_f32 v2, v164, v6, -v2
	v_add_f32_e32 v3, v3, v4
	v_fmac_f32_e32 v223, v165, v6
	v_add_f32_e32 v4, v5, v222
	v_mul_f32_e32 v5, v169, v11
	v_fma_f32 v6, v166, v8, -v7
	v_add_f32_e32 v2, v3, v2
	v_dual_mul_f32 v226, v170, v13 :: v_dual_mul_f32 v227, v172, v15
	v_dual_add_f32 v3, v4, v223 :: v_dual_mul_f32 v4, v171, v13
	v_fma_f32 v5, v168, v10, -v5
	s_delay_alu instid0(VALU_DEP_4)
	v_add_f32_e32 v2, v2, v6
	v_fmac_f32_e32 v225, v169, v10
	v_mul_f32_e32 v6, v173, v15
	v_fmac_f32_e32 v226, v171, v12
	v_add_f32_e32 v3, v3, v224
	v_fma_f32 v4, v170, v12, -v4
	v_add_f32_e32 v2, v2, v5
	v_dual_mul_f32 v228, v174, v17 :: v_dual_mul_f32 v229, v176, v19
	s_delay_alu instid0(VALU_DEP_4)
	v_add_f32_e32 v3, v3, v225
	v_mul_f32_e32 v5, v175, v17
	v_fma_f32 v6, v172, v14, -v6
	v_dual_add_f32 v2, v2, v4 :: v_dual_fmac_f32 v227, v173, v14
	v_fmac_f32_e32 v228, v175, v16
	v_mul_f32_e32 v4, v177, v19
	v_fma_f32 v5, v174, v16, -v5
	s_delay_alu instid0(VALU_DEP_4) | instskip(SKIP_3) | instid1(VALU_DEP_3)
	v_add_f32_e32 v2, v2, v6
	v_add_f32_e32 v3, v3, v226
	v_dual_mul_f32 v6, v179, v21 :: v_dual_fmac_f32 v229, v177, v18
	v_fma_f32 v4, v176, v18, -v4
	v_dual_add_f32 v2, v2, v5 :: v_dual_add_f32 v3, v3, v227
	s_delay_alu instid0(VALU_DEP_3) | instskip(SKIP_1) | instid1(VALU_DEP_3)
	v_fma_f32 v6, v178, v20, -v6
	v_dual_mul_f32 v231, v180, v25 :: v_dual_mul_f32 v232, v182, v27
	v_add_f32_e32 v2, v2, v4
	s_delay_alu instid0(VALU_DEP_4) | instskip(SKIP_1) | instid1(VALU_DEP_4)
	v_add_f32_e32 v3, v3, v228
	v_dual_mul_f32 v5, v181, v25 :: v_dual_fmac_f32 v230, v179, v20
	v_dual_mul_f32 v4, v183, v27 :: v_dual_fmac_f32 v231, v181, v24
	s_delay_alu instid0(VALU_DEP_3) | instskip(NEXT) | instid1(VALU_DEP_3)
	v_dual_add_f32 v2, v2, v6 :: v_dual_add_f32 v3, v3, v229
	v_fma_f32 v5, v180, v24, -v5
	v_dual_mul_f32 v233, v184, v129 :: v_dual_mul_f32 v234, v186, v131
	s_delay_alu instid0(VALU_DEP_3) | instskip(NEXT) | instid1(VALU_DEP_2)
	v_dual_mul_f32 v6, v185, v129 :: v_dual_add_f32 v3, v3, v230
	v_dual_fmac_f32 v232, v183, v26 :: v_dual_fmac_f32 v233, v185, v128
	v_fma_f32 v4, v182, v26, -v4
	s_delay_alu instid0(VALU_DEP_3) | instskip(SKIP_3) | instid1(VALU_DEP_4)
	v_dual_add_f32 v2, v2, v5 :: v_dual_add_f32 v3, v3, v231
	v_mul_f32_e32 v5, v187, v131
	v_fma_f32 v6, v184, v128, -v6
	v_dual_mul_f32 v235, v188, v133 :: v_dual_mul_f32 v236, v190, v135
	v_add_f32_e32 v2, v2, v4
	v_dual_add_f32 v3, v3, v232 :: v_dual_mul_f32 v4, v189, v133
	s_delay_alu instid0(VALU_DEP_3) | instskip(SKIP_1) | instid1(VALU_DEP_3)
	v_dual_fmac_f32 v234, v187, v130 :: v_dual_fmac_f32 v235, v189, v132
	v_fma_f32 v5, v186, v130, -v5
	v_dual_add_f32 v2, v2, v6 :: v_dual_add_f32 v3, v3, v233
	v_mul_f32_e32 v6, v191, v135
	v_fma_f32 v4, v188, v132, -v4
	v_dual_mul_f32 v237, v192, v137 :: v_dual_mul_f32 v238, v194, v139
	s_delay_alu instid0(VALU_DEP_4) | instskip(SKIP_1) | instid1(VALU_DEP_3)
	v_dual_add_f32 v2, v2, v5 :: v_dual_add_f32 v3, v3, v234
	v_dual_mul_f32 v5, v193, v137 :: v_dual_fmac_f32 v236, v191, v134
	v_fmac_f32_e32 v237, v193, v136
	v_fma_f32 v6, v190, v134, -v6
	s_delay_alu instid0(VALU_DEP_4) | instskip(SKIP_2) | instid1(VALU_DEP_2)
	v_dual_add_f32 v2, v2, v4 :: v_dual_add_f32 v3, v3, v235
	v_dual_mul_f32 v239, v196, v141 :: v_dual_mul_f32 v240, v198, v143
	v_dual_mul_f32 v241, v200, v145 :: v_dual_mul_f32 v242, v202, v147
	v_dual_mul_f32 v4, v195, v139 :: v_dual_fmac_f32 v239, v197, v140
	v_fma_f32 v5, v192, v136, -v5
	v_dual_add_f32 v2, v2, v6 :: v_dual_add_f32 v3, v3, v236
	v_mul_f32_e32 v6, v197, v141
	v_dual_fmac_f32 v238, v195, v138 :: v_dual_fmac_f32 v241, v201, v144
	v_fma_f32 v4, v194, v138, -v4
	s_delay_alu instid0(VALU_DEP_4) | instskip(SKIP_3) | instid1(VALU_DEP_3)
	v_add_f32_e32 v3, v3, v237
	v_dual_add_f32 v2, v2, v5 :: v_dual_mul_f32 v5, v199, v143
	v_fma_f32 v6, v196, v140, -v6
	v_dual_mul_f32 v245, v208, v153 :: v_dual_mul_f32 v246, v210, v155
	v_dual_add_f32 v3, v3, v238 :: v_dual_add_f32 v2, v2, v4
	v_mul_f32_e32 v4, v201, v145
	v_fmac_f32_e32 v240, v199, v142
	v_fma_f32 v5, v198, v142, -v5
	s_delay_alu instid0(VALU_DEP_4) | instskip(SKIP_3) | instid1(VALU_DEP_4)
	v_dual_add_f32 v3, v3, v239 :: v_dual_add_f32 v2, v2, v6
	v_dual_mul_f32 v243, v204, v149 :: v_dual_mul_f32 v244, v206, v151
	v_mul_f32_e32 v6, v203, v147
	v_dual_fmac_f32 v242, v203, v146 :: v_dual_fmac_f32 v245, v209, v152
	v_add_f32_e32 v2, v2, v5
	v_mul_f32_e32 v5, v205, v149
	v_add_f32_e32 v3, v3, v240
	v_fma_f32 v4, v200, v144, -v4
	v_fmac_f32_e32 v243, v205, v148
	v_fma_f32 v6, v202, v146, -v6
	v_dual_mul_f32 v247, v212, v157 :: v_dual_mul_f32 v248, v214, v159
	v_add_f32_e32 v3, v3, v241
	v_fma_f32 v5, v204, v148, -v5
	s_delay_alu instid0(VALU_DEP_3) | instskip(NEXT) | instid1(VALU_DEP_4)
	v_dual_fmac_f32 v244, v207, v150 :: v_dual_fmac_f32 v247, v213, v156
	v_fmac_f32_e32 v248, v215, v158
	s_delay_alu instid0(VALU_DEP_4) | instskip(SKIP_2) | instid1(VALU_DEP_3)
	v_dual_add_f32 v3, v3, v242 :: v_dual_add_f32 v2, v2, v4
	v_mul_f32_e32 v4, v207, v151
	v_dual_fmac_f32 v246, v211, v154 :: v_dual_fmac_f32 v249, v221, v216
	v_dual_add_f32 v3, v3, v243 :: v_dual_add_f32 v2, v2, v6
	v_mul_f32_e32 v6, v209, v153
	s_delay_alu instid0(VALU_DEP_4) | instskip(NEXT) | instid1(VALU_DEP_3)
	v_fma_f32 v4, v206, v150, -v4
	v_dual_add_f32 v2, v2, v5 :: v_dual_mul_f32 v5, v211, v155
	s_delay_alu instid0(VALU_DEP_3) | instskip(NEXT) | instid1(VALU_DEP_2)
	v_fma_f32 v6, v208, v152, -v6
	v_add_f32_e32 v2, v2, v4
	s_delay_alu instid0(VALU_DEP_3) | instskip(NEXT) | instid1(VALU_DEP_2)
	v_fma_f32 v5, v210, v154, -v5
	v_add_f32_e32 v2, v2, v6
	v_mul_f32_e32 v6, v215, v159
	s_delay_alu instid0(VALU_DEP_2) | instskip(SKIP_2) | instid1(VALU_DEP_4)
	v_add_f32_e32 v2, v2, v5
	v_mul_f32_e32 v5, v221, v217
	v_add_f32_e32 v3, v3, v244
	v_fma_f32 v6, v214, v158, -v6
	s_delay_alu instid0(VALU_DEP_2) | instskip(NEXT) | instid1(VALU_DEP_1)
	v_add_f32_e32 v3, v3, v245
	v_dual_mul_f32 v4, v213, v157 :: v_dual_add_f32 v3, v3, v246
	s_delay_alu instid0(VALU_DEP_1) | instskip(NEXT) | instid1(VALU_DEP_2)
	v_fma_f32 v4, v212, v156, -v4
	v_add_f32_e32 v3, v3, v247
	s_delay_alu instid0(VALU_DEP_1) | instskip(NEXT) | instid1(VALU_DEP_3)
	v_add_f32_e32 v3, v3, v248
	v_add_f32_e32 v2, v2, v4
	v_fma_f32 v4, v220, v216, -v5
	s_delay_alu instid0(VALU_DEP_2) | instskip(SKIP_1) | instid1(VALU_DEP_1)
	v_dual_add_f32 v3, v3, v249 :: v_dual_add_f32 v2, v2, v6
	s_wait_loadcnt 0x0
	v_dual_sub_f32 v3, v219, v3 :: v_dual_add_f32 v2, v2, v4
	s_delay_alu instid0(VALU_DEP_1)
	v_sub_f32_e32 v2, v218, v2
	scratch_store_b64 off, v[2:3], off offset:160
	v_cmpx_lt_u32_e32 19, v0
	s_cbranch_execz .LBB49_275
; %bb.274:
	scratch_load_b64 v[3:4], off, off offset:152
	v_mov_b32_e32 v2, v1
	scratch_store_b64 off, v[1:2], off offset:152
	s_wait_loadcnt 0x0
	ds_store_b64 v23, v[3:4]
.LBB49_275:
	s_wait_alu 0xfffe
	s_or_b32 exec_lo, exec_lo, s0
	s_wait_storecnt_dscnt 0x0
	s_barrier_signal -1
	s_barrier_wait -1
	global_inv scope:SCOPE_SE
	s_clause 0xf
	scratch_load_b128 v[2:5], off, off offset:160
	scratch_load_b128 v[6:9], off, off offset:176
	;; [unrolled: 1-line block ×15, first 2 shown]
	scratch_load_b64 v[224:225], off, off offset:152
	ds_load_b128 v[164:167], v1 offset:560
	ds_load_b128 v[168:171], v1 offset:576
	;; [unrolled: 1-line block ×15, first 2 shown]
	s_mov_b32 s0, exec_lo
	s_wait_loadcnt_dscnt 0xf0e
	v_dual_mul_f32 v1, v164, v3 :: v_dual_mul_f32 v22, v166, v5
	s_wait_loadcnt_dscnt 0xe0d
	v_dual_mul_f32 v5, v167, v5 :: v_dual_mul_f32 v226, v168, v7
	v_mul_f32_e32 v227, v170, v9
	s_wait_loadcnt_dscnt 0xd0c
	v_dual_fmac_f32 v1, v165, v2 :: v_dual_mul_f32 v228, v172, v11
	s_wait_loadcnt_dscnt 0xc0b
	v_dual_mul_f32 v229, v174, v13 :: v_dual_mul_f32 v230, v176, v15
	v_mul_f32_e32 v231, v178, v17
	v_dual_mul_f32 v3, v165, v3 :: v_dual_fmac_f32 v22, v167, v4
	s_wait_loadcnt_dscnt 0xb0a
	v_dual_mul_f32 v232, v180, v19 :: v_dual_mul_f32 v233, v182, v21
	s_wait_loadcnt_dscnt 0x201
	v_mul_f32_e32 v250, v216, v157
	v_fma_f32 v3, v164, v2, -v3
	s_wait_loadcnt_dscnt 0x100
	v_mul_f32_e32 v253, v222, v163
	v_mul_f32_e32 v2, v169, v7
	v_fma_f32 v4, v166, v4, -v5
	v_dual_mul_f32 v5, v171, v9 :: v_dual_fmac_f32 v228, v173, v10
	v_dual_add_f32 v3, 0, v3 :: v_dual_fmac_f32 v226, v169, v6
	s_delay_alu instid0(VALU_DEP_4) | instskip(NEXT) | instid1(VALU_DEP_3)
	v_fma_f32 v2, v168, v6, -v2
	v_fma_f32 v5, v170, v8, -v5
	s_delay_alu instid0(VALU_DEP_3) | instskip(SKIP_2) | instid1(VALU_DEP_3)
	v_dual_fmac_f32 v230, v177, v14 :: v_dual_add_f32 v3, v3, v4
	v_dual_mul_f32 v234, v184, v25 :: v_dual_mul_f32 v235, v186, v27
	v_dual_fmac_f32 v232, v181, v18 :: v_dual_fmac_f32 v231, v179, v16
	v_add_f32_e32 v2, v3, v2
	v_mul_f32_e32 v3, v175, v13
	v_dual_mul_f32 v236, v188, v129 :: v_dual_mul_f32 v237, v190, v131
	v_mul_f32_e32 v4, v173, v11
	s_delay_alu instid0(VALU_DEP_4) | instskip(SKIP_4) | instid1(VALU_DEP_4)
	v_add_f32_e32 v2, v2, v5
	v_add_f32_e32 v1, 0, v1
	v_fma_f32 v3, v174, v12, -v3
	v_dual_mul_f32 v240, v196, v137 :: v_dual_mul_f32 v241, v198, v139
	v_fma_f32 v4, v172, v10, -v4
	v_dual_add_f32 v1, v1, v22 :: v_dual_mul_f32 v238, v192, v133
	v_mul_f32_e32 v239, v194, v135
	s_delay_alu instid0(VALU_DEP_3) | instskip(NEXT) | instid1(VALU_DEP_3)
	v_dual_fmac_f32 v237, v191, v130 :: v_dual_add_f32 v2, v2, v4
	v_dual_add_f32 v1, v1, v226 :: v_dual_mul_f32 v4, v179, v17
	v_dual_fmac_f32 v227, v171, v8 :: v_dual_mul_f32 v242, v200, v141
	v_mul_f32_e32 v243, v202, v143
	s_delay_alu instid0(VALU_DEP_4) | instskip(NEXT) | instid1(VALU_DEP_4)
	v_add_f32_e32 v2, v2, v3
	v_fma_f32 v4, v178, v16, -v4
	v_mul_f32_e32 v5, v177, v15
	v_add_f32_e32 v1, v1, v227
	v_dual_fmac_f32 v235, v187, v26 :: v_dual_fmac_f32 v238, v193, v132
	v_dual_mul_f32 v246, v208, v149 :: v_dual_mul_f32 v247, v210, v151
	s_delay_alu instid0(VALU_DEP_4) | instskip(SKIP_3) | instid1(VALU_DEP_4)
	v_fma_f32 v5, v176, v14, -v5
	v_fmac_f32_e32 v229, v175, v12
	v_fmac_f32_e32 v234, v185, v24
	v_dual_mul_f32 v244, v204, v145 :: v_dual_mul_f32 v245, v206, v147
	v_add_f32_e32 v2, v2, v5
	v_mul_f32_e32 v5, v183, v21
	v_dual_fmac_f32 v243, v203, v142 :: v_dual_mul_f32 v248, v212, v153
	v_mul_f32_e32 v249, v214, v155
	s_delay_alu instid0(VALU_DEP_4) | instskip(NEXT) | instid1(VALU_DEP_4)
	v_add_f32_e32 v2, v2, v4
	v_fma_f32 v5, v182, v20, -v5
	v_mul_f32_e32 v3, v181, v19
	v_mul_f32_e32 v4, v185, v25
	v_dual_fmac_f32 v236, v189, v128 :: v_dual_mul_f32 v251, v218, v159
	v_mul_f32_e32 v252, v220, v161
	s_delay_alu instid0(VALU_DEP_4) | instskip(SKIP_3) | instid1(VALU_DEP_4)
	v_fma_f32 v3, v180, v18, -v3
	v_add_f32_e32 v1, v1, v228
	v_fma_f32 v4, v184, v24, -v4
	v_dual_fmac_f32 v241, v199, v138 :: v_dual_fmac_f32 v244, v205, v144
	v_add_f32_e32 v2, v2, v3
	v_mul_f32_e32 v3, v187, v27
	v_fmac_f32_e32 v249, v215, v154
	v_dual_fmac_f32 v247, v211, v150 :: v_dual_fmac_f32 v250, v217, v156
	s_delay_alu instid0(VALU_DEP_4) | instskip(SKIP_3) | instid1(VALU_DEP_3)
	v_add_f32_e32 v2, v2, v5
	v_add_f32_e32 v1, v1, v229
	v_fma_f32 v3, v186, v26, -v3
	v_dual_fmac_f32 v253, v223, v162 :: v_dual_fmac_f32 v240, v197, v136
	v_dual_add_f32 v2, v2, v4 :: v_dual_add_f32 v1, v1, v230
	v_mul_f32_e32 v4, v191, v131
	v_fmac_f32_e32 v233, v183, v20
	v_fmac_f32_e32 v242, v201, v140
	s_delay_alu instid0(VALU_DEP_4) | instskip(NEXT) | instid1(VALU_DEP_4)
	v_dual_add_f32 v2, v2, v3 :: v_dual_mul_f32 v3, v193, v133
	v_fma_f32 v4, v190, v130, -v4
	v_mul_f32_e32 v5, v189, v129
	v_fmac_f32_e32 v246, v209, v148
	v_fmac_f32_e32 v248, v213, v152
	v_fma_f32 v3, v192, v132, -v3
	v_fmac_f32_e32 v252, v221, v160
	v_fma_f32 v5, v188, v128, -v5
	s_delay_alu instid0(VALU_DEP_1) | instskip(NEXT) | instid1(VALU_DEP_1)
	v_dual_add_f32 v1, v1, v231 :: v_dual_add_f32 v2, v2, v5
	v_dual_mul_f32 v5, v195, v135 :: v_dual_add_f32 v2, v2, v4
	s_delay_alu instid0(VALU_DEP_2) | instskip(SKIP_1) | instid1(VALU_DEP_3)
	v_add_f32_e32 v1, v1, v232
	v_mul_f32_e32 v4, v197, v137
	v_fma_f32 v5, v194, v134, -v5
	s_delay_alu instid0(VALU_DEP_4) | instskip(SKIP_1) | instid1(VALU_DEP_4)
	v_dual_add_f32 v2, v2, v3 :: v_dual_fmac_f32 v239, v195, v134
	v_mul_f32_e32 v3, v199, v139
	v_fma_f32 v4, v196, v136, -v4
	s_delay_alu instid0(VALU_DEP_3) | instskip(SKIP_1) | instid1(VALU_DEP_4)
	v_add_f32_e32 v2, v2, v5
	v_add_f32_e32 v1, v1, v233
	v_fma_f32 v3, v198, v138, -v3
	s_delay_alu instid0(VALU_DEP_3) | instskip(NEXT) | instid1(VALU_DEP_3)
	v_dual_add_f32 v2, v2, v4 :: v_dual_mul_f32 v5, v201, v141
	v_dual_add_f32 v1, v1, v234 :: v_dual_mul_f32 v4, v203, v143
	s_delay_alu instid0(VALU_DEP_2) | instskip(NEXT) | instid1(VALU_DEP_3)
	v_add_f32_e32 v2, v2, v3
	v_fma_f32 v5, v200, v140, -v5
	s_delay_alu instid0(VALU_DEP_3) | instskip(SKIP_2) | instid1(VALU_DEP_4)
	v_add_f32_e32 v1, v1, v235
	v_mul_f32_e32 v3, v205, v145
	v_fma_f32 v4, v202, v142, -v4
	v_dual_add_f32 v2, v2, v5 :: v_dual_mul_f32 v5, v207, v147
	s_delay_alu instid0(VALU_DEP_3) | instskip(NEXT) | instid1(VALU_DEP_2)
	v_fma_f32 v3, v204, v144, -v3
	v_add_f32_e32 v2, v2, v4
	v_add_f32_e32 v1, v1, v236
	v_mul_f32_e32 v4, v209, v149
	v_fma_f32 v5, v206, v146, -v5
	s_delay_alu instid0(VALU_DEP_4) | instskip(SKIP_1) | instid1(VALU_DEP_4)
	v_dual_add_f32 v2, v2, v3 :: v_dual_fmac_f32 v245, v207, v146
	v_mul_f32_e32 v3, v211, v151
	v_fma_f32 v4, v208, v148, -v4
	s_delay_alu instid0(VALU_DEP_3) | instskip(SKIP_1) | instid1(VALU_DEP_4)
	v_add_f32_e32 v2, v2, v5
	v_add_f32_e32 v1, v1, v237
	v_fma_f32 v3, v210, v150, -v3
	s_delay_alu instid0(VALU_DEP_3) | instskip(NEXT) | instid1(VALU_DEP_3)
	v_dual_add_f32 v2, v2, v4 :: v_dual_mul_f32 v5, v213, v153
	v_dual_add_f32 v1, v1, v238 :: v_dual_mul_f32 v4, v215, v155
	s_delay_alu instid0(VALU_DEP_2) | instskip(NEXT) | instid1(VALU_DEP_3)
	v_add_f32_e32 v2, v2, v3
	v_fma_f32 v5, v212, v152, -v5
	s_delay_alu instid0(VALU_DEP_3) | instskip(SKIP_2) | instid1(VALU_DEP_4)
	v_add_f32_e32 v1, v1, v239
	v_mul_f32_e32 v3, v217, v157
	v_fma_f32 v4, v214, v154, -v4
	v_dual_add_f32 v2, v2, v5 :: v_dual_mul_f32 v5, v219, v159
	s_delay_alu instid0(VALU_DEP_3) | instskip(NEXT) | instid1(VALU_DEP_2)
	v_fma_f32 v3, v216, v156, -v3
	v_add_f32_e32 v2, v2, v4
	v_add_f32_e32 v1, v1, v240
	v_mul_f32_e32 v4, v221, v161
	v_fma_f32 v5, v218, v158, -v5
	s_delay_alu instid0(VALU_DEP_4) | instskip(SKIP_1) | instid1(VALU_DEP_4)
	v_dual_add_f32 v2, v2, v3 :: v_dual_fmac_f32 v251, v219, v158
	v_mul_f32_e32 v3, v223, v163
	v_fma_f32 v4, v220, v160, -v4
	s_delay_alu instid0(VALU_DEP_3) | instskip(SKIP_1) | instid1(VALU_DEP_4)
	v_add_f32_e32 v2, v2, v5
	v_add_f32_e32 v1, v1, v241
	v_fma_f32 v3, v222, v162, -v3
	s_delay_alu instid0(VALU_DEP_2) | instskip(NEXT) | instid1(VALU_DEP_1)
	v_dual_add_f32 v2, v2, v4 :: v_dual_add_f32 v1, v1, v242
	v_add_f32_e32 v2, v2, v3
	s_delay_alu instid0(VALU_DEP_2) | instskip(NEXT) | instid1(VALU_DEP_1)
	v_add_f32_e32 v1, v1, v243
	v_add_f32_e32 v1, v1, v244
	s_delay_alu instid0(VALU_DEP_1) | instskip(NEXT) | instid1(VALU_DEP_1)
	v_add_f32_e32 v1, v1, v245
	v_add_f32_e32 v1, v1, v246
	s_delay_alu instid0(VALU_DEP_1) | instskip(NEXT) | instid1(VALU_DEP_1)
	;; [unrolled: 3-line block ×4, first 2 shown]
	v_add_f32_e32 v1, v1, v251
	v_add_f32_e32 v1, v1, v252
	s_delay_alu instid0(VALU_DEP_1) | instskip(SKIP_1) | instid1(VALU_DEP_1)
	v_add_f32_e32 v3, v1, v253
	s_wait_loadcnt 0x0
	v_dual_sub_f32 v1, v224, v2 :: v_dual_sub_f32 v2, v225, v3
	scratch_store_b64 off, v[1:2], off offset:152
	v_cmpx_lt_u32_e32 18, v0
	s_cbranch_execz .LBB49_277
; %bb.276:
	scratch_load_b64 v[1:2], off, off offset:144
	v_mov_b32_e32 v3, 0
	s_delay_alu instid0(VALU_DEP_1)
	v_mov_b32_e32 v4, v3
	scratch_store_b64 off, v[3:4], off offset:144
	s_wait_loadcnt 0x0
	ds_store_b64 v23, v[1:2]
.LBB49_277:
	s_wait_alu 0xfffe
	s_or_b32 exec_lo, exec_lo, s0
	s_wait_storecnt_dscnt 0x0
	s_barrier_signal -1
	s_barrier_wait -1
	global_inv scope:SCOPE_SE
	s_clause 0x4
	scratch_load_b128 v[5:8], off, off offset:152
	scratch_load_b128 v[1:4], off, off offset:168
	;; [unrolled: 1-line block ×5, first 2 shown]
	v_mov_b32_e32 v21, 0
	ds_load_2addr_b64 v[24:27], v21 offset0:69 offset1:70
	ds_load_2addr_b64 v[128:131], v21 offset0:71 offset1:72
	;; [unrolled: 1-line block ×3, first 2 shown]
	scratch_load_b64 v[136:137], off, off offset:144
	s_mov_b32 s0, exec_lo
	s_wait_loadcnt_dscnt 0x502
	v_mul_f32_e32 v22, v25, v6
	v_dual_mul_f32 v138, v24, v6 :: v_dual_mul_f32 v139, v26, v8
	v_mul_f32_e32 v6, v27, v8
	s_delay_alu instid0(VALU_DEP_3) | instskip(NEXT) | instid1(VALU_DEP_3)
	v_fma_f32 v22, v24, v5, -v22
	v_dual_fmac_f32 v138, v25, v5 :: v_dual_fmac_f32 v139, v27, v7
	s_wait_loadcnt_dscnt 0x401
	v_mul_f32_e32 v25, v128, v2
	v_fma_f32 v24, v26, v7, -v6
	ds_load_2addr_b64 v[5:8], v21 offset0:75 offset1:76
	s_wait_loadcnt_dscnt 0x301
	v_dual_mul_f32 v26, v130, v4 :: v_dual_mul_f32 v27, v132, v10
	v_dual_mul_f32 v4, v131, v4 :: v_dual_fmac_f32 v25, v129, v1
	v_mul_f32_e32 v10, v133, v10
	s_delay_alu instid0(VALU_DEP_3)
	v_dual_mul_f32 v140, v134, v12 :: v_dual_fmac_f32 v27, v133, v9
	v_mul_f32_e32 v12, v135, v12
	v_mul_f32_e32 v2, v129, v2
	v_fmac_f32_e32 v26, v131, v3
	v_fma_f32 v129, v130, v3, -v4
	v_fma_f32 v130, v132, v9, -v10
	v_fmac_f32_e32 v140, v135, v11
	v_fma_f32 v131, v134, v11, -v12
	ds_load_2addr_b64 v[9:12], v21 offset0:77 offset1:78
	s_wait_loadcnt_dscnt 0x201
	v_mul_f32_e32 v133, v7, v16
	v_fma_f32 v128, v128, v1, -v2
	scratch_load_b128 v[1:4], off, off offset:232
	v_mul_f32_e32 v132, v5, v14
	v_mul_f32_e32 v14, v6, v14
	;; [unrolled: 1-line block ×3, first 2 shown]
	s_delay_alu instid0(VALU_DEP_3) | instskip(NEXT) | instid1(VALU_DEP_3)
	v_dual_fmac_f32 v133, v8, v15 :: v_dual_fmac_f32 v132, v6, v13
	v_fma_f32 v13, v5, v13, -v14
	s_delay_alu instid0(VALU_DEP_3)
	v_fma_f32 v14, v7, v15, -v16
	ds_load_2addr_b64 v[5:8], v21 offset0:79 offset1:80
	s_wait_loadcnt_dscnt 0x201
	v_mul_f32_e32 v15, v9, v18
	v_mul_f32_e32 v16, v10, v18
	;; [unrolled: 1-line block ×3, first 2 shown]
	s_delay_alu instid0(VALU_DEP_3) | instskip(NEXT) | instid1(VALU_DEP_3)
	v_dual_mul_f32 v20, v12, v20 :: v_dual_fmac_f32 v15, v10, v17
	v_fma_f32 v16, v9, v17, -v16
	s_delay_alu instid0(VALU_DEP_3) | instskip(NEXT) | instid1(VALU_DEP_3)
	v_fmac_f32_e32 v18, v12, v19
	v_fma_f32 v17, v11, v19, -v20
	scratch_load_b128 v[9:12], off, off offset:248
	s_wait_loadcnt_dscnt 0x100
	v_mul_f32_e32 v19, v5, v2
	v_mul_f32_e32 v2, v6, v2
	;; [unrolled: 1-line block ×3, first 2 shown]
	s_delay_alu instid0(VALU_DEP_3) | instskip(NEXT) | instid1(VALU_DEP_3)
	v_dual_mul_f32 v4, v8, v4 :: v_dual_fmac_f32 v19, v6, v1
	v_fma_f32 v134, v5, v1, -v2
	s_delay_alu instid0(VALU_DEP_3) | instskip(NEXT) | instid1(VALU_DEP_3)
	v_fmac_f32_e32 v20, v8, v3
	v_fma_f32 v135, v7, v3, -v4
	ds_load_2addr_b64 v[1:4], v21 offset0:81 offset1:82
	ds_load_2addr_b64 v[5:8], v21 offset0:83 offset1:84
	s_wait_loadcnt_dscnt 0x1
	v_mul_f32_e32 v141, v1, v10
	v_mul_f32_e32 v10, v2, v10
	s_delay_alu instid0(VALU_DEP_2) | instskip(NEXT) | instid1(VALU_DEP_2)
	v_dual_mul_f32 v142, v3, v12 :: v_dual_fmac_f32 v141, v2, v9
	v_fma_f32 v143, v1, v9, -v10
	v_mul_f32_e32 v1, v4, v12
	s_delay_alu instid0(VALU_DEP_3) | instskip(NEXT) | instid1(VALU_DEP_2)
	v_fmac_f32_e32 v142, v4, v11
	v_fma_f32 v144, v3, v11, -v1
	s_clause 0x1
	scratch_load_b128 v[1:4], off, off offset:264
	scratch_load_b128 v[9:12], off, off offset:280
	s_wait_loadcnt_dscnt 0x100
	v_mul_f32_e32 v145, v5, v2
	v_dual_mul_f32 v2, v6, v2 :: v_dual_mul_f32 v147, v7, v4
	s_delay_alu instid0(VALU_DEP_2) | instskip(NEXT) | instid1(VALU_DEP_2)
	v_fmac_f32_e32 v145, v6, v1
	v_fma_f32 v146, v5, v1, -v2
	v_mul_f32_e32 v1, v8, v4
	s_delay_alu instid0(VALU_DEP_4) | instskip(NEXT) | instid1(VALU_DEP_2)
	v_fmac_f32_e32 v147, v8, v3
	v_fma_f32 v148, v7, v3, -v1
	ds_load_2addr_b64 v[1:4], v21 offset0:85 offset1:86
	ds_load_2addr_b64 v[5:8], v21 offset0:87 offset1:88
	s_wait_loadcnt_dscnt 0x1
	v_mul_f32_e32 v149, v1, v10
	v_mul_f32_e32 v151, v3, v12
	s_delay_alu instid0(VALU_DEP_2) | instskip(NEXT) | instid1(VALU_DEP_2)
	v_fmac_f32_e32 v149, v2, v9
	v_dual_mul_f32 v2, v2, v10 :: v_dual_fmac_f32 v151, v4, v11
	s_delay_alu instid0(VALU_DEP_1) | instskip(SKIP_1) | instid1(VALU_DEP_1)
	v_fma_f32 v150, v1, v9, -v2
	v_mul_f32_e32 v1, v4, v12
	v_fma_f32 v152, v3, v11, -v1
	s_clause 0x1
	scratch_load_b128 v[1:4], off, off offset:296
	scratch_load_b128 v[9:12], off, off offset:312
	s_wait_loadcnt_dscnt 0x100
	v_mul_f32_e32 v153, v5, v2
	v_dual_mul_f32 v155, v7, v4 :: v_dual_mul_f32 v2, v6, v2
	s_delay_alu instid0(VALU_DEP_2) | instskip(NEXT) | instid1(VALU_DEP_2)
	v_fmac_f32_e32 v153, v6, v1
	v_fmac_f32_e32 v155, v8, v3
	s_delay_alu instid0(VALU_DEP_3) | instskip(SKIP_1) | instid1(VALU_DEP_1)
	v_fma_f32 v154, v5, v1, -v2
	v_dual_mul_f32 v1, v8, v4 :: v_dual_add_f32 v2, 0, v138
	v_fma_f32 v156, v7, v3, -v1
	s_delay_alu instid0(VALU_DEP_2) | instskip(NEXT) | instid1(VALU_DEP_1)
	v_dual_add_f32 v1, 0, v22 :: v_dual_add_f32 v2, v2, v139
	v_dual_add_f32 v1, v1, v24 :: v_dual_add_f32 v2, v2, v25
	s_delay_alu instid0(VALU_DEP_1) | instskip(NEXT) | instid1(VALU_DEP_1)
	v_dual_add_f32 v1, v1, v128 :: v_dual_add_f32 v2, v2, v26
	v_dual_add_f32 v1, v1, v129 :: v_dual_add_f32 v2, v2, v27
	scratch_load_b64 v[128:129], off, off offset:392
	v_add_f32_e32 v1, v1, v130
	s_delay_alu instid0(VALU_DEP_1) | instskip(NEXT) | instid1(VALU_DEP_1)
	v_add_f32_e32 v1, v1, v131
	v_dual_add_f32 v5, v2, v140 :: v_dual_add_f32 v6, v1, v13
	scratch_load_b128 v[1:4], off, off offset:328
	v_dual_add_f32 v13, v5, v132 :: v_dual_add_f32 v14, v6, v14
	ds_load_2addr_b64 v[5:8], v21 offset0:89 offset1:90
	v_dual_add_f32 v13, v13, v133 :: v_dual_add_f32 v14, v14, v16
	s_delay_alu instid0(VALU_DEP_1) | instskip(NEXT) | instid1(VALU_DEP_1)
	v_add_f32_e32 v13, v13, v15
	v_dual_add_f32 v17, v14, v17 :: v_dual_add_f32 v18, v13, v18
	ds_load_2addr_b64 v[13:16], v21 offset0:91 offset1:92
	v_dual_add_f32 v17, v17, v134 :: v_dual_add_f32 v18, v18, v19
	s_wait_loadcnt_dscnt 0x201
	v_mul_f32_e32 v22, v5, v10
	v_mul_f32_e32 v10, v6, v10
	;; [unrolled: 1-line block ×3, first 2 shown]
	v_dual_mul_f32 v12, v8, v12 :: v_dual_add_f32 v17, v17, v135
	s_delay_alu instid0(VALU_DEP_4) | instskip(NEXT) | instid1(VALU_DEP_4)
	v_fmac_f32_e32 v22, v6, v9
	v_fma_f32 v133, v5, v9, -v10
	v_add_f32_e32 v18, v18, v20
	s_delay_alu instid0(VALU_DEP_4)
	v_fma_f32 v134, v7, v11, -v12
	v_add_f32_e32 v17, v17, v143
	v_fmac_f32_e32 v132, v8, v11
	s_clause 0x1
	scratch_load_b128 v[5:8], off, off offset:344
	scratch_load_b128 v[9:12], off, off offset:360
	v_dual_add_f32 v25, v17, v144 :: v_dual_add_f32 v24, v18, v141
	scratch_load_b128 v[17:20], off, off offset:376
	v_add_f32_e32 v25, v25, v146
	s_delay_alu instid0(VALU_DEP_1) | instskip(NEXT) | instid1(VALU_DEP_1)
	v_dual_add_f32 v24, v24, v142 :: v_dual_add_f32 v25, v25, v148
	v_dual_add_f32 v24, v24, v145 :: v_dual_add_f32 v25, v25, v150
	s_wait_loadcnt_dscnt 0x300
	s_delay_alu instid0(VALU_DEP_1) | instskip(SKIP_1) | instid1(VALU_DEP_2)
	v_dual_mul_f32 v135, v13, v2 :: v_dual_add_f32 v24, v24, v147
	v_mul_f32_e32 v2, v14, v2
	v_dual_fmac_f32 v135, v14, v1 :: v_dual_add_f32 v14, v25, v152
	s_delay_alu instid0(VALU_DEP_2) | instskip(NEXT) | instid1(VALU_DEP_2)
	v_fma_f32 v139, v13, v1, -v2
	v_dual_add_f32 v13, v24, v149 :: v_dual_add_f32 v130, v14, v154
	s_delay_alu instid0(VALU_DEP_1) | instskip(SKIP_1) | instid1(VALU_DEP_3)
	v_add_f32_e32 v24, v13, v151
	v_mul_f32_e32 v138, v15, v4
	v_add_f32_e32 v141, v130, v156
	v_mul_f32_e32 v4, v16, v4
	s_delay_alu instid0(VALU_DEP_4) | instskip(NEXT) | instid1(VALU_DEP_4)
	v_add_f32_e32 v131, v24, v153
	v_fmac_f32_e32 v138, v16, v3
	ds_load_2addr_b64 v[24:27], v21 offset0:97 offset1:98
	v_add_f32_e32 v133, v141, v133
	v_fma_f32 v140, v15, v3, -v4
	ds_load_2addr_b64 v[1:4], v21 offset0:93 offset1:94
	ds_load_2addr_b64 v[13:16], v21 offset0:95 offset1:96
	v_dual_add_f32 v142, v131, v155 :: v_dual_add_f32 v133, v133, v134
	ds_load_b64 v[130:131], v21 offset:792
	v_add_f32_e32 v133, v133, v139
	s_delay_alu instid0(VALU_DEP_1)
	v_add_f32_e32 v133, v133, v140
	s_wait_loadcnt_dscnt 0x3
	v_mul_f32_e32 v139, v24, v18
	s_wait_dscnt 0x2
	v_mul_f32_e32 v141, v1, v6
	v_add_f32_e32 v22, v142, v22
	v_mul_f32_e32 v6, v2, v6
	s_wait_dscnt 0x1
	v_mul_f32_e32 v134, v13, v10
	v_fmac_f32_e32 v139, v25, v17
	v_fmac_f32_e32 v141, v2, v5
	v_add_f32_e32 v22, v22, v132
	v_mul_f32_e32 v132, v3, v8
	v_mul_f32_e32 v8, v4, v8
	v_fma_f32 v1, v1, v5, -v6
	v_mul_f32_e32 v5, v16, v12
	s_delay_alu instid0(VALU_DEP_4) | instskip(NEXT) | instid1(VALU_DEP_4)
	v_fmac_f32_e32 v132, v4, v7
	v_fma_f32 v2, v3, v7, -v8
	v_mul_f32_e32 v3, v14, v10
	v_dual_add_f32 v1, v133, v1 :: v_dual_add_f32 v22, v22, v135
	v_fma_f32 v5, v15, v11, -v5
	v_mul_f32_e32 v135, v15, v12
	s_delay_alu instid0(VALU_DEP_4) | instskip(NEXT) | instid1(VALU_DEP_4)
	v_fma_f32 v3, v13, v9, -v3
	v_add_f32_e32 v1, v1, v2
	v_add_f32_e32 v22, v22, v138
	s_wait_dscnt 0x0
	v_mul_f32_e32 v138, v130, v129
	v_dual_mul_f32 v140, v26, v20 :: v_dual_fmac_f32 v135, v16, v11
	v_add_f32_e32 v1, v1, v3
	v_mul_f32_e32 v3, v27, v20
	s_delay_alu instid0(VALU_DEP_4) | instskip(NEXT) | instid1(VALU_DEP_3)
	v_fmac_f32_e32 v138, v131, v128
	v_dual_fmac_f32 v140, v27, v19 :: v_dual_add_f32 v1, v1, v5
	s_delay_alu instid0(VALU_DEP_3) | instskip(SKIP_1) | instid1(VALU_DEP_1)
	v_fma_f32 v3, v26, v19, -v3
	v_add_f32_e32 v4, v22, v141
	v_dual_mul_f32 v5, v131, v129 :: v_dual_add_f32 v2, v4, v132
	v_mul_f32_e32 v4, v25, v18
	s_delay_alu instid0(VALU_DEP_1) | instskip(NEXT) | instid1(VALU_DEP_1)
	v_fma_f32 v4, v24, v17, -v4
	v_dual_fmac_f32 v134, v14, v9 :: v_dual_add_f32 v1, v1, v4
	s_delay_alu instid0(VALU_DEP_4) | instskip(NEXT) | instid1(VALU_DEP_2)
	v_fma_f32 v4, v130, v128, -v5
	v_dual_add_f32 v1, v1, v3 :: v_dual_add_f32 v2, v2, v134
	s_delay_alu instid0(VALU_DEP_1) | instskip(NEXT) | instid1(VALU_DEP_1)
	v_dual_add_f32 v1, v1, v4 :: v_dual_add_f32 v2, v2, v135
	v_dual_sub_f32 v1, v136, v1 :: v_dual_add_f32 v2, v2, v139
	s_delay_alu instid0(VALU_DEP_1) | instskip(NEXT) | instid1(VALU_DEP_1)
	v_add_f32_e32 v2, v2, v140
	v_add_f32_e32 v2, v2, v138
	s_delay_alu instid0(VALU_DEP_1)
	v_sub_f32_e32 v2, v137, v2
	scratch_store_b64 off, v[1:2], off offset:144
	v_cmpx_lt_u32_e32 17, v0
	s_cbranch_execz .LBB49_279
; %bb.278:
	scratch_load_b64 v[1:2], off, off offset:136
	v_mov_b32_e32 v22, v21
	scratch_store_b64 off, v[21:22], off offset:136
	s_wait_loadcnt 0x0
	ds_store_b64 v23, v[1:2]
.LBB49_279:
	s_wait_alu 0xfffe
	s_or_b32 exec_lo, exec_lo, s0
	s_wait_storecnt_dscnt 0x0
	s_barrier_signal -1
	s_barrier_wait -1
	global_inv scope:SCOPE_SE
	s_clause 0x4
	scratch_load_b128 v[5:8], off, off offset:144
	scratch_load_b128 v[1:4], off, off offset:160
	;; [unrolled: 1-line block ×5, first 2 shown]
	ds_load_b128 v[24:27], v21 offset:544
	ds_load_b128 v[128:131], v21 offset:560
	;; [unrolled: 1-line block ×3, first 2 shown]
	scratch_load_b64 v[136:137], off, off offset:136
	s_mov_b32 s0, exec_lo
	s_wait_loadcnt_dscnt 0x502
	v_dual_mul_f32 v22, v25, v6 :: v_dual_mul_f32 v139, v26, v8
	v_mul_f32_e32 v138, v24, v6
	v_mul_f32_e32 v6, v27, v8
	s_wait_loadcnt_dscnt 0x300
	v_mul_f32_e32 v140, v134, v12
	v_fma_f32 v22, v24, v5, -v22
	v_dual_fmac_f32 v139, v27, v7 :: v_dual_fmac_f32 v138, v25, v5
	v_mul_f32_e32 v27, v132, v10
	v_mul_f32_e32 v25, v128, v2
	v_fma_f32 v24, v26, v7, -v6
	ds_load_b128 v[5:8], v21 offset:592
	v_mul_f32_e32 v26, v130, v4
	v_dual_mul_f32 v4, v131, v4 :: v_dual_fmac_f32 v27, v133, v9
	v_mul_f32_e32 v10, v133, v10
	v_mul_f32_e32 v12, v135, v12
	v_mul_f32_e32 v2, v129, v2
	v_dual_fmac_f32 v25, v129, v1 :: v_dual_fmac_f32 v26, v131, v3
	v_fma_f32 v129, v130, v3, -v4
	v_fma_f32 v130, v132, v9, -v10
	v_fmac_f32_e32 v140, v135, v11
	v_fma_f32 v131, v134, v11, -v12
	ds_load_b128 v[9:12], v21 offset:608
	s_wait_loadcnt_dscnt 0x201
	v_mul_f32_e32 v133, v7, v16
	v_fma_f32 v128, v128, v1, -v2
	scratch_load_b128 v[1:4], off, off offset:224
	v_mul_f32_e32 v132, v5, v14
	v_mul_f32_e32 v14, v6, v14
	;; [unrolled: 1-line block ×3, first 2 shown]
	s_delay_alu instid0(VALU_DEP_3) | instskip(NEXT) | instid1(VALU_DEP_3)
	v_dual_fmac_f32 v133, v8, v15 :: v_dual_fmac_f32 v132, v6, v13
	v_fma_f32 v13, v5, v13, -v14
	s_delay_alu instid0(VALU_DEP_3)
	v_fma_f32 v14, v7, v15, -v16
	ds_load_b128 v[5:8], v21 offset:624
	s_wait_loadcnt_dscnt 0x201
	v_mul_f32_e32 v15, v9, v18
	v_mul_f32_e32 v16, v10, v18
	;; [unrolled: 1-line block ×3, first 2 shown]
	s_delay_alu instid0(VALU_DEP_3) | instskip(NEXT) | instid1(VALU_DEP_3)
	v_dual_mul_f32 v20, v12, v20 :: v_dual_fmac_f32 v15, v10, v17
	v_fma_f32 v16, v9, v17, -v16
	s_delay_alu instid0(VALU_DEP_3) | instskip(NEXT) | instid1(VALU_DEP_3)
	v_fmac_f32_e32 v18, v12, v19
	v_fma_f32 v17, v11, v19, -v20
	scratch_load_b128 v[9:12], off, off offset:240
	s_wait_loadcnt_dscnt 0x100
	v_mul_f32_e32 v19, v5, v2
	v_mul_f32_e32 v2, v6, v2
	;; [unrolled: 1-line block ×3, first 2 shown]
	s_delay_alu instid0(VALU_DEP_3) | instskip(NEXT) | instid1(VALU_DEP_3)
	v_dual_mul_f32 v4, v8, v4 :: v_dual_fmac_f32 v19, v6, v1
	v_fma_f32 v134, v5, v1, -v2
	s_delay_alu instid0(VALU_DEP_3) | instskip(NEXT) | instid1(VALU_DEP_3)
	v_fmac_f32_e32 v20, v8, v3
	v_fma_f32 v135, v7, v3, -v4
	ds_load_b128 v[1:4], v21 offset:640
	ds_load_b128 v[5:8], v21 offset:656
	s_wait_loadcnt_dscnt 0x1
	v_mul_f32_e32 v141, v1, v10
	v_mul_f32_e32 v10, v2, v10
	s_delay_alu instid0(VALU_DEP_2) | instskip(NEXT) | instid1(VALU_DEP_2)
	v_dual_mul_f32 v142, v3, v12 :: v_dual_fmac_f32 v141, v2, v9
	v_fma_f32 v143, v1, v9, -v10
	v_mul_f32_e32 v1, v4, v12
	s_delay_alu instid0(VALU_DEP_3) | instskip(NEXT) | instid1(VALU_DEP_2)
	v_fmac_f32_e32 v142, v4, v11
	v_fma_f32 v144, v3, v11, -v1
	s_clause 0x1
	scratch_load_b128 v[1:4], off, off offset:256
	scratch_load_b128 v[9:12], off, off offset:272
	s_wait_loadcnt_dscnt 0x100
	v_mul_f32_e32 v145, v5, v2
	v_dual_mul_f32 v2, v6, v2 :: v_dual_mul_f32 v147, v7, v4
	s_delay_alu instid0(VALU_DEP_2) | instskip(NEXT) | instid1(VALU_DEP_2)
	v_fmac_f32_e32 v145, v6, v1
	v_fma_f32 v146, v5, v1, -v2
	v_mul_f32_e32 v1, v8, v4
	s_delay_alu instid0(VALU_DEP_4) | instskip(NEXT) | instid1(VALU_DEP_2)
	v_fmac_f32_e32 v147, v8, v3
	v_fma_f32 v148, v7, v3, -v1
	ds_load_b128 v[1:4], v21 offset:672
	ds_load_b128 v[5:8], v21 offset:688
	s_wait_loadcnt_dscnt 0x1
	v_mul_f32_e32 v149, v1, v10
	v_mul_f32_e32 v151, v3, v12
	s_delay_alu instid0(VALU_DEP_2) | instskip(NEXT) | instid1(VALU_DEP_2)
	v_fmac_f32_e32 v149, v2, v9
	v_dual_mul_f32 v2, v2, v10 :: v_dual_fmac_f32 v151, v4, v11
	s_delay_alu instid0(VALU_DEP_1) | instskip(SKIP_1) | instid1(VALU_DEP_1)
	v_fma_f32 v150, v1, v9, -v2
	v_mul_f32_e32 v1, v4, v12
	v_fma_f32 v152, v3, v11, -v1
	s_clause 0x1
	scratch_load_b128 v[1:4], off, off offset:288
	scratch_load_b128 v[9:12], off, off offset:304
	s_wait_loadcnt_dscnt 0x100
	v_mul_f32_e32 v153, v5, v2
	v_dual_mul_f32 v2, v6, v2 :: v_dual_mul_f32 v155, v7, v4
	s_delay_alu instid0(VALU_DEP_2) | instskip(NEXT) | instid1(VALU_DEP_2)
	v_fmac_f32_e32 v153, v6, v1
	v_fma_f32 v154, v5, v1, -v2
	v_mul_f32_e32 v1, v8, v4
	s_delay_alu instid0(VALU_DEP_4) | instskip(NEXT) | instid1(VALU_DEP_2)
	v_fmac_f32_e32 v155, v8, v3
	v_fma_f32 v156, v7, v3, -v1
	ds_load_b128 v[1:4], v21 offset:704
	ds_load_b128 v[5:8], v21 offset:720
	s_wait_loadcnt_dscnt 0x1
	v_mul_f32_e32 v157, v1, v10
	v_mul_f32_e32 v159, v3, v12
	s_delay_alu instid0(VALU_DEP_2) | instskip(NEXT) | instid1(VALU_DEP_2)
	v_fmac_f32_e32 v157, v2, v9
	v_dual_mul_f32 v2, v2, v10 :: v_dual_fmac_f32 v159, v4, v11
	s_delay_alu instid0(VALU_DEP_1) | instskip(SKIP_1) | instid1(VALU_DEP_1)
	v_fma_f32 v158, v1, v9, -v2
	v_mul_f32_e32 v1, v4, v12
	v_fma_f32 v160, v3, v11, -v1
	s_clause 0x1
	scratch_load_b128 v[1:4], off, off offset:320
	scratch_load_b128 v[9:12], off, off offset:336
	s_wait_loadcnt_dscnt 0x100
	v_mul_f32_e32 v161, v5, v2
	v_mul_f32_e32 v2, v6, v2
	s_delay_alu instid0(VALU_DEP_1) | instskip(SKIP_1) | instid1(VALU_DEP_1)
	v_fma_f32 v162, v5, v1, -v2
	v_add_f32_e32 v2, 0, v138
	v_add_f32_e32 v2, v2, v139
	s_delay_alu instid0(VALU_DEP_1) | instskip(NEXT) | instid1(VALU_DEP_1)
	v_dual_add_f32 v2, v2, v25 :: v_dual_mul_f32 v163, v7, v4
	v_add_f32_e32 v2, v2, v26
	s_delay_alu instid0(VALU_DEP_1) | instskip(NEXT) | instid1(VALU_DEP_1)
	v_add_f32_e32 v2, v2, v27
	v_dual_fmac_f32 v163, v8, v3 :: v_dual_add_f32 v2, v2, v140
	s_delay_alu instid0(VALU_DEP_1) | instskip(NEXT) | instid1(VALU_DEP_1)
	v_add_f32_e32 v2, v2, v132
	v_add_f32_e32 v2, v2, v133
	s_delay_alu instid0(VALU_DEP_1) | instskip(NEXT) | instid1(VALU_DEP_1)
	v_add_f32_e32 v5, v2, v15
	v_add_f32_e32 v5, v5, v18
	s_delay_alu instid0(VALU_DEP_1) | instskip(SKIP_2) | instid1(VALU_DEP_1)
	v_add_f32_e32 v5, v5, v19
	v_fmac_f32_e32 v161, v6, v1
	v_mul_f32_e32 v1, v8, v4
	v_fma_f32 v164, v7, v3, -v1
	v_add_f32_e32 v1, 0, v22
	s_delay_alu instid0(VALU_DEP_1) | instskip(NEXT) | instid1(VALU_DEP_1)
	v_add_f32_e32 v1, v1, v24
	v_add_f32_e32 v1, v1, v128
	s_delay_alu instid0(VALU_DEP_1) | instskip(NEXT) | instid1(VALU_DEP_1)
	v_add_f32_e32 v1, v1, v129
	v_add_f32_e32 v1, v1, v130
	s_delay_alu instid0(VALU_DEP_1) | instskip(NEXT) | instid1(VALU_DEP_1)
	v_add_f32_e32 v1, v1, v131
	v_add_f32_e32 v1, v1, v13
	s_delay_alu instid0(VALU_DEP_1) | instskip(NEXT) | instid1(VALU_DEP_1)
	v_add_f32_e32 v1, v1, v14
	v_add_f32_e32 v1, v1, v16
	s_delay_alu instid0(VALU_DEP_1) | instskip(SKIP_2) | instid1(VALU_DEP_1)
	v_add_f32_e32 v6, v1, v17
	ds_load_b128 v[1:4], v21 offset:736
	v_add_f32_e32 v6, v6, v134
	v_add_f32_e32 v13, v6, v135
	s_delay_alu instid0(VALU_DEP_1) | instskip(NEXT) | instid1(VALU_DEP_1)
	v_add_f32_e32 v13, v13, v143
	v_add_f32_e32 v13, v13, v144
	s_delay_alu instid0(VALU_DEP_1) | instskip(NEXT) | instid1(VALU_DEP_1)
	v_add_f32_e32 v13, v13, v146
	v_add_f32_e32 v18, v13, v148
	s_delay_alu instid0(VALU_DEP_1)
	v_add_f32_e32 v18, v18, v150
	v_add_f32_e32 v14, v5, v20
	ds_load_b128 v[5:8], v21 offset:752
	s_wait_loadcnt_dscnt 0x1
	v_mul_f32_e32 v22, v1, v10
	v_mul_f32_e32 v128, v3, v12
	;; [unrolled: 1-line block ×4, first 2 shown]
	v_add_f32_e32 v14, v14, v141
	v_fmac_f32_e32 v22, v2, v9
	v_fmac_f32_e32 v128, v4, v11
	v_fma_f32 v129, v1, v9, -v10
	v_fma_f32 v130, v3, v11, -v12
	s_clause 0x1
	scratch_load_b128 v[1:4], off, off offset:352
	scratch_load_b128 v[9:12], off, off offset:368
	v_add_f32_e32 v14, v14, v142
	v_add_f32_e32 v18, v18, v152
	s_delay_alu instid0(VALU_DEP_2) | instskip(SKIP_2) | instid1(VALU_DEP_1)
	v_add_f32_e32 v17, v14, v145
	scratch_load_b128 v[13:16], off, off offset:384
	v_dual_add_f32 v24, v18, v154 :: v_dual_add_f32 v17, v17, v147
	v_add_f32_e32 v131, v24, v156
	s_delay_alu instid0(VALU_DEP_2) | instskip(NEXT) | instid1(VALU_DEP_1)
	v_add_f32_e32 v17, v17, v149
	v_add_f32_e32 v17, v17, v151
	s_delay_alu instid0(VALU_DEP_1)
	v_add_f32_e32 v25, v17, v153
	ds_load_b128 v[17:20], v21 offset:768
	v_add_f32_e32 v132, v25, v155
	ds_load_b128 v[24:27], v21 offset:784
	v_add_f32_e32 v21, v131, v158
	s_wait_loadcnt_dscnt 0x202
	v_dual_add_f32 v131, v132, v157 :: v_dual_mul_f32 v132, v5, v2
	s_wait_loadcnt_dscnt 0x101
	v_mul_f32_e32 v134, v17, v10
	v_dual_add_f32 v21, v21, v160 :: v_dual_mul_f32 v2, v6, v2
	s_delay_alu instid0(VALU_DEP_3) | instskip(NEXT) | instid1(VALU_DEP_2)
	v_dual_fmac_f32 v132, v6, v1 :: v_dual_add_f32 v131, v131, v159
	v_dual_fmac_f32 v134, v18, v9 :: v_dual_add_f32 v21, v21, v162
	s_wait_loadcnt_dscnt 0x0
	v_dual_mul_f32 v138, v24, v14 :: v_dual_mul_f32 v133, v7, v4
	s_delay_alu instid0(VALU_DEP_3) | instskip(SKIP_1) | instid1(VALU_DEP_3)
	v_dual_add_f32 v131, v131, v161 :: v_dual_mul_f32 v4, v8, v4
	v_fma_f32 v2, v5, v1, -v2
	v_dual_fmac_f32 v138, v25, v13 :: v_dual_fmac_f32 v133, v8, v3
	s_delay_alu instid0(VALU_DEP_3) | instskip(NEXT) | instid1(VALU_DEP_4)
	v_add_f32_e32 v131, v131, v163
	v_fma_f32 v3, v7, v3, -v4
	v_mul_f32_e32 v4, v20, v12
	v_dual_add_f32 v21, v21, v164 :: v_dual_mul_f32 v6, v18, v10
	s_delay_alu instid0(VALU_DEP_4) | instskip(NEXT) | instid1(VALU_DEP_3)
	v_add_f32_e32 v22, v131, v22
	v_fma_f32 v4, v19, v11, -v4
	s_delay_alu instid0(VALU_DEP_3) | instskip(SKIP_1) | instid1(VALU_DEP_4)
	v_add_f32_e32 v21, v21, v129
	v_mul_f32_e32 v129, v26, v16
	v_add_f32_e32 v5, v22, v128
	s_delay_alu instid0(VALU_DEP_2) | instskip(NEXT) | instid1(VALU_DEP_4)
	v_fmac_f32_e32 v129, v27, v15
	v_add_f32_e32 v1, v21, v130
	s_delay_alu instid0(VALU_DEP_1) | instskip(NEXT) | instid1(VALU_DEP_4)
	v_add_f32_e32 v1, v1, v2
	v_add_f32_e32 v2, v5, v132
	v_mul_f32_e32 v135, v19, v12
	v_fma_f32 v5, v17, v9, -v6
	s_delay_alu instid0(VALU_DEP_3) | instskip(SKIP_1) | instid1(VALU_DEP_4)
	v_dual_add_f32 v1, v1, v3 :: v_dual_add_f32 v2, v2, v133
	v_mul_f32_e32 v3, v25, v14
	v_fmac_f32_e32 v135, v20, v11
	s_delay_alu instid0(VALU_DEP_3) | instskip(SKIP_1) | instid1(VALU_DEP_4)
	v_dual_add_f32 v1, v1, v5 :: v_dual_add_f32 v2, v2, v134
	v_mul_f32_e32 v5, v27, v16
	v_fma_f32 v3, v24, v13, -v3
	s_delay_alu instid0(VALU_DEP_3) | instskip(NEXT) | instid1(VALU_DEP_3)
	v_dual_add_f32 v1, v1, v4 :: v_dual_add_f32 v2, v2, v135
	v_fma_f32 v4, v26, v15, -v5
	s_delay_alu instid0(VALU_DEP_2) | instskip(NEXT) | instid1(VALU_DEP_1)
	v_dual_add_f32 v1, v1, v3 :: v_dual_add_f32 v2, v2, v138
	v_dual_add_f32 v1, v1, v4 :: v_dual_add_f32 v2, v2, v129
	s_delay_alu instid0(VALU_DEP_1)
	v_dual_sub_f32 v1, v136, v1 :: v_dual_sub_f32 v2, v137, v2
	scratch_store_b64 off, v[1:2], off offset:136
	v_cmpx_lt_u32_e32 16, v0
	s_cbranch_execz .LBB49_281
; %bb.280:
	scratch_load_b64 v[1:2], off, off offset:128
	v_mov_b32_e32 v3, 0
	s_delay_alu instid0(VALU_DEP_1)
	v_mov_b32_e32 v4, v3
	scratch_store_b64 off, v[3:4], off offset:128
	s_wait_loadcnt 0x0
	ds_store_b64 v23, v[1:2]
.LBB49_281:
	s_wait_alu 0xfffe
	s_or_b32 exec_lo, exec_lo, s0
	s_wait_storecnt_dscnt 0x0
	s_barrier_signal -1
	s_barrier_wait -1
	global_inv scope:SCOPE_SE
	s_clause 0x4
	scratch_load_b128 v[5:8], off, off offset:136
	scratch_load_b128 v[1:4], off, off offset:152
	scratch_load_b128 v[9:12], off, off offset:168
	scratch_load_b128 v[13:16], off, off offset:184
	scratch_load_b128 v[17:20], off, off offset:200
	v_mov_b32_e32 v21, 0
	ds_load_2addr_b64 v[24:27], v21 offset0:67 offset1:68
	ds_load_2addr_b64 v[128:131], v21 offset0:69 offset1:70
	;; [unrolled: 1-line block ×3, first 2 shown]
	scratch_load_b64 v[136:137], off, off offset:128
	s_mov_b32 s0, exec_lo
	s_wait_loadcnt_dscnt 0x502
	v_mul_f32_e32 v22, v25, v6
	v_dual_mul_f32 v138, v24, v6 :: v_dual_mul_f32 v139, v26, v8
	v_mul_f32_e32 v6, v27, v8
	s_delay_alu instid0(VALU_DEP_3) | instskip(NEXT) | instid1(VALU_DEP_3)
	v_fma_f32 v22, v24, v5, -v22
	v_dual_fmac_f32 v138, v25, v5 :: v_dual_fmac_f32 v139, v27, v7
	s_wait_loadcnt_dscnt 0x401
	v_mul_f32_e32 v25, v128, v2
	v_fma_f32 v24, v26, v7, -v6
	ds_load_2addr_b64 v[5:8], v21 offset0:73 offset1:74
	s_wait_loadcnt_dscnt 0x301
	v_dual_mul_f32 v26, v130, v4 :: v_dual_mul_f32 v27, v132, v10
	v_dual_mul_f32 v4, v131, v4 :: v_dual_fmac_f32 v25, v129, v1
	v_mul_f32_e32 v10, v133, v10
	s_delay_alu instid0(VALU_DEP_3)
	v_dual_mul_f32 v140, v134, v12 :: v_dual_fmac_f32 v27, v133, v9
	v_mul_f32_e32 v12, v135, v12
	v_mul_f32_e32 v2, v129, v2
	v_fmac_f32_e32 v26, v131, v3
	v_fma_f32 v129, v130, v3, -v4
	v_fma_f32 v130, v132, v9, -v10
	v_fmac_f32_e32 v140, v135, v11
	v_fma_f32 v131, v134, v11, -v12
	ds_load_2addr_b64 v[9:12], v21 offset0:75 offset1:76
	s_wait_loadcnt_dscnt 0x201
	v_mul_f32_e32 v133, v7, v16
	v_fma_f32 v128, v128, v1, -v2
	scratch_load_b128 v[1:4], off, off offset:216
	v_mul_f32_e32 v132, v5, v14
	v_mul_f32_e32 v14, v6, v14
	;; [unrolled: 1-line block ×3, first 2 shown]
	s_delay_alu instid0(VALU_DEP_3) | instskip(NEXT) | instid1(VALU_DEP_3)
	v_dual_fmac_f32 v133, v8, v15 :: v_dual_fmac_f32 v132, v6, v13
	v_fma_f32 v13, v5, v13, -v14
	s_delay_alu instid0(VALU_DEP_3)
	v_fma_f32 v14, v7, v15, -v16
	ds_load_2addr_b64 v[5:8], v21 offset0:77 offset1:78
	s_wait_loadcnt_dscnt 0x201
	v_mul_f32_e32 v15, v9, v18
	v_mul_f32_e32 v16, v10, v18
	;; [unrolled: 1-line block ×3, first 2 shown]
	s_delay_alu instid0(VALU_DEP_3) | instskip(NEXT) | instid1(VALU_DEP_3)
	v_dual_mul_f32 v20, v12, v20 :: v_dual_fmac_f32 v15, v10, v17
	v_fma_f32 v16, v9, v17, -v16
	s_delay_alu instid0(VALU_DEP_3) | instskip(NEXT) | instid1(VALU_DEP_3)
	v_fmac_f32_e32 v18, v12, v19
	v_fma_f32 v17, v11, v19, -v20
	scratch_load_b128 v[9:12], off, off offset:232
	s_wait_loadcnt_dscnt 0x100
	v_mul_f32_e32 v19, v5, v2
	v_mul_f32_e32 v2, v6, v2
	v_mul_f32_e32 v20, v7, v4
	s_delay_alu instid0(VALU_DEP_3) | instskip(NEXT) | instid1(VALU_DEP_3)
	v_dual_mul_f32 v4, v8, v4 :: v_dual_fmac_f32 v19, v6, v1
	v_fma_f32 v134, v5, v1, -v2
	s_delay_alu instid0(VALU_DEP_3) | instskip(NEXT) | instid1(VALU_DEP_3)
	v_fmac_f32_e32 v20, v8, v3
	v_fma_f32 v135, v7, v3, -v4
	ds_load_2addr_b64 v[1:4], v21 offset0:79 offset1:80
	ds_load_2addr_b64 v[5:8], v21 offset0:81 offset1:82
	s_wait_loadcnt_dscnt 0x1
	v_mul_f32_e32 v141, v1, v10
	v_mul_f32_e32 v10, v2, v10
	s_delay_alu instid0(VALU_DEP_2) | instskip(NEXT) | instid1(VALU_DEP_2)
	v_dual_mul_f32 v142, v3, v12 :: v_dual_fmac_f32 v141, v2, v9
	v_fma_f32 v143, v1, v9, -v10
	v_mul_f32_e32 v1, v4, v12
	s_delay_alu instid0(VALU_DEP_3) | instskip(NEXT) | instid1(VALU_DEP_2)
	v_fmac_f32_e32 v142, v4, v11
	v_fma_f32 v144, v3, v11, -v1
	s_clause 0x1
	scratch_load_b128 v[1:4], off, off offset:248
	scratch_load_b128 v[9:12], off, off offset:264
	s_wait_loadcnt_dscnt 0x100
	v_mul_f32_e32 v145, v5, v2
	v_dual_mul_f32 v2, v6, v2 :: v_dual_mul_f32 v147, v7, v4
	s_delay_alu instid0(VALU_DEP_2) | instskip(NEXT) | instid1(VALU_DEP_2)
	v_fmac_f32_e32 v145, v6, v1
	v_fma_f32 v146, v5, v1, -v2
	v_mul_f32_e32 v1, v8, v4
	s_delay_alu instid0(VALU_DEP_4) | instskip(NEXT) | instid1(VALU_DEP_2)
	v_fmac_f32_e32 v147, v8, v3
	v_fma_f32 v148, v7, v3, -v1
	ds_load_2addr_b64 v[1:4], v21 offset0:83 offset1:84
	ds_load_2addr_b64 v[5:8], v21 offset0:85 offset1:86
	s_wait_loadcnt_dscnt 0x1
	v_mul_f32_e32 v149, v1, v10
	v_mul_f32_e32 v151, v3, v12
	s_delay_alu instid0(VALU_DEP_2) | instskip(NEXT) | instid1(VALU_DEP_2)
	v_fmac_f32_e32 v149, v2, v9
	v_dual_mul_f32 v2, v2, v10 :: v_dual_fmac_f32 v151, v4, v11
	s_delay_alu instid0(VALU_DEP_1) | instskip(SKIP_1) | instid1(VALU_DEP_1)
	v_fma_f32 v150, v1, v9, -v2
	v_mul_f32_e32 v1, v4, v12
	v_fma_f32 v152, v3, v11, -v1
	s_clause 0x1
	scratch_load_b128 v[1:4], off, off offset:280
	scratch_load_b128 v[9:12], off, off offset:296
	s_wait_loadcnt_dscnt 0x100
	v_mul_f32_e32 v153, v5, v2
	v_dual_mul_f32 v155, v7, v4 :: v_dual_mul_f32 v2, v6, v2
	s_delay_alu instid0(VALU_DEP_2) | instskip(NEXT) | instid1(VALU_DEP_2)
	v_fmac_f32_e32 v153, v6, v1
	v_fmac_f32_e32 v155, v8, v3
	s_delay_alu instid0(VALU_DEP_3) | instskip(SKIP_1) | instid1(VALU_DEP_1)
	v_fma_f32 v154, v5, v1, -v2
	v_mul_f32_e32 v1, v8, v4
	v_fma_f32 v156, v7, v3, -v1
	ds_load_2addr_b64 v[1:4], v21 offset0:87 offset1:88
	ds_load_2addr_b64 v[5:8], v21 offset0:89 offset1:90
	s_wait_loadcnt_dscnt 0x1
	v_mul_f32_e32 v157, v1, v10
	v_mul_f32_e32 v159, v3, v12
	s_delay_alu instid0(VALU_DEP_2) | instskip(NEXT) | instid1(VALU_DEP_2)
	v_fmac_f32_e32 v157, v2, v9
	v_dual_mul_f32 v2, v2, v10 :: v_dual_fmac_f32 v159, v4, v11
	s_delay_alu instid0(VALU_DEP_1) | instskip(SKIP_1) | instid1(VALU_DEP_1)
	v_fma_f32 v158, v1, v9, -v2
	v_mul_f32_e32 v1, v4, v12
	v_fma_f32 v160, v3, v11, -v1
	s_clause 0x1
	scratch_load_b128 v[1:4], off, off offset:312
	scratch_load_b128 v[9:12], off, off offset:328
	s_wait_loadcnt_dscnt 0x100
	v_mul_f32_e32 v161, v5, v2
	v_mul_f32_e32 v2, v6, v2
	s_delay_alu instid0(VALU_DEP_1) | instskip(SKIP_1) | instid1(VALU_DEP_1)
	v_fma_f32 v162, v5, v1, -v2
	v_add_f32_e32 v2, 0, v138
	v_add_f32_e32 v2, v2, v139
	s_delay_alu instid0(VALU_DEP_1) | instskip(NEXT) | instid1(VALU_DEP_1)
	v_add_f32_e32 v2, v2, v25
	v_add_f32_e32 v2, v2, v26
	s_delay_alu instid0(VALU_DEP_1) | instskip(NEXT) | instid1(VALU_DEP_1)
	;; [unrolled: 3-line block ×3, first 2 shown]
	v_add_f32_e32 v2, v2, v132
	v_dual_mul_f32 v163, v7, v4 :: v_dual_add_f32 v2, v2, v133
	s_delay_alu instid0(VALU_DEP_1) | instskip(NEXT) | instid1(VALU_DEP_1)
	v_add_f32_e32 v5, v2, v15
	v_add_f32_e32 v5, v5, v18
	s_delay_alu instid0(VALU_DEP_1) | instskip(SKIP_2) | instid1(VALU_DEP_1)
	v_add_f32_e32 v5, v5, v19
	v_fmac_f32_e32 v161, v6, v1
	v_mul_f32_e32 v1, v8, v4
	v_fma_f32 v164, v7, v3, -v1
	v_add_f32_e32 v1, 0, v22
	s_delay_alu instid0(VALU_DEP_1) | instskip(NEXT) | instid1(VALU_DEP_1)
	v_add_f32_e32 v1, v1, v24
	v_add_f32_e32 v1, v1, v128
	s_delay_alu instid0(VALU_DEP_1) | instskip(SKIP_2) | instid1(VALU_DEP_1)
	v_add_f32_e32 v1, v1, v129
	scratch_load_b64 v[128:129], off, off offset:392
	v_add_f32_e32 v1, v1, v130
	v_add_f32_e32 v1, v1, v131
	s_delay_alu instid0(VALU_DEP_1) | instskip(NEXT) | instid1(VALU_DEP_1)
	v_add_f32_e32 v1, v1, v13
	v_add_f32_e32 v1, v1, v14
	s_delay_alu instid0(VALU_DEP_1) | instskip(NEXT) | instid1(VALU_DEP_1)
	v_add_f32_e32 v1, v1, v16
	v_dual_fmac_f32 v163, v8, v3 :: v_dual_add_f32 v6, v1, v17
	ds_load_2addr_b64 v[1:4], v21 offset0:91 offset1:92
	v_add_f32_e32 v6, v6, v134
	s_delay_alu instid0(VALU_DEP_1) | instskip(NEXT) | instid1(VALU_DEP_1)
	v_add_f32_e32 v13, v6, v135
	v_add_f32_e32 v13, v13, v143
	s_delay_alu instid0(VALU_DEP_1) | instskip(NEXT) | instid1(VALU_DEP_1)
	v_add_f32_e32 v13, v13, v144
	;; [unrolled: 3-line block ×3, first 2 shown]
	v_add_f32_e32 v18, v18, v150
	v_add_f32_e32 v14, v5, v20
	ds_load_2addr_b64 v[5:8], v21 offset0:93 offset1:94
	s_wait_loadcnt_dscnt 0x101
	v_mul_f32_e32 v22, v1, v10
	v_mul_f32_e32 v10, v2, v10
	;; [unrolled: 1-line block ×4, first 2 shown]
	v_add_f32_e32 v14, v14, v141
	v_fmac_f32_e32 v22, v2, v9
	v_fma_f32 v133, v1, v9, -v10
	v_fmac_f32_e32 v132, v4, v11
	v_fma_f32 v134, v3, v11, -v12
	s_clause 0x1
	scratch_load_b128 v[1:4], off, off offset:344
	scratch_load_b128 v[9:12], off, off offset:360
	v_add_f32_e32 v14, v14, v142
	v_add_f32_e32 v18, v18, v152
	s_delay_alu instid0(VALU_DEP_2) | instskip(SKIP_2) | instid1(VALU_DEP_1)
	v_add_f32_e32 v17, v14, v145
	scratch_load_b128 v[13:16], off, off offset:376
	v_dual_add_f32 v18, v18, v154 :: v_dual_add_f32 v17, v17, v147
	v_dual_add_f32 v18, v18, v156 :: v_dual_add_f32 v17, v17, v149
	s_delay_alu instid0(VALU_DEP_1) | instskip(NEXT) | instid1(VALU_DEP_1)
	v_add_f32_e32 v130, v18, v158
	v_add_f32_e32 v135, v130, v160
	s_wait_loadcnt_dscnt 0x200
	v_mul_f32_e32 v139, v5, v2
	v_dual_mul_f32 v2, v6, v2 :: v_dual_add_f32 v17, v17, v151
	v_mul_f32_e32 v140, v7, v4
	v_mul_f32_e32 v4, v8, v4
	s_delay_alu instid0(VALU_DEP_3) | instskip(NEXT) | instid1(VALU_DEP_3)
	v_fma_f32 v2, v5, v1, -v2
	v_dual_add_f32 v17, v17, v153 :: v_dual_fmac_f32 v140, v8, v3
	s_delay_alu instid0(VALU_DEP_1)
	v_add_f32_e32 v24, v17, v155
	ds_load_2addr_b64 v[17:20], v21 offset0:95 offset1:96
	v_add_f32_e32 v131, v24, v157
	ds_load_2addr_b64 v[24:27], v21 offset0:97 offset1:98
	v_add_f32_e32 v135, v135, v162
	v_add_f32_e32 v138, v131, v159
	ds_load_b64 v[130:131], v21 offset:792
	v_add_f32_e32 v138, v138, v161
	s_delay_alu instid0(VALU_DEP_1) | instskip(SKIP_1) | instid1(VALU_DEP_1)
	v_dual_add_f32 v138, v138, v163 :: v_dual_add_f32 v135, v135, v164
	s_wait_loadcnt_dscnt 0x102
	v_dual_mul_f32 v5, v20, v12 :: v_dual_add_f32 v22, v138, v22
	s_delay_alu instid0(VALU_DEP_2) | instskip(SKIP_1) | instid1(VALU_DEP_2)
	v_add_f32_e32 v133, v135, v133
	v_dual_mul_f32 v138, v19, v12 :: v_dual_mul_f32 v135, v17, v10
	v_dual_add_f32 v22, v22, v132 :: v_dual_add_f32 v133, v133, v134
	v_fmac_f32_e32 v139, v6, v1
	v_fma_f32 v1, v7, v3, -v4
	s_wait_loadcnt_dscnt 0x1
	v_mul_f32_e32 v134, v26, v16
	s_wait_dscnt 0x0
	v_mul_f32_e32 v132, v130, v129
	v_add_f32_e32 v2, v133, v2
	v_dual_mul_f32 v141, v24, v14 :: v_dual_add_f32 v4, v22, v139
	v_mul_f32_e32 v3, v18, v10
	v_dual_fmac_f32 v135, v18, v9 :: v_dual_fmac_f32 v138, v20, v11
	s_delay_alu instid0(VALU_DEP_4) | instskip(NEXT) | instid1(VALU_DEP_4)
	v_dual_add_f32 v1, v2, v1 :: v_dual_fmac_f32 v134, v27, v15
	v_add_f32_e32 v2, v4, v140
	s_delay_alu instid0(VALU_DEP_4)
	v_fma_f32 v3, v17, v9, -v3
	v_mul_f32_e32 v4, v25, v14
	v_fma_f32 v5, v19, v11, -v5
	v_dual_fmac_f32 v141, v25, v13 :: v_dual_fmac_f32 v132, v131, v128
	v_add_f32_e32 v2, v2, v135
	v_add_f32_e32 v1, v1, v3
	v_mul_f32_e32 v3, v27, v16
	v_fma_f32 v4, v24, v13, -v4
	s_delay_alu instid0(VALU_DEP_4) | instskip(NEXT) | instid1(VALU_DEP_3)
	v_add_f32_e32 v2, v2, v138
	v_fma_f32 v3, v26, v15, -v3
	s_delay_alu instid0(VALU_DEP_2) | instskip(NEXT) | instid1(VALU_DEP_1)
	v_add_f32_e32 v2, v2, v141
	v_dual_add_f32 v1, v1, v5 :: v_dual_add_f32 v2, v2, v134
	v_mul_f32_e32 v5, v131, v129
	s_delay_alu instid0(VALU_DEP_2) | instskip(NEXT) | instid1(VALU_DEP_3)
	v_add_f32_e32 v1, v1, v4
	v_add_f32_e32 v2, v2, v132
	s_delay_alu instid0(VALU_DEP_3) | instskip(NEXT) | instid1(VALU_DEP_3)
	v_fma_f32 v4, v130, v128, -v5
	v_add_f32_e32 v1, v1, v3
	s_delay_alu instid0(VALU_DEP_3) | instskip(NEXT) | instid1(VALU_DEP_2)
	v_sub_f32_e32 v2, v137, v2
	v_add_f32_e32 v1, v1, v4
	s_delay_alu instid0(VALU_DEP_1)
	v_sub_f32_e32 v1, v136, v1
	scratch_store_b64 off, v[1:2], off offset:128
	v_cmpx_lt_u32_e32 15, v0
	s_cbranch_execz .LBB49_283
; %bb.282:
	scratch_load_b64 v[1:2], off, off offset:120
	v_mov_b32_e32 v22, v21
	scratch_store_b64 off, v[21:22], off offset:120
	s_wait_loadcnt 0x0
	ds_store_b64 v23, v[1:2]
.LBB49_283:
	s_wait_alu 0xfffe
	s_or_b32 exec_lo, exec_lo, s0
	s_wait_storecnt_dscnt 0x0
	s_barrier_signal -1
	s_barrier_wait -1
	global_inv scope:SCOPE_SE
	s_clause 0x4
	scratch_load_b128 v[5:8], off, off offset:128
	scratch_load_b128 v[1:4], off, off offset:144
	;; [unrolled: 1-line block ×5, first 2 shown]
	ds_load_b128 v[24:27], v21 offset:528
	ds_load_b128 v[128:131], v21 offset:544
	;; [unrolled: 1-line block ×3, first 2 shown]
	scratch_load_b64 v[136:137], off, off offset:120
	s_mov_b32 s0, exec_lo
	s_wait_loadcnt_dscnt 0x502
	v_dual_mul_f32 v22, v25, v6 :: v_dual_mul_f32 v139, v26, v8
	v_mul_f32_e32 v138, v24, v6
	v_mul_f32_e32 v6, v27, v8
	s_wait_loadcnt_dscnt 0x300
	v_mul_f32_e32 v140, v134, v12
	v_fma_f32 v22, v24, v5, -v22
	v_dual_fmac_f32 v139, v27, v7 :: v_dual_fmac_f32 v138, v25, v5
	v_mul_f32_e32 v27, v132, v10
	v_mul_f32_e32 v25, v128, v2
	v_fma_f32 v24, v26, v7, -v6
	ds_load_b128 v[5:8], v21 offset:576
	v_mul_f32_e32 v26, v130, v4
	v_dual_mul_f32 v4, v131, v4 :: v_dual_fmac_f32 v27, v133, v9
	v_mul_f32_e32 v10, v133, v10
	v_mul_f32_e32 v12, v135, v12
	;; [unrolled: 1-line block ×3, first 2 shown]
	v_dual_fmac_f32 v25, v129, v1 :: v_dual_fmac_f32 v26, v131, v3
	v_fma_f32 v129, v130, v3, -v4
	v_fma_f32 v130, v132, v9, -v10
	v_fmac_f32_e32 v140, v135, v11
	v_fma_f32 v131, v134, v11, -v12
	ds_load_b128 v[9:12], v21 offset:592
	s_wait_loadcnt_dscnt 0x201
	v_mul_f32_e32 v133, v7, v16
	v_fma_f32 v128, v128, v1, -v2
	scratch_load_b128 v[1:4], off, off offset:208
	v_mul_f32_e32 v132, v5, v14
	v_mul_f32_e32 v14, v6, v14
	;; [unrolled: 1-line block ×3, first 2 shown]
	s_delay_alu instid0(VALU_DEP_3) | instskip(NEXT) | instid1(VALU_DEP_3)
	v_dual_fmac_f32 v133, v8, v15 :: v_dual_fmac_f32 v132, v6, v13
	v_fma_f32 v13, v5, v13, -v14
	s_delay_alu instid0(VALU_DEP_3)
	v_fma_f32 v14, v7, v15, -v16
	ds_load_b128 v[5:8], v21 offset:608
	s_wait_loadcnt_dscnt 0x201
	v_mul_f32_e32 v15, v9, v18
	v_mul_f32_e32 v16, v10, v18
	v_mul_f32_e32 v18, v11, v20
	s_delay_alu instid0(VALU_DEP_3) | instskip(NEXT) | instid1(VALU_DEP_3)
	v_dual_mul_f32 v20, v12, v20 :: v_dual_fmac_f32 v15, v10, v17
	v_fma_f32 v16, v9, v17, -v16
	s_delay_alu instid0(VALU_DEP_3) | instskip(NEXT) | instid1(VALU_DEP_3)
	v_fmac_f32_e32 v18, v12, v19
	v_fma_f32 v17, v11, v19, -v20
	scratch_load_b128 v[9:12], off, off offset:224
	s_wait_loadcnt_dscnt 0x100
	v_mul_f32_e32 v19, v5, v2
	v_mul_f32_e32 v2, v6, v2
	;; [unrolled: 1-line block ×3, first 2 shown]
	s_delay_alu instid0(VALU_DEP_3) | instskip(NEXT) | instid1(VALU_DEP_3)
	v_dual_mul_f32 v4, v8, v4 :: v_dual_fmac_f32 v19, v6, v1
	v_fma_f32 v134, v5, v1, -v2
	s_delay_alu instid0(VALU_DEP_3) | instskip(NEXT) | instid1(VALU_DEP_3)
	v_fmac_f32_e32 v20, v8, v3
	v_fma_f32 v135, v7, v3, -v4
	ds_load_b128 v[1:4], v21 offset:624
	ds_load_b128 v[5:8], v21 offset:640
	s_wait_loadcnt_dscnt 0x1
	v_mul_f32_e32 v141, v1, v10
	v_mul_f32_e32 v10, v2, v10
	s_delay_alu instid0(VALU_DEP_2) | instskip(NEXT) | instid1(VALU_DEP_2)
	v_dual_mul_f32 v142, v3, v12 :: v_dual_fmac_f32 v141, v2, v9
	v_fma_f32 v143, v1, v9, -v10
	v_mul_f32_e32 v1, v4, v12
	s_delay_alu instid0(VALU_DEP_3) | instskip(NEXT) | instid1(VALU_DEP_2)
	v_fmac_f32_e32 v142, v4, v11
	v_fma_f32 v144, v3, v11, -v1
	s_clause 0x1
	scratch_load_b128 v[1:4], off, off offset:240
	scratch_load_b128 v[9:12], off, off offset:256
	s_wait_loadcnt_dscnt 0x100
	v_mul_f32_e32 v145, v5, v2
	v_dual_mul_f32 v2, v6, v2 :: v_dual_mul_f32 v147, v7, v4
	s_delay_alu instid0(VALU_DEP_2) | instskip(NEXT) | instid1(VALU_DEP_2)
	v_fmac_f32_e32 v145, v6, v1
	v_fma_f32 v146, v5, v1, -v2
	v_mul_f32_e32 v1, v8, v4
	s_delay_alu instid0(VALU_DEP_4) | instskip(NEXT) | instid1(VALU_DEP_2)
	v_fmac_f32_e32 v147, v8, v3
	v_fma_f32 v148, v7, v3, -v1
	ds_load_b128 v[1:4], v21 offset:656
	ds_load_b128 v[5:8], v21 offset:672
	s_wait_loadcnt_dscnt 0x1
	v_mul_f32_e32 v149, v1, v10
	v_mul_f32_e32 v151, v3, v12
	s_delay_alu instid0(VALU_DEP_2) | instskip(NEXT) | instid1(VALU_DEP_2)
	v_fmac_f32_e32 v149, v2, v9
	v_dual_mul_f32 v2, v2, v10 :: v_dual_fmac_f32 v151, v4, v11
	s_delay_alu instid0(VALU_DEP_1) | instskip(SKIP_1) | instid1(VALU_DEP_1)
	v_fma_f32 v150, v1, v9, -v2
	v_mul_f32_e32 v1, v4, v12
	v_fma_f32 v152, v3, v11, -v1
	s_clause 0x1
	scratch_load_b128 v[1:4], off, off offset:272
	scratch_load_b128 v[9:12], off, off offset:288
	s_wait_loadcnt_dscnt 0x100
	v_mul_f32_e32 v153, v5, v2
	v_dual_mul_f32 v2, v6, v2 :: v_dual_mul_f32 v155, v7, v4
	s_delay_alu instid0(VALU_DEP_2) | instskip(NEXT) | instid1(VALU_DEP_2)
	v_fmac_f32_e32 v153, v6, v1
	v_fma_f32 v154, v5, v1, -v2
	v_mul_f32_e32 v1, v8, v4
	s_delay_alu instid0(VALU_DEP_4) | instskip(NEXT) | instid1(VALU_DEP_2)
	v_fmac_f32_e32 v155, v8, v3
	v_fma_f32 v156, v7, v3, -v1
	ds_load_b128 v[1:4], v21 offset:688
	ds_load_b128 v[5:8], v21 offset:704
	s_wait_loadcnt_dscnt 0x1
	v_mul_f32_e32 v157, v1, v10
	v_mul_f32_e32 v159, v3, v12
	s_delay_alu instid0(VALU_DEP_2) | instskip(NEXT) | instid1(VALU_DEP_2)
	v_fmac_f32_e32 v157, v2, v9
	v_dual_mul_f32 v2, v2, v10 :: v_dual_fmac_f32 v159, v4, v11
	s_delay_alu instid0(VALU_DEP_1) | instskip(SKIP_1) | instid1(VALU_DEP_1)
	v_fma_f32 v158, v1, v9, -v2
	v_mul_f32_e32 v1, v4, v12
	v_fma_f32 v160, v3, v11, -v1
	s_clause 0x1
	scratch_load_b128 v[1:4], off, off offset:304
	scratch_load_b128 v[9:12], off, off offset:320
	s_wait_loadcnt_dscnt 0x100
	v_mul_f32_e32 v161, v5, v2
	v_mul_f32_e32 v2, v6, v2
	s_delay_alu instid0(VALU_DEP_1) | instskip(SKIP_1) | instid1(VALU_DEP_1)
	v_fma_f32 v162, v5, v1, -v2
	v_add_f32_e32 v2, 0, v138
	v_add_f32_e32 v2, v2, v139
	s_delay_alu instid0(VALU_DEP_1) | instskip(NEXT) | instid1(VALU_DEP_1)
	v_dual_add_f32 v2, v2, v25 :: v_dual_mul_f32 v163, v7, v4
	v_add_f32_e32 v2, v2, v26
	s_delay_alu instid0(VALU_DEP_1) | instskip(NEXT) | instid1(VALU_DEP_3)
	v_add_f32_e32 v2, v2, v27
	v_fmac_f32_e32 v163, v8, v3
	v_fmac_f32_e32 v161, v6, v1
	s_delay_alu instid0(VALU_DEP_3) | instskip(NEXT) | instid1(VALU_DEP_1)
	v_add_f32_e32 v2, v2, v140
	v_add_f32_e32 v2, v2, v132
	s_delay_alu instid0(VALU_DEP_1) | instskip(NEXT) | instid1(VALU_DEP_1)
	v_dual_mul_f32 v1, v8, v4 :: v_dual_add_f32 v2, v2, v133
	v_fma_f32 v164, v7, v3, -v1
	s_delay_alu instid0(VALU_DEP_2) | instskip(NEXT) | instid1(VALU_DEP_1)
	v_dual_add_f32 v1, 0, v22 :: v_dual_add_f32 v2, v2, v15
	v_add_f32_e32 v1, v1, v24
	s_delay_alu instid0(VALU_DEP_2) | instskip(NEXT) | instid1(VALU_DEP_2)
	v_add_f32_e32 v5, v2, v18
	v_add_f32_e32 v1, v1, v128
	s_delay_alu instid0(VALU_DEP_1) | instskip(NEXT) | instid1(VALU_DEP_1)
	v_add_f32_e32 v1, v1, v129
	v_add_f32_e32 v1, v1, v130
	s_delay_alu instid0(VALU_DEP_1) | instskip(NEXT) | instid1(VALU_DEP_1)
	v_add_f32_e32 v1, v1, v131
	v_add_f32_e32 v1, v1, v13
	;; [unrolled: 1-line block ×3, first 2 shown]
	s_delay_alu instid0(VALU_DEP_2) | instskip(NEXT) | instid1(VALU_DEP_2)
	v_add_f32_e32 v1, v1, v14
	v_add_f32_e32 v13, v13, v20
	s_delay_alu instid0(VALU_DEP_2) | instskip(NEXT) | instid1(VALU_DEP_1)
	v_add_f32_e32 v1, v1, v16
	v_add_f32_e32 v1, v1, v17
	s_delay_alu instid0(VALU_DEP_1) | instskip(SKIP_4) | instid1(VALU_DEP_1)
	v_add_f32_e32 v6, v1, v134
	ds_load_b128 v[1:4], v21 offset:720
	v_add_f32_e32 v14, v6, v135
	scratch_load_b128 v[5:8], off, off offset:336
	v_dual_add_f32 v13, v13, v141 :: v_dual_add_f32 v14, v14, v143
	v_dual_add_f32 v18, v13, v142 :: v_dual_add_f32 v17, v14, v144
	ds_load_b128 v[13:16], v21 offset:736
	v_add_f32_e32 v18, v18, v145
	s_wait_loadcnt_dscnt 0x101
	v_mul_f32_e32 v22, v1, v10
	s_delay_alu instid0(VALU_DEP_2)
	v_add_f32_e32 v18, v18, v147
	v_mul_f32_e32 v10, v2, v10
	v_mul_f32_e32 v128, v3, v12
	;; [unrolled: 1-line block ×3, first 2 shown]
	v_fmac_f32_e32 v22, v2, v9
	v_add_f32_e32 v24, v18, v149
	v_fma_f32 v129, v1, v9, -v10
	v_fmac_f32_e32 v128, v4, v11
	v_fma_f32 v130, v3, v11, -v12
	scratch_load_b128 v[1:4], off, off offset:352
	v_dual_add_f32 v24, v24, v151 :: v_dual_add_f32 v17, v17, v146
	scratch_load_b128 v[9:12], off, off offset:368
	s_wait_loadcnt_dscnt 0x200
	v_dual_add_f32 v24, v24, v153 :: v_dual_mul_f32 v131, v13, v6
	v_mul_f32_e32 v132, v15, v8
	v_add_f32_e32 v17, v17, v148
	v_mul_f32_e32 v8, v16, v8
	v_mul_f32_e32 v6, v14, v6
	s_delay_alu instid0(VALU_DEP_4) | instskip(NEXT) | instid1(VALU_DEP_4)
	v_dual_fmac_f32 v131, v14, v5 :: v_dual_fmac_f32 v132, v16, v7
	v_add_f32_e32 v17, v17, v150
	s_delay_alu instid0(VALU_DEP_4) | instskip(NEXT) | instid1(VALU_DEP_4)
	v_fma_f32 v134, v15, v7, -v8
	v_fma_f32 v133, v13, v5, -v6
	ds_load_b128 v[5:8], v21 offset:752
	v_add_f32_e32 v25, v17, v152
	scratch_load_b128 v[17:20], off, off offset:384
	v_add_f32_e32 v25, v25, v154
	s_delay_alu instid0(VALU_DEP_1) | instskip(NEXT) | instid1(VALU_DEP_1)
	v_add_f32_e32 v25, v25, v156
	v_dual_add_f32 v13, v24, v155 :: v_dual_add_f32 v24, v25, v158
	s_delay_alu instid0(VALU_DEP_1)
	v_add_f32_e32 v25, v13, v157
	ds_load_b128 v[13:16], v21 offset:768
	v_dual_add_f32 v135, v24, v160 :: v_dual_add_f32 v138, v25, v159
	ds_load_b128 v[24:27], v21 offset:784
	v_add_f32_e32 v21, v135, v162
	s_wait_loadcnt_dscnt 0x202
	v_dual_add_f32 v135, v138, v161 :: v_dual_mul_f32 v138, v5, v2
	s_delay_alu instid0(VALU_DEP_1) | instskip(NEXT) | instid1(VALU_DEP_2)
	v_dual_mul_f32 v2, v6, v2 :: v_dual_add_f32 v135, v135, v163
	v_fmac_f32_e32 v138, v6, v1
	s_delay_alu instid0(VALU_DEP_2) | instskip(NEXT) | instid1(VALU_DEP_3)
	v_fma_f32 v2, v5, v1, -v2
	v_add_f32_e32 v22, v135, v22
	s_wait_loadcnt_dscnt 0x101
	v_mul_f32_e32 v135, v13, v10
	v_mul_f32_e32 v6, v14, v10
	s_delay_alu instid0(VALU_DEP_3) | instskip(NEXT) | instid1(VALU_DEP_1)
	v_add_f32_e32 v22, v22, v128
	v_dual_add_f32 v21, v21, v164 :: v_dual_add_f32 v22, v22, v131
	s_delay_alu instid0(VALU_DEP_1) | instskip(SKIP_4) | instid1(VALU_DEP_1)
	v_add_f32_e32 v21, v21, v129
	v_mul_f32_e32 v129, v7, v4
	v_mul_f32_e32 v4, v8, v4
	s_wait_loadcnt_dscnt 0x0
	v_dual_mul_f32 v128, v24, v18 :: v_dual_add_f32 v5, v22, v132
	v_dual_fmac_f32 v128, v25, v17 :: v_dual_fmac_f32 v129, v8, v3
	v_add_f32_e32 v21, v21, v130
	v_fma_f32 v3, v7, v3, -v4
	v_dual_mul_f32 v4, v16, v12 :: v_dual_fmac_f32 v135, v14, v9
	v_mul_f32_e32 v139, v15, v12
	s_delay_alu instid0(VALU_DEP_4) | instskip(NEXT) | instid1(VALU_DEP_3)
	v_dual_add_f32 v21, v21, v133 :: v_dual_mul_f32 v130, v26, v20
	v_fma_f32 v4, v15, v11, -v4
	s_delay_alu instid0(VALU_DEP_2) | instskip(NEXT) | instid1(VALU_DEP_1)
	v_dual_add_f32 v1, v21, v134 :: v_dual_fmac_f32 v130, v27, v19
	v_add_f32_e32 v1, v1, v2
	v_dual_add_f32 v2, v5, v138 :: v_dual_fmac_f32 v139, v16, v11
	v_fma_f32 v5, v13, v9, -v6
	s_delay_alu instid0(VALU_DEP_2) | instskip(NEXT) | instid1(VALU_DEP_1)
	v_add_f32_e32 v2, v2, v129
	v_add_f32_e32 v2, v2, v135
	s_delay_alu instid0(VALU_DEP_1) | instskip(NEXT) | instid1(VALU_DEP_1)
	v_add_f32_e32 v2, v2, v139
	v_dual_add_f32 v2, v2, v128 :: v_dual_add_f32 v1, v1, v3
	v_mul_f32_e32 v3, v25, v18
	s_delay_alu instid0(VALU_DEP_2) | instskip(SKIP_1) | instid1(VALU_DEP_3)
	v_dual_add_f32 v2, v2, v130 :: v_dual_add_f32 v1, v1, v5
	v_mul_f32_e32 v5, v27, v20
	v_fma_f32 v3, v24, v17, -v3
	s_delay_alu instid0(VALU_DEP_3) | instskip(NEXT) | instid1(VALU_DEP_4)
	v_sub_f32_e32 v2, v137, v2
	v_add_f32_e32 v1, v1, v4
	s_delay_alu instid0(VALU_DEP_4) | instskip(NEXT) | instid1(VALU_DEP_2)
	v_fma_f32 v4, v26, v19, -v5
	v_add_f32_e32 v1, v1, v3
	s_delay_alu instid0(VALU_DEP_1) | instskip(NEXT) | instid1(VALU_DEP_1)
	v_add_f32_e32 v1, v1, v4
	v_sub_f32_e32 v1, v136, v1
	scratch_store_b64 off, v[1:2], off offset:120
	v_cmpx_lt_u32_e32 14, v0
	s_cbranch_execz .LBB49_285
; %bb.284:
	scratch_load_b64 v[1:2], off, off offset:112
	v_mov_b32_e32 v3, 0
	s_delay_alu instid0(VALU_DEP_1)
	v_mov_b32_e32 v4, v3
	scratch_store_b64 off, v[3:4], off offset:112
	s_wait_loadcnt 0x0
	ds_store_b64 v23, v[1:2]
.LBB49_285:
	s_wait_alu 0xfffe
	s_or_b32 exec_lo, exec_lo, s0
	s_wait_storecnt_dscnt 0x0
	s_barrier_signal -1
	s_barrier_wait -1
	global_inv scope:SCOPE_SE
	s_clause 0x4
	scratch_load_b128 v[5:8], off, off offset:120
	scratch_load_b128 v[1:4], off, off offset:136
	;; [unrolled: 1-line block ×5, first 2 shown]
	v_mov_b32_e32 v21, 0
	ds_load_2addr_b64 v[24:27], v21 offset0:65 offset1:66
	ds_load_2addr_b64 v[128:131], v21 offset0:67 offset1:68
	;; [unrolled: 1-line block ×3, first 2 shown]
	scratch_load_b64 v[136:137], off, off offset:112
	s_mov_b32 s0, exec_lo
	s_wait_loadcnt_dscnt 0x502
	v_mul_f32_e32 v22, v25, v6
	v_dual_mul_f32 v138, v24, v6 :: v_dual_mul_f32 v139, v26, v8
	v_mul_f32_e32 v6, v27, v8
	s_delay_alu instid0(VALU_DEP_3) | instskip(NEXT) | instid1(VALU_DEP_3)
	v_fma_f32 v22, v24, v5, -v22
	v_dual_fmac_f32 v138, v25, v5 :: v_dual_fmac_f32 v139, v27, v7
	s_wait_loadcnt_dscnt 0x401
	v_mul_f32_e32 v25, v128, v2
	v_fma_f32 v24, v26, v7, -v6
	ds_load_2addr_b64 v[5:8], v21 offset0:71 offset1:72
	s_wait_loadcnt_dscnt 0x301
	v_dual_mul_f32 v26, v130, v4 :: v_dual_mul_f32 v27, v132, v10
	v_dual_mul_f32 v4, v131, v4 :: v_dual_fmac_f32 v25, v129, v1
	v_mul_f32_e32 v10, v133, v10
	s_delay_alu instid0(VALU_DEP_3)
	v_dual_mul_f32 v140, v134, v12 :: v_dual_fmac_f32 v27, v133, v9
	v_mul_f32_e32 v12, v135, v12
	v_mul_f32_e32 v2, v129, v2
	v_fmac_f32_e32 v26, v131, v3
	v_fma_f32 v129, v130, v3, -v4
	v_fma_f32 v130, v132, v9, -v10
	v_fmac_f32_e32 v140, v135, v11
	v_fma_f32 v131, v134, v11, -v12
	ds_load_2addr_b64 v[9:12], v21 offset0:73 offset1:74
	s_wait_loadcnt_dscnt 0x201
	v_mul_f32_e32 v133, v7, v16
	v_fma_f32 v128, v128, v1, -v2
	scratch_load_b128 v[1:4], off, off offset:200
	v_mul_f32_e32 v132, v5, v14
	v_mul_f32_e32 v14, v6, v14
	;; [unrolled: 1-line block ×3, first 2 shown]
	s_delay_alu instid0(VALU_DEP_3) | instskip(NEXT) | instid1(VALU_DEP_3)
	v_dual_fmac_f32 v133, v8, v15 :: v_dual_fmac_f32 v132, v6, v13
	v_fma_f32 v13, v5, v13, -v14
	s_delay_alu instid0(VALU_DEP_3)
	v_fma_f32 v14, v7, v15, -v16
	ds_load_2addr_b64 v[5:8], v21 offset0:75 offset1:76
	s_wait_loadcnt_dscnt 0x201
	v_mul_f32_e32 v15, v9, v18
	v_mul_f32_e32 v16, v10, v18
	;; [unrolled: 1-line block ×3, first 2 shown]
	s_delay_alu instid0(VALU_DEP_3) | instskip(NEXT) | instid1(VALU_DEP_3)
	v_dual_mul_f32 v20, v12, v20 :: v_dual_fmac_f32 v15, v10, v17
	v_fma_f32 v16, v9, v17, -v16
	s_delay_alu instid0(VALU_DEP_3) | instskip(NEXT) | instid1(VALU_DEP_3)
	v_fmac_f32_e32 v18, v12, v19
	v_fma_f32 v17, v11, v19, -v20
	scratch_load_b128 v[9:12], off, off offset:216
	s_wait_loadcnt_dscnt 0x100
	v_mul_f32_e32 v19, v5, v2
	v_mul_f32_e32 v2, v6, v2
	;; [unrolled: 1-line block ×3, first 2 shown]
	s_delay_alu instid0(VALU_DEP_3) | instskip(NEXT) | instid1(VALU_DEP_3)
	v_dual_mul_f32 v4, v8, v4 :: v_dual_fmac_f32 v19, v6, v1
	v_fma_f32 v134, v5, v1, -v2
	s_delay_alu instid0(VALU_DEP_3) | instskip(NEXT) | instid1(VALU_DEP_3)
	v_fmac_f32_e32 v20, v8, v3
	v_fma_f32 v135, v7, v3, -v4
	ds_load_2addr_b64 v[1:4], v21 offset0:77 offset1:78
	ds_load_2addr_b64 v[5:8], v21 offset0:79 offset1:80
	s_wait_loadcnt_dscnt 0x1
	v_mul_f32_e32 v141, v1, v10
	v_mul_f32_e32 v10, v2, v10
	s_delay_alu instid0(VALU_DEP_2) | instskip(NEXT) | instid1(VALU_DEP_2)
	v_dual_mul_f32 v142, v3, v12 :: v_dual_fmac_f32 v141, v2, v9
	v_fma_f32 v143, v1, v9, -v10
	v_mul_f32_e32 v1, v4, v12
	s_delay_alu instid0(VALU_DEP_3) | instskip(NEXT) | instid1(VALU_DEP_2)
	v_fmac_f32_e32 v142, v4, v11
	v_fma_f32 v144, v3, v11, -v1
	s_clause 0x1
	scratch_load_b128 v[1:4], off, off offset:232
	scratch_load_b128 v[9:12], off, off offset:248
	s_wait_loadcnt_dscnt 0x100
	v_mul_f32_e32 v145, v5, v2
	v_dual_mul_f32 v2, v6, v2 :: v_dual_mul_f32 v147, v7, v4
	s_delay_alu instid0(VALU_DEP_2) | instskip(NEXT) | instid1(VALU_DEP_2)
	v_fmac_f32_e32 v145, v6, v1
	v_fma_f32 v146, v5, v1, -v2
	v_mul_f32_e32 v1, v8, v4
	s_delay_alu instid0(VALU_DEP_4) | instskip(NEXT) | instid1(VALU_DEP_2)
	v_fmac_f32_e32 v147, v8, v3
	v_fma_f32 v148, v7, v3, -v1
	ds_load_2addr_b64 v[1:4], v21 offset0:81 offset1:82
	ds_load_2addr_b64 v[5:8], v21 offset0:83 offset1:84
	s_wait_loadcnt_dscnt 0x1
	v_mul_f32_e32 v149, v1, v10
	v_mul_f32_e32 v151, v3, v12
	s_delay_alu instid0(VALU_DEP_2) | instskip(NEXT) | instid1(VALU_DEP_2)
	v_fmac_f32_e32 v149, v2, v9
	v_dual_mul_f32 v2, v2, v10 :: v_dual_fmac_f32 v151, v4, v11
	s_delay_alu instid0(VALU_DEP_1) | instskip(SKIP_1) | instid1(VALU_DEP_1)
	v_fma_f32 v150, v1, v9, -v2
	v_mul_f32_e32 v1, v4, v12
	v_fma_f32 v152, v3, v11, -v1
	s_clause 0x1
	scratch_load_b128 v[1:4], off, off offset:264
	scratch_load_b128 v[9:12], off, off offset:280
	s_wait_loadcnt_dscnt 0x100
	v_mul_f32_e32 v153, v5, v2
	v_dual_mul_f32 v155, v7, v4 :: v_dual_mul_f32 v2, v6, v2
	s_delay_alu instid0(VALU_DEP_2) | instskip(NEXT) | instid1(VALU_DEP_2)
	v_fmac_f32_e32 v153, v6, v1
	v_fmac_f32_e32 v155, v8, v3
	s_delay_alu instid0(VALU_DEP_3) | instskip(SKIP_1) | instid1(VALU_DEP_1)
	v_fma_f32 v154, v5, v1, -v2
	v_mul_f32_e32 v1, v8, v4
	v_fma_f32 v156, v7, v3, -v1
	ds_load_2addr_b64 v[1:4], v21 offset0:85 offset1:86
	ds_load_2addr_b64 v[5:8], v21 offset0:87 offset1:88
	s_wait_loadcnt_dscnt 0x1
	v_mul_f32_e32 v157, v1, v10
	v_mul_f32_e32 v159, v3, v12
	s_delay_alu instid0(VALU_DEP_2) | instskip(NEXT) | instid1(VALU_DEP_2)
	v_fmac_f32_e32 v157, v2, v9
	v_dual_mul_f32 v2, v2, v10 :: v_dual_fmac_f32 v159, v4, v11
	s_delay_alu instid0(VALU_DEP_1) | instskip(SKIP_1) | instid1(VALU_DEP_1)
	v_fma_f32 v158, v1, v9, -v2
	v_mul_f32_e32 v1, v4, v12
	v_fma_f32 v160, v3, v11, -v1
	s_clause 0x1
	scratch_load_b128 v[1:4], off, off offset:296
	scratch_load_b128 v[9:12], off, off offset:312
	s_wait_loadcnt_dscnt 0x100
	v_mul_f32_e32 v161, v5, v2
	v_mul_f32_e32 v2, v6, v2
	s_delay_alu instid0(VALU_DEP_1) | instskip(SKIP_1) | instid1(VALU_DEP_1)
	v_fma_f32 v162, v5, v1, -v2
	v_add_f32_e32 v2, 0, v138
	v_add_f32_e32 v2, v2, v139
	s_delay_alu instid0(VALU_DEP_1) | instskip(NEXT) | instid1(VALU_DEP_1)
	v_add_f32_e32 v2, v2, v25
	v_add_f32_e32 v2, v2, v26
	s_delay_alu instid0(VALU_DEP_1) | instskip(SKIP_1) | instid1(VALU_DEP_2)
	v_add_f32_e32 v2, v2, v27
	v_fmac_f32_e32 v161, v6, v1
	v_add_f32_e32 v2, v2, v140
	s_delay_alu instid0(VALU_DEP_1) | instskip(NEXT) | instid1(VALU_DEP_1)
	v_add_f32_e32 v2, v2, v132
	v_dual_mul_f32 v163, v7, v4 :: v_dual_add_f32 v2, v2, v133
	s_delay_alu instid0(VALU_DEP_1) | instskip(NEXT) | instid1(VALU_DEP_1)
	v_dual_mul_f32 v1, v8, v4 :: v_dual_add_f32 v2, v2, v15
	v_fma_f32 v164, v7, v3, -v1
	v_add_f32_e32 v1, 0, v22
	s_delay_alu instid0(VALU_DEP_3) | instskip(NEXT) | instid1(VALU_DEP_2)
	v_add_f32_e32 v5, v2, v18
	v_add_f32_e32 v1, v1, v24
	s_delay_alu instid0(VALU_DEP_1) | instskip(NEXT) | instid1(VALU_DEP_1)
	v_add_f32_e32 v1, v1, v128
	v_add_f32_e32 v1, v1, v129
	scratch_load_b64 v[128:129], off, off offset:392
	v_add_f32_e32 v1, v1, v130
	s_delay_alu instid0(VALU_DEP_1) | instskip(NEXT) | instid1(VALU_DEP_1)
	v_add_f32_e32 v1, v1, v131
	v_add_f32_e32 v1, v1, v13
	;; [unrolled: 1-line block ×3, first 2 shown]
	s_delay_alu instid0(VALU_DEP_2) | instskip(NEXT) | instid1(VALU_DEP_2)
	v_add_f32_e32 v1, v1, v14
	v_add_f32_e32 v13, v13, v20
	s_delay_alu instid0(VALU_DEP_2) | instskip(NEXT) | instid1(VALU_DEP_2)
	v_add_f32_e32 v1, v1, v16
	v_add_f32_e32 v13, v13, v141
	v_fmac_f32_e32 v163, v8, v3
	s_delay_alu instid0(VALU_DEP_3) | instskip(NEXT) | instid1(VALU_DEP_3)
	v_add_f32_e32 v1, v1, v17
	v_add_f32_e32 v18, v13, v142
	s_delay_alu instid0(VALU_DEP_2)
	v_add_f32_e32 v6, v1, v134
	scratch_load_b128 v[1:4], off, off offset:328
	v_add_f32_e32 v18, v18, v145
	v_add_f32_e32 v14, v6, v135
	ds_load_2addr_b64 v[5:8], v21 offset0:89 offset1:90
	v_add_f32_e32 v18, v18, v147
	v_add_f32_e32 v14, v14, v143
	s_delay_alu instid0(VALU_DEP_2) | instskip(NEXT) | instid1(VALU_DEP_2)
	v_add_f32_e32 v24, v18, v149
	v_add_f32_e32 v17, v14, v144
	ds_load_2addr_b64 v[13:16], v21 offset0:91 offset1:92
	v_add_f32_e32 v24, v24, v151
	s_delay_alu instid0(VALU_DEP_1)
	v_add_f32_e32 v24, v24, v153
	s_wait_loadcnt_dscnt 0x201
	v_mul_f32_e32 v22, v5, v10
	v_mul_f32_e32 v10, v6, v10
	;; [unrolled: 1-line block ×3, first 2 shown]
	v_dual_mul_f32 v12, v8, v12 :: v_dual_add_f32 v17, v17, v146
	s_delay_alu instid0(VALU_DEP_4) | instskip(NEXT) | instid1(VALU_DEP_4)
	v_fmac_f32_e32 v22, v6, v9
	v_fma_f32 v133, v5, v9, -v10
	s_delay_alu instid0(VALU_DEP_4) | instskip(NEXT) | instid1(VALU_DEP_4)
	v_fmac_f32_e32 v132, v8, v11
	v_fma_f32 v134, v7, v11, -v12
	s_clause 0x1
	scratch_load_b128 v[5:8], off, off offset:344
	scratch_load_b128 v[9:12], off, off offset:360
	v_dual_add_f32 v17, v17, v148 :: v_dual_add_f32 v24, v24, v155
	s_wait_loadcnt_dscnt 0x200
	s_delay_alu instid0(VALU_DEP_1) | instskip(NEXT) | instid1(VALU_DEP_1)
	v_dual_add_f32 v17, v17, v150 :: v_dual_mul_f32 v138, v15, v4
	v_add_f32_e32 v25, v17, v152
	scratch_load_b128 v[17:20], off, off offset:376
	v_mul_f32_e32 v135, v13, v2
	v_mul_f32_e32 v2, v14, v2
	v_dual_fmac_f32 v138, v16, v3 :: v_dual_add_f32 v25, v25, v154
	v_mul_f32_e32 v4, v16, v4
	s_delay_alu instid0(VALU_DEP_3) | instskip(SKIP_1) | instid1(VALU_DEP_4)
	v_fma_f32 v139, v13, v1, -v2
	v_add_f32_e32 v13, v24, v157
	v_add_f32_e32 v25, v25, v156
	s_delay_alu instid0(VALU_DEP_4) | instskip(NEXT) | instid1(VALU_DEP_3)
	v_fma_f32 v140, v15, v3, -v4
	v_add_f32_e32 v24, v13, v159
	s_delay_alu instid0(VALU_DEP_1) | instskip(NEXT) | instid1(VALU_DEP_1)
	v_add_f32_e32 v131, v24, v161
	v_add_f32_e32 v142, v131, v163
	s_delay_alu instid0(VALU_DEP_1) | instskip(NEXT) | instid1(VALU_DEP_1)
	v_add_f32_e32 v22, v142, v22
	v_dual_add_f32 v25, v25, v158 :: v_dual_add_f32 v22, v22, v132
	s_delay_alu instid0(VALU_DEP_1)
	v_dual_fmac_f32 v135, v14, v1 :: v_dual_add_f32 v14, v25, v160
	ds_load_2addr_b64 v[1:4], v21 offset0:93 offset1:94
	ds_load_2addr_b64 v[24:27], v21 offset0:97 offset1:98
	v_add_f32_e32 v22, v22, v135
	v_add_f32_e32 v130, v14, v162
	ds_load_2addr_b64 v[13:16], v21 offset0:95 offset1:96
	v_add_f32_e32 v22, v22, v138
	v_add_f32_e32 v141, v130, v164
	ds_load_b64 v[130:131], v21 offset:792
	s_wait_loadcnt_dscnt 0x203
	v_dual_add_f32 v133, v141, v133 :: v_dual_mul_f32 v132, v3, v8
	s_delay_alu instid0(VALU_DEP_1)
	v_add_f32_e32 v133, v133, v134
	v_dual_mul_f32 v141, v1, v6 :: v_dual_mul_f32 v8, v4, v8
	v_mul_f32_e32 v6, v2, v6
	s_wait_loadcnt_dscnt 0x101
	v_dual_mul_f32 v134, v13, v10 :: v_dual_mul_f32 v135, v15, v12
	v_add_f32_e32 v133, v133, v139
	v_dual_fmac_f32 v141, v2, v5 :: v_dual_fmac_f32 v132, v4, v7
	v_fma_f32 v1, v1, v5, -v6
	v_fma_f32 v2, v3, v7, -v8
	s_delay_alu instid0(VALU_DEP_3) | instskip(SKIP_2) | instid1(VALU_DEP_3)
	v_dual_add_f32 v133, v133, v140 :: v_dual_add_f32 v4, v22, v141
	v_dual_mul_f32 v5, v16, v12 :: v_dual_fmac_f32 v134, v14, v9
	v_mul_f32_e32 v3, v14, v10
	v_add_f32_e32 v1, v133, v1
	s_wait_dscnt 0x0
	v_dual_fmac_f32 v135, v16, v11 :: v_dual_mul_f32 v138, v130, v129
	v_fma_f32 v5, v15, v11, -v5
	s_delay_alu instid0(VALU_DEP_3) | instskip(SKIP_1) | instid1(VALU_DEP_4)
	v_dual_add_f32 v1, v1, v2 :: v_dual_add_f32 v2, v4, v132
	v_fma_f32 v3, v13, v9, -v3
	v_fmac_f32_e32 v138, v131, v128
	s_delay_alu instid0(VALU_DEP_2) | instskip(SKIP_1) | instid1(VALU_DEP_1)
	v_dual_add_f32 v2, v2, v134 :: v_dual_add_f32 v1, v1, v3
	s_wait_loadcnt 0x0
	v_dual_add_f32 v2, v2, v135 :: v_dual_mul_f32 v3, v27, v20
	v_mul_f32_e32 v139, v24, v18
	v_mul_f32_e32 v4, v25, v18
	;; [unrolled: 1-line block ×3, first 2 shown]
	s_delay_alu instid0(VALU_DEP_4) | instskip(NEXT) | instid1(VALU_DEP_4)
	v_fma_f32 v3, v26, v19, -v3
	v_fmac_f32_e32 v139, v25, v17
	s_delay_alu instid0(VALU_DEP_4) | instskip(NEXT) | instid1(VALU_DEP_4)
	v_fma_f32 v4, v24, v17, -v4
	v_dual_fmac_f32 v140, v27, v19 :: v_dual_add_f32 v1, v1, v5
	s_delay_alu instid0(VALU_DEP_3) | instskip(NEXT) | instid1(VALU_DEP_1)
	v_dual_add_f32 v2, v2, v139 :: v_dual_mul_f32 v5, v131, v129
	v_add_f32_e32 v2, v2, v140
	s_delay_alu instid0(VALU_DEP_3) | instskip(NEXT) | instid1(VALU_DEP_3)
	v_add_f32_e32 v1, v1, v4
	v_fma_f32 v4, v130, v128, -v5
	s_delay_alu instid0(VALU_DEP_2) | instskip(NEXT) | instid1(VALU_DEP_1)
	v_dual_add_f32 v2, v2, v138 :: v_dual_add_f32 v1, v1, v3
	v_sub_f32_e32 v2, v137, v2
	s_delay_alu instid0(VALU_DEP_2) | instskip(NEXT) | instid1(VALU_DEP_1)
	v_add_f32_e32 v1, v1, v4
	v_sub_f32_e32 v1, v136, v1
	scratch_store_b64 off, v[1:2], off offset:112
	v_cmpx_lt_u32_e32 13, v0
	s_cbranch_execz .LBB49_287
; %bb.286:
	scratch_load_b64 v[1:2], off, off offset:104
	v_mov_b32_e32 v22, v21
	scratch_store_b64 off, v[21:22], off offset:104
	s_wait_loadcnt 0x0
	ds_store_b64 v23, v[1:2]
.LBB49_287:
	s_wait_alu 0xfffe
	s_or_b32 exec_lo, exec_lo, s0
	s_wait_storecnt_dscnt 0x0
	s_barrier_signal -1
	s_barrier_wait -1
	global_inv scope:SCOPE_SE
	s_clause 0x4
	scratch_load_b128 v[5:8], off, off offset:112
	scratch_load_b128 v[1:4], off, off offset:128
	;; [unrolled: 1-line block ×5, first 2 shown]
	ds_load_b128 v[24:27], v21 offset:512
	ds_load_b128 v[128:131], v21 offset:528
	;; [unrolled: 1-line block ×3, first 2 shown]
	scratch_load_b64 v[136:137], off, off offset:104
	s_mov_b32 s0, exec_lo
	s_wait_loadcnt_dscnt 0x502
	v_dual_mul_f32 v22, v25, v6 :: v_dual_mul_f32 v139, v26, v8
	v_mul_f32_e32 v138, v24, v6
	v_mul_f32_e32 v6, v27, v8
	s_wait_loadcnt_dscnt 0x300
	v_mul_f32_e32 v140, v134, v12
	v_fma_f32 v22, v24, v5, -v22
	v_dual_fmac_f32 v139, v27, v7 :: v_dual_fmac_f32 v138, v25, v5
	v_mul_f32_e32 v27, v132, v10
	v_mul_f32_e32 v25, v128, v2
	v_fma_f32 v24, v26, v7, -v6
	ds_load_b128 v[5:8], v21 offset:560
	v_mul_f32_e32 v26, v130, v4
	v_dual_mul_f32 v4, v131, v4 :: v_dual_fmac_f32 v27, v133, v9
	v_mul_f32_e32 v10, v133, v10
	v_mul_f32_e32 v12, v135, v12
	v_mul_f32_e32 v2, v129, v2
	v_dual_fmac_f32 v25, v129, v1 :: v_dual_fmac_f32 v26, v131, v3
	v_fma_f32 v129, v130, v3, -v4
	v_fma_f32 v130, v132, v9, -v10
	v_fmac_f32_e32 v140, v135, v11
	v_fma_f32 v131, v134, v11, -v12
	ds_load_b128 v[9:12], v21 offset:576
	s_wait_loadcnt_dscnt 0x201
	v_mul_f32_e32 v133, v7, v16
	v_fma_f32 v128, v128, v1, -v2
	scratch_load_b128 v[1:4], off, off offset:192
	v_mul_f32_e32 v132, v5, v14
	v_mul_f32_e32 v14, v6, v14
	;; [unrolled: 1-line block ×3, first 2 shown]
	s_delay_alu instid0(VALU_DEP_3) | instskip(NEXT) | instid1(VALU_DEP_3)
	v_dual_fmac_f32 v133, v8, v15 :: v_dual_fmac_f32 v132, v6, v13
	v_fma_f32 v13, v5, v13, -v14
	s_delay_alu instid0(VALU_DEP_3)
	v_fma_f32 v14, v7, v15, -v16
	ds_load_b128 v[5:8], v21 offset:592
	s_wait_loadcnt_dscnt 0x201
	v_mul_f32_e32 v15, v9, v18
	v_mul_f32_e32 v16, v10, v18
	;; [unrolled: 1-line block ×3, first 2 shown]
	s_delay_alu instid0(VALU_DEP_3) | instskip(NEXT) | instid1(VALU_DEP_3)
	v_dual_mul_f32 v20, v12, v20 :: v_dual_fmac_f32 v15, v10, v17
	v_fma_f32 v16, v9, v17, -v16
	s_delay_alu instid0(VALU_DEP_3) | instskip(NEXT) | instid1(VALU_DEP_3)
	v_fmac_f32_e32 v18, v12, v19
	v_fma_f32 v17, v11, v19, -v20
	scratch_load_b128 v[9:12], off, off offset:208
	s_wait_loadcnt_dscnt 0x100
	v_mul_f32_e32 v19, v5, v2
	v_mul_f32_e32 v2, v6, v2
	;; [unrolled: 1-line block ×3, first 2 shown]
	s_delay_alu instid0(VALU_DEP_3) | instskip(NEXT) | instid1(VALU_DEP_3)
	v_dual_mul_f32 v4, v8, v4 :: v_dual_fmac_f32 v19, v6, v1
	v_fma_f32 v134, v5, v1, -v2
	s_delay_alu instid0(VALU_DEP_3) | instskip(NEXT) | instid1(VALU_DEP_3)
	v_fmac_f32_e32 v20, v8, v3
	v_fma_f32 v135, v7, v3, -v4
	ds_load_b128 v[1:4], v21 offset:608
	ds_load_b128 v[5:8], v21 offset:624
	s_wait_loadcnt_dscnt 0x1
	v_mul_f32_e32 v141, v1, v10
	v_mul_f32_e32 v10, v2, v10
	s_delay_alu instid0(VALU_DEP_2) | instskip(NEXT) | instid1(VALU_DEP_2)
	v_dual_mul_f32 v142, v3, v12 :: v_dual_fmac_f32 v141, v2, v9
	v_fma_f32 v143, v1, v9, -v10
	v_mul_f32_e32 v1, v4, v12
	s_delay_alu instid0(VALU_DEP_3) | instskip(NEXT) | instid1(VALU_DEP_2)
	v_fmac_f32_e32 v142, v4, v11
	v_fma_f32 v144, v3, v11, -v1
	s_clause 0x1
	scratch_load_b128 v[1:4], off, off offset:224
	scratch_load_b128 v[9:12], off, off offset:240
	s_wait_loadcnt_dscnt 0x100
	v_mul_f32_e32 v145, v5, v2
	v_dual_mul_f32 v2, v6, v2 :: v_dual_mul_f32 v147, v7, v4
	s_delay_alu instid0(VALU_DEP_2) | instskip(NEXT) | instid1(VALU_DEP_2)
	v_fmac_f32_e32 v145, v6, v1
	v_fma_f32 v146, v5, v1, -v2
	v_mul_f32_e32 v1, v8, v4
	s_delay_alu instid0(VALU_DEP_4) | instskip(NEXT) | instid1(VALU_DEP_2)
	v_fmac_f32_e32 v147, v8, v3
	v_fma_f32 v148, v7, v3, -v1
	ds_load_b128 v[1:4], v21 offset:640
	ds_load_b128 v[5:8], v21 offset:656
	s_wait_loadcnt_dscnt 0x1
	v_mul_f32_e32 v149, v1, v10
	v_mul_f32_e32 v151, v3, v12
	s_delay_alu instid0(VALU_DEP_2) | instskip(NEXT) | instid1(VALU_DEP_2)
	v_fmac_f32_e32 v149, v2, v9
	v_dual_mul_f32 v2, v2, v10 :: v_dual_fmac_f32 v151, v4, v11
	s_delay_alu instid0(VALU_DEP_1) | instskip(SKIP_1) | instid1(VALU_DEP_1)
	v_fma_f32 v150, v1, v9, -v2
	v_mul_f32_e32 v1, v4, v12
	v_fma_f32 v152, v3, v11, -v1
	s_clause 0x1
	scratch_load_b128 v[1:4], off, off offset:256
	scratch_load_b128 v[9:12], off, off offset:272
	s_wait_loadcnt_dscnt 0x100
	v_mul_f32_e32 v153, v5, v2
	v_dual_mul_f32 v2, v6, v2 :: v_dual_mul_f32 v155, v7, v4
	s_delay_alu instid0(VALU_DEP_2) | instskip(NEXT) | instid1(VALU_DEP_2)
	v_fmac_f32_e32 v153, v6, v1
	v_fma_f32 v154, v5, v1, -v2
	v_mul_f32_e32 v1, v8, v4
	s_delay_alu instid0(VALU_DEP_4) | instskip(NEXT) | instid1(VALU_DEP_2)
	v_fmac_f32_e32 v155, v8, v3
	v_fma_f32 v156, v7, v3, -v1
	ds_load_b128 v[1:4], v21 offset:672
	ds_load_b128 v[5:8], v21 offset:688
	s_wait_loadcnt_dscnt 0x1
	v_mul_f32_e32 v157, v1, v10
	v_mul_f32_e32 v159, v3, v12
	s_delay_alu instid0(VALU_DEP_2) | instskip(NEXT) | instid1(VALU_DEP_2)
	v_fmac_f32_e32 v157, v2, v9
	v_dual_mul_f32 v2, v2, v10 :: v_dual_fmac_f32 v159, v4, v11
	s_delay_alu instid0(VALU_DEP_1) | instskip(SKIP_1) | instid1(VALU_DEP_1)
	v_fma_f32 v158, v1, v9, -v2
	v_mul_f32_e32 v1, v4, v12
	;; [unrolled: 25-line block ×3, first 2 shown]
	v_fma_f32 v168, v3, v11, -v1
	s_clause 0x1
	scratch_load_b128 v[1:4], off, off offset:320
	scratch_load_b128 v[9:12], off, off offset:336
	s_wait_loadcnt_dscnt 0x100
	v_mul_f32_e32 v169, v5, v2
	v_mul_f32_e32 v2, v6, v2
	s_delay_alu instid0(VALU_DEP_1) | instskip(SKIP_1) | instid1(VALU_DEP_1)
	v_fma_f32 v170, v5, v1, -v2
	v_add_f32_e32 v2, 0, v138
	v_add_f32_e32 v2, v2, v139
	s_delay_alu instid0(VALU_DEP_1) | instskip(NEXT) | instid1(VALU_DEP_1)
	v_add_f32_e32 v2, v2, v25
	v_add_f32_e32 v2, v2, v26
	s_delay_alu instid0(VALU_DEP_1) | instskip(NEXT) | instid1(VALU_DEP_1)
	;; [unrolled: 3-line block ×4, first 2 shown]
	v_dual_add_f32 v2, v2, v15 :: v_dual_mul_f32 v171, v7, v4
	v_add_f32_e32 v2, v2, v18
	s_delay_alu instid0(VALU_DEP_1) | instskip(SKIP_2) | instid1(VALU_DEP_3)
	v_add_f32_e32 v2, v2, v19
	v_fmac_f32_e32 v169, v6, v1
	v_mul_f32_e32 v1, v8, v4
	v_dual_fmac_f32 v171, v8, v3 :: v_dual_add_f32 v2, v2, v20
	s_delay_alu instid0(VALU_DEP_2) | instskip(SKIP_1) | instid1(VALU_DEP_3)
	v_fma_f32 v172, v7, v3, -v1
	v_add_f32_e32 v1, 0, v22
	v_add_f32_e32 v5, v2, v141
	s_delay_alu instid0(VALU_DEP_2) | instskip(NEXT) | instid1(VALU_DEP_2)
	v_add_f32_e32 v1, v1, v24
	v_add_f32_e32 v5, v5, v142
	s_delay_alu instid0(VALU_DEP_2) | instskip(NEXT) | instid1(VALU_DEP_2)
	v_add_f32_e32 v1, v1, v128
	v_add_f32_e32 v5, v5, v145
	s_delay_alu instid0(VALU_DEP_2) | instskip(NEXT) | instid1(VALU_DEP_1)
	v_add_f32_e32 v1, v1, v129
	v_add_f32_e32 v1, v1, v130
	s_delay_alu instid0(VALU_DEP_1) | instskip(NEXT) | instid1(VALU_DEP_1)
	v_add_f32_e32 v1, v1, v131
	v_add_f32_e32 v1, v1, v13
	s_delay_alu instid0(VALU_DEP_1) | instskip(SKIP_1) | instid1(VALU_DEP_1)
	v_add_f32_e32 v1, v1, v14
	v_add_f32_e32 v14, v5, v147
	;; [unrolled: 1-line block ×3, first 2 shown]
	s_delay_alu instid0(VALU_DEP_1) | instskip(NEXT) | instid1(VALU_DEP_1)
	v_dual_add_f32 v14, v14, v151 :: v_dual_add_f32 v1, v1, v16
	v_add_f32_e32 v1, v1, v17
	s_delay_alu instid0(VALU_DEP_2) | instskip(NEXT) | instid1(VALU_DEP_2)
	v_add_f32_e32 v17, v14, v153
	v_add_f32_e32 v1, v1, v134
	s_delay_alu instid0(VALU_DEP_2) | instskip(NEXT) | instid1(VALU_DEP_2)
	v_add_f32_e32 v17, v17, v155
	;; [unrolled: 3-line block ×4, first 2 shown]
	v_add_f32_e32 v6, v1, v144
	ds_load_b128 v[1:4], v21 offset:736
	v_dual_add_f32 v25, v17, v161 :: v_dual_add_f32 v6, v6, v146
	s_delay_alu instid0(VALU_DEP_1)
	v_dual_add_f32 v132, v25, v163 :: v_dual_add_f32 v13, v6, v148
	ds_load_b128 v[5:8], v21 offset:752
	s_wait_loadcnt_dscnt 0x1
	v_mul_f32_e32 v22, v1, v10
	v_mul_f32_e32 v128, v3, v12
	;; [unrolled: 1-line block ×4, first 2 shown]
	s_delay_alu instid0(VALU_DEP_4) | instskip(NEXT) | instid1(VALU_DEP_4)
	v_fmac_f32_e32 v22, v2, v9
	v_fmac_f32_e32 v128, v4, v11
	s_delay_alu instid0(VALU_DEP_4) | instskip(NEXT) | instid1(VALU_DEP_4)
	v_fma_f32 v129, v1, v9, -v10
	v_fma_f32 v130, v3, v11, -v12
	s_clause 0x1
	scratch_load_b128 v[1:4], off, off offset:352
	scratch_load_b128 v[9:12], off, off offset:368
	v_add_f32_e32 v13, v13, v150
	s_delay_alu instid0(VALU_DEP_1) | instskip(NEXT) | instid1(VALU_DEP_1)
	v_add_f32_e32 v13, v13, v152
	v_add_f32_e32 v13, v13, v154
	s_delay_alu instid0(VALU_DEP_1) | instskip(SKIP_2) | instid1(VALU_DEP_1)
	v_add_f32_e32 v18, v13, v156
	scratch_load_b128 v[13:16], off, off offset:384
	v_add_f32_e32 v18, v18, v158
	v_add_f32_e32 v18, v18, v160
	s_delay_alu instid0(VALU_DEP_1)
	v_add_f32_e32 v24, v18, v162
	ds_load_b128 v[17:20], v21 offset:768
	v_add_f32_e32 v131, v24, v164
	ds_load_b128 v[24:27], v21 offset:784
	s_wait_loadcnt_dscnt 0x101
	v_dual_mul_f32 v133, v7, v4 :: v_dual_mul_f32 v134, v17, v10
	v_add_f32_e32 v21, v131, v166
	v_dual_add_f32 v131, v132, v165 :: v_dual_mul_f32 v132, v5, v2
	v_mul_f32_e32 v2, v6, v2
	v_mul_f32_e32 v4, v8, v4
	s_delay_alu instid0(VALU_DEP_4) | instskip(NEXT) | instid1(VALU_DEP_4)
	v_add_f32_e32 v21, v21, v168
	v_dual_fmac_f32 v133, v8, v3 :: v_dual_fmac_f32 v132, v6, v1
	s_delay_alu instid0(VALU_DEP_4) | instskip(SKIP_1) | instid1(VALU_DEP_4)
	v_fma_f32 v2, v5, v1, -v2
	v_mul_f32_e32 v6, v18, v10
	v_add_f32_e32 v21, v21, v170
	v_fma_f32 v3, v7, v3, -v4
	v_mul_f32_e32 v135, v19, v12
	v_mul_f32_e32 v4, v20, v12
	s_delay_alu instid0(VALU_DEP_4)
	v_dual_fmac_f32 v134, v18, v9 :: v_dual_add_f32 v21, v21, v172
	s_wait_loadcnt_dscnt 0x0
	v_dual_mul_f32 v138, v24, v14 :: v_dual_add_f32 v131, v131, v167
	v_fmac_f32_e32 v135, v20, v11
	v_fma_f32 v4, v19, v11, -v4
	v_add_f32_e32 v21, v21, v129
	s_delay_alu instid0(VALU_DEP_4) | instskip(SKIP_2) | instid1(VALU_DEP_4)
	v_fmac_f32_e32 v138, v25, v13
	v_add_f32_e32 v131, v131, v169
	v_mul_f32_e32 v129, v26, v16
	v_add_f32_e32 v1, v21, v130
	s_delay_alu instid0(VALU_DEP_3) | instskip(NEXT) | instid1(VALU_DEP_3)
	v_add_f32_e32 v131, v131, v171
	v_fmac_f32_e32 v129, v27, v15
	s_delay_alu instid0(VALU_DEP_3) | instskip(NEXT) | instid1(VALU_DEP_1)
	v_add_f32_e32 v1, v1, v2
	v_dual_add_f32 v22, v131, v22 :: v_dual_add_f32 v1, v1, v3
	v_mul_f32_e32 v3, v25, v14
	s_delay_alu instid0(VALU_DEP_2) | instskip(NEXT) | instid1(VALU_DEP_2)
	v_add_f32_e32 v5, v22, v128
	v_fma_f32 v3, v24, v13, -v3
	s_delay_alu instid0(VALU_DEP_2) | instskip(SKIP_1) | instid1(VALU_DEP_2)
	v_add_f32_e32 v2, v5, v132
	v_fma_f32 v5, v17, v9, -v6
	v_add_f32_e32 v2, v2, v133
	s_delay_alu instid0(VALU_DEP_2) | instskip(NEXT) | instid1(VALU_DEP_2)
	v_add_f32_e32 v1, v1, v5
	v_dual_mul_f32 v5, v27, v16 :: v_dual_add_f32 v2, v2, v134
	s_delay_alu instid0(VALU_DEP_2) | instskip(NEXT) | instid1(VALU_DEP_2)
	v_add_f32_e32 v1, v1, v4
	v_fma_f32 v4, v26, v15, -v5
	s_delay_alu instid0(VALU_DEP_3) | instskip(NEXT) | instid1(VALU_DEP_1)
	v_add_f32_e32 v2, v2, v135
	v_dual_add_f32 v1, v1, v3 :: v_dual_add_f32 v2, v2, v138
	s_delay_alu instid0(VALU_DEP_1) | instskip(NEXT) | instid1(VALU_DEP_1)
	v_dual_add_f32 v1, v1, v4 :: v_dual_add_f32 v2, v2, v129
	v_dual_sub_f32 v1, v136, v1 :: v_dual_sub_f32 v2, v137, v2
	scratch_store_b64 off, v[1:2], off offset:104
	v_cmpx_lt_u32_e32 12, v0
	s_cbranch_execz .LBB49_289
; %bb.288:
	scratch_load_b64 v[1:2], off, off offset:96
	v_mov_b32_e32 v3, 0
	s_delay_alu instid0(VALU_DEP_1)
	v_mov_b32_e32 v4, v3
	scratch_store_b64 off, v[3:4], off offset:96
	s_wait_loadcnt 0x0
	ds_store_b64 v23, v[1:2]
.LBB49_289:
	s_wait_alu 0xfffe
	s_or_b32 exec_lo, exec_lo, s0
	s_wait_storecnt_dscnt 0x0
	s_barrier_signal -1
	s_barrier_wait -1
	global_inv scope:SCOPE_SE
	s_clause 0x4
	scratch_load_b128 v[5:8], off, off offset:104
	scratch_load_b128 v[1:4], off, off offset:120
	;; [unrolled: 1-line block ×5, first 2 shown]
	v_mov_b32_e32 v21, 0
	ds_load_2addr_b64 v[24:27], v21 offset0:63 offset1:64
	ds_load_2addr_b64 v[128:131], v21 offset0:65 offset1:66
	;; [unrolled: 1-line block ×3, first 2 shown]
	scratch_load_b64 v[136:137], off, off offset:96
	s_mov_b32 s0, exec_lo
	s_wait_loadcnt_dscnt 0x502
	v_mul_f32_e32 v22, v25, v6
	v_dual_mul_f32 v138, v24, v6 :: v_dual_mul_f32 v139, v26, v8
	v_mul_f32_e32 v6, v27, v8
	s_delay_alu instid0(VALU_DEP_3) | instskip(NEXT) | instid1(VALU_DEP_3)
	v_fma_f32 v22, v24, v5, -v22
	v_dual_fmac_f32 v138, v25, v5 :: v_dual_fmac_f32 v139, v27, v7
	s_wait_loadcnt_dscnt 0x401
	v_mul_f32_e32 v25, v128, v2
	v_fma_f32 v24, v26, v7, -v6
	ds_load_2addr_b64 v[5:8], v21 offset0:69 offset1:70
	s_wait_loadcnt_dscnt 0x301
	v_dual_mul_f32 v26, v130, v4 :: v_dual_mul_f32 v27, v132, v10
	v_dual_mul_f32 v4, v131, v4 :: v_dual_fmac_f32 v25, v129, v1
	v_mul_f32_e32 v10, v133, v10
	s_delay_alu instid0(VALU_DEP_3)
	v_dual_mul_f32 v140, v134, v12 :: v_dual_fmac_f32 v27, v133, v9
	v_mul_f32_e32 v12, v135, v12
	v_mul_f32_e32 v2, v129, v2
	v_fmac_f32_e32 v26, v131, v3
	v_fma_f32 v129, v130, v3, -v4
	v_fma_f32 v130, v132, v9, -v10
	v_fmac_f32_e32 v140, v135, v11
	v_fma_f32 v131, v134, v11, -v12
	ds_load_2addr_b64 v[9:12], v21 offset0:71 offset1:72
	s_wait_loadcnt_dscnt 0x201
	v_mul_f32_e32 v133, v7, v16
	v_fma_f32 v128, v128, v1, -v2
	scratch_load_b128 v[1:4], off, off offset:184
	v_mul_f32_e32 v132, v5, v14
	v_mul_f32_e32 v14, v6, v14
	;; [unrolled: 1-line block ×3, first 2 shown]
	s_delay_alu instid0(VALU_DEP_3) | instskip(NEXT) | instid1(VALU_DEP_3)
	v_dual_fmac_f32 v133, v8, v15 :: v_dual_fmac_f32 v132, v6, v13
	v_fma_f32 v13, v5, v13, -v14
	s_delay_alu instid0(VALU_DEP_3)
	v_fma_f32 v14, v7, v15, -v16
	ds_load_2addr_b64 v[5:8], v21 offset0:73 offset1:74
	s_wait_loadcnt_dscnt 0x201
	v_mul_f32_e32 v15, v9, v18
	v_mul_f32_e32 v16, v10, v18
	;; [unrolled: 1-line block ×3, first 2 shown]
	s_delay_alu instid0(VALU_DEP_3) | instskip(NEXT) | instid1(VALU_DEP_3)
	v_dual_mul_f32 v20, v12, v20 :: v_dual_fmac_f32 v15, v10, v17
	v_fma_f32 v16, v9, v17, -v16
	s_delay_alu instid0(VALU_DEP_3) | instskip(NEXT) | instid1(VALU_DEP_3)
	v_fmac_f32_e32 v18, v12, v19
	v_fma_f32 v17, v11, v19, -v20
	scratch_load_b128 v[9:12], off, off offset:200
	s_wait_loadcnt_dscnt 0x100
	v_mul_f32_e32 v19, v5, v2
	v_mul_f32_e32 v2, v6, v2
	;; [unrolled: 1-line block ×3, first 2 shown]
	s_delay_alu instid0(VALU_DEP_3) | instskip(NEXT) | instid1(VALU_DEP_3)
	v_dual_mul_f32 v4, v8, v4 :: v_dual_fmac_f32 v19, v6, v1
	v_fma_f32 v134, v5, v1, -v2
	s_delay_alu instid0(VALU_DEP_3) | instskip(NEXT) | instid1(VALU_DEP_3)
	v_fmac_f32_e32 v20, v8, v3
	v_fma_f32 v135, v7, v3, -v4
	ds_load_2addr_b64 v[1:4], v21 offset0:75 offset1:76
	ds_load_2addr_b64 v[5:8], v21 offset0:77 offset1:78
	s_wait_loadcnt_dscnt 0x1
	v_mul_f32_e32 v141, v1, v10
	v_mul_f32_e32 v10, v2, v10
	s_delay_alu instid0(VALU_DEP_2) | instskip(NEXT) | instid1(VALU_DEP_2)
	v_dual_mul_f32 v142, v3, v12 :: v_dual_fmac_f32 v141, v2, v9
	v_fma_f32 v143, v1, v9, -v10
	v_mul_f32_e32 v1, v4, v12
	s_delay_alu instid0(VALU_DEP_3) | instskip(NEXT) | instid1(VALU_DEP_2)
	v_fmac_f32_e32 v142, v4, v11
	v_fma_f32 v144, v3, v11, -v1
	s_clause 0x1
	scratch_load_b128 v[1:4], off, off offset:216
	scratch_load_b128 v[9:12], off, off offset:232
	s_wait_loadcnt_dscnt 0x100
	v_mul_f32_e32 v145, v5, v2
	v_dual_mul_f32 v2, v6, v2 :: v_dual_mul_f32 v147, v7, v4
	s_delay_alu instid0(VALU_DEP_2) | instskip(NEXT) | instid1(VALU_DEP_2)
	v_fmac_f32_e32 v145, v6, v1
	v_fma_f32 v146, v5, v1, -v2
	v_mul_f32_e32 v1, v8, v4
	s_delay_alu instid0(VALU_DEP_4) | instskip(NEXT) | instid1(VALU_DEP_2)
	v_fmac_f32_e32 v147, v8, v3
	v_fma_f32 v148, v7, v3, -v1
	ds_load_2addr_b64 v[1:4], v21 offset0:79 offset1:80
	ds_load_2addr_b64 v[5:8], v21 offset0:81 offset1:82
	s_wait_loadcnt_dscnt 0x1
	v_mul_f32_e32 v149, v1, v10
	v_mul_f32_e32 v151, v3, v12
	s_delay_alu instid0(VALU_DEP_2) | instskip(NEXT) | instid1(VALU_DEP_2)
	v_fmac_f32_e32 v149, v2, v9
	v_dual_mul_f32 v2, v2, v10 :: v_dual_fmac_f32 v151, v4, v11
	s_delay_alu instid0(VALU_DEP_1) | instskip(SKIP_1) | instid1(VALU_DEP_1)
	v_fma_f32 v150, v1, v9, -v2
	v_mul_f32_e32 v1, v4, v12
	v_fma_f32 v152, v3, v11, -v1
	s_clause 0x1
	scratch_load_b128 v[1:4], off, off offset:248
	scratch_load_b128 v[9:12], off, off offset:264
	s_wait_loadcnt_dscnt 0x100
	v_mul_f32_e32 v153, v5, v2
	v_dual_mul_f32 v155, v7, v4 :: v_dual_mul_f32 v2, v6, v2
	s_delay_alu instid0(VALU_DEP_2) | instskip(NEXT) | instid1(VALU_DEP_2)
	v_fmac_f32_e32 v153, v6, v1
	v_fmac_f32_e32 v155, v8, v3
	s_delay_alu instid0(VALU_DEP_3) | instskip(SKIP_1) | instid1(VALU_DEP_1)
	v_fma_f32 v154, v5, v1, -v2
	v_mul_f32_e32 v1, v8, v4
	v_fma_f32 v156, v7, v3, -v1
	ds_load_2addr_b64 v[1:4], v21 offset0:83 offset1:84
	ds_load_2addr_b64 v[5:8], v21 offset0:85 offset1:86
	s_wait_loadcnt_dscnt 0x1
	v_mul_f32_e32 v157, v1, v10
	v_mul_f32_e32 v159, v3, v12
	s_delay_alu instid0(VALU_DEP_2) | instskip(NEXT) | instid1(VALU_DEP_2)
	v_fmac_f32_e32 v157, v2, v9
	v_dual_mul_f32 v2, v2, v10 :: v_dual_fmac_f32 v159, v4, v11
	s_delay_alu instid0(VALU_DEP_1) | instskip(SKIP_1) | instid1(VALU_DEP_1)
	v_fma_f32 v158, v1, v9, -v2
	v_mul_f32_e32 v1, v4, v12
	v_fma_f32 v160, v3, v11, -v1
	s_clause 0x1
	scratch_load_b128 v[1:4], off, off offset:280
	scratch_load_b128 v[9:12], off, off offset:296
	s_wait_loadcnt_dscnt 0x100
	v_mul_f32_e32 v161, v5, v2
	v_dual_mul_f32 v2, v6, v2 :: v_dual_mul_f32 v163, v7, v4
	s_delay_alu instid0(VALU_DEP_2) | instskip(NEXT) | instid1(VALU_DEP_2)
	v_fmac_f32_e32 v161, v6, v1
	v_fma_f32 v162, v5, v1, -v2
	v_mul_f32_e32 v1, v8, v4
	s_delay_alu instid0(VALU_DEP_4) | instskip(NEXT) | instid1(VALU_DEP_2)
	v_fmac_f32_e32 v163, v8, v3
	v_fma_f32 v164, v7, v3, -v1
	ds_load_2addr_b64 v[1:4], v21 offset0:87 offset1:88
	ds_load_2addr_b64 v[5:8], v21 offset0:89 offset1:90
	s_wait_loadcnt_dscnt 0x1
	v_mul_f32_e32 v165, v1, v10
	v_mul_f32_e32 v167, v3, v12
	s_delay_alu instid0(VALU_DEP_2) | instskip(NEXT) | instid1(VALU_DEP_2)
	v_fmac_f32_e32 v165, v2, v9
	v_dual_mul_f32 v2, v2, v10 :: v_dual_fmac_f32 v167, v4, v11
	s_delay_alu instid0(VALU_DEP_1) | instskip(SKIP_1) | instid1(VALU_DEP_1)
	v_fma_f32 v166, v1, v9, -v2
	v_mul_f32_e32 v1, v4, v12
	v_fma_f32 v168, v3, v11, -v1
	s_clause 0x1
	scratch_load_b128 v[1:4], off, off offset:312
	scratch_load_b128 v[9:12], off, off offset:328
	s_wait_loadcnt_dscnt 0x100
	v_mul_f32_e32 v169, v5, v2
	v_mul_f32_e32 v2, v6, v2
	s_delay_alu instid0(VALU_DEP_1) | instskip(SKIP_1) | instid1(VALU_DEP_1)
	v_fma_f32 v170, v5, v1, -v2
	v_add_f32_e32 v2, 0, v138
	v_add_f32_e32 v2, v2, v139
	s_delay_alu instid0(VALU_DEP_1) | instskip(NEXT) | instid1(VALU_DEP_1)
	v_add_f32_e32 v2, v2, v25
	v_add_f32_e32 v2, v2, v26
	s_delay_alu instid0(VALU_DEP_1) | instskip(NEXT) | instid1(VALU_DEP_1)
	;; [unrolled: 3-line block ×4, first 2 shown]
	v_add_f32_e32 v2, v2, v15
	v_add_f32_e32 v2, v2, v18
	s_delay_alu instid0(VALU_DEP_1) | instskip(SKIP_2) | instid1(VALU_DEP_3)
	v_add_f32_e32 v2, v2, v19
	v_fmac_f32_e32 v169, v6, v1
	v_mul_f32_e32 v1, v8, v4
	v_add_f32_e32 v2, v2, v20
	s_delay_alu instid0(VALU_DEP_2) | instskip(SKIP_1) | instid1(VALU_DEP_1)
	v_fma_f32 v172, v7, v3, -v1
	v_add_f32_e32 v1, 0, v22
	v_add_f32_e32 v1, v1, v24
	s_delay_alu instid0(VALU_DEP_1) | instskip(NEXT) | instid1(VALU_DEP_1)
	v_add_f32_e32 v1, v1, v128
	v_add_f32_e32 v1, v1, v129
	scratch_load_b64 v[128:129], off, off offset:392
	v_add_f32_e32 v1, v1, v130
	s_delay_alu instid0(VALU_DEP_1) | instskip(NEXT) | instid1(VALU_DEP_1)
	v_add_f32_e32 v1, v1, v131
	v_add_f32_e32 v1, v1, v13
	s_delay_alu instid0(VALU_DEP_1) | instskip(NEXT) | instid1(VALU_DEP_1)
	v_add_f32_e32 v1, v1, v14
	;; [unrolled: 3-line block ×5, first 2 shown]
	v_dual_mul_f32 v171, v7, v4 :: v_dual_add_f32 v6, v6, v146
	s_delay_alu instid0(VALU_DEP_1) | instskip(NEXT) | instid1(VALU_DEP_2)
	v_fmac_f32_e32 v171, v8, v3
	v_add_f32_e32 v13, v6, v148
	s_delay_alu instid0(VALU_DEP_1) | instskip(NEXT) | instid1(VALU_DEP_1)
	v_add_f32_e32 v13, v13, v150
	v_add_f32_e32 v13, v13, v152
	s_delay_alu instid0(VALU_DEP_1) | instskip(SKIP_4) | instid1(VALU_DEP_1)
	v_add_f32_e32 v13, v13, v154
	v_add_f32_e32 v5, v2, v141
	ds_load_2addr_b64 v[1:4], v21 offset0:91 offset1:92
	v_add_f32_e32 v18, v13, v156
	v_add_f32_e32 v5, v5, v142
	v_dual_add_f32 v18, v18, v158 :: v_dual_add_f32 v5, v5, v145
	s_delay_alu instid0(VALU_DEP_1) | instskip(NEXT) | instid1(VALU_DEP_2)
	v_add_f32_e32 v18, v18, v160
	v_add_f32_e32 v14, v5, v147
	ds_load_2addr_b64 v[5:8], v21 offset0:93 offset1:94
	v_add_f32_e32 v18, v18, v162
	v_add_f32_e32 v14, v14, v149
	s_wait_loadcnt_dscnt 0x101
	v_mul_f32_e32 v22, v1, v10
	v_mul_f32_e32 v10, v2, v10
	v_mul_f32_e32 v132, v3, v12
	v_mul_f32_e32 v12, v4, v12
	v_add_f32_e32 v14, v14, v151
	v_fmac_f32_e32 v22, v2, v9
	v_fma_f32 v133, v1, v9, -v10
	v_fmac_f32_e32 v132, v4, v11
	v_fma_f32 v134, v3, v11, -v12
	s_clause 0x1
	scratch_load_b128 v[1:4], off, off offset:344
	scratch_load_b128 v[9:12], off, off offset:360
	v_add_f32_e32 v17, v14, v153
	scratch_load_b128 v[13:16], off, off offset:376
	v_dual_add_f32 v18, v18, v164 :: v_dual_add_f32 v17, v17, v155
	s_delay_alu instid0(VALU_DEP_1) | instskip(NEXT) | instid1(VALU_DEP_1)
	v_dual_add_f32 v130, v18, v166 :: v_dual_add_f32 v17, v17, v157
	v_add_f32_e32 v135, v130, v168
	s_wait_loadcnt_dscnt 0x200
	s_delay_alu instid0(VALU_DEP_2) | instskip(NEXT) | instid1(VALU_DEP_1)
	v_dual_add_f32 v17, v17, v159 :: v_dual_mul_f32 v140, v7, v4
	v_dual_add_f32 v17, v17, v161 :: v_dual_mul_f32 v4, v8, v4
	s_delay_alu instid0(VALU_DEP_2) | instskip(NEXT) | instid1(VALU_DEP_2)
	v_dual_fmac_f32 v140, v8, v3 :: v_dual_mul_f32 v139, v5, v2
	v_add_f32_e32 v24, v17, v163
	ds_load_2addr_b64 v[17:20], v21 offset0:95 offset1:96
	v_mul_f32_e32 v2, v6, v2
	v_fmac_f32_e32 v139, v6, v1
	v_add_f32_e32 v135, v135, v170
	s_delay_alu instid0(VALU_DEP_3) | instskip(SKIP_1) | instid1(VALU_DEP_3)
	v_fma_f32 v2, v5, v1, -v2
	v_fma_f32 v1, v7, v3, -v4
	v_add_f32_e32 v135, v135, v172
	s_delay_alu instid0(VALU_DEP_1) | instskip(NEXT) | instid1(VALU_DEP_1)
	v_add_f32_e32 v133, v135, v133
	v_add_f32_e32 v133, v133, v134
	;; [unrolled: 1-line block ×3, first 2 shown]
	ds_load_2addr_b64 v[24:27], v21 offset0:97 offset1:98
	s_wait_loadcnt_dscnt 0x101
	v_mul_f32_e32 v3, v18, v10
	v_add_f32_e32 v2, v133, v2
	v_add_f32_e32 v138, v131, v167
	ds_load_b64 v[130:131], v21 offset:792
	v_fma_f32 v3, v17, v9, -v3
	v_add_f32_e32 v1, v2, v1
	v_add_f32_e32 v138, v138, v169
	s_delay_alu instid0(VALU_DEP_1) | instskip(NEXT) | instid1(VALU_DEP_1)
	v_add_f32_e32 v138, v138, v171
	v_add_f32_e32 v22, v138, v22
	s_wait_loadcnt_dscnt 0x1
	v_dual_mul_f32 v134, v26, v16 :: v_dual_mul_f32 v135, v17, v10
	v_mul_f32_e32 v138, v19, v12
	s_delay_alu instid0(VALU_DEP_3) | instskip(NEXT) | instid1(VALU_DEP_3)
	v_add_f32_e32 v22, v22, v132
	v_dual_fmac_f32 v134, v27, v15 :: v_dual_fmac_f32 v135, v18, v9
	s_wait_dscnt 0x0
	v_dual_mul_f32 v132, v130, v129 :: v_dual_mul_f32 v141, v24, v14
	s_delay_alu instid0(VALU_DEP_3) | instskip(SKIP_1) | instid1(VALU_DEP_3)
	v_add_f32_e32 v4, v22, v139
	v_fmac_f32_e32 v138, v20, v11
	v_dual_fmac_f32 v132, v131, v128 :: v_dual_fmac_f32 v141, v25, v13
	s_delay_alu instid0(VALU_DEP_3) | instskip(SKIP_1) | instid1(VALU_DEP_2)
	v_add_f32_e32 v2, v4, v140
	v_mul_f32_e32 v4, v25, v14
	v_dual_add_f32 v2, v2, v135 :: v_dual_mul_f32 v5, v20, v12
	s_delay_alu instid0(VALU_DEP_2) | instskip(NEXT) | instid1(VALU_DEP_2)
	v_fma_f32 v4, v24, v13, -v4
	v_add_f32_e32 v2, v2, v138
	s_delay_alu instid0(VALU_DEP_3) | instskip(NEXT) | instid1(VALU_DEP_2)
	v_fma_f32 v5, v19, v11, -v5
	v_dual_add_f32 v2, v2, v141 :: v_dual_add_f32 v1, v1, v3
	s_delay_alu instid0(VALU_DEP_1) | instskip(NEXT) | instid1(VALU_DEP_2)
	v_dual_mul_f32 v3, v27, v16 :: v_dual_add_f32 v2, v2, v134
	v_add_f32_e32 v1, v1, v5
	v_mul_f32_e32 v5, v131, v129
	s_delay_alu instid0(VALU_DEP_3) | instskip(NEXT) | instid1(VALU_DEP_4)
	v_fma_f32 v3, v26, v15, -v3
	v_add_f32_e32 v2, v2, v132
	s_delay_alu instid0(VALU_DEP_4) | instskip(NEXT) | instid1(VALU_DEP_4)
	v_add_f32_e32 v1, v1, v4
	v_fma_f32 v4, v130, v128, -v5
	s_delay_alu instid0(VALU_DEP_3) | instskip(NEXT) | instid1(VALU_DEP_3)
	v_sub_f32_e32 v2, v137, v2
	v_add_f32_e32 v1, v1, v3
	s_delay_alu instid0(VALU_DEP_1) | instskip(NEXT) | instid1(VALU_DEP_1)
	v_add_f32_e32 v1, v1, v4
	v_sub_f32_e32 v1, v136, v1
	scratch_store_b64 off, v[1:2], off offset:96
	v_cmpx_lt_u32_e32 11, v0
	s_cbranch_execz .LBB49_291
; %bb.290:
	scratch_load_b64 v[1:2], off, off offset:88
	v_mov_b32_e32 v22, v21
	scratch_store_b64 off, v[21:22], off offset:88
	s_wait_loadcnt 0x0
	ds_store_b64 v23, v[1:2]
.LBB49_291:
	s_wait_alu 0xfffe
	s_or_b32 exec_lo, exec_lo, s0
	s_wait_storecnt_dscnt 0x0
	s_barrier_signal -1
	s_barrier_wait -1
	global_inv scope:SCOPE_SE
	s_clause 0x4
	scratch_load_b128 v[5:8], off, off offset:96
	scratch_load_b128 v[1:4], off, off offset:112
	;; [unrolled: 1-line block ×5, first 2 shown]
	ds_load_b128 v[24:27], v21 offset:496
	ds_load_b128 v[128:131], v21 offset:512
	;; [unrolled: 1-line block ×3, first 2 shown]
	scratch_load_b64 v[136:137], off, off offset:88
	s_mov_b32 s0, exec_lo
	s_wait_loadcnt_dscnt 0x502
	v_dual_mul_f32 v22, v25, v6 :: v_dual_mul_f32 v139, v26, v8
	v_mul_f32_e32 v138, v24, v6
	v_mul_f32_e32 v6, v27, v8
	s_wait_loadcnt_dscnt 0x300
	v_mul_f32_e32 v140, v134, v12
	v_fma_f32 v22, v24, v5, -v22
	v_dual_fmac_f32 v139, v27, v7 :: v_dual_fmac_f32 v138, v25, v5
	v_mul_f32_e32 v27, v132, v10
	v_mul_f32_e32 v25, v128, v2
	v_fma_f32 v24, v26, v7, -v6
	ds_load_b128 v[5:8], v21 offset:544
	v_mul_f32_e32 v26, v130, v4
	v_dual_mul_f32 v4, v131, v4 :: v_dual_fmac_f32 v27, v133, v9
	v_mul_f32_e32 v10, v133, v10
	v_mul_f32_e32 v12, v135, v12
	;; [unrolled: 1-line block ×3, first 2 shown]
	v_dual_fmac_f32 v25, v129, v1 :: v_dual_fmac_f32 v26, v131, v3
	v_fma_f32 v129, v130, v3, -v4
	v_fma_f32 v130, v132, v9, -v10
	v_fmac_f32_e32 v140, v135, v11
	v_fma_f32 v131, v134, v11, -v12
	ds_load_b128 v[9:12], v21 offset:560
	s_wait_loadcnt_dscnt 0x201
	v_mul_f32_e32 v133, v7, v16
	v_fma_f32 v128, v128, v1, -v2
	scratch_load_b128 v[1:4], off, off offset:176
	v_mul_f32_e32 v132, v5, v14
	v_mul_f32_e32 v14, v6, v14
	;; [unrolled: 1-line block ×3, first 2 shown]
	s_delay_alu instid0(VALU_DEP_3) | instskip(NEXT) | instid1(VALU_DEP_3)
	v_dual_fmac_f32 v133, v8, v15 :: v_dual_fmac_f32 v132, v6, v13
	v_fma_f32 v13, v5, v13, -v14
	s_delay_alu instid0(VALU_DEP_3)
	v_fma_f32 v14, v7, v15, -v16
	ds_load_b128 v[5:8], v21 offset:576
	s_wait_loadcnt_dscnt 0x201
	v_mul_f32_e32 v15, v9, v18
	v_mul_f32_e32 v16, v10, v18
	;; [unrolled: 1-line block ×3, first 2 shown]
	s_delay_alu instid0(VALU_DEP_3) | instskip(NEXT) | instid1(VALU_DEP_3)
	v_dual_mul_f32 v20, v12, v20 :: v_dual_fmac_f32 v15, v10, v17
	v_fma_f32 v16, v9, v17, -v16
	s_delay_alu instid0(VALU_DEP_3) | instskip(NEXT) | instid1(VALU_DEP_3)
	v_fmac_f32_e32 v18, v12, v19
	v_fma_f32 v17, v11, v19, -v20
	scratch_load_b128 v[9:12], off, off offset:192
	s_wait_loadcnt_dscnt 0x100
	v_mul_f32_e32 v19, v5, v2
	v_mul_f32_e32 v2, v6, v2
	;; [unrolled: 1-line block ×3, first 2 shown]
	s_delay_alu instid0(VALU_DEP_3) | instskip(NEXT) | instid1(VALU_DEP_3)
	v_dual_mul_f32 v4, v8, v4 :: v_dual_fmac_f32 v19, v6, v1
	v_fma_f32 v134, v5, v1, -v2
	s_delay_alu instid0(VALU_DEP_3) | instskip(NEXT) | instid1(VALU_DEP_3)
	v_fmac_f32_e32 v20, v8, v3
	v_fma_f32 v135, v7, v3, -v4
	ds_load_b128 v[1:4], v21 offset:592
	ds_load_b128 v[5:8], v21 offset:608
	s_wait_loadcnt_dscnt 0x1
	v_mul_f32_e32 v141, v1, v10
	v_mul_f32_e32 v10, v2, v10
	s_delay_alu instid0(VALU_DEP_2) | instskip(NEXT) | instid1(VALU_DEP_2)
	v_dual_mul_f32 v142, v3, v12 :: v_dual_fmac_f32 v141, v2, v9
	v_fma_f32 v143, v1, v9, -v10
	v_mul_f32_e32 v1, v4, v12
	s_delay_alu instid0(VALU_DEP_3) | instskip(NEXT) | instid1(VALU_DEP_2)
	v_fmac_f32_e32 v142, v4, v11
	v_fma_f32 v144, v3, v11, -v1
	s_clause 0x1
	scratch_load_b128 v[1:4], off, off offset:208
	scratch_load_b128 v[9:12], off, off offset:224
	s_wait_loadcnt_dscnt 0x100
	v_mul_f32_e32 v145, v5, v2
	v_dual_mul_f32 v2, v6, v2 :: v_dual_mul_f32 v147, v7, v4
	s_delay_alu instid0(VALU_DEP_2) | instskip(NEXT) | instid1(VALU_DEP_2)
	v_fmac_f32_e32 v145, v6, v1
	v_fma_f32 v146, v5, v1, -v2
	v_mul_f32_e32 v1, v8, v4
	s_delay_alu instid0(VALU_DEP_4) | instskip(NEXT) | instid1(VALU_DEP_2)
	v_fmac_f32_e32 v147, v8, v3
	v_fma_f32 v148, v7, v3, -v1
	ds_load_b128 v[1:4], v21 offset:624
	ds_load_b128 v[5:8], v21 offset:640
	s_wait_loadcnt_dscnt 0x1
	v_mul_f32_e32 v149, v1, v10
	v_mul_f32_e32 v151, v3, v12
	s_delay_alu instid0(VALU_DEP_2) | instskip(NEXT) | instid1(VALU_DEP_2)
	v_fmac_f32_e32 v149, v2, v9
	v_dual_mul_f32 v2, v2, v10 :: v_dual_fmac_f32 v151, v4, v11
	s_delay_alu instid0(VALU_DEP_1) | instskip(SKIP_1) | instid1(VALU_DEP_1)
	v_fma_f32 v150, v1, v9, -v2
	v_mul_f32_e32 v1, v4, v12
	v_fma_f32 v152, v3, v11, -v1
	s_clause 0x1
	scratch_load_b128 v[1:4], off, off offset:240
	scratch_load_b128 v[9:12], off, off offset:256
	s_wait_loadcnt_dscnt 0x100
	v_mul_f32_e32 v153, v5, v2
	v_dual_mul_f32 v2, v6, v2 :: v_dual_mul_f32 v155, v7, v4
	s_delay_alu instid0(VALU_DEP_2) | instskip(NEXT) | instid1(VALU_DEP_2)
	v_fmac_f32_e32 v153, v6, v1
	v_fma_f32 v154, v5, v1, -v2
	v_mul_f32_e32 v1, v8, v4
	s_delay_alu instid0(VALU_DEP_4) | instskip(NEXT) | instid1(VALU_DEP_2)
	v_fmac_f32_e32 v155, v8, v3
	v_fma_f32 v156, v7, v3, -v1
	ds_load_b128 v[1:4], v21 offset:656
	ds_load_b128 v[5:8], v21 offset:672
	s_wait_loadcnt_dscnt 0x1
	v_mul_f32_e32 v157, v1, v10
	v_mul_f32_e32 v159, v3, v12
	s_delay_alu instid0(VALU_DEP_2) | instskip(NEXT) | instid1(VALU_DEP_2)
	v_fmac_f32_e32 v157, v2, v9
	v_dual_mul_f32 v2, v2, v10 :: v_dual_fmac_f32 v159, v4, v11
	s_delay_alu instid0(VALU_DEP_1) | instskip(SKIP_1) | instid1(VALU_DEP_1)
	v_fma_f32 v158, v1, v9, -v2
	v_mul_f32_e32 v1, v4, v12
	v_fma_f32 v160, v3, v11, -v1
	s_clause 0x1
	scratch_load_b128 v[1:4], off, off offset:272
	scratch_load_b128 v[9:12], off, off offset:288
	s_wait_loadcnt_dscnt 0x100
	v_mul_f32_e32 v161, v5, v2
	v_dual_mul_f32 v2, v6, v2 :: v_dual_mul_f32 v163, v7, v4
	s_delay_alu instid0(VALU_DEP_2) | instskip(NEXT) | instid1(VALU_DEP_2)
	v_fmac_f32_e32 v161, v6, v1
	v_fma_f32 v162, v5, v1, -v2
	v_mul_f32_e32 v1, v8, v4
	s_delay_alu instid0(VALU_DEP_4) | instskip(NEXT) | instid1(VALU_DEP_2)
	v_fmac_f32_e32 v163, v8, v3
	v_fma_f32 v164, v7, v3, -v1
	ds_load_b128 v[1:4], v21 offset:688
	ds_load_b128 v[5:8], v21 offset:704
	s_wait_loadcnt_dscnt 0x1
	v_mul_f32_e32 v165, v1, v10
	v_mul_f32_e32 v167, v3, v12
	s_delay_alu instid0(VALU_DEP_2) | instskip(NEXT) | instid1(VALU_DEP_2)
	v_fmac_f32_e32 v165, v2, v9
	v_dual_mul_f32 v2, v2, v10 :: v_dual_fmac_f32 v167, v4, v11
	s_delay_alu instid0(VALU_DEP_1) | instskip(SKIP_1) | instid1(VALU_DEP_1)
	v_fma_f32 v166, v1, v9, -v2
	v_mul_f32_e32 v1, v4, v12
	v_fma_f32 v168, v3, v11, -v1
	s_clause 0x1
	scratch_load_b128 v[1:4], off, off offset:304
	scratch_load_b128 v[9:12], off, off offset:320
	s_wait_loadcnt_dscnt 0x100
	v_mul_f32_e32 v169, v5, v2
	v_mul_f32_e32 v2, v6, v2
	s_delay_alu instid0(VALU_DEP_1) | instskip(SKIP_1) | instid1(VALU_DEP_1)
	v_fma_f32 v170, v5, v1, -v2
	v_add_f32_e32 v2, 0, v138
	v_add_f32_e32 v2, v2, v139
	s_delay_alu instid0(VALU_DEP_1) | instskip(NEXT) | instid1(VALU_DEP_1)
	v_add_f32_e32 v2, v2, v25
	v_add_f32_e32 v2, v2, v26
	s_delay_alu instid0(VALU_DEP_1) | instskip(NEXT) | instid1(VALU_DEP_1)
	;; [unrolled: 3-line block ×4, first 2 shown]
	v_dual_add_f32 v2, v2, v15 :: v_dual_mul_f32 v171, v7, v4
	v_add_f32_e32 v2, v2, v18
	s_delay_alu instid0(VALU_DEP_1) | instskip(SKIP_1) | instid1(VALU_DEP_2)
	v_add_f32_e32 v2, v2, v19
	v_fmac_f32_e32 v169, v6, v1
	v_dual_fmac_f32 v171, v8, v3 :: v_dual_add_f32 v2, v2, v20
	s_delay_alu instid0(VALU_DEP_1) | instskip(NEXT) | instid1(VALU_DEP_1)
	v_dual_mul_f32 v1, v8, v4 :: v_dual_add_f32 v2, v2, v141
	v_fma_f32 v172, v7, v3, -v1
	v_add_f32_e32 v1, 0, v22
	s_delay_alu instid0(VALU_DEP_3) | instskip(NEXT) | instid1(VALU_DEP_2)
	v_add_f32_e32 v5, v2, v142
	v_add_f32_e32 v1, v1, v24
	s_delay_alu instid0(VALU_DEP_1) | instskip(NEXT) | instid1(VALU_DEP_1)
	v_add_f32_e32 v1, v1, v128
	v_add_f32_e32 v1, v1, v129
	s_delay_alu instid0(VALU_DEP_1) | instskip(NEXT) | instid1(VALU_DEP_1)
	v_add_f32_e32 v1, v1, v130
	v_add_f32_e32 v1, v1, v131
	s_delay_alu instid0(VALU_DEP_1) | instskip(SKIP_1) | instid1(VALU_DEP_2)
	v_add_f32_e32 v1, v1, v13
	v_add_f32_e32 v13, v5, v145
	;; [unrolled: 1-line block ×3, first 2 shown]
	s_delay_alu instid0(VALU_DEP_2) | instskip(NEXT) | instid1(VALU_DEP_1)
	v_add_f32_e32 v13, v13, v147
	v_add_f32_e32 v13, v13, v149
	s_delay_alu instid0(VALU_DEP_1) | instskip(NEXT) | instid1(VALU_DEP_1)
	v_add_f32_e32 v18, v13, v151
	v_dual_add_f32 v18, v18, v153 :: v_dual_add_f32 v1, v1, v16
	s_delay_alu instid0(VALU_DEP_1) | instskip(NEXT) | instid1(VALU_DEP_1)
	v_add_f32_e32 v18, v18, v155
	v_add_f32_e32 v24, v18, v157
	s_delay_alu instid0(VALU_DEP_1) | instskip(NEXT) | instid1(VALU_DEP_1)
	v_dual_add_f32 v1, v1, v17 :: v_dual_add_f32 v24, v24, v159
	v_add_f32_e32 v1, v1, v134
	s_delay_alu instid0(VALU_DEP_1) | instskip(NEXT) | instid1(VALU_DEP_1)
	v_add_f32_e32 v1, v1, v135
	v_add_f32_e32 v1, v1, v143
	s_delay_alu instid0(VALU_DEP_1) | instskip(NEXT) | instid1(VALU_DEP_1)
	v_add_f32_e32 v1, v1, v144
	v_add_f32_e32 v6, v1, v146
	ds_load_b128 v[1:4], v21 offset:720
	v_add_f32_e32 v24, v24, v161
	v_add_f32_e32 v14, v6, v148
	scratch_load_b128 v[5:8], off, off offset:336
	v_add_f32_e32 v14, v14, v150
	s_delay_alu instid0(VALU_DEP_1)
	v_add_f32_e32 v17, v14, v152
	ds_load_b128 v[13:16], v21 offset:736
	s_wait_loadcnt_dscnt 0x101
	v_mul_f32_e32 v22, v1, v10
	v_mul_f32_e32 v10, v2, v10
	;; [unrolled: 1-line block ×4, first 2 shown]
	s_delay_alu instid0(VALU_DEP_4) | instskip(NEXT) | instid1(VALU_DEP_4)
	v_fmac_f32_e32 v22, v2, v9
	v_fma_f32 v129, v1, v9, -v10
	s_delay_alu instid0(VALU_DEP_4) | instskip(NEXT) | instid1(VALU_DEP_4)
	v_fmac_f32_e32 v128, v4, v11
	v_fma_f32 v130, v3, v11, -v12
	s_clause 0x1
	scratch_load_b128 v[1:4], off, off offset:352
	scratch_load_b128 v[9:12], off, off offset:368
	s_wait_loadcnt_dscnt 0x200
	v_mul_f32_e32 v131, v13, v6
	v_mul_f32_e32 v6, v14, v6
	;; [unrolled: 1-line block ×3, first 2 shown]
	s_delay_alu instid0(VALU_DEP_3) | instskip(NEXT) | instid1(VALU_DEP_3)
	v_dual_mul_f32 v8, v16, v8 :: v_dual_fmac_f32 v131, v14, v5
	v_fma_f32 v133, v13, v5, -v6
	s_delay_alu instid0(VALU_DEP_3) | instskip(NEXT) | instid1(VALU_DEP_3)
	v_fmac_f32_e32 v132, v16, v7
	v_fma_f32 v134, v15, v7, -v8
	ds_load_b128 v[5:8], v21 offset:752
	v_add_f32_e32 v17, v17, v154
	v_add_f32_e32 v13, v24, v163
	s_delay_alu instid0(VALU_DEP_2) | instskip(NEXT) | instid1(VALU_DEP_1)
	v_add_f32_e32 v17, v17, v156
	v_add_f32_e32 v17, v17, v158
	s_delay_alu instid0(VALU_DEP_1) | instskip(SKIP_2) | instid1(VALU_DEP_1)
	v_add_f32_e32 v25, v17, v160
	scratch_load_b128 v[17:20], off, off offset:384
	v_add_f32_e32 v25, v25, v162
	v_add_f32_e32 v25, v25, v164
	s_delay_alu instid0(VALU_DEP_1)
	v_add_f32_e32 v24, v25, v166
	v_add_f32_e32 v25, v13, v165
	ds_load_b128 v[13:16], v21 offset:768
	v_dual_add_f32 v135, v24, v168 :: v_dual_add_f32 v138, v25, v167
	ds_load_b128 v[24:27], v21 offset:784
	v_add_f32_e32 v21, v135, v170
	s_delay_alu instid0(VALU_DEP_1) | instskip(SKIP_2) | instid1(VALU_DEP_1)
	v_add_f32_e32 v21, v21, v172
	s_wait_loadcnt_dscnt 0x101
	v_mul_f32_e32 v139, v15, v12
	v_fmac_f32_e32 v139, v16, v11
	s_delay_alu instid0(VALU_DEP_3) | instskip(NEXT) | instid1(VALU_DEP_1)
	v_add_f32_e32 v21, v21, v129
	v_add_f32_e32 v21, v21, v130
	s_wait_loadcnt_dscnt 0x0
	s_delay_alu instid0(VALU_DEP_1) | instskip(SKIP_2) | instid1(VALU_DEP_3)
	v_dual_add_f32 v21, v21, v133 :: v_dual_mul_f32 v130, v26, v20
	v_dual_add_f32 v135, v138, v169 :: v_dual_mul_f32 v138, v5, v2
	v_mul_f32_e32 v2, v6, v2
	v_fmac_f32_e32 v130, v27, v19
	s_delay_alu instid0(VALU_DEP_3)
	v_add_f32_e32 v135, v135, v171
	v_mul_f32_e32 v129, v7, v4
	v_mul_f32_e32 v4, v8, v4
	v_fma_f32 v2, v5, v1, -v2
	v_fmac_f32_e32 v138, v6, v1
	v_add_f32_e32 v22, v135, v22
	v_add_f32_e32 v1, v21, v134
	v_dual_mul_f32 v6, v14, v10 :: v_dual_fmac_f32 v129, v8, v3
	v_fma_f32 v3, v7, v3, -v4
	s_delay_alu instid0(VALU_DEP_4) | instskip(SKIP_2) | instid1(VALU_DEP_3)
	v_add_f32_e32 v22, v22, v128
	v_mul_f32_e32 v128, v24, v18
	v_dual_add_f32 v1, v1, v2 :: v_dual_mul_f32 v4, v16, v12
	v_add_f32_e32 v22, v22, v131
	s_delay_alu instid0(VALU_DEP_3) | instskip(SKIP_1) | instid1(VALU_DEP_4)
	v_fmac_f32_e32 v128, v25, v17
	v_mul_f32_e32 v135, v13, v10
	v_add_f32_e32 v1, v1, v3
	v_mul_f32_e32 v3, v25, v18
	v_add_f32_e32 v5, v22, v132
	v_fma_f32 v4, v15, v11, -v4
	v_fmac_f32_e32 v135, v14, v9
	s_delay_alu instid0(VALU_DEP_4) | instskip(NEXT) | instid1(VALU_DEP_4)
	v_fma_f32 v3, v24, v17, -v3
	v_add_f32_e32 v2, v5, v138
	v_fma_f32 v5, v13, v9, -v6
	s_delay_alu instid0(VALU_DEP_2) | instskip(NEXT) | instid1(VALU_DEP_2)
	v_add_f32_e32 v2, v2, v129
	v_add_f32_e32 v1, v1, v5
	s_delay_alu instid0(VALU_DEP_2) | instskip(NEXT) | instid1(VALU_DEP_2)
	v_dual_mul_f32 v5, v27, v20 :: v_dual_add_f32 v2, v2, v135
	v_add_f32_e32 v1, v1, v4
	s_delay_alu instid0(VALU_DEP_2) | instskip(NEXT) | instid1(VALU_DEP_3)
	v_fma_f32 v4, v26, v19, -v5
	v_add_f32_e32 v2, v2, v139
	s_delay_alu instid0(VALU_DEP_1) | instskip(NEXT) | instid1(VALU_DEP_1)
	v_dual_add_f32 v1, v1, v3 :: v_dual_add_f32 v2, v2, v128
	v_dual_add_f32 v1, v1, v4 :: v_dual_add_f32 v2, v2, v130
	s_delay_alu instid0(VALU_DEP_1)
	v_dual_sub_f32 v1, v136, v1 :: v_dual_sub_f32 v2, v137, v2
	scratch_store_b64 off, v[1:2], off offset:88
	v_cmpx_lt_u32_e32 10, v0
	s_cbranch_execz .LBB49_293
; %bb.292:
	scratch_load_b64 v[1:2], off, off offset:80
	v_mov_b32_e32 v3, 0
	s_delay_alu instid0(VALU_DEP_1)
	v_mov_b32_e32 v4, v3
	scratch_store_b64 off, v[3:4], off offset:80
	s_wait_loadcnt 0x0
	ds_store_b64 v23, v[1:2]
.LBB49_293:
	s_wait_alu 0xfffe
	s_or_b32 exec_lo, exec_lo, s0
	s_wait_storecnt_dscnt 0x0
	s_barrier_signal -1
	s_barrier_wait -1
	global_inv scope:SCOPE_SE
	s_clause 0x4
	scratch_load_b128 v[5:8], off, off offset:88
	scratch_load_b128 v[1:4], off, off offset:104
	;; [unrolled: 1-line block ×5, first 2 shown]
	v_mov_b32_e32 v21, 0
	ds_load_2addr_b64 v[24:27], v21 offset0:61 offset1:62
	ds_load_2addr_b64 v[128:131], v21 offset0:63 offset1:64
	;; [unrolled: 1-line block ×3, first 2 shown]
	scratch_load_b64 v[136:137], off, off offset:80
	s_mov_b32 s0, exec_lo
	s_wait_loadcnt_dscnt 0x502
	v_mul_f32_e32 v22, v25, v6
	v_dual_mul_f32 v138, v24, v6 :: v_dual_mul_f32 v139, v26, v8
	v_mul_f32_e32 v6, v27, v8
	s_delay_alu instid0(VALU_DEP_3) | instskip(NEXT) | instid1(VALU_DEP_3)
	v_fma_f32 v22, v24, v5, -v22
	v_dual_fmac_f32 v138, v25, v5 :: v_dual_fmac_f32 v139, v27, v7
	s_wait_loadcnt_dscnt 0x401
	v_mul_f32_e32 v25, v128, v2
	v_fma_f32 v24, v26, v7, -v6
	ds_load_2addr_b64 v[5:8], v21 offset0:67 offset1:68
	s_wait_loadcnt_dscnt 0x301
	v_dual_mul_f32 v26, v130, v4 :: v_dual_mul_f32 v27, v132, v10
	v_dual_mul_f32 v4, v131, v4 :: v_dual_fmac_f32 v25, v129, v1
	v_mul_f32_e32 v10, v133, v10
	s_delay_alu instid0(VALU_DEP_3)
	v_dual_mul_f32 v140, v134, v12 :: v_dual_fmac_f32 v27, v133, v9
	v_mul_f32_e32 v12, v135, v12
	v_mul_f32_e32 v2, v129, v2
	v_fmac_f32_e32 v26, v131, v3
	v_fma_f32 v129, v130, v3, -v4
	v_fma_f32 v130, v132, v9, -v10
	v_fmac_f32_e32 v140, v135, v11
	v_fma_f32 v131, v134, v11, -v12
	ds_load_2addr_b64 v[9:12], v21 offset0:69 offset1:70
	s_wait_loadcnt_dscnt 0x201
	v_mul_f32_e32 v133, v7, v16
	v_fma_f32 v128, v128, v1, -v2
	scratch_load_b128 v[1:4], off, off offset:168
	v_mul_f32_e32 v132, v5, v14
	v_mul_f32_e32 v14, v6, v14
	;; [unrolled: 1-line block ×3, first 2 shown]
	s_delay_alu instid0(VALU_DEP_3) | instskip(NEXT) | instid1(VALU_DEP_3)
	v_dual_fmac_f32 v133, v8, v15 :: v_dual_fmac_f32 v132, v6, v13
	v_fma_f32 v13, v5, v13, -v14
	s_delay_alu instid0(VALU_DEP_3)
	v_fma_f32 v14, v7, v15, -v16
	ds_load_2addr_b64 v[5:8], v21 offset0:71 offset1:72
	s_wait_loadcnt_dscnt 0x201
	v_mul_f32_e32 v15, v9, v18
	v_mul_f32_e32 v16, v10, v18
	;; [unrolled: 1-line block ×3, first 2 shown]
	s_delay_alu instid0(VALU_DEP_3) | instskip(NEXT) | instid1(VALU_DEP_3)
	v_dual_mul_f32 v20, v12, v20 :: v_dual_fmac_f32 v15, v10, v17
	v_fma_f32 v16, v9, v17, -v16
	s_delay_alu instid0(VALU_DEP_3) | instskip(NEXT) | instid1(VALU_DEP_3)
	v_fmac_f32_e32 v18, v12, v19
	v_fma_f32 v17, v11, v19, -v20
	scratch_load_b128 v[9:12], off, off offset:184
	s_wait_loadcnt_dscnt 0x100
	v_mul_f32_e32 v19, v5, v2
	v_mul_f32_e32 v2, v6, v2
	;; [unrolled: 1-line block ×3, first 2 shown]
	s_delay_alu instid0(VALU_DEP_3) | instskip(NEXT) | instid1(VALU_DEP_3)
	v_dual_mul_f32 v4, v8, v4 :: v_dual_fmac_f32 v19, v6, v1
	v_fma_f32 v134, v5, v1, -v2
	s_delay_alu instid0(VALU_DEP_3) | instskip(NEXT) | instid1(VALU_DEP_3)
	v_fmac_f32_e32 v20, v8, v3
	v_fma_f32 v135, v7, v3, -v4
	ds_load_2addr_b64 v[1:4], v21 offset0:73 offset1:74
	ds_load_2addr_b64 v[5:8], v21 offset0:75 offset1:76
	s_wait_loadcnt_dscnt 0x1
	v_mul_f32_e32 v141, v1, v10
	v_mul_f32_e32 v10, v2, v10
	s_delay_alu instid0(VALU_DEP_2) | instskip(NEXT) | instid1(VALU_DEP_2)
	v_dual_mul_f32 v142, v3, v12 :: v_dual_fmac_f32 v141, v2, v9
	v_fma_f32 v143, v1, v9, -v10
	v_mul_f32_e32 v1, v4, v12
	s_delay_alu instid0(VALU_DEP_3) | instskip(NEXT) | instid1(VALU_DEP_2)
	v_fmac_f32_e32 v142, v4, v11
	v_fma_f32 v144, v3, v11, -v1
	s_clause 0x1
	scratch_load_b128 v[1:4], off, off offset:200
	scratch_load_b128 v[9:12], off, off offset:216
	s_wait_loadcnt_dscnt 0x100
	v_mul_f32_e32 v145, v5, v2
	v_dual_mul_f32 v2, v6, v2 :: v_dual_mul_f32 v147, v7, v4
	s_delay_alu instid0(VALU_DEP_2) | instskip(NEXT) | instid1(VALU_DEP_2)
	v_fmac_f32_e32 v145, v6, v1
	v_fma_f32 v146, v5, v1, -v2
	v_mul_f32_e32 v1, v8, v4
	s_delay_alu instid0(VALU_DEP_4) | instskip(NEXT) | instid1(VALU_DEP_2)
	v_fmac_f32_e32 v147, v8, v3
	v_fma_f32 v148, v7, v3, -v1
	ds_load_2addr_b64 v[1:4], v21 offset0:77 offset1:78
	ds_load_2addr_b64 v[5:8], v21 offset0:79 offset1:80
	s_wait_loadcnt_dscnt 0x1
	v_mul_f32_e32 v149, v1, v10
	v_mul_f32_e32 v151, v3, v12
	s_delay_alu instid0(VALU_DEP_2) | instskip(NEXT) | instid1(VALU_DEP_2)
	v_fmac_f32_e32 v149, v2, v9
	v_dual_mul_f32 v2, v2, v10 :: v_dual_fmac_f32 v151, v4, v11
	s_delay_alu instid0(VALU_DEP_1) | instskip(SKIP_1) | instid1(VALU_DEP_1)
	v_fma_f32 v150, v1, v9, -v2
	v_mul_f32_e32 v1, v4, v12
	v_fma_f32 v152, v3, v11, -v1
	s_clause 0x1
	scratch_load_b128 v[1:4], off, off offset:232
	scratch_load_b128 v[9:12], off, off offset:248
	s_wait_loadcnt_dscnt 0x100
	v_mul_f32_e32 v153, v5, v2
	v_dual_mul_f32 v155, v7, v4 :: v_dual_mul_f32 v2, v6, v2
	s_delay_alu instid0(VALU_DEP_2) | instskip(NEXT) | instid1(VALU_DEP_2)
	v_fmac_f32_e32 v153, v6, v1
	v_fmac_f32_e32 v155, v8, v3
	s_delay_alu instid0(VALU_DEP_3) | instskip(SKIP_1) | instid1(VALU_DEP_1)
	v_fma_f32 v154, v5, v1, -v2
	v_mul_f32_e32 v1, v8, v4
	v_fma_f32 v156, v7, v3, -v1
	ds_load_2addr_b64 v[1:4], v21 offset0:81 offset1:82
	ds_load_2addr_b64 v[5:8], v21 offset0:83 offset1:84
	s_wait_loadcnt_dscnt 0x1
	v_mul_f32_e32 v157, v1, v10
	v_mul_f32_e32 v159, v3, v12
	s_delay_alu instid0(VALU_DEP_2) | instskip(NEXT) | instid1(VALU_DEP_2)
	v_fmac_f32_e32 v157, v2, v9
	v_dual_mul_f32 v2, v2, v10 :: v_dual_fmac_f32 v159, v4, v11
	s_delay_alu instid0(VALU_DEP_1) | instskip(SKIP_1) | instid1(VALU_DEP_1)
	v_fma_f32 v158, v1, v9, -v2
	v_mul_f32_e32 v1, v4, v12
	v_fma_f32 v160, v3, v11, -v1
	s_clause 0x1
	scratch_load_b128 v[1:4], off, off offset:264
	scratch_load_b128 v[9:12], off, off offset:280
	s_wait_loadcnt_dscnt 0x100
	v_mul_f32_e32 v161, v5, v2
	v_dual_mul_f32 v2, v6, v2 :: v_dual_mul_f32 v163, v7, v4
	s_delay_alu instid0(VALU_DEP_2) | instskip(NEXT) | instid1(VALU_DEP_2)
	v_fmac_f32_e32 v161, v6, v1
	v_fma_f32 v162, v5, v1, -v2
	v_mul_f32_e32 v1, v8, v4
	s_delay_alu instid0(VALU_DEP_4) | instskip(NEXT) | instid1(VALU_DEP_2)
	v_fmac_f32_e32 v163, v8, v3
	v_fma_f32 v164, v7, v3, -v1
	ds_load_2addr_b64 v[1:4], v21 offset0:85 offset1:86
	ds_load_2addr_b64 v[5:8], v21 offset0:87 offset1:88
	s_wait_loadcnt_dscnt 0x1
	v_mul_f32_e32 v165, v1, v10
	v_mul_f32_e32 v167, v3, v12
	s_delay_alu instid0(VALU_DEP_2) | instskip(NEXT) | instid1(VALU_DEP_2)
	v_fmac_f32_e32 v165, v2, v9
	v_dual_mul_f32 v2, v2, v10 :: v_dual_fmac_f32 v167, v4, v11
	s_delay_alu instid0(VALU_DEP_1) | instskip(SKIP_1) | instid1(VALU_DEP_1)
	v_fma_f32 v166, v1, v9, -v2
	v_mul_f32_e32 v1, v4, v12
	v_fma_f32 v168, v3, v11, -v1
	s_clause 0x1
	scratch_load_b128 v[1:4], off, off offset:296
	scratch_load_b128 v[9:12], off, off offset:312
	s_wait_loadcnt_dscnt 0x100
	v_mul_f32_e32 v169, v5, v2
	v_mul_f32_e32 v2, v6, v2
	s_delay_alu instid0(VALU_DEP_1) | instskip(SKIP_1) | instid1(VALU_DEP_1)
	v_fma_f32 v170, v5, v1, -v2
	v_add_f32_e32 v2, 0, v138
	v_add_f32_e32 v2, v2, v139
	s_delay_alu instid0(VALU_DEP_1) | instskip(NEXT) | instid1(VALU_DEP_1)
	v_add_f32_e32 v2, v2, v25
	v_add_f32_e32 v2, v2, v26
	s_delay_alu instid0(VALU_DEP_1) | instskip(NEXT) | instid1(VALU_DEP_1)
	;; [unrolled: 3-line block ×4, first 2 shown]
	v_add_f32_e32 v2, v2, v15
	v_add_f32_e32 v2, v2, v18
	s_delay_alu instid0(VALU_DEP_1) | instskip(SKIP_2) | instid1(VALU_DEP_3)
	v_add_f32_e32 v2, v2, v19
	v_fmac_f32_e32 v169, v6, v1
	v_mul_f32_e32 v1, v8, v4
	v_add_f32_e32 v2, v2, v20
	v_mul_f32_e32 v171, v7, v4
	s_delay_alu instid0(VALU_DEP_3) | instskip(NEXT) | instid1(VALU_DEP_3)
	v_fma_f32 v172, v7, v3, -v1
	v_dual_add_f32 v1, 0, v22 :: v_dual_add_f32 v2, v2, v141
	s_delay_alu instid0(VALU_DEP_1) | instskip(NEXT) | instid1(VALU_DEP_2)
	v_add_f32_e32 v1, v1, v24
	v_add_f32_e32 v5, v2, v142
	s_delay_alu instid0(VALU_DEP_2) | instskip(NEXT) | instid1(VALU_DEP_1)
	v_add_f32_e32 v1, v1, v128
	v_add_f32_e32 v1, v1, v129
	scratch_load_b64 v[128:129], off, off offset:392
	v_add_f32_e32 v1, v1, v130
	s_delay_alu instid0(VALU_DEP_1) | instskip(NEXT) | instid1(VALU_DEP_1)
	v_add_f32_e32 v1, v1, v131
	v_add_f32_e32 v1, v1, v13
	;; [unrolled: 1-line block ×3, first 2 shown]
	s_delay_alu instid0(VALU_DEP_1) | instskip(NEXT) | instid1(VALU_DEP_1)
	v_add_f32_e32 v13, v13, v147
	v_add_f32_e32 v13, v13, v149
	s_delay_alu instid0(VALU_DEP_1) | instskip(NEXT) | instid1(VALU_DEP_1)
	v_add_f32_e32 v18, v13, v151
	v_dual_add_f32 v18, v18, v153 :: v_dual_add_f32 v1, v1, v14
	s_delay_alu instid0(VALU_DEP_1) | instskip(NEXT) | instid1(VALU_DEP_1)
	v_dual_add_f32 v18, v18, v155 :: v_dual_add_f32 v1, v1, v16
	v_add_f32_e32 v24, v18, v157
	s_delay_alu instid0(VALU_DEP_1) | instskip(NEXT) | instid1(VALU_DEP_1)
	v_dual_add_f32 v1, v1, v17 :: v_dual_add_f32 v24, v24, v159
	v_add_f32_e32 v1, v1, v134
	s_delay_alu instid0(VALU_DEP_1) | instskip(NEXT) | instid1(VALU_DEP_1)
	v_add_f32_e32 v1, v1, v135
	v_add_f32_e32 v1, v1, v143
	s_delay_alu instid0(VALU_DEP_1) | instskip(NEXT) | instid1(VALU_DEP_1)
	v_add_f32_e32 v1, v1, v144
	v_dual_add_f32 v6, v1, v146 :: v_dual_fmac_f32 v171, v8, v3
	scratch_load_b128 v[1:4], off, off offset:328
	v_add_f32_e32 v24, v24, v161
	v_add_f32_e32 v14, v6, v148
	ds_load_2addr_b64 v[5:8], v21 offset0:89 offset1:90
	v_add_f32_e32 v24, v24, v163
	v_add_f32_e32 v14, v14, v150
	s_delay_alu instid0(VALU_DEP_1)
	v_add_f32_e32 v17, v14, v152
	ds_load_2addr_b64 v[13:16], v21 offset0:91 offset1:92
	s_wait_loadcnt_dscnt 0x201
	v_mul_f32_e32 v22, v5, v10
	v_mul_f32_e32 v10, v6, v10
	;; [unrolled: 1-line block ×4, first 2 shown]
	s_delay_alu instid0(VALU_DEP_4) | instskip(NEXT) | instid1(VALU_DEP_4)
	v_fmac_f32_e32 v22, v6, v9
	v_fma_f32 v133, v5, v9, -v10
	s_delay_alu instid0(VALU_DEP_4) | instskip(NEXT) | instid1(VALU_DEP_4)
	v_fmac_f32_e32 v132, v8, v11
	v_fma_f32 v134, v7, v11, -v12
	s_clause 0x1
	scratch_load_b128 v[5:8], off, off offset:344
	scratch_load_b128 v[9:12], off, off offset:360
	s_wait_loadcnt_dscnt 0x200
	v_mul_f32_e32 v135, v13, v2
	v_mul_f32_e32 v2, v14, v2
	;; [unrolled: 1-line block ×3, first 2 shown]
	s_delay_alu instid0(VALU_DEP_3) | instskip(NEXT) | instid1(VALU_DEP_3)
	v_dual_mul_f32 v4, v16, v4 :: v_dual_fmac_f32 v135, v14, v1
	v_fma_f32 v139, v13, v1, -v2
	v_add_f32_e32 v13, v24, v165
	s_delay_alu instid0(VALU_DEP_4) | instskip(NEXT) | instid1(VALU_DEP_4)
	v_fmac_f32_e32 v138, v16, v3
	v_fma_f32 v140, v15, v3, -v4
	ds_load_2addr_b64 v[1:4], v21 offset0:93 offset1:94
	v_add_f32_e32 v24, v13, v167
	s_delay_alu instid0(VALU_DEP_1) | instskip(NEXT) | instid1(VALU_DEP_1)
	v_add_f32_e32 v131, v24, v169
	v_add_f32_e32 v142, v131, v171
	s_delay_alu instid0(VALU_DEP_1) | instskip(NEXT) | instid1(VALU_DEP_1)
	v_add_f32_e32 v22, v142, v22
	v_dual_add_f32 v17, v17, v154 :: v_dual_add_f32 v22, v22, v132
	s_delay_alu instid0(VALU_DEP_1) | instskip(NEXT) | instid1(VALU_DEP_1)
	v_dual_add_f32 v17, v17, v156 :: v_dual_add_f32 v22, v22, v135
	v_add_f32_e32 v17, v17, v158
	s_delay_alu instid0(VALU_DEP_1) | instskip(SKIP_2) | instid1(VALU_DEP_1)
	v_dual_add_f32 v22, v22, v138 :: v_dual_add_f32 v25, v17, v160
	scratch_load_b128 v[17:20], off, off offset:376
	v_add_f32_e32 v25, v25, v162
	v_add_f32_e32 v25, v25, v164
	s_delay_alu instid0(VALU_DEP_1) | instskip(NEXT) | instid1(VALU_DEP_1)
	v_add_f32_e32 v25, v25, v166
	v_add_f32_e32 v14, v25, v168
	ds_load_2addr_b64 v[24:27], v21 offset0:97 offset1:98
	v_add_f32_e32 v130, v14, v170
	ds_load_2addr_b64 v[13:16], v21 offset0:95 offset1:96
	s_wait_loadcnt_dscnt 0x202
	v_mul_f32_e32 v132, v3, v8
	v_mul_f32_e32 v8, v4, v8
	v_add_f32_e32 v141, v130, v172
	ds_load_b64 v[130:131], v21 offset:792
	v_dual_fmac_f32 v132, v4, v7 :: v_dual_add_f32 v133, v141, v133
	s_delay_alu instid0(VALU_DEP_1)
	v_add_f32_e32 v133, v133, v134
	s_wait_loadcnt_dscnt 0x101
	v_mul_f32_e32 v134, v13, v10
	v_mul_f32_e32 v141, v1, v6
	v_dual_mul_f32 v6, v2, v6 :: v_dual_mul_f32 v135, v15, v12
	s_wait_dscnt 0x0
	v_mul_f32_e32 v138, v130, v129
	v_fmac_f32_e32 v134, v14, v9
	v_fmac_f32_e32 v141, v2, v5
	v_fma_f32 v1, v1, v5, -v6
	v_fma_f32 v2, v3, v7, -v8
	v_dual_fmac_f32 v138, v131, v128 :: v_dual_mul_f32 v3, v14, v10
	s_delay_alu instid0(VALU_DEP_4) | instskip(NEXT) | instid1(VALU_DEP_2)
	v_dual_add_f32 v4, v22, v141 :: v_dual_add_f32 v133, v133, v139
	v_fma_f32 v3, v13, v9, -v3
	s_delay_alu instid0(VALU_DEP_2) | instskip(SKIP_2) | instid1(VALU_DEP_1)
	v_add_f32_e32 v133, v133, v140
	s_wait_loadcnt 0x0
	v_mul_f32_e32 v140, v26, v20
	v_dual_fmac_f32 v140, v27, v19 :: v_dual_add_f32 v1, v133, v1
	s_delay_alu instid0(VALU_DEP_1) | instskip(SKIP_1) | instid1(VALU_DEP_2)
	v_dual_add_f32 v1, v1, v2 :: v_dual_add_f32 v2, v4, v132
	v_dual_mul_f32 v4, v25, v18 :: v_dual_fmac_f32 v135, v16, v11
	v_add_f32_e32 v2, v2, v134
	v_mul_f32_e32 v139, v24, v18
	s_delay_alu instid0(VALU_DEP_3) | instskip(NEXT) | instid1(VALU_DEP_2)
	v_fma_f32 v4, v24, v17, -v4
	v_dual_add_f32 v2, v2, v135 :: v_dual_fmac_f32 v139, v25, v17
	s_delay_alu instid0(VALU_DEP_1) | instskip(NEXT) | instid1(VALU_DEP_1)
	v_add_f32_e32 v2, v2, v139
	v_add_f32_e32 v2, v2, v140
	v_mul_f32_e32 v5, v16, v12
	v_add_f32_e32 v1, v1, v3
	s_delay_alu instid0(VALU_DEP_3) | instskip(NEXT) | instid1(VALU_DEP_3)
	v_dual_mul_f32 v3, v27, v20 :: v_dual_add_f32 v2, v2, v138
	v_fma_f32 v5, v15, v11, -v5
	s_delay_alu instid0(VALU_DEP_2) | instskip(NEXT) | instid1(VALU_DEP_3)
	v_fma_f32 v3, v26, v19, -v3
	v_sub_f32_e32 v2, v137, v2
	s_delay_alu instid0(VALU_DEP_3) | instskip(SKIP_1) | instid1(VALU_DEP_2)
	v_add_f32_e32 v1, v1, v5
	v_mul_f32_e32 v5, v131, v129
	v_add_f32_e32 v1, v1, v4
	s_delay_alu instid0(VALU_DEP_2) | instskip(NEXT) | instid1(VALU_DEP_2)
	v_fma_f32 v4, v130, v128, -v5
	v_add_f32_e32 v1, v1, v3
	s_delay_alu instid0(VALU_DEP_1) | instskip(NEXT) | instid1(VALU_DEP_1)
	v_add_f32_e32 v1, v1, v4
	v_sub_f32_e32 v1, v136, v1
	scratch_store_b64 off, v[1:2], off offset:80
	v_cmpx_lt_u32_e32 9, v0
	s_cbranch_execz .LBB49_295
; %bb.294:
	scratch_load_b64 v[1:2], off, off offset:72
	v_mov_b32_e32 v22, v21
	scratch_store_b64 off, v[21:22], off offset:72
	s_wait_loadcnt 0x0
	ds_store_b64 v23, v[1:2]
.LBB49_295:
	s_wait_alu 0xfffe
	s_or_b32 exec_lo, exec_lo, s0
	s_wait_storecnt_dscnt 0x0
	s_barrier_signal -1
	s_barrier_wait -1
	global_inv scope:SCOPE_SE
	s_clause 0x4
	scratch_load_b128 v[5:8], off, off offset:80
	scratch_load_b128 v[1:4], off, off offset:96
	;; [unrolled: 1-line block ×5, first 2 shown]
	ds_load_b128 v[24:27], v21 offset:480
	ds_load_b128 v[128:131], v21 offset:496
	;; [unrolled: 1-line block ×3, first 2 shown]
	scratch_load_b64 v[136:137], off, off offset:72
	s_mov_b32 s0, exec_lo
	s_wait_loadcnt_dscnt 0x502
	v_dual_mul_f32 v22, v25, v6 :: v_dual_mul_f32 v139, v26, v8
	v_mul_f32_e32 v138, v24, v6
	v_mul_f32_e32 v6, v27, v8
	s_wait_loadcnt_dscnt 0x300
	v_mul_f32_e32 v140, v134, v12
	v_fma_f32 v22, v24, v5, -v22
	v_dual_fmac_f32 v139, v27, v7 :: v_dual_fmac_f32 v138, v25, v5
	v_mul_f32_e32 v27, v132, v10
	v_mul_f32_e32 v25, v128, v2
	v_fma_f32 v24, v26, v7, -v6
	ds_load_b128 v[5:8], v21 offset:528
	v_mul_f32_e32 v26, v130, v4
	v_dual_mul_f32 v4, v131, v4 :: v_dual_fmac_f32 v27, v133, v9
	v_mul_f32_e32 v10, v133, v10
	v_mul_f32_e32 v12, v135, v12
	;; [unrolled: 1-line block ×3, first 2 shown]
	v_dual_fmac_f32 v25, v129, v1 :: v_dual_fmac_f32 v26, v131, v3
	v_fma_f32 v129, v130, v3, -v4
	v_fma_f32 v130, v132, v9, -v10
	v_fmac_f32_e32 v140, v135, v11
	v_fma_f32 v131, v134, v11, -v12
	ds_load_b128 v[9:12], v21 offset:544
	s_wait_loadcnt_dscnt 0x201
	v_mul_f32_e32 v133, v7, v16
	v_fma_f32 v128, v128, v1, -v2
	scratch_load_b128 v[1:4], off, off offset:160
	v_mul_f32_e32 v132, v5, v14
	v_mul_f32_e32 v14, v6, v14
	;; [unrolled: 1-line block ×3, first 2 shown]
	s_delay_alu instid0(VALU_DEP_3) | instskip(NEXT) | instid1(VALU_DEP_3)
	v_dual_fmac_f32 v133, v8, v15 :: v_dual_fmac_f32 v132, v6, v13
	v_fma_f32 v13, v5, v13, -v14
	s_delay_alu instid0(VALU_DEP_3)
	v_fma_f32 v14, v7, v15, -v16
	ds_load_b128 v[5:8], v21 offset:560
	s_wait_loadcnt_dscnt 0x201
	v_mul_f32_e32 v15, v9, v18
	v_mul_f32_e32 v16, v10, v18
	;; [unrolled: 1-line block ×3, first 2 shown]
	s_delay_alu instid0(VALU_DEP_3) | instskip(NEXT) | instid1(VALU_DEP_3)
	v_dual_mul_f32 v20, v12, v20 :: v_dual_fmac_f32 v15, v10, v17
	v_fma_f32 v16, v9, v17, -v16
	s_delay_alu instid0(VALU_DEP_3) | instskip(NEXT) | instid1(VALU_DEP_3)
	v_fmac_f32_e32 v18, v12, v19
	v_fma_f32 v17, v11, v19, -v20
	scratch_load_b128 v[9:12], off, off offset:176
	s_wait_loadcnt_dscnt 0x100
	v_mul_f32_e32 v19, v5, v2
	v_mul_f32_e32 v2, v6, v2
	;; [unrolled: 1-line block ×3, first 2 shown]
	s_delay_alu instid0(VALU_DEP_3) | instskip(NEXT) | instid1(VALU_DEP_3)
	v_dual_mul_f32 v4, v8, v4 :: v_dual_fmac_f32 v19, v6, v1
	v_fma_f32 v134, v5, v1, -v2
	s_delay_alu instid0(VALU_DEP_3) | instskip(NEXT) | instid1(VALU_DEP_3)
	v_fmac_f32_e32 v20, v8, v3
	v_fma_f32 v135, v7, v3, -v4
	ds_load_b128 v[1:4], v21 offset:576
	ds_load_b128 v[5:8], v21 offset:592
	s_wait_loadcnt_dscnt 0x1
	v_mul_f32_e32 v141, v1, v10
	v_mul_f32_e32 v10, v2, v10
	s_delay_alu instid0(VALU_DEP_2) | instskip(NEXT) | instid1(VALU_DEP_2)
	v_dual_mul_f32 v142, v3, v12 :: v_dual_fmac_f32 v141, v2, v9
	v_fma_f32 v143, v1, v9, -v10
	v_mul_f32_e32 v1, v4, v12
	s_delay_alu instid0(VALU_DEP_3) | instskip(NEXT) | instid1(VALU_DEP_2)
	v_fmac_f32_e32 v142, v4, v11
	v_fma_f32 v144, v3, v11, -v1
	s_clause 0x1
	scratch_load_b128 v[1:4], off, off offset:192
	scratch_load_b128 v[9:12], off, off offset:208
	s_wait_loadcnt_dscnt 0x100
	v_mul_f32_e32 v145, v5, v2
	v_dual_mul_f32 v2, v6, v2 :: v_dual_mul_f32 v147, v7, v4
	s_delay_alu instid0(VALU_DEP_2) | instskip(NEXT) | instid1(VALU_DEP_2)
	v_fmac_f32_e32 v145, v6, v1
	v_fma_f32 v146, v5, v1, -v2
	v_mul_f32_e32 v1, v8, v4
	s_delay_alu instid0(VALU_DEP_4) | instskip(NEXT) | instid1(VALU_DEP_2)
	v_fmac_f32_e32 v147, v8, v3
	v_fma_f32 v148, v7, v3, -v1
	ds_load_b128 v[1:4], v21 offset:608
	ds_load_b128 v[5:8], v21 offset:624
	s_wait_loadcnt_dscnt 0x1
	v_mul_f32_e32 v149, v1, v10
	v_mul_f32_e32 v151, v3, v12
	s_delay_alu instid0(VALU_DEP_2) | instskip(NEXT) | instid1(VALU_DEP_2)
	v_fmac_f32_e32 v149, v2, v9
	v_dual_mul_f32 v2, v2, v10 :: v_dual_fmac_f32 v151, v4, v11
	s_delay_alu instid0(VALU_DEP_1) | instskip(SKIP_1) | instid1(VALU_DEP_1)
	v_fma_f32 v150, v1, v9, -v2
	v_mul_f32_e32 v1, v4, v12
	v_fma_f32 v152, v3, v11, -v1
	s_clause 0x1
	scratch_load_b128 v[1:4], off, off offset:224
	scratch_load_b128 v[9:12], off, off offset:240
	s_wait_loadcnt_dscnt 0x100
	v_mul_f32_e32 v153, v5, v2
	v_dual_mul_f32 v2, v6, v2 :: v_dual_mul_f32 v155, v7, v4
	s_delay_alu instid0(VALU_DEP_2) | instskip(NEXT) | instid1(VALU_DEP_2)
	v_fmac_f32_e32 v153, v6, v1
	v_fma_f32 v154, v5, v1, -v2
	v_mul_f32_e32 v1, v8, v4
	s_delay_alu instid0(VALU_DEP_4) | instskip(NEXT) | instid1(VALU_DEP_2)
	v_fmac_f32_e32 v155, v8, v3
	v_fma_f32 v156, v7, v3, -v1
	ds_load_b128 v[1:4], v21 offset:640
	ds_load_b128 v[5:8], v21 offset:656
	s_wait_loadcnt_dscnt 0x1
	v_mul_f32_e32 v157, v1, v10
	v_mul_f32_e32 v159, v3, v12
	s_delay_alu instid0(VALU_DEP_2) | instskip(NEXT) | instid1(VALU_DEP_2)
	v_fmac_f32_e32 v157, v2, v9
	v_dual_mul_f32 v2, v2, v10 :: v_dual_fmac_f32 v159, v4, v11
	s_delay_alu instid0(VALU_DEP_1) | instskip(SKIP_1) | instid1(VALU_DEP_1)
	v_fma_f32 v158, v1, v9, -v2
	v_mul_f32_e32 v1, v4, v12
	;; [unrolled: 25-line block ×4, first 2 shown]
	v_fma_f32 v176, v3, v11, -v1
	s_clause 0x1
	scratch_load_b128 v[1:4], off, off offset:320
	scratch_load_b128 v[9:12], off, off offset:336
	s_wait_loadcnt_dscnt 0x100
	v_mul_f32_e32 v177, v5, v2
	v_mul_f32_e32 v2, v6, v2
	s_delay_alu instid0(VALU_DEP_1) | instskip(SKIP_1) | instid1(VALU_DEP_1)
	v_fma_f32 v178, v5, v1, -v2
	v_add_f32_e32 v2, 0, v138
	v_add_f32_e32 v2, v2, v139
	s_delay_alu instid0(VALU_DEP_1) | instskip(NEXT) | instid1(VALU_DEP_1)
	v_add_f32_e32 v2, v2, v25
	v_add_f32_e32 v2, v2, v26
	s_delay_alu instid0(VALU_DEP_1) | instskip(NEXT) | instid1(VALU_DEP_1)
	;; [unrolled: 3-line block ×7, first 2 shown]
	v_add_f32_e32 v2, v2, v145
	v_add_f32_e32 v2, v2, v147
	v_fmac_f32_e32 v177, v6, v1
	v_mul_f32_e32 v1, v8, v4
	s_delay_alu instid0(VALU_DEP_1) | instskip(SKIP_1) | instid1(VALU_DEP_1)
	v_fma_f32 v180, v7, v3, -v1
	v_add_f32_e32 v1, 0, v22
	v_add_f32_e32 v1, v1, v24
	s_delay_alu instid0(VALU_DEP_1) | instskip(NEXT) | instid1(VALU_DEP_1)
	v_add_f32_e32 v1, v1, v128
	v_add_f32_e32 v1, v1, v129
	s_delay_alu instid0(VALU_DEP_1) | instskip(NEXT) | instid1(VALU_DEP_1)
	;; [unrolled: 3-line block ×9, first 2 shown]
	v_dual_mul_f32 v179, v7, v4 :: v_dual_add_f32 v6, v6, v154
	v_add_f32_e32 v13, v6, v156
	s_delay_alu instid0(VALU_DEP_1) | instskip(NEXT) | instid1(VALU_DEP_1)
	v_add_f32_e32 v13, v13, v158
	v_add_f32_e32 v13, v13, v160
	s_delay_alu instid0(VALU_DEP_1) | instskip(NEXT) | instid1(VALU_DEP_1)
	v_add_f32_e32 v13, v13, v162
	v_dual_add_f32 v5, v2, v149 :: v_dual_add_f32 v18, v13, v164
	s_delay_alu instid0(VALU_DEP_1) | instskip(NEXT) | instid1(VALU_DEP_1)
	v_dual_add_f32 v5, v5, v151 :: v_dual_add_f32 v18, v18, v166
	v_dual_add_f32 v5, v5, v153 :: v_dual_add_f32 v18, v18, v168
	s_delay_alu instid0(VALU_DEP_1)
	v_add_f32_e32 v14, v5, v155
	v_fmac_f32_e32 v179, v8, v3
	ds_load_b128 v[1:4], v21 offset:736
	ds_load_b128 v[5:8], v21 offset:752
	v_add_f32_e32 v24, v18, v170
	v_add_f32_e32 v14, v14, v157
	s_delay_alu instid0(VALU_DEP_1)
	v_add_f32_e32 v14, v14, v159
	s_wait_loadcnt_dscnt 0x1
	v_mul_f32_e32 v22, v1, v10
	v_mul_f32_e32 v128, v3, v12
	;; [unrolled: 1-line block ×4, first 2 shown]
	s_delay_alu instid0(VALU_DEP_4) | instskip(NEXT) | instid1(VALU_DEP_4)
	v_fmac_f32_e32 v22, v2, v9
	v_fmac_f32_e32 v128, v4, v11
	s_delay_alu instid0(VALU_DEP_4) | instskip(NEXT) | instid1(VALU_DEP_4)
	v_fma_f32 v129, v1, v9, -v10
	v_fma_f32 v130, v3, v11, -v12
	s_clause 0x1
	scratch_load_b128 v[1:4], off, off offset:352
	scratch_load_b128 v[9:12], off, off offset:368
	v_add_f32_e32 v17, v14, v161
	scratch_load_b128 v[13:16], off, off offset:384
	v_add_f32_e32 v17, v17, v163
	s_delay_alu instid0(VALU_DEP_1) | instskip(NEXT) | instid1(VALU_DEP_1)
	v_add_f32_e32 v17, v17, v165
	v_add_f32_e32 v17, v17, v167
	s_delay_alu instid0(VALU_DEP_1)
	v_add_f32_e32 v25, v17, v169
	ds_load_b128 v[17:20], v21 offset:768
	v_dual_add_f32 v131, v24, v172 :: v_dual_add_f32 v132, v25, v171
	ds_load_b128 v[24:27], v21 offset:784
	s_wait_loadcnt_dscnt 0x101
	v_dual_mul_f32 v133, v7, v4 :: v_dual_mul_f32 v134, v17, v10
	v_add_f32_e32 v21, v131, v174
	v_add_f32_e32 v131, v132, v173
	s_wait_loadcnt_dscnt 0x0
	v_mul_f32_e32 v138, v24, v14
	v_mul_f32_e32 v132, v5, v2
	v_dual_mul_f32 v2, v6, v2 :: v_dual_add_f32 v21, v21, v176
	s_delay_alu instid0(VALU_DEP_3) | instskip(SKIP_1) | instid1(VALU_DEP_3)
	v_dual_add_f32 v131, v131, v175 :: v_dual_fmac_f32 v138, v25, v13
	v_mul_f32_e32 v4, v8, v4
	v_fma_f32 v2, v5, v1, -v2
	s_delay_alu instid0(VALU_DEP_4) | instskip(NEXT) | instid1(VALU_DEP_4)
	v_add_f32_e32 v21, v21, v178
	v_add_f32_e32 v131, v131, v177
	v_fmac_f32_e32 v132, v6, v1
	v_dual_mul_f32 v6, v18, v10 :: v_dual_fmac_f32 v133, v8, v3
	s_delay_alu instid0(VALU_DEP_4) | instskip(NEXT) | instid1(VALU_DEP_4)
	v_add_f32_e32 v21, v21, v180
	v_add_f32_e32 v131, v131, v179
	v_fma_f32 v3, v7, v3, -v4
	v_mul_f32_e32 v135, v19, v12
	s_delay_alu instid0(VALU_DEP_4) | instskip(NEXT) | instid1(VALU_DEP_4)
	v_dual_mul_f32 v4, v20, v12 :: v_dual_add_f32 v21, v21, v129
	v_add_f32_e32 v22, v131, v22
	s_delay_alu instid0(VALU_DEP_3) | instskip(NEXT) | instid1(VALU_DEP_3)
	v_dual_fmac_f32 v134, v18, v9 :: v_dual_fmac_f32 v135, v20, v11
	v_fma_f32 v4, v19, v11, -v4
	s_delay_alu instid0(VALU_DEP_4) | instskip(NEXT) | instid1(VALU_DEP_4)
	v_add_f32_e32 v1, v21, v130
	v_add_f32_e32 v5, v22, v128
	v_mul_f32_e32 v129, v26, v16
	s_delay_alu instid0(VALU_DEP_3) | instskip(NEXT) | instid1(VALU_DEP_3)
	v_add_f32_e32 v1, v1, v2
	v_add_f32_e32 v2, v5, v132
	v_fma_f32 v5, v17, v9, -v6
	s_delay_alu instid0(VALU_DEP_4) | instskip(NEXT) | instid1(VALU_DEP_3)
	v_fmac_f32_e32 v129, v27, v15
	v_dual_add_f32 v1, v1, v3 :: v_dual_add_f32 v2, v2, v133
	v_mul_f32_e32 v3, v25, v14
	s_delay_alu instid0(VALU_DEP_2) | instskip(SKIP_1) | instid1(VALU_DEP_3)
	v_dual_add_f32 v1, v1, v5 :: v_dual_add_f32 v2, v2, v134
	v_mul_f32_e32 v5, v27, v16
	v_fma_f32 v3, v24, v13, -v3
	s_delay_alu instid0(VALU_DEP_3) | instskip(NEXT) | instid1(VALU_DEP_3)
	v_dual_add_f32 v1, v1, v4 :: v_dual_add_f32 v2, v2, v135
	v_fma_f32 v4, v26, v15, -v5
	s_delay_alu instid0(VALU_DEP_2) | instskip(NEXT) | instid1(VALU_DEP_1)
	v_dual_add_f32 v1, v1, v3 :: v_dual_add_f32 v2, v2, v138
	v_dual_add_f32 v1, v1, v4 :: v_dual_add_f32 v2, v2, v129
	s_delay_alu instid0(VALU_DEP_1)
	v_dual_sub_f32 v1, v136, v1 :: v_dual_sub_f32 v2, v137, v2
	scratch_store_b64 off, v[1:2], off offset:72
	v_cmpx_lt_u32_e32 8, v0
	s_cbranch_execz .LBB49_297
; %bb.296:
	scratch_load_b64 v[1:2], off, off offset:64
	v_mov_b32_e32 v3, 0
	s_delay_alu instid0(VALU_DEP_1)
	v_mov_b32_e32 v4, v3
	scratch_store_b64 off, v[3:4], off offset:64
	s_wait_loadcnt 0x0
	ds_store_b64 v23, v[1:2]
.LBB49_297:
	s_wait_alu 0xfffe
	s_or_b32 exec_lo, exec_lo, s0
	s_wait_storecnt_dscnt 0x0
	s_barrier_signal -1
	s_barrier_wait -1
	global_inv scope:SCOPE_SE
	s_clause 0x4
	scratch_load_b128 v[5:8], off, off offset:72
	scratch_load_b128 v[1:4], off, off offset:88
	;; [unrolled: 1-line block ×5, first 2 shown]
	v_mov_b32_e32 v21, 0
	ds_load_2addr_b64 v[24:27], v21 offset0:59 offset1:60
	ds_load_2addr_b64 v[128:131], v21 offset0:61 offset1:62
	;; [unrolled: 1-line block ×3, first 2 shown]
	scratch_load_b64 v[136:137], off, off offset:64
	s_mov_b32 s0, exec_lo
	s_wait_loadcnt_dscnt 0x502
	v_mul_f32_e32 v22, v25, v6
	v_dual_mul_f32 v138, v24, v6 :: v_dual_mul_f32 v139, v26, v8
	v_mul_f32_e32 v6, v27, v8
	s_delay_alu instid0(VALU_DEP_3) | instskip(NEXT) | instid1(VALU_DEP_3)
	v_fma_f32 v22, v24, v5, -v22
	v_dual_fmac_f32 v138, v25, v5 :: v_dual_fmac_f32 v139, v27, v7
	s_wait_loadcnt_dscnt 0x401
	v_mul_f32_e32 v25, v128, v2
	v_fma_f32 v24, v26, v7, -v6
	ds_load_2addr_b64 v[5:8], v21 offset0:65 offset1:66
	s_wait_loadcnt_dscnt 0x301
	v_dual_mul_f32 v26, v130, v4 :: v_dual_mul_f32 v27, v132, v10
	v_dual_mul_f32 v4, v131, v4 :: v_dual_fmac_f32 v25, v129, v1
	v_mul_f32_e32 v10, v133, v10
	s_delay_alu instid0(VALU_DEP_3)
	v_dual_mul_f32 v140, v134, v12 :: v_dual_fmac_f32 v27, v133, v9
	v_mul_f32_e32 v12, v135, v12
	v_mul_f32_e32 v2, v129, v2
	v_fmac_f32_e32 v26, v131, v3
	v_fma_f32 v129, v130, v3, -v4
	v_fma_f32 v130, v132, v9, -v10
	v_fmac_f32_e32 v140, v135, v11
	v_fma_f32 v131, v134, v11, -v12
	ds_load_2addr_b64 v[9:12], v21 offset0:67 offset1:68
	s_wait_loadcnt_dscnt 0x201
	v_mul_f32_e32 v133, v7, v16
	v_fma_f32 v128, v128, v1, -v2
	scratch_load_b128 v[1:4], off, off offset:152
	v_mul_f32_e32 v132, v5, v14
	v_mul_f32_e32 v14, v6, v14
	;; [unrolled: 1-line block ×3, first 2 shown]
	s_delay_alu instid0(VALU_DEP_3) | instskip(NEXT) | instid1(VALU_DEP_3)
	v_dual_fmac_f32 v133, v8, v15 :: v_dual_fmac_f32 v132, v6, v13
	v_fma_f32 v13, v5, v13, -v14
	s_delay_alu instid0(VALU_DEP_3)
	v_fma_f32 v14, v7, v15, -v16
	ds_load_2addr_b64 v[5:8], v21 offset0:69 offset1:70
	s_wait_loadcnt_dscnt 0x201
	v_mul_f32_e32 v15, v9, v18
	v_mul_f32_e32 v16, v10, v18
	;; [unrolled: 1-line block ×3, first 2 shown]
	s_delay_alu instid0(VALU_DEP_3) | instskip(NEXT) | instid1(VALU_DEP_3)
	v_dual_mul_f32 v20, v12, v20 :: v_dual_fmac_f32 v15, v10, v17
	v_fma_f32 v16, v9, v17, -v16
	s_delay_alu instid0(VALU_DEP_3) | instskip(NEXT) | instid1(VALU_DEP_3)
	v_fmac_f32_e32 v18, v12, v19
	v_fma_f32 v17, v11, v19, -v20
	scratch_load_b128 v[9:12], off, off offset:168
	s_wait_loadcnt_dscnt 0x100
	v_mul_f32_e32 v19, v5, v2
	v_mul_f32_e32 v2, v6, v2
	;; [unrolled: 1-line block ×3, first 2 shown]
	s_delay_alu instid0(VALU_DEP_3) | instskip(NEXT) | instid1(VALU_DEP_3)
	v_dual_mul_f32 v4, v8, v4 :: v_dual_fmac_f32 v19, v6, v1
	v_fma_f32 v134, v5, v1, -v2
	s_delay_alu instid0(VALU_DEP_3) | instskip(NEXT) | instid1(VALU_DEP_3)
	v_fmac_f32_e32 v20, v8, v3
	v_fma_f32 v135, v7, v3, -v4
	ds_load_2addr_b64 v[1:4], v21 offset0:71 offset1:72
	ds_load_2addr_b64 v[5:8], v21 offset0:73 offset1:74
	s_wait_loadcnt_dscnt 0x1
	v_mul_f32_e32 v141, v1, v10
	v_mul_f32_e32 v10, v2, v10
	s_delay_alu instid0(VALU_DEP_2) | instskip(NEXT) | instid1(VALU_DEP_2)
	v_dual_mul_f32 v142, v3, v12 :: v_dual_fmac_f32 v141, v2, v9
	v_fma_f32 v143, v1, v9, -v10
	v_mul_f32_e32 v1, v4, v12
	s_delay_alu instid0(VALU_DEP_3) | instskip(NEXT) | instid1(VALU_DEP_2)
	v_fmac_f32_e32 v142, v4, v11
	v_fma_f32 v144, v3, v11, -v1
	s_clause 0x1
	scratch_load_b128 v[1:4], off, off offset:184
	scratch_load_b128 v[9:12], off, off offset:200
	s_wait_loadcnt_dscnt 0x100
	v_mul_f32_e32 v145, v5, v2
	v_dual_mul_f32 v2, v6, v2 :: v_dual_mul_f32 v147, v7, v4
	s_delay_alu instid0(VALU_DEP_2) | instskip(NEXT) | instid1(VALU_DEP_2)
	v_fmac_f32_e32 v145, v6, v1
	v_fma_f32 v146, v5, v1, -v2
	v_mul_f32_e32 v1, v8, v4
	s_delay_alu instid0(VALU_DEP_4) | instskip(NEXT) | instid1(VALU_DEP_2)
	v_fmac_f32_e32 v147, v8, v3
	v_fma_f32 v148, v7, v3, -v1
	ds_load_2addr_b64 v[1:4], v21 offset0:75 offset1:76
	ds_load_2addr_b64 v[5:8], v21 offset0:77 offset1:78
	s_wait_loadcnt_dscnt 0x1
	v_mul_f32_e32 v149, v1, v10
	v_mul_f32_e32 v151, v3, v12
	s_delay_alu instid0(VALU_DEP_2) | instskip(NEXT) | instid1(VALU_DEP_2)
	v_fmac_f32_e32 v149, v2, v9
	v_dual_mul_f32 v2, v2, v10 :: v_dual_fmac_f32 v151, v4, v11
	s_delay_alu instid0(VALU_DEP_1) | instskip(SKIP_1) | instid1(VALU_DEP_1)
	v_fma_f32 v150, v1, v9, -v2
	v_mul_f32_e32 v1, v4, v12
	v_fma_f32 v152, v3, v11, -v1
	s_clause 0x1
	scratch_load_b128 v[1:4], off, off offset:216
	scratch_load_b128 v[9:12], off, off offset:232
	s_wait_loadcnt_dscnt 0x100
	v_mul_f32_e32 v153, v5, v2
	v_dual_mul_f32 v155, v7, v4 :: v_dual_mul_f32 v2, v6, v2
	s_delay_alu instid0(VALU_DEP_2) | instskip(NEXT) | instid1(VALU_DEP_2)
	v_fmac_f32_e32 v153, v6, v1
	v_fmac_f32_e32 v155, v8, v3
	s_delay_alu instid0(VALU_DEP_3) | instskip(SKIP_1) | instid1(VALU_DEP_1)
	v_fma_f32 v154, v5, v1, -v2
	v_mul_f32_e32 v1, v8, v4
	v_fma_f32 v156, v7, v3, -v1
	ds_load_2addr_b64 v[1:4], v21 offset0:79 offset1:80
	ds_load_2addr_b64 v[5:8], v21 offset0:81 offset1:82
	s_wait_loadcnt_dscnt 0x1
	v_mul_f32_e32 v157, v1, v10
	v_mul_f32_e32 v159, v3, v12
	s_delay_alu instid0(VALU_DEP_2) | instskip(NEXT) | instid1(VALU_DEP_2)
	v_fmac_f32_e32 v157, v2, v9
	v_dual_mul_f32 v2, v2, v10 :: v_dual_fmac_f32 v159, v4, v11
	s_delay_alu instid0(VALU_DEP_1) | instskip(SKIP_1) | instid1(VALU_DEP_1)
	v_fma_f32 v158, v1, v9, -v2
	v_mul_f32_e32 v1, v4, v12
	v_fma_f32 v160, v3, v11, -v1
	s_clause 0x1
	scratch_load_b128 v[1:4], off, off offset:248
	scratch_load_b128 v[9:12], off, off offset:264
	s_wait_loadcnt_dscnt 0x100
	v_mul_f32_e32 v161, v5, v2
	v_dual_mul_f32 v2, v6, v2 :: v_dual_mul_f32 v163, v7, v4
	s_delay_alu instid0(VALU_DEP_2) | instskip(NEXT) | instid1(VALU_DEP_2)
	v_fmac_f32_e32 v161, v6, v1
	v_fma_f32 v162, v5, v1, -v2
	v_mul_f32_e32 v1, v8, v4
	s_delay_alu instid0(VALU_DEP_4) | instskip(NEXT) | instid1(VALU_DEP_2)
	v_fmac_f32_e32 v163, v8, v3
	v_fma_f32 v164, v7, v3, -v1
	ds_load_2addr_b64 v[1:4], v21 offset0:83 offset1:84
	ds_load_2addr_b64 v[5:8], v21 offset0:85 offset1:86
	s_wait_loadcnt_dscnt 0x1
	v_mul_f32_e32 v165, v1, v10
	v_mul_f32_e32 v167, v3, v12
	s_delay_alu instid0(VALU_DEP_2) | instskip(NEXT) | instid1(VALU_DEP_2)
	v_fmac_f32_e32 v165, v2, v9
	v_dual_mul_f32 v2, v2, v10 :: v_dual_fmac_f32 v167, v4, v11
	s_delay_alu instid0(VALU_DEP_1) | instskip(SKIP_1) | instid1(VALU_DEP_1)
	v_fma_f32 v166, v1, v9, -v2
	v_mul_f32_e32 v1, v4, v12
	v_fma_f32 v168, v3, v11, -v1
	s_clause 0x1
	scratch_load_b128 v[1:4], off, off offset:280
	scratch_load_b128 v[9:12], off, off offset:296
	s_wait_loadcnt_dscnt 0x100
	v_mul_f32_e32 v169, v5, v2
	v_dual_mul_f32 v2, v6, v2 :: v_dual_mul_f32 v171, v7, v4
	s_delay_alu instid0(VALU_DEP_2) | instskip(NEXT) | instid1(VALU_DEP_2)
	v_fmac_f32_e32 v169, v6, v1
	v_fma_f32 v170, v5, v1, -v2
	v_mul_f32_e32 v1, v8, v4
	s_delay_alu instid0(VALU_DEP_4) | instskip(NEXT) | instid1(VALU_DEP_2)
	v_fmac_f32_e32 v171, v8, v3
	v_fma_f32 v172, v7, v3, -v1
	ds_load_2addr_b64 v[1:4], v21 offset0:87 offset1:88
	ds_load_2addr_b64 v[5:8], v21 offset0:89 offset1:90
	s_wait_loadcnt_dscnt 0x1
	v_mul_f32_e32 v173, v1, v10
	v_mul_f32_e32 v175, v3, v12
	s_delay_alu instid0(VALU_DEP_2) | instskip(NEXT) | instid1(VALU_DEP_2)
	v_fmac_f32_e32 v173, v2, v9
	v_dual_mul_f32 v2, v2, v10 :: v_dual_fmac_f32 v175, v4, v11
	s_delay_alu instid0(VALU_DEP_1) | instskip(SKIP_1) | instid1(VALU_DEP_1)
	v_fma_f32 v174, v1, v9, -v2
	v_mul_f32_e32 v1, v4, v12
	v_fma_f32 v176, v3, v11, -v1
	s_clause 0x1
	scratch_load_b128 v[1:4], off, off offset:312
	scratch_load_b128 v[9:12], off, off offset:328
	s_wait_loadcnt_dscnt 0x100
	v_mul_f32_e32 v177, v5, v2
	v_mul_f32_e32 v2, v6, v2
	s_delay_alu instid0(VALU_DEP_2) | instskip(NEXT) | instid1(VALU_DEP_2)
	v_fmac_f32_e32 v177, v6, v1
	v_fma_f32 v178, v5, v1, -v2
	v_dual_add_f32 v2, 0, v138 :: v_dual_mul_f32 v1, v8, v4
	s_delay_alu instid0(VALU_DEP_1) | instskip(NEXT) | instid1(VALU_DEP_2)
	v_add_f32_e32 v2, v2, v139
	v_fma_f32 v180, v7, v3, -v1
	s_delay_alu instid0(VALU_DEP_2) | instskip(NEXT) | instid1(VALU_DEP_1)
	v_dual_add_f32 v1, 0, v22 :: v_dual_add_f32 v2, v2, v25
	v_dual_add_f32 v1, v1, v24 :: v_dual_add_f32 v2, v2, v26
	s_delay_alu instid0(VALU_DEP_1) | instskip(NEXT) | instid1(VALU_DEP_1)
	v_dual_add_f32 v1, v1, v128 :: v_dual_add_f32 v2, v2, v27
	v_add_f32_e32 v1, v1, v129
	scratch_load_b64 v[128:129], off, off offset:392
	v_dual_add_f32 v2, v2, v140 :: v_dual_add_f32 v1, v1, v130
	s_delay_alu instid0(VALU_DEP_1) | instskip(NEXT) | instid1(VALU_DEP_1)
	v_dual_add_f32 v2, v2, v132 :: v_dual_add_f32 v1, v1, v131
	v_add_f32_e32 v2, v2, v133
	s_delay_alu instid0(VALU_DEP_1) | instskip(NEXT) | instid1(VALU_DEP_1)
	v_dual_add_f32 v1, v1, v13 :: v_dual_add_f32 v2, v2, v15
	v_add_f32_e32 v2, v2, v18
	s_delay_alu instid0(VALU_DEP_1) | instskip(NEXT) | instid1(VALU_DEP_1)
	v_add_f32_e32 v2, v2, v19
	v_add_f32_e32 v2, v2, v20
	s_delay_alu instid0(VALU_DEP_1) | instskip(NEXT) | instid1(VALU_DEP_1)
	v_add_f32_e32 v2, v2, v141
	v_add_f32_e32 v2, v2, v142
	s_delay_alu instid0(VALU_DEP_1) | instskip(NEXT) | instid1(VALU_DEP_1)
	v_dual_add_f32 v2, v2, v145 :: v_dual_add_f32 v1, v1, v14
	v_dual_add_f32 v2, v2, v147 :: v_dual_add_f32 v1, v1, v16
	s_delay_alu instid0(VALU_DEP_1) | instskip(NEXT) | instid1(VALU_DEP_1)
	v_add_f32_e32 v1, v1, v17
	v_add_f32_e32 v1, v1, v134
	s_delay_alu instid0(VALU_DEP_1) | instskip(NEXT) | instid1(VALU_DEP_1)
	v_add_f32_e32 v1, v1, v135
	v_add_f32_e32 v1, v1, v143
	;; [unrolled: 3-line block ×4, first 2 shown]
	s_delay_alu instid0(VALU_DEP_1) | instskip(NEXT) | instid1(VALU_DEP_1)
	v_add_f32_e32 v6, v1, v152
	v_dual_mul_f32 v179, v7, v4 :: v_dual_add_f32 v6, v6, v154
	s_delay_alu instid0(VALU_DEP_1) | instskip(NEXT) | instid1(VALU_DEP_2)
	v_fmac_f32_e32 v179, v8, v3
	v_add_f32_e32 v13, v6, v156
	s_delay_alu instid0(VALU_DEP_1) | instskip(NEXT) | instid1(VALU_DEP_1)
	v_add_f32_e32 v13, v13, v158
	v_add_f32_e32 v13, v13, v160
	s_delay_alu instid0(VALU_DEP_1) | instskip(SKIP_3) | instid1(VALU_DEP_1)
	v_add_f32_e32 v13, v13, v162
	v_add_f32_e32 v5, v2, v149
	ds_load_2addr_b64 v[1:4], v21 offset0:91 offset1:92
	v_add_f32_e32 v18, v13, v164
	v_dual_add_f32 v5, v5, v151 :: v_dual_add_f32 v18, v18, v166
	s_delay_alu instid0(VALU_DEP_1) | instskip(NEXT) | instid1(VALU_DEP_1)
	v_dual_add_f32 v5, v5, v153 :: v_dual_add_f32 v18, v18, v168
	v_add_f32_e32 v14, v5, v155
	ds_load_2addr_b64 v[5:8], v21 offset0:93 offset1:94
	v_add_f32_e32 v18, v18, v170
	v_add_f32_e32 v14, v14, v157
	s_wait_loadcnt_dscnt 0x101
	v_mul_f32_e32 v22, v1, v10
	v_mul_f32_e32 v10, v2, v10
	;; [unrolled: 1-line block ×4, first 2 shown]
	v_add_f32_e32 v18, v18, v172
	v_fmac_f32_e32 v22, v2, v9
	v_fma_f32 v133, v1, v9, -v10
	v_fmac_f32_e32 v132, v4, v11
	v_fma_f32 v134, v3, v11, -v12
	s_clause 0x1
	scratch_load_b128 v[1:4], off, off offset:344
	scratch_load_b128 v[9:12], off, off offset:360
	v_add_f32_e32 v130, v18, v174
	v_add_f32_e32 v14, v14, v159
	s_delay_alu instid0(VALU_DEP_2) | instskip(NEXT) | instid1(VALU_DEP_1)
	v_add_f32_e32 v135, v130, v176
	v_add_f32_e32 v135, v135, v178
	s_delay_alu instid0(VALU_DEP_1) | instskip(NEXT) | instid1(VALU_DEP_1)
	v_add_f32_e32 v135, v135, v180
	v_add_f32_e32 v133, v135, v133
	s_delay_alu instid0(VALU_DEP_1)
	v_add_f32_e32 v133, v133, v134
	s_wait_loadcnt_dscnt 0x100
	v_mul_f32_e32 v139, v5, v2
	v_mul_f32_e32 v2, v6, v2
	;; [unrolled: 1-line block ×4, first 2 shown]
	s_delay_alu instid0(VALU_DEP_3)
	v_fma_f32 v2, v5, v1, -v2
	v_add_f32_e32 v17, v14, v161
	scratch_load_b128 v[13:16], off, off offset:376
	v_fmac_f32_e32 v140, v8, v3
	v_add_f32_e32 v2, v133, v2
	v_add_f32_e32 v17, v17, v163
	s_delay_alu instid0(VALU_DEP_1) | instskip(NEXT) | instid1(VALU_DEP_1)
	v_add_f32_e32 v17, v17, v165
	v_add_f32_e32 v17, v17, v167
	s_delay_alu instid0(VALU_DEP_1) | instskip(NEXT) | instid1(VALU_DEP_1)
	v_add_f32_e32 v17, v17, v169
	v_add_f32_e32 v24, v17, v171
	ds_load_2addr_b64 v[17:20], v21 offset0:95 offset1:96
	v_add_f32_e32 v131, v24, v173
	ds_load_2addr_b64 v[24:27], v21 offset0:97 offset1:98
	v_add_f32_e32 v138, v131, v175
	ds_load_b64 v[130:131], v21 offset:792
	v_add_f32_e32 v138, v138, v177
	s_wait_loadcnt_dscnt 0x102
	s_delay_alu instid0(VALU_DEP_1) | instskip(NEXT) | instid1(VALU_DEP_1)
	v_dual_add_f32 v138, v138, v179 :: v_dual_mul_f32 v135, v17, v10
	v_dual_mul_f32 v5, v20, v12 :: v_dual_add_f32 v22, v138, v22
	s_delay_alu instid0(VALU_DEP_2) | instskip(NEXT) | instid1(VALU_DEP_2)
	v_dual_mul_f32 v138, v19, v12 :: v_dual_fmac_f32 v135, v18, v9
	v_fma_f32 v5, v19, v11, -v5
	s_delay_alu instid0(VALU_DEP_3) | instskip(NEXT) | instid1(VALU_DEP_3)
	v_add_f32_e32 v22, v22, v132
	v_fmac_f32_e32 v138, v20, v11
	s_wait_dscnt 0x0
	v_mul_f32_e32 v132, v130, v129
	s_delay_alu instid0(VALU_DEP_1) | instskip(SKIP_2) | instid1(VALU_DEP_3)
	v_dual_fmac_f32 v132, v131, v128 :: v_dual_fmac_f32 v139, v6, v1
	v_fma_f32 v1, v7, v3, -v4
	v_mul_f32_e32 v3, v18, v10
	v_add_f32_e32 v4, v22, v139
	s_delay_alu instid0(VALU_DEP_3) | instskip(NEXT) | instid1(VALU_DEP_3)
	v_add_f32_e32 v1, v2, v1
	v_fma_f32 v3, v17, v9, -v3
	s_delay_alu instid0(VALU_DEP_1) | instskip(NEXT) | instid1(VALU_DEP_1)
	v_dual_add_f32 v2, v4, v140 :: v_dual_add_f32 v1, v1, v3
	v_dual_add_f32 v2, v2, v135 :: v_dual_add_f32 v1, v1, v5
	s_delay_alu instid0(VALU_DEP_1)
	v_dual_mul_f32 v5, v131, v129 :: v_dual_add_f32 v2, v2, v138
	s_wait_loadcnt 0x0
	v_mul_f32_e32 v141, v24, v14
	v_mul_f32_e32 v4, v25, v14
	v_mul_f32_e32 v134, v26, v16
	v_mul_f32_e32 v3, v27, v16
	s_delay_alu instid0(VALU_DEP_4) | instskip(NEXT) | instid1(VALU_DEP_4)
	v_fmac_f32_e32 v141, v25, v13
	v_fma_f32 v4, v24, v13, -v4
	s_delay_alu instid0(VALU_DEP_4) | instskip(NEXT) | instid1(VALU_DEP_4)
	v_fmac_f32_e32 v134, v27, v15
	v_fma_f32 v3, v26, v15, -v3
	s_delay_alu instid0(VALU_DEP_3) | instskip(SKIP_1) | instid1(VALU_DEP_2)
	v_dual_add_f32 v2, v2, v141 :: v_dual_add_f32 v1, v1, v4
	v_fma_f32 v4, v130, v128, -v5
	v_dual_add_f32 v2, v2, v134 :: v_dual_add_f32 v1, v1, v3
	s_delay_alu instid0(VALU_DEP_1) | instskip(NEXT) | instid1(VALU_DEP_2)
	v_add_f32_e32 v2, v2, v132
	v_add_f32_e32 v1, v1, v4
	s_delay_alu instid0(VALU_DEP_1)
	v_dual_sub_f32 v2, v137, v2 :: v_dual_sub_f32 v1, v136, v1
	scratch_store_b64 off, v[1:2], off offset:64
	v_cmpx_lt_u32_e32 7, v0
	s_cbranch_execz .LBB49_299
; %bb.298:
	scratch_load_b64 v[1:2], off, off offset:56
	v_mov_b32_e32 v22, v21
	scratch_store_b64 off, v[21:22], off offset:56
	s_wait_loadcnt 0x0
	ds_store_b64 v23, v[1:2]
.LBB49_299:
	s_wait_alu 0xfffe
	s_or_b32 exec_lo, exec_lo, s0
	s_wait_storecnt_dscnt 0x0
	s_barrier_signal -1
	s_barrier_wait -1
	global_inv scope:SCOPE_SE
	s_clause 0x4
	scratch_load_b128 v[5:8], off, off offset:64
	scratch_load_b128 v[1:4], off, off offset:80
	;; [unrolled: 1-line block ×5, first 2 shown]
	ds_load_b128 v[24:27], v21 offset:464
	ds_load_b128 v[128:131], v21 offset:480
	;; [unrolled: 1-line block ×3, first 2 shown]
	scratch_load_b64 v[136:137], off, off offset:56
	s_mov_b32 s0, exec_lo
	s_wait_loadcnt_dscnt 0x502
	v_dual_mul_f32 v22, v25, v6 :: v_dual_mul_f32 v139, v26, v8
	v_mul_f32_e32 v138, v24, v6
	v_mul_f32_e32 v6, v27, v8
	s_wait_loadcnt_dscnt 0x300
	v_mul_f32_e32 v140, v134, v12
	v_fma_f32 v22, v24, v5, -v22
	v_dual_fmac_f32 v139, v27, v7 :: v_dual_fmac_f32 v138, v25, v5
	v_mul_f32_e32 v27, v132, v10
	v_mul_f32_e32 v25, v128, v2
	v_fma_f32 v24, v26, v7, -v6
	ds_load_b128 v[5:8], v21 offset:512
	v_mul_f32_e32 v26, v130, v4
	v_dual_mul_f32 v4, v131, v4 :: v_dual_fmac_f32 v27, v133, v9
	v_mul_f32_e32 v10, v133, v10
	v_mul_f32_e32 v12, v135, v12
	;; [unrolled: 1-line block ×3, first 2 shown]
	v_dual_fmac_f32 v25, v129, v1 :: v_dual_fmac_f32 v26, v131, v3
	v_fma_f32 v129, v130, v3, -v4
	v_fma_f32 v130, v132, v9, -v10
	v_fmac_f32_e32 v140, v135, v11
	v_fma_f32 v131, v134, v11, -v12
	ds_load_b128 v[9:12], v21 offset:528
	s_wait_loadcnt_dscnt 0x201
	v_mul_f32_e32 v133, v7, v16
	v_fma_f32 v128, v128, v1, -v2
	scratch_load_b128 v[1:4], off, off offset:144
	v_mul_f32_e32 v132, v5, v14
	v_mul_f32_e32 v14, v6, v14
	;; [unrolled: 1-line block ×3, first 2 shown]
	s_delay_alu instid0(VALU_DEP_3) | instskip(NEXT) | instid1(VALU_DEP_3)
	v_dual_fmac_f32 v133, v8, v15 :: v_dual_fmac_f32 v132, v6, v13
	v_fma_f32 v13, v5, v13, -v14
	s_delay_alu instid0(VALU_DEP_3)
	v_fma_f32 v14, v7, v15, -v16
	ds_load_b128 v[5:8], v21 offset:544
	s_wait_loadcnt_dscnt 0x201
	v_mul_f32_e32 v15, v9, v18
	v_mul_f32_e32 v16, v10, v18
	;; [unrolled: 1-line block ×3, first 2 shown]
	s_delay_alu instid0(VALU_DEP_3) | instskip(NEXT) | instid1(VALU_DEP_3)
	v_dual_mul_f32 v20, v12, v20 :: v_dual_fmac_f32 v15, v10, v17
	v_fma_f32 v16, v9, v17, -v16
	s_delay_alu instid0(VALU_DEP_3) | instskip(NEXT) | instid1(VALU_DEP_3)
	v_fmac_f32_e32 v18, v12, v19
	v_fma_f32 v17, v11, v19, -v20
	scratch_load_b128 v[9:12], off, off offset:160
	s_wait_loadcnt_dscnt 0x100
	v_mul_f32_e32 v19, v5, v2
	v_mul_f32_e32 v2, v6, v2
	;; [unrolled: 1-line block ×3, first 2 shown]
	s_delay_alu instid0(VALU_DEP_3) | instskip(NEXT) | instid1(VALU_DEP_3)
	v_dual_mul_f32 v4, v8, v4 :: v_dual_fmac_f32 v19, v6, v1
	v_fma_f32 v134, v5, v1, -v2
	s_delay_alu instid0(VALU_DEP_3) | instskip(NEXT) | instid1(VALU_DEP_3)
	v_fmac_f32_e32 v20, v8, v3
	v_fma_f32 v135, v7, v3, -v4
	ds_load_b128 v[1:4], v21 offset:560
	ds_load_b128 v[5:8], v21 offset:576
	s_wait_loadcnt_dscnt 0x1
	v_mul_f32_e32 v141, v1, v10
	v_mul_f32_e32 v10, v2, v10
	s_delay_alu instid0(VALU_DEP_2) | instskip(NEXT) | instid1(VALU_DEP_2)
	v_dual_mul_f32 v142, v3, v12 :: v_dual_fmac_f32 v141, v2, v9
	v_fma_f32 v143, v1, v9, -v10
	v_mul_f32_e32 v1, v4, v12
	s_delay_alu instid0(VALU_DEP_3) | instskip(NEXT) | instid1(VALU_DEP_2)
	v_fmac_f32_e32 v142, v4, v11
	v_fma_f32 v144, v3, v11, -v1
	s_clause 0x1
	scratch_load_b128 v[1:4], off, off offset:176
	scratch_load_b128 v[9:12], off, off offset:192
	s_wait_loadcnt_dscnt 0x100
	v_mul_f32_e32 v145, v5, v2
	v_dual_mul_f32 v2, v6, v2 :: v_dual_mul_f32 v147, v7, v4
	s_delay_alu instid0(VALU_DEP_2) | instskip(NEXT) | instid1(VALU_DEP_2)
	v_fmac_f32_e32 v145, v6, v1
	v_fma_f32 v146, v5, v1, -v2
	v_mul_f32_e32 v1, v8, v4
	s_delay_alu instid0(VALU_DEP_4) | instskip(NEXT) | instid1(VALU_DEP_2)
	v_fmac_f32_e32 v147, v8, v3
	v_fma_f32 v148, v7, v3, -v1
	ds_load_b128 v[1:4], v21 offset:592
	ds_load_b128 v[5:8], v21 offset:608
	s_wait_loadcnt_dscnt 0x1
	v_mul_f32_e32 v149, v1, v10
	v_mul_f32_e32 v151, v3, v12
	s_delay_alu instid0(VALU_DEP_2) | instskip(NEXT) | instid1(VALU_DEP_2)
	v_fmac_f32_e32 v149, v2, v9
	v_dual_mul_f32 v2, v2, v10 :: v_dual_fmac_f32 v151, v4, v11
	s_delay_alu instid0(VALU_DEP_1) | instskip(SKIP_1) | instid1(VALU_DEP_1)
	v_fma_f32 v150, v1, v9, -v2
	v_mul_f32_e32 v1, v4, v12
	v_fma_f32 v152, v3, v11, -v1
	s_clause 0x1
	scratch_load_b128 v[1:4], off, off offset:208
	scratch_load_b128 v[9:12], off, off offset:224
	s_wait_loadcnt_dscnt 0x100
	v_mul_f32_e32 v153, v5, v2
	v_dual_mul_f32 v2, v6, v2 :: v_dual_mul_f32 v155, v7, v4
	s_delay_alu instid0(VALU_DEP_2) | instskip(NEXT) | instid1(VALU_DEP_2)
	v_fmac_f32_e32 v153, v6, v1
	v_fma_f32 v154, v5, v1, -v2
	v_mul_f32_e32 v1, v8, v4
	s_delay_alu instid0(VALU_DEP_4) | instskip(NEXT) | instid1(VALU_DEP_2)
	v_fmac_f32_e32 v155, v8, v3
	v_fma_f32 v156, v7, v3, -v1
	ds_load_b128 v[1:4], v21 offset:624
	ds_load_b128 v[5:8], v21 offset:640
	s_wait_loadcnt_dscnt 0x1
	v_mul_f32_e32 v157, v1, v10
	v_mul_f32_e32 v159, v3, v12
	s_delay_alu instid0(VALU_DEP_2) | instskip(NEXT) | instid1(VALU_DEP_2)
	v_fmac_f32_e32 v157, v2, v9
	v_dual_mul_f32 v2, v2, v10 :: v_dual_fmac_f32 v159, v4, v11
	s_delay_alu instid0(VALU_DEP_1) | instskip(SKIP_1) | instid1(VALU_DEP_1)
	v_fma_f32 v158, v1, v9, -v2
	v_mul_f32_e32 v1, v4, v12
	;; [unrolled: 25-line block ×4, first 2 shown]
	v_fma_f32 v176, v3, v11, -v1
	s_clause 0x1
	scratch_load_b128 v[1:4], off, off offset:304
	scratch_load_b128 v[9:12], off, off offset:320
	s_wait_loadcnt_dscnt 0x100
	v_mul_f32_e32 v177, v5, v2
	v_mul_f32_e32 v2, v6, v2
	s_delay_alu instid0(VALU_DEP_1) | instskip(SKIP_1) | instid1(VALU_DEP_1)
	v_fma_f32 v178, v5, v1, -v2
	v_add_f32_e32 v2, 0, v138
	v_add_f32_e32 v2, v2, v139
	s_delay_alu instid0(VALU_DEP_1) | instskip(NEXT) | instid1(VALU_DEP_1)
	v_add_f32_e32 v2, v2, v25
	v_add_f32_e32 v2, v2, v26
	s_delay_alu instid0(VALU_DEP_1) | instskip(NEXT) | instid1(VALU_DEP_1)
	;; [unrolled: 3-line block ×7, first 2 shown]
	v_add_f32_e32 v2, v2, v145
	v_add_f32_e32 v2, v2, v147
	v_fmac_f32_e32 v177, v6, v1
	v_mul_f32_e32 v1, v8, v4
	s_delay_alu instid0(VALU_DEP_3) | instskip(NEXT) | instid1(VALU_DEP_2)
	v_dual_mul_f32 v179, v7, v4 :: v_dual_add_f32 v2, v2, v149
	v_fma_f32 v180, v7, v3, -v1
	v_add_f32_e32 v1, 0, v22
	s_delay_alu instid0(VALU_DEP_1) | instskip(NEXT) | instid1(VALU_DEP_1)
	v_add_f32_e32 v1, v1, v24
	v_add_f32_e32 v1, v1, v128
	s_delay_alu instid0(VALU_DEP_1) | instskip(NEXT) | instid1(VALU_DEP_1)
	v_add_f32_e32 v1, v1, v129
	;; [unrolled: 3-line block ×9, first 2 shown]
	v_dual_add_f32 v6, v1, v154 :: v_dual_fmac_f32 v179, v8, v3
	s_delay_alu instid0(VALU_DEP_1) | instskip(NEXT) | instid1(VALU_DEP_1)
	v_add_f32_e32 v14, v6, v156
	v_add_f32_e32 v14, v14, v158
	s_delay_alu instid0(VALU_DEP_1) | instskip(NEXT) | instid1(VALU_DEP_1)
	v_add_f32_e32 v17, v14, v160
	v_add_f32_e32 v17, v17, v162
	;; [unrolled: 3-line block ×4, first 2 shown]
	s_delay_alu instid0(VALU_DEP_1)
	v_add_f32_e32 v25, v25, v172
	v_add_f32_e32 v5, v2, v151
	ds_load_b128 v[1:4], v21 offset:720
	v_add_f32_e32 v13, v5, v153
	scratch_load_b128 v[5:8], off, off offset:336
	v_add_f32_e32 v13, v13, v155
	s_delay_alu instid0(VALU_DEP_1) | instskip(NEXT) | instid1(VALU_DEP_1)
	v_add_f32_e32 v13, v13, v157
	v_add_f32_e32 v18, v13, v159
	ds_load_b128 v[13:16], v21 offset:736
	s_wait_loadcnt_dscnt 0x101
	v_mul_f32_e32 v22, v1, v10
	v_mul_f32_e32 v10, v2, v10
	;; [unrolled: 1-line block ×4, first 2 shown]
	v_add_f32_e32 v18, v18, v161
	v_fmac_f32_e32 v22, v2, v9
	v_fma_f32 v129, v1, v9, -v10
	v_fmac_f32_e32 v128, v4, v11
	v_fma_f32 v130, v3, v11, -v12
	s_clause 0x1
	scratch_load_b128 v[1:4], off, off offset:352
	scratch_load_b128 v[9:12], off, off offset:368
	v_add_f32_e32 v18, v18, v163
	s_delay_alu instid0(VALU_DEP_1) | instskip(SKIP_3) | instid1(VALU_DEP_1)
	v_add_f32_e32 v24, v18, v165
	scratch_load_b128 v[17:20], off, off offset:384
	v_add_f32_e32 v24, v24, v167
	s_wait_loadcnt_dscnt 0x300
	v_dual_add_f32 v24, v24, v169 :: v_dual_mul_f32 v131, v13, v6
	v_mul_f32_e32 v6, v14, v6
	v_mul_f32_e32 v132, v15, v8
	s_delay_alu instid0(VALU_DEP_3) | instskip(NEXT) | instid1(VALU_DEP_3)
	v_dual_mul_f32 v8, v16, v8 :: v_dual_fmac_f32 v131, v14, v5
	v_fma_f32 v133, v13, v5, -v6
	v_dual_add_f32 v13, v24, v171 :: v_dual_add_f32 v24, v25, v174
	s_delay_alu instid0(VALU_DEP_4) | instskip(NEXT) | instid1(VALU_DEP_4)
	v_fmac_f32_e32 v132, v16, v7
	v_fma_f32 v134, v15, v7, -v8
	ds_load_b128 v[5:8], v21 offset:752
	v_add_f32_e32 v25, v13, v173
	v_add_f32_e32 v135, v24, v176
	ds_load_b128 v[13:16], v21 offset:768
	v_add_f32_e32 v138, v25, v175
	ds_load_b128 v[24:27], v21 offset:784
	v_add_f32_e32 v21, v135, v178
	v_add_f32_e32 v135, v138, v177
	s_delay_alu instid0(VALU_DEP_2) | instskip(NEXT) | instid1(VALU_DEP_2)
	v_add_f32_e32 v21, v21, v180
	v_add_f32_e32 v135, v135, v179
	s_delay_alu instid0(VALU_DEP_2) | instskip(SKIP_2) | instid1(VALU_DEP_3)
	v_add_f32_e32 v21, v21, v129
	s_wait_loadcnt_dscnt 0x202
	v_mul_f32_e32 v138, v5, v2
	v_add_f32_e32 v22, v135, v22
	v_mul_f32_e32 v2, v6, v2
	v_add_f32_e32 v21, v21, v130
	v_mul_f32_e32 v129, v7, v4
	v_mul_f32_e32 v4, v8, v4
	v_add_f32_e32 v22, v22, v128
	v_fma_f32 v2, v5, v1, -v2
	v_add_f32_e32 v21, v21, v133
	s_wait_loadcnt_dscnt 0x101
	v_dual_fmac_f32 v138, v6, v1 :: v_dual_mul_f32 v135, v13, v10
	v_add_f32_e32 v22, v22, v131
	v_mul_f32_e32 v6, v14, v10
	v_add_f32_e32 v1, v21, v134
	v_fmac_f32_e32 v129, v8, v3
	v_fma_f32 v3, v7, v3, -v4
	v_add_f32_e32 v5, v22, v132
	v_mul_f32_e32 v139, v15, v12
	v_dual_add_f32 v1, v1, v2 :: v_dual_mul_f32 v4, v16, v12
	s_delay_alu instid0(VALU_DEP_3) | instskip(SKIP_2) | instid1(VALU_DEP_3)
	v_dual_fmac_f32 v135, v14, v9 :: v_dual_add_f32 v2, v5, v138
	v_fma_f32 v5, v13, v9, -v6
	s_wait_loadcnt_dscnt 0x0
	v_dual_add_f32 v1, v1, v3 :: v_dual_mul_f32 v128, v24, v18
	s_delay_alu instid0(VALU_DEP_3) | instskip(SKIP_2) | instid1(VALU_DEP_4)
	v_dual_mul_f32 v3, v25, v18 :: v_dual_add_f32 v2, v2, v129
	v_fmac_f32_e32 v139, v16, v11
	v_fma_f32 v4, v15, v11, -v4
	v_dual_add_f32 v1, v1, v5 :: v_dual_mul_f32 v130, v26, v20
	s_delay_alu instid0(VALU_DEP_4) | instskip(SKIP_2) | instid1(VALU_DEP_3)
	v_dual_add_f32 v2, v2, v135 :: v_dual_mul_f32 v5, v27, v20
	v_fmac_f32_e32 v128, v25, v17
	v_fma_f32 v3, v24, v17, -v3
	v_dual_add_f32 v1, v1, v4 :: v_dual_add_f32 v2, v2, v139
	v_fmac_f32_e32 v130, v27, v19
	v_fma_f32 v4, v26, v19, -v5
	s_delay_alu instid0(VALU_DEP_3) | instskip(NEXT) | instid1(VALU_DEP_1)
	v_dual_add_f32 v1, v1, v3 :: v_dual_add_f32 v2, v2, v128
	v_dual_add_f32 v1, v1, v4 :: v_dual_add_f32 v2, v2, v130
	s_delay_alu instid0(VALU_DEP_1)
	v_dual_sub_f32 v1, v136, v1 :: v_dual_sub_f32 v2, v137, v2
	scratch_store_b64 off, v[1:2], off offset:56
	v_cmpx_lt_u32_e32 6, v0
	s_cbranch_execz .LBB49_301
; %bb.300:
	scratch_load_b64 v[1:2], off, off offset:48
	v_mov_b32_e32 v3, 0
	s_delay_alu instid0(VALU_DEP_1)
	v_mov_b32_e32 v4, v3
	scratch_store_b64 off, v[3:4], off offset:48
	s_wait_loadcnt 0x0
	ds_store_b64 v23, v[1:2]
.LBB49_301:
	s_wait_alu 0xfffe
	s_or_b32 exec_lo, exec_lo, s0
	s_wait_storecnt_dscnt 0x0
	s_barrier_signal -1
	s_barrier_wait -1
	global_inv scope:SCOPE_SE
	s_clause 0x4
	scratch_load_b128 v[5:8], off, off offset:56
	scratch_load_b128 v[1:4], off, off offset:72
	scratch_load_b128 v[9:12], off, off offset:88
	scratch_load_b128 v[13:16], off, off offset:104
	scratch_load_b128 v[17:20], off, off offset:120
	v_mov_b32_e32 v21, 0
	ds_load_2addr_b64 v[24:27], v21 offset0:57 offset1:58
	ds_load_2addr_b64 v[128:131], v21 offset0:59 offset1:60
	;; [unrolled: 1-line block ×3, first 2 shown]
	scratch_load_b64 v[136:137], off, off offset:48
	s_mov_b32 s0, exec_lo
	s_wait_loadcnt_dscnt 0x502
	v_mul_f32_e32 v22, v25, v6
	v_dual_mul_f32 v138, v24, v6 :: v_dual_mul_f32 v139, v26, v8
	v_mul_f32_e32 v6, v27, v8
	s_delay_alu instid0(VALU_DEP_3) | instskip(NEXT) | instid1(VALU_DEP_3)
	v_fma_f32 v22, v24, v5, -v22
	v_dual_fmac_f32 v138, v25, v5 :: v_dual_fmac_f32 v139, v27, v7
	s_wait_loadcnt_dscnt 0x401
	v_mul_f32_e32 v25, v128, v2
	v_fma_f32 v24, v26, v7, -v6
	ds_load_2addr_b64 v[5:8], v21 offset0:63 offset1:64
	s_wait_loadcnt_dscnt 0x301
	v_dual_mul_f32 v26, v130, v4 :: v_dual_mul_f32 v27, v132, v10
	v_dual_mul_f32 v4, v131, v4 :: v_dual_fmac_f32 v25, v129, v1
	v_mul_f32_e32 v10, v133, v10
	s_delay_alu instid0(VALU_DEP_3)
	v_dual_mul_f32 v140, v134, v12 :: v_dual_fmac_f32 v27, v133, v9
	v_mul_f32_e32 v12, v135, v12
	v_mul_f32_e32 v2, v129, v2
	v_fmac_f32_e32 v26, v131, v3
	v_fma_f32 v129, v130, v3, -v4
	v_fma_f32 v130, v132, v9, -v10
	v_fmac_f32_e32 v140, v135, v11
	v_fma_f32 v131, v134, v11, -v12
	ds_load_2addr_b64 v[9:12], v21 offset0:65 offset1:66
	s_wait_loadcnt_dscnt 0x201
	v_mul_f32_e32 v133, v7, v16
	v_fma_f32 v128, v128, v1, -v2
	scratch_load_b128 v[1:4], off, off offset:136
	v_mul_f32_e32 v132, v5, v14
	v_mul_f32_e32 v14, v6, v14
	;; [unrolled: 1-line block ×3, first 2 shown]
	s_delay_alu instid0(VALU_DEP_3) | instskip(NEXT) | instid1(VALU_DEP_3)
	v_dual_fmac_f32 v133, v8, v15 :: v_dual_fmac_f32 v132, v6, v13
	v_fma_f32 v13, v5, v13, -v14
	s_delay_alu instid0(VALU_DEP_3)
	v_fma_f32 v14, v7, v15, -v16
	ds_load_2addr_b64 v[5:8], v21 offset0:67 offset1:68
	s_wait_loadcnt_dscnt 0x201
	v_mul_f32_e32 v15, v9, v18
	v_mul_f32_e32 v16, v10, v18
	;; [unrolled: 1-line block ×3, first 2 shown]
	s_delay_alu instid0(VALU_DEP_3) | instskip(NEXT) | instid1(VALU_DEP_3)
	v_dual_mul_f32 v20, v12, v20 :: v_dual_fmac_f32 v15, v10, v17
	v_fma_f32 v16, v9, v17, -v16
	s_delay_alu instid0(VALU_DEP_3) | instskip(NEXT) | instid1(VALU_DEP_3)
	v_fmac_f32_e32 v18, v12, v19
	v_fma_f32 v17, v11, v19, -v20
	scratch_load_b128 v[9:12], off, off offset:152
	s_wait_loadcnt_dscnt 0x100
	v_mul_f32_e32 v19, v5, v2
	v_mul_f32_e32 v2, v6, v2
	;; [unrolled: 1-line block ×3, first 2 shown]
	s_delay_alu instid0(VALU_DEP_3) | instskip(NEXT) | instid1(VALU_DEP_3)
	v_dual_mul_f32 v4, v8, v4 :: v_dual_fmac_f32 v19, v6, v1
	v_fma_f32 v134, v5, v1, -v2
	s_delay_alu instid0(VALU_DEP_3) | instskip(NEXT) | instid1(VALU_DEP_3)
	v_fmac_f32_e32 v20, v8, v3
	v_fma_f32 v135, v7, v3, -v4
	ds_load_2addr_b64 v[1:4], v21 offset0:69 offset1:70
	ds_load_2addr_b64 v[5:8], v21 offset0:71 offset1:72
	s_wait_loadcnt_dscnt 0x1
	v_mul_f32_e32 v141, v1, v10
	v_mul_f32_e32 v10, v2, v10
	s_delay_alu instid0(VALU_DEP_2) | instskip(NEXT) | instid1(VALU_DEP_2)
	v_dual_mul_f32 v142, v3, v12 :: v_dual_fmac_f32 v141, v2, v9
	v_fma_f32 v143, v1, v9, -v10
	v_mul_f32_e32 v1, v4, v12
	s_delay_alu instid0(VALU_DEP_3) | instskip(NEXT) | instid1(VALU_DEP_2)
	v_fmac_f32_e32 v142, v4, v11
	v_fma_f32 v144, v3, v11, -v1
	s_clause 0x1
	scratch_load_b128 v[1:4], off, off offset:168
	scratch_load_b128 v[9:12], off, off offset:184
	s_wait_loadcnt_dscnt 0x100
	v_mul_f32_e32 v145, v5, v2
	v_dual_mul_f32 v2, v6, v2 :: v_dual_mul_f32 v147, v7, v4
	s_delay_alu instid0(VALU_DEP_2) | instskip(NEXT) | instid1(VALU_DEP_2)
	v_fmac_f32_e32 v145, v6, v1
	v_fma_f32 v146, v5, v1, -v2
	v_mul_f32_e32 v1, v8, v4
	s_delay_alu instid0(VALU_DEP_4) | instskip(NEXT) | instid1(VALU_DEP_2)
	v_fmac_f32_e32 v147, v8, v3
	v_fma_f32 v148, v7, v3, -v1
	ds_load_2addr_b64 v[1:4], v21 offset0:73 offset1:74
	ds_load_2addr_b64 v[5:8], v21 offset0:75 offset1:76
	s_wait_loadcnt_dscnt 0x1
	v_mul_f32_e32 v149, v1, v10
	v_mul_f32_e32 v151, v3, v12
	s_delay_alu instid0(VALU_DEP_2) | instskip(NEXT) | instid1(VALU_DEP_2)
	v_fmac_f32_e32 v149, v2, v9
	v_dual_mul_f32 v2, v2, v10 :: v_dual_fmac_f32 v151, v4, v11
	s_delay_alu instid0(VALU_DEP_1) | instskip(SKIP_1) | instid1(VALU_DEP_1)
	v_fma_f32 v150, v1, v9, -v2
	v_mul_f32_e32 v1, v4, v12
	v_fma_f32 v152, v3, v11, -v1
	s_clause 0x1
	scratch_load_b128 v[1:4], off, off offset:200
	scratch_load_b128 v[9:12], off, off offset:216
	s_wait_loadcnt_dscnt 0x100
	v_mul_f32_e32 v153, v5, v2
	v_dual_mul_f32 v155, v7, v4 :: v_dual_mul_f32 v2, v6, v2
	s_delay_alu instid0(VALU_DEP_2) | instskip(NEXT) | instid1(VALU_DEP_2)
	v_fmac_f32_e32 v153, v6, v1
	v_fmac_f32_e32 v155, v8, v3
	s_delay_alu instid0(VALU_DEP_3) | instskip(SKIP_1) | instid1(VALU_DEP_1)
	v_fma_f32 v154, v5, v1, -v2
	v_mul_f32_e32 v1, v8, v4
	v_fma_f32 v156, v7, v3, -v1
	ds_load_2addr_b64 v[1:4], v21 offset0:77 offset1:78
	ds_load_2addr_b64 v[5:8], v21 offset0:79 offset1:80
	s_wait_loadcnt_dscnt 0x1
	v_mul_f32_e32 v157, v1, v10
	v_mul_f32_e32 v159, v3, v12
	s_delay_alu instid0(VALU_DEP_2) | instskip(NEXT) | instid1(VALU_DEP_2)
	v_fmac_f32_e32 v157, v2, v9
	v_dual_mul_f32 v2, v2, v10 :: v_dual_fmac_f32 v159, v4, v11
	s_delay_alu instid0(VALU_DEP_1) | instskip(SKIP_1) | instid1(VALU_DEP_1)
	v_fma_f32 v158, v1, v9, -v2
	v_mul_f32_e32 v1, v4, v12
	v_fma_f32 v160, v3, v11, -v1
	s_clause 0x1
	scratch_load_b128 v[1:4], off, off offset:232
	scratch_load_b128 v[9:12], off, off offset:248
	s_wait_loadcnt_dscnt 0x100
	v_mul_f32_e32 v161, v5, v2
	v_dual_mul_f32 v2, v6, v2 :: v_dual_mul_f32 v163, v7, v4
	s_delay_alu instid0(VALU_DEP_2) | instskip(NEXT) | instid1(VALU_DEP_2)
	v_fmac_f32_e32 v161, v6, v1
	v_fma_f32 v162, v5, v1, -v2
	v_mul_f32_e32 v1, v8, v4
	s_delay_alu instid0(VALU_DEP_4) | instskip(NEXT) | instid1(VALU_DEP_2)
	v_fmac_f32_e32 v163, v8, v3
	v_fma_f32 v164, v7, v3, -v1
	ds_load_2addr_b64 v[1:4], v21 offset0:81 offset1:82
	ds_load_2addr_b64 v[5:8], v21 offset0:83 offset1:84
	s_wait_loadcnt_dscnt 0x1
	v_mul_f32_e32 v165, v1, v10
	v_mul_f32_e32 v167, v3, v12
	s_delay_alu instid0(VALU_DEP_2) | instskip(NEXT) | instid1(VALU_DEP_2)
	v_fmac_f32_e32 v165, v2, v9
	v_dual_mul_f32 v2, v2, v10 :: v_dual_fmac_f32 v167, v4, v11
	s_delay_alu instid0(VALU_DEP_1) | instskip(SKIP_1) | instid1(VALU_DEP_1)
	v_fma_f32 v166, v1, v9, -v2
	v_mul_f32_e32 v1, v4, v12
	v_fma_f32 v168, v3, v11, -v1
	s_clause 0x1
	scratch_load_b128 v[1:4], off, off offset:264
	scratch_load_b128 v[9:12], off, off offset:280
	s_wait_loadcnt_dscnt 0x100
	v_mul_f32_e32 v169, v5, v2
	v_dual_mul_f32 v2, v6, v2 :: v_dual_mul_f32 v171, v7, v4
	s_delay_alu instid0(VALU_DEP_2) | instskip(NEXT) | instid1(VALU_DEP_2)
	v_fmac_f32_e32 v169, v6, v1
	v_fma_f32 v170, v5, v1, -v2
	v_mul_f32_e32 v1, v8, v4
	s_delay_alu instid0(VALU_DEP_4) | instskip(NEXT) | instid1(VALU_DEP_2)
	v_fmac_f32_e32 v171, v8, v3
	v_fma_f32 v172, v7, v3, -v1
	ds_load_2addr_b64 v[1:4], v21 offset0:85 offset1:86
	ds_load_2addr_b64 v[5:8], v21 offset0:87 offset1:88
	s_wait_loadcnt_dscnt 0x1
	v_mul_f32_e32 v173, v1, v10
	v_mul_f32_e32 v175, v3, v12
	s_delay_alu instid0(VALU_DEP_2) | instskip(NEXT) | instid1(VALU_DEP_2)
	v_fmac_f32_e32 v173, v2, v9
	v_dual_mul_f32 v2, v2, v10 :: v_dual_fmac_f32 v175, v4, v11
	s_delay_alu instid0(VALU_DEP_1) | instskip(SKIP_1) | instid1(VALU_DEP_1)
	v_fma_f32 v174, v1, v9, -v2
	v_mul_f32_e32 v1, v4, v12
	v_fma_f32 v176, v3, v11, -v1
	s_clause 0x1
	scratch_load_b128 v[1:4], off, off offset:296
	scratch_load_b128 v[9:12], off, off offset:312
	s_wait_loadcnt_dscnt 0x100
	v_mul_f32_e32 v177, v5, v2
	v_mul_f32_e32 v2, v6, v2
	s_delay_alu instid0(VALU_DEP_1) | instskip(SKIP_1) | instid1(VALU_DEP_1)
	v_fma_f32 v178, v5, v1, -v2
	v_add_f32_e32 v2, 0, v138
	v_add_f32_e32 v2, v2, v139
	s_delay_alu instid0(VALU_DEP_1) | instskip(NEXT) | instid1(VALU_DEP_1)
	v_add_f32_e32 v2, v2, v25
	v_add_f32_e32 v2, v2, v26
	s_delay_alu instid0(VALU_DEP_1) | instskip(NEXT) | instid1(VALU_DEP_1)
	v_add_f32_e32 v2, v2, v27
	v_add_f32_e32 v2, v2, v140
	s_delay_alu instid0(VALU_DEP_1) | instskip(NEXT) | instid1(VALU_DEP_1)
	v_add_f32_e32 v2, v2, v132
	v_add_f32_e32 v2, v2, v133
	s_delay_alu instid0(VALU_DEP_1) | instskip(NEXT) | instid1(VALU_DEP_1)
	v_add_f32_e32 v2, v2, v15
	v_add_f32_e32 v2, v2, v18
	s_delay_alu instid0(VALU_DEP_1) | instskip(NEXT) | instid1(VALU_DEP_1)
	v_add_f32_e32 v2, v2, v19
	v_add_f32_e32 v2, v2, v20
	s_delay_alu instid0(VALU_DEP_1) | instskip(NEXT) | instid1(VALU_DEP_1)
	v_add_f32_e32 v2, v2, v141
	v_add_f32_e32 v2, v2, v142
	s_delay_alu instid0(VALU_DEP_1) | instskip(NEXT) | instid1(VALU_DEP_1)
	v_add_f32_e32 v2, v2, v145
	v_add_f32_e32 v2, v2, v147
	s_delay_alu instid0(VALU_DEP_1) | instskip(SKIP_2) | instid1(VALU_DEP_1)
	v_add_f32_e32 v2, v2, v149
	v_fmac_f32_e32 v177, v6, v1
	v_mul_f32_e32 v1, v8, v4
	v_fma_f32 v180, v7, v3, -v1
	v_add_f32_e32 v1, 0, v22
	s_delay_alu instid0(VALU_DEP_1) | instskip(NEXT) | instid1(VALU_DEP_1)
	v_add_f32_e32 v1, v1, v24
	v_add_f32_e32 v1, v1, v128
	s_delay_alu instid0(VALU_DEP_1) | instskip(SKIP_2) | instid1(VALU_DEP_1)
	v_add_f32_e32 v1, v1, v129
	scratch_load_b64 v[128:129], off, off offset:392
	v_add_f32_e32 v1, v1, v130
	v_add_f32_e32 v1, v1, v131
	s_delay_alu instid0(VALU_DEP_1) | instskip(NEXT) | instid1(VALU_DEP_1)
	v_add_f32_e32 v1, v1, v13
	v_add_f32_e32 v1, v1, v14
	s_delay_alu instid0(VALU_DEP_1) | instskip(NEXT) | instid1(VALU_DEP_1)
	;; [unrolled: 3-line block ×8, first 2 shown]
	v_dual_mul_f32 v179, v7, v4 :: v_dual_add_f32 v14, v14, v158
	v_fmac_f32_e32 v179, v8, v3
	s_delay_alu instid0(VALU_DEP_2) | instskip(NEXT) | instid1(VALU_DEP_1)
	v_add_f32_e32 v17, v14, v160
	v_add_f32_e32 v17, v17, v162
	s_delay_alu instid0(VALU_DEP_1) | instskip(NEXT) | instid1(VALU_DEP_1)
	v_add_f32_e32 v17, v17, v164
	v_add_f32_e32 v17, v17, v166
	s_delay_alu instid0(VALU_DEP_1) | instskip(NEXT) | instid1(VALU_DEP_1)
	;; [unrolled: 3-line block ×3, first 2 shown]
	v_add_f32_e32 v25, v25, v172
	v_add_f32_e32 v25, v25, v174
	;; [unrolled: 1-line block ×3, first 2 shown]
	scratch_load_b128 v[1:4], off, off offset:328
	v_add_f32_e32 v13, v5, v153
	ds_load_2addr_b64 v[5:8], v21 offset0:89 offset1:90
	v_add_f32_e32 v13, v13, v155
	s_delay_alu instid0(VALU_DEP_1) | instskip(NEXT) | instid1(VALU_DEP_1)
	v_add_f32_e32 v13, v13, v157
	v_add_f32_e32 v18, v13, v159
	ds_load_2addr_b64 v[13:16], v21 offset0:91 offset1:92
	v_add_f32_e32 v18, v18, v161
	s_wait_loadcnt_dscnt 0x201
	v_mul_f32_e32 v22, v5, v10
	v_mul_f32_e32 v10, v6, v10
	;; [unrolled: 1-line block ×4, first 2 shown]
	v_add_f32_e32 v18, v18, v163
	v_fmac_f32_e32 v22, v6, v9
	v_fma_f32 v133, v5, v9, -v10
	v_fmac_f32_e32 v132, v8, v11
	v_fma_f32 v134, v7, v11, -v12
	s_clause 0x1
	scratch_load_b128 v[9:12], off, off offset:360
	scratch_load_b128 v[5:8], off, off offset:344
	v_add_f32_e32 v24, v18, v165
	scratch_load_b128 v[17:20], off, off offset:376
	v_add_f32_e32 v24, v24, v167
	s_delay_alu instid0(VALU_DEP_1) | instskip(SKIP_1) | instid1(VALU_DEP_1)
	v_add_f32_e32 v24, v24, v169
	s_wait_loadcnt_dscnt 0x300
	v_dual_add_f32 v24, v24, v171 :: v_dual_mul_f32 v135, v13, v2
	v_mul_f32_e32 v2, v14, v2
	v_mul_f32_e32 v138, v15, v4
	s_delay_alu instid0(VALU_DEP_3) | instskip(NEXT) | instid1(VALU_DEP_3)
	v_dual_mul_f32 v4, v16, v4 :: v_dual_fmac_f32 v135, v14, v1
	v_fma_f32 v139, v13, v1, -v2
	v_dual_add_f32 v13, v24, v173 :: v_dual_add_f32 v14, v25, v176
	s_delay_alu instid0(VALU_DEP_4) | instskip(NEXT) | instid1(VALU_DEP_4)
	v_fmac_f32_e32 v138, v16, v3
	v_fma_f32 v140, v15, v3, -v4
	ds_load_2addr_b64 v[1:4], v21 offset0:93 offset1:94
	v_add_f32_e32 v24, v13, v175
	v_add_f32_e32 v130, v14, v178
	ds_load_2addr_b64 v[13:16], v21 offset0:95 offset1:96
	v_add_f32_e32 v131, v24, v177
	ds_load_2addr_b64 v[24:27], v21 offset0:97 offset1:98
	v_dual_add_f32 v141, v130, v180 :: v_dual_add_f32 v142, v131, v179
	ds_load_b64 v[130:131], v21 offset:792
	v_dual_add_f32 v133, v141, v133 :: v_dual_add_f32 v22, v142, v22
	s_delay_alu instid0(VALU_DEP_1)
	v_dual_add_f32 v133, v133, v134 :: v_dual_add_f32 v22, v22, v132
	s_wait_loadcnt_dscnt 0x202
	v_mul_f32_e32 v134, v13, v10
	s_wait_loadcnt 0x1
	v_mul_f32_e32 v132, v3, v8
	v_mul_f32_e32 v8, v4, v8
	v_dual_add_f32 v22, v22, v135 :: v_dual_mul_f32 v135, v15, v12
	v_fmac_f32_e32 v134, v14, v9
	s_delay_alu instid0(VALU_DEP_4) | instskip(NEXT) | instid1(VALU_DEP_3)
	v_fmac_f32_e32 v132, v4, v7
	v_add_f32_e32 v22, v22, v138
	s_wait_dscnt 0x0
	v_dual_mul_f32 v138, v130, v129 :: v_dual_mul_f32 v141, v1, v6
	v_dual_mul_f32 v6, v2, v6 :: v_dual_fmac_f32 v135, v16, v11
	s_delay_alu instid0(VALU_DEP_2) | instskip(NEXT) | instid1(VALU_DEP_2)
	v_dual_fmac_f32 v138, v131, v128 :: v_dual_add_f32 v133, v133, v139
	v_fma_f32 v1, v1, v5, -v6
	s_delay_alu instid0(VALU_DEP_4) | instskip(SKIP_3) | instid1(VALU_DEP_4)
	v_fmac_f32_e32 v141, v2, v5
	v_fma_f32 v2, v3, v7, -v8
	v_mul_f32_e32 v3, v14, v10
	v_add_f32_e32 v133, v133, v140
	v_dual_mul_f32 v5, v16, v12 :: v_dual_add_f32 v4, v22, v141
	s_wait_loadcnt 0x0
	v_mul_f32_e32 v139, v24, v18
	v_fma_f32 v3, v13, v9, -v3
	v_add_f32_e32 v1, v133, v1
	v_fma_f32 v5, v15, v11, -v5
	s_delay_alu instid0(VALU_DEP_4) | instskip(NEXT) | instid1(VALU_DEP_3)
	v_dual_mul_f32 v140, v26, v20 :: v_dual_fmac_f32 v139, v25, v17
	v_dual_add_f32 v1, v1, v2 :: v_dual_add_f32 v2, v4, v132
	v_mul_f32_e32 v4, v25, v18
	s_delay_alu instid0(VALU_DEP_3) | instskip(NEXT) | instid1(VALU_DEP_3)
	v_fmac_f32_e32 v140, v27, v19
	v_dual_add_f32 v1, v1, v3 :: v_dual_add_f32 v2, v2, v134
	v_mul_f32_e32 v3, v27, v20
	s_delay_alu instid0(VALU_DEP_4) | instskip(NEXT) | instid1(VALU_DEP_3)
	v_fma_f32 v4, v24, v17, -v4
	v_dual_add_f32 v1, v1, v5 :: v_dual_add_f32 v2, v2, v135
	v_mul_f32_e32 v5, v131, v129
	s_delay_alu instid0(VALU_DEP_4) | instskip(NEXT) | instid1(VALU_DEP_3)
	v_fma_f32 v3, v26, v19, -v3
	v_dual_add_f32 v1, v1, v4 :: v_dual_add_f32 v2, v2, v139
	s_delay_alu instid0(VALU_DEP_3) | instskip(NEXT) | instid1(VALU_DEP_2)
	v_fma_f32 v4, v130, v128, -v5
	v_dual_add_f32 v1, v1, v3 :: v_dual_add_f32 v2, v2, v140
	s_delay_alu instid0(VALU_DEP_1) | instskip(NEXT) | instid1(VALU_DEP_1)
	v_dual_add_f32 v1, v1, v4 :: v_dual_add_f32 v2, v2, v138
	v_dual_sub_f32 v1, v136, v1 :: v_dual_sub_f32 v2, v137, v2
	scratch_store_b64 off, v[1:2], off offset:48
	v_cmpx_lt_u32_e32 5, v0
	s_cbranch_execz .LBB49_303
; %bb.302:
	scratch_load_b64 v[1:2], off, off offset:40
	v_mov_b32_e32 v22, v21
	scratch_store_b64 off, v[21:22], off offset:40
	s_wait_loadcnt 0x0
	ds_store_b64 v23, v[1:2]
.LBB49_303:
	s_wait_alu 0xfffe
	s_or_b32 exec_lo, exec_lo, s0
	s_wait_storecnt_dscnt 0x0
	s_barrier_signal -1
	s_barrier_wait -1
	global_inv scope:SCOPE_SE
	s_clause 0x4
	scratch_load_b128 v[5:8], off, off offset:48
	scratch_load_b128 v[1:4], off, off offset:64
	;; [unrolled: 1-line block ×5, first 2 shown]
	ds_load_b128 v[24:27], v21 offset:448
	ds_load_b128 v[128:131], v21 offset:464
	;; [unrolled: 1-line block ×3, first 2 shown]
	scratch_load_b64 v[136:137], off, off offset:40
	s_mov_b32 s0, exec_lo
	s_wait_loadcnt_dscnt 0x502
	v_dual_mul_f32 v22, v25, v6 :: v_dual_mul_f32 v139, v26, v8
	v_mul_f32_e32 v138, v24, v6
	v_mul_f32_e32 v6, v27, v8
	s_wait_loadcnt_dscnt 0x300
	v_mul_f32_e32 v140, v134, v12
	v_fma_f32 v22, v24, v5, -v22
	v_dual_fmac_f32 v139, v27, v7 :: v_dual_fmac_f32 v138, v25, v5
	v_mul_f32_e32 v27, v132, v10
	v_mul_f32_e32 v25, v128, v2
	v_fma_f32 v24, v26, v7, -v6
	ds_load_b128 v[5:8], v21 offset:496
	v_mul_f32_e32 v26, v130, v4
	v_dual_mul_f32 v4, v131, v4 :: v_dual_fmac_f32 v27, v133, v9
	v_mul_f32_e32 v10, v133, v10
	v_mul_f32_e32 v12, v135, v12
	v_mul_f32_e32 v2, v129, v2
	v_dual_fmac_f32 v25, v129, v1 :: v_dual_fmac_f32 v26, v131, v3
	v_fma_f32 v129, v130, v3, -v4
	v_fma_f32 v130, v132, v9, -v10
	v_fmac_f32_e32 v140, v135, v11
	v_fma_f32 v131, v134, v11, -v12
	ds_load_b128 v[9:12], v21 offset:512
	s_wait_loadcnt_dscnt 0x201
	v_mul_f32_e32 v133, v7, v16
	v_fma_f32 v128, v128, v1, -v2
	scratch_load_b128 v[1:4], off, off offset:128
	v_mul_f32_e32 v132, v5, v14
	v_mul_f32_e32 v14, v6, v14
	;; [unrolled: 1-line block ×3, first 2 shown]
	s_delay_alu instid0(VALU_DEP_3) | instskip(NEXT) | instid1(VALU_DEP_3)
	v_dual_fmac_f32 v133, v8, v15 :: v_dual_fmac_f32 v132, v6, v13
	v_fma_f32 v13, v5, v13, -v14
	s_delay_alu instid0(VALU_DEP_3)
	v_fma_f32 v14, v7, v15, -v16
	ds_load_b128 v[5:8], v21 offset:528
	s_wait_loadcnt_dscnt 0x201
	v_mul_f32_e32 v15, v9, v18
	v_mul_f32_e32 v16, v10, v18
	;; [unrolled: 1-line block ×3, first 2 shown]
	s_delay_alu instid0(VALU_DEP_3) | instskip(NEXT) | instid1(VALU_DEP_3)
	v_dual_mul_f32 v20, v12, v20 :: v_dual_fmac_f32 v15, v10, v17
	v_fma_f32 v16, v9, v17, -v16
	s_delay_alu instid0(VALU_DEP_3) | instskip(NEXT) | instid1(VALU_DEP_3)
	v_fmac_f32_e32 v18, v12, v19
	v_fma_f32 v17, v11, v19, -v20
	scratch_load_b128 v[9:12], off, off offset:144
	s_wait_loadcnt_dscnt 0x100
	v_mul_f32_e32 v19, v5, v2
	v_mul_f32_e32 v2, v6, v2
	;; [unrolled: 1-line block ×3, first 2 shown]
	s_delay_alu instid0(VALU_DEP_3) | instskip(NEXT) | instid1(VALU_DEP_3)
	v_dual_mul_f32 v4, v8, v4 :: v_dual_fmac_f32 v19, v6, v1
	v_fma_f32 v134, v5, v1, -v2
	s_delay_alu instid0(VALU_DEP_3) | instskip(NEXT) | instid1(VALU_DEP_3)
	v_fmac_f32_e32 v20, v8, v3
	v_fma_f32 v135, v7, v3, -v4
	ds_load_b128 v[1:4], v21 offset:544
	ds_load_b128 v[5:8], v21 offset:560
	s_wait_loadcnt_dscnt 0x1
	v_mul_f32_e32 v141, v1, v10
	v_mul_f32_e32 v10, v2, v10
	s_delay_alu instid0(VALU_DEP_2) | instskip(NEXT) | instid1(VALU_DEP_2)
	v_dual_mul_f32 v142, v3, v12 :: v_dual_fmac_f32 v141, v2, v9
	v_fma_f32 v143, v1, v9, -v10
	v_mul_f32_e32 v1, v4, v12
	s_delay_alu instid0(VALU_DEP_3) | instskip(NEXT) | instid1(VALU_DEP_2)
	v_fmac_f32_e32 v142, v4, v11
	v_fma_f32 v144, v3, v11, -v1
	s_clause 0x1
	scratch_load_b128 v[1:4], off, off offset:160
	scratch_load_b128 v[9:12], off, off offset:176
	s_wait_loadcnt_dscnt 0x100
	v_mul_f32_e32 v145, v5, v2
	v_dual_mul_f32 v2, v6, v2 :: v_dual_mul_f32 v147, v7, v4
	s_delay_alu instid0(VALU_DEP_2) | instskip(NEXT) | instid1(VALU_DEP_2)
	v_fmac_f32_e32 v145, v6, v1
	v_fma_f32 v146, v5, v1, -v2
	v_mul_f32_e32 v1, v8, v4
	s_delay_alu instid0(VALU_DEP_4) | instskip(NEXT) | instid1(VALU_DEP_2)
	v_fmac_f32_e32 v147, v8, v3
	v_fma_f32 v148, v7, v3, -v1
	ds_load_b128 v[1:4], v21 offset:576
	ds_load_b128 v[5:8], v21 offset:592
	s_wait_loadcnt_dscnt 0x1
	v_mul_f32_e32 v149, v1, v10
	v_mul_f32_e32 v151, v3, v12
	s_delay_alu instid0(VALU_DEP_2) | instskip(NEXT) | instid1(VALU_DEP_2)
	v_fmac_f32_e32 v149, v2, v9
	v_dual_mul_f32 v2, v2, v10 :: v_dual_fmac_f32 v151, v4, v11
	s_delay_alu instid0(VALU_DEP_1) | instskip(SKIP_1) | instid1(VALU_DEP_1)
	v_fma_f32 v150, v1, v9, -v2
	v_mul_f32_e32 v1, v4, v12
	v_fma_f32 v152, v3, v11, -v1
	s_clause 0x1
	scratch_load_b128 v[1:4], off, off offset:192
	scratch_load_b128 v[9:12], off, off offset:208
	s_wait_loadcnt_dscnt 0x100
	v_mul_f32_e32 v153, v5, v2
	v_dual_mul_f32 v2, v6, v2 :: v_dual_mul_f32 v155, v7, v4
	s_delay_alu instid0(VALU_DEP_2) | instskip(NEXT) | instid1(VALU_DEP_2)
	v_fmac_f32_e32 v153, v6, v1
	v_fma_f32 v154, v5, v1, -v2
	v_mul_f32_e32 v1, v8, v4
	s_delay_alu instid0(VALU_DEP_4) | instskip(NEXT) | instid1(VALU_DEP_2)
	v_fmac_f32_e32 v155, v8, v3
	v_fma_f32 v156, v7, v3, -v1
	ds_load_b128 v[1:4], v21 offset:608
	ds_load_b128 v[5:8], v21 offset:624
	s_wait_loadcnt_dscnt 0x1
	v_mul_f32_e32 v157, v1, v10
	v_mul_f32_e32 v159, v3, v12
	s_delay_alu instid0(VALU_DEP_2) | instskip(NEXT) | instid1(VALU_DEP_2)
	v_fmac_f32_e32 v157, v2, v9
	v_dual_mul_f32 v2, v2, v10 :: v_dual_fmac_f32 v159, v4, v11
	s_delay_alu instid0(VALU_DEP_1) | instskip(SKIP_1) | instid1(VALU_DEP_1)
	v_fma_f32 v158, v1, v9, -v2
	v_mul_f32_e32 v1, v4, v12
	;; [unrolled: 25-line block ×5, first 2 shown]
	v_fma_f32 v184, v3, v11, -v1
	s_clause 0x1
	scratch_load_b128 v[1:4], off, off offset:320
	scratch_load_b128 v[9:12], off, off offset:336
	s_wait_loadcnt_dscnt 0x100
	v_mul_f32_e32 v185, v5, v2
	v_dual_mul_f32 v2, v6, v2 :: v_dual_mul_f32 v187, v7, v4
	s_delay_alu instid0(VALU_DEP_2) | instskip(NEXT) | instid1(VALU_DEP_2)
	v_fmac_f32_e32 v185, v6, v1
	v_fma_f32 v186, v5, v1, -v2
	v_dual_mul_f32 v1, v8, v4 :: v_dual_add_f32 v2, 0, v138
	s_delay_alu instid0(VALU_DEP_4) | instskip(NEXT) | instid1(VALU_DEP_2)
	v_fmac_f32_e32 v187, v8, v3
	v_fma_f32 v188, v7, v3, -v1
	s_delay_alu instid0(VALU_DEP_3) | instskip(NEXT) | instid1(VALU_DEP_1)
	v_dual_add_f32 v1, 0, v22 :: v_dual_add_f32 v2, v2, v139
	v_dual_add_f32 v1, v1, v24 :: v_dual_add_f32 v2, v2, v25
	s_delay_alu instid0(VALU_DEP_1) | instskip(NEXT) | instid1(VALU_DEP_1)
	v_dual_add_f32 v1, v1, v128 :: v_dual_add_f32 v2, v2, v26
	v_dual_add_f32 v1, v1, v129 :: v_dual_add_f32 v2, v2, v27
	s_delay_alu instid0(VALU_DEP_1) | instskip(NEXT) | instid1(VALU_DEP_1)
	v_dual_add_f32 v1, v1, v130 :: v_dual_add_f32 v2, v2, v140
	v_dual_add_f32 v1, v1, v131 :: v_dual_add_f32 v2, v2, v132
	s_delay_alu instid0(VALU_DEP_1) | instskip(NEXT) | instid1(VALU_DEP_1)
	v_add_f32_e32 v1, v1, v13
	v_dual_add_f32 v2, v2, v133 :: v_dual_add_f32 v1, v1, v14
	s_delay_alu instid0(VALU_DEP_1) | instskip(NEXT) | instid1(VALU_DEP_1)
	v_dual_add_f32 v2, v2, v15 :: v_dual_add_f32 v1, v1, v16
	v_dual_add_f32 v2, v2, v18 :: v_dual_add_f32 v1, v1, v17
	s_delay_alu instid0(VALU_DEP_1) | instskip(NEXT) | instid1(VALU_DEP_1)
	v_dual_add_f32 v2, v2, v19 :: v_dual_add_f32 v1, v1, v134
	;; [unrolled: 3-line block ×6, first 2 shown]
	v_dual_add_f32 v2, v2, v155 :: v_dual_add_f32 v1, v1, v156
	s_delay_alu instid0(VALU_DEP_1) | instskip(NEXT) | instid1(VALU_DEP_2)
	v_add_f32_e32 v5, v2, v157
	v_add_f32_e32 v1, v1, v158
	s_delay_alu instid0(VALU_DEP_2) | instskip(NEXT) | instid1(VALU_DEP_2)
	v_add_f32_e32 v5, v5, v159
	v_add_f32_e32 v6, v1, v160
	ds_load_b128 v[1:4], v21 offset:736
	v_dual_add_f32 v5, v5, v161 :: v_dual_add_f32 v6, v6, v162
	s_delay_alu instid0(VALU_DEP_1) | instskip(SKIP_2) | instid1(VALU_DEP_1)
	v_dual_add_f32 v14, v5, v163 :: v_dual_add_f32 v13, v6, v164
	ds_load_b128 v[5:8], v21 offset:752
	v_dual_add_f32 v14, v14, v165 :: v_dual_add_f32 v13, v13, v166
	v_dual_add_f32 v14, v14, v167 :: v_dual_add_f32 v13, v13, v168
	s_wait_loadcnt_dscnt 0x1
	v_mul_f32_e32 v22, v1, v10
	v_mul_f32_e32 v128, v3, v12
	;; [unrolled: 1-line block ×3, first 2 shown]
	v_dual_mul_f32 v12, v4, v12 :: v_dual_add_f32 v13, v13, v170
	s_delay_alu instid0(VALU_DEP_4) | instskip(NEXT) | instid1(VALU_DEP_4)
	v_fmac_f32_e32 v22, v2, v9
	v_fmac_f32_e32 v128, v4, v11
	s_delay_alu instid0(VALU_DEP_4) | instskip(NEXT) | instid1(VALU_DEP_4)
	v_fma_f32 v129, v1, v9, -v10
	v_fma_f32 v130, v3, v11, -v12
	s_clause 0x1
	scratch_load_b128 v[1:4], off, off offset:352
	scratch_load_b128 v[9:12], off, off offset:368
	v_dual_add_f32 v17, v14, v169 :: v_dual_add_f32 v18, v13, v172
	scratch_load_b128 v[13:16], off, off offset:384
	v_dual_add_f32 v17, v17, v171 :: v_dual_add_f32 v18, v18, v174
	s_delay_alu instid0(VALU_DEP_1) | instskip(NEXT) | instid1(VALU_DEP_1)
	v_dual_add_f32 v17, v17, v173 :: v_dual_add_f32 v18, v18, v176
	v_dual_add_f32 v17, v17, v175 :: v_dual_add_f32 v24, v18, v178
	s_delay_alu instid0(VALU_DEP_1)
	v_add_f32_e32 v25, v17, v177
	ds_load_b128 v[17:20], v21 offset:768
	v_dual_add_f32 v131, v24, v180 :: v_dual_add_f32 v132, v25, v179
	ds_load_b128 v[24:27], v21 offset:784
	s_wait_loadcnt_dscnt 0x101
	v_dual_mul_f32 v133, v7, v4 :: v_dual_mul_f32 v134, v17, v10
	v_mul_f32_e32 v4, v8, v4
	s_wait_loadcnt_dscnt 0x0
	v_dual_mul_f32 v135, v19, v12 :: v_dual_mul_f32 v138, v24, v14
	v_add_f32_e32 v21, v131, v182
	v_dual_add_f32 v131, v132, v181 :: v_dual_mul_f32 v132, v5, v2
	v_mul_f32_e32 v2, v6, v2
	s_delay_alu instid0(VALU_DEP_4) | instskip(NEXT) | instid1(VALU_DEP_4)
	v_fmac_f32_e32 v138, v25, v13
	v_add_f32_e32 v21, v21, v184
	s_delay_alu instid0(VALU_DEP_4) | instskip(NEXT) | instid1(VALU_DEP_4)
	v_dual_add_f32 v131, v131, v183 :: v_dual_fmac_f32 v132, v6, v1
	v_fma_f32 v2, v5, v1, -v2
	v_mul_f32_e32 v6, v18, v10
	s_delay_alu instid0(VALU_DEP_4) | instskip(NEXT) | instid1(VALU_DEP_4)
	v_add_f32_e32 v21, v21, v186
	v_add_f32_e32 v131, v131, v185
	v_fmac_f32_e32 v133, v8, v3
	v_fma_f32 v3, v7, v3, -v4
	v_mul_f32_e32 v4, v20, v12
	v_add_f32_e32 v21, v21, v188
	v_dual_add_f32 v131, v131, v187 :: v_dual_fmac_f32 v134, v18, v9
	v_fmac_f32_e32 v135, v20, v11
	s_delay_alu instid0(VALU_DEP_4) | instskip(NEXT) | instid1(VALU_DEP_3)
	v_fma_f32 v4, v19, v11, -v4
	v_dual_add_f32 v21, v21, v129 :: v_dual_add_f32 v22, v131, v22
	v_mul_f32_e32 v129, v26, v16
	s_delay_alu instid0(VALU_DEP_2) | instskip(NEXT) | instid1(VALU_DEP_3)
	v_add_f32_e32 v1, v21, v130
	v_add_f32_e32 v5, v22, v128
	s_delay_alu instid0(VALU_DEP_3) | instskip(NEXT) | instid1(VALU_DEP_3)
	v_fmac_f32_e32 v129, v27, v15
	v_add_f32_e32 v1, v1, v2
	s_delay_alu instid0(VALU_DEP_3) | instskip(SKIP_1) | instid1(VALU_DEP_2)
	v_add_f32_e32 v2, v5, v132
	v_fma_f32 v5, v17, v9, -v6
	v_dual_add_f32 v1, v1, v3 :: v_dual_add_f32 v2, v2, v133
	v_mul_f32_e32 v3, v25, v14
	s_delay_alu instid0(VALU_DEP_2) | instskip(SKIP_1) | instid1(VALU_DEP_3)
	v_dual_add_f32 v1, v1, v5 :: v_dual_add_f32 v2, v2, v134
	v_mul_f32_e32 v5, v27, v16
	v_fma_f32 v3, v24, v13, -v3
	s_delay_alu instid0(VALU_DEP_3) | instskip(NEXT) | instid1(VALU_DEP_3)
	v_dual_add_f32 v1, v1, v4 :: v_dual_add_f32 v2, v2, v135
	v_fma_f32 v4, v26, v15, -v5
	s_delay_alu instid0(VALU_DEP_2) | instskip(NEXT) | instid1(VALU_DEP_1)
	v_dual_add_f32 v1, v1, v3 :: v_dual_add_f32 v2, v2, v138
	v_dual_add_f32 v1, v1, v4 :: v_dual_add_f32 v2, v2, v129
	s_delay_alu instid0(VALU_DEP_1)
	v_dual_sub_f32 v1, v136, v1 :: v_dual_sub_f32 v2, v137, v2
	scratch_store_b64 off, v[1:2], off offset:40
	v_cmpx_lt_u32_e32 4, v0
	s_cbranch_execz .LBB49_305
; %bb.304:
	scratch_load_b64 v[1:2], off, off offset:32
	v_mov_b32_e32 v3, 0
	s_delay_alu instid0(VALU_DEP_1)
	v_mov_b32_e32 v4, v3
	scratch_store_b64 off, v[3:4], off offset:32
	s_wait_loadcnt 0x0
	ds_store_b64 v23, v[1:2]
.LBB49_305:
	s_wait_alu 0xfffe
	s_or_b32 exec_lo, exec_lo, s0
	s_wait_storecnt_dscnt 0x0
	s_barrier_signal -1
	s_barrier_wait -1
	global_inv scope:SCOPE_SE
	s_clause 0x4
	scratch_load_b128 v[5:8], off, off offset:40
	scratch_load_b128 v[1:4], off, off offset:56
	scratch_load_b128 v[9:12], off, off offset:72
	scratch_load_b128 v[13:16], off, off offset:88
	scratch_load_b128 v[17:20], off, off offset:104
	v_mov_b32_e32 v21, 0
	ds_load_2addr_b64 v[24:27], v21 offset0:55 offset1:56
	ds_load_2addr_b64 v[128:131], v21 offset0:57 offset1:58
	;; [unrolled: 1-line block ×3, first 2 shown]
	scratch_load_b64 v[136:137], off, off offset:32
	s_mov_b32 s0, exec_lo
	s_wait_loadcnt_dscnt 0x502
	v_mul_f32_e32 v22, v25, v6
	v_dual_mul_f32 v138, v24, v6 :: v_dual_mul_f32 v139, v26, v8
	v_mul_f32_e32 v6, v27, v8
	s_delay_alu instid0(VALU_DEP_3) | instskip(NEXT) | instid1(VALU_DEP_3)
	v_fma_f32 v22, v24, v5, -v22
	v_dual_fmac_f32 v138, v25, v5 :: v_dual_fmac_f32 v139, v27, v7
	s_wait_loadcnt_dscnt 0x401
	v_mul_f32_e32 v25, v128, v2
	v_fma_f32 v24, v26, v7, -v6
	ds_load_2addr_b64 v[5:8], v21 offset0:61 offset1:62
	s_wait_loadcnt_dscnt 0x301
	v_dual_mul_f32 v26, v130, v4 :: v_dual_mul_f32 v27, v132, v10
	v_dual_mul_f32 v4, v131, v4 :: v_dual_fmac_f32 v25, v129, v1
	v_mul_f32_e32 v10, v133, v10
	s_delay_alu instid0(VALU_DEP_3)
	v_dual_mul_f32 v140, v134, v12 :: v_dual_fmac_f32 v27, v133, v9
	v_mul_f32_e32 v12, v135, v12
	v_mul_f32_e32 v2, v129, v2
	v_fmac_f32_e32 v26, v131, v3
	v_fma_f32 v129, v130, v3, -v4
	v_fma_f32 v130, v132, v9, -v10
	v_fmac_f32_e32 v140, v135, v11
	v_fma_f32 v131, v134, v11, -v12
	ds_load_2addr_b64 v[9:12], v21 offset0:63 offset1:64
	s_wait_loadcnt_dscnt 0x201
	v_mul_f32_e32 v133, v7, v16
	v_fma_f32 v128, v128, v1, -v2
	scratch_load_b128 v[1:4], off, off offset:120
	v_mul_f32_e32 v132, v5, v14
	v_mul_f32_e32 v14, v6, v14
	;; [unrolled: 1-line block ×3, first 2 shown]
	s_delay_alu instid0(VALU_DEP_3) | instskip(NEXT) | instid1(VALU_DEP_3)
	v_dual_fmac_f32 v133, v8, v15 :: v_dual_fmac_f32 v132, v6, v13
	v_fma_f32 v13, v5, v13, -v14
	s_delay_alu instid0(VALU_DEP_3)
	v_fma_f32 v14, v7, v15, -v16
	ds_load_2addr_b64 v[5:8], v21 offset0:65 offset1:66
	s_wait_loadcnt_dscnt 0x201
	v_mul_f32_e32 v15, v9, v18
	v_mul_f32_e32 v16, v10, v18
	v_mul_f32_e32 v18, v11, v20
	s_delay_alu instid0(VALU_DEP_3) | instskip(NEXT) | instid1(VALU_DEP_3)
	v_dual_mul_f32 v20, v12, v20 :: v_dual_fmac_f32 v15, v10, v17
	v_fma_f32 v16, v9, v17, -v16
	s_delay_alu instid0(VALU_DEP_3) | instskip(NEXT) | instid1(VALU_DEP_3)
	v_fmac_f32_e32 v18, v12, v19
	v_fma_f32 v17, v11, v19, -v20
	scratch_load_b128 v[9:12], off, off offset:136
	s_wait_loadcnt_dscnt 0x100
	v_mul_f32_e32 v19, v5, v2
	v_mul_f32_e32 v2, v6, v2
	;; [unrolled: 1-line block ×3, first 2 shown]
	s_delay_alu instid0(VALU_DEP_3) | instskip(NEXT) | instid1(VALU_DEP_3)
	v_dual_mul_f32 v4, v8, v4 :: v_dual_fmac_f32 v19, v6, v1
	v_fma_f32 v134, v5, v1, -v2
	s_delay_alu instid0(VALU_DEP_3) | instskip(NEXT) | instid1(VALU_DEP_3)
	v_fmac_f32_e32 v20, v8, v3
	v_fma_f32 v135, v7, v3, -v4
	ds_load_2addr_b64 v[1:4], v21 offset0:67 offset1:68
	ds_load_2addr_b64 v[5:8], v21 offset0:69 offset1:70
	s_wait_loadcnt_dscnt 0x1
	v_mul_f32_e32 v141, v1, v10
	v_mul_f32_e32 v10, v2, v10
	s_delay_alu instid0(VALU_DEP_2) | instskip(NEXT) | instid1(VALU_DEP_2)
	v_dual_mul_f32 v142, v3, v12 :: v_dual_fmac_f32 v141, v2, v9
	v_fma_f32 v143, v1, v9, -v10
	v_mul_f32_e32 v1, v4, v12
	s_delay_alu instid0(VALU_DEP_3) | instskip(NEXT) | instid1(VALU_DEP_2)
	v_fmac_f32_e32 v142, v4, v11
	v_fma_f32 v144, v3, v11, -v1
	s_clause 0x1
	scratch_load_b128 v[1:4], off, off offset:152
	scratch_load_b128 v[9:12], off, off offset:168
	s_wait_loadcnt_dscnt 0x100
	v_mul_f32_e32 v145, v5, v2
	v_dual_mul_f32 v2, v6, v2 :: v_dual_mul_f32 v147, v7, v4
	s_delay_alu instid0(VALU_DEP_2) | instskip(NEXT) | instid1(VALU_DEP_2)
	v_fmac_f32_e32 v145, v6, v1
	v_fma_f32 v146, v5, v1, -v2
	v_mul_f32_e32 v1, v8, v4
	s_delay_alu instid0(VALU_DEP_4) | instskip(NEXT) | instid1(VALU_DEP_2)
	v_fmac_f32_e32 v147, v8, v3
	v_fma_f32 v148, v7, v3, -v1
	ds_load_2addr_b64 v[1:4], v21 offset0:71 offset1:72
	ds_load_2addr_b64 v[5:8], v21 offset0:73 offset1:74
	s_wait_loadcnt_dscnt 0x1
	v_mul_f32_e32 v149, v1, v10
	v_mul_f32_e32 v151, v3, v12
	s_delay_alu instid0(VALU_DEP_2) | instskip(NEXT) | instid1(VALU_DEP_2)
	v_fmac_f32_e32 v149, v2, v9
	v_dual_mul_f32 v2, v2, v10 :: v_dual_fmac_f32 v151, v4, v11
	s_delay_alu instid0(VALU_DEP_1) | instskip(SKIP_1) | instid1(VALU_DEP_1)
	v_fma_f32 v150, v1, v9, -v2
	v_mul_f32_e32 v1, v4, v12
	v_fma_f32 v152, v3, v11, -v1
	s_clause 0x1
	scratch_load_b128 v[1:4], off, off offset:184
	scratch_load_b128 v[9:12], off, off offset:200
	s_wait_loadcnt_dscnt 0x100
	v_mul_f32_e32 v153, v5, v2
	v_dual_mul_f32 v155, v7, v4 :: v_dual_mul_f32 v2, v6, v2
	s_delay_alu instid0(VALU_DEP_2) | instskip(NEXT) | instid1(VALU_DEP_2)
	v_fmac_f32_e32 v153, v6, v1
	v_fmac_f32_e32 v155, v8, v3
	s_delay_alu instid0(VALU_DEP_3) | instskip(SKIP_1) | instid1(VALU_DEP_1)
	v_fma_f32 v154, v5, v1, -v2
	v_mul_f32_e32 v1, v8, v4
	v_fma_f32 v156, v7, v3, -v1
	ds_load_2addr_b64 v[1:4], v21 offset0:75 offset1:76
	ds_load_2addr_b64 v[5:8], v21 offset0:77 offset1:78
	s_wait_loadcnt_dscnt 0x1
	v_mul_f32_e32 v157, v1, v10
	v_mul_f32_e32 v159, v3, v12
	s_delay_alu instid0(VALU_DEP_2) | instskip(NEXT) | instid1(VALU_DEP_2)
	v_fmac_f32_e32 v157, v2, v9
	v_dual_mul_f32 v2, v2, v10 :: v_dual_fmac_f32 v159, v4, v11
	s_delay_alu instid0(VALU_DEP_1) | instskip(SKIP_1) | instid1(VALU_DEP_1)
	v_fma_f32 v158, v1, v9, -v2
	v_mul_f32_e32 v1, v4, v12
	v_fma_f32 v160, v3, v11, -v1
	s_clause 0x1
	scratch_load_b128 v[1:4], off, off offset:216
	scratch_load_b128 v[9:12], off, off offset:232
	s_wait_loadcnt_dscnt 0x100
	v_mul_f32_e32 v161, v5, v2
	v_dual_mul_f32 v2, v6, v2 :: v_dual_mul_f32 v163, v7, v4
	s_delay_alu instid0(VALU_DEP_2) | instskip(NEXT) | instid1(VALU_DEP_2)
	v_fmac_f32_e32 v161, v6, v1
	v_fma_f32 v162, v5, v1, -v2
	v_mul_f32_e32 v1, v8, v4
	s_delay_alu instid0(VALU_DEP_4) | instskip(NEXT) | instid1(VALU_DEP_2)
	v_fmac_f32_e32 v163, v8, v3
	v_fma_f32 v164, v7, v3, -v1
	ds_load_2addr_b64 v[1:4], v21 offset0:79 offset1:80
	ds_load_2addr_b64 v[5:8], v21 offset0:81 offset1:82
	s_wait_loadcnt_dscnt 0x1
	v_mul_f32_e32 v165, v1, v10
	v_mul_f32_e32 v167, v3, v12
	s_delay_alu instid0(VALU_DEP_2) | instskip(NEXT) | instid1(VALU_DEP_2)
	v_fmac_f32_e32 v165, v2, v9
	v_dual_mul_f32 v2, v2, v10 :: v_dual_fmac_f32 v167, v4, v11
	s_delay_alu instid0(VALU_DEP_1) | instskip(SKIP_1) | instid1(VALU_DEP_1)
	v_fma_f32 v166, v1, v9, -v2
	v_mul_f32_e32 v1, v4, v12
	v_fma_f32 v168, v3, v11, -v1
	s_clause 0x1
	scratch_load_b128 v[1:4], off, off offset:248
	scratch_load_b128 v[9:12], off, off offset:264
	s_wait_loadcnt_dscnt 0x100
	v_mul_f32_e32 v169, v5, v2
	v_dual_mul_f32 v2, v6, v2 :: v_dual_mul_f32 v171, v7, v4
	s_delay_alu instid0(VALU_DEP_2) | instskip(NEXT) | instid1(VALU_DEP_2)
	v_fmac_f32_e32 v169, v6, v1
	v_fma_f32 v170, v5, v1, -v2
	v_mul_f32_e32 v1, v8, v4
	s_delay_alu instid0(VALU_DEP_4) | instskip(NEXT) | instid1(VALU_DEP_2)
	v_fmac_f32_e32 v171, v8, v3
	;; [unrolled: 25-line block ×3, first 2 shown]
	v_fma_f32 v180, v7, v3, -v1
	ds_load_2addr_b64 v[1:4], v21 offset0:87 offset1:88
	ds_load_2addr_b64 v[5:8], v21 offset0:89 offset1:90
	s_wait_loadcnt_dscnt 0x1
	v_mul_f32_e32 v181, v1, v10
	v_mul_f32_e32 v183, v3, v12
	s_delay_alu instid0(VALU_DEP_2) | instskip(NEXT) | instid1(VALU_DEP_2)
	v_fmac_f32_e32 v181, v2, v9
	v_dual_mul_f32 v2, v2, v10 :: v_dual_fmac_f32 v183, v4, v11
	s_delay_alu instid0(VALU_DEP_1) | instskip(SKIP_1) | instid1(VALU_DEP_1)
	v_fma_f32 v182, v1, v9, -v2
	v_mul_f32_e32 v1, v4, v12
	v_fma_f32 v184, v3, v11, -v1
	s_clause 0x1
	scratch_load_b128 v[1:4], off, off offset:312
	scratch_load_b128 v[9:12], off, off offset:328
	s_wait_loadcnt_dscnt 0x100
	v_mul_f32_e32 v185, v5, v2
	v_dual_mul_f32 v2, v6, v2 :: v_dual_mul_f32 v187, v7, v4
	s_delay_alu instid0(VALU_DEP_2) | instskip(NEXT) | instid1(VALU_DEP_2)
	v_fmac_f32_e32 v185, v6, v1
	v_fma_f32 v186, v5, v1, -v2
	v_add_f32_e32 v2, 0, v138
	s_delay_alu instid0(VALU_DEP_1) | instskip(NEXT) | instid1(VALU_DEP_1)
	v_add_f32_e32 v2, v2, v139
	v_add_f32_e32 v2, v2, v25
	s_delay_alu instid0(VALU_DEP_1) | instskip(NEXT) | instid1(VALU_DEP_1)
	v_dual_add_f32 v2, v2, v26 :: v_dual_mul_f32 v1, v8, v4
	v_add_f32_e32 v2, v2, v27
	s_delay_alu instid0(VALU_DEP_2) | instskip(NEXT) | instid1(VALU_DEP_2)
	v_fma_f32 v188, v7, v3, -v1
	v_dual_add_f32 v1, 0, v22 :: v_dual_add_f32 v2, v2, v140
	s_delay_alu instid0(VALU_DEP_1) | instskip(NEXT) | instid1(VALU_DEP_2)
	v_add_f32_e32 v1, v1, v24
	v_add_f32_e32 v2, v2, v132
	s_delay_alu instid0(VALU_DEP_1) | instskip(NEXT) | instid1(VALU_DEP_1)
	v_dual_add_f32 v1, v1, v128 :: v_dual_add_f32 v2, v2, v133
	v_add_f32_e32 v1, v1, v129
	scratch_load_b64 v[128:129], off, off offset:392
	v_dual_add_f32 v2, v2, v15 :: v_dual_add_f32 v1, v1, v130
	s_delay_alu instid0(VALU_DEP_1) | instskip(NEXT) | instid1(VALU_DEP_1)
	v_dual_add_f32 v2, v2, v18 :: v_dual_add_f32 v1, v1, v131
	v_dual_add_f32 v2, v2, v19 :: v_dual_add_f32 v1, v1, v13
	s_delay_alu instid0(VALU_DEP_1) | instskip(NEXT) | instid1(VALU_DEP_1)
	v_dual_add_f32 v2, v2, v20 :: v_dual_add_f32 v1, v1, v14
	;; [unrolled: 3-line block ×3, first 2 shown]
	v_dual_add_f32 v2, v2, v145 :: v_dual_add_f32 v1, v1, v134
	s_delay_alu instid0(VALU_DEP_1) | instskip(NEXT) | instid1(VALU_DEP_1)
	v_add_f32_e32 v2, v2, v147
	v_dual_add_f32 v1, v1, v135 :: v_dual_add_f32 v2, v2, v149
	s_delay_alu instid0(VALU_DEP_1) | instskip(NEXT) | instid1(VALU_DEP_1)
	v_add_f32_e32 v1, v1, v143
	v_dual_add_f32 v2, v2, v151 :: v_dual_add_f32 v1, v1, v144
	s_delay_alu instid0(VALU_DEP_1) | instskip(NEXT) | instid1(VALU_DEP_1)
	v_dual_add_f32 v2, v2, v153 :: v_dual_add_f32 v1, v1, v146
	v_dual_add_f32 v2, v2, v155 :: v_dual_add_f32 v1, v1, v148
	s_delay_alu instid0(VALU_DEP_1) | instskip(NEXT) | instid1(VALU_DEP_2)
	v_add_f32_e32 v5, v2, v157
	v_add_f32_e32 v1, v1, v150
	s_delay_alu instid0(VALU_DEP_2) | instskip(NEXT) | instid1(VALU_DEP_2)
	v_add_f32_e32 v5, v5, v159
	v_add_f32_e32 v1, v1, v152
	s_delay_alu instid0(VALU_DEP_1) | instskip(NEXT) | instid1(VALU_DEP_1)
	v_add_f32_e32 v1, v1, v154
	v_add_f32_e32 v1, v1, v156
	s_delay_alu instid0(VALU_DEP_1) | instskip(NEXT) | instid1(VALU_DEP_1)
	;; [unrolled: 3-line block ×3, first 2 shown]
	v_dual_add_f32 v5, v5, v161 :: v_dual_add_f32 v6, v6, v162
	v_dual_add_f32 v14, v5, v163 :: v_dual_add_f32 v13, v6, v164
	s_delay_alu instid0(VALU_DEP_1) | instskip(NEXT) | instid1(VALU_DEP_1)
	v_dual_add_f32 v14, v14, v165 :: v_dual_add_f32 v13, v13, v166
	v_dual_add_f32 v14, v14, v167 :: v_dual_add_f32 v13, v13, v168
	s_delay_alu instid0(VALU_DEP_1) | instskip(NEXT) | instid1(VALU_DEP_1)
	v_add_f32_e32 v13, v13, v170
	v_dual_add_f32 v18, v13, v172 :: v_dual_fmac_f32 v187, v8, v3
	ds_load_2addr_b64 v[1:4], v21 offset0:91 offset1:92
	ds_load_2addr_b64 v[5:8], v21 offset0:93 offset1:94
	v_add_f32_e32 v18, v18, v174
	s_delay_alu instid0(VALU_DEP_1) | instskip(NEXT) | instid1(VALU_DEP_1)
	v_add_f32_e32 v18, v18, v176
	v_add_f32_e32 v18, v18, v178
	s_delay_alu instid0(VALU_DEP_1)
	v_add_f32_e32 v18, v18, v180
	s_wait_loadcnt_dscnt 0x101
	v_mul_f32_e32 v22, v1, v10
	v_mul_f32_e32 v10, v2, v10
	;; [unrolled: 1-line block ×3, first 2 shown]
	v_dual_mul_f32 v12, v4, v12 :: v_dual_add_f32 v17, v14, v169
	s_delay_alu instid0(VALU_DEP_4) | instskip(NEXT) | instid1(VALU_DEP_4)
	v_fmac_f32_e32 v22, v2, v9
	v_fma_f32 v133, v1, v9, -v10
	s_delay_alu instid0(VALU_DEP_4) | instskip(NEXT) | instid1(VALU_DEP_4)
	v_fmac_f32_e32 v132, v4, v11
	v_fma_f32 v134, v3, v11, -v12
	s_clause 0x2
	scratch_load_b128 v[1:4], off, off offset:344
	scratch_load_b128 v[9:12], off, off offset:360
	;; [unrolled: 1-line block ×3, first 2 shown]
	v_dual_add_f32 v17, v17, v171 :: v_dual_add_f32 v130, v18, v182
	s_delay_alu instid0(VALU_DEP_1) | instskip(NEXT) | instid1(VALU_DEP_2)
	v_add_f32_e32 v17, v17, v173
	v_add_f32_e32 v135, v130, v184
	s_delay_alu instid0(VALU_DEP_2) | instskip(NEXT) | instid1(VALU_DEP_2)
	v_add_f32_e32 v17, v17, v175
	v_add_f32_e32 v135, v135, v186
	s_delay_alu instid0(VALU_DEP_2) | instskip(NEXT) | instid1(VALU_DEP_1)
	v_add_f32_e32 v17, v17, v177
	v_dual_add_f32 v135, v135, v188 :: v_dual_add_f32 v24, v17, v179
	ds_load_2addr_b64 v[17:20], v21 offset0:95 offset1:96
	v_add_f32_e32 v133, v135, v133
	v_add_f32_e32 v131, v24, v181
	ds_load_2addr_b64 v[24:27], v21 offset0:97 offset1:98
	v_dual_add_f32 v133, v133, v134 :: v_dual_add_f32 v138, v131, v183
	ds_load_b64 v[130:131], v21 offset:792
	v_add_f32_e32 v138, v138, v185
	s_delay_alu instid0(VALU_DEP_1) | instskip(NEXT) | instid1(VALU_DEP_1)
	v_add_f32_e32 v138, v138, v187
	v_add_f32_e32 v22, v138, v22
	s_delay_alu instid0(VALU_DEP_1) | instskip(SKIP_3) | instid1(VALU_DEP_1)
	v_add_f32_e32 v22, v22, v132
	s_wait_loadcnt_dscnt 0x300
	v_mul_f32_e32 v132, v130, v129
	s_wait_loadcnt 0x2
	v_dual_fmac_f32 v132, v131, v128 :: v_dual_mul_f32 v139, v5, v2
	v_mul_f32_e32 v2, v6, v2
	v_mul_f32_e32 v140, v7, v4
	s_wait_loadcnt 0x1
	v_dual_mul_f32 v4, v8, v4 :: v_dual_mul_f32 v135, v17, v10
	v_fmac_f32_e32 v139, v6, v1
	v_fma_f32 v2, v5, v1, -v2
	v_fmac_f32_e32 v140, v8, v3
	s_delay_alu instid0(VALU_DEP_4)
	v_fma_f32 v1, v7, v3, -v4
	v_mul_f32_e32 v3, v18, v10
	v_add_f32_e32 v4, v22, v139
	v_add_f32_e32 v2, v133, v2
	v_mul_f32_e32 v138, v19, v12
	v_mul_f32_e32 v5, v20, v12
	v_fmac_f32_e32 v135, v18, v9
	v_fma_f32 v3, v17, v9, -v3
	v_dual_add_f32 v1, v2, v1 :: v_dual_add_f32 v2, v4, v140
	s_wait_loadcnt 0x0
	v_mul_f32_e32 v141, v24, v14
	v_mul_f32_e32 v4, v25, v14
	v_fmac_f32_e32 v138, v20, v11
	v_fma_f32 v5, v19, v11, -v5
	v_add_f32_e32 v1, v1, v3
	v_add_f32_e32 v2, v2, v135
	v_mul_f32_e32 v134, v26, v16
	v_mul_f32_e32 v3, v27, v16
	v_fmac_f32_e32 v141, v25, v13
	v_fma_f32 v4, v24, v13, -v4
	v_dual_add_f32 v1, v1, v5 :: v_dual_add_f32 v2, v2, v138
	v_mul_f32_e32 v5, v131, v129
	v_fmac_f32_e32 v134, v27, v15
	v_fma_f32 v3, v26, v15, -v3
	s_delay_alu instid0(VALU_DEP_4) | instskip(NEXT) | instid1(VALU_DEP_4)
	v_dual_add_f32 v1, v1, v4 :: v_dual_add_f32 v2, v2, v141
	v_fma_f32 v4, v130, v128, -v5
	s_delay_alu instid0(VALU_DEP_2) | instskip(NEXT) | instid1(VALU_DEP_1)
	v_dual_add_f32 v1, v1, v3 :: v_dual_add_f32 v2, v2, v134
	v_add_f32_e32 v1, v1, v4
	s_delay_alu instid0(VALU_DEP_1) | instskip(NEXT) | instid1(VALU_DEP_1)
	v_dual_add_f32 v2, v2, v132 :: v_dual_sub_f32 v1, v136, v1
	v_sub_f32_e32 v2, v137, v2
	scratch_store_b64 off, v[1:2], off offset:32
	v_cmpx_lt_u32_e32 3, v0
	s_cbranch_execz .LBB49_307
; %bb.306:
	scratch_load_b64 v[1:2], off, off offset:24
	v_mov_b32_e32 v22, v21
	scratch_store_b64 off, v[21:22], off offset:24
	s_wait_loadcnt 0x0
	ds_store_b64 v23, v[1:2]
.LBB49_307:
	s_wait_alu 0xfffe
	s_or_b32 exec_lo, exec_lo, s0
	s_wait_storecnt_dscnt 0x0
	s_barrier_signal -1
	s_barrier_wait -1
	global_inv scope:SCOPE_SE
	s_clause 0x4
	scratch_load_b128 v[5:8], off, off offset:32
	scratch_load_b128 v[1:4], off, off offset:48
	;; [unrolled: 1-line block ×5, first 2 shown]
	ds_load_b128 v[24:27], v21 offset:432
	ds_load_b128 v[128:131], v21 offset:448
	;; [unrolled: 1-line block ×3, first 2 shown]
	scratch_load_b64 v[136:137], off, off offset:24
	s_mov_b32 s0, exec_lo
	s_wait_loadcnt_dscnt 0x502
	v_dual_mul_f32 v22, v25, v6 :: v_dual_mul_f32 v139, v26, v8
	v_mul_f32_e32 v138, v24, v6
	v_mul_f32_e32 v6, v27, v8
	s_wait_loadcnt_dscnt 0x300
	v_mul_f32_e32 v140, v134, v12
	v_fma_f32 v22, v24, v5, -v22
	v_dual_fmac_f32 v139, v27, v7 :: v_dual_fmac_f32 v138, v25, v5
	v_mul_f32_e32 v27, v132, v10
	v_mul_f32_e32 v25, v128, v2
	v_fma_f32 v24, v26, v7, -v6
	ds_load_b128 v[5:8], v21 offset:480
	v_mul_f32_e32 v26, v130, v4
	v_dual_mul_f32 v4, v131, v4 :: v_dual_fmac_f32 v27, v133, v9
	v_mul_f32_e32 v10, v133, v10
	v_mul_f32_e32 v12, v135, v12
	;; [unrolled: 1-line block ×3, first 2 shown]
	v_dual_fmac_f32 v25, v129, v1 :: v_dual_fmac_f32 v26, v131, v3
	v_fma_f32 v129, v130, v3, -v4
	v_fma_f32 v130, v132, v9, -v10
	v_fmac_f32_e32 v140, v135, v11
	v_fma_f32 v131, v134, v11, -v12
	ds_load_b128 v[9:12], v21 offset:496
	s_wait_loadcnt_dscnt 0x201
	v_mul_f32_e32 v133, v7, v16
	v_fma_f32 v128, v128, v1, -v2
	scratch_load_b128 v[1:4], off, off offset:112
	v_mul_f32_e32 v132, v5, v14
	v_mul_f32_e32 v14, v6, v14
	;; [unrolled: 1-line block ×3, first 2 shown]
	s_delay_alu instid0(VALU_DEP_3) | instskip(NEXT) | instid1(VALU_DEP_3)
	v_dual_fmac_f32 v133, v8, v15 :: v_dual_fmac_f32 v132, v6, v13
	v_fma_f32 v13, v5, v13, -v14
	s_delay_alu instid0(VALU_DEP_3)
	v_fma_f32 v14, v7, v15, -v16
	ds_load_b128 v[5:8], v21 offset:512
	s_wait_loadcnt_dscnt 0x201
	v_mul_f32_e32 v15, v9, v18
	v_mul_f32_e32 v16, v10, v18
	;; [unrolled: 1-line block ×3, first 2 shown]
	s_delay_alu instid0(VALU_DEP_3) | instskip(NEXT) | instid1(VALU_DEP_3)
	v_dual_mul_f32 v20, v12, v20 :: v_dual_fmac_f32 v15, v10, v17
	v_fma_f32 v16, v9, v17, -v16
	s_delay_alu instid0(VALU_DEP_3) | instskip(NEXT) | instid1(VALU_DEP_3)
	v_fmac_f32_e32 v18, v12, v19
	v_fma_f32 v17, v11, v19, -v20
	scratch_load_b128 v[9:12], off, off offset:128
	s_wait_loadcnt_dscnt 0x100
	v_mul_f32_e32 v19, v5, v2
	v_mul_f32_e32 v2, v6, v2
	;; [unrolled: 1-line block ×3, first 2 shown]
	s_delay_alu instid0(VALU_DEP_3) | instskip(NEXT) | instid1(VALU_DEP_3)
	v_dual_mul_f32 v4, v8, v4 :: v_dual_fmac_f32 v19, v6, v1
	v_fma_f32 v134, v5, v1, -v2
	s_delay_alu instid0(VALU_DEP_3) | instskip(NEXT) | instid1(VALU_DEP_3)
	v_fmac_f32_e32 v20, v8, v3
	v_fma_f32 v135, v7, v3, -v4
	ds_load_b128 v[1:4], v21 offset:528
	ds_load_b128 v[5:8], v21 offset:544
	s_wait_loadcnt_dscnt 0x1
	v_mul_f32_e32 v141, v1, v10
	v_mul_f32_e32 v10, v2, v10
	s_delay_alu instid0(VALU_DEP_2) | instskip(NEXT) | instid1(VALU_DEP_2)
	v_dual_mul_f32 v142, v3, v12 :: v_dual_fmac_f32 v141, v2, v9
	v_fma_f32 v143, v1, v9, -v10
	v_mul_f32_e32 v1, v4, v12
	s_delay_alu instid0(VALU_DEP_3) | instskip(NEXT) | instid1(VALU_DEP_2)
	v_fmac_f32_e32 v142, v4, v11
	v_fma_f32 v144, v3, v11, -v1
	s_clause 0x1
	scratch_load_b128 v[1:4], off, off offset:144
	scratch_load_b128 v[9:12], off, off offset:160
	s_wait_loadcnt_dscnt 0x100
	v_mul_f32_e32 v145, v5, v2
	v_dual_mul_f32 v2, v6, v2 :: v_dual_mul_f32 v147, v7, v4
	s_delay_alu instid0(VALU_DEP_2) | instskip(NEXT) | instid1(VALU_DEP_2)
	v_fmac_f32_e32 v145, v6, v1
	v_fma_f32 v146, v5, v1, -v2
	v_mul_f32_e32 v1, v8, v4
	s_delay_alu instid0(VALU_DEP_4) | instskip(NEXT) | instid1(VALU_DEP_2)
	v_fmac_f32_e32 v147, v8, v3
	v_fma_f32 v148, v7, v3, -v1
	ds_load_b128 v[1:4], v21 offset:560
	ds_load_b128 v[5:8], v21 offset:576
	s_wait_loadcnt_dscnt 0x1
	v_mul_f32_e32 v149, v1, v10
	v_mul_f32_e32 v151, v3, v12
	s_delay_alu instid0(VALU_DEP_2) | instskip(NEXT) | instid1(VALU_DEP_2)
	v_fmac_f32_e32 v149, v2, v9
	v_dual_mul_f32 v2, v2, v10 :: v_dual_fmac_f32 v151, v4, v11
	s_delay_alu instid0(VALU_DEP_1) | instskip(SKIP_1) | instid1(VALU_DEP_1)
	v_fma_f32 v150, v1, v9, -v2
	v_mul_f32_e32 v1, v4, v12
	v_fma_f32 v152, v3, v11, -v1
	s_clause 0x1
	scratch_load_b128 v[1:4], off, off offset:176
	scratch_load_b128 v[9:12], off, off offset:192
	s_wait_loadcnt_dscnt 0x100
	v_mul_f32_e32 v153, v5, v2
	v_dual_mul_f32 v2, v6, v2 :: v_dual_mul_f32 v155, v7, v4
	s_delay_alu instid0(VALU_DEP_2) | instskip(NEXT) | instid1(VALU_DEP_2)
	v_fmac_f32_e32 v153, v6, v1
	v_fma_f32 v154, v5, v1, -v2
	v_mul_f32_e32 v1, v8, v4
	s_delay_alu instid0(VALU_DEP_4) | instskip(NEXT) | instid1(VALU_DEP_2)
	v_fmac_f32_e32 v155, v8, v3
	v_fma_f32 v156, v7, v3, -v1
	ds_load_b128 v[1:4], v21 offset:592
	ds_load_b128 v[5:8], v21 offset:608
	s_wait_loadcnt_dscnt 0x1
	v_mul_f32_e32 v157, v1, v10
	v_mul_f32_e32 v159, v3, v12
	s_delay_alu instid0(VALU_DEP_2) | instskip(NEXT) | instid1(VALU_DEP_2)
	v_fmac_f32_e32 v157, v2, v9
	v_dual_mul_f32 v2, v2, v10 :: v_dual_fmac_f32 v159, v4, v11
	s_delay_alu instid0(VALU_DEP_1) | instskip(SKIP_1) | instid1(VALU_DEP_1)
	v_fma_f32 v158, v1, v9, -v2
	v_mul_f32_e32 v1, v4, v12
	v_fma_f32 v160, v3, v11, -v1
	s_clause 0x1
	scratch_load_b128 v[1:4], off, off offset:208
	scratch_load_b128 v[9:12], off, off offset:224
	s_wait_loadcnt_dscnt 0x100
	v_mul_f32_e32 v161, v5, v2
	v_dual_mul_f32 v2, v6, v2 :: v_dual_mul_f32 v163, v7, v4
	s_delay_alu instid0(VALU_DEP_1) | instskip(NEXT) | instid1(VALU_DEP_3)
	v_fma_f32 v162, v5, v1, -v2
	v_fmac_f32_e32 v161, v6, v1
	v_mul_f32_e32 v1, v8, v4
	s_delay_alu instid0(VALU_DEP_4) | instskip(NEXT) | instid1(VALU_DEP_2)
	v_fmac_f32_e32 v163, v8, v3
	v_fma_f32 v164, v7, v3, -v1
	ds_load_b128 v[1:4], v21 offset:624
	ds_load_b128 v[5:8], v21 offset:640
	s_wait_loadcnt_dscnt 0x1
	v_mul_f32_e32 v165, v1, v10
	v_mul_f32_e32 v167, v3, v12
	s_delay_alu instid0(VALU_DEP_1) | instskip(NEXT) | instid1(VALU_DEP_3)
	v_fmac_f32_e32 v167, v4, v11
	v_fmac_f32_e32 v165, v2, v9
	v_mul_f32_e32 v2, v2, v10
	s_delay_alu instid0(VALU_DEP_1) | instskip(SKIP_1) | instid1(VALU_DEP_1)
	v_fma_f32 v166, v1, v9, -v2
	v_mul_f32_e32 v1, v4, v12
	v_fma_f32 v168, v3, v11, -v1
	s_clause 0x1
	scratch_load_b128 v[1:4], off, off offset:240
	scratch_load_b128 v[9:12], off, off offset:256
	s_wait_loadcnt_dscnt 0x100
	v_mul_f32_e32 v169, v5, v2
	v_dual_mul_f32 v2, v6, v2 :: v_dual_mul_f32 v171, v7, v4
	s_delay_alu instid0(VALU_DEP_2) | instskip(NEXT) | instid1(VALU_DEP_2)
	v_fmac_f32_e32 v169, v6, v1
	v_fma_f32 v170, v5, v1, -v2
	v_mul_f32_e32 v1, v8, v4
	s_delay_alu instid0(VALU_DEP_4) | instskip(NEXT) | instid1(VALU_DEP_2)
	v_fmac_f32_e32 v171, v8, v3
	v_fma_f32 v172, v7, v3, -v1
	ds_load_b128 v[1:4], v21 offset:656
	ds_load_b128 v[5:8], v21 offset:672
	s_wait_loadcnt_dscnt 0x1
	v_mul_f32_e32 v173, v1, v10
	v_mul_f32_e32 v175, v3, v12
	s_delay_alu instid0(VALU_DEP_2) | instskip(NEXT) | instid1(VALU_DEP_2)
	v_fmac_f32_e32 v173, v2, v9
	v_dual_mul_f32 v2, v2, v10 :: v_dual_fmac_f32 v175, v4, v11
	s_delay_alu instid0(VALU_DEP_1) | instskip(SKIP_1) | instid1(VALU_DEP_1)
	v_fma_f32 v174, v1, v9, -v2
	v_mul_f32_e32 v1, v4, v12
	v_fma_f32 v176, v3, v11, -v1
	s_clause 0x1
	scratch_load_b128 v[1:4], off, off offset:272
	scratch_load_b128 v[9:12], off, off offset:288
	s_wait_loadcnt_dscnt 0x100
	v_mul_f32_e32 v177, v5, v2
	v_dual_mul_f32 v2, v6, v2 :: v_dual_mul_f32 v179, v7, v4
	s_delay_alu instid0(VALU_DEP_2) | instskip(NEXT) | instid1(VALU_DEP_2)
	v_fmac_f32_e32 v177, v6, v1
	v_fma_f32 v178, v5, v1, -v2
	v_mul_f32_e32 v1, v8, v4
	s_delay_alu instid0(VALU_DEP_4) | instskip(NEXT) | instid1(VALU_DEP_2)
	v_fmac_f32_e32 v179, v8, v3
	v_fma_f32 v180, v7, v3, -v1
	ds_load_b128 v[1:4], v21 offset:688
	ds_load_b128 v[5:8], v21 offset:704
	s_wait_loadcnt_dscnt 0x1
	v_mul_f32_e32 v181, v1, v10
	v_mul_f32_e32 v183, v3, v12
	s_delay_alu instid0(VALU_DEP_2) | instskip(NEXT) | instid1(VALU_DEP_2)
	v_fmac_f32_e32 v181, v2, v9
	v_dual_mul_f32 v2, v2, v10 :: v_dual_fmac_f32 v183, v4, v11
	s_delay_alu instid0(VALU_DEP_1) | instskip(SKIP_1) | instid1(VALU_DEP_1)
	v_fma_f32 v182, v1, v9, -v2
	v_mul_f32_e32 v1, v4, v12
	v_fma_f32 v184, v3, v11, -v1
	s_clause 0x1
	scratch_load_b128 v[1:4], off, off offset:304
	scratch_load_b128 v[9:12], off, off offset:320
	s_wait_loadcnt_dscnt 0x100
	v_mul_f32_e32 v185, v5, v2
	v_mul_f32_e32 v2, v6, v2
	s_delay_alu instid0(VALU_DEP_1) | instskip(SKIP_1) | instid1(VALU_DEP_1)
	v_fma_f32 v186, v5, v1, -v2
	v_add_f32_e32 v2, 0, v138
	v_add_f32_e32 v2, v2, v139
	s_delay_alu instid0(VALU_DEP_1) | instskip(NEXT) | instid1(VALU_DEP_1)
	v_add_f32_e32 v2, v2, v25
	v_add_f32_e32 v2, v2, v26
	s_delay_alu instid0(VALU_DEP_1) | instskip(NEXT) | instid1(VALU_DEP_1)
	;; [unrolled: 3-line block ×5, first 2 shown]
	v_add_f32_e32 v2, v2, v19
	v_add_f32_e32 v2, v2, v20
	v_fmac_f32_e32 v185, v6, v1
	s_delay_alu instid0(VALU_DEP_2) | instskip(NEXT) | instid1(VALU_DEP_1)
	v_dual_mul_f32 v1, v8, v4 :: v_dual_add_f32 v2, v2, v141
	v_fma_f32 v188, v7, v3, -v1
	v_add_f32_e32 v1, 0, v22
	s_delay_alu instid0(VALU_DEP_1) | instskip(NEXT) | instid1(VALU_DEP_1)
	v_dual_add_f32 v2, v2, v142 :: v_dual_add_f32 v1, v1, v24
	v_dual_add_f32 v2, v2, v145 :: v_dual_add_f32 v1, v1, v128
	s_delay_alu instid0(VALU_DEP_1) | instskip(NEXT) | instid1(VALU_DEP_1)
	v_dual_add_f32 v2, v2, v147 :: v_dual_add_f32 v1, v1, v129
	v_dual_add_f32 v2, v2, v149 :: v_dual_add_f32 v1, v1, v130
	s_delay_alu instid0(VALU_DEP_1) | instskip(NEXT) | instid1(VALU_DEP_1)
	v_add_f32_e32 v2, v2, v151
	v_dual_add_f32 v1, v1, v131 :: v_dual_add_f32 v2, v2, v153
	s_delay_alu instid0(VALU_DEP_1) | instskip(NEXT) | instid1(VALU_DEP_1)
	v_dual_add_f32 v1, v1, v13 :: v_dual_add_f32 v2, v2, v155
	v_dual_add_f32 v1, v1, v14 :: v_dual_add_f32 v2, v2, v157
	s_delay_alu instid0(VALU_DEP_1) | instskip(NEXT) | instid1(VALU_DEP_1)
	v_add_f32_e32 v1, v1, v16
	v_add_f32_e32 v1, v1, v17
	s_delay_alu instid0(VALU_DEP_1) | instskip(NEXT) | instid1(VALU_DEP_1)
	v_add_f32_e32 v1, v1, v134
	v_add_f32_e32 v1, v1, v135
	;; [unrolled: 3-line block ×8, first 2 shown]
	s_delay_alu instid0(VALU_DEP_1) | instskip(NEXT) | instid1(VALU_DEP_1)
	v_dual_mul_f32 v187, v7, v4 :: v_dual_add_f32 v14, v14, v166
	v_fmac_f32_e32 v187, v8, v3
	s_delay_alu instid0(VALU_DEP_2) | instskip(NEXT) | instid1(VALU_DEP_1)
	v_add_f32_e32 v17, v14, v168
	v_add_f32_e32 v17, v17, v170
	s_delay_alu instid0(VALU_DEP_1) | instskip(NEXT) | instid1(VALU_DEP_1)
	v_add_f32_e32 v17, v17, v172
	v_add_f32_e32 v17, v17, v174
	s_delay_alu instid0(VALU_DEP_1) | instskip(NEXT) | instid1(VALU_DEP_1)
	v_add_f32_e32 v25, v17, v176
	v_add_f32_e32 v25, v25, v178
	s_delay_alu instid0(VALU_DEP_1)
	v_add_f32_e32 v25, v25, v180
	v_add_f32_e32 v5, v2, v159
	ds_load_b128 v[1:4], v21 offset:720
	v_add_f32_e32 v13, v5, v161
	scratch_load_b128 v[5:8], off, off offset:336
	v_add_f32_e32 v13, v13, v163
	s_delay_alu instid0(VALU_DEP_1) | instskip(NEXT) | instid1(VALU_DEP_1)
	v_add_f32_e32 v13, v13, v165
	v_add_f32_e32 v18, v13, v167
	ds_load_b128 v[13:16], v21 offset:736
	s_wait_loadcnt_dscnt 0x101
	v_mul_f32_e32 v22, v1, v10
	v_mul_f32_e32 v10, v2, v10
	v_mul_f32_e32 v128, v3, v12
	v_mul_f32_e32 v12, v4, v12
	v_add_f32_e32 v18, v18, v169
	v_fmac_f32_e32 v22, v2, v9
	v_fma_f32 v129, v1, v9, -v10
	v_fmac_f32_e32 v128, v4, v11
	v_fma_f32 v130, v3, v11, -v12
	s_clause 0x1
	scratch_load_b128 v[1:4], off, off offset:352
	scratch_load_b128 v[9:12], off, off offset:368
	v_add_f32_e32 v18, v18, v171
	s_delay_alu instid0(VALU_DEP_1) | instskip(SKIP_3) | instid1(VALU_DEP_1)
	v_add_f32_e32 v24, v18, v173
	scratch_load_b128 v[17:20], off, off offset:384
	v_add_f32_e32 v24, v24, v175
	s_wait_loadcnt_dscnt 0x300
	v_dual_add_f32 v24, v24, v177 :: v_dual_mul_f32 v131, v13, v6
	v_mul_f32_e32 v6, v14, v6
	v_mul_f32_e32 v132, v15, v8
	s_delay_alu instid0(VALU_DEP_3) | instskip(NEXT) | instid1(VALU_DEP_3)
	v_dual_mul_f32 v8, v16, v8 :: v_dual_fmac_f32 v131, v14, v5
	v_fma_f32 v133, v13, v5, -v6
	v_dual_add_f32 v13, v24, v179 :: v_dual_add_f32 v24, v25, v182
	s_delay_alu instid0(VALU_DEP_4) | instskip(NEXT) | instid1(VALU_DEP_4)
	v_fmac_f32_e32 v132, v16, v7
	v_fma_f32 v134, v15, v7, -v8
	ds_load_b128 v[5:8], v21 offset:752
	v_add_f32_e32 v25, v13, v181
	v_add_f32_e32 v135, v24, v184
	ds_load_b128 v[13:16], v21 offset:768
	v_add_f32_e32 v138, v25, v183
	ds_load_b128 v[24:27], v21 offset:784
	v_add_f32_e32 v21, v135, v186
	v_add_f32_e32 v135, v138, v185
	s_delay_alu instid0(VALU_DEP_2) | instskip(NEXT) | instid1(VALU_DEP_2)
	v_add_f32_e32 v21, v21, v188
	v_add_f32_e32 v135, v135, v187
	s_delay_alu instid0(VALU_DEP_2) | instskip(SKIP_2) | instid1(VALU_DEP_3)
	v_add_f32_e32 v21, v21, v129
	s_wait_loadcnt_dscnt 0x202
	v_mul_f32_e32 v138, v5, v2
	v_add_f32_e32 v22, v135, v22
	v_mul_f32_e32 v2, v6, v2
	v_add_f32_e32 v21, v21, v130
	v_mul_f32_e32 v129, v7, v4
	v_mul_f32_e32 v4, v8, v4
	v_add_f32_e32 v22, v22, v128
	v_fma_f32 v2, v5, v1, -v2
	v_add_f32_e32 v21, v21, v133
	s_wait_loadcnt_dscnt 0x101
	v_dual_fmac_f32 v138, v6, v1 :: v_dual_mul_f32 v135, v13, v10
	v_add_f32_e32 v22, v22, v131
	v_mul_f32_e32 v6, v14, v10
	v_add_f32_e32 v1, v21, v134
	v_fmac_f32_e32 v129, v8, v3
	v_fma_f32 v3, v7, v3, -v4
	v_add_f32_e32 v5, v22, v132
	v_mul_f32_e32 v139, v15, v12
	v_dual_add_f32 v1, v1, v2 :: v_dual_mul_f32 v4, v16, v12
	s_delay_alu instid0(VALU_DEP_3) | instskip(SKIP_2) | instid1(VALU_DEP_3)
	v_dual_fmac_f32 v135, v14, v9 :: v_dual_add_f32 v2, v5, v138
	v_fma_f32 v5, v13, v9, -v6
	s_wait_loadcnt_dscnt 0x0
	v_dual_add_f32 v1, v1, v3 :: v_dual_mul_f32 v128, v24, v18
	s_delay_alu instid0(VALU_DEP_3) | instskip(SKIP_2) | instid1(VALU_DEP_4)
	v_dual_mul_f32 v3, v25, v18 :: v_dual_add_f32 v2, v2, v129
	v_fmac_f32_e32 v139, v16, v11
	v_fma_f32 v4, v15, v11, -v4
	v_dual_add_f32 v1, v1, v5 :: v_dual_mul_f32 v130, v26, v20
	s_delay_alu instid0(VALU_DEP_4) | instskip(SKIP_2) | instid1(VALU_DEP_3)
	v_dual_add_f32 v2, v2, v135 :: v_dual_mul_f32 v5, v27, v20
	v_fmac_f32_e32 v128, v25, v17
	v_fma_f32 v3, v24, v17, -v3
	v_dual_add_f32 v1, v1, v4 :: v_dual_add_f32 v2, v2, v139
	v_fmac_f32_e32 v130, v27, v19
	v_fma_f32 v4, v26, v19, -v5
	s_delay_alu instid0(VALU_DEP_3) | instskip(NEXT) | instid1(VALU_DEP_1)
	v_dual_add_f32 v1, v1, v3 :: v_dual_add_f32 v2, v2, v128
	v_dual_add_f32 v1, v1, v4 :: v_dual_add_f32 v2, v2, v130
	s_delay_alu instid0(VALU_DEP_1)
	v_dual_sub_f32 v1, v136, v1 :: v_dual_sub_f32 v2, v137, v2
	scratch_store_b64 off, v[1:2], off offset:24
	v_cmpx_lt_u32_e32 2, v0
	s_cbranch_execz .LBB49_309
; %bb.308:
	scratch_load_b64 v[1:2], off, off offset:16
	v_mov_b32_e32 v3, 0
	s_delay_alu instid0(VALU_DEP_1)
	v_mov_b32_e32 v4, v3
	scratch_store_b64 off, v[3:4], off offset:16
	s_wait_loadcnt 0x0
	ds_store_b64 v23, v[1:2]
.LBB49_309:
	s_wait_alu 0xfffe
	s_or_b32 exec_lo, exec_lo, s0
	s_wait_storecnt_dscnt 0x0
	s_barrier_signal -1
	s_barrier_wait -1
	global_inv scope:SCOPE_SE
	s_clause 0x4
	scratch_load_b128 v[5:8], off, off offset:24
	scratch_load_b128 v[1:4], off, off offset:40
	;; [unrolled: 1-line block ×5, first 2 shown]
	v_mov_b32_e32 v21, 0
	ds_load_2addr_b64 v[24:27], v21 offset0:53 offset1:54
	ds_load_2addr_b64 v[128:131], v21 offset0:55 offset1:56
	;; [unrolled: 1-line block ×3, first 2 shown]
	scratch_load_b64 v[136:137], off, off offset:16
	s_mov_b32 s0, exec_lo
	s_wait_loadcnt_dscnt 0x502
	v_mul_f32_e32 v22, v25, v6
	v_dual_mul_f32 v138, v24, v6 :: v_dual_mul_f32 v139, v26, v8
	v_mul_f32_e32 v6, v27, v8
	s_delay_alu instid0(VALU_DEP_3) | instskip(NEXT) | instid1(VALU_DEP_3)
	v_fma_f32 v22, v24, v5, -v22
	v_dual_fmac_f32 v138, v25, v5 :: v_dual_fmac_f32 v139, v27, v7
	s_wait_loadcnt_dscnt 0x401
	v_mul_f32_e32 v25, v128, v2
	v_fma_f32 v24, v26, v7, -v6
	ds_load_2addr_b64 v[5:8], v21 offset0:59 offset1:60
	s_wait_loadcnt_dscnt 0x301
	v_dual_mul_f32 v26, v130, v4 :: v_dual_mul_f32 v27, v132, v10
	v_dual_mul_f32 v4, v131, v4 :: v_dual_fmac_f32 v25, v129, v1
	v_mul_f32_e32 v10, v133, v10
	s_delay_alu instid0(VALU_DEP_3)
	v_dual_mul_f32 v140, v134, v12 :: v_dual_fmac_f32 v27, v133, v9
	v_mul_f32_e32 v12, v135, v12
	v_mul_f32_e32 v2, v129, v2
	v_fmac_f32_e32 v26, v131, v3
	v_fma_f32 v129, v130, v3, -v4
	v_fma_f32 v130, v132, v9, -v10
	v_fmac_f32_e32 v140, v135, v11
	v_fma_f32 v131, v134, v11, -v12
	ds_load_2addr_b64 v[9:12], v21 offset0:61 offset1:62
	s_wait_loadcnt_dscnt 0x201
	v_mul_f32_e32 v133, v7, v16
	v_fma_f32 v128, v128, v1, -v2
	scratch_load_b128 v[1:4], off, off offset:104
	v_mul_f32_e32 v132, v5, v14
	v_mul_f32_e32 v14, v6, v14
	;; [unrolled: 1-line block ×3, first 2 shown]
	s_delay_alu instid0(VALU_DEP_3) | instskip(NEXT) | instid1(VALU_DEP_3)
	v_dual_fmac_f32 v133, v8, v15 :: v_dual_fmac_f32 v132, v6, v13
	v_fma_f32 v13, v5, v13, -v14
	s_delay_alu instid0(VALU_DEP_3)
	v_fma_f32 v14, v7, v15, -v16
	ds_load_2addr_b64 v[5:8], v21 offset0:63 offset1:64
	s_wait_loadcnt_dscnt 0x201
	v_mul_f32_e32 v15, v9, v18
	v_mul_f32_e32 v16, v10, v18
	;; [unrolled: 1-line block ×3, first 2 shown]
	s_delay_alu instid0(VALU_DEP_3) | instskip(NEXT) | instid1(VALU_DEP_3)
	v_dual_mul_f32 v20, v12, v20 :: v_dual_fmac_f32 v15, v10, v17
	v_fma_f32 v16, v9, v17, -v16
	s_delay_alu instid0(VALU_DEP_3) | instskip(NEXT) | instid1(VALU_DEP_3)
	v_fmac_f32_e32 v18, v12, v19
	v_fma_f32 v17, v11, v19, -v20
	scratch_load_b128 v[9:12], off, off offset:120
	s_wait_loadcnt_dscnt 0x100
	v_mul_f32_e32 v19, v5, v2
	v_mul_f32_e32 v2, v6, v2
	v_mul_f32_e32 v20, v7, v4
	s_delay_alu instid0(VALU_DEP_3) | instskip(NEXT) | instid1(VALU_DEP_3)
	v_dual_mul_f32 v4, v8, v4 :: v_dual_fmac_f32 v19, v6, v1
	v_fma_f32 v134, v5, v1, -v2
	s_delay_alu instid0(VALU_DEP_3) | instskip(NEXT) | instid1(VALU_DEP_3)
	v_fmac_f32_e32 v20, v8, v3
	v_fma_f32 v135, v7, v3, -v4
	ds_load_2addr_b64 v[1:4], v21 offset0:65 offset1:66
	ds_load_2addr_b64 v[5:8], v21 offset0:67 offset1:68
	s_wait_loadcnt_dscnt 0x1
	v_mul_f32_e32 v141, v1, v10
	v_mul_f32_e32 v10, v2, v10
	s_delay_alu instid0(VALU_DEP_2) | instskip(NEXT) | instid1(VALU_DEP_2)
	v_dual_mul_f32 v142, v3, v12 :: v_dual_fmac_f32 v141, v2, v9
	v_fma_f32 v143, v1, v9, -v10
	v_mul_f32_e32 v1, v4, v12
	s_delay_alu instid0(VALU_DEP_3) | instskip(NEXT) | instid1(VALU_DEP_2)
	v_fmac_f32_e32 v142, v4, v11
	v_fma_f32 v144, v3, v11, -v1
	s_clause 0x1
	scratch_load_b128 v[1:4], off, off offset:136
	scratch_load_b128 v[9:12], off, off offset:152
	s_wait_loadcnt_dscnt 0x100
	v_mul_f32_e32 v145, v5, v2
	v_dual_mul_f32 v2, v6, v2 :: v_dual_mul_f32 v147, v7, v4
	s_delay_alu instid0(VALU_DEP_2) | instskip(NEXT) | instid1(VALU_DEP_2)
	v_fmac_f32_e32 v145, v6, v1
	v_fma_f32 v146, v5, v1, -v2
	v_mul_f32_e32 v1, v8, v4
	s_delay_alu instid0(VALU_DEP_4) | instskip(NEXT) | instid1(VALU_DEP_2)
	v_fmac_f32_e32 v147, v8, v3
	v_fma_f32 v148, v7, v3, -v1
	ds_load_2addr_b64 v[1:4], v21 offset0:69 offset1:70
	ds_load_2addr_b64 v[5:8], v21 offset0:71 offset1:72
	s_wait_loadcnt_dscnt 0x1
	v_mul_f32_e32 v149, v1, v10
	v_mul_f32_e32 v151, v3, v12
	s_delay_alu instid0(VALU_DEP_2) | instskip(NEXT) | instid1(VALU_DEP_2)
	v_fmac_f32_e32 v149, v2, v9
	v_dual_mul_f32 v2, v2, v10 :: v_dual_fmac_f32 v151, v4, v11
	s_delay_alu instid0(VALU_DEP_1) | instskip(SKIP_1) | instid1(VALU_DEP_1)
	v_fma_f32 v150, v1, v9, -v2
	v_mul_f32_e32 v1, v4, v12
	v_fma_f32 v152, v3, v11, -v1
	s_clause 0x1
	scratch_load_b128 v[1:4], off, off offset:168
	scratch_load_b128 v[9:12], off, off offset:184
	s_wait_loadcnt_dscnt 0x100
	v_mul_f32_e32 v153, v5, v2
	v_dual_mul_f32 v155, v7, v4 :: v_dual_mul_f32 v2, v6, v2
	s_delay_alu instid0(VALU_DEP_2) | instskip(NEXT) | instid1(VALU_DEP_2)
	v_fmac_f32_e32 v153, v6, v1
	v_fmac_f32_e32 v155, v8, v3
	s_delay_alu instid0(VALU_DEP_3) | instskip(SKIP_1) | instid1(VALU_DEP_1)
	v_fma_f32 v154, v5, v1, -v2
	v_mul_f32_e32 v1, v8, v4
	v_fma_f32 v156, v7, v3, -v1
	ds_load_2addr_b64 v[1:4], v21 offset0:73 offset1:74
	ds_load_2addr_b64 v[5:8], v21 offset0:75 offset1:76
	s_wait_loadcnt_dscnt 0x1
	v_mul_f32_e32 v157, v1, v10
	v_mul_f32_e32 v159, v3, v12
	s_delay_alu instid0(VALU_DEP_2) | instskip(NEXT) | instid1(VALU_DEP_2)
	v_fmac_f32_e32 v157, v2, v9
	v_dual_mul_f32 v2, v2, v10 :: v_dual_fmac_f32 v159, v4, v11
	s_delay_alu instid0(VALU_DEP_1) | instskip(SKIP_1) | instid1(VALU_DEP_1)
	v_fma_f32 v158, v1, v9, -v2
	v_mul_f32_e32 v1, v4, v12
	v_fma_f32 v160, v3, v11, -v1
	s_clause 0x1
	scratch_load_b128 v[1:4], off, off offset:200
	scratch_load_b128 v[9:12], off, off offset:216
	s_wait_loadcnt_dscnt 0x100
	v_mul_f32_e32 v161, v5, v2
	v_dual_mul_f32 v2, v6, v2 :: v_dual_mul_f32 v163, v7, v4
	s_delay_alu instid0(VALU_DEP_1) | instskip(NEXT) | instid1(VALU_DEP_3)
	v_fma_f32 v162, v5, v1, -v2
	v_fmac_f32_e32 v161, v6, v1
	v_mul_f32_e32 v1, v8, v4
	s_delay_alu instid0(VALU_DEP_4) | instskip(NEXT) | instid1(VALU_DEP_2)
	v_fmac_f32_e32 v163, v8, v3
	v_fma_f32 v164, v7, v3, -v1
	ds_load_2addr_b64 v[1:4], v21 offset0:77 offset1:78
	ds_load_2addr_b64 v[5:8], v21 offset0:79 offset1:80
	s_wait_loadcnt_dscnt 0x1
	v_mul_f32_e32 v165, v1, v10
	v_mul_f32_e32 v167, v3, v12
	s_delay_alu instid0(VALU_DEP_1) | instskip(NEXT) | instid1(VALU_DEP_3)
	v_fmac_f32_e32 v167, v4, v11
	v_fmac_f32_e32 v165, v2, v9
	v_mul_f32_e32 v2, v2, v10
	s_delay_alu instid0(VALU_DEP_1) | instskip(SKIP_1) | instid1(VALU_DEP_1)
	v_fma_f32 v166, v1, v9, -v2
	v_mul_f32_e32 v1, v4, v12
	v_fma_f32 v168, v3, v11, -v1
	s_clause 0x1
	scratch_load_b128 v[1:4], off, off offset:232
	scratch_load_b128 v[9:12], off, off offset:248
	s_wait_loadcnt_dscnt 0x100
	v_mul_f32_e32 v169, v5, v2
	v_dual_mul_f32 v2, v6, v2 :: v_dual_mul_f32 v171, v7, v4
	s_delay_alu instid0(VALU_DEP_2) | instskip(NEXT) | instid1(VALU_DEP_2)
	v_fmac_f32_e32 v169, v6, v1
	v_fma_f32 v170, v5, v1, -v2
	v_mul_f32_e32 v1, v8, v4
	s_delay_alu instid0(VALU_DEP_4) | instskip(NEXT) | instid1(VALU_DEP_2)
	v_fmac_f32_e32 v171, v8, v3
	v_fma_f32 v172, v7, v3, -v1
	ds_load_2addr_b64 v[1:4], v21 offset0:81 offset1:82
	ds_load_2addr_b64 v[5:8], v21 offset0:83 offset1:84
	s_wait_loadcnt_dscnt 0x1
	v_mul_f32_e32 v173, v1, v10
	v_mul_f32_e32 v175, v3, v12
	s_delay_alu instid0(VALU_DEP_2) | instskip(NEXT) | instid1(VALU_DEP_2)
	v_fmac_f32_e32 v173, v2, v9
	v_dual_mul_f32 v2, v2, v10 :: v_dual_fmac_f32 v175, v4, v11
	s_delay_alu instid0(VALU_DEP_1) | instskip(SKIP_1) | instid1(VALU_DEP_1)
	v_fma_f32 v174, v1, v9, -v2
	v_mul_f32_e32 v1, v4, v12
	v_fma_f32 v176, v3, v11, -v1
	s_clause 0x1
	scratch_load_b128 v[1:4], off, off offset:264
	scratch_load_b128 v[9:12], off, off offset:280
	s_wait_loadcnt_dscnt 0x100
	v_mul_f32_e32 v177, v5, v2
	v_dual_mul_f32 v2, v6, v2 :: v_dual_mul_f32 v179, v7, v4
	s_delay_alu instid0(VALU_DEP_2) | instskip(NEXT) | instid1(VALU_DEP_2)
	v_fmac_f32_e32 v177, v6, v1
	v_fma_f32 v178, v5, v1, -v2
	v_mul_f32_e32 v1, v8, v4
	s_delay_alu instid0(VALU_DEP_4) | instskip(NEXT) | instid1(VALU_DEP_2)
	v_fmac_f32_e32 v179, v8, v3
	v_fma_f32 v180, v7, v3, -v1
	ds_load_2addr_b64 v[1:4], v21 offset0:85 offset1:86
	ds_load_2addr_b64 v[5:8], v21 offset0:87 offset1:88
	s_wait_loadcnt_dscnt 0x1
	v_mul_f32_e32 v181, v1, v10
	v_mul_f32_e32 v183, v3, v12
	s_delay_alu instid0(VALU_DEP_2) | instskip(NEXT) | instid1(VALU_DEP_2)
	v_fmac_f32_e32 v181, v2, v9
	v_dual_mul_f32 v2, v2, v10 :: v_dual_fmac_f32 v183, v4, v11
	s_delay_alu instid0(VALU_DEP_1) | instskip(SKIP_1) | instid1(VALU_DEP_1)
	v_fma_f32 v182, v1, v9, -v2
	v_mul_f32_e32 v1, v4, v12
	v_fma_f32 v184, v3, v11, -v1
	s_clause 0x1
	scratch_load_b128 v[1:4], off, off offset:296
	scratch_load_b128 v[9:12], off, off offset:312
	s_wait_loadcnt_dscnt 0x100
	v_mul_f32_e32 v185, v5, v2
	v_dual_mul_f32 v2, v6, v2 :: v_dual_mul_f32 v187, v7, v4
	s_delay_alu instid0(VALU_DEP_1) | instskip(SKIP_1) | instid1(VALU_DEP_1)
	v_fma_f32 v186, v5, v1, -v2
	v_add_f32_e32 v2, 0, v138
	v_add_f32_e32 v2, v2, v139
	s_delay_alu instid0(VALU_DEP_1) | instskip(NEXT) | instid1(VALU_DEP_1)
	v_add_f32_e32 v2, v2, v25
	v_add_f32_e32 v2, v2, v26
	s_delay_alu instid0(VALU_DEP_1) | instskip(NEXT) | instid1(VALU_DEP_1)
	;; [unrolled: 3-line block ×5, first 2 shown]
	v_add_f32_e32 v2, v2, v19
	v_add_f32_e32 v2, v2, v20
	v_fmac_f32_e32 v185, v6, v1
	s_delay_alu instid0(VALU_DEP_2) | instskip(NEXT) | instid1(VALU_DEP_1)
	v_dual_mul_f32 v1, v8, v4 :: v_dual_add_f32 v2, v2, v141
	v_fma_f32 v188, v7, v3, -v1
	v_add_f32_e32 v1, 0, v22
	s_delay_alu instid0(VALU_DEP_1) | instskip(NEXT) | instid1(VALU_DEP_1)
	v_dual_add_f32 v2, v2, v142 :: v_dual_add_f32 v1, v1, v24
	v_dual_add_f32 v2, v2, v145 :: v_dual_add_f32 v1, v1, v128
	s_delay_alu instid0(VALU_DEP_1) | instskip(SKIP_2) | instid1(VALU_DEP_1)
	v_dual_add_f32 v2, v2, v147 :: v_dual_add_f32 v1, v1, v129
	scratch_load_b64 v[128:129], off, off offset:392
	v_dual_add_f32 v2, v2, v149 :: v_dual_add_f32 v1, v1, v130
	v_add_f32_e32 v2, v2, v151
	s_delay_alu instid0(VALU_DEP_1) | instskip(NEXT) | instid1(VALU_DEP_1)
	v_dual_add_f32 v1, v1, v131 :: v_dual_add_f32 v2, v2, v153
	v_dual_add_f32 v1, v1, v13 :: v_dual_add_f32 v2, v2, v155
	s_delay_alu instid0(VALU_DEP_1) | instskip(NEXT) | instid1(VALU_DEP_1)
	v_dual_add_f32 v1, v1, v14 :: v_dual_add_f32 v2, v2, v157
	v_add_f32_e32 v1, v1, v16
	s_delay_alu instid0(VALU_DEP_1) | instskip(NEXT) | instid1(VALU_DEP_1)
	v_add_f32_e32 v1, v1, v17
	v_add_f32_e32 v1, v1, v134
	s_delay_alu instid0(VALU_DEP_1) | instskip(NEXT) | instid1(VALU_DEP_1)
	v_add_f32_e32 v1, v1, v135
	;; [unrolled: 3-line block ×12, first 2 shown]
	v_add_f32_e32 v25, v25, v182
	v_add_f32_e32 v5, v2, v159
	s_delay_alu instid0(VALU_DEP_1) | instskip(NEXT) | instid1(VALU_DEP_1)
	v_add_f32_e32 v13, v5, v161
	v_add_f32_e32 v13, v13, v163
	s_delay_alu instid0(VALU_DEP_1) | instskip(NEXT) | instid1(VALU_DEP_1)
	v_add_f32_e32 v13, v13, v165
	v_add_f32_e32 v18, v13, v167
	v_fmac_f32_e32 v187, v8, v3
	scratch_load_b128 v[1:4], off, off offset:328
	ds_load_2addr_b64 v[5:8], v21 offset0:89 offset1:90
	ds_load_2addr_b64 v[13:16], v21 offset0:91 offset1:92
	s_wait_loadcnt_dscnt 0x201
	v_mul_f32_e32 v22, v5, v10
	v_mul_f32_e32 v10, v6, v10
	;; [unrolled: 1-line block ×4, first 2 shown]
	v_add_f32_e32 v18, v18, v169
	v_fmac_f32_e32 v22, v6, v9
	v_fma_f32 v133, v5, v9, -v10
	v_fmac_f32_e32 v132, v8, v11
	v_fma_f32 v134, v7, v11, -v12
	s_clause 0x1
	scratch_load_b128 v[5:8], off, off offset:344
	scratch_load_b128 v[9:12], off, off offset:360
	v_add_f32_e32 v18, v18, v171
	s_delay_alu instid0(VALU_DEP_1) | instskip(SKIP_2) | instid1(VALU_DEP_1)
	v_add_f32_e32 v24, v18, v173
	scratch_load_b128 v[17:20], off, off offset:376
	v_add_f32_e32 v24, v24, v175
	v_add_f32_e32 v24, v24, v177
	s_wait_loadcnt_dscnt 0x300
	s_delay_alu instid0(VALU_DEP_1) | instskip(SKIP_2) | instid1(VALU_DEP_3)
	v_dual_add_f32 v24, v24, v179 :: v_dual_mul_f32 v135, v13, v2
	v_mul_f32_e32 v2, v14, v2
	v_mul_f32_e32 v138, v15, v4
	v_dual_mul_f32 v4, v16, v4 :: v_dual_fmac_f32 v135, v14, v1
	s_delay_alu instid0(VALU_DEP_3) | instskip(SKIP_1) | instid1(VALU_DEP_4)
	v_fma_f32 v139, v13, v1, -v2
	v_dual_add_f32 v13, v24, v181 :: v_dual_add_f32 v14, v25, v184
	v_fmac_f32_e32 v138, v16, v3
	s_delay_alu instid0(VALU_DEP_4)
	v_fma_f32 v140, v15, v3, -v4
	ds_load_2addr_b64 v[1:4], v21 offset0:93 offset1:94
	v_add_f32_e32 v24, v13, v183
	v_add_f32_e32 v130, v14, v186
	ds_load_2addr_b64 v[13:16], v21 offset0:95 offset1:96
	v_add_f32_e32 v131, v24, v185
	v_add_f32_e32 v141, v130, v188
	ds_load_2addr_b64 v[24:27], v21 offset0:97 offset1:98
	v_dual_add_f32 v142, v131, v187 :: v_dual_add_f32 v133, v141, v133
	ds_load_b64 v[130:131], v21 offset:792
	v_add_f32_e32 v22, v142, v22
	v_add_f32_e32 v133, v133, v134
	s_wait_loadcnt_dscnt 0x203
	s_delay_alu instid0(VALU_DEP_2) | instskip(NEXT) | instid1(VALU_DEP_2)
	v_dual_mul_f32 v141, v1, v6 :: v_dual_add_f32 v22, v22, v132
	v_dual_mul_f32 v6, v2, v6 :: v_dual_add_f32 v133, v133, v139
	s_wait_loadcnt_dscnt 0x102
	v_mul_f32_e32 v134, v13, v10
	v_mul_f32_e32 v132, v3, v8
	v_add_f32_e32 v22, v22, v135
	v_mul_f32_e32 v8, v4, v8
	v_add_f32_e32 v133, v133, v140
	v_fma_f32 v1, v1, v5, -v6
	v_fmac_f32_e32 v141, v2, v5
	v_add_f32_e32 v22, v22, v138
	v_fmac_f32_e32 v132, v4, v7
	v_fma_f32 v2, v3, v7, -v8
	v_mul_f32_e32 v3, v14, v10
	v_add_f32_e32 v1, v133, v1
	v_dual_add_f32 v4, v22, v141 :: v_dual_mul_f32 v135, v15, v12
	v_dual_mul_f32 v5, v16, v12 :: v_dual_fmac_f32 v134, v14, v9
	s_delay_alu instid0(VALU_DEP_4) | instskip(NEXT) | instid1(VALU_DEP_3)
	v_fma_f32 v3, v13, v9, -v3
	v_dual_add_f32 v1, v1, v2 :: v_dual_add_f32 v2, v4, v132
	s_wait_loadcnt_dscnt 0x1
	v_mul_f32_e32 v139, v24, v18
	v_dual_mul_f32 v4, v25, v18 :: v_dual_fmac_f32 v135, v16, v11
	v_fma_f32 v5, v15, v11, -v5
	v_dual_add_f32 v1, v1, v3 :: v_dual_add_f32 v2, v2, v134
	v_mul_f32_e32 v140, v26, v20
	v_mul_f32_e32 v3, v27, v20
	v_fmac_f32_e32 v139, v25, v17
	v_fma_f32 v4, v24, v17, -v4
	v_dual_add_f32 v1, v1, v5 :: v_dual_add_f32 v2, v2, v135
	s_wait_dscnt 0x0
	v_mul_f32_e32 v138, v130, v129
	v_mul_f32_e32 v5, v131, v129
	v_fmac_f32_e32 v140, v27, v19
	v_fma_f32 v3, v26, v19, -v3
	v_dual_add_f32 v1, v1, v4 :: v_dual_add_f32 v2, v2, v139
	v_fmac_f32_e32 v138, v131, v128
	v_fma_f32 v4, v130, v128, -v5
	s_delay_alu instid0(VALU_DEP_3) | instskip(NEXT) | instid1(VALU_DEP_1)
	v_dual_add_f32 v1, v1, v3 :: v_dual_add_f32 v2, v2, v140
	v_dual_add_f32 v1, v1, v4 :: v_dual_add_f32 v2, v2, v138
	s_delay_alu instid0(VALU_DEP_1)
	v_dual_sub_f32 v1, v136, v1 :: v_dual_sub_f32 v2, v137, v2
	scratch_store_b64 off, v[1:2], off offset:16
	v_cmpx_lt_u32_e32 1, v0
	s_cbranch_execz .LBB49_311
; %bb.310:
	scratch_load_b64 v[1:2], off, off offset:8
	v_mov_b32_e32 v22, v21
	scratch_store_b64 off, v[21:22], off offset:8
	s_wait_loadcnt 0x0
	ds_store_b64 v23, v[1:2]
.LBB49_311:
	s_wait_alu 0xfffe
	s_or_b32 exec_lo, exec_lo, s0
	s_wait_storecnt_dscnt 0x0
	s_barrier_signal -1
	s_barrier_wait -1
	global_inv scope:SCOPE_SE
	s_clause 0x4
	scratch_load_b128 v[5:8], off, off offset:16
	scratch_load_b128 v[1:4], off, off offset:32
	;; [unrolled: 1-line block ×5, first 2 shown]
	ds_load_b128 v[24:27], v21 offset:416
	ds_load_b128 v[128:131], v21 offset:432
	;; [unrolled: 1-line block ×3, first 2 shown]
	scratch_load_b64 v[136:137], off, off offset:8
	s_mov_b32 s0, exec_lo
	s_wait_loadcnt_dscnt 0x502
	v_dual_mul_f32 v22, v25, v6 :: v_dual_mul_f32 v139, v26, v8
	v_mul_f32_e32 v138, v24, v6
	v_mul_f32_e32 v6, v27, v8
	s_wait_loadcnt_dscnt 0x300
	v_mul_f32_e32 v140, v134, v12
	v_fma_f32 v22, v24, v5, -v22
	v_dual_fmac_f32 v139, v27, v7 :: v_dual_fmac_f32 v138, v25, v5
	v_mul_f32_e32 v27, v132, v10
	v_mul_f32_e32 v25, v128, v2
	v_fma_f32 v24, v26, v7, -v6
	ds_load_b128 v[5:8], v21 offset:464
	v_mul_f32_e32 v26, v130, v4
	v_dual_mul_f32 v4, v131, v4 :: v_dual_fmac_f32 v27, v133, v9
	v_mul_f32_e32 v10, v133, v10
	v_mul_f32_e32 v12, v135, v12
	;; [unrolled: 1-line block ×3, first 2 shown]
	v_dual_fmac_f32 v25, v129, v1 :: v_dual_fmac_f32 v26, v131, v3
	v_fma_f32 v129, v130, v3, -v4
	v_fma_f32 v130, v132, v9, -v10
	v_fmac_f32_e32 v140, v135, v11
	v_fma_f32 v131, v134, v11, -v12
	ds_load_b128 v[9:12], v21 offset:480
	s_wait_loadcnt_dscnt 0x201
	v_mul_f32_e32 v133, v7, v16
	v_fma_f32 v128, v128, v1, -v2
	scratch_load_b128 v[1:4], off, off offset:96
	v_mul_f32_e32 v132, v5, v14
	v_mul_f32_e32 v14, v6, v14
	;; [unrolled: 1-line block ×3, first 2 shown]
	s_delay_alu instid0(VALU_DEP_3) | instskip(NEXT) | instid1(VALU_DEP_3)
	v_dual_fmac_f32 v133, v8, v15 :: v_dual_fmac_f32 v132, v6, v13
	v_fma_f32 v13, v5, v13, -v14
	s_delay_alu instid0(VALU_DEP_3)
	v_fma_f32 v14, v7, v15, -v16
	ds_load_b128 v[5:8], v21 offset:496
	s_wait_loadcnt_dscnt 0x201
	v_mul_f32_e32 v15, v9, v18
	v_mul_f32_e32 v16, v10, v18
	;; [unrolled: 1-line block ×3, first 2 shown]
	s_delay_alu instid0(VALU_DEP_3) | instskip(NEXT) | instid1(VALU_DEP_3)
	v_dual_mul_f32 v20, v12, v20 :: v_dual_fmac_f32 v15, v10, v17
	v_fma_f32 v16, v9, v17, -v16
	s_delay_alu instid0(VALU_DEP_3) | instskip(NEXT) | instid1(VALU_DEP_3)
	v_fmac_f32_e32 v18, v12, v19
	v_fma_f32 v17, v11, v19, -v20
	scratch_load_b128 v[9:12], off, off offset:112
	s_wait_loadcnt_dscnt 0x100
	v_mul_f32_e32 v19, v5, v2
	v_mul_f32_e32 v2, v6, v2
	;; [unrolled: 1-line block ×3, first 2 shown]
	s_delay_alu instid0(VALU_DEP_3) | instskip(NEXT) | instid1(VALU_DEP_3)
	v_dual_mul_f32 v4, v8, v4 :: v_dual_fmac_f32 v19, v6, v1
	v_fma_f32 v134, v5, v1, -v2
	s_delay_alu instid0(VALU_DEP_3) | instskip(NEXT) | instid1(VALU_DEP_3)
	v_fmac_f32_e32 v20, v8, v3
	v_fma_f32 v135, v7, v3, -v4
	ds_load_b128 v[1:4], v21 offset:512
	ds_load_b128 v[5:8], v21 offset:528
	s_wait_loadcnt_dscnt 0x1
	v_mul_f32_e32 v141, v1, v10
	v_mul_f32_e32 v10, v2, v10
	s_delay_alu instid0(VALU_DEP_2) | instskip(NEXT) | instid1(VALU_DEP_2)
	v_dual_mul_f32 v142, v3, v12 :: v_dual_fmac_f32 v141, v2, v9
	v_fma_f32 v143, v1, v9, -v10
	v_mul_f32_e32 v1, v4, v12
	s_delay_alu instid0(VALU_DEP_3) | instskip(NEXT) | instid1(VALU_DEP_2)
	v_fmac_f32_e32 v142, v4, v11
	v_fma_f32 v144, v3, v11, -v1
	s_clause 0x1
	scratch_load_b128 v[1:4], off, off offset:128
	scratch_load_b128 v[9:12], off, off offset:144
	s_wait_loadcnt_dscnt 0x100
	v_mul_f32_e32 v145, v5, v2
	v_dual_mul_f32 v2, v6, v2 :: v_dual_mul_f32 v147, v7, v4
	s_delay_alu instid0(VALU_DEP_2) | instskip(NEXT) | instid1(VALU_DEP_2)
	v_fmac_f32_e32 v145, v6, v1
	v_fma_f32 v146, v5, v1, -v2
	v_mul_f32_e32 v1, v8, v4
	s_delay_alu instid0(VALU_DEP_4) | instskip(NEXT) | instid1(VALU_DEP_2)
	v_fmac_f32_e32 v147, v8, v3
	v_fma_f32 v148, v7, v3, -v1
	ds_load_b128 v[1:4], v21 offset:544
	ds_load_b128 v[5:8], v21 offset:560
	s_wait_loadcnt_dscnt 0x1
	v_mul_f32_e32 v149, v1, v10
	v_mul_f32_e32 v151, v3, v12
	s_delay_alu instid0(VALU_DEP_2) | instskip(NEXT) | instid1(VALU_DEP_2)
	v_fmac_f32_e32 v149, v2, v9
	v_dual_mul_f32 v2, v2, v10 :: v_dual_fmac_f32 v151, v4, v11
	s_delay_alu instid0(VALU_DEP_1) | instskip(SKIP_1) | instid1(VALU_DEP_1)
	v_fma_f32 v150, v1, v9, -v2
	v_mul_f32_e32 v1, v4, v12
	v_fma_f32 v152, v3, v11, -v1
	s_clause 0x1
	scratch_load_b128 v[1:4], off, off offset:160
	scratch_load_b128 v[9:12], off, off offset:176
	s_wait_loadcnt_dscnt 0x100
	v_mul_f32_e32 v153, v5, v2
	v_dual_mul_f32 v2, v6, v2 :: v_dual_mul_f32 v155, v7, v4
	s_delay_alu instid0(VALU_DEP_2) | instskip(NEXT) | instid1(VALU_DEP_2)
	v_fmac_f32_e32 v153, v6, v1
	v_fma_f32 v154, v5, v1, -v2
	v_mul_f32_e32 v1, v8, v4
	s_delay_alu instid0(VALU_DEP_4) | instskip(NEXT) | instid1(VALU_DEP_2)
	v_fmac_f32_e32 v155, v8, v3
	v_fma_f32 v156, v7, v3, -v1
	ds_load_b128 v[1:4], v21 offset:576
	ds_load_b128 v[5:8], v21 offset:592
	s_wait_loadcnt_dscnt 0x1
	v_mul_f32_e32 v157, v1, v10
	v_mul_f32_e32 v159, v3, v12
	s_delay_alu instid0(VALU_DEP_2) | instskip(NEXT) | instid1(VALU_DEP_2)
	v_fmac_f32_e32 v157, v2, v9
	v_dual_mul_f32 v2, v2, v10 :: v_dual_fmac_f32 v159, v4, v11
	s_delay_alu instid0(VALU_DEP_1) | instskip(SKIP_1) | instid1(VALU_DEP_1)
	v_fma_f32 v158, v1, v9, -v2
	v_mul_f32_e32 v1, v4, v12
	;; [unrolled: 25-line block ×6, first 2 shown]
	v_fma_f32 v192, v3, v11, -v1
	s_clause 0x1
	scratch_load_b128 v[1:4], off, off offset:320
	scratch_load_b128 v[9:12], off, off offset:336
	s_wait_loadcnt_dscnt 0x100
	v_mul_f32_e32 v193, v5, v2
	v_mul_f32_e32 v2, v6, v2
	s_delay_alu instid0(VALU_DEP_2) | instskip(NEXT) | instid1(VALU_DEP_2)
	v_fmac_f32_e32 v193, v6, v1
	v_fma_f32 v194, v5, v1, -v2
	v_dual_mul_f32 v1, v8, v4 :: v_dual_add_f32 v2, 0, v138
	s_delay_alu instid0(VALU_DEP_1) | instskip(NEXT) | instid1(VALU_DEP_2)
	v_fma_f32 v196, v7, v3, -v1
	v_dual_add_f32 v1, 0, v22 :: v_dual_add_f32 v2, v2, v139
	s_delay_alu instid0(VALU_DEP_1) | instskip(NEXT) | instid1(VALU_DEP_1)
	v_dual_add_f32 v1, v1, v24 :: v_dual_add_f32 v2, v2, v25
	v_dual_add_f32 v1, v1, v128 :: v_dual_add_f32 v2, v2, v26
	s_delay_alu instid0(VALU_DEP_1) | instskip(NEXT) | instid1(VALU_DEP_1)
	v_dual_add_f32 v1, v1, v129 :: v_dual_add_f32 v2, v2, v27
	;; [unrolled: 3-line block ×3, first 2 shown]
	v_add_f32_e32 v1, v1, v13
	s_delay_alu instid0(VALU_DEP_1) | instskip(NEXT) | instid1(VALU_DEP_1)
	v_dual_add_f32 v2, v2, v133 :: v_dual_add_f32 v1, v1, v14
	v_dual_add_f32 v2, v2, v15 :: v_dual_add_f32 v1, v1, v16
	s_delay_alu instid0(VALU_DEP_1) | instskip(NEXT) | instid1(VALU_DEP_1)
	v_dual_add_f32 v2, v2, v18 :: v_dual_mul_f32 v195, v7, v4
	v_dual_add_f32 v1, v1, v17 :: v_dual_add_f32 v2, v2, v19
	s_delay_alu instid0(VALU_DEP_1) | instskip(NEXT) | instid1(VALU_DEP_1)
	v_dual_add_f32 v1, v1, v134 :: v_dual_add_f32 v2, v2, v20
	v_dual_add_f32 v1, v1, v135 :: v_dual_add_f32 v2, v2, v141
	s_delay_alu instid0(VALU_DEP_1) | instskip(NEXT) | instid1(VALU_DEP_1)
	v_dual_add_f32 v1, v1, v143 :: v_dual_add_f32 v2, v2, v142
	;; [unrolled: 3-line block ×6, first 2 shown]
	v_add_f32_e32 v1, v1, v160
	s_delay_alu instid0(VALU_DEP_1) | instskip(NEXT) | instid1(VALU_DEP_1)
	v_add_f32_e32 v1, v1, v162
	v_add_f32_e32 v1, v1, v164
	s_delay_alu instid0(VALU_DEP_1) | instskip(NEXT) | instid1(VALU_DEP_1)
	v_add_f32_e32 v1, v1, v166
	v_add_f32_e32 v6, v1, v168
	;; [unrolled: 1-line block ×3, first 2 shown]
	s_delay_alu instid0(VALU_DEP_2) | instskip(NEXT) | instid1(VALU_DEP_2)
	v_add_f32_e32 v6, v6, v170
	v_add_f32_e32 v2, v2, v163
	s_delay_alu instid0(VALU_DEP_2) | instskip(NEXT) | instid1(VALU_DEP_2)
	v_add_f32_e32 v13, v6, v172
	v_add_f32_e32 v5, v2, v165
	;; [unrolled: 3-line block ×5, first 2 shown]
	s_delay_alu instid0(VALU_DEP_2) | instskip(SKIP_3) | instid1(VALU_DEP_1)
	v_dual_add_f32 v18, v13, v180 :: v_dual_fmac_f32 v195, v8, v3
	ds_load_b128 v[1:4], v21 offset:736
	ds_load_b128 v[5:8], v21 offset:752
	v_add_f32_e32 v18, v18, v182
	v_add_f32_e32 v18, v18, v184
	s_delay_alu instid0(VALU_DEP_1)
	v_add_f32_e32 v24, v18, v186
	s_wait_loadcnt_dscnt 0x1
	v_mul_f32_e32 v128, v3, v12
	v_add_f32_e32 v14, v14, v173
	v_mul_f32_e32 v12, v4, v12
	v_mul_f32_e32 v22, v1, v10
	v_mul_f32_e32 v10, v2, v10
	v_fmac_f32_e32 v128, v4, v11
	v_add_f32_e32 v14, v14, v175
	v_fma_f32 v130, v3, v11, -v12
	v_fmac_f32_e32 v22, v2, v9
	v_fma_f32 v129, v1, v9, -v10
	s_clause 0x1
	scratch_load_b128 v[1:4], off, off offset:352
	scratch_load_b128 v[9:12], off, off offset:368
	v_add_f32_e32 v17, v14, v177
	scratch_load_b128 v[13:16], off, off offset:384
	v_add_f32_e32 v131, v24, v188
	v_add_f32_e32 v17, v17, v179
	s_delay_alu instid0(VALU_DEP_1) | instskip(NEXT) | instid1(VALU_DEP_1)
	v_add_f32_e32 v17, v17, v181
	v_add_f32_e32 v17, v17, v183
	s_delay_alu instid0(VALU_DEP_1)
	v_add_f32_e32 v25, v17, v185
	ds_load_b128 v[17:20], v21 offset:768
	v_add_f32_e32 v132, v25, v187
	ds_load_b128 v[24:27], v21 offset:784
	s_wait_loadcnt_dscnt 0x202
	v_mul_f32_e32 v133, v7, v4
	v_mul_f32_e32 v4, v8, v4
	s_wait_loadcnt_dscnt 0x101
	v_mul_f32_e32 v134, v17, v10
	s_wait_loadcnt_dscnt 0x0
	v_dual_mul_f32 v138, v24, v14 :: v_dual_mul_f32 v135, v19, v12
	v_fmac_f32_e32 v133, v8, v3
	v_fma_f32 v3, v7, v3, -v4
	v_mul_f32_e32 v4, v20, v12
	s_delay_alu instid0(VALU_DEP_4) | instskip(SKIP_2) | instid1(VALU_DEP_3)
	v_dual_fmac_f32 v138, v25, v13 :: v_dual_add_f32 v21, v131, v190
	v_dual_add_f32 v131, v132, v189 :: v_dual_mul_f32 v132, v5, v2
	v_mul_f32_e32 v2, v6, v2
	v_dual_fmac_f32 v134, v18, v9 :: v_dual_add_f32 v21, v21, v192
	s_delay_alu instid0(VALU_DEP_3) | instskip(NEXT) | instid1(VALU_DEP_3)
	v_dual_add_f32 v131, v131, v191 :: v_dual_fmac_f32 v132, v6, v1
	v_fma_f32 v2, v5, v1, -v2
	v_mul_f32_e32 v6, v18, v10
	s_delay_alu instid0(VALU_DEP_4) | instskip(NEXT) | instid1(VALU_DEP_4)
	v_add_f32_e32 v21, v21, v194
	v_add_f32_e32 v131, v131, v193
	v_fmac_f32_e32 v135, v20, v11
	v_fma_f32 v4, v19, v11, -v4
	s_delay_alu instid0(VALU_DEP_4) | instskip(NEXT) | instid1(VALU_DEP_4)
	v_add_f32_e32 v21, v21, v196
	v_add_f32_e32 v131, v131, v195
	s_delay_alu instid0(VALU_DEP_1) | instskip(SKIP_1) | instid1(VALU_DEP_2)
	v_dual_add_f32 v21, v21, v129 :: v_dual_add_f32 v22, v131, v22
	v_mul_f32_e32 v129, v26, v16
	v_add_f32_e32 v1, v21, v130
	s_delay_alu instid0(VALU_DEP_3) | instskip(NEXT) | instid1(VALU_DEP_3)
	v_add_f32_e32 v5, v22, v128
	v_fmac_f32_e32 v129, v27, v15
	s_delay_alu instid0(VALU_DEP_3) | instskip(NEXT) | instid1(VALU_DEP_3)
	v_add_f32_e32 v1, v1, v2
	v_add_f32_e32 v2, v5, v132
	v_fma_f32 v5, v17, v9, -v6
	s_delay_alu instid0(VALU_DEP_2) | instskip(SKIP_1) | instid1(VALU_DEP_2)
	v_dual_add_f32 v1, v1, v3 :: v_dual_add_f32 v2, v2, v133
	v_mul_f32_e32 v3, v25, v14
	v_dual_add_f32 v1, v1, v5 :: v_dual_add_f32 v2, v2, v134
	v_mul_f32_e32 v5, v27, v16
	s_delay_alu instid0(VALU_DEP_3) | instskip(NEXT) | instid1(VALU_DEP_3)
	v_fma_f32 v3, v24, v13, -v3
	v_dual_add_f32 v1, v1, v4 :: v_dual_add_f32 v2, v2, v135
	s_delay_alu instid0(VALU_DEP_3) | instskip(NEXT) | instid1(VALU_DEP_2)
	v_fma_f32 v4, v26, v15, -v5
	v_dual_add_f32 v1, v1, v3 :: v_dual_add_f32 v2, v2, v138
	s_delay_alu instid0(VALU_DEP_1) | instskip(NEXT) | instid1(VALU_DEP_1)
	v_dual_add_f32 v1, v1, v4 :: v_dual_add_f32 v2, v2, v129
	v_dual_sub_f32 v1, v136, v1 :: v_dual_sub_f32 v2, v137, v2
	scratch_store_b64 off, v[1:2], off offset:8
	v_cmpx_ne_u32_e32 0, v0
	s_cbranch_execz .LBB49_313
; %bb.312:
	scratch_load_b64 v[0:1], off, off
	v_mov_b32_e32 v2, 0
	s_delay_alu instid0(VALU_DEP_1)
	v_mov_b32_e32 v3, v2
	scratch_store_b64 off, v[2:3], off
	s_wait_loadcnt 0x0
	ds_store_b64 v23, v[0:1]
.LBB49_313:
	s_wait_alu 0xfffe
	s_or_b32 exec_lo, exec_lo, s0
	s_wait_storecnt_dscnt 0x0
	s_barrier_signal -1
	s_barrier_wait -1
	global_inv scope:SCOPE_SE
	s_clause 0x6
	scratch_load_b128 v[0:3], off, off offset:8
	scratch_load_b128 v[4:7], off, off offset:24
	;; [unrolled: 1-line block ×7, first 2 shown]
	v_mov_b32_e32 v128, 0
	scratch_load_b64 v[137:138], off, off
	s_and_b32 vcc_lo, exec_lo, s18
	ds_load_2addr_b64 v[129:132], v128 offset0:51 offset1:52
	ds_load_2addr_b64 v[133:136], v128 offset0:53 offset1:54
	s_wait_loadcnt_dscnt 0x701
	v_mul_f32_e32 v139, v130, v1
	v_dual_mul_f32 v140, v129, v1 :: v_dual_mul_f32 v141, v131, v3
	v_mul_f32_e32 v1, v132, v3
	s_delay_alu instid0(VALU_DEP_3) | instskip(NEXT) | instid1(VALU_DEP_3)
	v_fma_f32 v129, v129, v0, -v139
	v_dual_fmac_f32 v140, v130, v0 :: v_dual_fmac_f32 v141, v132, v2
	s_wait_loadcnt_dscnt 0x600
	v_mul_f32_e32 v132, v135, v7
	v_fma_f32 v130, v131, v2, -v1
	ds_load_2addr_b64 v[0:3], v128 offset0:55 offset1:56
	v_mul_f32_e32 v131, v133, v5
	v_mul_f32_e32 v5, v134, v5
	;; [unrolled: 1-line block ×3, first 2 shown]
	s_delay_alu instid0(VALU_DEP_3) | instskip(NEXT) | instid1(VALU_DEP_3)
	v_dual_fmac_f32 v132, v136, v6 :: v_dual_fmac_f32 v131, v134, v4
	v_fma_f32 v133, v133, v4, -v5
	s_delay_alu instid0(VALU_DEP_3)
	v_fma_f32 v134, v135, v6, -v7
	ds_load_2addr_b64 v[4:7], v128 offset0:57 offset1:58
	s_wait_loadcnt_dscnt 0x501
	v_dual_mul_f32 v135, v0, v9 :: v_dual_mul_f32 v136, v2, v11
	v_mul_f32_e32 v9, v1, v9
	v_mul_f32_e32 v11, v3, v11
	s_delay_alu instid0(VALU_DEP_3) | instskip(NEXT) | instid1(VALU_DEP_3)
	v_dual_fmac_f32 v135, v1, v8 :: v_dual_fmac_f32 v136, v3, v10
	v_fma_f32 v139, v0, v8, -v9
	s_delay_alu instid0(VALU_DEP_3)
	v_fma_f32 v142, v2, v10, -v11
	ds_load_2addr_b64 v[0:3], v128 offset0:59 offset1:60
	s_wait_loadcnt_dscnt 0x401
	v_mul_f32_e32 v143, v4, v13
	v_dual_mul_f32 v8, v5, v13 :: v_dual_mul_f32 v13, v6, v15
	v_mul_f32_e32 v9, v7, v15
	s_delay_alu instid0(VALU_DEP_3) | instskip(NEXT) | instid1(VALU_DEP_3)
	v_fmac_f32_e32 v143, v5, v12
	v_fma_f32 v12, v4, v12, -v8
	s_delay_alu instid0(VALU_DEP_4) | instskip(NEXT) | instid1(VALU_DEP_4)
	v_fmac_f32_e32 v13, v7, v14
	v_fma_f32 v14, v6, v14, -v9
	ds_load_2addr_b64 v[4:7], v128 offset0:61 offset1:62
	s_wait_loadcnt_dscnt 0x301
	v_mul_f32_e32 v15, v0, v17
	v_dual_mul_f32 v8, v1, v17 :: v_dual_mul_f32 v17, v2, v19
	v_mul_f32_e32 v9, v3, v19
	s_delay_alu instid0(VALU_DEP_3) | instskip(NEXT) | instid1(VALU_DEP_3)
	v_fmac_f32_e32 v15, v1, v16
	v_fma_f32 v16, v0, v16, -v8
	s_delay_alu instid0(VALU_DEP_4) | instskip(NEXT) | instid1(VALU_DEP_4)
	v_fmac_f32_e32 v17, v3, v18
	;; [unrolled: 11-line block ×4, first 2 shown]
	v_fma_f32 v26, v2, v26, -v9
	s_clause 0x1
	scratch_load_b128 v[0:3], off, off offset:120
	scratch_load_b128 v[8:11], off, off offset:136
	s_wait_loadcnt_dscnt 0x100
	v_mul_f32_e32 v27, v4, v1
	v_mul_f32_e32 v1, v5, v1
	;; [unrolled: 1-line block ×3, first 2 shown]
	s_delay_alu instid0(VALU_DEP_3) | instskip(NEXT) | instid1(VALU_DEP_3)
	v_fmac_f32_e32 v27, v5, v0
	v_fma_f32 v144, v4, v0, -v1
	v_mul_f32_e32 v0, v7, v3
	s_delay_alu instid0(VALU_DEP_4) | instskip(NEXT) | instid1(VALU_DEP_2)
	v_fmac_f32_e32 v145, v7, v2
	v_fma_f32 v146, v6, v2, -v0
	ds_load_2addr_b64 v[0:3], v128 offset0:67 offset1:68
	ds_load_2addr_b64 v[4:7], v128 offset0:69 offset1:70
	s_wait_loadcnt_dscnt 0x1
	v_mul_f32_e32 v147, v0, v9
	v_mul_f32_e32 v149, v2, v11
	s_delay_alu instid0(VALU_DEP_2) | instskip(SKIP_1) | instid1(VALU_DEP_1)
	v_fmac_f32_e32 v147, v1, v8
	v_mul_f32_e32 v1, v1, v9
	v_fma_f32 v148, v0, v8, -v1
	v_mul_f32_e32 v0, v3, v11
	v_fmac_f32_e32 v149, v3, v10
	s_delay_alu instid0(VALU_DEP_2)
	v_fma_f32 v150, v2, v10, -v0
	s_clause 0x1
	scratch_load_b128 v[0:3], off, off offset:152
	scratch_load_b128 v[8:11], off, off offset:168
	s_wait_loadcnt_dscnt 0x100
	v_mul_f32_e32 v151, v4, v1
	v_mul_f32_e32 v1, v5, v1
	s_delay_alu instid0(VALU_DEP_2) | instskip(NEXT) | instid1(VALU_DEP_2)
	v_fmac_f32_e32 v151, v5, v0
	v_fma_f32 v152, v4, v0, -v1
	v_mul_f32_e32 v0, v7, v3
	s_delay_alu instid0(VALU_DEP_1) | instskip(SKIP_1) | instid1(VALU_DEP_1)
	v_fma_f32 v154, v6, v2, -v0
	v_mul_f32_e32 v153, v6, v3
	v_fmac_f32_e32 v153, v7, v2
	ds_load_2addr_b64 v[0:3], v128 offset0:71 offset1:72
	ds_load_2addr_b64 v[4:7], v128 offset0:73 offset1:74
	s_wait_loadcnt_dscnt 0x1
	v_mul_f32_e32 v155, v0, v9
	v_mul_f32_e32 v157, v2, v11
	s_delay_alu instid0(VALU_DEP_2) | instskip(SKIP_1) | instid1(VALU_DEP_3)
	v_fmac_f32_e32 v155, v1, v8
	v_mul_f32_e32 v1, v1, v9
	v_fmac_f32_e32 v157, v3, v10
	s_delay_alu instid0(VALU_DEP_2) | instskip(SKIP_1) | instid1(VALU_DEP_1)
	v_fma_f32 v156, v0, v8, -v1
	v_mul_f32_e32 v0, v3, v11
	v_fma_f32 v158, v2, v10, -v0
	s_clause 0x1
	scratch_load_b128 v[0:3], off, off offset:184
	scratch_load_b128 v[8:11], off, off offset:200
	s_wait_loadcnt_dscnt 0x100
	v_mul_f32_e32 v159, v4, v1
	v_mul_f32_e32 v1, v5, v1
	v_mul_f32_e32 v161, v6, v3
	s_delay_alu instid0(VALU_DEP_3) | instskip(NEXT) | instid1(VALU_DEP_3)
	v_fmac_f32_e32 v159, v5, v0
	v_fma_f32 v160, v4, v0, -v1
	v_mul_f32_e32 v0, v7, v3
	s_delay_alu instid0(VALU_DEP_4) | instskip(NEXT) | instid1(VALU_DEP_2)
	v_fmac_f32_e32 v161, v7, v2
	v_fma_f32 v162, v6, v2, -v0
	ds_load_2addr_b64 v[0:3], v128 offset0:75 offset1:76
	ds_load_2addr_b64 v[4:7], v128 offset0:77 offset1:78
	s_wait_loadcnt_dscnt 0x1
	v_mul_f32_e32 v163, v0, v9
	v_mul_f32_e32 v165, v2, v11
	s_delay_alu instid0(VALU_DEP_2) | instskip(SKIP_1) | instid1(VALU_DEP_3)
	v_fmac_f32_e32 v163, v1, v8
	v_mul_f32_e32 v1, v1, v9
	v_fmac_f32_e32 v165, v3, v10
	s_delay_alu instid0(VALU_DEP_2) | instskip(SKIP_1) | instid1(VALU_DEP_1)
	v_fma_f32 v164, v0, v8, -v1
	v_mul_f32_e32 v0, v3, v11
	v_fma_f32 v166, v2, v10, -v0
	s_clause 0x1
	scratch_load_b128 v[0:3], off, off offset:216
	scratch_load_b128 v[8:11], off, off offset:232
	s_wait_loadcnt_dscnt 0x100
	v_mul_f32_e32 v167, v4, v1
	v_mul_f32_e32 v1, v5, v1
	v_mul_f32_e32 v169, v6, v3
	s_delay_alu instid0(VALU_DEP_3) | instskip(NEXT) | instid1(VALU_DEP_3)
	v_fmac_f32_e32 v167, v5, v0
	v_fma_f32 v168, v4, v0, -v1
	v_mul_f32_e32 v0, v7, v3
	s_delay_alu instid0(VALU_DEP_4) | instskip(NEXT) | instid1(VALU_DEP_2)
	v_fmac_f32_e32 v169, v7, v2
	v_fma_f32 v170, v6, v2, -v0
	;; [unrolled: 27-line block ×4, first 2 shown]
	ds_load_2addr_b64 v[0:3], v128 offset0:87 offset1:88
	ds_load_2addr_b64 v[4:7], v128 offset0:89 offset1:90
	s_wait_loadcnt_dscnt 0x1
	v_mul_f32_e32 v187, v0, v9
	v_mul_f32_e32 v189, v2, v11
	s_delay_alu instid0(VALU_DEP_2) | instskip(SKIP_1) | instid1(VALU_DEP_3)
	v_fmac_f32_e32 v187, v1, v8
	v_mul_f32_e32 v1, v1, v9
	v_fmac_f32_e32 v189, v3, v10
	s_delay_alu instid0(VALU_DEP_2) | instskip(SKIP_1) | instid1(VALU_DEP_1)
	v_fma_f32 v188, v0, v8, -v1
	v_mul_f32_e32 v0, v3, v11
	v_fma_f32 v190, v2, v10, -v0
	s_clause 0x1
	scratch_load_b128 v[0:3], off, off offset:312
	scratch_load_b128 v[8:11], off, off offset:328
	s_wait_loadcnt_dscnt 0x100
	v_mul_f32_e32 v191, v4, v1
	v_mul_f32_e32 v1, v5, v1
	;; [unrolled: 1-line block ×3, first 2 shown]
	s_delay_alu instid0(VALU_DEP_3) | instskip(NEXT) | instid1(VALU_DEP_3)
	v_fmac_f32_e32 v191, v5, v0
	v_fma_f32 v192, v4, v0, -v1
	v_dual_mul_f32 v0, v7, v3 :: v_dual_add_f32 v1, 0, v140
	s_delay_alu instid0(VALU_DEP_4) | instskip(NEXT) | instid1(VALU_DEP_2)
	v_fmac_f32_e32 v193, v7, v2
	v_fma_f32 v194, v6, v2, -v0
	v_add_f32_e32 v0, 0, v129
	s_delay_alu instid0(VALU_DEP_1) | instskip(NEXT) | instid1(VALU_DEP_1)
	v_dual_add_f32 v1, v1, v141 :: v_dual_add_f32 v0, v0, v130
	v_dual_add_f32 v1, v1, v131 :: v_dual_add_f32 v0, v0, v133
	s_delay_alu instid0(VALU_DEP_1) | instskip(NEXT) | instid1(VALU_DEP_1)
	v_dual_add_f32 v1, v1, v132 :: v_dual_add_f32 v0, v0, v134
	v_add_f32_e32 v1, v1, v135
	s_delay_alu instid0(VALU_DEP_1) | instskip(NEXT) | instid1(VALU_DEP_1)
	v_dual_add_f32 v0, v0, v139 :: v_dual_add_f32 v1, v1, v136
	v_dual_add_f32 v0, v0, v142 :: v_dual_add_f32 v1, v1, v143
	s_delay_alu instid0(VALU_DEP_1) | instskip(NEXT) | instid1(VALU_DEP_1)
	v_dual_add_f32 v0, v0, v12 :: v_dual_add_f32 v1, v1, v13
	v_dual_add_f32 v0, v0, v14 :: v_dual_add_f32 v1, v1, v15
	;; [unrolled: 3-line block ×4, first 2 shown]
	s_delay_alu instid0(VALU_DEP_1) | instskip(SKIP_2) | instid1(VALU_DEP_1)
	v_dual_add_f32 v0, v0, v24 :: v_dual_add_f32 v1, v1, v25
	scratch_load_b64 v[24:25], off, off offset:392
	v_dual_add_f32 v0, v0, v26 :: v_dual_add_f32 v1, v1, v27
	v_dual_add_f32 v0, v0, v144 :: v_dual_add_f32 v1, v1, v145
	s_delay_alu instid0(VALU_DEP_1) | instskip(NEXT) | instid1(VALU_DEP_1)
	v_dual_add_f32 v0, v0, v146 :: v_dual_add_f32 v1, v1, v147
	v_dual_add_f32 v0, v0, v148 :: v_dual_add_f32 v1, v1, v149
	s_delay_alu instid0(VALU_DEP_1) | instskip(NEXT) | instid1(VALU_DEP_1)
	v_dual_add_f32 v0, v0, v150 :: v_dual_add_f32 v1, v1, v151
	v_add_f32_e32 v0, v0, v152
	s_delay_alu instid0(VALU_DEP_1) | instskip(NEXT) | instid1(VALU_DEP_1)
	v_add_f32_e32 v0, v0, v154
	v_dual_add_f32 v0, v0, v156 :: v_dual_add_f32 v1, v1, v153
	s_delay_alu instid0(VALU_DEP_1) | instskip(NEXT) | instid1(VALU_DEP_1)
	v_dual_add_f32 v0, v0, v158 :: v_dual_add_f32 v1, v1, v155
	v_dual_add_f32 v0, v0, v160 :: v_dual_add_f32 v1, v1, v157
	s_delay_alu instid0(VALU_DEP_1) | instskip(NEXT) | instid1(VALU_DEP_1)
	v_dual_add_f32 v0, v0, v162 :: v_dual_add_f32 v1, v1, v159
	v_add_f32_e32 v5, v0, v164
	s_delay_alu instid0(VALU_DEP_1) | instskip(NEXT) | instid1(VALU_DEP_1)
	v_add_f32_e32 v5, v5, v166
	v_add_f32_e32 v12, v5, v168
	s_delay_alu instid0(VALU_DEP_1) | instskip(NEXT) | instid1(VALU_DEP_1)
	v_add_f32_e32 v12, v12, v170
	v_add_f32_e32 v12, v12, v172
	;; [unrolled: 1-line block ×3, first 2 shown]
	ds_load_2addr_b64 v[0:3], v128 offset0:91 offset1:92
	v_add_f32_e32 v12, v12, v174
	v_add_f32_e32 v4, v4, v163
	s_delay_alu instid0(VALU_DEP_2) | instskip(NEXT) | instid1(VALU_DEP_1)
	v_add_f32_e32 v17, v12, v176
	v_dual_add_f32 v4, v4, v165 :: v_dual_add_f32 v17, v17, v178
	s_delay_alu instid0(VALU_DEP_1)
	v_add_f32_e32 v13, v4, v167
	ds_load_2addr_b64 v[4:7], v128 offset0:93 offset1:94
	v_add_f32_e32 v17, v17, v180
	v_add_f32_e32 v13, v13, v169
	s_wait_loadcnt_dscnt 0x101
	v_mul_f32_e32 v129, v0, v9
	v_dual_mul_f32 v9, v1, v9 :: v_dual_mul_f32 v130, v2, v11
	v_mul_f32_e32 v11, v3, v11
	v_add_f32_e32 v13, v13, v171
	s_delay_alu instid0(VALU_DEP_4) | instskip(NEXT) | instid1(VALU_DEP_4)
	v_fmac_f32_e32 v129, v1, v8
	v_fma_f32 v131, v0, v8, -v9
	v_fmac_f32_e32 v130, v3, v10
	v_fma_f32 v132, v2, v10, -v11
	s_clause 0x1
	scratch_load_b128 v[0:3], off, off offset:344
	scratch_load_b128 v[8:11], off, off offset:360
	v_add_f32_e32 v16, v13, v173
	scratch_load_b128 v[12:15], off, off offset:376
	v_add_f32_e32 v17, v17, v182
	s_delay_alu instid0(VALU_DEP_1) | instskip(NEXT) | instid1(VALU_DEP_1)
	v_add_f32_e32 v17, v17, v184
	v_add_f32_e32 v26, v17, v186
	s_delay_alu instid0(VALU_DEP_1) | instskip(NEXT) | instid1(VALU_DEP_1)
	v_add_f32_e32 v133, v26, v188
	;; [unrolled: 3-line block ×3, first 2 shown]
	v_add_f32_e32 v133, v133, v194
	s_delay_alu instid0(VALU_DEP_1) | instskip(SKIP_4) | instid1(VALU_DEP_3)
	v_add_f32_e32 v131, v133, v131
	s_wait_loadcnt_dscnt 0x200
	v_mul_f32_e32 v135, v4, v1
	v_dual_mul_f32 v1, v5, v1 :: v_dual_mul_f32 v136, v6, v3
	v_mul_f32_e32 v3, v7, v3
	v_fmac_f32_e32 v135, v5, v0
	s_delay_alu instid0(VALU_DEP_3) | instskip(SKIP_3) | instid1(VALU_DEP_3)
	v_fma_f32 v0, v4, v0, -v1
	v_add_f32_e32 v1, v131, v132
	v_fmac_f32_e32 v136, v7, v2
	v_fma_f32 v2, v6, v2, -v3
	v_add_f32_e32 v0, v1, v0
	s_delay_alu instid0(VALU_DEP_1) | instskip(SKIP_1) | instid1(VALU_DEP_1)
	v_add_f32_e32 v0, v0, v2
	v_add_f32_e32 v16, v16, v175
	;; [unrolled: 1-line block ×3, first 2 shown]
	s_delay_alu instid0(VALU_DEP_1) | instskip(NEXT) | instid1(VALU_DEP_1)
	v_add_f32_e32 v16, v16, v179
	v_add_f32_e32 v16, v16, v181
	s_delay_alu instid0(VALU_DEP_1)
	v_add_f32_e32 v20, v16, v183
	ds_load_2addr_b64 v[16:19], v128 offset0:95 offset1:96
	v_add_f32_e32 v27, v20, v185
	ds_load_2addr_b64 v[20:23], v128 offset0:97 offset1:98
	v_add_f32_e32 v134, v27, v187
	ds_load_b64 v[26:27], v128 offset:792
	v_add_f32_e32 v134, v134, v189
	s_wait_loadcnt_dscnt 0x102
	s_delay_alu instid0(VALU_DEP_1) | instskip(SKIP_1) | instid1(VALU_DEP_2)
	v_dual_add_f32 v134, v134, v191 :: v_dual_mul_f32 v139, v16, v9
	v_dual_mul_f32 v5, v17, v9 :: v_dual_mul_f32 v140, v18, v11
	v_dual_mul_f32 v3, v19, v11 :: v_dual_add_f32 v134, v134, v193
	s_delay_alu instid0(VALU_DEP_3)
	v_fmac_f32_e32 v139, v17, v8
	s_wait_loadcnt_dscnt 0x1
	v_mul_f32_e32 v141, v20, v13
	v_mul_f32_e32 v2, v21, v13
	v_dual_fmac_f32 v140, v19, v10 :: v_dual_add_f32 v129, v134, v129
	v_fma_f32 v3, v18, v10, -v3
	v_mul_f32_e32 v133, v22, v15
	v_fmac_f32_e32 v141, v21, v12
	v_fma_f32 v2, v20, v12, -v2
	v_add_f32_e32 v4, v129, v130
	s_wait_dscnt 0x0
	v_dual_mul_f32 v134, v26, v25 :: v_dual_fmac_f32 v133, v23, v14
	s_delay_alu instid0(VALU_DEP_2) | instskip(SKIP_1) | instid1(VALU_DEP_3)
	v_add_f32_e32 v1, v4, v135
	v_fma_f32 v4, v16, v8, -v5
	v_fmac_f32_e32 v134, v27, v24
	s_delay_alu instid0(VALU_DEP_3) | instskip(NEXT) | instid1(VALU_DEP_3)
	v_add_f32_e32 v1, v1, v136
	v_add_f32_e32 v0, v0, v4
	v_mul_f32_e32 v4, v23, v15
	s_delay_alu instid0(VALU_DEP_3) | instskip(NEXT) | instid1(VALU_DEP_3)
	v_add_f32_e32 v1, v1, v139
	v_dual_add_f32 v0, v0, v3 :: v_dual_mul_f32 v3, v27, v25
	s_delay_alu instid0(VALU_DEP_3) | instskip(NEXT) | instid1(VALU_DEP_2)
	v_fma_f32 v4, v22, v14, -v4
	v_dual_add_f32 v1, v1, v140 :: v_dual_add_f32 v0, v0, v2
	s_delay_alu instid0(VALU_DEP_3) | instskip(NEXT) | instid1(VALU_DEP_2)
	v_fma_f32 v2, v26, v24, -v3
	v_dual_add_f32 v1, v1, v141 :: v_dual_add_f32 v0, v0, v4
	s_delay_alu instid0(VALU_DEP_1) | instskip(NEXT) | instid1(VALU_DEP_1)
	v_dual_add_f32 v1, v1, v133 :: v_dual_add_f32 v0, v0, v2
	v_add_f32_e32 v1, v1, v134
	s_delay_alu instid0(VALU_DEP_1)
	v_dual_sub_f32 v0, v137, v0 :: v_dual_sub_f32 v1, v138, v1
	scratch_store_b64 off, v[0:1], off
	s_wait_alu 0xfffe
	s_cbranch_vccz .LBB49_412
; %bb.314:
	global_load_b32 v0, v128, s[2:3] offset:192
	s_wait_loadcnt 0x0
	v_cmp_ne_u32_e32 vcc_lo, 49, v0
	s_cbranch_vccz .LBB49_316
; %bb.315:
	v_lshlrev_b32_e32 v0, 3, v0
	s_delay_alu instid0(VALU_DEP_1)
	v_mov_b32_e32 v4, v0
	scratch_load_b64 v[0:1], v4, off offset:-8
	scratch_load_b64 v[2:3], off, off offset:384
	s_wait_loadcnt 0x1
	scratch_store_b64 off, v[0:1], off offset:384
	s_wait_loadcnt 0x0
	scratch_store_b64 v4, v[2:3], off offset:-8
.LBB49_316:
	v_mov_b32_e32 v0, 0
	global_load_b32 v1, v0, s[2:3] offset:188
	s_wait_loadcnt 0x0
	v_cmp_eq_u32_e32 vcc_lo, 48, v1
	s_cbranch_vccnz .LBB49_318
; %bb.317:
	v_lshlrev_b32_e32 v1, 3, v1
	s_delay_alu instid0(VALU_DEP_1)
	v_mov_b32_e32 v5, v1
	scratch_load_b64 v[1:2], v5, off offset:-8
	scratch_load_b64 v[3:4], off, off offset:376
	s_wait_loadcnt 0x1
	scratch_store_b64 off, v[1:2], off offset:376
	s_wait_loadcnt 0x0
	scratch_store_b64 v5, v[3:4], off offset:-8
.LBB49_318:
	global_load_b32 v0, v0, s[2:3] offset:184
	s_wait_loadcnt 0x0
	v_cmp_eq_u32_e32 vcc_lo, 47, v0
	s_cbranch_vccnz .LBB49_320
; %bb.319:
	v_lshlrev_b32_e32 v0, 3, v0
	s_delay_alu instid0(VALU_DEP_1)
	v_mov_b32_e32 v4, v0
	scratch_load_b64 v[0:1], v4, off offset:-8
	scratch_load_b64 v[2:3], off, off offset:368
	s_wait_loadcnt 0x1
	scratch_store_b64 off, v[0:1], off offset:368
	s_wait_loadcnt 0x0
	scratch_store_b64 v4, v[2:3], off offset:-8
.LBB49_320:
	v_mov_b32_e32 v0, 0
	global_load_b32 v1, v0, s[2:3] offset:180
	s_wait_loadcnt 0x0
	v_cmp_eq_u32_e32 vcc_lo, 46, v1
	s_cbranch_vccnz .LBB49_322
; %bb.321:
	v_lshlrev_b32_e32 v1, 3, v1
	s_delay_alu instid0(VALU_DEP_1)
	v_mov_b32_e32 v5, v1
	scratch_load_b64 v[1:2], v5, off offset:-8
	scratch_load_b64 v[3:4], off, off offset:360
	s_wait_loadcnt 0x1
	scratch_store_b64 off, v[1:2], off offset:360
	s_wait_loadcnt 0x0
	scratch_store_b64 v5, v[3:4], off offset:-8
.LBB49_322:
	global_load_b32 v0, v0, s[2:3] offset:176
	s_wait_loadcnt 0x0
	v_cmp_eq_u32_e32 vcc_lo, 45, v0
	s_cbranch_vccnz .LBB49_324
; %bb.323:
	v_lshlrev_b32_e32 v0, 3, v0
	s_delay_alu instid0(VALU_DEP_1)
	v_mov_b32_e32 v4, v0
	scratch_load_b64 v[0:1], v4, off offset:-8
	scratch_load_b64 v[2:3], off, off offset:352
	s_wait_loadcnt 0x1
	scratch_store_b64 off, v[0:1], off offset:352
	s_wait_loadcnt 0x0
	scratch_store_b64 v4, v[2:3], off offset:-8
.LBB49_324:
	;; [unrolled: 31-line block ×23, first 2 shown]
	v_mov_b32_e32 v0, 0
	global_load_b32 v1, v0, s[2:3] offset:4
	s_wait_loadcnt 0x0
	v_cmp_eq_u32_e32 vcc_lo, 2, v1
	s_cbranch_vccnz .LBB49_410
; %bb.409:
	v_lshlrev_b32_e32 v1, 3, v1
	s_delay_alu instid0(VALU_DEP_1)
	v_mov_b32_e32 v5, v1
	scratch_load_b64 v[1:2], v5, off offset:-8
	scratch_load_b64 v[3:4], off, off offset:8
	s_wait_loadcnt 0x1
	scratch_store_b64 off, v[1:2], off offset:8
	s_wait_loadcnt 0x0
	scratch_store_b64 v5, v[3:4], off offset:-8
.LBB49_410:
	global_load_b32 v0, v0, s[2:3]
	s_wait_loadcnt 0x0
	v_cmp_eq_u32_e32 vcc_lo, 1, v0
	s_cbranch_vccnz .LBB49_412
; %bb.411:
	v_lshlrev_b32_e32 v0, 3, v0
	s_delay_alu instid0(VALU_DEP_1)
	v_mov_b32_e32 v4, v0
	scratch_load_b64 v[0:1], v4, off offset:-8
	scratch_load_b64 v[2:3], off, off
	s_wait_loadcnt 0x1
	scratch_store_b64 off, v[0:1], off
	s_wait_loadcnt 0x0
	scratch_store_b64 v4, v[2:3], off offset:-8
.LBB49_412:
	s_clause 0x18
	scratch_load_b128 v[0:3], off, off
	scratch_load_b128 v[4:7], off, off offset:16
	scratch_load_b128 v[8:11], off, off offset:32
	;; [unrolled: 1-line block ×24, first 2 shown]
	s_wait_loadcnt 0x18
	s_clause 0x1
	global_store_b64 v[28:29], v[0:1], off
	global_store_b64 v[30:31], v[2:3], off
	s_wait_loadcnt 0x17
	s_clause 0x1
	global_store_b64 v[32:33], v[4:5], off
	global_store_b64 v[34:35], v[6:7], off
	;; [unrolled: 4-line block ×25, first 2 shown]
	s_nop 0
	s_sendmsg sendmsg(MSG_DEALLOC_VGPRS)
	s_endpgm
	.section	.rodata,"a",@progbits
	.p2align	6, 0x0
	.amdhsa_kernel _ZN9rocsolver6v33100L18getri_kernel_smallILi50E19rocblas_complex_numIfEPS3_EEvT1_iilPiilS6_bb
		.amdhsa_group_segment_fixed_size 804
		.amdhsa_private_segment_fixed_size 416
		.amdhsa_kernarg_size 60
		.amdhsa_user_sgpr_count 2
		.amdhsa_user_sgpr_dispatch_ptr 0
		.amdhsa_user_sgpr_queue_ptr 0
		.amdhsa_user_sgpr_kernarg_segment_ptr 1
		.amdhsa_user_sgpr_dispatch_id 0
		.amdhsa_user_sgpr_private_segment_size 0
		.amdhsa_wavefront_size32 1
		.amdhsa_uses_dynamic_stack 0
		.amdhsa_enable_private_segment 1
		.amdhsa_system_sgpr_workgroup_id_x 1
		.amdhsa_system_sgpr_workgroup_id_y 0
		.amdhsa_system_sgpr_workgroup_id_z 0
		.amdhsa_system_sgpr_workgroup_info 0
		.amdhsa_system_vgpr_workitem_id 0
		.amdhsa_next_free_vgpr 254
		.amdhsa_next_free_sgpr 19
		.amdhsa_reserve_vcc 1
		.amdhsa_float_round_mode_32 0
		.amdhsa_float_round_mode_16_64 0
		.amdhsa_float_denorm_mode_32 3
		.amdhsa_float_denorm_mode_16_64 3
		.amdhsa_fp16_overflow 0
		.amdhsa_workgroup_processor_mode 1
		.amdhsa_memory_ordered 1
		.amdhsa_forward_progress 1
		.amdhsa_inst_pref_size 255
		.amdhsa_round_robin_scheduling 0
		.amdhsa_exception_fp_ieee_invalid_op 0
		.amdhsa_exception_fp_denorm_src 0
		.amdhsa_exception_fp_ieee_div_zero 0
		.amdhsa_exception_fp_ieee_overflow 0
		.amdhsa_exception_fp_ieee_underflow 0
		.amdhsa_exception_fp_ieee_inexact 0
		.amdhsa_exception_int_div_zero 0
	.end_amdhsa_kernel
	.section	.text._ZN9rocsolver6v33100L18getri_kernel_smallILi50E19rocblas_complex_numIfEPS3_EEvT1_iilPiilS6_bb,"axG",@progbits,_ZN9rocsolver6v33100L18getri_kernel_smallILi50E19rocblas_complex_numIfEPS3_EEvT1_iilPiilS6_bb,comdat
.Lfunc_end49:
	.size	_ZN9rocsolver6v33100L18getri_kernel_smallILi50E19rocblas_complex_numIfEPS3_EEvT1_iilPiilS6_bb, .Lfunc_end49-_ZN9rocsolver6v33100L18getri_kernel_smallILi50E19rocblas_complex_numIfEPS3_EEvT1_iilPiilS6_bb
                                        ; -- End function
	.set _ZN9rocsolver6v33100L18getri_kernel_smallILi50E19rocblas_complex_numIfEPS3_EEvT1_iilPiilS6_bb.num_vgpr, 254
	.set _ZN9rocsolver6v33100L18getri_kernel_smallILi50E19rocblas_complex_numIfEPS3_EEvT1_iilPiilS6_bb.num_agpr, 0
	.set _ZN9rocsolver6v33100L18getri_kernel_smallILi50E19rocblas_complex_numIfEPS3_EEvT1_iilPiilS6_bb.numbered_sgpr, 19
	.set _ZN9rocsolver6v33100L18getri_kernel_smallILi50E19rocblas_complex_numIfEPS3_EEvT1_iilPiilS6_bb.num_named_barrier, 0
	.set _ZN9rocsolver6v33100L18getri_kernel_smallILi50E19rocblas_complex_numIfEPS3_EEvT1_iilPiilS6_bb.private_seg_size, 416
	.set _ZN9rocsolver6v33100L18getri_kernel_smallILi50E19rocblas_complex_numIfEPS3_EEvT1_iilPiilS6_bb.uses_vcc, 1
	.set _ZN9rocsolver6v33100L18getri_kernel_smallILi50E19rocblas_complex_numIfEPS3_EEvT1_iilPiilS6_bb.uses_flat_scratch, 1
	.set _ZN9rocsolver6v33100L18getri_kernel_smallILi50E19rocblas_complex_numIfEPS3_EEvT1_iilPiilS6_bb.has_dyn_sized_stack, 0
	.set _ZN9rocsolver6v33100L18getri_kernel_smallILi50E19rocblas_complex_numIfEPS3_EEvT1_iilPiilS6_bb.has_recursion, 0
	.set _ZN9rocsolver6v33100L18getri_kernel_smallILi50E19rocblas_complex_numIfEPS3_EEvT1_iilPiilS6_bb.has_indirect_call, 0
	.section	.AMDGPU.csdata,"",@progbits
; Kernel info:
; codeLenInByte = 84616
; TotalNumSgprs: 21
; NumVgprs: 254
; ScratchSize: 416
; MemoryBound: 0
; FloatMode: 240
; IeeeMode: 1
; LDSByteSize: 804 bytes/workgroup (compile time only)
; SGPRBlocks: 0
; VGPRBlocks: 31
; NumSGPRsForWavesPerEU: 21
; NumVGPRsForWavesPerEU: 254
; Occupancy: 5
; WaveLimiterHint : 1
; COMPUTE_PGM_RSRC2:SCRATCH_EN: 1
; COMPUTE_PGM_RSRC2:USER_SGPR: 2
; COMPUTE_PGM_RSRC2:TRAP_HANDLER: 0
; COMPUTE_PGM_RSRC2:TGID_X_EN: 1
; COMPUTE_PGM_RSRC2:TGID_Y_EN: 0
; COMPUTE_PGM_RSRC2:TGID_Z_EN: 0
; COMPUTE_PGM_RSRC2:TIDIG_COMP_CNT: 0
	.section	.text._ZN9rocsolver6v33100L18getri_kernel_smallILi51E19rocblas_complex_numIfEPS3_EEvT1_iilPiilS6_bb,"axG",@progbits,_ZN9rocsolver6v33100L18getri_kernel_smallILi51E19rocblas_complex_numIfEPS3_EEvT1_iilPiilS6_bb,comdat
	.globl	_ZN9rocsolver6v33100L18getri_kernel_smallILi51E19rocblas_complex_numIfEPS3_EEvT1_iilPiilS6_bb ; -- Begin function _ZN9rocsolver6v33100L18getri_kernel_smallILi51E19rocblas_complex_numIfEPS3_EEvT1_iilPiilS6_bb
	.p2align	8
	.type	_ZN9rocsolver6v33100L18getri_kernel_smallILi51E19rocblas_complex_numIfEPS3_EEvT1_iilPiilS6_bb,@function
_ZN9rocsolver6v33100L18getri_kernel_smallILi51E19rocblas_complex_numIfEPS3_EEvT1_iilPiilS6_bb: ; @_ZN9rocsolver6v33100L18getri_kernel_smallILi51E19rocblas_complex_numIfEPS3_EEvT1_iilPiilS6_bb
; %bb.0:
	s_mov_b32 s2, exec_lo
	v_cmpx_gt_u32_e32 51, v0
	s_cbranch_execz .LBB50_218
; %bb.1:
	s_clause 0x2
	s_load_b32 s2, s[0:1], 0x38
	s_load_b128 s[12:15], s[0:1], 0x10
	s_load_b128 s[4:7], s[0:1], 0x28
	s_mov_b32 s16, ttmp9
	s_wait_kmcnt 0x0
	s_bitcmp1_b32 s2, 8
	s_cselect_b32 s18, -1, 0
	s_bfe_u32 s2, s2, 0x10008
	s_ashr_i32 s17, ttmp9, 31
	s_cmp_eq_u32 s2, 0
                                        ; implicit-def: $sgpr2_sgpr3
	s_cbranch_scc1 .LBB50_3
; %bb.2:
	s_load_b32 s2, s[0:1], 0x20
	s_mul_u64 s[4:5], s[4:5], s[16:17]
	s_delay_alu instid0(SALU_CYCLE_1) | instskip(NEXT) | instid1(SALU_CYCLE_1)
	s_lshl_b64 s[4:5], s[4:5], 2
	s_add_nc_u64 s[4:5], s[14:15], s[4:5]
	s_wait_kmcnt 0x0
	s_ashr_i32 s3, s2, 31
	s_delay_alu instid0(SALU_CYCLE_1) | instskip(NEXT) | instid1(SALU_CYCLE_1)
	s_lshl_b64 s[2:3], s[2:3], 2
	s_add_nc_u64 s[2:3], s[4:5], s[2:3]
.LBB50_3:
	s_clause 0x1
	s_load_b128 s[8:11], s[0:1], 0x0
	s_load_b32 s4, s[0:1], 0x38
	s_mul_u64 s[0:1], s[12:13], s[16:17]
	v_lshlrev_b32_e32 v13, 3, v0
	s_lshl_b64 s[0:1], s[0:1], 3
	s_wait_kmcnt 0x0
	v_add3_u32 v3, s11, s11, v0
	s_ashr_i32 s13, s10, 31
	s_mov_b32 s12, s10
	s_add_nc_u64 s[0:1], s[8:9], s[0:1]
	s_lshl_b64 s[12:13], s[12:13], 3
	v_add_nc_u32_e32 v5, s11, v3
	v_ashrrev_i32_e32 v4, 31, v3
	s_add_nc_u64 s[0:1], s[0:1], s[12:13]
	s_ashr_i32 s9, s11, 31
	v_add_co_u32 v24, s5, s0, v13
	v_add_nc_u32_e32 v7, s11, v5
	s_mov_b32 s8, s11
	v_lshlrev_b64_e32 v[3:4], 3, v[3:4]
	v_add_co_ci_u32_e64 v25, null, s1, 0, s5
	s_delay_alu instid0(VALU_DEP_3) | instskip(SKIP_3) | instid1(VALU_DEP_1)
	v_add_nc_u32_e32 v9, s11, v7
	s_lshl_b64 s[8:9], s[8:9], 3
	v_ashrrev_i32_e32 v6, 31, v5
	v_add_co_u32 v26, vcc_lo, v24, s8
	v_add_co_ci_u32_e64 v27, null, s9, v25, vcc_lo
	v_add_co_u32 v28, vcc_lo, s0, v3
	v_add_nc_u32_e32 v3, s11, v9
	v_lshlrev_b64_e32 v[5:6], 3, v[5:6]
	v_ashrrev_i32_e32 v8, 31, v7
	v_ashrrev_i32_e32 v10, 31, v9
	s_wait_alu 0xfffd
	v_add_co_ci_u32_e64 v29, null, s1, v4, vcc_lo
	v_add_nc_u32_e32 v11, s11, v3
	v_ashrrev_i32_e32 v4, 31, v3
	v_lshlrev_b64_e32 v[7:8], 3, v[7:8]
	v_add_co_u32 v30, vcc_lo, s0, v5
	s_wait_alu 0xfffd
	v_add_co_ci_u32_e64 v31, null, s1, v6, vcc_lo
	v_lshlrev_b64_e32 v[5:6], 3, v[9:10]
	v_add_nc_u32_e32 v16, s11, v11
	v_lshlrev_b64_e32 v[14:15], 3, v[3:4]
	v_ashrrev_i32_e32 v12, 31, v11
	v_add_co_u32 v32, vcc_lo, s0, v7
	s_delay_alu instid0(VALU_DEP_4)
	v_ashrrev_i32_e32 v17, 31, v16
	v_add_nc_u32_e32 v18, s11, v16
	s_wait_alu 0xfffd
	v_add_co_ci_u32_e64 v33, null, s1, v8, vcc_lo
	v_add_co_u32 v34, vcc_lo, s0, v5
	v_lshlrev_b64_e32 v[11:12], 3, v[11:12]
	s_wait_alu 0xfffd
	v_add_co_ci_u32_e64 v35, null, s1, v6, vcc_lo
	v_add_co_u32 v36, vcc_lo, s0, v14
	s_wait_alu 0xfffd
	v_add_co_ci_u32_e64 v37, null, s1, v15, vcc_lo
	v_lshlrev_b64_e32 v[14:15], 3, v[16:17]
	v_ashrrev_i32_e32 v19, 31, v18
	v_add_nc_u32_e32 v16, s11, v18
	v_add_co_u32 v38, vcc_lo, s0, v11
	s_wait_alu 0xfffd
	v_add_co_ci_u32_e64 v39, null, s1, v12, vcc_lo
	v_lshlrev_b64_e32 v[11:12], 3, v[18:19]
	v_ashrrev_i32_e32 v17, 31, v16
	v_add_nc_u32_e32 v18, s11, v16
	;; [unrolled: 6-line block ×24, first 2 shown]
	v_add_co_u32 v84, vcc_lo, s0, v14
	s_wait_alu 0xfffd
	v_add_co_ci_u32_e64 v85, null, s1, v15, vcc_lo
	v_lshlrev_b64_e32 v[14:15], 3, v[16:17]
	v_add_nc_u32_e32 v16, s11, v18
	v_ashrrev_i32_e32 v19, 31, v18
	v_add_co_u32 v86, vcc_lo, s0, v11
	s_wait_alu 0xfffd
	v_add_co_ci_u32_e64 v87, null, s1, v12, vcc_lo
	v_add_nc_u32_e32 v22, s11, v16
	v_lshlrev_b64_e32 v[11:12], 3, v[18:19]
	v_add_co_u32 v88, vcc_lo, s0, v14
	s_wait_alu 0xfffd
	v_add_co_ci_u32_e64 v89, null, s1, v15, vcc_lo
	v_ashrrev_i32_e32 v23, 31, v22
	s_delay_alu instid0(VALU_DEP_4) | instskip(SKIP_2) | instid1(VALU_DEP_3)
	v_add_co_u32 v90, vcc_lo, s0, v11
	s_wait_alu 0xfffd
	v_add_co_ci_u32_e64 v91, null, s1, v12, vcc_lo
	v_lshlrev_b64_e32 v[11:12], 3, v[22:23]
	v_add_nc_u32_e32 v22, s11, v22
	v_ashrrev_i32_e32 v17, 31, v16
	s_clause 0x4
	global_load_b64 v[1:2], v13, s[0:1]
	global_load_b64 v[3:4], v[26:27], off
	global_load_b64 v[5:6], v[28:29], off
	;; [unrolled: 1-line block ×4, first 2 shown]
	s_bitcmp0_b32 s4, 0
	v_add_nc_u32_e32 v98, s11, v22
	v_ashrrev_i32_e32 v23, 31, v22
	v_lshlrev_b64_e32 v[14:15], 3, v[16:17]
	s_delay_alu instid0(VALU_DEP_3) | instskip(NEXT) | instid1(VALU_DEP_3)
	v_add_nc_u32_e32 v100, s11, v98
	v_lshlrev_b64_e32 v[22:23], 3, v[22:23]
	v_ashrrev_i32_e32 v99, 31, v98
	s_delay_alu instid0(VALU_DEP_4)
	v_add_co_u32 v92, vcc_lo, s0, v14
	s_wait_alu 0xfffd
	v_add_co_ci_u32_e64 v93, null, s1, v15, vcc_lo
	v_add_co_u32 v94, vcc_lo, s0, v11
	v_add_nc_u32_e32 v102, s11, v100
	s_wait_alu 0xfffd
	v_add_co_ci_u32_e64 v95, null, s1, v12, vcc_lo
	v_add_co_u32 v96, vcc_lo, s0, v22
	s_wait_alu 0xfffd
	v_add_co_ci_u32_e64 v97, null, s1, v23, vcc_lo
	v_lshlrev_b64_e32 v[22:23], 3, v[98:99]
	v_ashrrev_i32_e32 v101, 31, v100
	v_add_nc_u32_e32 v104, s11, v102
	v_ashrrev_i32_e32 v103, 31, v102
	s_clause 0x13
	global_load_b64 v[11:12], v[34:35], off
	global_load_b64 v[14:15], v[36:37], off
	;; [unrolled: 1-line block ×20, first 2 shown]
	v_lshlrev_b64_e32 v[100:101], 3, v[100:101]
	v_add_co_u32 v98, vcc_lo, s0, v22
	v_ashrrev_i32_e32 v105, 31, v104
	s_wait_alu 0xfffd
	v_add_co_ci_u32_e64 v99, null, s1, v23, vcc_lo
	v_lshlrev_b64_e32 v[22:23], 3, v[102:103]
	v_add_nc_u32_e32 v107, s11, v104
	v_lshlrev_b64_e32 v[105:106], 3, v[104:105]
	v_add_co_u32 v100, vcc_lo, s0, v100
	s_wait_alu 0xfffd
	v_add_co_ci_u32_e64 v101, null, s1, v101, vcc_lo
	v_add_co_u32 v102, vcc_lo, s0, v22
	v_ashrrev_i32_e32 v108, 31, v107
	v_add_nc_u32_e32 v22, s11, v107
	s_wait_alu 0xfffd
	v_add_co_ci_u32_e64 v103, null, s1, v23, vcc_lo
	v_add_co_u32 v104, vcc_lo, s0, v105
	s_wait_alu 0xfffd
	v_add_co_ci_u32_e64 v105, null, s1, v106, vcc_lo
	v_lshlrev_b64_e32 v[106:107], 3, v[107:108]
	v_add_nc_u32_e32 v108, s11, v22
	v_ashrrev_i32_e32 v23, 31, v22
	s_clause 0xb
	global_load_b64 v[156:157], v[74:75], off
	global_load_b64 v[158:159], v[76:77], off
	global_load_b64 v[160:161], v[78:79], off
	global_load_b64 v[162:163], v[80:81], off
	global_load_b64 v[164:165], v[82:83], off
	global_load_b64 v[166:167], v[84:85], off
	global_load_b64 v[168:169], v[86:87], off
	global_load_b64 v[170:171], v[88:89], off
	global_load_b64 v[172:173], v[90:91], off
	global_load_b64 v[174:175], v[92:93], off
	global_load_b64 v[176:177], v[94:95], off
	global_load_b64 v[178:179], v[96:97], off
	v_add_nc_u32_e32 v110, s11, v108
	v_lshlrev_b64_e32 v[22:23], 3, v[22:23]
	v_ashrrev_i32_e32 v109, 31, v108
	v_add_co_u32 v106, vcc_lo, s0, v106
	s_delay_alu instid0(VALU_DEP_4)
	v_add_nc_u32_e32 v114, s11, v110
	v_ashrrev_i32_e32 v111, 31, v110
	s_wait_alu 0xfffd
	v_add_co_ci_u32_e64 v107, null, s1, v107, vcc_lo
	v_lshlrev_b64_e32 v[112:113], 3, v[108:109]
	v_add_nc_u32_e32 v116, s11, v114
	v_add_co_u32 v108, vcc_lo, s0, v22
	s_wait_alu 0xfffd
	v_add_co_ci_u32_e64 v109, null, s1, v23, vcc_lo
	v_lshlrev_b64_e32 v[22:23], 3, v[110:111]
	v_add_nc_u32_e32 v118, s11, v116
	v_ashrrev_i32_e32 v115, 31, v114
	v_add_co_u32 v110, vcc_lo, s0, v112
	s_wait_alu 0xfffd
	v_add_co_ci_u32_e64 v111, null, s1, v113, vcc_lo
	v_add_co_u32 v112, vcc_lo, s0, v22
	v_add_nc_u32_e32 v120, s11, v118
	s_wait_alu 0xfffd
	v_add_co_ci_u32_e64 v113, null, s1, v23, vcc_lo
	v_lshlrev_b64_e32 v[22:23], 3, v[114:115]
	v_ashrrev_i32_e32 v117, 31, v116
	v_ashrrev_i32_e32 v119, 31, v118
	v_add_nc_u32_e32 v122, s11, v120
	v_ashrrev_i32_e32 v121, 31, v120
	s_clause 0x3
	global_load_b64 v[180:181], v[98:99], off
	global_load_b64 v[182:183], v[100:101], off
	;; [unrolled: 1-line block ×4, first 2 shown]
	v_lshlrev_b64_e32 v[116:117], 3, v[116:117]
	v_add_co_u32 v114, vcc_lo, s0, v22
	s_wait_alu 0xfffd
	v_add_co_ci_u32_e64 v115, null, s1, v23, vcc_lo
	v_lshlrev_b64_e32 v[22:23], 3, v[118:119]
	v_add_nc_u32_e32 v124, s11, v122
	v_ashrrev_i32_e32 v123, 31, v122
	v_add_co_u32 v116, vcc_lo, s0, v116
	s_wait_alu 0xfffd
	v_add_co_ci_u32_e64 v117, null, s1, v117, vcc_lo
	v_ashrrev_i32_e32 v125, 31, v124
	v_lshlrev_b64_e32 v[120:121], 3, v[120:121]
	v_add_co_u32 v118, vcc_lo, s0, v22
	s_wait_alu 0xfffd
	v_add_co_ci_u32_e64 v119, null, s1, v23, vcc_lo
	v_lshlrev_b64_e32 v[22:23], 3, v[122:123]
	v_lshlrev_b64_e32 v[124:125], 3, v[124:125]
	v_add_co_u32 v120, vcc_lo, s0, v120
	s_wait_alu 0xfffd
	v_add_co_ci_u32_e64 v121, null, s1, v121, vcc_lo
	s_delay_alu instid0(VALU_DEP_4)
	v_add_co_u32 v122, vcc_lo, s0, v22
	s_wait_alu 0xfffd
	v_add_co_ci_u32_e64 v123, null, s1, v23, vcc_lo
	v_add_co_u32 v124, vcc_lo, s0, v124
	s_clause 0x3
	global_load_b64 v[188:189], v[106:107], off
	global_load_b64 v[190:191], v[108:109], off
	;; [unrolled: 1-line block ×4, first 2 shown]
	s_wait_alu 0xfffd
	v_add_co_ci_u32_e64 v125, null, s1, v125, vcc_lo
	s_clause 0x5
	global_load_b64 v[196:197], v[114:115], off
	global_load_b64 v[198:199], v[116:117], off
	;; [unrolled: 1-line block ×6, first 2 shown]
	s_mov_b32 s1, -1
	s_wait_loadcnt 0x31
	scratch_store_b128 off, v[1:4], off
	s_wait_loadcnt 0x2f
	scratch_store_b128 off, v[5:8], off offset:16
	s_wait_loadcnt 0x2d
	scratch_store_b128 off, v[9:12], off offset:32
	;; [unrolled: 2-line block ×24, first 2 shown]
	s_wait_loadcnt 0x0
	scratch_store_b64 off, v[22:23], off offset:400
	s_cbranch_scc1 .LBB50_216
; %bb.4:
	v_cmp_eq_u32_e64 s0, 0, v0
	s_and_saveexec_b32 s1, s0
; %bb.5:
	v_mov_b32_e32 v1, 0
	ds_store_b32 v1, v1 offset:408
; %bb.6:
	s_wait_alu 0xfffe
	s_or_b32 exec_lo, exec_lo, s1
	s_wait_storecnt_dscnt 0x0
	s_barrier_signal -1
	s_barrier_wait -1
	global_inv scope:SCOPE_SE
	scratch_load_b64 v[1:2], v13, off
	s_wait_loadcnt 0x0
	v_cmp_eq_f32_e32 vcc_lo, 0, v1
	v_cmp_eq_f32_e64 s1, 0, v2
	s_and_b32 s1, vcc_lo, s1
	s_wait_alu 0xfffe
	s_and_saveexec_b32 s4, s1
	s_cbranch_execz .LBB50_10
; %bb.7:
	v_mov_b32_e32 v1, 0
	s_mov_b32 s5, 0
	ds_load_b32 v2, v1 offset:408
	s_wait_dscnt 0x0
	v_readfirstlane_b32 s1, v2
	v_add_nc_u32_e32 v2, 1, v0
	s_cmp_eq_u32 s1, 0
	s_delay_alu instid0(VALU_DEP_1)
	v_cmp_gt_i32_e32 vcc_lo, s1, v2
	s_cselect_b32 s8, -1, 0
	s_wait_alu 0xfffe
	s_or_b32 s8, s8, vcc_lo
	s_wait_alu 0xfffe
	s_and_b32 exec_lo, exec_lo, s8
	s_cbranch_execz .LBB50_10
; %bb.8:
	v_mov_b32_e32 v3, s1
.LBB50_9:                               ; =>This Inner Loop Header: Depth=1
	ds_cmpstore_rtn_b32 v3, v1, v2, v3 offset:408
	s_wait_dscnt 0x0
	v_cmp_ne_u32_e32 vcc_lo, 0, v3
	v_cmp_le_i32_e64 s1, v3, v2
	s_and_b32 s1, vcc_lo, s1
	s_wait_alu 0xfffe
	s_and_b32 s1, exec_lo, s1
	s_wait_alu 0xfffe
	s_or_b32 s5, s1, s5
	s_wait_alu 0xfffe
	s_and_not1_b32 exec_lo, exec_lo, s5
	s_cbranch_execnz .LBB50_9
.LBB50_10:
	s_wait_alu 0xfffe
	s_or_b32 exec_lo, exec_lo, s4
	v_mov_b32_e32 v1, 0
	s_barrier_signal -1
	s_barrier_wait -1
	global_inv scope:SCOPE_SE
	ds_load_b32 v2, v1 offset:408
	s_and_saveexec_b32 s1, s0
	s_cbranch_execz .LBB50_12
; %bb.11:
	s_lshl_b64 s[4:5], s[16:17], 2
	s_wait_alu 0xfffe
	s_add_nc_u64 s[4:5], s[6:7], s[4:5]
	s_wait_dscnt 0x0
	global_store_b32 v1, v2, s[4:5]
.LBB50_12:
	s_wait_alu 0xfffe
	s_or_b32 exec_lo, exec_lo, s1
	s_wait_dscnt 0x0
	v_cmp_ne_u32_e32 vcc_lo, 0, v2
	s_mov_b32 s1, 0
	s_cbranch_vccnz .LBB50_216
; %bb.13:
	v_mov_b32_e32 v7, v13
                                        ; implicit-def: $vgpr3
                                        ; implicit-def: $vgpr5
	scratch_load_b64 v[1:2], v7, off
	s_wait_loadcnt 0x0
	v_cmp_ngt_f32_e64 s1, |v1|, |v2|
	s_wait_alu 0xfffe
	s_and_saveexec_b32 s4, s1
	s_wait_alu 0xfffe
	s_xor_b32 s1, exec_lo, s4
	s_cbranch_execz .LBB50_15
; %bb.14:
	v_div_scale_f32 v3, null, v2, v2, v1
	v_div_scale_f32 v6, vcc_lo, v1, v2, v1
	s_delay_alu instid0(VALU_DEP_2) | instskip(NEXT) | instid1(TRANS32_DEP_1)
	v_rcp_f32_e32 v4, v3
	v_fma_f32 v5, -v3, v4, 1.0
	s_delay_alu instid0(VALU_DEP_1) | instskip(NEXT) | instid1(VALU_DEP_1)
	v_fmac_f32_e32 v4, v5, v4
	v_mul_f32_e32 v5, v6, v4
	s_delay_alu instid0(VALU_DEP_1) | instskip(NEXT) | instid1(VALU_DEP_1)
	v_fma_f32 v8, -v3, v5, v6
	v_fmac_f32_e32 v5, v8, v4
	s_delay_alu instid0(VALU_DEP_1) | instskip(SKIP_1) | instid1(VALU_DEP_1)
	v_fma_f32 v3, -v3, v5, v6
	s_wait_alu 0xfffd
	v_div_fmas_f32 v3, v3, v4, v5
	s_delay_alu instid0(VALU_DEP_1) | instskip(NEXT) | instid1(VALU_DEP_1)
	v_div_fixup_f32 v3, v3, v2, v1
	v_fmac_f32_e32 v2, v1, v3
	s_delay_alu instid0(VALU_DEP_1) | instskip(NEXT) | instid1(VALU_DEP_1)
	v_div_scale_f32 v1, null, v2, v2, 1.0
	v_rcp_f32_e32 v4, v1
	s_delay_alu instid0(TRANS32_DEP_1) | instskip(NEXT) | instid1(VALU_DEP_1)
	v_fma_f32 v5, -v1, v4, 1.0
	v_fmac_f32_e32 v4, v5, v4
	v_div_scale_f32 v5, vcc_lo, 1.0, v2, 1.0
	s_delay_alu instid0(VALU_DEP_1) | instskip(NEXT) | instid1(VALU_DEP_1)
	v_mul_f32_e32 v6, v5, v4
	v_fma_f32 v8, -v1, v6, v5
	s_delay_alu instid0(VALU_DEP_1) | instskip(NEXT) | instid1(VALU_DEP_1)
	v_fmac_f32_e32 v6, v8, v4
	v_fma_f32 v1, -v1, v6, v5
	s_wait_alu 0xfffd
	s_delay_alu instid0(VALU_DEP_1) | instskip(NEXT) | instid1(VALU_DEP_1)
	v_div_fmas_f32 v1, v1, v4, v6
	v_div_fixup_f32 v1, v1, v2, 1.0
	s_delay_alu instid0(VALU_DEP_1) | instskip(SKIP_1) | instid1(VALU_DEP_2)
	v_mul_f32_e32 v3, v3, v1
	v_xor_b32_e32 v4, 0x80000000, v1
                                        ; implicit-def: $vgpr1_vgpr2
	v_xor_b32_e32 v5, 0x80000000, v3
.LBB50_15:
	s_wait_alu 0xfffe
	s_and_not1_saveexec_b32 s1, s1
	s_cbranch_execz .LBB50_17
; %bb.16:
	v_div_scale_f32 v3, null, v1, v1, v2
	v_div_scale_f32 v6, vcc_lo, v2, v1, v2
	s_delay_alu instid0(VALU_DEP_2) | instskip(NEXT) | instid1(TRANS32_DEP_1)
	v_rcp_f32_e32 v4, v3
	v_fma_f32 v5, -v3, v4, 1.0
	s_delay_alu instid0(VALU_DEP_1) | instskip(NEXT) | instid1(VALU_DEP_1)
	v_fmac_f32_e32 v4, v5, v4
	v_mul_f32_e32 v5, v6, v4
	s_delay_alu instid0(VALU_DEP_1) | instskip(NEXT) | instid1(VALU_DEP_1)
	v_fma_f32 v8, -v3, v5, v6
	v_fmac_f32_e32 v5, v8, v4
	s_delay_alu instid0(VALU_DEP_1) | instskip(SKIP_1) | instid1(VALU_DEP_1)
	v_fma_f32 v3, -v3, v5, v6
	s_wait_alu 0xfffd
	v_div_fmas_f32 v3, v3, v4, v5
	s_delay_alu instid0(VALU_DEP_1) | instskip(NEXT) | instid1(VALU_DEP_1)
	v_div_fixup_f32 v4, v3, v1, v2
	v_fmac_f32_e32 v1, v2, v4
	s_delay_alu instid0(VALU_DEP_1) | instskip(SKIP_1) | instid1(VALU_DEP_2)
	v_div_scale_f32 v2, null, v1, v1, 1.0
	v_div_scale_f32 v6, vcc_lo, 1.0, v1, 1.0
	v_rcp_f32_e32 v3, v2
	s_delay_alu instid0(TRANS32_DEP_1) | instskip(NEXT) | instid1(VALU_DEP_1)
	v_fma_f32 v5, -v2, v3, 1.0
	v_fmac_f32_e32 v3, v5, v3
	s_delay_alu instid0(VALU_DEP_1) | instskip(NEXT) | instid1(VALU_DEP_1)
	v_mul_f32_e32 v5, v6, v3
	v_fma_f32 v8, -v2, v5, v6
	s_delay_alu instid0(VALU_DEP_1) | instskip(NEXT) | instid1(VALU_DEP_1)
	v_fmac_f32_e32 v5, v8, v3
	v_fma_f32 v2, -v2, v5, v6
	s_wait_alu 0xfffd
	s_delay_alu instid0(VALU_DEP_1) | instskip(NEXT) | instid1(VALU_DEP_1)
	v_div_fmas_f32 v2, v2, v3, v5
	v_div_fixup_f32 v3, v2, v1, 1.0
	s_delay_alu instid0(VALU_DEP_1)
	v_xor_b32_e32 v5, 0x80000000, v3
	v_mul_f32_e64 v4, v4, -v3
.LBB50_17:
	s_wait_alu 0xfffe
	s_or_b32 exec_lo, exec_lo, s1
	scratch_store_b64 v7, v[3:4], off
	scratch_load_b64 v[2:3], off, off offset:8
	v_xor_b32_e32 v6, 0x80000000, v4
	v_add_nc_u32_e32 v1, 0x1a0, v13
	s_wait_loadcnt 0x0
	ds_store_2addr_b64 v13, v[5:6], v[2:3] offset1:52
	s_wait_storecnt_dscnt 0x0
	s_barrier_signal -1
	s_barrier_wait -1
	global_inv scope:SCOPE_SE
	s_and_saveexec_b32 s1, s0
	s_cbranch_execz .LBB50_19
; %bb.18:
	scratch_load_b64 v[2:3], v7, off
	ds_load_b64 v[4:5], v1
	v_mov_b32_e32 v6, 0
	ds_load_b64 v[8:9], v6 offset:8
	s_wait_loadcnt_dscnt 0x1
	v_mul_f32_e32 v6, v4, v3
	v_mul_f32_e32 v3, v5, v3
	s_delay_alu instid0(VALU_DEP_2) | instskip(NEXT) | instid1(VALU_DEP_2)
	v_fmac_f32_e32 v6, v5, v2
	v_fma_f32 v2, v4, v2, -v3
	s_delay_alu instid0(VALU_DEP_2) | instskip(SKIP_1) | instid1(VALU_DEP_1)
	v_add_f32_e32 v4, 0, v6
	s_wait_dscnt 0x0
	v_dual_add_f32 v2, 0, v2 :: v_dual_mul_f32 v5, v4, v9
	s_delay_alu instid0(VALU_DEP_1) | instskip(NEXT) | instid1(VALU_DEP_1)
	v_mul_f32_e32 v3, v2, v9
	v_fmac_f32_e32 v3, v4, v8
	s_delay_alu instid0(VALU_DEP_3)
	v_fma_f32 v2, v2, v8, -v5
	scratch_store_b64 off, v[2:3], off offset:8
.LBB50_19:
	s_wait_alu 0xfffe
	s_or_b32 exec_lo, exec_lo, s1
	s_wait_loadcnt 0x0
	s_wait_storecnt 0x0
	s_barrier_signal -1
	s_barrier_wait -1
	global_inv scope:SCOPE_SE
	scratch_load_b64 v[2:3], off, off offset:16
	s_mov_b32 s1, exec_lo
	s_wait_loadcnt 0x0
	ds_store_b64 v1, v[2:3]
	s_wait_dscnt 0x0
	s_barrier_signal -1
	s_barrier_wait -1
	global_inv scope:SCOPE_SE
	v_cmpx_gt_u32_e32 2, v0
	s_cbranch_execz .LBB50_23
; %bb.20:
	scratch_load_b64 v[2:3], v7, off
	ds_load_b64 v[4:5], v1
	s_wait_loadcnt_dscnt 0x0
	v_mul_f32_e32 v6, v5, v3
	v_mul_f32_e32 v8, v4, v3
	s_delay_alu instid0(VALU_DEP_2) | instskip(NEXT) | instid1(VALU_DEP_1)
	v_fma_f32 v3, v4, v2, -v6
	v_dual_fmac_f32 v8, v5, v2 :: v_dual_add_f32 v3, 0, v3
	s_delay_alu instid0(VALU_DEP_1)
	v_add_f32_e32 v2, 0, v8
	s_and_saveexec_b32 s4, s0
	s_cbranch_execz .LBB50_22
; %bb.21:
	scratch_load_b64 v[4:5], off, off offset:8
	v_mov_b32_e32 v6, 0
	ds_load_b64 v[8:9], v6 offset:424
	s_wait_loadcnt_dscnt 0x0
	v_mul_f32_e32 v6, v8, v5
	v_mul_f32_e32 v5, v9, v5
	s_delay_alu instid0(VALU_DEP_2) | instskip(NEXT) | instid1(VALU_DEP_2)
	v_fmac_f32_e32 v6, v9, v4
	v_fma_f32 v4, v8, v4, -v5
	s_delay_alu instid0(VALU_DEP_1)
	v_dual_add_f32 v2, v2, v6 :: v_dual_add_f32 v3, v3, v4
.LBB50_22:
	s_wait_alu 0xfffe
	s_or_b32 exec_lo, exec_lo, s4
	v_mov_b32_e32 v4, 0
	ds_load_b64 v[4:5], v4 offset:16
	s_wait_dscnt 0x0
	v_mul_f32_e32 v8, v2, v5
	v_mul_f32_e32 v6, v3, v5
	s_delay_alu instid0(VALU_DEP_2) | instskip(NEXT) | instid1(VALU_DEP_2)
	v_fma_f32 v5, v3, v4, -v8
	v_fmac_f32_e32 v6, v2, v4
	scratch_store_b64 off, v[5:6], off offset:16
.LBB50_23:
	s_wait_alu 0xfffe
	s_or_b32 exec_lo, exec_lo, s1
	s_wait_loadcnt 0x0
	s_wait_storecnt 0x0
	s_barrier_signal -1
	s_barrier_wait -1
	global_inv scope:SCOPE_SE
	scratch_load_b64 v[3:4], off, off offset:24
	v_add_nc_u32_e32 v2, -1, v0
	s_mov_b32 s0, exec_lo
	s_wait_loadcnt 0x0
	ds_store_b64 v1, v[3:4]
	s_wait_dscnt 0x0
	s_barrier_signal -1
	s_barrier_wait -1
	global_inv scope:SCOPE_SE
	v_cmpx_gt_u32_e32 3, v0
	s_cbranch_execz .LBB50_27
; %bb.24:
	v_dual_mov_b32 v3, 0 :: v_dual_add_nc_u32 v4, -1, v0
	v_dual_mov_b32 v6, v13 :: v_dual_add_nc_u32 v5, 0x1a0, v13
	v_mov_b32_e32 v8, 0
	s_mov_b32 s1, 0
.LBB50_25:                              ; =>This Inner Loop Header: Depth=1
	scratch_load_b64 v[9:10], v6, off
	ds_load_b64 v[11:12], v5
	v_add_nc_u32_e32 v6, 8, v6
	s_wait_loadcnt_dscnt 0x0
	v_dual_mul_f32 v14, v12, v10 :: v_dual_add_nc_u32 v5, 8, v5
	v_mul_f32_e32 v10, v11, v10
	s_delay_alu instid0(VALU_DEP_2) | instskip(NEXT) | instid1(VALU_DEP_2)
	v_fma_f32 v11, v11, v9, -v14
	v_fmac_f32_e32 v10, v12, v9
	v_add_nc_u32_e32 v4, 1, v4
	s_delay_alu instid0(VALU_DEP_2) | instskip(NEXT) | instid1(VALU_DEP_2)
	v_dual_add_f32 v8, v8, v11 :: v_dual_add_f32 v3, v3, v10
	v_cmp_lt_u32_e32 vcc_lo, 1, v4
	s_wait_alu 0xfffe
	s_or_b32 s1, vcc_lo, s1
	s_wait_alu 0xfffe
	s_and_not1_b32 exec_lo, exec_lo, s1
	s_cbranch_execnz .LBB50_25
; %bb.26:
	s_or_b32 exec_lo, exec_lo, s1
	v_mov_b32_e32 v4, 0
	ds_load_b64 v[4:5], v4 offset:24
	s_wait_dscnt 0x0
	v_mul_f32_e32 v9, v3, v5
	v_mul_f32_e32 v6, v8, v5
	s_delay_alu instid0(VALU_DEP_2) | instskip(NEXT) | instid1(VALU_DEP_2)
	v_fma_f32 v5, v8, v4, -v9
	v_fmac_f32_e32 v6, v3, v4
	scratch_store_b64 off, v[5:6], off offset:24
.LBB50_27:
	s_wait_alu 0xfffe
	s_or_b32 exec_lo, exec_lo, s0
	s_wait_loadcnt 0x0
	s_wait_storecnt 0x0
	s_barrier_signal -1
	s_barrier_wait -1
	global_inv scope:SCOPE_SE
	scratch_load_b64 v[3:4], off, off offset:32
	s_mov_b32 s0, exec_lo
	s_wait_loadcnt 0x0
	ds_store_b64 v1, v[3:4]
	s_wait_dscnt 0x0
	s_barrier_signal -1
	s_barrier_wait -1
	global_inv scope:SCOPE_SE
	v_cmpx_gt_u32_e32 4, v0
	s_cbranch_execz .LBB50_31
; %bb.28:
	v_dual_mov_b32 v3, 0 :: v_dual_add_nc_u32 v4, -1, v0
	v_dual_mov_b32 v6, v13 :: v_dual_add_nc_u32 v5, 0x1a0, v13
	v_mov_b32_e32 v8, 0
	s_mov_b32 s1, 0
.LBB50_29:                              ; =>This Inner Loop Header: Depth=1
	scratch_load_b64 v[9:10], v6, off
	ds_load_b64 v[11:12], v5
	v_add_nc_u32_e32 v6, 8, v6
	s_wait_loadcnt_dscnt 0x0
	v_dual_mul_f32 v14, v12, v10 :: v_dual_add_nc_u32 v5, 8, v5
	v_mul_f32_e32 v10, v11, v10
	s_delay_alu instid0(VALU_DEP_2) | instskip(NEXT) | instid1(VALU_DEP_2)
	v_fma_f32 v11, v11, v9, -v14
	v_fmac_f32_e32 v10, v12, v9
	v_add_nc_u32_e32 v4, 1, v4
	s_delay_alu instid0(VALU_DEP_2) | instskip(NEXT) | instid1(VALU_DEP_2)
	v_dual_add_f32 v8, v8, v11 :: v_dual_add_f32 v3, v3, v10
	v_cmp_lt_u32_e32 vcc_lo, 2, v4
	s_wait_alu 0xfffe
	s_or_b32 s1, vcc_lo, s1
	s_wait_alu 0xfffe
	s_and_not1_b32 exec_lo, exec_lo, s1
	s_cbranch_execnz .LBB50_29
; %bb.30:
	s_or_b32 exec_lo, exec_lo, s1
	v_mov_b32_e32 v4, 0
	ds_load_b64 v[4:5], v4 offset:32
	s_wait_dscnt 0x0
	v_mul_f32_e32 v9, v3, v5
	v_mul_f32_e32 v6, v8, v5
	s_delay_alu instid0(VALU_DEP_2) | instskip(NEXT) | instid1(VALU_DEP_2)
	v_fma_f32 v5, v8, v4, -v9
	v_fmac_f32_e32 v6, v3, v4
	scratch_store_b64 off, v[5:6], off offset:32
.LBB50_31:
	s_wait_alu 0xfffe
	s_or_b32 exec_lo, exec_lo, s0
	s_wait_loadcnt 0x0
	s_wait_storecnt 0x0
	s_barrier_signal -1
	s_barrier_wait -1
	global_inv scope:SCOPE_SE
	scratch_load_b64 v[3:4], off, off offset:40
	;; [unrolled: 53-line block ×19, first 2 shown]
	s_mov_b32 s0, exec_lo
	s_wait_loadcnt 0x0
	ds_store_b64 v1, v[3:4]
	s_wait_dscnt 0x0
	s_barrier_signal -1
	s_barrier_wait -1
	global_inv scope:SCOPE_SE
	v_cmpx_gt_u32_e32 22, v0
	s_cbranch_execz .LBB50_103
; %bb.100:
	v_dual_mov_b32 v3, 0 :: v_dual_add_nc_u32 v4, -1, v0
	v_dual_mov_b32 v6, v13 :: v_dual_add_nc_u32 v5, 0x1a0, v13
	v_mov_b32_e32 v8, 0
	s_mov_b32 s1, 0
.LBB50_101:                             ; =>This Inner Loop Header: Depth=1
	scratch_load_b64 v[9:10], v6, off
	ds_load_b64 v[11:12], v5
	v_add_nc_u32_e32 v6, 8, v6
	s_wait_loadcnt_dscnt 0x0
	v_dual_mul_f32 v14, v12, v10 :: v_dual_add_nc_u32 v5, 8, v5
	v_mul_f32_e32 v10, v11, v10
	s_delay_alu instid0(VALU_DEP_2) | instskip(NEXT) | instid1(VALU_DEP_2)
	v_fma_f32 v11, v11, v9, -v14
	v_fmac_f32_e32 v10, v12, v9
	v_add_nc_u32_e32 v4, 1, v4
	s_delay_alu instid0(VALU_DEP_2) | instskip(NEXT) | instid1(VALU_DEP_2)
	v_dual_add_f32 v8, v8, v11 :: v_dual_add_f32 v3, v3, v10
	v_cmp_lt_u32_e32 vcc_lo, 20, v4
	s_wait_alu 0xfffe
	s_or_b32 s1, vcc_lo, s1
	s_wait_alu 0xfffe
	s_and_not1_b32 exec_lo, exec_lo, s1
	s_cbranch_execnz .LBB50_101
; %bb.102:
	s_or_b32 exec_lo, exec_lo, s1
	v_mov_b32_e32 v4, 0
	ds_load_b64 v[4:5], v4 offset:176
	s_wait_dscnt 0x0
	v_mul_f32_e32 v9, v3, v5
	v_mul_f32_e32 v6, v8, v5
	s_delay_alu instid0(VALU_DEP_2) | instskip(NEXT) | instid1(VALU_DEP_2)
	v_fma_f32 v5, v8, v4, -v9
	v_fmac_f32_e32 v6, v3, v4
	scratch_store_b64 off, v[5:6], off offset:176
.LBB50_103:
	s_wait_alu 0xfffe
	s_or_b32 exec_lo, exec_lo, s0
	s_wait_loadcnt 0x0
	s_wait_storecnt 0x0
	s_barrier_signal -1
	s_barrier_wait -1
	global_inv scope:SCOPE_SE
	scratch_load_b64 v[3:4], off, off offset:184
	s_mov_b32 s0, exec_lo
	s_wait_loadcnt 0x0
	ds_store_b64 v1, v[3:4]
	s_wait_dscnt 0x0
	s_barrier_signal -1
	s_barrier_wait -1
	global_inv scope:SCOPE_SE
	v_cmpx_gt_u32_e32 23, v0
	s_cbranch_execz .LBB50_107
; %bb.104:
	v_dual_mov_b32 v3, 0 :: v_dual_add_nc_u32 v4, -1, v0
	v_dual_mov_b32 v6, v13 :: v_dual_add_nc_u32 v5, 0x1a0, v13
	v_mov_b32_e32 v8, 0
	s_mov_b32 s1, 0
.LBB50_105:                             ; =>This Inner Loop Header: Depth=1
	scratch_load_b64 v[9:10], v6, off
	ds_load_b64 v[11:12], v5
	v_add_nc_u32_e32 v6, 8, v6
	s_wait_loadcnt_dscnt 0x0
	v_dual_mul_f32 v14, v12, v10 :: v_dual_add_nc_u32 v5, 8, v5
	v_mul_f32_e32 v10, v11, v10
	s_delay_alu instid0(VALU_DEP_2) | instskip(NEXT) | instid1(VALU_DEP_2)
	v_fma_f32 v11, v11, v9, -v14
	v_fmac_f32_e32 v10, v12, v9
	v_add_nc_u32_e32 v4, 1, v4
	s_delay_alu instid0(VALU_DEP_2) | instskip(NEXT) | instid1(VALU_DEP_2)
	v_dual_add_f32 v8, v8, v11 :: v_dual_add_f32 v3, v3, v10
	v_cmp_lt_u32_e32 vcc_lo, 21, v4
	s_wait_alu 0xfffe
	s_or_b32 s1, vcc_lo, s1
	s_wait_alu 0xfffe
	s_and_not1_b32 exec_lo, exec_lo, s1
	s_cbranch_execnz .LBB50_105
; %bb.106:
	s_or_b32 exec_lo, exec_lo, s1
	v_mov_b32_e32 v4, 0
	ds_load_b64 v[4:5], v4 offset:184
	s_wait_dscnt 0x0
	v_mul_f32_e32 v9, v3, v5
	v_mul_f32_e32 v6, v8, v5
	s_delay_alu instid0(VALU_DEP_2) | instskip(NEXT) | instid1(VALU_DEP_2)
	v_fma_f32 v5, v8, v4, -v9
	v_fmac_f32_e32 v6, v3, v4
	scratch_store_b64 off, v[5:6], off offset:184
.LBB50_107:
	s_wait_alu 0xfffe
	s_or_b32 exec_lo, exec_lo, s0
	s_wait_loadcnt 0x0
	s_wait_storecnt 0x0
	s_barrier_signal -1
	s_barrier_wait -1
	global_inv scope:SCOPE_SE
	scratch_load_b64 v[3:4], off, off offset:192
	;; [unrolled: 53-line block ×27, first 2 shown]
	s_mov_b32 s0, exec_lo
	s_wait_loadcnt 0x0
	ds_store_b64 v1, v[3:4]
	s_wait_dscnt 0x0
	s_barrier_signal -1
	s_barrier_wait -1
	global_inv scope:SCOPE_SE
	v_cmpx_gt_u32_e32 49, v0
	s_cbranch_execz .LBB50_211
; %bb.208:
	v_dual_mov_b32 v3, 0 :: v_dual_add_nc_u32 v4, -1, v0
	v_dual_mov_b32 v6, v13 :: v_dual_add_nc_u32 v5, 0x1a0, v13
	v_mov_b32_e32 v8, 0
	s_mov_b32 s1, 0
.LBB50_209:                             ; =>This Inner Loop Header: Depth=1
	scratch_load_b64 v[9:10], v6, off
	ds_load_b64 v[11:12], v5
	v_add_nc_u32_e32 v6, 8, v6
	v_add_nc_u32_e32 v4, 1, v4
	;; [unrolled: 1-line block ×3, first 2 shown]
	s_delay_alu instid0(VALU_DEP_2)
	v_cmp_lt_u32_e32 vcc_lo, 47, v4
	s_wait_alu 0xfffe
	s_or_b32 s1, vcc_lo, s1
	s_wait_loadcnt_dscnt 0x0
	v_mul_f32_e32 v13, v12, v10
	v_mul_f32_e32 v10, v11, v10
	s_delay_alu instid0(VALU_DEP_2) | instskip(NEXT) | instid1(VALU_DEP_2)
	v_fma_f32 v11, v11, v9, -v13
	v_fmac_f32_e32 v10, v12, v9
	s_delay_alu instid0(VALU_DEP_1)
	v_dual_add_f32 v8, v8, v11 :: v_dual_add_f32 v3, v3, v10
	s_wait_alu 0xfffe
	s_and_not1_b32 exec_lo, exec_lo, s1
	s_cbranch_execnz .LBB50_209
; %bb.210:
	s_or_b32 exec_lo, exec_lo, s1
	v_mov_b32_e32 v4, 0
	ds_load_b64 v[4:5], v4 offset:392
	s_wait_dscnt 0x0
	v_mul_f32_e32 v9, v3, v5
	v_mul_f32_e32 v6, v8, v5
	s_delay_alu instid0(VALU_DEP_2) | instskip(NEXT) | instid1(VALU_DEP_2)
	v_fma_f32 v5, v8, v4, -v9
	v_fmac_f32_e32 v6, v3, v4
	scratch_store_b64 off, v[5:6], off offset:392
.LBB50_211:
	s_wait_alu 0xfffe
	s_or_b32 exec_lo, exec_lo, s0
	s_wait_loadcnt 0x0
	s_wait_storecnt 0x0
	s_barrier_signal -1
	s_barrier_wait -1
	global_inv scope:SCOPE_SE
	scratch_load_b64 v[3:4], off, off offset:400
	s_mov_b32 s0, exec_lo
	s_wait_loadcnt 0x0
	ds_store_b64 v1, v[3:4]
	s_wait_dscnt 0x0
	s_barrier_signal -1
	s_barrier_wait -1
	global_inv scope:SCOPE_SE
	v_cmpx_ne_u32_e32 50, v0
	s_cbranch_execz .LBB50_215
; %bb.212:
	v_dual_mov_b32 v3, 0 :: v_dual_mov_b32 v4, 0
	s_mov_b32 s1, 0
.LBB50_213:                             ; =>This Inner Loop Header: Depth=1
	scratch_load_b64 v[5:6], v7, off
	ds_load_b64 v[8:9], v1
	v_add_nc_u32_e32 v2, 1, v2
	v_add_nc_u32_e32 v1, 8, v1
	;; [unrolled: 1-line block ×3, first 2 shown]
	s_delay_alu instid0(VALU_DEP_3)
	v_cmp_lt_u32_e32 vcc_lo, 48, v2
	s_wait_alu 0xfffe
	s_or_b32 s1, vcc_lo, s1
	s_wait_loadcnt_dscnt 0x0
	v_mul_f32_e32 v10, v9, v6
	v_mul_f32_e32 v6, v8, v6
	s_delay_alu instid0(VALU_DEP_2) | instskip(NEXT) | instid1(VALU_DEP_2)
	v_fma_f32 v8, v8, v5, -v10
	v_fmac_f32_e32 v6, v9, v5
	s_delay_alu instid0(VALU_DEP_1)
	v_dual_add_f32 v4, v4, v8 :: v_dual_add_f32 v3, v3, v6
	s_wait_alu 0xfffe
	s_and_not1_b32 exec_lo, exec_lo, s1
	s_cbranch_execnz .LBB50_213
; %bb.214:
	s_or_b32 exec_lo, exec_lo, s1
	v_mov_b32_e32 v1, 0
	ds_load_b64 v[1:2], v1 offset:400
	s_wait_dscnt 0x0
	v_mul_f32_e32 v6, v3, v2
	v_mul_f32_e32 v5, v4, v2
	s_delay_alu instid0(VALU_DEP_2) | instskip(NEXT) | instid1(VALU_DEP_2)
	v_fma_f32 v4, v4, v1, -v6
	v_fmac_f32_e32 v5, v3, v1
	scratch_store_b64 off, v[4:5], off offset:400
.LBB50_215:
	s_wait_alu 0xfffe
	s_or_b32 exec_lo, exec_lo, s0
	s_mov_b32 s1, -1
	s_wait_loadcnt 0x0
	s_wait_storecnt 0x0
	s_barrier_signal -1
	s_barrier_wait -1
	global_inv scope:SCOPE_SE
.LBB50_216:
	s_wait_alu 0xfffe
	s_and_b32 vcc_lo, exec_lo, s1
	s_wait_alu 0xfffe
	s_cbranch_vccz .LBB50_218
; %bb.217:
	v_mov_b32_e32 v1, 0
	s_lshl_b64 s[0:1], s[16:17], 2
	s_wait_alu 0xfffe
	s_add_nc_u64 s[0:1], s[6:7], s[0:1]
	global_load_b32 v1, v1, s[0:1]
	s_wait_loadcnt 0x0
	v_cmp_ne_u32_e32 vcc_lo, 0, v1
	s_cbranch_vccz .LBB50_219
.LBB50_218:
	s_nop 0
	s_sendmsg sendmsg(MSG_DEALLOC_VGPRS)
	s_endpgm
.LBB50_219:
	v_lshl_add_u32 v23, v0, 3, 0x1a0
	s_mov_b32 s0, exec_lo
	v_cmpx_eq_u32_e32 50, v0
	s_cbranch_execz .LBB50_221
; %bb.220:
	scratch_load_b64 v[1:2], off, off offset:392
	v_mov_b32_e32 v3, 0
	s_delay_alu instid0(VALU_DEP_1)
	v_mov_b32_e32 v4, v3
	scratch_store_b64 off, v[3:4], off offset:392
	s_wait_loadcnt 0x0
	ds_store_b64 v23, v[1:2]
.LBB50_221:
	s_wait_alu 0xfffe
	s_or_b32 exec_lo, exec_lo, s0
	s_wait_storecnt_dscnt 0x0
	s_barrier_signal -1
	s_barrier_wait -1
	global_inv scope:SCOPE_SE
	s_clause 0x1
	scratch_load_b64 v[2:3], off, off offset:400
	scratch_load_b64 v[4:5], off, off offset:392
	v_mov_b32_e32 v1, 0
	s_mov_b32 s0, exec_lo
	ds_load_b64 v[6:7], v1 offset:816
	s_wait_loadcnt_dscnt 0x100
	v_mul_f32_e32 v8, v7, v3
	v_mul_f32_e32 v3, v6, v3
	s_delay_alu instid0(VALU_DEP_2) | instskip(NEXT) | instid1(VALU_DEP_2)
	v_fma_f32 v6, v6, v2, -v8
	v_fmac_f32_e32 v3, v7, v2
	s_delay_alu instid0(VALU_DEP_1) | instskip(SKIP_1) | instid1(VALU_DEP_1)
	v_dual_add_f32 v2, 0, v6 :: v_dual_add_f32 v3, 0, v3
	s_wait_loadcnt 0x0
	v_dual_sub_f32 v2, v4, v2 :: v_dual_sub_f32 v3, v5, v3
	scratch_store_b64 off, v[2:3], off offset:392
	v_cmpx_lt_u32_e32 48, v0
	s_cbranch_execz .LBB50_223
; %bb.222:
	scratch_load_b64 v[3:4], off, off offset:384
	v_mov_b32_e32 v2, v1
	scratch_store_b64 off, v[1:2], off offset:384
	s_wait_loadcnt 0x0
	ds_store_b64 v23, v[3:4]
.LBB50_223:
	s_wait_alu 0xfffe
	s_or_b32 exec_lo, exec_lo, s0
	s_wait_storecnt_dscnt 0x0
	s_barrier_signal -1
	s_barrier_wait -1
	global_inv scope:SCOPE_SE
	s_clause 0x1
	scratch_load_b128 v[2:5], off, off offset:392
	scratch_load_b64 v[10:11], off, off offset:384
	ds_load_2addr_b64 v[6:9], v1 offset0:101 offset1:102
	s_mov_b32 s0, exec_lo
	s_wait_loadcnt_dscnt 0x100
	v_dual_mul_f32 v1, v7, v3 :: v_dual_mul_f32 v12, v8, v5
	v_mul_f32_e32 v3, v6, v3
	s_delay_alu instid0(VALU_DEP_2) | instskip(NEXT) | instid1(VALU_DEP_2)
	v_fma_f32 v1, v6, v2, -v1
	v_dual_fmac_f32 v12, v9, v4 :: v_dual_fmac_f32 v3, v7, v2
	s_delay_alu instid0(VALU_DEP_2) | instskip(NEXT) | instid1(VALU_DEP_2)
	v_add_f32_e32 v1, 0, v1
	v_add_f32_e32 v3, 0, v3
	v_mul_f32_e32 v5, v9, v5
	s_delay_alu instid0(VALU_DEP_1) | instskip(NEXT) | instid1(VALU_DEP_1)
	v_fma_f32 v2, v8, v4, -v5
	v_dual_add_f32 v1, v1, v2 :: v_dual_add_f32 v2, v3, v12
	s_wait_loadcnt 0x0
	s_delay_alu instid0(VALU_DEP_1)
	v_dual_sub_f32 v1, v10, v1 :: v_dual_sub_f32 v2, v11, v2
	scratch_store_b64 off, v[1:2], off offset:384
	v_cmpx_lt_u32_e32 47, v0
	s_cbranch_execz .LBB50_225
; %bb.224:
	scratch_load_b64 v[1:2], off, off offset:376
	v_mov_b32_e32 v3, 0
	s_delay_alu instid0(VALU_DEP_1)
	v_mov_b32_e32 v4, v3
	scratch_store_b64 off, v[3:4], off offset:376
	s_wait_loadcnt 0x0
	ds_store_b64 v23, v[1:2]
.LBB50_225:
	s_wait_alu 0xfffe
	s_or_b32 exec_lo, exec_lo, s0
	s_wait_storecnt_dscnt 0x0
	s_barrier_signal -1
	s_barrier_wait -1
	global_inv scope:SCOPE_SE
	s_clause 0x2
	scratch_load_b128 v[2:5], off, off offset:384
	scratch_load_b64 v[10:11], off, off offset:400
	scratch_load_b64 v[12:13], off, off offset:376
	v_mov_b32_e32 v1, 0
	ds_load_b128 v[6:9], v1 offset:800
	ds_load_b64 v[14:15], v1 offset:816
	s_mov_b32 s0, exec_lo
	s_wait_loadcnt_dscnt 0x201
	v_dual_mul_f32 v16, v7, v3 :: v_dual_mul_f32 v17, v8, v5
	s_wait_loadcnt_dscnt 0x100
	v_mul_f32_e32 v18, v14, v11
	v_mul_f32_e32 v3, v6, v3
	v_mul_f32_e32 v5, v9, v5
	v_fma_f32 v6, v6, v2, -v16
	s_delay_alu instid0(VALU_DEP_4) | instskip(NEXT) | instid1(VALU_DEP_4)
	v_fmac_f32_e32 v18, v15, v10
	v_fmac_f32_e32 v3, v7, v2
	v_mul_f32_e32 v2, v15, v11
	s_delay_alu instid0(VALU_DEP_1) | instskip(SKIP_3) | instid1(VALU_DEP_1)
	v_fma_f32 v2, v14, v10, -v2
	v_fmac_f32_e32 v17, v9, v4
	v_fma_f32 v4, v8, v4, -v5
	v_add_f32_e32 v5, 0, v6
	v_add_f32_e32 v4, v5, v4
	s_delay_alu instid0(VALU_DEP_1) | instskip(SKIP_1) | instid1(VALU_DEP_1)
	v_dual_add_f32 v2, v4, v2 :: v_dual_add_f32 v3, 0, v3
	s_wait_loadcnt 0x0
	v_dual_sub_f32 v2, v12, v2 :: v_dual_add_f32 v3, v3, v17
	s_delay_alu instid0(VALU_DEP_1) | instskip(NEXT) | instid1(VALU_DEP_1)
	v_add_f32_e32 v3, v3, v18
	v_sub_f32_e32 v3, v13, v3
	scratch_store_b64 off, v[2:3], off offset:376
	v_cmpx_lt_u32_e32 46, v0
	s_cbranch_execz .LBB50_227
; %bb.226:
	scratch_load_b64 v[3:4], off, off offset:368
	v_mov_b32_e32 v2, v1
	scratch_store_b64 off, v[1:2], off offset:368
	s_wait_loadcnt 0x0
	ds_store_b64 v23, v[3:4]
.LBB50_227:
	s_wait_alu 0xfffe
	s_or_b32 exec_lo, exec_lo, s0
	s_wait_storecnt_dscnt 0x0
	s_barrier_signal -1
	s_barrier_wait -1
	global_inv scope:SCOPE_SE
	s_clause 0x2
	scratch_load_b128 v[2:5], off, off offset:376
	scratch_load_b128 v[6:9], off, off offset:392
	scratch_load_b64 v[18:19], off, off offset:368
	ds_load_2addr_b64 v[10:13], v1 offset0:99 offset1:100
	ds_load_2addr_b64 v[14:17], v1 offset0:101 offset1:102
	s_mov_b32 s0, exec_lo
	s_wait_loadcnt_dscnt 0x201
	v_dual_mul_f32 v1, v10, v3 :: v_dual_mul_f32 v20, v12, v5
	s_wait_loadcnt_dscnt 0x100
	v_dual_mul_f32 v3, v11, v3 :: v_dual_mul_f32 v22, v16, v9
	v_mul_f32_e32 v5, v13, v5
	s_delay_alu instid0(VALU_DEP_3) | instskip(NEXT) | instid1(VALU_DEP_3)
	v_dual_mul_f32 v21, v14, v7 :: v_dual_fmac_f32 v20, v13, v4
	v_fma_f32 v3, v10, v2, -v3
	s_delay_alu instid0(VALU_DEP_4) | instskip(SKIP_2) | instid1(VALU_DEP_4)
	v_dual_fmac_f32 v1, v11, v2 :: v_dual_fmac_f32 v22, v17, v8
	v_mul_f32_e32 v2, v15, v7
	v_fma_f32 v4, v12, v4, -v5
	v_add_f32_e32 v3, 0, v3
	v_fmac_f32_e32 v21, v15, v6
	s_delay_alu instid0(VALU_DEP_4) | instskip(NEXT) | instid1(VALU_DEP_3)
	v_fma_f32 v2, v14, v6, -v2
	v_add_f32_e32 v3, v3, v4
	s_delay_alu instid0(VALU_DEP_1) | instskip(NEXT) | instid1(VALU_DEP_1)
	v_dual_add_f32 v1, 0, v1 :: v_dual_add_f32 v2, v3, v2
	v_add_f32_e32 v1, v1, v20
	s_delay_alu instid0(VALU_DEP_1) | instskip(NEXT) | instid1(VALU_DEP_1)
	v_add_f32_e32 v1, v1, v21
	v_add_f32_e32 v3, v1, v22
	v_mul_f32_e32 v5, v17, v9
	s_delay_alu instid0(VALU_DEP_1) | instskip(NEXT) | instid1(VALU_DEP_1)
	v_fma_f32 v4, v16, v8, -v5
	v_add_f32_e32 v2, v2, v4
	s_wait_loadcnt 0x0
	s_delay_alu instid0(VALU_DEP_1)
	v_dual_sub_f32 v1, v18, v2 :: v_dual_sub_f32 v2, v19, v3
	scratch_store_b64 off, v[1:2], off offset:368
	v_cmpx_lt_u32_e32 45, v0
	s_cbranch_execz .LBB50_229
; %bb.228:
	scratch_load_b64 v[1:2], off, off offset:360
	v_mov_b32_e32 v3, 0
	s_delay_alu instid0(VALU_DEP_1)
	v_mov_b32_e32 v4, v3
	scratch_store_b64 off, v[3:4], off offset:360
	s_wait_loadcnt 0x0
	ds_store_b64 v23, v[1:2]
.LBB50_229:
	s_wait_alu 0xfffe
	s_or_b32 exec_lo, exec_lo, s0
	s_wait_storecnt_dscnt 0x0
	s_barrier_signal -1
	s_barrier_wait -1
	global_inv scope:SCOPE_SE
	s_clause 0x3
	scratch_load_b128 v[2:5], off, off offset:368
	scratch_load_b128 v[6:9], off, off offset:384
	scratch_load_b64 v[18:19], off, off offset:400
	scratch_load_b64 v[20:21], off, off offset:360
	v_mov_b32_e32 v1, 0
	ds_load_b128 v[10:13], v1 offset:784
	ds_load_b128 v[14:17], v1 offset:800
	ds_load_b64 v[126:127], v1 offset:816
	s_mov_b32 s0, exec_lo
	s_wait_loadcnt_dscnt 0x302
	v_mul_f32_e32 v22, v10, v3
	v_dual_mul_f32 v128, v12, v5 :: v_dual_mul_f32 v3, v11, v3
	v_mul_f32_e32 v5, v13, v5
	s_wait_loadcnt_dscnt 0x100
	s_delay_alu instid0(VALU_DEP_3)
	v_dual_mul_f32 v131, v126, v19 :: v_dual_fmac_f32 v22, v11, v2
	v_dual_mul_f32 v129, v14, v7 :: v_dual_mul_f32 v130, v16, v9
	v_fma_f32 v3, v10, v2, -v3
	v_mul_f32_e32 v2, v15, v7
	v_fmac_f32_e32 v128, v13, v4
	v_fma_f32 v4, v12, v4, -v5
	v_dual_add_f32 v5, 0, v22 :: v_dual_fmac_f32 v130, v17, v8
	v_add_f32_e32 v3, 0, v3
	v_fma_f32 v2, v14, v6, -v2
	v_fmac_f32_e32 v129, v15, v6
	v_fmac_f32_e32 v131, v127, v18
	s_delay_alu instid0(VALU_DEP_4) | instskip(SKIP_2) | instid1(VALU_DEP_3)
	v_add_f32_e32 v3, v3, v4
	v_mul_f32_e32 v7, v17, v9
	v_add_f32_e32 v4, v5, v128
	v_add_f32_e32 v2, v3, v2
	s_delay_alu instid0(VALU_DEP_3) | instskip(NEXT) | instid1(VALU_DEP_1)
	v_fma_f32 v6, v16, v8, -v7
	v_dual_add_f32 v3, v4, v129 :: v_dual_add_f32 v2, v2, v6
	v_mul_f32_e32 v5, v127, v19
	s_delay_alu instid0(VALU_DEP_2) | instskip(NEXT) | instid1(VALU_DEP_2)
	v_add_f32_e32 v3, v3, v130
	v_fma_f32 v4, v126, v18, -v5
	s_delay_alu instid0(VALU_DEP_1) | instskip(SKIP_1) | instid1(VALU_DEP_1)
	v_dual_add_f32 v2, v2, v4 :: v_dual_add_f32 v3, v3, v131
	s_wait_loadcnt 0x0
	v_dual_sub_f32 v2, v20, v2 :: v_dual_sub_f32 v3, v21, v3
	scratch_store_b64 off, v[2:3], off offset:360
	v_cmpx_lt_u32_e32 44, v0
	s_cbranch_execz .LBB50_231
; %bb.230:
	scratch_load_b64 v[3:4], off, off offset:352
	v_mov_b32_e32 v2, v1
	scratch_store_b64 off, v[1:2], off offset:352
	s_wait_loadcnt 0x0
	ds_store_b64 v23, v[3:4]
.LBB50_231:
	s_wait_alu 0xfffe
	s_or_b32 exec_lo, exec_lo, s0
	s_wait_storecnt_dscnt 0x0
	s_barrier_signal -1
	s_barrier_wait -1
	global_inv scope:SCOPE_SE
	s_clause 0x3
	scratch_load_b128 v[2:5], off, off offset:360
	scratch_load_b128 v[6:9], off, off offset:376
	;; [unrolled: 1-line block ×3, first 2 shown]
	scratch_load_b64 v[130:131], off, off offset:352
	ds_load_2addr_b64 v[14:17], v1 offset0:97 offset1:98
	ds_load_2addr_b64 v[18:21], v1 offset0:99 offset1:100
	;; [unrolled: 1-line block ×3, first 2 shown]
	s_mov_b32 s0, exec_lo
	s_wait_loadcnt_dscnt 0x302
	v_dual_mul_f32 v1, v14, v3 :: v_dual_mul_f32 v22, v16, v5
	v_mul_f32_e32 v3, v15, v3
	s_wait_loadcnt_dscnt 0x201
	v_dual_mul_f32 v5, v17, v5 :: v_dual_mul_f32 v132, v18, v7
	s_delay_alu instid0(VALU_DEP_3) | instskip(NEXT) | instid1(VALU_DEP_3)
	v_dual_mul_f32 v133, v20, v9 :: v_dual_fmac_f32 v22, v17, v4
	v_fma_f32 v3, v14, v2, -v3
	v_fmac_f32_e32 v1, v15, v2
	v_mul_f32_e32 v2, v19, v7
	v_fma_f32 v4, v16, v4, -v5
	s_delay_alu instid0(VALU_DEP_4)
	v_dual_fmac_f32 v132, v19, v6 :: v_dual_add_f32 v3, 0, v3
	s_wait_loadcnt_dscnt 0x100
	v_dual_mul_f32 v134, v126, v11 :: v_dual_mul_f32 v135, v128, v13
	v_fma_f32 v2, v18, v6, -v2
	v_fmac_f32_e32 v133, v21, v8
	v_add_f32_e32 v3, v3, v4
	s_delay_alu instid0(VALU_DEP_4) | instskip(SKIP_1) | instid1(VALU_DEP_3)
	v_dual_mul_f32 v5, v21, v9 :: v_dual_fmac_f32 v134, v127, v10
	v_dual_fmac_f32 v135, v129, v12 :: v_dual_mul_f32 v4, v127, v11
	v_add_f32_e32 v2, v3, v2
	s_delay_alu instid0(VALU_DEP_3) | instskip(SKIP_1) | instid1(VALU_DEP_4)
	v_fma_f32 v5, v20, v8, -v5
	v_mul_f32_e32 v3, v129, v13
	v_fma_f32 v4, v126, v10, -v4
	s_delay_alu instid0(VALU_DEP_3) | instskip(SKIP_1) | instid1(VALU_DEP_4)
	v_add_f32_e32 v2, v2, v5
	v_add_f32_e32 v1, 0, v1
	v_fma_f32 v3, v128, v12, -v3
	s_delay_alu instid0(VALU_DEP_2) | instskip(NEXT) | instid1(VALU_DEP_1)
	v_dual_add_f32 v2, v2, v4 :: v_dual_add_f32 v1, v1, v22
	v_dual_add_f32 v2, v2, v3 :: v_dual_add_f32 v1, v1, v132
	s_delay_alu instid0(VALU_DEP_1) | instskip(NEXT) | instid1(VALU_DEP_1)
	v_add_f32_e32 v1, v1, v133
	v_add_f32_e32 v1, v1, v134
	s_delay_alu instid0(VALU_DEP_1) | instskip(SKIP_1) | instid1(VALU_DEP_1)
	v_add_f32_e32 v3, v1, v135
	s_wait_loadcnt 0x0
	v_dual_sub_f32 v1, v130, v2 :: v_dual_sub_f32 v2, v131, v3
	scratch_store_b64 off, v[1:2], off offset:352
	v_cmpx_lt_u32_e32 43, v0
	s_cbranch_execz .LBB50_233
; %bb.232:
	scratch_load_b64 v[1:2], off, off offset:344
	v_mov_b32_e32 v3, 0
	s_delay_alu instid0(VALU_DEP_1)
	v_mov_b32_e32 v4, v3
	scratch_store_b64 off, v[3:4], off offset:344
	s_wait_loadcnt 0x0
	ds_store_b64 v23, v[1:2]
.LBB50_233:
	s_wait_alu 0xfffe
	s_or_b32 exec_lo, exec_lo, s0
	s_wait_storecnt_dscnt 0x0
	s_barrier_signal -1
	s_barrier_wait -1
	global_inv scope:SCOPE_SE
	s_clause 0x4
	scratch_load_b128 v[2:5], off, off offset:352
	scratch_load_b128 v[6:9], off, off offset:368
	;; [unrolled: 1-line block ×3, first 2 shown]
	scratch_load_b64 v[130:131], off, off offset:400
	scratch_load_b64 v[132:133], off, off offset:344
	v_mov_b32_e32 v1, 0
	ds_load_b128 v[14:17], v1 offset:768
	ds_load_b128 v[18:21], v1 offset:784
	;; [unrolled: 1-line block ×3, first 2 shown]
	ds_load_b64 v[134:135], v1 offset:816
	s_mov_b32 s0, exec_lo
	s_wait_loadcnt_dscnt 0x403
	v_mul_f32_e32 v22, v14, v3
	s_wait_loadcnt_dscnt 0x302
	v_dual_mul_f32 v138, v20, v9 :: v_dual_mul_f32 v3, v15, v3
	v_dual_mul_f32 v136, v16, v5 :: v_dual_mul_f32 v137, v18, v7
	v_mul_f32_e32 v5, v17, v5
	s_wait_loadcnt_dscnt 0x100
	v_dual_mul_f32 v141, v134, v131 :: v_dual_fmac_f32 v22, v15, v2
	v_fma_f32 v3, v14, v2, -v3
	v_mul_f32_e32 v2, v19, v7
	v_fmac_f32_e32 v136, v17, v4
	v_fma_f32 v4, v16, v4, -v5
	v_dual_add_f32 v5, 0, v22 :: v_dual_fmac_f32 v138, v21, v8
	v_add_f32_e32 v3, 0, v3
	v_fma_f32 v2, v18, v6, -v2
	v_fmac_f32_e32 v137, v19, v6
	v_dual_mul_f32 v139, v126, v11 :: v_dual_mul_f32 v140, v128, v13
	s_delay_alu instid0(VALU_DEP_4) | instskip(SKIP_1) | instid1(VALU_DEP_3)
	v_add_f32_e32 v3, v3, v4
	v_mul_f32_e32 v7, v21, v9
	v_dual_add_f32 v4, v5, v136 :: v_dual_fmac_f32 v139, v127, v10
	s_delay_alu instid0(VALU_DEP_4) | instskip(NEXT) | instid1(VALU_DEP_4)
	v_fmac_f32_e32 v140, v129, v12
	v_add_f32_e32 v2, v3, v2
	s_delay_alu instid0(VALU_DEP_4) | instskip(SKIP_3) | instid1(VALU_DEP_4)
	v_fma_f32 v6, v20, v8, -v7
	v_mul_f32_e32 v5, v127, v11
	v_add_f32_e32 v3, v4, v137
	v_mul_f32_e32 v4, v129, v13
	v_add_f32_e32 v2, v2, v6
	s_delay_alu instid0(VALU_DEP_4) | instskip(SKIP_3) | instid1(VALU_DEP_4)
	v_fma_f32 v5, v126, v10, -v5
	v_mul_f32_e32 v6, v135, v131
	v_add_f32_e32 v3, v3, v138
	v_fma_f32 v4, v128, v12, -v4
	v_add_f32_e32 v2, v2, v5
	s_delay_alu instid0(VALU_DEP_4) | instskip(NEXT) | instid1(VALU_DEP_2)
	v_fma_f32 v5, v134, v130, -v6
	v_dual_add_f32 v3, v3, v139 :: v_dual_add_f32 v2, v2, v4
	s_delay_alu instid0(VALU_DEP_1) | instskip(SKIP_1) | instid1(VALU_DEP_1)
	v_dual_fmac_f32 v141, v135, v130 :: v_dual_add_f32 v2, v2, v5
	s_wait_loadcnt 0x0
	v_dual_add_f32 v3, v3, v140 :: v_dual_sub_f32 v2, v132, v2
	s_delay_alu instid0(VALU_DEP_1) | instskip(NEXT) | instid1(VALU_DEP_1)
	v_add_f32_e32 v3, v3, v141
	v_sub_f32_e32 v3, v133, v3
	scratch_store_b64 off, v[2:3], off offset:344
	v_cmpx_lt_u32_e32 42, v0
	s_cbranch_execz .LBB50_235
; %bb.234:
	scratch_load_b64 v[3:4], off, off offset:336
	v_mov_b32_e32 v2, v1
	scratch_store_b64 off, v[1:2], off offset:336
	s_wait_loadcnt 0x0
	ds_store_b64 v23, v[3:4]
.LBB50_235:
	s_wait_alu 0xfffe
	s_or_b32 exec_lo, exec_lo, s0
	s_wait_storecnt_dscnt 0x0
	s_barrier_signal -1
	s_barrier_wait -1
	global_inv scope:SCOPE_SE
	s_clause 0x4
	scratch_load_b128 v[2:5], off, off offset:344
	scratch_load_b128 v[6:9], off, off offset:360
	;; [unrolled: 1-line block ×4, first 2 shown]
	scratch_load_b64 v[138:139], off, off offset:336
	ds_load_2addr_b64 v[18:21], v1 offset0:95 offset1:96
	ds_load_2addr_b64 v[126:129], v1 offset0:97 offset1:98
	;; [unrolled: 1-line block ×4, first 2 shown]
	s_mov_b32 s0, exec_lo
	s_wait_loadcnt_dscnt 0x403
	v_dual_mul_f32 v1, v18, v3 :: v_dual_mul_f32 v22, v20, v5
	v_mul_f32_e32 v3, v19, v3
	s_wait_loadcnt_dscnt 0x302
	v_dual_mul_f32 v5, v21, v5 :: v_dual_mul_f32 v140, v126, v7
	s_delay_alu instid0(VALU_DEP_3) | instskip(NEXT) | instid1(VALU_DEP_3)
	v_dual_mul_f32 v141, v128, v9 :: v_dual_fmac_f32 v22, v21, v4
	v_fma_f32 v3, v18, v2, -v3
	v_fmac_f32_e32 v1, v19, v2
	v_mul_f32_e32 v2, v127, v7
	v_fma_f32 v4, v20, v4, -v5
	s_delay_alu instid0(VALU_DEP_4)
	v_dual_fmac_f32 v140, v127, v6 :: v_dual_add_f32 v3, 0, v3
	s_wait_loadcnt_dscnt 0x201
	v_dual_mul_f32 v142, v130, v11 :: v_dual_mul_f32 v143, v132, v13
	v_fma_f32 v2, v126, v6, -v2
	s_wait_loadcnt_dscnt 0x100
	v_dual_mul_f32 v144, v134, v15 :: v_dual_mul_f32 v145, v136, v17
	v_add_f32_e32 v3, v3, v4
	v_mul_f32_e32 v5, v129, v9
	v_dual_fmac_f32 v141, v129, v8 :: v_dual_fmac_f32 v142, v131, v10
	v_mul_f32_e32 v4, v131, v11
	s_delay_alu instid0(VALU_DEP_4) | instskip(NEXT) | instid1(VALU_DEP_4)
	v_add_f32_e32 v2, v3, v2
	v_fma_f32 v5, v128, v8, -v5
	v_mul_f32_e32 v3, v133, v13
	v_fmac_f32_e32 v145, v137, v16
	v_fma_f32 v4, v130, v10, -v4
	v_fmac_f32_e32 v144, v135, v14
	v_add_f32_e32 v2, v2, v5
	v_add_f32_e32 v1, 0, v1
	v_mul_f32_e32 v5, v135, v15
	v_fma_f32 v3, v132, v12, -v3
	s_delay_alu instid0(VALU_DEP_3) | instskip(SKIP_1) | instid1(VALU_DEP_4)
	v_dual_add_f32 v2, v2, v4 :: v_dual_add_f32 v1, v1, v22
	v_mul_f32_e32 v4, v137, v17
	v_fma_f32 v5, v134, v14, -v5
	s_delay_alu instid0(VALU_DEP_3) | instskip(SKIP_1) | instid1(VALU_DEP_4)
	v_dual_add_f32 v2, v2, v3 :: v_dual_add_f32 v1, v1, v140
	v_fmac_f32_e32 v143, v133, v12
	v_fma_f32 v3, v136, v16, -v4
	s_delay_alu instid0(VALU_DEP_3) | instskip(NEXT) | instid1(VALU_DEP_1)
	v_add_f32_e32 v2, v2, v5
	v_dual_add_f32 v1, v1, v141 :: v_dual_add_f32 v2, v2, v3
	s_delay_alu instid0(VALU_DEP_1) | instskip(NEXT) | instid1(VALU_DEP_1)
	v_add_f32_e32 v1, v1, v142
	v_add_f32_e32 v1, v1, v143
	s_delay_alu instid0(VALU_DEP_1) | instskip(NEXT) | instid1(VALU_DEP_1)
	v_add_f32_e32 v1, v1, v144
	v_add_f32_e32 v3, v1, v145
	s_wait_loadcnt 0x0
	s_delay_alu instid0(VALU_DEP_1)
	v_dual_sub_f32 v1, v138, v2 :: v_dual_sub_f32 v2, v139, v3
	scratch_store_b64 off, v[1:2], off offset:336
	v_cmpx_lt_u32_e32 41, v0
	s_cbranch_execz .LBB50_237
; %bb.236:
	scratch_load_b64 v[1:2], off, off offset:328
	v_mov_b32_e32 v3, 0
	s_delay_alu instid0(VALU_DEP_1)
	v_mov_b32_e32 v4, v3
	scratch_store_b64 off, v[3:4], off offset:328
	s_wait_loadcnt 0x0
	ds_store_b64 v23, v[1:2]
.LBB50_237:
	s_wait_alu 0xfffe
	s_or_b32 exec_lo, exec_lo, s0
	s_wait_storecnt_dscnt 0x0
	s_barrier_signal -1
	s_barrier_wait -1
	global_inv scope:SCOPE_SE
	s_clause 0x5
	scratch_load_b128 v[2:5], off, off offset:336
	scratch_load_b128 v[6:9], off, off offset:352
	;; [unrolled: 1-line block ×4, first 2 shown]
	scratch_load_b64 v[138:139], off, off offset:400
	scratch_load_b64 v[140:141], off, off offset:328
	v_mov_b32_e32 v1, 0
	ds_load_b128 v[18:21], v1 offset:752
	ds_load_b128 v[126:129], v1 offset:768
	;; [unrolled: 1-line block ×4, first 2 shown]
	ds_load_b64 v[142:143], v1 offset:816
	s_mov_b32 s0, exec_lo
	s_wait_loadcnt_dscnt 0x504
	v_mul_f32_e32 v22, v18, v3
	s_wait_loadcnt_dscnt 0x302
	v_dual_mul_f32 v3, v19, v3 :: v_dual_mul_f32 v148, v132, v13
	v_dual_mul_f32 v144, v20, v5 :: v_dual_mul_f32 v145, v126, v7
	v_mul_f32_e32 v5, v21, v5
	s_delay_alu instid0(VALU_DEP_3) | instskip(SKIP_3) | instid1(VALU_DEP_3)
	v_fma_f32 v3, v18, v2, -v3
	s_wait_loadcnt_dscnt 0x100
	v_dual_mul_f32 v151, v142, v139 :: v_dual_fmac_f32 v22, v19, v2
	v_mul_f32_e32 v2, v127, v7
	v_dual_fmac_f32 v144, v21, v4 :: v_dual_add_f32 v3, 0, v3
	v_fma_f32 v4, v20, v4, -v5
	v_dual_mul_f32 v146, v128, v9 :: v_dual_mul_f32 v147, v130, v11
	v_add_f32_e32 v5, 0, v22
	v_fma_f32 v2, v126, v6, -v2
	s_delay_alu instid0(VALU_DEP_4) | instskip(SKIP_3) | instid1(VALU_DEP_4)
	v_add_f32_e32 v3, v3, v4
	v_mul_f32_e32 v7, v129, v9
	v_dual_fmac_f32 v146, v129, v8 :: v_dual_fmac_f32 v145, v127, v6
	v_add_f32_e32 v4, v5, v144
	v_add_f32_e32 v2, v3, v2
	s_delay_alu instid0(VALU_DEP_4)
	v_fma_f32 v6, v128, v8, -v7
	v_mul_f32_e32 v5, v131, v11
	v_dual_fmac_f32 v147, v131, v10 :: v_dual_fmac_f32 v148, v133, v12
	v_add_f32_e32 v3, v4, v145
	v_mul_f32_e32 v4, v133, v13
	v_add_f32_e32 v2, v2, v6
	v_fma_f32 v5, v130, v10, -v5
	v_mul_f32_e32 v6, v135, v15
	v_add_f32_e32 v3, v3, v146
	v_fma_f32 v4, v132, v12, -v4
	v_dual_mul_f32 v149, v134, v15 :: v_dual_mul_f32 v150, v136, v17
	s_delay_alu instid0(VALU_DEP_3) | instskip(SKIP_2) | instid1(VALU_DEP_4)
	v_dual_add_f32 v2, v2, v5 :: v_dual_add_f32 v3, v3, v147
	v_mul_f32_e32 v5, v137, v17
	v_fma_f32 v6, v134, v14, -v6
	v_dual_fmac_f32 v149, v135, v14 :: v_dual_fmac_f32 v150, v137, v16
	s_delay_alu instid0(VALU_DEP_4) | instskip(SKIP_3) | instid1(VALU_DEP_4)
	v_add_f32_e32 v2, v2, v4
	v_add_f32_e32 v3, v3, v148
	v_mul_f32_e32 v4, v143, v139
	v_fma_f32 v5, v136, v16, -v5
	v_add_f32_e32 v2, v2, v6
	v_fmac_f32_e32 v151, v143, v138
	s_delay_alu instid0(VALU_DEP_4) | instskip(NEXT) | instid1(VALU_DEP_3)
	v_fma_f32 v4, v142, v138, -v4
	v_add_f32_e32 v2, v2, v5
	s_delay_alu instid0(VALU_DEP_1) | instskip(NEXT) | instid1(VALU_DEP_1)
	v_dual_add_f32 v3, v3, v149 :: v_dual_add_f32 v2, v2, v4
	v_add_f32_e32 v3, v3, v150
	s_wait_loadcnt 0x0
	s_delay_alu instid0(VALU_DEP_1) | instskip(NEXT) | instid1(VALU_DEP_1)
	v_dual_sub_f32 v2, v140, v2 :: v_dual_add_f32 v3, v3, v151
	v_sub_f32_e32 v3, v141, v3
	scratch_store_b64 off, v[2:3], off offset:328
	v_cmpx_lt_u32_e32 40, v0
	s_cbranch_execz .LBB50_239
; %bb.238:
	scratch_load_b64 v[3:4], off, off offset:320
	v_mov_b32_e32 v2, v1
	scratch_store_b64 off, v[1:2], off offset:320
	s_wait_loadcnt 0x0
	ds_store_b64 v23, v[3:4]
.LBB50_239:
	s_wait_alu 0xfffe
	s_or_b32 exec_lo, exec_lo, s0
	s_wait_storecnt_dscnt 0x0
	s_barrier_signal -1
	s_barrier_wait -1
	global_inv scope:SCOPE_SE
	s_clause 0x5
	scratch_load_b128 v[2:5], off, off offset:328
	scratch_load_b128 v[6:9], off, off offset:344
	;; [unrolled: 1-line block ×5, first 2 shown]
	scratch_load_b64 v[146:147], off, off offset:320
	ds_load_2addr_b64 v[126:129], v1 offset0:93 offset1:94
	ds_load_2addr_b64 v[130:133], v1 offset0:95 offset1:96
	ds_load_2addr_b64 v[134:137], v1 offset0:97 offset1:98
	ds_load_2addr_b64 v[138:141], v1 offset0:99 offset1:100
	ds_load_2addr_b64 v[142:145], v1 offset0:101 offset1:102
	s_mov_b32 s0, exec_lo
	s_wait_loadcnt_dscnt 0x504
	v_dual_mul_f32 v1, v126, v3 :: v_dual_mul_f32 v22, v128, v5
	v_mul_f32_e32 v3, v127, v3
	s_wait_loadcnt_dscnt 0x403
	v_dual_mul_f32 v5, v129, v5 :: v_dual_mul_f32 v148, v130, v7
	s_delay_alu instid0(VALU_DEP_3) | instskip(NEXT) | instid1(VALU_DEP_3)
	v_dual_mul_f32 v149, v132, v9 :: v_dual_fmac_f32 v22, v129, v4
	v_fma_f32 v3, v126, v2, -v3
	v_fmac_f32_e32 v1, v127, v2
	v_mul_f32_e32 v2, v131, v7
	v_fma_f32 v4, v128, v4, -v5
	s_delay_alu instid0(VALU_DEP_4)
	v_dual_fmac_f32 v148, v131, v6 :: v_dual_add_f32 v3, 0, v3
	s_wait_loadcnt_dscnt 0x100
	v_dual_mul_f32 v154, v142, v19 :: v_dual_mul_f32 v155, v144, v21
	v_fma_f32 v2, v130, v6, -v2
	v_dual_mul_f32 v150, v134, v11 :: v_dual_mul_f32 v151, v136, v13
	v_add_f32_e32 v3, v3, v4
	v_dual_mul_f32 v5, v133, v9 :: v_dual_mul_f32 v152, v138, v15
	v_dual_mul_f32 v153, v140, v17 :: v_dual_mul_f32 v4, v135, v11
	s_delay_alu instid0(VALU_DEP_3) | instskip(NEXT) | instid1(VALU_DEP_3)
	v_add_f32_e32 v2, v3, v2
	v_fma_f32 v5, v132, v8, -v5
	v_dual_mul_f32 v3, v137, v13 :: v_dual_fmac_f32 v154, v143, v18
	s_delay_alu instid0(VALU_DEP_4) | instskip(SKIP_1) | instid1(VALU_DEP_4)
	v_fma_f32 v4, v134, v10, -v4
	v_dual_fmac_f32 v149, v133, v8 :: v_dual_fmac_f32 v150, v135, v10
	v_add_f32_e32 v2, v2, v5
	v_add_f32_e32 v1, 0, v1
	v_fma_f32 v3, v136, v12, -v3
	v_dual_fmac_f32 v152, v139, v14 :: v_dual_fmac_f32 v153, v141, v16
	s_delay_alu instid0(VALU_DEP_3) | instskip(SKIP_1) | instid1(VALU_DEP_2)
	v_dual_add_f32 v2, v2, v4 :: v_dual_add_f32 v1, v1, v22
	v_mul_f32_e32 v4, v141, v17
	v_dual_fmac_f32 v155, v145, v20 :: v_dual_add_f32 v2, v2, v3
	s_delay_alu instid0(VALU_DEP_3) | instskip(NEXT) | instid1(VALU_DEP_3)
	v_add_f32_e32 v1, v1, v148
	v_fma_f32 v4, v140, v16, -v4
	v_mul_f32_e32 v5, v139, v15
	v_mul_f32_e32 v3, v143, v19
	s_delay_alu instid0(VALU_DEP_4) | instskip(NEXT) | instid1(VALU_DEP_3)
	v_add_f32_e32 v1, v1, v149
	v_fma_f32 v5, v138, v14, -v5
	v_fmac_f32_e32 v151, v137, v12
	s_delay_alu instid0(VALU_DEP_4) | instskip(NEXT) | instid1(VALU_DEP_3)
	v_fma_f32 v3, v142, v18, -v3
	v_add_f32_e32 v2, v2, v5
	s_delay_alu instid0(VALU_DEP_1) | instskip(SKIP_1) | instid1(VALU_DEP_2)
	v_dual_mul_f32 v5, v145, v21 :: v_dual_add_f32 v2, v2, v4
	v_add_f32_e32 v1, v1, v150
	v_fma_f32 v4, v144, v20, -v5
	s_delay_alu instid0(VALU_DEP_3) | instskip(NEXT) | instid1(VALU_DEP_1)
	v_add_f32_e32 v2, v2, v3
	v_dual_add_f32 v1, v1, v151 :: v_dual_add_f32 v2, v2, v4
	s_delay_alu instid0(VALU_DEP_1) | instskip(NEXT) | instid1(VALU_DEP_1)
	v_add_f32_e32 v1, v1, v152
	v_add_f32_e32 v1, v1, v153
	s_delay_alu instid0(VALU_DEP_1) | instskip(NEXT) | instid1(VALU_DEP_1)
	v_add_f32_e32 v1, v1, v154
	v_add_f32_e32 v3, v1, v155
	s_wait_loadcnt 0x0
	s_delay_alu instid0(VALU_DEP_1)
	v_dual_sub_f32 v1, v146, v2 :: v_dual_sub_f32 v2, v147, v3
	scratch_store_b64 off, v[1:2], off offset:320
	v_cmpx_lt_u32_e32 39, v0
	s_cbranch_execz .LBB50_241
; %bb.240:
	scratch_load_b64 v[1:2], off, off offset:312
	v_mov_b32_e32 v3, 0
	s_delay_alu instid0(VALU_DEP_1)
	v_mov_b32_e32 v4, v3
	scratch_store_b64 off, v[3:4], off offset:312
	s_wait_loadcnt 0x0
	ds_store_b64 v23, v[1:2]
.LBB50_241:
	s_wait_alu 0xfffe
	s_or_b32 exec_lo, exec_lo, s0
	s_wait_storecnt_dscnt 0x0
	s_barrier_signal -1
	s_barrier_wait -1
	global_inv scope:SCOPE_SE
	s_clause 0x6
	scratch_load_b128 v[2:5], off, off offset:320
	scratch_load_b128 v[6:9], off, off offset:336
	;; [unrolled: 1-line block ×5, first 2 shown]
	scratch_load_b64 v[146:147], off, off offset:400
	scratch_load_b64 v[148:149], off, off offset:312
	v_mov_b32_e32 v1, 0
	ds_load_b128 v[126:129], v1 offset:736
	ds_load_b128 v[130:133], v1 offset:752
	ds_load_b128 v[134:137], v1 offset:768
	ds_load_b128 v[138:141], v1 offset:784
	ds_load_b128 v[142:145], v1 offset:800
	ds_load_b64 v[150:151], v1 offset:816
	s_mov_b32 s0, exec_lo
	s_wait_loadcnt_dscnt 0x605
	v_mul_f32_e32 v22, v126, v3
	v_dual_mul_f32 v3, v127, v3 :: v_dual_mul_f32 v152, v128, v5
	s_wait_loadcnt_dscnt 0x302
	v_dual_mul_f32 v153, v130, v7 :: v_dual_mul_f32 v158, v140, v17
	v_mul_f32_e32 v5, v129, v5
	s_delay_alu instid0(VALU_DEP_3) | instskip(SKIP_3) | instid1(VALU_DEP_3)
	v_fma_f32 v3, v126, v2, -v3
	s_wait_loadcnt_dscnt 0x100
	v_dual_mul_f32 v161, v150, v147 :: v_dual_fmac_f32 v22, v127, v2
	v_mul_f32_e32 v2, v131, v7
	v_dual_fmac_f32 v152, v129, v4 :: v_dual_add_f32 v3, 0, v3
	v_fma_f32 v4, v128, v4, -v5
	v_dual_mul_f32 v154, v132, v9 :: v_dual_mul_f32 v155, v134, v11
	v_add_f32_e32 v5, 0, v22
	v_fma_f32 v2, v130, v6, -v2
	s_delay_alu instid0(VALU_DEP_4) | instskip(SKIP_3) | instid1(VALU_DEP_4)
	v_add_f32_e32 v3, v3, v4
	v_mul_f32_e32 v7, v133, v9
	v_dual_fmac_f32 v154, v133, v8 :: v_dual_fmac_f32 v153, v131, v6
	v_add_f32_e32 v4, v5, v152
	v_add_f32_e32 v2, v3, v2
	s_delay_alu instid0(VALU_DEP_4)
	v_fma_f32 v6, v132, v8, -v7
	v_dual_mul_f32 v5, v135, v11 :: v_dual_mul_f32 v156, v136, v13
	v_mul_f32_e32 v157, v138, v15
	v_add_f32_e32 v3, v4, v153
	v_mul_f32_e32 v4, v137, v13
	v_add_f32_e32 v2, v2, v6
	v_fma_f32 v5, v134, v10, -v5
	v_dual_fmac_f32 v155, v135, v10 :: v_dual_fmac_f32 v156, v137, v12
	v_mul_f32_e32 v6, v139, v15
	s_delay_alu instid0(VALU_DEP_3) | instskip(SKIP_2) | instid1(VALU_DEP_4)
	v_dual_add_f32 v3, v3, v154 :: v_dual_add_f32 v2, v2, v5
	v_fma_f32 v4, v136, v12, -v4
	v_mul_f32_e32 v5, v141, v17
	v_fma_f32 v6, v138, v14, -v6
	s_delay_alu instid0(VALU_DEP_4) | instskip(SKIP_3) | instid1(VALU_DEP_4)
	v_add_f32_e32 v3, v3, v155
	v_dual_mul_f32 v159, v142, v19 :: v_dual_mul_f32 v160, v144, v21
	v_dual_add_f32 v2, v2, v4 :: v_dual_fmac_f32 v157, v139, v14
	v_fmac_f32_e32 v158, v141, v16
	v_add_f32_e32 v3, v3, v156
	v_mul_f32_e32 v4, v143, v19
	v_fma_f32 v5, v140, v16, -v5
	v_add_f32_e32 v2, v2, v6
	v_dual_mul_f32 v6, v145, v21 :: v_dual_fmac_f32 v159, v143, v18
	v_dual_add_f32 v3, v3, v157 :: v_dual_fmac_f32 v160, v145, v20
	v_fma_f32 v4, v142, v18, -v4
	s_delay_alu instid0(VALU_DEP_4) | instskip(NEXT) | instid1(VALU_DEP_4)
	v_add_f32_e32 v2, v2, v5
	v_fma_f32 v6, v144, v20, -v6
	s_delay_alu instid0(VALU_DEP_4) | instskip(NEXT) | instid1(VALU_DEP_3)
	v_add_f32_e32 v3, v3, v158
	v_dual_mul_f32 v5, v151, v147 :: v_dual_add_f32 v2, v2, v4
	s_delay_alu instid0(VALU_DEP_2) | instskip(NEXT) | instid1(VALU_DEP_2)
	v_add_f32_e32 v3, v3, v159
	v_fma_f32 v4, v150, v146, -v5
	s_delay_alu instid0(VALU_DEP_3) | instskip(NEXT) | instid1(VALU_DEP_1)
	v_add_f32_e32 v2, v2, v6
	v_dual_fmac_f32 v161, v151, v146 :: v_dual_add_f32 v2, v2, v4
	s_wait_loadcnt 0x0
	s_delay_alu instid0(VALU_DEP_1) | instskip(NEXT) | instid1(VALU_DEP_1)
	v_dual_add_f32 v3, v3, v160 :: v_dual_sub_f32 v2, v148, v2
	v_add_f32_e32 v3, v3, v161
	s_delay_alu instid0(VALU_DEP_1)
	v_sub_f32_e32 v3, v149, v3
	scratch_store_b64 off, v[2:3], off offset:312
	v_cmpx_lt_u32_e32 38, v0
	s_cbranch_execz .LBB50_243
; %bb.242:
	scratch_load_b64 v[3:4], off, off offset:304
	v_mov_b32_e32 v2, v1
	scratch_store_b64 off, v[1:2], off offset:304
	s_wait_loadcnt 0x0
	ds_store_b64 v23, v[3:4]
.LBB50_243:
	s_wait_alu 0xfffe
	s_or_b32 exec_lo, exec_lo, s0
	s_wait_storecnt_dscnt 0x0
	s_barrier_signal -1
	s_barrier_wait -1
	global_inv scope:SCOPE_SE
	s_clause 0x6
	scratch_load_b128 v[2:5], off, off offset:312
	scratch_load_b128 v[6:9], off, off offset:328
	;; [unrolled: 1-line block ×6, first 2 shown]
	scratch_load_b64 v[154:155], off, off offset:304
	ds_load_2addr_b64 v[130:133], v1 offset0:91 offset1:92
	ds_load_2addr_b64 v[134:137], v1 offset0:93 offset1:94
	;; [unrolled: 1-line block ×6, first 2 shown]
	s_mov_b32 s0, exec_lo
	s_wait_loadcnt_dscnt 0x605
	v_dual_mul_f32 v1, v130, v3 :: v_dual_mul_f32 v22, v132, v5
	v_mul_f32_e32 v3, v131, v3
	s_wait_loadcnt_dscnt 0x504
	v_dual_mul_f32 v5, v133, v5 :: v_dual_mul_f32 v156, v134, v7
	s_delay_alu instid0(VALU_DEP_3) | instskip(NEXT) | instid1(VALU_DEP_3)
	v_dual_mul_f32 v157, v136, v9 :: v_dual_fmac_f32 v22, v133, v4
	v_fma_f32 v3, v130, v2, -v3
	v_fmac_f32_e32 v1, v131, v2
	v_mul_f32_e32 v2, v135, v7
	v_fma_f32 v4, v132, v4, -v5
	s_delay_alu instid0(VALU_DEP_4)
	v_dual_fmac_f32 v156, v135, v6 :: v_dual_add_f32 v3, 0, v3
	s_wait_loadcnt_dscnt 0x201
	v_dual_mul_f32 v162, v146, v19 :: v_dual_mul_f32 v163, v148, v21
	v_fma_f32 v2, v134, v6, -v2
	v_dual_mul_f32 v158, v138, v11 :: v_dual_mul_f32 v159, v140, v13
	v_add_f32_e32 v3, v3, v4
	v_dual_mul_f32 v5, v137, v9 :: v_dual_mul_f32 v160, v142, v15
	v_dual_mul_f32 v161, v144, v17 :: v_dual_mul_f32 v4, v139, v11
	s_delay_alu instid0(VALU_DEP_3) | instskip(NEXT) | instid1(VALU_DEP_3)
	v_add_f32_e32 v2, v3, v2
	v_fma_f32 v5, v136, v8, -v5
	v_dual_mul_f32 v3, v141, v13 :: v_dual_fmac_f32 v162, v147, v18
	s_delay_alu instid0(VALU_DEP_4) | instskip(SKIP_1) | instid1(VALU_DEP_4)
	v_fma_f32 v4, v138, v10, -v4
	v_dual_fmac_f32 v157, v137, v8 :: v_dual_fmac_f32 v158, v139, v10
	v_add_f32_e32 v2, v2, v5
	v_add_f32_e32 v1, 0, v1
	v_fma_f32 v3, v140, v12, -v3
	v_fmac_f32_e32 v160, v143, v14
	s_wait_loadcnt_dscnt 0x100
	v_dual_mul_f32 v164, v150, v127 :: v_dual_mul_f32 v165, v152, v129
	v_dual_add_f32 v1, v1, v22 :: v_dual_add_f32 v2, v2, v4
	v_mul_f32_e32 v4, v145, v17
	v_fmac_f32_e32 v163, v149, v20
	s_delay_alu instid0(VALU_DEP_4) | instskip(NEXT) | instid1(VALU_DEP_4)
	v_fmac_f32_e32 v165, v153, v128
	v_dual_add_f32 v1, v1, v156 :: v_dual_add_f32 v2, v2, v3
	s_delay_alu instid0(VALU_DEP_4) | instskip(SKIP_1) | instid1(VALU_DEP_3)
	v_fma_f32 v4, v144, v16, -v4
	v_mul_f32_e32 v5, v143, v15
	v_dual_fmac_f32 v164, v151, v126 :: v_dual_add_f32 v1, v1, v157
	s_delay_alu instid0(VALU_DEP_2) | instskip(SKIP_1) | instid1(VALU_DEP_2)
	v_fma_f32 v5, v142, v14, -v5
	v_fmac_f32_e32 v159, v141, v12
	v_dual_add_f32 v1, v1, v158 :: v_dual_add_f32 v2, v2, v5
	s_delay_alu instid0(VALU_DEP_1) | instskip(SKIP_1) | instid1(VALU_DEP_3)
	v_add_f32_e32 v2, v2, v4
	v_mul_f32_e32 v4, v151, v127
	v_add_f32_e32 v1, v1, v159
	s_delay_alu instid0(VALU_DEP_2) | instskip(SKIP_1) | instid1(VALU_DEP_1)
	v_fma_f32 v4, v150, v126, -v4
	v_mul_f32_e32 v5, v149, v21
	v_fma_f32 v5, v148, v20, -v5
	v_mul_f32_e32 v3, v147, v19
	s_delay_alu instid0(VALU_DEP_1) | instskip(NEXT) | instid1(VALU_DEP_1)
	v_fma_f32 v3, v146, v18, -v3
	v_dual_fmac_f32 v161, v145, v16 :: v_dual_add_f32 v2, v2, v3
	v_mul_f32_e32 v3, v153, v129
	s_delay_alu instid0(VALU_DEP_2) | instskip(NEXT) | instid1(VALU_DEP_2)
	v_add_f32_e32 v2, v2, v5
	v_fma_f32 v3, v152, v128, -v3
	s_delay_alu instid0(VALU_DEP_2) | instskip(NEXT) | instid1(VALU_DEP_1)
	v_add_f32_e32 v2, v2, v4
	v_dual_add_f32 v1, v1, v160 :: v_dual_add_f32 v2, v2, v3
	s_delay_alu instid0(VALU_DEP_1) | instskip(NEXT) | instid1(VALU_DEP_1)
	v_add_f32_e32 v1, v1, v161
	v_add_f32_e32 v1, v1, v162
	s_delay_alu instid0(VALU_DEP_1) | instskip(NEXT) | instid1(VALU_DEP_1)
	v_add_f32_e32 v1, v1, v163
	v_add_f32_e32 v1, v1, v164
	s_delay_alu instid0(VALU_DEP_1) | instskip(SKIP_1) | instid1(VALU_DEP_1)
	v_add_f32_e32 v3, v1, v165
	s_wait_loadcnt 0x0
	v_dual_sub_f32 v1, v154, v2 :: v_dual_sub_f32 v2, v155, v3
	scratch_store_b64 off, v[1:2], off offset:304
	v_cmpx_lt_u32_e32 37, v0
	s_cbranch_execz .LBB50_245
; %bb.244:
	scratch_load_b64 v[1:2], off, off offset:296
	v_mov_b32_e32 v3, 0
	s_delay_alu instid0(VALU_DEP_1)
	v_mov_b32_e32 v4, v3
	scratch_store_b64 off, v[3:4], off offset:296
	s_wait_loadcnt 0x0
	ds_store_b64 v23, v[1:2]
.LBB50_245:
	s_wait_alu 0xfffe
	s_or_b32 exec_lo, exec_lo, s0
	s_wait_storecnt_dscnt 0x0
	s_barrier_signal -1
	s_barrier_wait -1
	global_inv scope:SCOPE_SE
	s_clause 0x7
	scratch_load_b128 v[2:5], off, off offset:304
	scratch_load_b128 v[6:9], off, off offset:320
	;; [unrolled: 1-line block ×6, first 2 shown]
	scratch_load_b64 v[154:155], off, off offset:400
	scratch_load_b64 v[156:157], off, off offset:296
	v_mov_b32_e32 v1, 0
	ds_load_b128 v[130:133], v1 offset:720
	ds_load_b128 v[134:137], v1 offset:736
	;; [unrolled: 1-line block ×6, first 2 shown]
	ds_load_b64 v[158:159], v1 offset:816
	s_mov_b32 s0, exec_lo
	s_wait_loadcnt_dscnt 0x706
	v_mul_f32_e32 v22, v130, v3
	v_dual_mul_f32 v3, v131, v3 :: v_dual_mul_f32 v160, v132, v5
	s_wait_loadcnt_dscnt 0x302
	v_dual_mul_f32 v161, v134, v7 :: v_dual_mul_f32 v168, v148, v21
	v_mul_f32_e32 v5, v133, v5
	s_wait_loadcnt_dscnt 0x100
	v_dual_mul_f32 v171, v158, v155 :: v_dual_fmac_f32 v22, v131, v2
	v_fma_f32 v3, v130, v2, -v3
	v_dual_mul_f32 v162, v136, v9 :: v_dual_mul_f32 v163, v138, v11
	v_mul_f32_e32 v2, v135, v7
	s_delay_alu instid0(VALU_DEP_3) | instskip(SKIP_1) | instid1(VALU_DEP_4)
	v_dual_fmac_f32 v160, v133, v4 :: v_dual_add_f32 v3, 0, v3
	v_fma_f32 v4, v132, v4, -v5
	v_dual_add_f32 v5, 0, v22 :: v_dual_fmac_f32 v162, v137, v8
	v_fmac_f32_e32 v161, v135, v6
	v_fma_f32 v2, v134, v6, -v2
	s_delay_alu instid0(VALU_DEP_4) | instskip(SKIP_3) | instid1(VALU_DEP_4)
	v_add_f32_e32 v3, v3, v4
	v_mul_f32_e32 v7, v137, v9
	v_add_f32_e32 v4, v5, v160
	v_dual_mul_f32 v164, v140, v13 :: v_dual_mul_f32 v165, v142, v15
	v_add_f32_e32 v2, v3, v2
	s_delay_alu instid0(VALU_DEP_4)
	v_fma_f32 v6, v136, v8, -v7
	v_mul_f32_e32 v5, v139, v11
	v_add_f32_e32 v3, v4, v161
	v_dual_mul_f32 v4, v141, v13 :: v_dual_fmac_f32 v163, v139, v10
	v_fmac_f32_e32 v164, v141, v12
	v_add_f32_e32 v2, v2, v6
	v_fma_f32 v5, v138, v10, -v5
	v_mul_f32_e32 v6, v143, v15
	v_add_f32_e32 v3, v3, v162
	v_fma_f32 v4, v140, v12, -v4
	v_dual_mul_f32 v166, v144, v17 :: v_dual_mul_f32 v167, v146, v19
	s_delay_alu instid0(VALU_DEP_3) | instskip(SKIP_1) | instid1(VALU_DEP_3)
	v_dual_add_f32 v2, v2, v5 :: v_dual_add_f32 v3, v3, v163
	v_mul_f32_e32 v5, v145, v17
	v_dual_fmac_f32 v165, v143, v14 :: v_dual_fmac_f32 v166, v145, v16
	v_fma_f32 v6, v142, v14, -v6
	s_delay_alu instid0(VALU_DEP_4) | instskip(SKIP_4) | instid1(VALU_DEP_4)
	v_add_f32_e32 v2, v2, v4
	v_add_f32_e32 v3, v3, v164
	v_mul_f32_e32 v4, v147, v19
	v_fma_f32 v5, v144, v16, -v5
	v_fmac_f32_e32 v167, v147, v18
	v_dual_add_f32 v2, v2, v6 :: v_dual_add_f32 v3, v3, v165
	v_fmac_f32_e32 v168, v149, v20
	v_mul_f32_e32 v6, v149, v21
	v_fma_f32 v4, v146, v18, -v4
	s_delay_alu instid0(VALU_DEP_4) | instskip(SKIP_1) | instid1(VALU_DEP_2)
	v_dual_add_f32 v2, v2, v5 :: v_dual_add_f32 v3, v3, v166
	v_dual_mul_f32 v169, v150, v127 :: v_dual_mul_f32 v170, v152, v129
	v_dual_mul_f32 v5, v151, v127 :: v_dual_add_f32 v2, v2, v4
	v_fma_f32 v6, v148, v20, -v6
	s_delay_alu instid0(VALU_DEP_4) | instskip(NEXT) | instid1(VALU_DEP_4)
	v_dual_add_f32 v3, v3, v167 :: v_dual_mul_f32 v4, v153, v129
	v_dual_fmac_f32 v169, v151, v126 :: v_dual_fmac_f32 v170, v153, v128
	s_delay_alu instid0(VALU_DEP_4) | instskip(NEXT) | instid1(VALU_DEP_3)
	v_fma_f32 v5, v150, v126, -v5
	v_dual_add_f32 v2, v2, v6 :: v_dual_add_f32 v3, v3, v168
	v_mul_f32_e32 v6, v159, v155
	v_fma_f32 v4, v152, v128, -v4
	s_delay_alu instid0(VALU_DEP_3) | instskip(NEXT) | instid1(VALU_DEP_4)
	v_dual_fmac_f32 v171, v159, v154 :: v_dual_add_f32 v2, v2, v5
	v_add_f32_e32 v3, v3, v169
	s_delay_alu instid0(VALU_DEP_4) | instskip(NEXT) | instid1(VALU_DEP_2)
	v_fma_f32 v5, v158, v154, -v6
	v_dual_add_f32 v2, v2, v4 :: v_dual_add_f32 v3, v3, v170
	s_delay_alu instid0(VALU_DEP_1) | instskip(SKIP_1) | instid1(VALU_DEP_1)
	v_dual_add_f32 v2, v2, v5 :: v_dual_add_f32 v3, v3, v171
	s_wait_loadcnt 0x0
	v_dual_sub_f32 v2, v156, v2 :: v_dual_sub_f32 v3, v157, v3
	scratch_store_b64 off, v[2:3], off offset:296
	v_cmpx_lt_u32_e32 36, v0
	s_cbranch_execz .LBB50_247
; %bb.246:
	scratch_load_b64 v[3:4], off, off offset:288
	v_mov_b32_e32 v2, v1
	scratch_store_b64 off, v[1:2], off offset:288
	s_wait_loadcnt 0x0
	ds_store_b64 v23, v[3:4]
.LBB50_247:
	s_wait_alu 0xfffe
	s_or_b32 exec_lo, exec_lo, s0
	s_wait_storecnt_dscnt 0x0
	s_barrier_signal -1
	s_barrier_wait -1
	global_inv scope:SCOPE_SE
	s_clause 0x7
	scratch_load_b128 v[2:5], off, off offset:296
	scratch_load_b128 v[6:9], off, off offset:312
	;; [unrolled: 1-line block ×7, first 2 shown]
	scratch_load_b64 v[162:163], off, off offset:288
	ds_load_2addr_b64 v[134:137], v1 offset0:89 offset1:90
	ds_load_2addr_b64 v[138:141], v1 offset0:91 offset1:92
	;; [unrolled: 1-line block ×7, first 2 shown]
	s_mov_b32 s0, exec_lo
	s_wait_loadcnt_dscnt 0x706
	v_dual_mul_f32 v1, v134, v3 :: v_dual_mul_f32 v22, v136, v5
	v_mul_f32_e32 v3, v135, v3
	s_wait_loadcnt_dscnt 0x605
	v_dual_mul_f32 v5, v137, v5 :: v_dual_mul_f32 v164, v138, v7
	s_delay_alu instid0(VALU_DEP_3) | instskip(NEXT) | instid1(VALU_DEP_3)
	v_dual_mul_f32 v165, v140, v9 :: v_dual_fmac_f32 v22, v137, v4
	v_fma_f32 v3, v134, v2, -v3
	v_fmac_f32_e32 v1, v135, v2
	v_mul_f32_e32 v2, v139, v7
	v_fma_f32 v4, v136, v4, -v5
	s_delay_alu instid0(VALU_DEP_4)
	v_dual_fmac_f32 v164, v139, v6 :: v_dual_add_f32 v3, 0, v3
	s_wait_loadcnt_dscnt 0x302
	v_dual_mul_f32 v170, v150, v19 :: v_dual_mul_f32 v171, v152, v21
	v_fma_f32 v2, v138, v6, -v2
	v_dual_mul_f32 v166, v142, v11 :: v_dual_mul_f32 v167, v144, v13
	v_add_f32_e32 v3, v3, v4
	v_dual_mul_f32 v5, v141, v9 :: v_dual_mul_f32 v168, v146, v15
	v_dual_mul_f32 v169, v148, v17 :: v_dual_mul_f32 v4, v143, v11
	s_delay_alu instid0(VALU_DEP_3) | instskip(NEXT) | instid1(VALU_DEP_3)
	v_add_f32_e32 v2, v3, v2
	v_fma_f32 v5, v140, v8, -v5
	v_dual_mul_f32 v3, v145, v13 :: v_dual_fmac_f32 v170, v151, v18
	s_delay_alu instid0(VALU_DEP_4) | instskip(SKIP_1) | instid1(VALU_DEP_4)
	v_fma_f32 v4, v142, v10, -v4
	v_dual_fmac_f32 v165, v141, v8 :: v_dual_fmac_f32 v166, v143, v10
	v_add_f32_e32 v2, v2, v5
	v_add_f32_e32 v1, 0, v1
	v_fma_f32 v3, v144, v12, -v3
	v_fmac_f32_e32 v168, v147, v14
	s_wait_loadcnt_dscnt 0x201
	v_dual_mul_f32 v172, v154, v127 :: v_dual_mul_f32 v173, v156, v129
	v_dual_add_f32 v1, v1, v22 :: v_dual_add_f32 v2, v2, v4
	v_mul_f32_e32 v4, v149, v17
	s_wait_loadcnt_dscnt 0x100
	v_dual_mul_f32 v174, v158, v131 :: v_dual_mul_f32 v175, v160, v133
	s_delay_alu instid0(VALU_DEP_3) | instskip(NEXT) | instid1(VALU_DEP_3)
	v_dual_add_f32 v1, v1, v164 :: v_dual_add_f32 v2, v2, v3
	v_fma_f32 v4, v148, v16, -v4
	v_mul_f32_e32 v5, v147, v15
	v_fmac_f32_e32 v173, v157, v128
	s_delay_alu instid0(VALU_DEP_4) | instskip(SKIP_1) | instid1(VALU_DEP_4)
	v_add_f32_e32 v1, v1, v165
	v_dual_fmac_f32 v175, v161, v132 :: v_dual_fmac_f32 v172, v155, v126
	v_fma_f32 v5, v146, v14, -v5
	v_fmac_f32_e32 v167, v145, v12
	s_delay_alu instid0(VALU_DEP_4) | instskip(SKIP_1) | instid1(VALU_DEP_4)
	v_add_f32_e32 v1, v1, v166
	v_fmac_f32_e32 v174, v159, v130
	v_add_f32_e32 v2, v2, v5
	s_delay_alu instid0(VALU_DEP_1) | instskip(SKIP_2) | instid1(VALU_DEP_2)
	v_add_f32_e32 v2, v2, v4
	v_mul_f32_e32 v4, v155, v127
	v_add_f32_e32 v1, v1, v167
	v_fma_f32 v4, v154, v126, -v4
	v_mul_f32_e32 v5, v153, v21
	s_delay_alu instid0(VALU_DEP_3) | instskip(NEXT) | instid1(VALU_DEP_2)
	v_add_f32_e32 v1, v1, v168
	v_fma_f32 v5, v152, v20, -v5
	v_mul_f32_e32 v3, v151, v19
	s_delay_alu instid0(VALU_DEP_1) | instskip(NEXT) | instid1(VALU_DEP_1)
	v_fma_f32 v3, v150, v18, -v3
	v_dual_fmac_f32 v169, v149, v16 :: v_dual_add_f32 v2, v2, v3
	v_mul_f32_e32 v3, v157, v129
	s_delay_alu instid0(VALU_DEP_2) | instskip(NEXT) | instid1(VALU_DEP_2)
	v_dual_add_f32 v2, v2, v5 :: v_dual_mul_f32 v5, v159, v131
	v_fma_f32 v3, v156, v128, -v3
	s_delay_alu instid0(VALU_DEP_2) | instskip(SKIP_1) | instid1(VALU_DEP_4)
	v_dual_add_f32 v2, v2, v4 :: v_dual_add_f32 v1, v1, v169
	v_mul_f32_e32 v4, v161, v133
	v_fma_f32 v5, v158, v130, -v5
	s_delay_alu instid0(VALU_DEP_3) | instskip(NEXT) | instid1(VALU_DEP_3)
	v_dual_add_f32 v2, v2, v3 :: v_dual_fmac_f32 v171, v153, v20
	v_fma_f32 v3, v160, v132, -v4
	s_delay_alu instid0(VALU_DEP_2) | instskip(NEXT) | instid1(VALU_DEP_1)
	v_dual_add_f32 v2, v2, v5 :: v_dual_add_f32 v1, v1, v170
	v_add_f32_e32 v2, v2, v3
	s_delay_alu instid0(VALU_DEP_2) | instskip(NEXT) | instid1(VALU_DEP_1)
	v_add_f32_e32 v1, v1, v171
	v_add_f32_e32 v1, v1, v172
	s_delay_alu instid0(VALU_DEP_1) | instskip(NEXT) | instid1(VALU_DEP_1)
	v_add_f32_e32 v1, v1, v173
	v_add_f32_e32 v1, v1, v174
	s_delay_alu instid0(VALU_DEP_1) | instskip(SKIP_1) | instid1(VALU_DEP_1)
	v_add_f32_e32 v3, v1, v175
	s_wait_loadcnt 0x0
	v_dual_sub_f32 v1, v162, v2 :: v_dual_sub_f32 v2, v163, v3
	scratch_store_b64 off, v[1:2], off offset:288
	v_cmpx_lt_u32_e32 35, v0
	s_cbranch_execz .LBB50_249
; %bb.248:
	scratch_load_b64 v[1:2], off, off offset:280
	v_mov_b32_e32 v3, 0
	s_delay_alu instid0(VALU_DEP_1)
	v_mov_b32_e32 v4, v3
	scratch_store_b64 off, v[3:4], off offset:280
	s_wait_loadcnt 0x0
	ds_store_b64 v23, v[1:2]
.LBB50_249:
	s_wait_alu 0xfffe
	s_or_b32 exec_lo, exec_lo, s0
	s_wait_storecnt_dscnt 0x0
	s_barrier_signal -1
	s_barrier_wait -1
	global_inv scope:SCOPE_SE
	s_clause 0x8
	scratch_load_b128 v[2:5], off, off offset:288
	scratch_load_b128 v[6:9], off, off offset:304
	;; [unrolled: 1-line block ×7, first 2 shown]
	scratch_load_b64 v[162:163], off, off offset:400
	scratch_load_b64 v[164:165], off, off offset:280
	v_mov_b32_e32 v1, 0
	ds_load_b128 v[134:137], v1 offset:704
	ds_load_b128 v[138:141], v1 offset:720
	;; [unrolled: 1-line block ×7, first 2 shown]
	ds_load_b64 v[166:167], v1 offset:816
	s_mov_b32 s0, exec_lo
	s_wait_loadcnt_dscnt 0x807
	v_mul_f32_e32 v22, v134, v3
	v_dual_mul_f32 v3, v135, v3 :: v_dual_mul_f32 v168, v136, v5
	s_wait_loadcnt_dscnt 0x706
	v_mul_f32_e32 v169, v138, v7
	v_mul_f32_e32 v5, v137, v5
	s_wait_loadcnt_dscnt 0x302
	v_mul_f32_e32 v178, v156, v129
	v_fma_f32 v3, v134, v2, -v3
	s_wait_loadcnt_dscnt 0x100
	v_dual_mul_f32 v181, v166, v163 :: v_dual_fmac_f32 v22, v135, v2
	v_mul_f32_e32 v2, v139, v7
	s_delay_alu instid0(VALU_DEP_3) | instskip(SKIP_4) | instid1(VALU_DEP_4)
	v_dual_fmac_f32 v168, v137, v4 :: v_dual_add_f32 v3, 0, v3
	v_fma_f32 v4, v136, v4, -v5
	v_dual_mul_f32 v170, v140, v9 :: v_dual_mul_f32 v171, v142, v11
	v_add_f32_e32 v5, 0, v22
	v_fma_f32 v2, v138, v6, -v2
	v_add_f32_e32 v3, v3, v4
	v_mul_f32_e32 v7, v141, v9
	v_dual_fmac_f32 v170, v141, v8 :: v_dual_fmac_f32 v169, v139, v6
	v_add_f32_e32 v4, v5, v168
	s_delay_alu instid0(VALU_DEP_4) | instskip(NEXT) | instid1(VALU_DEP_4)
	v_add_f32_e32 v2, v3, v2
	v_fma_f32 v6, v140, v8, -v7
	v_dual_mul_f32 v5, v143, v11 :: v_dual_mul_f32 v172, v144, v13
	v_mul_f32_e32 v173, v146, v15
	v_add_f32_e32 v3, v4, v169
	v_mul_f32_e32 v4, v145, v13
	v_add_f32_e32 v2, v2, v6
	v_fma_f32 v5, v142, v10, -v5
	v_dual_fmac_f32 v171, v143, v10 :: v_dual_fmac_f32 v172, v145, v12
	v_mul_f32_e32 v6, v147, v15
	s_delay_alu instid0(VALU_DEP_3) | instskip(SKIP_2) | instid1(VALU_DEP_4)
	v_dual_add_f32 v3, v3, v170 :: v_dual_add_f32 v2, v2, v5
	v_fma_f32 v4, v144, v12, -v4
	v_mul_f32_e32 v5, v149, v17
	v_fma_f32 v6, v146, v14, -v6
	s_delay_alu instid0(VALU_DEP_4) | instskip(SKIP_3) | instid1(VALU_DEP_4)
	v_dual_add_f32 v3, v3, v171 :: v_dual_mul_f32 v174, v148, v17
	v_mul_f32_e32 v175, v150, v19
	v_add_f32_e32 v2, v2, v4
	v_dual_mul_f32 v176, v152, v21 :: v_dual_mul_f32 v177, v154, v127
	v_dual_fmac_f32 v173, v147, v14 :: v_dual_fmac_f32 v174, v149, v16
	s_delay_alu instid0(VALU_DEP_3) | instskip(SKIP_3) | instid1(VALU_DEP_4)
	v_dual_add_f32 v3, v3, v172 :: v_dual_add_f32 v2, v2, v6
	v_mul_f32_e32 v4, v151, v19
	v_fma_f32 v5, v148, v16, -v5
	v_dual_mul_f32 v6, v153, v21 :: v_dual_fmac_f32 v175, v151, v18
	v_dual_add_f32 v3, v3, v173 :: v_dual_fmac_f32 v176, v153, v20
	s_delay_alu instid0(VALU_DEP_4) | instskip(NEXT) | instid1(VALU_DEP_4)
	v_fma_f32 v4, v150, v18, -v4
	v_add_f32_e32 v2, v2, v5
	s_delay_alu instid0(VALU_DEP_4) | instskip(NEXT) | instid1(VALU_DEP_4)
	v_fma_f32 v6, v152, v20, -v6
	v_add_f32_e32 v3, v3, v174
	v_mul_f32_e32 v5, v155, v127
	v_dual_mul_f32 v179, v158, v131 :: v_dual_mul_f32 v180, v160, v133
	s_delay_alu instid0(VALU_DEP_3) | instskip(SKIP_1) | instid1(VALU_DEP_4)
	v_dual_add_f32 v2, v2, v4 :: v_dual_add_f32 v3, v3, v175
	v_mul_f32_e32 v4, v157, v129
	v_fma_f32 v5, v154, v126, -v5
	v_dual_fmac_f32 v177, v155, v126 :: v_dual_fmac_f32 v178, v157, v128
	s_delay_alu instid0(VALU_DEP_4) | instskip(SKIP_2) | instid1(VALU_DEP_3)
	v_dual_add_f32 v2, v2, v6 :: v_dual_add_f32 v3, v3, v176
	v_mul_f32_e32 v6, v159, v131
	v_fma_f32 v4, v156, v128, -v4
	v_dual_fmac_f32 v179, v159, v130 :: v_dual_add_f32 v2, v2, v5
	s_delay_alu instid0(VALU_DEP_4) | instskip(SKIP_3) | instid1(VALU_DEP_4)
	v_add_f32_e32 v3, v3, v177
	v_mul_f32_e32 v5, v161, v133
	v_fma_f32 v6, v158, v130, -v6
	v_fmac_f32_e32 v180, v161, v132
	v_dual_add_f32 v2, v2, v4 :: v_dual_add_f32 v3, v3, v178
	v_mul_f32_e32 v4, v167, v163
	v_fma_f32 v5, v160, v132, -v5
	s_delay_alu instid0(VALU_DEP_3) | instskip(SKIP_1) | instid1(VALU_DEP_4)
	v_dual_add_f32 v2, v2, v6 :: v_dual_add_f32 v3, v3, v179
	v_fmac_f32_e32 v181, v167, v162
	v_fma_f32 v4, v166, v162, -v4
	s_delay_alu instid0(VALU_DEP_3) | instskip(NEXT) | instid1(VALU_DEP_1)
	v_add_f32_e32 v2, v2, v5
	v_add_f32_e32 v2, v2, v4
	s_wait_loadcnt 0x0
	s_delay_alu instid0(VALU_DEP_1) | instskip(NEXT) | instid1(VALU_DEP_1)
	v_dual_add_f32 v3, v3, v180 :: v_dual_sub_f32 v2, v164, v2
	v_add_f32_e32 v3, v3, v181
	s_delay_alu instid0(VALU_DEP_1)
	v_sub_f32_e32 v3, v165, v3
	scratch_store_b64 off, v[2:3], off offset:280
	v_cmpx_lt_u32_e32 34, v0
	s_cbranch_execz .LBB50_251
; %bb.250:
	scratch_load_b64 v[3:4], off, off offset:272
	v_mov_b32_e32 v2, v1
	scratch_store_b64 off, v[1:2], off offset:272
	s_wait_loadcnt 0x0
	ds_store_b64 v23, v[3:4]
.LBB50_251:
	s_wait_alu 0xfffe
	s_or_b32 exec_lo, exec_lo, s0
	s_wait_storecnt_dscnt 0x0
	s_barrier_signal -1
	s_barrier_wait -1
	global_inv scope:SCOPE_SE
	s_clause 0x8
	scratch_load_b128 v[2:5], off, off offset:280
	scratch_load_b128 v[6:9], off, off offset:296
	;; [unrolled: 1-line block ×8, first 2 shown]
	scratch_load_b64 v[170:171], off, off offset:272
	ds_load_2addr_b64 v[138:141], v1 offset0:87 offset1:88
	ds_load_2addr_b64 v[142:145], v1 offset0:89 offset1:90
	;; [unrolled: 1-line block ×8, first 2 shown]
	s_mov_b32 s0, exec_lo
	s_wait_loadcnt_dscnt 0x807
	v_dual_mul_f32 v1, v138, v3 :: v_dual_mul_f32 v22, v140, v5
	v_mul_f32_e32 v3, v139, v3
	s_wait_loadcnt_dscnt 0x706
	v_dual_mul_f32 v5, v141, v5 :: v_dual_mul_f32 v172, v142, v7
	s_delay_alu instid0(VALU_DEP_3) | instskip(NEXT) | instid1(VALU_DEP_3)
	v_dual_mul_f32 v173, v144, v9 :: v_dual_fmac_f32 v22, v141, v4
	v_fma_f32 v3, v138, v2, -v3
	v_fmac_f32_e32 v1, v139, v2
	v_mul_f32_e32 v2, v143, v7
	v_fma_f32 v4, v140, v4, -v5
	s_delay_alu instid0(VALU_DEP_4)
	v_dual_fmac_f32 v172, v143, v6 :: v_dual_add_f32 v3, 0, v3
	s_wait_loadcnt_dscnt 0x403
	v_dual_mul_f32 v178, v154, v19 :: v_dual_mul_f32 v179, v156, v21
	v_fma_f32 v2, v142, v6, -v2
	v_dual_mul_f32 v174, v146, v11 :: v_dual_mul_f32 v175, v148, v13
	v_add_f32_e32 v3, v3, v4
	v_dual_mul_f32 v5, v145, v9 :: v_dual_mul_f32 v176, v150, v15
	v_dual_mul_f32 v177, v152, v17 :: v_dual_mul_f32 v4, v147, v11
	s_delay_alu instid0(VALU_DEP_3) | instskip(NEXT) | instid1(VALU_DEP_3)
	v_add_f32_e32 v2, v3, v2
	v_fma_f32 v5, v144, v8, -v5
	v_dual_mul_f32 v3, v149, v13 :: v_dual_fmac_f32 v178, v155, v18
	s_delay_alu instid0(VALU_DEP_4) | instskip(SKIP_1) | instid1(VALU_DEP_4)
	v_fma_f32 v4, v146, v10, -v4
	v_dual_fmac_f32 v173, v145, v8 :: v_dual_fmac_f32 v174, v147, v10
	v_add_f32_e32 v2, v2, v5
	v_add_f32_e32 v1, 0, v1
	v_fma_f32 v3, v148, v12, -v3
	v_fmac_f32_e32 v176, v151, v14
	s_wait_loadcnt_dscnt 0x302
	v_dual_mul_f32 v180, v158, v127 :: v_dual_mul_f32 v181, v160, v129
	v_dual_add_f32 v1, v1, v22 :: v_dual_add_f32 v2, v2, v4
	v_mul_f32_e32 v4, v153, v17
	s_wait_loadcnt_dscnt 0x100
	v_dual_mul_f32 v184, v166, v135 :: v_dual_mul_f32 v185, v168, v137
	s_delay_alu instid0(VALU_DEP_3) | instskip(NEXT) | instid1(VALU_DEP_3)
	v_dual_add_f32 v1, v1, v172 :: v_dual_add_f32 v2, v2, v3
	v_fma_f32 v4, v152, v16, -v4
	v_mul_f32_e32 v5, v151, v15
	v_dual_mul_f32 v182, v162, v131 :: v_dual_mul_f32 v183, v164, v133
	s_delay_alu instid0(VALU_DEP_4) | instskip(SKIP_1) | instid1(VALU_DEP_4)
	v_add_f32_e32 v1, v1, v173
	v_fmac_f32_e32 v185, v169, v136
	v_fma_f32 v5, v150, v14, -v5
	v_dual_fmac_f32 v175, v149, v12 :: v_dual_fmac_f32 v180, v159, v126
	s_delay_alu instid0(VALU_DEP_4) | instskip(NEXT) | instid1(VALU_DEP_3)
	v_add_f32_e32 v1, v1, v174
	v_dual_fmac_f32 v183, v165, v132 :: v_dual_add_f32 v2, v2, v5
	v_fmac_f32_e32 v182, v163, v130
	v_fmac_f32_e32 v184, v167, v134
	s_delay_alu instid0(VALU_DEP_3) | instskip(SKIP_2) | instid1(VALU_DEP_2)
	v_add_f32_e32 v2, v2, v4
	v_mul_f32_e32 v4, v159, v127
	v_add_f32_e32 v1, v1, v175
	v_fma_f32 v4, v158, v126, -v4
	v_mul_f32_e32 v5, v157, v21
	s_delay_alu instid0(VALU_DEP_3) | instskip(NEXT) | instid1(VALU_DEP_2)
	v_add_f32_e32 v1, v1, v176
	v_fma_f32 v5, v156, v20, -v5
	v_mul_f32_e32 v3, v155, v19
	s_delay_alu instid0(VALU_DEP_1) | instskip(NEXT) | instid1(VALU_DEP_1)
	v_fma_f32 v3, v154, v18, -v3
	v_dual_fmac_f32 v177, v153, v16 :: v_dual_add_f32 v2, v2, v3
	v_mul_f32_e32 v3, v161, v129
	s_delay_alu instid0(VALU_DEP_2) | instskip(NEXT) | instid1(VALU_DEP_2)
	v_dual_add_f32 v2, v2, v5 :: v_dual_mul_f32 v5, v163, v131
	v_fma_f32 v3, v160, v128, -v3
	s_delay_alu instid0(VALU_DEP_2) | instskip(SKIP_1) | instid1(VALU_DEP_4)
	v_dual_add_f32 v2, v2, v4 :: v_dual_add_f32 v1, v1, v177
	v_mul_f32_e32 v4, v165, v133
	v_fma_f32 v5, v162, v130, -v5
	s_delay_alu instid0(VALU_DEP_3) | instskip(SKIP_1) | instid1(VALU_DEP_4)
	v_dual_add_f32 v2, v2, v3 :: v_dual_fmac_f32 v179, v157, v20
	v_mul_f32_e32 v3, v167, v135
	v_fma_f32 v4, v164, v132, -v4
	s_delay_alu instid0(VALU_DEP_3) | instskip(SKIP_1) | instid1(VALU_DEP_4)
	v_dual_add_f32 v2, v2, v5 :: v_dual_add_f32 v1, v1, v178
	v_mul_f32_e32 v5, v169, v137
	v_fma_f32 v3, v166, v134, -v3
	s_delay_alu instid0(VALU_DEP_3) | instskip(SKIP_1) | instid1(VALU_DEP_4)
	v_add_f32_e32 v2, v2, v4
	v_fmac_f32_e32 v181, v161, v128
	v_fma_f32 v4, v168, v136, -v5
	s_delay_alu instid0(VALU_DEP_3) | instskip(NEXT) | instid1(VALU_DEP_1)
	v_add_f32_e32 v2, v2, v3
	v_dual_add_f32 v1, v1, v179 :: v_dual_add_f32 v2, v2, v4
	s_delay_alu instid0(VALU_DEP_1) | instskip(NEXT) | instid1(VALU_DEP_1)
	v_add_f32_e32 v1, v1, v180
	v_add_f32_e32 v1, v1, v181
	s_delay_alu instid0(VALU_DEP_1) | instskip(NEXT) | instid1(VALU_DEP_1)
	v_add_f32_e32 v1, v1, v182
	v_add_f32_e32 v1, v1, v183
	;; [unrolled: 3-line block ×3, first 2 shown]
	s_wait_loadcnt 0x0
	s_delay_alu instid0(VALU_DEP_1)
	v_dual_sub_f32 v1, v170, v2 :: v_dual_sub_f32 v2, v171, v3
	scratch_store_b64 off, v[1:2], off offset:272
	v_cmpx_lt_u32_e32 33, v0
	s_cbranch_execz .LBB50_253
; %bb.252:
	scratch_load_b64 v[1:2], off, off offset:264
	v_mov_b32_e32 v3, 0
	s_delay_alu instid0(VALU_DEP_1)
	v_mov_b32_e32 v4, v3
	scratch_store_b64 off, v[3:4], off offset:264
	s_wait_loadcnt 0x0
	ds_store_b64 v23, v[1:2]
.LBB50_253:
	s_wait_alu 0xfffe
	s_or_b32 exec_lo, exec_lo, s0
	s_wait_storecnt_dscnt 0x0
	s_barrier_signal -1
	s_barrier_wait -1
	global_inv scope:SCOPE_SE
	s_clause 0x9
	scratch_load_b128 v[2:5], off, off offset:272
	scratch_load_b128 v[6:9], off, off offset:288
	;; [unrolled: 1-line block ×8, first 2 shown]
	scratch_load_b64 v[170:171], off, off offset:400
	scratch_load_b64 v[172:173], off, off offset:264
	v_mov_b32_e32 v1, 0
	ds_load_b128 v[138:141], v1 offset:688
	ds_load_b128 v[142:145], v1 offset:704
	;; [unrolled: 1-line block ×8, first 2 shown]
	ds_load_b64 v[174:175], v1 offset:816
	s_mov_b32 s0, exec_lo
	s_wait_loadcnt_dscnt 0x908
	v_mul_f32_e32 v22, v138, v3
	s_wait_loadcnt_dscnt 0x807
	v_dual_mul_f32 v176, v140, v5 :: v_dual_mul_f32 v177, v142, v7
	v_mul_f32_e32 v3, v139, v3
	s_delay_alu instid0(VALU_DEP_3)
	v_dual_mul_f32 v5, v141, v5 :: v_dual_fmac_f32 v22, v139, v2
	s_wait_loadcnt_dscnt 0x302
	v_mul_f32_e32 v188, v164, v133
	v_dual_mul_f32 v178, v144, v9 :: v_dual_mul_f32 v179, v146, v11
	s_wait_loadcnt_dscnt 0x100
	v_mul_f32_e32 v191, v174, v171
	v_fma_f32 v3, v138, v2, -v3
	v_mul_f32_e32 v2, v143, v7
	v_fmac_f32_e32 v176, v141, v4
	v_fma_f32 v4, v140, v4, -v5
	v_dual_add_f32 v5, 0, v22 :: v_dual_fmac_f32 v178, v145, v8
	v_add_f32_e32 v3, 0, v3
	v_fmac_f32_e32 v177, v143, v6
	v_fma_f32 v2, v142, v6, -v2
	v_dual_mul_f32 v180, v148, v13 :: v_dual_mul_f32 v181, v150, v15
	s_delay_alu instid0(VALU_DEP_4) | instskip(SKIP_2) | instid1(VALU_DEP_4)
	v_add_f32_e32 v3, v3, v4
	v_mul_f32_e32 v7, v145, v9
	v_dual_add_f32 v4, v5, v176 :: v_dual_fmac_f32 v179, v147, v10
	v_fmac_f32_e32 v180, v149, v12
	s_delay_alu instid0(VALU_DEP_4) | instskip(NEXT) | instid1(VALU_DEP_4)
	v_add_f32_e32 v2, v3, v2
	v_fma_f32 v6, v144, v8, -v7
	v_mul_f32_e32 v5, v147, v11
	v_add_f32_e32 v3, v4, v177
	v_mul_f32_e32 v4, v149, v13
	v_dual_mul_f32 v182, v152, v17 :: v_dual_mul_f32 v183, v154, v19
	v_add_f32_e32 v2, v2, v6
	v_fma_f32 v5, v146, v10, -v5
	v_mul_f32_e32 v6, v151, v15
	v_add_f32_e32 v3, v3, v178
	v_fma_f32 v4, v148, v12, -v4
	v_dual_fmac_f32 v181, v151, v14 :: v_dual_fmac_f32 v182, v153, v16
	s_delay_alu instid0(VALU_DEP_3) | instskip(SKIP_3) | instid1(VALU_DEP_4)
	v_dual_add_f32 v2, v2, v5 :: v_dual_add_f32 v3, v3, v179
	v_mul_f32_e32 v5, v153, v17
	v_fma_f32 v6, v150, v14, -v6
	v_dual_mul_f32 v184, v156, v21 :: v_dual_mul_f32 v185, v158, v127
	v_add_f32_e32 v2, v2, v4
	v_add_f32_e32 v3, v3, v180
	v_mul_f32_e32 v4, v155, v19
	v_fma_f32 v5, v152, v16, -v5
	v_fmac_f32_e32 v183, v155, v18
	s_delay_alu instid0(VALU_DEP_4) | instskip(SKIP_3) | instid1(VALU_DEP_4)
	v_dual_add_f32 v2, v2, v6 :: v_dual_add_f32 v3, v3, v181
	v_fmac_f32_e32 v184, v157, v20
	v_mul_f32_e32 v6, v157, v21
	v_fma_f32 v4, v154, v18, -v4
	v_dual_add_f32 v2, v2, v5 :: v_dual_add_f32 v3, v3, v182
	v_mul_f32_e32 v5, v159, v127
	s_delay_alu instid0(VALU_DEP_4) | instskip(SKIP_1) | instid1(VALU_DEP_4)
	v_fma_f32 v6, v156, v20, -v6
	v_dual_mul_f32 v186, v160, v129 :: v_dual_mul_f32 v187, v162, v131
	v_dual_add_f32 v2, v2, v4 :: v_dual_add_f32 v3, v3, v183
	v_dual_mul_f32 v4, v161, v129 :: v_dual_fmac_f32 v185, v159, v126
	s_delay_alu instid0(VALU_DEP_3) | instskip(SKIP_1) | instid1(VALU_DEP_4)
	v_fmac_f32_e32 v186, v161, v128
	v_fma_f32 v5, v158, v126, -v5
	v_dual_add_f32 v2, v2, v6 :: v_dual_add_f32 v3, v3, v184
	v_mul_f32_e32 v6, v163, v131
	v_fma_f32 v4, v160, v128, -v4
	s_delay_alu instid0(VALU_DEP_3) | instskip(NEXT) | instid1(VALU_DEP_4)
	v_dual_fmac_f32 v187, v163, v130 :: v_dual_add_f32 v2, v2, v5
	v_add_f32_e32 v3, v3, v185
	v_mul_f32_e32 v5, v165, v133
	v_fma_f32 v6, v162, v130, -v6
	v_dual_mul_f32 v189, v166, v135 :: v_dual_mul_f32 v190, v168, v137
	s_delay_alu instid0(VALU_DEP_4) | instskip(SKIP_3) | instid1(VALU_DEP_4)
	v_dual_add_f32 v2, v2, v4 :: v_dual_add_f32 v3, v3, v186
	v_fmac_f32_e32 v188, v165, v132
	v_mul_f32_e32 v4, v167, v135
	v_fma_f32 v5, v164, v132, -v5
	v_dual_add_f32 v2, v2, v6 :: v_dual_add_f32 v3, v3, v187
	v_dual_mul_f32 v6, v169, v137 :: v_dual_fmac_f32 v189, v167, v134
	s_delay_alu instid0(VALU_DEP_4) | instskip(NEXT) | instid1(VALU_DEP_3)
	v_fma_f32 v4, v166, v134, -v4
	v_dual_add_f32 v2, v2, v5 :: v_dual_add_f32 v3, v3, v188
	v_dual_mul_f32 v5, v175, v171 :: v_dual_fmac_f32 v190, v169, v136
	s_delay_alu instid0(VALU_DEP_4) | instskip(NEXT) | instid1(VALU_DEP_3)
	v_fma_f32 v6, v168, v136, -v6
	v_dual_add_f32 v2, v2, v4 :: v_dual_add_f32 v3, v3, v189
	s_delay_alu instid0(VALU_DEP_3) | instskip(NEXT) | instid1(VALU_DEP_2)
	v_fma_f32 v4, v174, v170, -v5
	v_add_f32_e32 v3, v3, v190
	s_delay_alu instid0(VALU_DEP_3) | instskip(NEXT) | instid1(VALU_DEP_1)
	v_add_f32_e32 v2, v2, v6
	v_dual_fmac_f32 v191, v175, v170 :: v_dual_add_f32 v2, v2, v4
	s_wait_loadcnt 0x0
	s_delay_alu instid0(VALU_DEP_1) | instskip(NEXT) | instid1(VALU_DEP_1)
	v_dual_add_f32 v3, v3, v191 :: v_dual_sub_f32 v2, v172, v2
	v_sub_f32_e32 v3, v173, v3
	scratch_store_b64 off, v[2:3], off offset:264
	v_cmpx_lt_u32_e32 32, v0
	s_cbranch_execz .LBB50_255
; %bb.254:
	scratch_load_b64 v[3:4], off, off offset:256
	v_mov_b32_e32 v2, v1
	scratch_store_b64 off, v[1:2], off offset:256
	s_wait_loadcnt 0x0
	ds_store_b64 v23, v[3:4]
.LBB50_255:
	s_wait_alu 0xfffe
	s_or_b32 exec_lo, exec_lo, s0
	s_wait_storecnt_dscnt 0x0
	s_barrier_signal -1
	s_barrier_wait -1
	global_inv scope:SCOPE_SE
	s_clause 0x9
	scratch_load_b128 v[2:5], off, off offset:264
	scratch_load_b128 v[6:9], off, off offset:280
	;; [unrolled: 1-line block ×9, first 2 shown]
	scratch_load_b64 v[178:179], off, off offset:256
	ds_load_2addr_b64 v[142:145], v1 offset0:85 offset1:86
	ds_load_2addr_b64 v[146:149], v1 offset0:87 offset1:88
	;; [unrolled: 1-line block ×9, first 2 shown]
	s_mov_b32 s0, exec_lo
	s_wait_loadcnt_dscnt 0x908
	v_dual_mul_f32 v1, v142, v3 :: v_dual_mul_f32 v22, v144, v5
	v_mul_f32_e32 v3, v143, v3
	s_wait_loadcnt_dscnt 0x807
	v_dual_mul_f32 v5, v145, v5 :: v_dual_mul_f32 v180, v146, v7
	s_delay_alu instid0(VALU_DEP_3) | instskip(NEXT) | instid1(VALU_DEP_3)
	v_dual_mul_f32 v181, v148, v9 :: v_dual_fmac_f32 v22, v145, v4
	v_fma_f32 v3, v142, v2, -v3
	v_fmac_f32_e32 v1, v143, v2
	v_mul_f32_e32 v2, v147, v7
	v_fma_f32 v4, v144, v4, -v5
	s_delay_alu instid0(VALU_DEP_4)
	v_dual_fmac_f32 v180, v147, v6 :: v_dual_add_f32 v3, 0, v3
	s_wait_loadcnt_dscnt 0x504
	v_dual_mul_f32 v186, v158, v19 :: v_dual_mul_f32 v187, v160, v21
	v_fma_f32 v2, v146, v6, -v2
	v_dual_mul_f32 v182, v150, v11 :: v_dual_mul_f32 v183, v152, v13
	v_add_f32_e32 v3, v3, v4
	v_dual_mul_f32 v5, v149, v9 :: v_dual_mul_f32 v184, v154, v15
	v_dual_mul_f32 v185, v156, v17 :: v_dual_mul_f32 v4, v151, v11
	s_delay_alu instid0(VALU_DEP_3) | instskip(NEXT) | instid1(VALU_DEP_3)
	v_add_f32_e32 v2, v3, v2
	v_fma_f32 v5, v148, v8, -v5
	v_dual_mul_f32 v3, v153, v13 :: v_dual_fmac_f32 v186, v159, v18
	s_delay_alu instid0(VALU_DEP_4) | instskip(SKIP_1) | instid1(VALU_DEP_4)
	v_fma_f32 v4, v150, v10, -v4
	v_dual_fmac_f32 v181, v149, v8 :: v_dual_fmac_f32 v182, v151, v10
	v_add_f32_e32 v2, v2, v5
	v_add_f32_e32 v1, 0, v1
	v_fma_f32 v3, v152, v12, -v3
	v_fmac_f32_e32 v184, v155, v14
	s_wait_loadcnt_dscnt 0x403
	v_dual_mul_f32 v188, v162, v127 :: v_dual_mul_f32 v189, v164, v129
	v_dual_add_f32 v1, v1, v22 :: v_dual_add_f32 v2, v2, v4
	v_mul_f32_e32 v4, v157, v17
	s_wait_loadcnt_dscnt 0x201
	v_dual_mul_f32 v192, v170, v135 :: v_dual_mul_f32 v193, v172, v137
	s_delay_alu instid0(VALU_DEP_3) | instskip(NEXT) | instid1(VALU_DEP_3)
	v_dual_add_f32 v1, v1, v180 :: v_dual_add_f32 v2, v2, v3
	v_fma_f32 v4, v156, v16, -v4
	v_mul_f32_e32 v5, v155, v15
	v_dual_mul_f32 v190, v166, v131 :: v_dual_mul_f32 v191, v168, v133
	s_wait_loadcnt_dscnt 0x100
	v_dual_add_f32 v1, v1, v181 :: v_dual_mul_f32 v194, v174, v139
	v_mul_f32_e32 v195, v176, v141
	v_fma_f32 v5, v154, v14, -v5
	v_fmac_f32_e32 v183, v153, v12
	s_delay_alu instid0(VALU_DEP_4) | instskip(SKIP_1) | instid1(VALU_DEP_4)
	v_add_f32_e32 v1, v1, v182
	v_dual_fmac_f32 v188, v163, v126 :: v_dual_fmac_f32 v189, v165, v128
	v_add_f32_e32 v2, v2, v5
	v_dual_fmac_f32 v190, v167, v130 :: v_dual_fmac_f32 v193, v173, v136
	v_dual_fmac_f32 v195, v177, v140 :: v_dual_fmac_f32 v192, v171, v134
	s_delay_alu instid0(VALU_DEP_3) | instskip(SKIP_2) | instid1(VALU_DEP_2)
	v_add_f32_e32 v2, v2, v4
	v_mul_f32_e32 v4, v163, v127
	v_dual_add_f32 v1, v1, v183 :: v_dual_fmac_f32 v194, v175, v138
	v_fma_f32 v4, v162, v126, -v4
	v_mul_f32_e32 v5, v161, v21
	s_delay_alu instid0(VALU_DEP_3) | instskip(NEXT) | instid1(VALU_DEP_2)
	v_add_f32_e32 v1, v1, v184
	v_fma_f32 v5, v160, v20, -v5
	v_mul_f32_e32 v3, v159, v19
	s_delay_alu instid0(VALU_DEP_1) | instskip(NEXT) | instid1(VALU_DEP_1)
	v_fma_f32 v3, v158, v18, -v3
	v_dual_fmac_f32 v185, v157, v16 :: v_dual_add_f32 v2, v2, v3
	v_mul_f32_e32 v3, v165, v129
	s_delay_alu instid0(VALU_DEP_2) | instskip(NEXT) | instid1(VALU_DEP_2)
	v_dual_add_f32 v2, v2, v5 :: v_dual_mul_f32 v5, v167, v131
	v_fma_f32 v3, v164, v128, -v3
	s_delay_alu instid0(VALU_DEP_2) | instskip(SKIP_1) | instid1(VALU_DEP_4)
	v_dual_add_f32 v2, v2, v4 :: v_dual_add_f32 v1, v1, v185
	v_mul_f32_e32 v4, v169, v133
	v_fma_f32 v5, v166, v130, -v5
	s_delay_alu instid0(VALU_DEP_3) | instskip(NEXT) | instid1(VALU_DEP_3)
	v_dual_add_f32 v2, v2, v3 :: v_dual_fmac_f32 v187, v161, v20
	v_fma_f32 v4, v168, v132, -v4
	s_delay_alu instid0(VALU_DEP_2) | instskip(SKIP_1) | instid1(VALU_DEP_2)
	v_add_f32_e32 v2, v2, v5
	v_mul_f32_e32 v5, v173, v137
	v_dual_add_f32 v1, v1, v186 :: v_dual_add_f32 v2, v2, v4
	s_delay_alu instid0(VALU_DEP_2) | instskip(SKIP_1) | instid1(VALU_DEP_3)
	v_fma_f32 v5, v172, v136, -v5
	v_mul_f32_e32 v3, v171, v135
	v_add_f32_e32 v1, v1, v187
	v_mul_f32_e32 v4, v175, v139
	s_delay_alu instid0(VALU_DEP_3) | instskip(NEXT) | instid1(VALU_DEP_3)
	v_fma_f32 v3, v170, v134, -v3
	v_add_f32_e32 v1, v1, v188
	s_delay_alu instid0(VALU_DEP_3) | instskip(NEXT) | instid1(VALU_DEP_3)
	v_fma_f32 v4, v174, v138, -v4
	v_dual_add_f32 v2, v2, v3 :: v_dual_mul_f32 v3, v177, v141
	s_delay_alu instid0(VALU_DEP_1) | instskip(NEXT) | instid1(VALU_DEP_4)
	v_add_f32_e32 v2, v2, v5
	v_add_f32_e32 v1, v1, v189
	s_delay_alu instid0(VALU_DEP_3) | instskip(NEXT) | instid1(VALU_DEP_3)
	v_fma_f32 v3, v176, v140, -v3
	v_add_f32_e32 v2, v2, v4
	v_fmac_f32_e32 v191, v169, v132
	s_delay_alu instid0(VALU_DEP_2) | instskip(NEXT) | instid1(VALU_DEP_1)
	v_dual_add_f32 v1, v1, v190 :: v_dual_add_f32 v2, v2, v3
	v_add_f32_e32 v1, v1, v191
	s_delay_alu instid0(VALU_DEP_1) | instskip(NEXT) | instid1(VALU_DEP_1)
	v_add_f32_e32 v1, v1, v192
	v_add_f32_e32 v1, v1, v193
	s_delay_alu instid0(VALU_DEP_1) | instskip(NEXT) | instid1(VALU_DEP_1)
	v_add_f32_e32 v1, v1, v194
	v_add_f32_e32 v3, v1, v195
	s_wait_loadcnt 0x0
	s_delay_alu instid0(VALU_DEP_1)
	v_dual_sub_f32 v1, v178, v2 :: v_dual_sub_f32 v2, v179, v3
	scratch_store_b64 off, v[1:2], off offset:256
	v_cmpx_lt_u32_e32 31, v0
	s_cbranch_execz .LBB50_257
; %bb.256:
	scratch_load_b64 v[1:2], off, off offset:248
	v_mov_b32_e32 v3, 0
	s_delay_alu instid0(VALU_DEP_1)
	v_mov_b32_e32 v4, v3
	scratch_store_b64 off, v[3:4], off offset:248
	s_wait_loadcnt 0x0
	ds_store_b64 v23, v[1:2]
.LBB50_257:
	s_wait_alu 0xfffe
	s_or_b32 exec_lo, exec_lo, s0
	s_wait_storecnt_dscnt 0x0
	s_barrier_signal -1
	s_barrier_wait -1
	global_inv scope:SCOPE_SE
	s_clause 0xa
	scratch_load_b128 v[2:5], off, off offset:256
	scratch_load_b128 v[6:9], off, off offset:272
	;; [unrolled: 1-line block ×9, first 2 shown]
	scratch_load_b64 v[178:179], off, off offset:400
	scratch_load_b64 v[180:181], off, off offset:248
	v_mov_b32_e32 v1, 0
	ds_load_b128 v[142:145], v1 offset:672
	ds_load_b128 v[146:149], v1 offset:688
	;; [unrolled: 1-line block ×9, first 2 shown]
	ds_load_b64 v[182:183], v1 offset:816
	s_mov_b32 s0, exec_lo
	s_wait_loadcnt_dscnt 0xa09
	v_mul_f32_e32 v22, v142, v3
	s_wait_loadcnt_dscnt 0x908
	v_dual_mul_f32 v184, v144, v5 :: v_dual_mul_f32 v185, v146, v7
	v_mul_f32_e32 v3, v143, v3
	s_delay_alu instid0(VALU_DEP_3)
	v_dual_mul_f32 v5, v145, v5 :: v_dual_fmac_f32 v22, v143, v2
	s_wait_loadcnt_dscnt 0x807
	v_dual_mul_f32 v186, v148, v9 :: v_dual_mul_f32 v187, v150, v11
	s_wait_loadcnt_dscnt 0x100
	v_dual_mul_f32 v198, v172, v137 :: v_dual_mul_f32 v201, v182, v179
	v_fma_f32 v3, v142, v2, -v3
	v_mul_f32_e32 v2, v147, v7
	v_fmac_f32_e32 v184, v145, v4
	v_fma_f32 v4, v144, v4, -v5
	v_dual_add_f32 v5, 0, v22 :: v_dual_fmac_f32 v186, v149, v8
	v_add_f32_e32 v3, 0, v3
	v_fmac_f32_e32 v185, v147, v6
	v_fma_f32 v2, v146, v6, -v2
	v_dual_mul_f32 v188, v152, v13 :: v_dual_mul_f32 v189, v154, v15
	s_delay_alu instid0(VALU_DEP_4) | instskip(SKIP_2) | instid1(VALU_DEP_4)
	v_add_f32_e32 v3, v3, v4
	v_mul_f32_e32 v7, v149, v9
	v_dual_add_f32 v4, v5, v184 :: v_dual_fmac_f32 v187, v151, v10
	v_fmac_f32_e32 v188, v153, v12
	s_delay_alu instid0(VALU_DEP_4) | instskip(NEXT) | instid1(VALU_DEP_4)
	v_add_f32_e32 v2, v3, v2
	v_fma_f32 v6, v148, v8, -v7
	v_mul_f32_e32 v5, v151, v11
	v_add_f32_e32 v3, v4, v185
	v_mul_f32_e32 v4, v153, v13
	v_dual_mul_f32 v190, v156, v17 :: v_dual_mul_f32 v191, v158, v19
	v_add_f32_e32 v2, v2, v6
	v_fma_f32 v5, v150, v10, -v5
	v_mul_f32_e32 v6, v155, v15
	v_add_f32_e32 v3, v3, v186
	v_fma_f32 v4, v152, v12, -v4
	v_dual_fmac_f32 v189, v155, v14 :: v_dual_fmac_f32 v190, v157, v16
	s_delay_alu instid0(VALU_DEP_3) | instskip(SKIP_3) | instid1(VALU_DEP_4)
	v_dual_add_f32 v2, v2, v5 :: v_dual_add_f32 v3, v3, v187
	v_mul_f32_e32 v5, v157, v17
	v_fma_f32 v6, v154, v14, -v6
	v_dual_mul_f32 v192, v160, v21 :: v_dual_mul_f32 v193, v162, v127
	v_add_f32_e32 v2, v2, v4
	v_add_f32_e32 v3, v3, v188
	v_mul_f32_e32 v4, v159, v19
	v_fma_f32 v5, v156, v16, -v5
	v_fmac_f32_e32 v191, v159, v18
	s_delay_alu instid0(VALU_DEP_4) | instskip(SKIP_3) | instid1(VALU_DEP_4)
	v_dual_add_f32 v2, v2, v6 :: v_dual_add_f32 v3, v3, v189
	v_fmac_f32_e32 v192, v161, v20
	v_mul_f32_e32 v6, v161, v21
	v_fma_f32 v4, v158, v18, -v4
	v_dual_add_f32 v2, v2, v5 :: v_dual_add_f32 v3, v3, v190
	v_mul_f32_e32 v5, v163, v127
	s_delay_alu instid0(VALU_DEP_4) | instskip(SKIP_1) | instid1(VALU_DEP_4)
	v_fma_f32 v6, v160, v20, -v6
	v_dual_mul_f32 v194, v164, v129 :: v_dual_mul_f32 v195, v166, v131
	v_dual_add_f32 v2, v2, v4 :: v_dual_add_f32 v3, v3, v191
	v_dual_mul_f32 v4, v165, v129 :: v_dual_fmac_f32 v193, v163, v126
	s_delay_alu instid0(VALU_DEP_3) | instskip(SKIP_1) | instid1(VALU_DEP_4)
	v_fmac_f32_e32 v194, v165, v128
	v_fma_f32 v5, v162, v126, -v5
	v_dual_add_f32 v2, v2, v6 :: v_dual_add_f32 v3, v3, v192
	v_mul_f32_e32 v6, v167, v131
	v_fma_f32 v4, v164, v128, -v4
	s_delay_alu instid0(VALU_DEP_3) | instskip(NEXT) | instid1(VALU_DEP_4)
	v_dual_fmac_f32 v195, v167, v130 :: v_dual_add_f32 v2, v2, v5
	v_add_f32_e32 v3, v3, v193
	v_dual_mul_f32 v196, v168, v133 :: v_dual_mul_f32 v197, v170, v135
	v_mul_f32_e32 v5, v169, v133
	v_fma_f32 v6, v166, v130, -v6
	s_delay_alu instid0(VALU_DEP_4) | instskip(NEXT) | instid1(VALU_DEP_4)
	v_dual_add_f32 v2, v2, v4 :: v_dual_add_f32 v3, v3, v194
	v_fmac_f32_e32 v196, v169, v132
	v_mul_f32_e32 v4, v171, v135
	v_fma_f32 v5, v168, v132, -v5
	s_delay_alu instid0(VALU_DEP_4) | instskip(SKIP_1) | instid1(VALU_DEP_4)
	v_dual_add_f32 v2, v2, v6 :: v_dual_add_f32 v3, v3, v195
	v_dual_mul_f32 v6, v173, v137 :: v_dual_fmac_f32 v197, v171, v134
	v_fma_f32 v4, v170, v134, -v4
	s_delay_alu instid0(VALU_DEP_3) | instskip(SKIP_3) | instid1(VALU_DEP_4)
	v_dual_add_f32 v2, v2, v5 :: v_dual_add_f32 v3, v3, v196
	v_dual_mul_f32 v199, v174, v139 :: v_dual_mul_f32 v200, v176, v141
	v_dual_mul_f32 v5, v175, v139 :: v_dual_fmac_f32 v198, v173, v136
	v_fma_f32 v6, v172, v136, -v6
	v_dual_add_f32 v2, v2, v4 :: v_dual_add_f32 v3, v3, v197
	s_delay_alu instid0(VALU_DEP_4) | instskip(NEXT) | instid1(VALU_DEP_4)
	v_dual_mul_f32 v4, v177, v141 :: v_dual_fmac_f32 v199, v175, v138
	v_fma_f32 v5, v174, v138, -v5
	s_delay_alu instid0(VALU_DEP_3) | instskip(NEXT) | instid1(VALU_DEP_4)
	v_dual_fmac_f32 v200, v177, v140 :: v_dual_add_f32 v3, v3, v198
	v_add_f32_e32 v2, v2, v6
	v_mul_f32_e32 v6, v183, v179
	v_fma_f32 v4, v176, v140, -v4
	v_fmac_f32_e32 v201, v183, v178
	s_delay_alu instid0(VALU_DEP_4) | instskip(NEXT) | instid1(VALU_DEP_4)
	v_dual_add_f32 v3, v3, v199 :: v_dual_add_f32 v2, v2, v5
	v_fma_f32 v5, v182, v178, -v6
	s_delay_alu instid0(VALU_DEP_2) | instskip(NEXT) | instid1(VALU_DEP_1)
	v_add_f32_e32 v3, v3, v200
	v_dual_add_f32 v2, v2, v4 :: v_dual_add_f32 v3, v3, v201
	s_wait_loadcnt 0x0
	s_delay_alu instid0(VALU_DEP_1) | instskip(NEXT) | instid1(VALU_DEP_1)
	v_dual_add_f32 v2, v2, v5 :: v_dual_sub_f32 v3, v181, v3
	v_sub_f32_e32 v2, v180, v2
	scratch_store_b64 off, v[2:3], off offset:248
	v_cmpx_lt_u32_e32 30, v0
	s_cbranch_execz .LBB50_259
; %bb.258:
	scratch_load_b64 v[3:4], off, off offset:240
	v_mov_b32_e32 v2, v1
	scratch_store_b64 off, v[1:2], off offset:240
	s_wait_loadcnt 0x0
	ds_store_b64 v23, v[3:4]
.LBB50_259:
	s_wait_alu 0xfffe
	s_or_b32 exec_lo, exec_lo, s0
	s_wait_storecnt_dscnt 0x0
	s_barrier_signal -1
	s_barrier_wait -1
	global_inv scope:SCOPE_SE
	s_clause 0xa
	scratch_load_b128 v[2:5], off, off offset:248
	scratch_load_b128 v[6:9], off, off offset:264
	;; [unrolled: 1-line block ×10, first 2 shown]
	scratch_load_b64 v[186:187], off, off offset:240
	ds_load_2addr_b64 v[146:149], v1 offset0:83 offset1:84
	ds_load_2addr_b64 v[150:153], v1 offset0:85 offset1:86
	;; [unrolled: 1-line block ×10, first 2 shown]
	s_mov_b32 s0, exec_lo
	s_wait_loadcnt_dscnt 0xa09
	v_dual_mul_f32 v1, v146, v3 :: v_dual_mul_f32 v22, v148, v5
	v_mul_f32_e32 v3, v147, v3
	s_wait_loadcnt_dscnt 0x908
	v_dual_mul_f32 v5, v149, v5 :: v_dual_mul_f32 v188, v150, v7
	s_delay_alu instid0(VALU_DEP_3) | instskip(NEXT) | instid1(VALU_DEP_3)
	v_dual_mul_f32 v189, v152, v9 :: v_dual_fmac_f32 v22, v149, v4
	v_fma_f32 v3, v146, v2, -v3
	v_fmac_f32_e32 v1, v147, v2
	v_mul_f32_e32 v2, v151, v7
	v_fma_f32 v4, v148, v4, -v5
	s_delay_alu instid0(VALU_DEP_4)
	v_dual_fmac_f32 v188, v151, v6 :: v_dual_add_f32 v3, 0, v3
	s_wait_loadcnt_dscnt 0x605
	v_dual_mul_f32 v194, v162, v19 :: v_dual_mul_f32 v195, v164, v21
	v_fma_f32 v2, v150, v6, -v2
	v_dual_mul_f32 v190, v154, v11 :: v_dual_mul_f32 v191, v156, v13
	v_add_f32_e32 v3, v3, v4
	v_dual_mul_f32 v5, v153, v9 :: v_dual_mul_f32 v192, v158, v15
	v_dual_mul_f32 v193, v160, v17 :: v_dual_mul_f32 v4, v155, v11
	s_delay_alu instid0(VALU_DEP_3) | instskip(NEXT) | instid1(VALU_DEP_3)
	v_add_f32_e32 v2, v3, v2
	v_fma_f32 v5, v152, v8, -v5
	v_dual_mul_f32 v3, v157, v13 :: v_dual_fmac_f32 v194, v163, v18
	s_delay_alu instid0(VALU_DEP_4) | instskip(SKIP_1) | instid1(VALU_DEP_4)
	v_fma_f32 v4, v154, v10, -v4
	v_dual_fmac_f32 v189, v153, v8 :: v_dual_fmac_f32 v190, v155, v10
	v_add_f32_e32 v2, v2, v5
	v_add_f32_e32 v1, 0, v1
	v_fma_f32 v3, v156, v12, -v3
	v_fmac_f32_e32 v192, v159, v14
	s_wait_loadcnt_dscnt 0x504
	v_dual_mul_f32 v196, v166, v127 :: v_dual_mul_f32 v197, v168, v129
	v_dual_add_f32 v1, v1, v22 :: v_dual_add_f32 v2, v2, v4
	v_mul_f32_e32 v4, v161, v17
	s_wait_loadcnt_dscnt 0x302
	v_dual_mul_f32 v200, v174, v135 :: v_dual_mul_f32 v201, v176, v137
	s_delay_alu instid0(VALU_DEP_3) | instskip(NEXT) | instid1(VALU_DEP_3)
	v_dual_add_f32 v1, v1, v188 :: v_dual_add_f32 v2, v2, v3
	v_fma_f32 v4, v160, v16, -v4
	v_mul_f32_e32 v5, v159, v15
	v_dual_mul_f32 v198, v170, v131 :: v_dual_mul_f32 v199, v172, v133
	s_wait_loadcnt_dscnt 0x201
	v_dual_add_f32 v1, v1, v189 :: v_dual_mul_f32 v202, v178, v139
	v_mul_f32_e32 v203, v180, v141
	v_fma_f32 v5, v158, v14, -v5
	v_fmac_f32_e32 v191, v157, v12
	s_delay_alu instid0(VALU_DEP_4) | instskip(SKIP_1) | instid1(VALU_DEP_4)
	v_add_f32_e32 v1, v1, v190
	v_dual_fmac_f32 v196, v167, v126 :: v_dual_fmac_f32 v197, v169, v128
	v_add_f32_e32 v2, v2, v5
	v_fmac_f32_e32 v198, v171, v130
	s_wait_loadcnt_dscnt 0x100
	v_dual_mul_f32 v204, v182, v143 :: v_dual_mul_f32 v205, v184, v145
	v_fmac_f32_e32 v199, v173, v132
	v_add_f32_e32 v2, v2, v4
	v_mul_f32_e32 v4, v167, v127
	s_delay_alu instid0(VALU_DEP_4) | instskip(SKIP_2) | instid1(VALU_DEP_4)
	v_dual_add_f32 v1, v1, v191 :: v_dual_fmac_f32 v204, v183, v142
	v_fmac_f32_e32 v201, v177, v136
	v_fmac_f32_e32 v203, v181, v140
	v_fma_f32 v4, v166, v126, -v4
	v_mul_f32_e32 v5, v165, v21
	v_add_f32_e32 v1, v1, v192
	v_dual_fmac_f32 v205, v185, v144 :: v_dual_fmac_f32 v200, v175, v134
	v_fmac_f32_e32 v202, v179, v138
	s_delay_alu instid0(VALU_DEP_4) | instskip(SKIP_1) | instid1(VALU_DEP_1)
	v_fma_f32 v5, v164, v20, -v5
	v_mul_f32_e32 v3, v163, v19
	v_fma_f32 v3, v162, v18, -v3
	s_delay_alu instid0(VALU_DEP_1) | instskip(SKIP_1) | instid1(VALU_DEP_2)
	v_dual_fmac_f32 v193, v161, v16 :: v_dual_add_f32 v2, v2, v3
	v_mul_f32_e32 v3, v169, v129
	v_dual_add_f32 v2, v2, v5 :: v_dual_mul_f32 v5, v171, v131
	s_delay_alu instid0(VALU_DEP_2) | instskip(NEXT) | instid1(VALU_DEP_2)
	v_fma_f32 v3, v168, v128, -v3
	v_dual_add_f32 v2, v2, v4 :: v_dual_add_f32 v1, v1, v193
	v_mul_f32_e32 v4, v173, v133
	s_delay_alu instid0(VALU_DEP_4) | instskip(NEXT) | instid1(VALU_DEP_3)
	v_fma_f32 v5, v170, v130, -v5
	v_dual_add_f32 v2, v2, v3 :: v_dual_fmac_f32 v195, v165, v20
	s_delay_alu instid0(VALU_DEP_3) | instskip(NEXT) | instid1(VALU_DEP_2)
	v_fma_f32 v4, v172, v132, -v4
	v_add_f32_e32 v2, v2, v5
	v_mul_f32_e32 v5, v177, v137
	s_delay_alu instid0(VALU_DEP_2) | instskip(NEXT) | instid1(VALU_DEP_2)
	v_dual_add_f32 v1, v1, v194 :: v_dual_add_f32 v2, v2, v4
	v_fma_f32 v5, v176, v136, -v5
	v_mul_f32_e32 v3, v175, v135
	s_delay_alu instid0(VALU_DEP_3) | instskip(SKIP_1) | instid1(VALU_DEP_3)
	v_add_f32_e32 v1, v1, v195
	v_mul_f32_e32 v4, v179, v139
	v_fma_f32 v3, v174, v134, -v3
	s_delay_alu instid0(VALU_DEP_3) | instskip(NEXT) | instid1(VALU_DEP_3)
	v_add_f32_e32 v1, v1, v196
	v_fma_f32 v4, v178, v138, -v4
	s_delay_alu instid0(VALU_DEP_3) | instskip(NEXT) | instid1(VALU_DEP_1)
	v_dual_add_f32 v2, v2, v3 :: v_dual_mul_f32 v3, v181, v141
	v_add_f32_e32 v2, v2, v5
	s_delay_alu instid0(VALU_DEP_4) | instskip(SKIP_1) | instid1(VALU_DEP_4)
	v_add_f32_e32 v1, v1, v197
	v_mul_f32_e32 v5, v183, v143
	v_fma_f32 v3, v180, v140, -v3
	s_delay_alu instid0(VALU_DEP_3) | instskip(SKIP_1) | instid1(VALU_DEP_4)
	v_dual_add_f32 v2, v2, v4 :: v_dual_add_f32 v1, v1, v198
	v_mul_f32_e32 v4, v185, v145
	v_fma_f32 v5, v182, v142, -v5
	s_delay_alu instid0(VALU_DEP_3) | instskip(NEXT) | instid1(VALU_DEP_4)
	v_add_f32_e32 v2, v2, v3
	v_add_f32_e32 v1, v1, v199
	s_delay_alu instid0(VALU_DEP_4) | instskip(NEXT) | instid1(VALU_DEP_2)
	v_fma_f32 v3, v184, v144, -v4
	v_dual_add_f32 v2, v2, v5 :: v_dual_add_f32 v1, v1, v200
	s_delay_alu instid0(VALU_DEP_1) | instskip(NEXT) | instid1(VALU_DEP_1)
	v_dual_add_f32 v2, v2, v3 :: v_dual_add_f32 v1, v1, v201
	v_add_f32_e32 v1, v1, v202
	s_delay_alu instid0(VALU_DEP_1) | instskip(NEXT) | instid1(VALU_DEP_1)
	v_add_f32_e32 v1, v1, v203
	v_add_f32_e32 v1, v1, v204
	s_delay_alu instid0(VALU_DEP_1) | instskip(SKIP_1) | instid1(VALU_DEP_1)
	v_add_f32_e32 v3, v1, v205
	s_wait_loadcnt 0x0
	v_dual_sub_f32 v1, v186, v2 :: v_dual_sub_f32 v2, v187, v3
	scratch_store_b64 off, v[1:2], off offset:240
	v_cmpx_lt_u32_e32 29, v0
	s_cbranch_execz .LBB50_261
; %bb.260:
	scratch_load_b64 v[1:2], off, off offset:232
	v_mov_b32_e32 v3, 0
	s_delay_alu instid0(VALU_DEP_1)
	v_mov_b32_e32 v4, v3
	scratch_store_b64 off, v[3:4], off offset:232
	s_wait_loadcnt 0x0
	ds_store_b64 v23, v[1:2]
.LBB50_261:
	s_wait_alu 0xfffe
	s_or_b32 exec_lo, exec_lo, s0
	s_wait_storecnt_dscnt 0x0
	s_barrier_signal -1
	s_barrier_wait -1
	global_inv scope:SCOPE_SE
	s_clause 0xb
	scratch_load_b128 v[2:5], off, off offset:240
	scratch_load_b128 v[6:9], off, off offset:256
	;; [unrolled: 1-line block ×10, first 2 shown]
	scratch_load_b64 v[186:187], off, off offset:400
	scratch_load_b64 v[188:189], off, off offset:232
	v_mov_b32_e32 v1, 0
	ds_load_b128 v[146:149], v1 offset:656
	ds_load_b128 v[150:153], v1 offset:672
	;; [unrolled: 1-line block ×10, first 2 shown]
	ds_load_b64 v[190:191], v1 offset:816
	s_mov_b32 s0, exec_lo
	s_wait_loadcnt_dscnt 0xb0a
	v_mul_f32_e32 v22, v146, v3
	s_wait_loadcnt_dscnt 0xa09
	v_dual_mul_f32 v192, v148, v5 :: v_dual_mul_f32 v193, v150, v7
	v_mul_f32_e32 v5, v149, v5
	v_dual_mul_f32 v3, v147, v3 :: v_dual_mul_f32 v194, v152, v9
	s_wait_loadcnt_dscnt 0x908
	v_dual_mul_f32 v195, v154, v11 :: v_dual_fmac_f32 v22, v147, v2
	s_wait_loadcnt_dscnt 0x302
	v_mul_f32_e32 v208, v180, v141
	v_fma_f32 v3, v146, v2, -v3
	s_wait_loadcnt_dscnt 0x100
	v_mul_f32_e32 v211, v190, v187
	v_mul_f32_e32 v2, v151, v7
	v_fmac_f32_e32 v192, v149, v4
	v_fma_f32 v4, v148, v4, -v5
	v_add_f32_e32 v3, 0, v3
	v_dual_add_f32 v5, 0, v22 :: v_dual_fmac_f32 v194, v153, v8
	v_fmac_f32_e32 v193, v151, v6
	v_fma_f32 v2, v150, v6, -v2
	s_delay_alu instid0(VALU_DEP_4) | instskip(SKIP_3) | instid1(VALU_DEP_4)
	v_add_f32_e32 v3, v3, v4
	v_mul_f32_e32 v7, v153, v9
	v_add_f32_e32 v4, v5, v192
	v_dual_mul_f32 v196, v156, v13 :: v_dual_mul_f32 v197, v158, v15
	v_add_f32_e32 v2, v3, v2
	s_delay_alu instid0(VALU_DEP_4)
	v_fma_f32 v6, v152, v8, -v7
	v_mul_f32_e32 v5, v155, v11
	v_add_f32_e32 v3, v4, v193
	v_dual_mul_f32 v4, v157, v13 :: v_dual_fmac_f32 v195, v155, v10
	v_fmac_f32_e32 v196, v157, v12
	v_add_f32_e32 v2, v2, v6
	v_fma_f32 v5, v154, v10, -v5
	v_mul_f32_e32 v6, v159, v15
	v_add_f32_e32 v3, v3, v194
	v_fma_f32 v4, v156, v12, -v4
	v_dual_mul_f32 v198, v160, v17 :: v_dual_mul_f32 v199, v162, v19
	s_delay_alu instid0(VALU_DEP_3) | instskip(SKIP_1) | instid1(VALU_DEP_3)
	v_dual_add_f32 v2, v2, v5 :: v_dual_add_f32 v3, v3, v195
	v_mul_f32_e32 v5, v161, v17
	v_dual_fmac_f32 v197, v159, v14 :: v_dual_fmac_f32 v198, v161, v16
	v_fma_f32 v6, v158, v14, -v6
	s_delay_alu instid0(VALU_DEP_4) | instskip(SKIP_4) | instid1(VALU_DEP_4)
	v_add_f32_e32 v2, v2, v4
	v_dual_add_f32 v3, v3, v196 :: v_dual_mul_f32 v200, v164, v21
	v_mul_f32_e32 v201, v166, v127
	v_mul_f32_e32 v4, v163, v19
	v_fma_f32 v5, v160, v16, -v5
	v_dual_add_f32 v2, v2, v6 :: v_dual_add_f32 v3, v3, v197
	v_fmac_f32_e32 v200, v165, v20
	v_dual_mul_f32 v6, v165, v21 :: v_dual_fmac_f32 v199, v163, v18
	v_fma_f32 v4, v162, v18, -v4
	s_delay_alu instid0(VALU_DEP_4) | instskip(SKIP_1) | instid1(VALU_DEP_4)
	v_dual_add_f32 v2, v2, v5 :: v_dual_add_f32 v3, v3, v198
	v_mul_f32_e32 v5, v167, v127
	v_fma_f32 v6, v164, v20, -v6
	v_dual_mul_f32 v202, v168, v129 :: v_dual_mul_f32 v203, v170, v131
	s_delay_alu instid0(VALU_DEP_4) | instskip(SKIP_1) | instid1(VALU_DEP_3)
	v_dual_add_f32 v2, v2, v4 :: v_dual_add_f32 v3, v3, v199
	v_dual_mul_f32 v4, v169, v129 :: v_dual_fmac_f32 v201, v167, v126
	v_fmac_f32_e32 v202, v169, v128
	v_fma_f32 v5, v166, v126, -v5
	s_delay_alu instid0(VALU_DEP_4) | instskip(SKIP_2) | instid1(VALU_DEP_3)
	v_dual_add_f32 v2, v2, v6 :: v_dual_add_f32 v3, v3, v200
	v_mul_f32_e32 v6, v171, v131
	v_fma_f32 v4, v168, v128, -v4
	v_dual_fmac_f32 v203, v171, v130 :: v_dual_add_f32 v2, v2, v5
	s_delay_alu instid0(VALU_DEP_4) | instskip(SKIP_3) | instid1(VALU_DEP_4)
	v_add_f32_e32 v3, v3, v201
	v_dual_mul_f32 v204, v172, v133 :: v_dual_mul_f32 v205, v174, v135
	v_mul_f32_e32 v5, v173, v133
	v_fma_f32 v6, v170, v130, -v6
	v_dual_add_f32 v2, v2, v4 :: v_dual_add_f32 v3, v3, v202
	s_delay_alu instid0(VALU_DEP_4) | instskip(SKIP_2) | instid1(VALU_DEP_4)
	v_fmac_f32_e32 v204, v173, v132
	v_mul_f32_e32 v4, v175, v135
	v_fma_f32 v5, v172, v132, -v5
	v_dual_add_f32 v2, v2, v6 :: v_dual_add_f32 v3, v3, v203
	v_dual_mul_f32 v206, v176, v137 :: v_dual_mul_f32 v207, v178, v139
	v_dual_mul_f32 v6, v177, v137 :: v_dual_fmac_f32 v205, v175, v134
	v_fma_f32 v4, v174, v134, -v4
	s_delay_alu instid0(VALU_DEP_4) | instskip(NEXT) | instid1(VALU_DEP_4)
	v_dual_add_f32 v2, v2, v5 :: v_dual_add_f32 v3, v3, v204
	v_dual_mul_f32 v5, v179, v139 :: v_dual_fmac_f32 v206, v177, v136
	s_delay_alu instid0(VALU_DEP_4) | instskip(NEXT) | instid1(VALU_DEP_3)
	v_fma_f32 v6, v176, v136, -v6
	v_dual_add_f32 v2, v2, v4 :: v_dual_add_f32 v3, v3, v205
	v_dual_mul_f32 v4, v181, v141 :: v_dual_fmac_f32 v207, v179, v138
	s_delay_alu instid0(VALU_DEP_4) | instskip(NEXT) | instid1(VALU_DEP_3)
	v_fma_f32 v5, v178, v138, -v5
	v_dual_fmac_f32 v208, v181, v140 :: v_dual_add_f32 v3, v3, v206
	s_delay_alu instid0(VALU_DEP_4) | instskip(SKIP_3) | instid1(VALU_DEP_4)
	v_add_f32_e32 v2, v2, v6
	v_dual_mul_f32 v209, v182, v143 :: v_dual_mul_f32 v210, v184, v145
	v_mul_f32_e32 v6, v183, v143
	v_fma_f32 v4, v180, v140, -v4
	v_dual_add_f32 v3, v3, v207 :: v_dual_add_f32 v2, v2, v5
	s_delay_alu instid0(VALU_DEP_4) | instskip(SKIP_2) | instid1(VALU_DEP_4)
	v_fmac_f32_e32 v209, v183, v142
	v_mul_f32_e32 v5, v185, v145
	v_fma_f32 v6, v182, v142, -v6
	v_add_f32_e32 v3, v3, v208
	v_add_f32_e32 v2, v2, v4
	v_mul_f32_e32 v4, v191, v187
	v_dual_fmac_f32 v210, v185, v144 :: v_dual_fmac_f32 v211, v191, v186
	v_fma_f32 v5, v184, v144, -v5
	s_delay_alu instid0(VALU_DEP_4) | instskip(NEXT) | instid1(VALU_DEP_4)
	v_dual_add_f32 v3, v3, v209 :: v_dual_add_f32 v2, v2, v6
	v_fma_f32 v4, v190, v186, -v4
	s_delay_alu instid0(VALU_DEP_2) | instskip(NEXT) | instid1(VALU_DEP_1)
	v_dual_add_f32 v3, v3, v210 :: v_dual_add_f32 v2, v2, v5
	v_dual_add_f32 v3, v3, v211 :: v_dual_add_f32 v2, v2, v4
	s_wait_loadcnt 0x0
	s_delay_alu instid0(VALU_DEP_1)
	v_dual_sub_f32 v3, v189, v3 :: v_dual_sub_f32 v2, v188, v2
	scratch_store_b64 off, v[2:3], off offset:232
	v_cmpx_lt_u32_e32 28, v0
	s_cbranch_execz .LBB50_263
; %bb.262:
	scratch_load_b64 v[3:4], off, off offset:224
	v_mov_b32_e32 v2, v1
	scratch_store_b64 off, v[1:2], off offset:224
	s_wait_loadcnt 0x0
	ds_store_b64 v23, v[3:4]
.LBB50_263:
	s_wait_alu 0xfffe
	s_or_b32 exec_lo, exec_lo, s0
	s_wait_storecnt_dscnt 0x0
	s_barrier_signal -1
	s_barrier_wait -1
	global_inv scope:SCOPE_SE
	s_clause 0xb
	scratch_load_b128 v[2:5], off, off offset:232
	scratch_load_b128 v[6:9], off, off offset:248
	;; [unrolled: 1-line block ×11, first 2 shown]
	scratch_load_b64 v[194:195], off, off offset:224
	ds_load_2addr_b64 v[150:153], v1 offset0:81 offset1:82
	ds_load_2addr_b64 v[154:157], v1 offset0:83 offset1:84
	;; [unrolled: 1-line block ×11, first 2 shown]
	s_mov_b32 s0, exec_lo
	s_wait_loadcnt_dscnt 0xb0a
	v_dual_mul_f32 v1, v150, v3 :: v_dual_mul_f32 v22, v152, v5
	v_mul_f32_e32 v3, v151, v3
	s_wait_loadcnt_dscnt 0xa09
	v_dual_mul_f32 v5, v153, v5 :: v_dual_mul_f32 v196, v154, v7
	s_delay_alu instid0(VALU_DEP_3) | instskip(NEXT) | instid1(VALU_DEP_3)
	v_dual_mul_f32 v197, v156, v9 :: v_dual_fmac_f32 v22, v153, v4
	v_fma_f32 v3, v150, v2, -v3
	v_fmac_f32_e32 v1, v151, v2
	v_mul_f32_e32 v2, v155, v7
	v_fma_f32 v4, v152, v4, -v5
	s_delay_alu instid0(VALU_DEP_4)
	v_dual_fmac_f32 v196, v155, v6 :: v_dual_add_f32 v3, 0, v3
	s_wait_loadcnt_dscnt 0x706
	v_dual_mul_f32 v202, v166, v19 :: v_dual_mul_f32 v203, v168, v21
	v_fma_f32 v2, v154, v6, -v2
	v_dual_mul_f32 v198, v158, v11 :: v_dual_mul_f32 v199, v160, v13
	v_add_f32_e32 v3, v3, v4
	v_dual_mul_f32 v5, v157, v9 :: v_dual_mul_f32 v200, v162, v15
	v_dual_mul_f32 v201, v164, v17 :: v_dual_mul_f32 v4, v159, v11
	s_delay_alu instid0(VALU_DEP_3) | instskip(NEXT) | instid1(VALU_DEP_3)
	v_add_f32_e32 v2, v3, v2
	v_fma_f32 v5, v156, v8, -v5
	v_dual_mul_f32 v3, v161, v13 :: v_dual_fmac_f32 v202, v167, v18
	s_delay_alu instid0(VALU_DEP_4) | instskip(SKIP_1) | instid1(VALU_DEP_4)
	v_fma_f32 v4, v158, v10, -v4
	v_dual_fmac_f32 v197, v157, v8 :: v_dual_fmac_f32 v198, v159, v10
	v_add_f32_e32 v2, v2, v5
	v_add_f32_e32 v1, 0, v1
	v_fma_f32 v3, v160, v12, -v3
	v_fmac_f32_e32 v200, v163, v14
	s_wait_loadcnt_dscnt 0x605
	v_dual_mul_f32 v204, v170, v127 :: v_dual_mul_f32 v205, v172, v129
	v_dual_add_f32 v1, v1, v22 :: v_dual_add_f32 v2, v2, v4
	v_mul_f32_e32 v4, v165, v17
	s_wait_loadcnt_dscnt 0x403
	v_dual_mul_f32 v208, v178, v135 :: v_dual_mul_f32 v209, v180, v137
	s_delay_alu instid0(VALU_DEP_3) | instskip(NEXT) | instid1(VALU_DEP_3)
	v_dual_add_f32 v1, v1, v196 :: v_dual_add_f32 v2, v2, v3
	v_fma_f32 v4, v164, v16, -v4
	v_mul_f32_e32 v5, v163, v15
	v_dual_mul_f32 v206, v174, v131 :: v_dual_mul_f32 v207, v176, v133
	s_wait_loadcnt_dscnt 0x100
	v_dual_add_f32 v1, v1, v197 :: v_dual_mul_f32 v214, v190, v147
	v_mul_f32_e32 v215, v192, v149
	v_fma_f32 v5, v162, v14, -v5
	v_fmac_f32_e32 v199, v161, v12
	s_delay_alu instid0(VALU_DEP_4)
	v_add_f32_e32 v1, v1, v198
	v_fmac_f32_e32 v204, v171, v126
	v_dual_mul_f32 v210, v182, v139 :: v_dual_mul_f32 v211, v184, v141
	v_add_f32_e32 v2, v2, v5
	v_dual_fmac_f32 v206, v175, v130 :: v_dual_fmac_f32 v205, v173, v128
	v_dual_mul_f32 v212, v186, v143 :: v_dual_mul_f32 v213, v188, v145
	s_delay_alu instid0(VALU_DEP_3) | instskip(SKIP_2) | instid1(VALU_DEP_4)
	v_add_f32_e32 v2, v2, v4
	v_mul_f32_e32 v4, v171, v127
	v_add_f32_e32 v1, v1, v199
	v_dual_fmac_f32 v207, v177, v132 :: v_dual_fmac_f32 v212, v187, v142
	v_fmac_f32_e32 v211, v185, v140
	s_delay_alu instid0(VALU_DEP_4) | instskip(SKIP_4) | instid1(VALU_DEP_4)
	v_fma_f32 v4, v170, v126, -v4
	v_mul_f32_e32 v5, v169, v21
	v_add_f32_e32 v1, v1, v200
	v_dual_fmac_f32 v213, v189, v144 :: v_dual_fmac_f32 v208, v179, v134
	v_fmac_f32_e32 v215, v193, v148
	v_fma_f32 v5, v168, v20, -v5
	v_mul_f32_e32 v3, v167, v19
	v_fmac_f32_e32 v214, v191, v146
	v_fmac_f32_e32 v210, v183, v138
	s_delay_alu instid0(VALU_DEP_3) | instskip(NEXT) | instid1(VALU_DEP_1)
	v_fma_f32 v3, v166, v18, -v3
	v_dual_fmac_f32 v201, v165, v16 :: v_dual_add_f32 v2, v2, v3
	v_mul_f32_e32 v3, v173, v129
	s_delay_alu instid0(VALU_DEP_2) | instskip(NEXT) | instid1(VALU_DEP_2)
	v_dual_add_f32 v2, v2, v5 :: v_dual_mul_f32 v5, v175, v131
	v_fma_f32 v3, v172, v128, -v3
	s_delay_alu instid0(VALU_DEP_2) | instskip(SKIP_1) | instid1(VALU_DEP_4)
	v_dual_add_f32 v2, v2, v4 :: v_dual_add_f32 v1, v1, v201
	v_mul_f32_e32 v4, v177, v133
	v_fma_f32 v5, v174, v130, -v5
	s_delay_alu instid0(VALU_DEP_3) | instskip(NEXT) | instid1(VALU_DEP_3)
	v_dual_add_f32 v2, v2, v3 :: v_dual_fmac_f32 v203, v169, v20
	v_fma_f32 v4, v176, v132, -v4
	s_delay_alu instid0(VALU_DEP_2) | instskip(SKIP_1) | instid1(VALU_DEP_2)
	v_add_f32_e32 v2, v2, v5
	v_mul_f32_e32 v5, v181, v137
	v_dual_add_f32 v1, v1, v202 :: v_dual_add_f32 v2, v2, v4
	s_delay_alu instid0(VALU_DEP_2) | instskip(SKIP_1) | instid1(VALU_DEP_3)
	v_fma_f32 v5, v180, v136, -v5
	v_mul_f32_e32 v3, v179, v135
	v_add_f32_e32 v1, v1, v203
	v_mul_f32_e32 v4, v183, v139
	s_delay_alu instid0(VALU_DEP_3) | instskip(NEXT) | instid1(VALU_DEP_3)
	v_fma_f32 v3, v178, v134, -v3
	v_add_f32_e32 v1, v1, v204
	s_delay_alu instid0(VALU_DEP_3) | instskip(NEXT) | instid1(VALU_DEP_3)
	v_fma_f32 v4, v182, v138, -v4
	v_add_f32_e32 v2, v2, v3
	s_delay_alu instid0(VALU_DEP_1) | instskip(NEXT) | instid1(VALU_DEP_4)
	v_add_f32_e32 v2, v2, v5
	v_add_f32_e32 v1, v1, v205
	s_delay_alu instid0(VALU_DEP_2) | instskip(SKIP_1) | instid1(VALU_DEP_2)
	v_dual_mul_f32 v5, v187, v143 :: v_dual_add_f32 v2, v2, v4
	v_mul_f32_e32 v4, v189, v145
	v_fma_f32 v5, v186, v142, -v5
	s_delay_alu instid0(VALU_DEP_2) | instskip(SKIP_1) | instid1(VALU_DEP_1)
	v_fma_f32 v4, v188, v144, -v4
	v_mul_f32_e32 v3, v185, v141
	v_fma_f32 v3, v184, v140, -v3
	s_delay_alu instid0(VALU_DEP_1) | instskip(NEXT) | instid1(VALU_DEP_1)
	v_dual_add_f32 v1, v1, v206 :: v_dual_add_f32 v2, v2, v3
	v_add_f32_e32 v1, v1, v207
	s_delay_alu instid0(VALU_DEP_2) | instskip(NEXT) | instid1(VALU_DEP_2)
	v_dual_mul_f32 v3, v191, v147 :: v_dual_add_f32 v2, v2, v5
	v_add_f32_e32 v1, v1, v208
	v_mul_f32_e32 v5, v193, v149
	s_delay_alu instid0(VALU_DEP_3) | instskip(NEXT) | instid1(VALU_DEP_4)
	v_fma_f32 v3, v190, v146, -v3
	v_add_f32_e32 v2, v2, v4
	v_fmac_f32_e32 v209, v181, v136
	s_delay_alu instid0(VALU_DEP_4) | instskip(NEXT) | instid1(VALU_DEP_2)
	v_fma_f32 v4, v192, v148, -v5
	v_dual_add_f32 v2, v2, v3 :: v_dual_add_f32 v1, v1, v209
	s_delay_alu instid0(VALU_DEP_1) | instskip(NEXT) | instid1(VALU_DEP_1)
	v_dual_add_f32 v2, v2, v4 :: v_dual_add_f32 v1, v1, v210
	v_add_f32_e32 v1, v1, v211
	s_delay_alu instid0(VALU_DEP_1) | instskip(NEXT) | instid1(VALU_DEP_1)
	v_add_f32_e32 v1, v1, v212
	v_add_f32_e32 v1, v1, v213
	s_delay_alu instid0(VALU_DEP_1) | instskip(NEXT) | instid1(VALU_DEP_1)
	v_add_f32_e32 v1, v1, v214
	v_add_f32_e32 v3, v1, v215
	s_wait_loadcnt 0x0
	s_delay_alu instid0(VALU_DEP_1)
	v_dual_sub_f32 v1, v194, v2 :: v_dual_sub_f32 v2, v195, v3
	scratch_store_b64 off, v[1:2], off offset:224
	v_cmpx_lt_u32_e32 27, v0
	s_cbranch_execz .LBB50_265
; %bb.264:
	scratch_load_b64 v[1:2], off, off offset:216
	v_mov_b32_e32 v3, 0
	s_delay_alu instid0(VALU_DEP_1)
	v_mov_b32_e32 v4, v3
	scratch_store_b64 off, v[3:4], off offset:216
	s_wait_loadcnt 0x0
	ds_store_b64 v23, v[1:2]
.LBB50_265:
	s_wait_alu 0xfffe
	s_or_b32 exec_lo, exec_lo, s0
	s_wait_storecnt_dscnt 0x0
	s_barrier_signal -1
	s_barrier_wait -1
	global_inv scope:SCOPE_SE
	s_clause 0xc
	scratch_load_b128 v[2:5], off, off offset:224
	scratch_load_b128 v[6:9], off, off offset:240
	;; [unrolled: 1-line block ×11, first 2 shown]
	scratch_load_b64 v[194:195], off, off offset:400
	scratch_load_b64 v[196:197], off, off offset:216
	v_mov_b32_e32 v1, 0
	ds_load_b128 v[150:153], v1 offset:640
	ds_load_b128 v[154:157], v1 offset:656
	;; [unrolled: 1-line block ×11, first 2 shown]
	ds_load_b64 v[198:199], v1 offset:816
	s_mov_b32 s0, exec_lo
	s_wait_loadcnt_dscnt 0xc0b
	v_mul_f32_e32 v22, v150, v3
	s_wait_loadcnt_dscnt 0xb0a
	v_dual_mul_f32 v200, v152, v5 :: v_dual_mul_f32 v201, v154, v7
	v_mul_f32_e32 v5, v153, v5
	s_wait_loadcnt_dscnt 0xa09
	v_dual_mul_f32 v202, v156, v9 :: v_dual_mul_f32 v203, v158, v11
	v_mul_f32_e32 v3, v151, v3
	v_fmac_f32_e32 v22, v151, v2
	s_wait_loadcnt_dscnt 0x908
	v_dual_mul_f32 v204, v160, v13 :: v_dual_mul_f32 v205, v162, v15
	s_wait_loadcnt_dscnt 0x100
	v_dual_mul_f32 v218, v188, v145 :: v_dual_mul_f32 v221, v198, v195
	v_fma_f32 v3, v150, v2, -v3
	v_mul_f32_e32 v2, v155, v7
	v_fmac_f32_e32 v200, v153, v4
	v_fma_f32 v4, v152, v4, -v5
	v_dual_add_f32 v5, 0, v22 :: v_dual_fmac_f32 v202, v157, v8
	v_add_f32_e32 v3, 0, v3
	v_fmac_f32_e32 v201, v155, v6
	v_fma_f32 v2, v154, v6, -v2
	v_dual_fmac_f32 v203, v159, v10 :: v_dual_fmac_f32 v204, v161, v12
	s_delay_alu instid0(VALU_DEP_4) | instskip(SKIP_3) | instid1(VALU_DEP_4)
	v_add_f32_e32 v3, v3, v4
	v_mul_f32_e32 v7, v157, v9
	v_add_f32_e32 v4, v5, v200
	v_dual_mul_f32 v206, v164, v17 :: v_dual_mul_f32 v207, v166, v19
	v_add_f32_e32 v2, v3, v2
	s_delay_alu instid0(VALU_DEP_4)
	v_fma_f32 v6, v156, v8, -v7
	v_mul_f32_e32 v5, v159, v11
	v_add_f32_e32 v3, v4, v201
	v_dual_mul_f32 v4, v161, v13 :: v_dual_fmac_f32 v205, v163, v14
	v_fmac_f32_e32 v206, v165, v16
	v_add_f32_e32 v2, v2, v6
	v_fma_f32 v5, v158, v10, -v5
	v_mul_f32_e32 v6, v163, v15
	v_add_f32_e32 v3, v3, v202
	v_fma_f32 v4, v160, v12, -v4
	v_dual_mul_f32 v208, v168, v21 :: v_dual_mul_f32 v209, v170, v127
	s_delay_alu instid0(VALU_DEP_3) | instskip(SKIP_2) | instid1(VALU_DEP_3)
	v_dual_add_f32 v2, v2, v5 :: v_dual_add_f32 v3, v3, v203
	v_mul_f32_e32 v5, v165, v17
	v_fma_f32 v6, v162, v14, -v6
	v_dual_fmac_f32 v207, v167, v18 :: v_dual_add_f32 v2, v2, v4
	s_delay_alu instid0(VALU_DEP_4) | instskip(SKIP_3) | instid1(VALU_DEP_4)
	v_add_f32_e32 v3, v3, v204
	v_mul_f32_e32 v4, v167, v19
	v_fma_f32 v5, v164, v16, -v5
	v_fmac_f32_e32 v208, v169, v20
	v_dual_add_f32 v2, v2, v6 :: v_dual_add_f32 v3, v3, v205
	v_mul_f32_e32 v6, v169, v21
	v_fma_f32 v4, v166, v18, -v4
	v_dual_mul_f32 v210, v172, v129 :: v_dual_mul_f32 v211, v174, v131
	s_delay_alu instid0(VALU_DEP_4) | instskip(SKIP_2) | instid1(VALU_DEP_4)
	v_dual_add_f32 v2, v2, v5 :: v_dual_add_f32 v3, v3, v206
	v_mul_f32_e32 v5, v171, v127
	v_fma_f32 v6, v168, v20, -v6
	v_dual_fmac_f32 v209, v171, v126 :: v_dual_fmac_f32 v210, v173, v128
	s_delay_alu instid0(VALU_DEP_4) | instskip(SKIP_3) | instid1(VALU_DEP_4)
	v_dual_add_f32 v2, v2, v4 :: v_dual_add_f32 v3, v3, v207
	v_mul_f32_e32 v4, v173, v129
	v_fma_f32 v5, v170, v126, -v5
	v_fmac_f32_e32 v211, v175, v130
	v_dual_add_f32 v2, v2, v6 :: v_dual_add_f32 v3, v3, v208
	v_mul_f32_e32 v6, v175, v131
	v_fma_f32 v4, v172, v128, -v4
	v_dual_mul_f32 v212, v176, v133 :: v_dual_mul_f32 v213, v178, v135
	s_delay_alu instid0(VALU_DEP_4) | instskip(SKIP_4) | instid1(VALU_DEP_4)
	v_add_f32_e32 v2, v2, v5
	v_add_f32_e32 v3, v3, v209
	v_mul_f32_e32 v5, v177, v133
	v_fma_f32 v6, v174, v130, -v6
	v_fmac_f32_e32 v212, v177, v132
	v_dual_add_f32 v2, v2, v4 :: v_dual_add_f32 v3, v3, v210
	v_mul_f32_e32 v4, v179, v135
	v_fma_f32 v5, v176, v132, -v5
	v_dual_mul_f32 v214, v180, v137 :: v_dual_mul_f32 v215, v182, v139
	s_delay_alu instid0(VALU_DEP_4) | instskip(SKIP_2) | instid1(VALU_DEP_3)
	v_dual_add_f32 v2, v2, v6 :: v_dual_add_f32 v3, v3, v211
	v_dual_mul_f32 v6, v181, v137 :: v_dual_fmac_f32 v213, v179, v134
	v_fma_f32 v4, v178, v134, -v4
	v_dual_add_f32 v2, v2, v5 :: v_dual_add_f32 v3, v3, v212
	v_dual_mul_f32 v216, v184, v141 :: v_dual_mul_f32 v217, v186, v143
	v_dual_mul_f32 v5, v183, v139 :: v_dual_fmac_f32 v214, v181, v136
	v_fma_f32 v6, v180, v136, -v6
	s_delay_alu instid0(VALU_DEP_4) | instskip(SKIP_1) | instid1(VALU_DEP_4)
	v_dual_add_f32 v2, v2, v4 :: v_dual_add_f32 v3, v3, v213
	v_dual_mul_f32 v4, v185, v141 :: v_dual_fmac_f32 v215, v183, v138
	v_fma_f32 v5, v182, v138, -v5
	s_delay_alu instid0(VALU_DEP_3) | instskip(NEXT) | instid1(VALU_DEP_4)
	v_dual_fmac_f32 v216, v185, v140 :: v_dual_add_f32 v3, v3, v214
	v_add_f32_e32 v2, v2, v6
	v_mul_f32_e32 v6, v187, v143
	v_fma_f32 v4, v184, v140, -v4
	v_fmac_f32_e32 v217, v187, v142
	s_delay_alu instid0(VALU_DEP_4) | instskip(SKIP_3) | instid1(VALU_DEP_4)
	v_dual_add_f32 v3, v3, v215 :: v_dual_add_f32 v2, v2, v5
	v_mul_f32_e32 v5, v189, v145
	v_fma_f32 v6, v186, v142, -v6
	v_dual_mul_f32 v219, v190, v147 :: v_dual_mul_f32 v220, v192, v149
	v_add_f32_e32 v3, v3, v216
	v_add_f32_e32 v2, v2, v4
	v_mul_f32_e32 v4, v191, v147
	s_delay_alu instid0(VALU_DEP_4) | instskip(SKIP_1) | instid1(VALU_DEP_4)
	v_dual_fmac_f32 v218, v189, v144 :: v_dual_fmac_f32 v219, v191, v146
	v_fma_f32 v5, v188, v144, -v5
	v_dual_add_f32 v3, v3, v217 :: v_dual_add_f32 v2, v2, v6
	v_mul_f32_e32 v6, v193, v149
	v_fma_f32 v4, v190, v146, -v4
	v_fmac_f32_e32 v221, v199, v194
	s_delay_alu instid0(VALU_DEP_4) | instskip(SKIP_2) | instid1(VALU_DEP_3)
	v_dual_add_f32 v3, v3, v218 :: v_dual_add_f32 v2, v2, v5
	v_dual_mul_f32 v5, v199, v195 :: v_dual_fmac_f32 v220, v193, v148
	v_fma_f32 v6, v192, v148, -v6
	v_dual_add_f32 v3, v3, v219 :: v_dual_add_f32 v2, v2, v4
	s_delay_alu instid0(VALU_DEP_3) | instskip(NEXT) | instid1(VALU_DEP_2)
	v_fma_f32 v4, v198, v194, -v5
	v_dual_add_f32 v3, v3, v220 :: v_dual_add_f32 v2, v2, v6
	s_delay_alu instid0(VALU_DEP_1) | instskip(SKIP_1) | instid1(VALU_DEP_1)
	v_dual_add_f32 v3, v3, v221 :: v_dual_add_f32 v2, v2, v4
	s_wait_loadcnt 0x0
	v_dual_sub_f32 v3, v197, v3 :: v_dual_sub_f32 v2, v196, v2
	scratch_store_b64 off, v[2:3], off offset:216
	v_cmpx_lt_u32_e32 26, v0
	s_cbranch_execz .LBB50_267
; %bb.266:
	scratch_load_b64 v[3:4], off, off offset:208
	v_mov_b32_e32 v2, v1
	scratch_store_b64 off, v[1:2], off offset:208
	s_wait_loadcnt 0x0
	ds_store_b64 v23, v[3:4]
.LBB50_267:
	s_wait_alu 0xfffe
	s_or_b32 exec_lo, exec_lo, s0
	s_wait_storecnt_dscnt 0x0
	s_barrier_signal -1
	s_barrier_wait -1
	global_inv scope:SCOPE_SE
	s_clause 0xc
	scratch_load_b128 v[2:5], off, off offset:216
	scratch_load_b128 v[6:9], off, off offset:232
	;; [unrolled: 1-line block ×12, first 2 shown]
	scratch_load_b64 v[202:203], off, off offset:208
	ds_load_2addr_b64 v[154:157], v1 offset0:79 offset1:80
	ds_load_2addr_b64 v[158:161], v1 offset0:81 offset1:82
	;; [unrolled: 1-line block ×12, first 2 shown]
	s_mov_b32 s0, exec_lo
	s_wait_loadcnt_dscnt 0xc0b
	v_dual_mul_f32 v1, v154, v3 :: v_dual_mul_f32 v22, v156, v5
	v_mul_f32_e32 v3, v155, v3
	s_wait_loadcnt_dscnt 0xb0a
	v_dual_mul_f32 v5, v157, v5 :: v_dual_mul_f32 v204, v158, v7
	s_delay_alu instid0(VALU_DEP_3) | instskip(NEXT) | instid1(VALU_DEP_3)
	v_dual_mul_f32 v205, v160, v9 :: v_dual_fmac_f32 v22, v157, v4
	v_fma_f32 v3, v154, v2, -v3
	v_fmac_f32_e32 v1, v155, v2
	v_mul_f32_e32 v2, v159, v7
	v_fma_f32 v4, v156, v4, -v5
	s_delay_alu instid0(VALU_DEP_4)
	v_dual_fmac_f32 v204, v159, v6 :: v_dual_add_f32 v3, 0, v3
	s_wait_loadcnt_dscnt 0x807
	v_dual_mul_f32 v210, v170, v19 :: v_dual_mul_f32 v211, v172, v21
	v_fma_f32 v2, v158, v6, -v2
	v_dual_mul_f32 v206, v162, v11 :: v_dual_mul_f32 v207, v164, v13
	v_add_f32_e32 v3, v3, v4
	v_dual_mul_f32 v5, v161, v9 :: v_dual_mul_f32 v208, v166, v15
	v_dual_mul_f32 v209, v168, v17 :: v_dual_mul_f32 v4, v163, v11
	s_delay_alu instid0(VALU_DEP_3) | instskip(NEXT) | instid1(VALU_DEP_3)
	v_add_f32_e32 v2, v3, v2
	v_fma_f32 v5, v160, v8, -v5
	v_dual_mul_f32 v3, v165, v13 :: v_dual_fmac_f32 v210, v171, v18
	s_delay_alu instid0(VALU_DEP_4) | instskip(SKIP_1) | instid1(VALU_DEP_4)
	v_fma_f32 v4, v162, v10, -v4
	v_dual_fmac_f32 v205, v161, v8 :: v_dual_fmac_f32 v206, v163, v10
	v_add_f32_e32 v2, v2, v5
	v_add_f32_e32 v1, 0, v1
	v_fma_f32 v3, v164, v12, -v3
	v_fmac_f32_e32 v208, v167, v14
	s_wait_loadcnt_dscnt 0x706
	v_dual_mul_f32 v212, v174, v127 :: v_dual_mul_f32 v213, v176, v129
	v_dual_add_f32 v1, v1, v22 :: v_dual_add_f32 v2, v2, v4
	v_mul_f32_e32 v4, v169, v17
	s_wait_loadcnt_dscnt 0x504
	v_dual_mul_f32 v216, v182, v135 :: v_dual_mul_f32 v217, v184, v137
	s_delay_alu instid0(VALU_DEP_3) | instskip(NEXT) | instid1(VALU_DEP_3)
	v_dual_add_f32 v1, v1, v204 :: v_dual_add_f32 v2, v2, v3
	v_fma_f32 v4, v168, v16, -v4
	v_mul_f32_e32 v5, v167, v15
	v_dual_mul_f32 v214, v178, v131 :: v_dual_mul_f32 v215, v180, v133
	s_wait_loadcnt_dscnt 0x201
	v_dual_add_f32 v1, v1, v205 :: v_dual_mul_f32 v222, v194, v147
	v_mul_f32_e32 v223, v196, v149
	v_fma_f32 v5, v166, v14, -v5
	v_fmac_f32_e32 v207, v165, v12
	s_delay_alu instid0(VALU_DEP_4)
	v_add_f32_e32 v1, v1, v206
	v_fmac_f32_e32 v212, v175, v126
	v_dual_mul_f32 v218, v186, v139 :: v_dual_mul_f32 v219, v188, v141
	v_add_f32_e32 v2, v2, v5
	v_dual_fmac_f32 v214, v179, v130 :: v_dual_fmac_f32 v213, v177, v128
	v_dual_mul_f32 v220, v190, v143 :: v_dual_mul_f32 v221, v192, v145
	s_delay_alu instid0(VALU_DEP_3) | instskip(SKIP_2) | instid1(VALU_DEP_4)
	v_add_f32_e32 v2, v2, v4
	v_mul_f32_e32 v4, v175, v127
	v_add_f32_e32 v1, v1, v207
	v_dual_fmac_f32 v215, v181, v132 :: v_dual_fmac_f32 v220, v191, v142
	v_fmac_f32_e32 v217, v185, v136
	s_delay_alu instid0(VALU_DEP_4) | instskip(SKIP_4) | instid1(VALU_DEP_3)
	v_fma_f32 v4, v174, v126, -v4
	v_mul_f32_e32 v5, v173, v21
	s_wait_loadcnt_dscnt 0x100
	v_dual_add_f32 v1, v1, v208 :: v_dual_mul_f32 v224, v198, v151
	v_dual_mul_f32 v225, v200, v153 :: v_dual_fmac_f32 v216, v183, v134
	v_fma_f32 v5, v172, v20, -v5
	v_mul_f32_e32 v3, v171, v19
	v_fmac_f32_e32 v223, v197, v148
	s_delay_alu instid0(VALU_DEP_4) | instskip(SKIP_1) | instid1(VALU_DEP_4)
	v_dual_fmac_f32 v225, v201, v152 :: v_dual_fmac_f32 v222, v195, v146
	v_fmac_f32_e32 v218, v187, v138
	v_fma_f32 v3, v170, v18, -v3
	v_dual_fmac_f32 v209, v169, v16 :: v_dual_fmac_f32 v224, v199, v150
	s_delay_alu instid0(VALU_DEP_2) | instskip(NEXT) | instid1(VALU_DEP_1)
	v_dual_add_f32 v2, v2, v3 :: v_dual_mul_f32 v3, v177, v129
	v_dual_add_f32 v2, v2, v5 :: v_dual_mul_f32 v5, v179, v131
	s_delay_alu instid0(VALU_DEP_2) | instskip(NEXT) | instid1(VALU_DEP_2)
	v_fma_f32 v3, v176, v128, -v3
	v_dual_add_f32 v2, v2, v4 :: v_dual_add_f32 v1, v1, v209
	v_mul_f32_e32 v4, v181, v133
	s_delay_alu instid0(VALU_DEP_4) | instskip(NEXT) | instid1(VALU_DEP_3)
	v_fma_f32 v5, v178, v130, -v5
	v_dual_add_f32 v2, v2, v3 :: v_dual_fmac_f32 v211, v173, v20
	s_delay_alu instid0(VALU_DEP_3) | instskip(NEXT) | instid1(VALU_DEP_2)
	v_fma_f32 v4, v180, v132, -v4
	v_add_f32_e32 v2, v2, v5
	v_mul_f32_e32 v5, v185, v137
	s_delay_alu instid0(VALU_DEP_2) | instskip(NEXT) | instid1(VALU_DEP_2)
	v_dual_add_f32 v1, v1, v210 :: v_dual_add_f32 v2, v2, v4
	v_fma_f32 v5, v184, v136, -v5
	v_mul_f32_e32 v3, v183, v135
	s_delay_alu instid0(VALU_DEP_3) | instskip(SKIP_1) | instid1(VALU_DEP_3)
	v_add_f32_e32 v1, v1, v211
	v_mul_f32_e32 v4, v187, v139
	v_fma_f32 v3, v182, v134, -v3
	s_delay_alu instid0(VALU_DEP_3) | instskip(NEXT) | instid1(VALU_DEP_3)
	v_add_f32_e32 v1, v1, v212
	v_fma_f32 v4, v186, v138, -v4
	s_delay_alu instid0(VALU_DEP_3) | instskip(NEXT) | instid1(VALU_DEP_1)
	v_add_f32_e32 v2, v2, v3
	v_add_f32_e32 v2, v2, v5
	s_delay_alu instid0(VALU_DEP_4) | instskip(NEXT) | instid1(VALU_DEP_2)
	v_add_f32_e32 v1, v1, v213
	v_dual_mul_f32 v5, v191, v143 :: v_dual_add_f32 v2, v2, v4
	v_mul_f32_e32 v4, v193, v145
	s_delay_alu instid0(VALU_DEP_2) | instskip(NEXT) | instid1(VALU_DEP_2)
	v_fma_f32 v5, v190, v142, -v5
	v_fma_f32 v4, v192, v144, -v4
	v_mul_f32_e32 v3, v189, v141
	s_delay_alu instid0(VALU_DEP_1) | instskip(NEXT) | instid1(VALU_DEP_1)
	v_fma_f32 v3, v188, v140, -v3
	v_dual_add_f32 v1, v1, v214 :: v_dual_add_f32 v2, v2, v3
	s_delay_alu instid0(VALU_DEP_1) | instskip(NEXT) | instid1(VALU_DEP_2)
	v_add_f32_e32 v1, v1, v215
	v_dual_mul_f32 v3, v195, v147 :: v_dual_add_f32 v2, v2, v5
	v_mul_f32_e32 v5, v197, v149
	s_delay_alu instid0(VALU_DEP_2) | instskip(NEXT) | instid1(VALU_DEP_3)
	v_fma_f32 v3, v194, v146, -v3
	v_add_f32_e32 v2, v2, v4
	v_dual_add_f32 v1, v1, v216 :: v_dual_mul_f32 v4, v199, v151
	s_delay_alu instid0(VALU_DEP_4) | instskip(NEXT) | instid1(VALU_DEP_2)
	v_fma_f32 v5, v196, v148, -v5
	v_dual_add_f32 v2, v2, v3 :: v_dual_add_f32 v1, v1, v217
	v_fmac_f32_e32 v219, v189, v140
	s_delay_alu instid0(VALU_DEP_4) | instskip(SKIP_1) | instid1(VALU_DEP_4)
	v_fma_f32 v4, v198, v150, -v4
	v_mul_f32_e32 v3, v201, v153
	v_dual_add_f32 v2, v2, v5 :: v_dual_add_f32 v1, v1, v218
	s_delay_alu instid0(VALU_DEP_2) | instskip(NEXT) | instid1(VALU_DEP_2)
	v_fma_f32 v3, v200, v152, -v3
	v_dual_add_f32 v2, v2, v4 :: v_dual_add_f32 v1, v1, v219
	s_delay_alu instid0(VALU_DEP_1) | instskip(NEXT) | instid1(VALU_DEP_2)
	v_dual_fmac_f32 v221, v193, v144 :: v_dual_add_f32 v2, v2, v3
	v_add_f32_e32 v1, v1, v220
	s_delay_alu instid0(VALU_DEP_1) | instskip(NEXT) | instid1(VALU_DEP_1)
	v_add_f32_e32 v1, v1, v221
	v_add_f32_e32 v1, v1, v222
	s_delay_alu instid0(VALU_DEP_1) | instskip(NEXT) | instid1(VALU_DEP_1)
	v_add_f32_e32 v1, v1, v223
	v_add_f32_e32 v1, v1, v224
	s_delay_alu instid0(VALU_DEP_1) | instskip(SKIP_1) | instid1(VALU_DEP_1)
	v_add_f32_e32 v3, v1, v225
	s_wait_loadcnt 0x0
	v_dual_sub_f32 v1, v202, v2 :: v_dual_sub_f32 v2, v203, v3
	scratch_store_b64 off, v[1:2], off offset:208
	v_cmpx_lt_u32_e32 25, v0
	s_cbranch_execz .LBB50_269
; %bb.268:
	scratch_load_b64 v[1:2], off, off offset:200
	v_mov_b32_e32 v3, 0
	s_delay_alu instid0(VALU_DEP_1)
	v_mov_b32_e32 v4, v3
	scratch_store_b64 off, v[3:4], off offset:200
	s_wait_loadcnt 0x0
	ds_store_b64 v23, v[1:2]
.LBB50_269:
	s_wait_alu 0xfffe
	s_or_b32 exec_lo, exec_lo, s0
	s_wait_storecnt_dscnt 0x0
	s_barrier_signal -1
	s_barrier_wait -1
	global_inv scope:SCOPE_SE
	s_clause 0xd
	scratch_load_b128 v[2:5], off, off offset:208
	scratch_load_b128 v[6:9], off, off offset:224
	;; [unrolled: 1-line block ×12, first 2 shown]
	scratch_load_b64 v[202:203], off, off offset:400
	scratch_load_b64 v[204:205], off, off offset:200
	v_mov_b32_e32 v1, 0
	ds_load_b128 v[154:157], v1 offset:624
	ds_load_b128 v[158:161], v1 offset:640
	;; [unrolled: 1-line block ×12, first 2 shown]
	ds_load_b64 v[206:207], v1 offset:816
	s_mov_b32 s0, exec_lo
	s_wait_loadcnt_dscnt 0xd0c
	v_mul_f32_e32 v22, v154, v3
	s_wait_loadcnt_dscnt 0xc0b
	v_dual_mul_f32 v208, v156, v5 :: v_dual_mul_f32 v209, v158, v7
	v_mul_f32_e32 v5, v157, v5
	s_wait_loadcnt_dscnt 0xb0a
	v_dual_mul_f32 v210, v160, v9 :: v_dual_mul_f32 v211, v162, v11
	v_dual_mul_f32 v3, v155, v3 :: v_dual_mul_f32 v212, v164, v13
	s_wait_loadcnt_dscnt 0xa09
	v_dual_mul_f32 v213, v166, v15 :: v_dual_fmac_f32 v22, v155, v2
	s_wait_loadcnt_dscnt 0x302
	v_mul_f32_e32 v228, v196, v149
	v_fma_f32 v3, v154, v2, -v3
	s_wait_loadcnt_dscnt 0x100
	v_mul_f32_e32 v231, v206, v203
	v_mul_f32_e32 v2, v159, v7
	v_fmac_f32_e32 v208, v157, v4
	v_fma_f32 v4, v156, v4, -v5
	v_add_f32_e32 v3, 0, v3
	v_dual_add_f32 v5, 0, v22 :: v_dual_fmac_f32 v210, v161, v8
	v_fmac_f32_e32 v209, v159, v6
	v_fma_f32 v2, v158, v6, -v2
	s_delay_alu instid0(VALU_DEP_4) | instskip(SKIP_3) | instid1(VALU_DEP_4)
	v_add_f32_e32 v3, v3, v4
	v_mul_f32_e32 v7, v161, v9
	v_dual_add_f32 v4, v5, v208 :: v_dual_fmac_f32 v211, v163, v10
	v_fmac_f32_e32 v212, v165, v12
	v_add_f32_e32 v2, v3, v2
	s_delay_alu instid0(VALU_DEP_4)
	v_fma_f32 v6, v160, v8, -v7
	v_mul_f32_e32 v5, v163, v11
	v_add_f32_e32 v3, v4, v209
	v_mul_f32_e32 v4, v165, v13
	v_dual_mul_f32 v214, v168, v17 :: v_dual_mul_f32 v215, v170, v19
	v_add_f32_e32 v2, v2, v6
	v_fma_f32 v5, v162, v10, -v5
	v_mul_f32_e32 v6, v167, v15
	v_add_f32_e32 v3, v3, v210
	v_fma_f32 v4, v164, v12, -v4
	v_dual_fmac_f32 v213, v167, v14 :: v_dual_fmac_f32 v214, v169, v16
	s_delay_alu instid0(VALU_DEP_3) | instskip(SKIP_3) | instid1(VALU_DEP_4)
	v_dual_add_f32 v2, v2, v5 :: v_dual_add_f32 v3, v3, v211
	v_mul_f32_e32 v5, v169, v17
	v_fma_f32 v6, v166, v14, -v6
	v_dual_mul_f32 v216, v172, v21 :: v_dual_mul_f32 v217, v174, v127
	v_add_f32_e32 v2, v2, v4
	v_add_f32_e32 v3, v3, v212
	v_mul_f32_e32 v4, v171, v19
	v_fma_f32 v5, v168, v16, -v5
	v_fmac_f32_e32 v215, v171, v18
	s_delay_alu instid0(VALU_DEP_4) | instskip(SKIP_3) | instid1(VALU_DEP_4)
	v_dual_add_f32 v2, v2, v6 :: v_dual_add_f32 v3, v3, v213
	v_fmac_f32_e32 v216, v173, v20
	v_mul_f32_e32 v6, v173, v21
	v_fma_f32 v4, v170, v18, -v4
	v_dual_add_f32 v2, v2, v5 :: v_dual_add_f32 v3, v3, v214
	v_mul_f32_e32 v5, v175, v127
	s_delay_alu instid0(VALU_DEP_4) | instskip(SKIP_1) | instid1(VALU_DEP_4)
	v_fma_f32 v6, v172, v20, -v6
	v_dual_mul_f32 v218, v176, v129 :: v_dual_mul_f32 v219, v178, v131
	v_dual_add_f32 v2, v2, v4 :: v_dual_add_f32 v3, v3, v215
	v_dual_mul_f32 v4, v177, v129 :: v_dual_fmac_f32 v217, v175, v126
	s_delay_alu instid0(VALU_DEP_3) | instskip(SKIP_1) | instid1(VALU_DEP_4)
	v_fmac_f32_e32 v218, v177, v128
	v_fma_f32 v5, v174, v126, -v5
	v_dual_add_f32 v2, v2, v6 :: v_dual_add_f32 v3, v3, v216
	v_mul_f32_e32 v6, v179, v131
	v_fma_f32 v4, v176, v128, -v4
	s_delay_alu instid0(VALU_DEP_3) | instskip(NEXT) | instid1(VALU_DEP_4)
	v_dual_fmac_f32 v219, v179, v130 :: v_dual_add_f32 v2, v2, v5
	v_add_f32_e32 v3, v3, v217
	v_dual_mul_f32 v220, v180, v133 :: v_dual_mul_f32 v221, v182, v135
	v_mul_f32_e32 v5, v181, v133
	v_fma_f32 v6, v178, v130, -v6
	s_delay_alu instid0(VALU_DEP_4) | instskip(NEXT) | instid1(VALU_DEP_4)
	v_dual_add_f32 v2, v2, v4 :: v_dual_add_f32 v3, v3, v218
	v_fmac_f32_e32 v220, v181, v132
	v_mul_f32_e32 v4, v183, v135
	v_fma_f32 v5, v180, v132, -v5
	s_delay_alu instid0(VALU_DEP_4) | instskip(SKIP_3) | instid1(VALU_DEP_4)
	v_dual_add_f32 v2, v2, v6 :: v_dual_add_f32 v3, v3, v219
	v_dual_mul_f32 v222, v184, v137 :: v_dual_mul_f32 v223, v186, v139
	v_dual_mul_f32 v6, v185, v137 :: v_dual_fmac_f32 v221, v183, v134
	v_fma_f32 v4, v182, v134, -v4
	v_dual_add_f32 v2, v2, v5 :: v_dual_add_f32 v3, v3, v220
	v_dual_mul_f32 v224, v188, v141 :: v_dual_mul_f32 v225, v190, v143
	v_dual_mul_f32 v5, v187, v139 :: v_dual_fmac_f32 v222, v185, v136
	v_fma_f32 v6, v184, v136, -v6
	s_delay_alu instid0(VALU_DEP_4) | instskip(SKIP_1) | instid1(VALU_DEP_4)
	v_dual_add_f32 v2, v2, v4 :: v_dual_add_f32 v3, v3, v221
	v_dual_mul_f32 v4, v189, v141 :: v_dual_fmac_f32 v223, v187, v138
	v_fma_f32 v5, v186, v138, -v5
	s_delay_alu instid0(VALU_DEP_3) | instskip(NEXT) | instid1(VALU_DEP_4)
	v_dual_fmac_f32 v224, v189, v140 :: v_dual_add_f32 v3, v3, v222
	v_add_f32_e32 v2, v2, v6
	v_mul_f32_e32 v6, v191, v143
	v_fma_f32 v4, v188, v140, -v4
	v_dual_mul_f32 v226, v192, v145 :: v_dual_mul_f32 v227, v194, v147
	s_delay_alu instid0(VALU_DEP_4) | instskip(SKIP_3) | instid1(VALU_DEP_4)
	v_dual_add_f32 v3, v3, v223 :: v_dual_add_f32 v2, v2, v5
	v_fmac_f32_e32 v225, v191, v142
	v_mul_f32_e32 v5, v193, v145
	v_fma_f32 v6, v190, v142, -v6
	v_add_f32_e32 v3, v3, v224
	v_add_f32_e32 v2, v2, v4
	v_mul_f32_e32 v4, v195, v147
	v_dual_fmac_f32 v226, v193, v144 :: v_dual_fmac_f32 v227, v195, v146
	v_fma_f32 v5, v192, v144, -v5
	s_delay_alu instid0(VALU_DEP_4) | instskip(SKIP_3) | instid1(VALU_DEP_4)
	v_dual_add_f32 v3, v3, v225 :: v_dual_add_f32 v2, v2, v6
	v_mul_f32_e32 v6, v197, v149
	v_fma_f32 v4, v194, v146, -v4
	v_dual_mul_f32 v229, v198, v151 :: v_dual_mul_f32 v230, v200, v153
	v_dual_add_f32 v2, v2, v5 :: v_dual_mul_f32 v5, v199, v151
	v_dual_add_f32 v3, v3, v226 :: v_dual_fmac_f32 v228, v197, v148
	v_fma_f32 v6, v196, v148, -v6
	s_delay_alu instid0(VALU_DEP_3) | instskip(NEXT) | instid1(VALU_DEP_3)
	v_dual_add_f32 v2, v2, v4 :: v_dual_fmac_f32 v229, v199, v150
	v_dual_add_f32 v3, v3, v227 :: v_dual_mul_f32 v4, v201, v153
	v_fma_f32 v5, v198, v150, -v5
	v_dual_fmac_f32 v230, v201, v152 :: v_dual_fmac_f32 v231, v207, v202
	s_delay_alu instid0(VALU_DEP_3) | instskip(SKIP_2) | instid1(VALU_DEP_3)
	v_dual_add_f32 v3, v3, v228 :: v_dual_add_f32 v2, v2, v6
	v_mul_f32_e32 v6, v207, v203
	v_fma_f32 v4, v200, v152, -v4
	v_add_f32_e32 v3, v3, v229
	s_delay_alu instid0(VALU_DEP_4) | instskip(NEXT) | instid1(VALU_DEP_4)
	v_add_f32_e32 v2, v2, v5
	v_fma_f32 v5, v206, v202, -v6
	s_delay_alu instid0(VALU_DEP_2) | instskip(NEXT) | instid1(VALU_DEP_1)
	v_dual_add_f32 v3, v3, v230 :: v_dual_add_f32 v2, v2, v4
	v_dual_add_f32 v3, v3, v231 :: v_dual_add_f32 v2, v2, v5
	s_wait_loadcnt 0x0
	s_delay_alu instid0(VALU_DEP_1)
	v_dual_sub_f32 v3, v205, v3 :: v_dual_sub_f32 v2, v204, v2
	scratch_store_b64 off, v[2:3], off offset:200
	v_cmpx_lt_u32_e32 24, v0
	s_cbranch_execz .LBB50_271
; %bb.270:
	scratch_load_b64 v[3:4], off, off offset:192
	v_mov_b32_e32 v2, v1
	scratch_store_b64 off, v[1:2], off offset:192
	s_wait_loadcnt 0x0
	ds_store_b64 v23, v[3:4]
.LBB50_271:
	s_wait_alu 0xfffe
	s_or_b32 exec_lo, exec_lo, s0
	s_wait_storecnt_dscnt 0x0
	s_barrier_signal -1
	s_barrier_wait -1
	global_inv scope:SCOPE_SE
	s_clause 0xd
	scratch_load_b128 v[2:5], off, off offset:200
	scratch_load_b128 v[6:9], off, off offset:216
	;; [unrolled: 1-line block ×13, first 2 shown]
	scratch_load_b64 v[210:211], off, off offset:192
	ds_load_2addr_b64 v[158:161], v1 offset0:77 offset1:78
	ds_load_2addr_b64 v[162:165], v1 offset0:79 offset1:80
	;; [unrolled: 1-line block ×13, first 2 shown]
	s_mov_b32 s0, exec_lo
	s_wait_loadcnt_dscnt 0xd0c
	v_dual_mul_f32 v1, v158, v3 :: v_dual_mul_f32 v22, v160, v5
	v_mul_f32_e32 v3, v159, v3
	s_wait_loadcnt_dscnt 0xc0b
	v_dual_mul_f32 v5, v161, v5 :: v_dual_mul_f32 v212, v162, v7
	s_delay_alu instid0(VALU_DEP_3) | instskip(NEXT) | instid1(VALU_DEP_3)
	v_dual_mul_f32 v213, v164, v9 :: v_dual_fmac_f32 v22, v161, v4
	v_fma_f32 v3, v158, v2, -v3
	v_fmac_f32_e32 v1, v159, v2
	v_mul_f32_e32 v2, v163, v7
	v_fma_f32 v4, v160, v4, -v5
	s_delay_alu instid0(VALU_DEP_4)
	v_dual_fmac_f32 v212, v163, v6 :: v_dual_add_f32 v3, 0, v3
	s_wait_loadcnt_dscnt 0x908
	v_dual_mul_f32 v218, v174, v19 :: v_dual_mul_f32 v219, v176, v21
	v_fma_f32 v2, v162, v6, -v2
	v_dual_mul_f32 v214, v166, v11 :: v_dual_mul_f32 v215, v168, v13
	v_add_f32_e32 v3, v3, v4
	v_dual_mul_f32 v5, v165, v9 :: v_dual_mul_f32 v216, v170, v15
	v_dual_mul_f32 v217, v172, v17 :: v_dual_mul_f32 v4, v167, v11
	s_delay_alu instid0(VALU_DEP_3) | instskip(NEXT) | instid1(VALU_DEP_3)
	v_add_f32_e32 v2, v3, v2
	v_fma_f32 v5, v164, v8, -v5
	v_dual_mul_f32 v3, v169, v13 :: v_dual_fmac_f32 v218, v175, v18
	s_delay_alu instid0(VALU_DEP_4) | instskip(SKIP_1) | instid1(VALU_DEP_4)
	v_fma_f32 v4, v166, v10, -v4
	v_dual_fmac_f32 v213, v165, v8 :: v_dual_fmac_f32 v214, v167, v10
	v_add_f32_e32 v2, v2, v5
	v_add_f32_e32 v1, 0, v1
	v_fma_f32 v3, v168, v12, -v3
	v_fmac_f32_e32 v216, v171, v14
	s_wait_loadcnt_dscnt 0x807
	v_dual_mul_f32 v220, v178, v127 :: v_dual_mul_f32 v221, v180, v129
	v_dual_add_f32 v1, v1, v22 :: v_dual_add_f32 v2, v2, v4
	v_mul_f32_e32 v4, v173, v17
	s_wait_loadcnt_dscnt 0x605
	v_dual_mul_f32 v224, v186, v135 :: v_dual_mul_f32 v225, v188, v137
	s_delay_alu instid0(VALU_DEP_3) | instskip(NEXT) | instid1(VALU_DEP_3)
	v_dual_add_f32 v1, v1, v212 :: v_dual_add_f32 v2, v2, v3
	v_fma_f32 v4, v172, v16, -v4
	v_mul_f32_e32 v5, v171, v15
	v_dual_mul_f32 v222, v182, v131 :: v_dual_mul_f32 v223, v184, v133
	s_wait_loadcnt_dscnt 0x302
	v_dual_add_f32 v1, v1, v213 :: v_dual_mul_f32 v230, v198, v147
	v_mul_f32_e32 v231, v200, v149
	v_fma_f32 v5, v170, v14, -v5
	v_fmac_f32_e32 v215, v169, v12
	s_delay_alu instid0(VALU_DEP_4)
	v_add_f32_e32 v1, v1, v214
	v_fmac_f32_e32 v220, v179, v126
	v_dual_mul_f32 v226, v190, v139 :: v_dual_mul_f32 v227, v192, v141
	v_add_f32_e32 v2, v2, v5
	v_dual_fmac_f32 v222, v183, v130 :: v_dual_fmac_f32 v221, v181, v128
	v_dual_mul_f32 v228, v194, v143 :: v_dual_mul_f32 v229, v196, v145
	s_delay_alu instid0(VALU_DEP_3) | instskip(SKIP_2) | instid1(VALU_DEP_4)
	v_add_f32_e32 v2, v2, v4
	v_mul_f32_e32 v4, v179, v127
	v_add_f32_e32 v1, v1, v215
	v_dual_fmac_f32 v223, v185, v132 :: v_dual_fmac_f32 v228, v195, v142
	v_fmac_f32_e32 v225, v189, v136
	s_delay_alu instid0(VALU_DEP_4) | instskip(SKIP_4) | instid1(VALU_DEP_3)
	v_fma_f32 v4, v178, v126, -v4
	v_mul_f32_e32 v5, v177, v21
	s_wait_loadcnt_dscnt 0x201
	v_dual_add_f32 v1, v1, v216 :: v_dual_mul_f32 v232, v202, v151
	v_dual_mul_f32 v233, v204, v153 :: v_dual_fmac_f32 v224, v187, v134
	v_fma_f32 v5, v176, v20, -v5
	v_mul_f32_e32 v3, v175, v19
	s_wait_loadcnt_dscnt 0x100
	v_dual_mul_f32 v234, v206, v155 :: v_dual_mul_f32 v235, v208, v157
	v_fmac_f32_e32 v231, v201, v148
	v_fmac_f32_e32 v233, v205, v152
	v_fma_f32 v3, v174, v18, -v3
	v_fmac_f32_e32 v217, v173, v16
	v_dual_fmac_f32 v235, v209, v156 :: v_dual_fmac_f32 v230, v199, v146
	v_fmac_f32_e32 v226, v191, v138
	s_delay_alu instid0(VALU_DEP_4) | instskip(SKIP_2) | instid1(VALU_DEP_3)
	v_dual_add_f32 v2, v2, v3 :: v_dual_mul_f32 v3, v181, v129
	v_fmac_f32_e32 v232, v203, v150
	v_fmac_f32_e32 v234, v207, v154
	v_dual_add_f32 v2, v2, v5 :: v_dual_mul_f32 v5, v183, v131
	s_delay_alu instid0(VALU_DEP_4) | instskip(NEXT) | instid1(VALU_DEP_2)
	v_fma_f32 v3, v180, v128, -v3
	v_dual_add_f32 v2, v2, v4 :: v_dual_add_f32 v1, v1, v217
	v_mul_f32_e32 v4, v185, v133
	s_delay_alu instid0(VALU_DEP_4) | instskip(NEXT) | instid1(VALU_DEP_3)
	v_fma_f32 v5, v182, v130, -v5
	v_dual_add_f32 v2, v2, v3 :: v_dual_fmac_f32 v219, v177, v20
	s_delay_alu instid0(VALU_DEP_3) | instskip(NEXT) | instid1(VALU_DEP_2)
	v_fma_f32 v4, v184, v132, -v4
	v_add_f32_e32 v2, v2, v5
	v_mul_f32_e32 v5, v189, v137
	s_delay_alu instid0(VALU_DEP_2) | instskip(NEXT) | instid1(VALU_DEP_2)
	v_dual_add_f32 v1, v1, v218 :: v_dual_add_f32 v2, v2, v4
	v_fma_f32 v5, v188, v136, -v5
	v_mul_f32_e32 v3, v187, v135
	s_delay_alu instid0(VALU_DEP_3) | instskip(SKIP_1) | instid1(VALU_DEP_3)
	v_add_f32_e32 v1, v1, v219
	v_mul_f32_e32 v4, v191, v139
	v_fma_f32 v3, v186, v134, -v3
	s_delay_alu instid0(VALU_DEP_3) | instskip(NEXT) | instid1(VALU_DEP_3)
	v_add_f32_e32 v1, v1, v220
	v_fma_f32 v4, v190, v138, -v4
	s_delay_alu instid0(VALU_DEP_3) | instskip(NEXT) | instid1(VALU_DEP_1)
	v_add_f32_e32 v2, v2, v3
	v_add_f32_e32 v2, v2, v5
	s_delay_alu instid0(VALU_DEP_4) | instskip(NEXT) | instid1(VALU_DEP_2)
	v_add_f32_e32 v1, v1, v221
	v_dual_mul_f32 v5, v195, v143 :: v_dual_add_f32 v2, v2, v4
	v_mul_f32_e32 v4, v197, v145
	s_delay_alu instid0(VALU_DEP_2) | instskip(NEXT) | instid1(VALU_DEP_2)
	v_fma_f32 v5, v194, v142, -v5
	v_fma_f32 v4, v196, v144, -v4
	v_mul_f32_e32 v3, v193, v141
	s_delay_alu instid0(VALU_DEP_1) | instskip(NEXT) | instid1(VALU_DEP_1)
	v_fma_f32 v3, v192, v140, -v3
	v_dual_add_f32 v1, v1, v222 :: v_dual_add_f32 v2, v2, v3
	s_delay_alu instid0(VALU_DEP_1) | instskip(NEXT) | instid1(VALU_DEP_2)
	v_add_f32_e32 v1, v1, v223
	v_dual_mul_f32 v3, v199, v147 :: v_dual_add_f32 v2, v2, v5
	v_mul_f32_e32 v5, v201, v149
	s_delay_alu instid0(VALU_DEP_2) | instskip(NEXT) | instid1(VALU_DEP_3)
	v_fma_f32 v3, v198, v146, -v3
	v_add_f32_e32 v2, v2, v4
	v_dual_add_f32 v1, v1, v224 :: v_dual_mul_f32 v4, v203, v151
	s_delay_alu instid0(VALU_DEP_4) | instskip(NEXT) | instid1(VALU_DEP_2)
	v_fma_f32 v5, v200, v148, -v5
	v_dual_add_f32 v2, v2, v3 :: v_dual_add_f32 v1, v1, v225
	v_fmac_f32_e32 v227, v193, v140
	v_mul_f32_e32 v3, v205, v153
	v_fma_f32 v4, v202, v150, -v4
	s_delay_alu instid0(VALU_DEP_4) | instskip(SKIP_1) | instid1(VALU_DEP_4)
	v_dual_add_f32 v2, v2, v5 :: v_dual_add_f32 v1, v1, v226
	v_mul_f32_e32 v5, v207, v155
	v_fma_f32 v3, v204, v152, -v3
	s_delay_alu instid0(VALU_DEP_3) | instskip(SKIP_1) | instid1(VALU_DEP_4)
	v_dual_add_f32 v2, v2, v4 :: v_dual_add_f32 v1, v1, v227
	v_fmac_f32_e32 v229, v197, v144
	v_fma_f32 v5, v206, v154, -v5
	v_mul_f32_e32 v4, v209, v157
	s_delay_alu instid0(VALU_DEP_4) | instskip(NEXT) | instid1(VALU_DEP_2)
	v_dual_add_f32 v2, v2, v3 :: v_dual_add_f32 v1, v1, v228
	v_fma_f32 v3, v208, v156, -v4
	s_delay_alu instid0(VALU_DEP_2) | instskip(NEXT) | instid1(VALU_DEP_1)
	v_add_f32_e32 v2, v2, v5
	v_dual_add_f32 v1, v1, v229 :: v_dual_add_f32 v2, v2, v3
	s_delay_alu instid0(VALU_DEP_1) | instskip(NEXT) | instid1(VALU_DEP_1)
	v_add_f32_e32 v1, v1, v230
	v_add_f32_e32 v1, v1, v231
	s_delay_alu instid0(VALU_DEP_1) | instskip(NEXT) | instid1(VALU_DEP_1)
	v_add_f32_e32 v1, v1, v232
	v_add_f32_e32 v1, v1, v233
	;; [unrolled: 3-line block ×3, first 2 shown]
	s_wait_loadcnt 0x0
	s_delay_alu instid0(VALU_DEP_1)
	v_dual_sub_f32 v1, v210, v2 :: v_dual_sub_f32 v2, v211, v3
	scratch_store_b64 off, v[1:2], off offset:192
	v_cmpx_lt_u32_e32 23, v0
	s_cbranch_execz .LBB50_273
; %bb.272:
	scratch_load_b64 v[1:2], off, off offset:184
	v_mov_b32_e32 v3, 0
	s_delay_alu instid0(VALU_DEP_1)
	v_mov_b32_e32 v4, v3
	scratch_store_b64 off, v[3:4], off offset:184
	s_wait_loadcnt 0x0
	ds_store_b64 v23, v[1:2]
.LBB50_273:
	s_wait_alu 0xfffe
	s_or_b32 exec_lo, exec_lo, s0
	s_wait_storecnt_dscnt 0x0
	s_barrier_signal -1
	s_barrier_wait -1
	global_inv scope:SCOPE_SE
	s_clause 0xe
	scratch_load_b128 v[2:5], off, off offset:192
	scratch_load_b128 v[6:9], off, off offset:208
	;; [unrolled: 1-line block ×13, first 2 shown]
	scratch_load_b64 v[210:211], off, off offset:400
	scratch_load_b64 v[212:213], off, off offset:184
	v_mov_b32_e32 v1, 0
	ds_load_b128 v[158:161], v1 offset:608
	ds_load_b128 v[162:165], v1 offset:624
	;; [unrolled: 1-line block ×13, first 2 shown]
	ds_load_b64 v[214:215], v1 offset:816
	s_mov_b32 s0, exec_lo
	s_wait_loadcnt_dscnt 0xe0d
	v_mul_f32_e32 v22, v158, v3
	s_wait_loadcnt_dscnt 0xd0c
	v_dual_mul_f32 v216, v160, v5 :: v_dual_mul_f32 v217, v162, v7
	v_mul_f32_e32 v5, v161, v5
	s_wait_loadcnt_dscnt 0xc0b
	v_dual_mul_f32 v218, v164, v9 :: v_dual_mul_f32 v219, v166, v11
	s_wait_loadcnt_dscnt 0xb0a
	v_dual_mul_f32 v220, v168, v13 :: v_dual_mul_f32 v221, v170, v15
	v_mul_f32_e32 v3, v159, v3
	v_fmac_f32_e32 v22, v159, v2
	s_delay_alu instid0(VALU_DEP_3)
	v_dual_fmac_f32 v219, v167, v10 :: v_dual_fmac_f32 v220, v169, v12
	s_wait_loadcnt_dscnt 0x100
	v_dual_mul_f32 v238, v204, v153 :: v_dual_mul_f32 v241, v214, v211
	v_fma_f32 v3, v158, v2, -v3
	v_mul_f32_e32 v2, v163, v7
	v_fmac_f32_e32 v216, v161, v4
	v_fma_f32 v4, v160, v4, -v5
	v_dual_add_f32 v5, 0, v22 :: v_dual_fmac_f32 v218, v165, v8
	v_add_f32_e32 v3, 0, v3
	v_fmac_f32_e32 v217, v163, v6
	v_fma_f32 v2, v162, v6, -v2
	v_dual_mul_f32 v222, v172, v17 :: v_dual_mul_f32 v223, v174, v19
	s_delay_alu instid0(VALU_DEP_4) | instskip(SKIP_2) | instid1(VALU_DEP_4)
	v_add_f32_e32 v3, v3, v4
	v_mul_f32_e32 v7, v165, v9
	v_dual_add_f32 v4, v5, v216 :: v_dual_fmac_f32 v221, v171, v14
	v_fmac_f32_e32 v222, v173, v16
	s_delay_alu instid0(VALU_DEP_4) | instskip(NEXT) | instid1(VALU_DEP_4)
	v_add_f32_e32 v2, v3, v2
	v_fma_f32 v6, v164, v8, -v7
	v_mul_f32_e32 v5, v167, v11
	v_add_f32_e32 v3, v4, v217
	v_mul_f32_e32 v4, v169, v13
	v_dual_mul_f32 v224, v176, v21 :: v_dual_mul_f32 v225, v178, v127
	v_add_f32_e32 v2, v2, v6
	v_fma_f32 v5, v166, v10, -v5
	v_mul_f32_e32 v6, v171, v15
	v_add_f32_e32 v3, v3, v218
	v_fma_f32 v4, v168, v12, -v4
	v_dual_mul_f32 v226, v180, v129 :: v_dual_mul_f32 v227, v182, v131
	s_delay_alu instid0(VALU_DEP_3) | instskip(SKIP_2) | instid1(VALU_DEP_3)
	v_dual_add_f32 v2, v2, v5 :: v_dual_add_f32 v3, v3, v219
	v_mul_f32_e32 v5, v173, v17
	v_fma_f32 v6, v170, v14, -v6
	v_dual_fmac_f32 v223, v175, v18 :: v_dual_add_f32 v2, v2, v4
	s_delay_alu instid0(VALU_DEP_4) | instskip(SKIP_3) | instid1(VALU_DEP_4)
	v_add_f32_e32 v3, v3, v220
	v_mul_f32_e32 v4, v175, v19
	v_fma_f32 v5, v172, v16, -v5
	v_fmac_f32_e32 v224, v177, v20
	v_dual_add_f32 v2, v2, v6 :: v_dual_add_f32 v3, v3, v221
	v_mul_f32_e32 v6, v177, v21
	v_fma_f32 v4, v174, v18, -v4
	v_dual_fmac_f32 v225, v179, v126 :: v_dual_fmac_f32 v226, v181, v128
	s_delay_alu instid0(VALU_DEP_4) | instskip(SKIP_3) | instid1(VALU_DEP_4)
	v_dual_add_f32 v2, v2, v5 :: v_dual_add_f32 v3, v3, v222
	v_mul_f32_e32 v5, v179, v127
	v_fma_f32 v6, v176, v20, -v6
	v_dual_mul_f32 v228, v184, v133 :: v_dual_mul_f32 v229, v186, v135
	v_dual_add_f32 v2, v2, v4 :: v_dual_add_f32 v3, v3, v223
	v_mul_f32_e32 v4, v181, v129
	v_fma_f32 v5, v178, v126, -v5
	v_fmac_f32_e32 v227, v183, v130
	s_delay_alu instid0(VALU_DEP_4) | instskip(SKIP_3) | instid1(VALU_DEP_4)
	v_dual_add_f32 v2, v2, v6 :: v_dual_add_f32 v3, v3, v224
	v_mul_f32_e32 v6, v183, v131
	v_fma_f32 v4, v180, v128, -v4
	v_fmac_f32_e32 v228, v185, v132
	v_add_f32_e32 v2, v2, v5
	v_add_f32_e32 v3, v3, v225
	v_mul_f32_e32 v5, v185, v133
	v_fma_f32 v6, v182, v130, -v6
	v_dual_mul_f32 v230, v188, v137 :: v_dual_mul_f32 v231, v190, v139
	s_delay_alu instid0(VALU_DEP_4) | instskip(SKIP_3) | instid1(VALU_DEP_4)
	v_dual_add_f32 v2, v2, v4 :: v_dual_add_f32 v3, v3, v226
	v_mul_f32_e32 v4, v187, v135
	v_fma_f32 v5, v184, v132, -v5
	v_fmac_f32_e32 v229, v187, v134
	v_dual_add_f32 v2, v2, v6 :: v_dual_add_f32 v3, v3, v227
	v_mul_f32_e32 v6, v189, v137
	v_fma_f32 v4, v186, v134, -v4
	v_fmac_f32_e32 v230, v189, v136
	s_delay_alu instid0(VALU_DEP_4) | instskip(SKIP_2) | instid1(VALU_DEP_3)
	v_dual_add_f32 v2, v2, v5 :: v_dual_add_f32 v3, v3, v228
	v_dual_mul_f32 v5, v191, v139 :: v_dual_mul_f32 v232, v192, v141
	v_mul_f32_e32 v233, v194, v143
	v_dual_add_f32 v2, v2, v4 :: v_dual_add_f32 v3, v3, v229
	v_fma_f32 v6, v188, v136, -v6
	v_dual_mul_f32 v4, v193, v141 :: v_dual_fmac_f32 v231, v191, v138
	v_fma_f32 v5, v190, v138, -v5
	s_delay_alu instid0(VALU_DEP_4) | instskip(NEXT) | instid1(VALU_DEP_4)
	v_dual_add_f32 v3, v3, v230 :: v_dual_fmac_f32 v232, v193, v140
	v_add_f32_e32 v2, v2, v6
	v_mul_f32_e32 v6, v195, v143
	v_dual_mul_f32 v234, v196, v145 :: v_dual_mul_f32 v235, v198, v147
	s_delay_alu instid0(VALU_DEP_4) | instskip(SKIP_3) | instid1(VALU_DEP_4)
	v_add_f32_e32 v3, v3, v231
	v_fma_f32 v4, v192, v140, -v4
	v_dual_add_f32 v2, v2, v5 :: v_dual_fmac_f32 v233, v195, v142
	v_fma_f32 v6, v194, v142, -v6
	v_add_f32_e32 v3, v3, v232
	s_delay_alu instid0(VALU_DEP_3) | instskip(SKIP_1) | instid1(VALU_DEP_3)
	v_dual_mul_f32 v5, v197, v145 :: v_dual_add_f32 v2, v2, v4
	v_dual_fmac_f32 v234, v197, v144 :: v_dual_fmac_f32 v235, v199, v146
	v_add_f32_e32 v3, v3, v233
	v_dual_mul_f32 v236, v200, v149 :: v_dual_mul_f32 v237, v202, v151
	v_mul_f32_e32 v4, v199, v147
	v_fma_f32 v5, v196, v144, -v5
	v_add_f32_e32 v2, v2, v6
	v_dual_mul_f32 v6, v201, v149 :: v_dual_add_f32 v3, v3, v234
	s_delay_alu instid0(VALU_DEP_4) | instskip(SKIP_1) | instid1(VALU_DEP_4)
	v_fma_f32 v4, v198, v146, -v4
	v_fmac_f32_e32 v236, v201, v148
	v_dual_add_f32 v2, v2, v5 :: v_dual_mul_f32 v5, v203, v151
	s_delay_alu instid0(VALU_DEP_4) | instskip(SKIP_1) | instid1(VALU_DEP_3)
	v_add_f32_e32 v3, v3, v235
	v_fma_f32 v6, v200, v148, -v6
	v_dual_fmac_f32 v237, v203, v150 :: v_dual_add_f32 v2, v2, v4
	s_delay_alu instid0(VALU_DEP_3) | instskip(SKIP_2) | instid1(VALU_DEP_3)
	v_dual_mul_f32 v4, v205, v153 :: v_dual_add_f32 v3, v3, v236
	v_dual_mul_f32 v239, v206, v155 :: v_dual_mul_f32 v240, v208, v157
	v_fma_f32 v5, v202, v150, -v5
	v_dual_add_f32 v2, v2, v6 :: v_dual_add_f32 v3, v3, v237
	s_delay_alu instid0(VALU_DEP_3) | instskip(SKIP_2) | instid1(VALU_DEP_3)
	v_dual_fmac_f32 v238, v205, v152 :: v_dual_fmac_f32 v239, v207, v154
	v_mul_f32_e32 v6, v207, v155
	v_fma_f32 v4, v204, v152, -v4
	v_dual_add_f32 v2, v2, v5 :: v_dual_add_f32 v3, v3, v238
	v_mul_f32_e32 v5, v209, v157
	s_delay_alu instid0(VALU_DEP_4) | instskip(SKIP_1) | instid1(VALU_DEP_4)
	v_fma_f32 v6, v206, v154, -v6
	v_dual_fmac_f32 v240, v209, v156 :: v_dual_fmac_f32 v241, v215, v210
	v_dual_add_f32 v2, v2, v4 :: v_dual_add_f32 v3, v3, v239
	v_mul_f32_e32 v4, v215, v211
	v_fma_f32 v5, v208, v156, -v5
	s_delay_alu instid0(VALU_DEP_3) | instskip(NEXT) | instid1(VALU_DEP_3)
	v_dual_add_f32 v2, v2, v6 :: v_dual_add_f32 v3, v3, v240
	v_fma_f32 v4, v214, v210, -v4
	s_delay_alu instid0(VALU_DEP_2) | instskip(SKIP_1) | instid1(VALU_DEP_1)
	v_add_f32_e32 v3, v3, v241
	s_wait_loadcnt 0x0
	v_dual_add_f32 v2, v2, v5 :: v_dual_sub_f32 v3, v213, v3
	s_delay_alu instid0(VALU_DEP_1) | instskip(NEXT) | instid1(VALU_DEP_1)
	v_add_f32_e32 v2, v2, v4
	v_sub_f32_e32 v2, v212, v2
	scratch_store_b64 off, v[2:3], off offset:184
	v_cmpx_lt_u32_e32 22, v0
	s_cbranch_execz .LBB50_275
; %bb.274:
	scratch_load_b64 v[3:4], off, off offset:176
	v_mov_b32_e32 v2, v1
	scratch_store_b64 off, v[1:2], off offset:176
	s_wait_loadcnt 0x0
	ds_store_b64 v23, v[3:4]
.LBB50_275:
	s_wait_alu 0xfffe
	s_or_b32 exec_lo, exec_lo, s0
	s_wait_storecnt_dscnt 0x0
	s_barrier_signal -1
	s_barrier_wait -1
	global_inv scope:SCOPE_SE
	s_clause 0xe
	scratch_load_b128 v[2:5], off, off offset:184
	scratch_load_b128 v[6:9], off, off offset:200
	;; [unrolled: 1-line block ×14, first 2 shown]
	scratch_load_b64 v[218:219], off, off offset:176
	ds_load_2addr_b64 v[162:165], v1 offset0:75 offset1:76
	ds_load_2addr_b64 v[166:169], v1 offset0:77 offset1:78
	;; [unrolled: 1-line block ×14, first 2 shown]
	s_mov_b32 s0, exec_lo
	s_wait_loadcnt_dscnt 0xe0d
	v_dual_mul_f32 v1, v162, v3 :: v_dual_mul_f32 v22, v164, v5
	v_mul_f32_e32 v3, v163, v3
	s_wait_loadcnt_dscnt 0xd0c
	v_dual_mul_f32 v5, v165, v5 :: v_dual_mul_f32 v220, v166, v7
	s_delay_alu instid0(VALU_DEP_3) | instskip(NEXT) | instid1(VALU_DEP_3)
	v_dual_mul_f32 v221, v168, v9 :: v_dual_fmac_f32 v22, v165, v4
	v_fma_f32 v3, v162, v2, -v3
	v_fmac_f32_e32 v1, v163, v2
	v_mul_f32_e32 v2, v167, v7
	v_fma_f32 v4, v164, v4, -v5
	s_delay_alu instid0(VALU_DEP_4)
	v_dual_fmac_f32 v220, v167, v6 :: v_dual_add_f32 v3, 0, v3
	s_wait_loadcnt_dscnt 0xa09
	v_dual_mul_f32 v226, v178, v19 :: v_dual_mul_f32 v227, v180, v21
	v_fma_f32 v2, v166, v6, -v2
	v_dual_mul_f32 v222, v170, v11 :: v_dual_mul_f32 v223, v172, v13
	v_add_f32_e32 v3, v3, v4
	v_dual_mul_f32 v5, v169, v9 :: v_dual_mul_f32 v224, v174, v15
	v_dual_mul_f32 v225, v176, v17 :: v_dual_mul_f32 v4, v171, v11
	s_delay_alu instid0(VALU_DEP_3) | instskip(NEXT) | instid1(VALU_DEP_3)
	v_add_f32_e32 v2, v3, v2
	v_fma_f32 v5, v168, v8, -v5
	v_dual_mul_f32 v3, v173, v13 :: v_dual_fmac_f32 v226, v179, v18
	s_delay_alu instid0(VALU_DEP_4) | instskip(SKIP_1) | instid1(VALU_DEP_4)
	v_fma_f32 v4, v170, v10, -v4
	v_dual_fmac_f32 v221, v169, v8 :: v_dual_fmac_f32 v222, v171, v10
	v_add_f32_e32 v2, v2, v5
	v_add_f32_e32 v1, 0, v1
	v_fma_f32 v3, v172, v12, -v3
	v_fmac_f32_e32 v224, v175, v14
	s_wait_loadcnt_dscnt 0x908
	v_dual_mul_f32 v228, v182, v127 :: v_dual_mul_f32 v229, v184, v129
	v_dual_add_f32 v1, v1, v22 :: v_dual_add_f32 v2, v2, v4
	v_mul_f32_e32 v4, v177, v17
	s_wait_loadcnt_dscnt 0x706
	v_dual_mul_f32 v232, v190, v135 :: v_dual_mul_f32 v233, v192, v137
	s_delay_alu instid0(VALU_DEP_3) | instskip(NEXT) | instid1(VALU_DEP_3)
	v_dual_add_f32 v1, v1, v220 :: v_dual_add_f32 v2, v2, v3
	v_fma_f32 v4, v176, v16, -v4
	v_mul_f32_e32 v5, v175, v15
	v_dual_mul_f32 v230, v186, v131 :: v_dual_mul_f32 v231, v188, v133
	s_wait_loadcnt_dscnt 0x403
	v_dual_add_f32 v1, v1, v221 :: v_dual_mul_f32 v238, v202, v147
	v_mul_f32_e32 v239, v204, v149
	v_fma_f32 v5, v174, v14, -v5
	v_fmac_f32_e32 v223, v173, v12
	s_delay_alu instid0(VALU_DEP_4)
	v_add_f32_e32 v1, v1, v222
	v_fmac_f32_e32 v228, v183, v126
	v_dual_mul_f32 v234, v194, v139 :: v_dual_mul_f32 v235, v196, v141
	v_add_f32_e32 v2, v2, v5
	v_dual_fmac_f32 v230, v187, v130 :: v_dual_fmac_f32 v229, v185, v128
	v_dual_mul_f32 v236, v198, v143 :: v_dual_mul_f32 v237, v200, v145
	s_delay_alu instid0(VALU_DEP_3) | instskip(SKIP_2) | instid1(VALU_DEP_4)
	v_add_f32_e32 v2, v2, v4
	v_mul_f32_e32 v4, v183, v127
	v_add_f32_e32 v1, v1, v223
	v_dual_fmac_f32 v231, v189, v132 :: v_dual_fmac_f32 v236, v199, v142
	s_wait_loadcnt_dscnt 0x100
	v_dual_mul_f32 v244, v214, v159 :: v_dual_mul_f32 v245, v216, v161
	v_fma_f32 v4, v182, v126, -v4
	v_mul_f32_e32 v5, v181, v21
	v_dual_add_f32 v1, v1, v224 :: v_dual_fmac_f32 v232, v191, v134
	v_dual_fmac_f32 v233, v193, v136 :: v_dual_mul_f32 v240, v206, v151
	v_mul_f32_e32 v241, v208, v153
	s_delay_alu instid0(VALU_DEP_4) | instskip(SKIP_2) | instid1(VALU_DEP_4)
	v_fma_f32 v5, v180, v20, -v5
	v_mul_f32_e32 v3, v179, v19
	v_dual_mul_f32 v242, v210, v155 :: v_dual_mul_f32 v243, v212, v157
	v_fmac_f32_e32 v241, v209, v152
	v_fmac_f32_e32 v245, v217, v160
	s_delay_alu instid0(VALU_DEP_4) | instskip(SKIP_3) | instid1(VALU_DEP_4)
	v_fma_f32 v3, v178, v18, -v3
	v_fmac_f32_e32 v225, v177, v16
	v_dual_fmac_f32 v243, v213, v156 :: v_dual_fmac_f32 v238, v203, v146
	v_fmac_f32_e32 v234, v195, v138
	v_dual_add_f32 v2, v2, v3 :: v_dual_mul_f32 v3, v185, v129
	v_fmac_f32_e32 v244, v215, v158
	v_fmac_f32_e32 v240, v207, v150
	;; [unrolled: 1-line block ×3, first 2 shown]
	s_delay_alu instid0(VALU_DEP_4) | instskip(SKIP_1) | instid1(VALU_DEP_2)
	v_dual_add_f32 v2, v2, v5 :: v_dual_mul_f32 v5, v187, v131
	v_fma_f32 v3, v184, v128, -v3
	v_dual_add_f32 v2, v2, v4 :: v_dual_add_f32 v1, v1, v225
	v_mul_f32_e32 v4, v189, v133
	s_delay_alu instid0(VALU_DEP_4) | instskip(NEXT) | instid1(VALU_DEP_3)
	v_fma_f32 v5, v186, v130, -v5
	v_dual_add_f32 v2, v2, v3 :: v_dual_fmac_f32 v227, v181, v20
	s_delay_alu instid0(VALU_DEP_3) | instskip(NEXT) | instid1(VALU_DEP_2)
	v_fma_f32 v4, v188, v132, -v4
	v_add_f32_e32 v2, v2, v5
	v_mul_f32_e32 v5, v193, v137
	s_delay_alu instid0(VALU_DEP_2) | instskip(NEXT) | instid1(VALU_DEP_2)
	v_dual_add_f32 v1, v1, v226 :: v_dual_add_f32 v2, v2, v4
	v_fma_f32 v5, v192, v136, -v5
	v_mul_f32_e32 v3, v191, v135
	s_delay_alu instid0(VALU_DEP_3) | instskip(SKIP_1) | instid1(VALU_DEP_3)
	v_add_f32_e32 v1, v1, v227
	v_mul_f32_e32 v4, v195, v139
	v_fma_f32 v3, v190, v134, -v3
	s_delay_alu instid0(VALU_DEP_3) | instskip(NEXT) | instid1(VALU_DEP_3)
	v_add_f32_e32 v1, v1, v228
	v_fma_f32 v4, v194, v138, -v4
	s_delay_alu instid0(VALU_DEP_3) | instskip(NEXT) | instid1(VALU_DEP_1)
	v_add_f32_e32 v2, v2, v3
	v_add_f32_e32 v2, v2, v5
	s_delay_alu instid0(VALU_DEP_4) | instskip(NEXT) | instid1(VALU_DEP_2)
	v_add_f32_e32 v1, v1, v229
	v_dual_mul_f32 v5, v199, v143 :: v_dual_add_f32 v2, v2, v4
	v_mul_f32_e32 v4, v201, v145
	s_delay_alu instid0(VALU_DEP_2) | instskip(NEXT) | instid1(VALU_DEP_2)
	v_fma_f32 v5, v198, v142, -v5
	v_fma_f32 v4, v200, v144, -v4
	v_mul_f32_e32 v3, v197, v141
	s_delay_alu instid0(VALU_DEP_1) | instskip(NEXT) | instid1(VALU_DEP_1)
	v_fma_f32 v3, v196, v140, -v3
	v_dual_add_f32 v1, v1, v230 :: v_dual_add_f32 v2, v2, v3
	s_delay_alu instid0(VALU_DEP_1) | instskip(NEXT) | instid1(VALU_DEP_2)
	v_add_f32_e32 v1, v1, v231
	v_dual_mul_f32 v3, v203, v147 :: v_dual_add_f32 v2, v2, v5
	v_mul_f32_e32 v5, v205, v149
	s_delay_alu instid0(VALU_DEP_2) | instskip(NEXT) | instid1(VALU_DEP_3)
	v_fma_f32 v3, v202, v146, -v3
	v_add_f32_e32 v2, v2, v4
	v_dual_add_f32 v1, v1, v232 :: v_dual_mul_f32 v4, v207, v151
	s_delay_alu instid0(VALU_DEP_4) | instskip(NEXT) | instid1(VALU_DEP_2)
	v_fma_f32 v5, v204, v148, -v5
	v_dual_add_f32 v2, v2, v3 :: v_dual_add_f32 v1, v1, v233
	v_fmac_f32_e32 v235, v197, v140
	v_mul_f32_e32 v3, v209, v153
	v_fma_f32 v4, v206, v150, -v4
	s_delay_alu instid0(VALU_DEP_4) | instskip(SKIP_1) | instid1(VALU_DEP_4)
	v_dual_add_f32 v2, v2, v5 :: v_dual_add_f32 v1, v1, v234
	v_mul_f32_e32 v5, v211, v155
	v_fma_f32 v3, v208, v152, -v3
	s_delay_alu instid0(VALU_DEP_3) | instskip(SKIP_3) | instid1(VALU_DEP_4)
	v_dual_add_f32 v2, v2, v4 :: v_dual_add_f32 v1, v1, v235
	v_fmac_f32_e32 v237, v201, v144
	v_mul_f32_e32 v4, v213, v157
	v_fma_f32 v5, v210, v154, -v5
	v_dual_add_f32 v2, v2, v3 :: v_dual_add_f32 v1, v1, v236
	v_mul_f32_e32 v3, v215, v159
	s_delay_alu instid0(VALU_DEP_4) | instskip(NEXT) | instid1(VALU_DEP_3)
	v_fma_f32 v4, v212, v156, -v4
	v_add_f32_e32 v2, v2, v5
	s_delay_alu instid0(VALU_DEP_4) | instskip(SKIP_2) | instid1(VALU_DEP_4)
	v_add_f32_e32 v1, v1, v237
	v_mul_f32_e32 v5, v217, v161
	v_fma_f32 v3, v214, v158, -v3
	v_add_f32_e32 v2, v2, v4
	v_fmac_f32_e32 v239, v205, v148
	s_delay_alu instid0(VALU_DEP_4) | instskip(NEXT) | instid1(VALU_DEP_3)
	v_fma_f32 v4, v216, v160, -v5
	v_dual_add_f32 v2, v2, v3 :: v_dual_add_f32 v1, v1, v238
	s_delay_alu instid0(VALU_DEP_1) | instskip(NEXT) | instid1(VALU_DEP_1)
	v_dual_add_f32 v2, v2, v4 :: v_dual_add_f32 v1, v1, v239
	v_add_f32_e32 v1, v1, v240
	s_delay_alu instid0(VALU_DEP_1) | instskip(NEXT) | instid1(VALU_DEP_1)
	v_add_f32_e32 v1, v1, v241
	v_add_f32_e32 v1, v1, v242
	s_delay_alu instid0(VALU_DEP_1) | instskip(NEXT) | instid1(VALU_DEP_1)
	v_add_f32_e32 v1, v1, v243
	v_add_f32_e32 v1, v1, v244
	s_delay_alu instid0(VALU_DEP_1) | instskip(SKIP_1) | instid1(VALU_DEP_1)
	v_add_f32_e32 v3, v1, v245
	s_wait_loadcnt 0x0
	v_dual_sub_f32 v1, v218, v2 :: v_dual_sub_f32 v2, v219, v3
	scratch_store_b64 off, v[1:2], off offset:176
	v_cmpx_lt_u32_e32 21, v0
	s_cbranch_execz .LBB50_277
; %bb.276:
	scratch_load_b64 v[1:2], off, off offset:168
	v_mov_b32_e32 v3, 0
	s_delay_alu instid0(VALU_DEP_1)
	v_mov_b32_e32 v4, v3
	scratch_store_b64 off, v[3:4], off offset:168
	s_wait_loadcnt 0x0
	ds_store_b64 v23, v[1:2]
.LBB50_277:
	s_wait_alu 0xfffe
	s_or_b32 exec_lo, exec_lo, s0
	s_wait_storecnt_dscnt 0x0
	s_barrier_signal -1
	s_barrier_wait -1
	global_inv scope:SCOPE_SE
	s_clause 0xf
	scratch_load_b128 v[2:5], off, off offset:176
	scratch_load_b128 v[6:9], off, off offset:192
	;; [unrolled: 1-line block ×14, first 2 shown]
	scratch_load_b64 v[218:219], off, off offset:400
	scratch_load_b64 v[220:221], off, off offset:168
	v_mov_b32_e32 v1, 0
	ds_load_b128 v[162:165], v1 offset:592
	ds_load_b128 v[166:169], v1 offset:608
	;; [unrolled: 1-line block ×14, first 2 shown]
	ds_load_b64 v[222:223], v1 offset:816
	s_mov_b32 s0, exec_lo
	s_wait_loadcnt_dscnt 0xf0e
	v_mul_f32_e32 v22, v162, v3
	s_wait_loadcnt_dscnt 0xe0d
	v_dual_mul_f32 v224, v164, v5 :: v_dual_mul_f32 v225, v166, v7
	v_mul_f32_e32 v5, v165, v5
	s_wait_loadcnt_dscnt 0xd0c
	v_dual_mul_f32 v226, v168, v9 :: v_dual_mul_f32 v227, v170, v11
	s_wait_loadcnt_dscnt 0xc0b
	v_dual_mul_f32 v228, v172, v13 :: v_dual_mul_f32 v229, v174, v15
	v_dual_mul_f32 v3, v163, v3 :: v_dual_mul_f32 v230, v176, v17
	s_wait_loadcnt_dscnt 0xb0a
	v_dual_mul_f32 v231, v178, v19 :: v_dual_fmac_f32 v22, v163, v2
	s_wait_loadcnt_dscnt 0x302
	v_mul_f32_e32 v248, v212, v157
	v_fma_f32 v3, v162, v2, -v3
	s_wait_loadcnt_dscnt 0x100
	v_mul_f32_e32 v251, v222, v219
	v_mul_f32_e32 v2, v167, v7
	v_fmac_f32_e32 v224, v165, v4
	v_fma_f32 v4, v164, v4, -v5
	v_add_f32_e32 v3, 0, v3
	v_dual_add_f32 v5, 0, v22 :: v_dual_fmac_f32 v226, v169, v8
	v_fmac_f32_e32 v225, v167, v6
	v_fma_f32 v2, v166, v6, -v2
	s_delay_alu instid0(VALU_DEP_4) | instskip(SKIP_3) | instid1(VALU_DEP_4)
	v_add_f32_e32 v3, v3, v4
	v_mul_f32_e32 v7, v169, v9
	v_dual_add_f32 v4, v5, v224 :: v_dual_fmac_f32 v227, v171, v10
	v_fmac_f32_e32 v228, v173, v12
	v_add_f32_e32 v2, v3, v2
	s_delay_alu instid0(VALU_DEP_4)
	v_fma_f32 v6, v168, v8, -v7
	v_mul_f32_e32 v5, v171, v11
	v_add_f32_e32 v3, v4, v225
	v_dual_mul_f32 v4, v173, v13 :: v_dual_fmac_f32 v229, v175, v14
	v_fmac_f32_e32 v230, v177, v16
	v_add_f32_e32 v2, v2, v6
	v_fma_f32 v5, v170, v10, -v5
	v_mul_f32_e32 v6, v175, v15
	v_add_f32_e32 v3, v3, v226
	v_fma_f32 v4, v172, v12, -v4
	v_dual_mul_f32 v232, v180, v21 :: v_dual_mul_f32 v233, v182, v127
	s_delay_alu instid0(VALU_DEP_3) | instskip(SKIP_3) | instid1(VALU_DEP_4)
	v_dual_add_f32 v2, v2, v5 :: v_dual_add_f32 v3, v3, v227
	v_mul_f32_e32 v5, v177, v17
	v_fma_f32 v6, v174, v14, -v6
	v_dual_mul_f32 v234, v184, v129 :: v_dual_mul_f32 v235, v186, v131
	v_add_f32_e32 v2, v2, v4
	v_add_f32_e32 v3, v3, v228
	v_mul_f32_e32 v4, v179, v19
	v_fma_f32 v5, v176, v16, -v5
	v_fmac_f32_e32 v231, v179, v18
	s_delay_alu instid0(VALU_DEP_4) | instskip(SKIP_3) | instid1(VALU_DEP_4)
	v_dual_add_f32 v2, v2, v6 :: v_dual_add_f32 v3, v3, v229
	v_fmac_f32_e32 v232, v181, v20
	v_mul_f32_e32 v6, v181, v21
	v_fma_f32 v4, v178, v18, -v4
	v_dual_add_f32 v2, v2, v5 :: v_dual_add_f32 v3, v3, v230
	v_mul_f32_e32 v5, v183, v127
	s_delay_alu instid0(VALU_DEP_4) | instskip(SKIP_1) | instid1(VALU_DEP_4)
	v_fma_f32 v6, v180, v20, -v6
	v_dual_fmac_f32 v233, v183, v126 :: v_dual_fmac_f32 v234, v185, v128
	v_dual_add_f32 v2, v2, v4 :: v_dual_add_f32 v3, v3, v231
	v_mul_f32_e32 v4, v185, v129
	v_fma_f32 v5, v182, v126, -v5
	v_fmac_f32_e32 v235, v187, v130
	s_delay_alu instid0(VALU_DEP_4) | instskip(SKIP_3) | instid1(VALU_DEP_4)
	v_dual_add_f32 v2, v2, v6 :: v_dual_add_f32 v3, v3, v232
	v_mul_f32_e32 v6, v187, v131
	v_fma_f32 v4, v184, v128, -v4
	v_dual_mul_f32 v236, v188, v133 :: v_dual_mul_f32 v237, v190, v135
	v_add_f32_e32 v2, v2, v5
	v_add_f32_e32 v3, v3, v233
	v_mul_f32_e32 v5, v189, v133
	v_fma_f32 v6, v186, v130, -v6
	v_fmac_f32_e32 v236, v189, v132
	s_delay_alu instid0(VALU_DEP_4) | instskip(SKIP_3) | instid1(VALU_DEP_4)
	v_dual_add_f32 v2, v2, v4 :: v_dual_add_f32 v3, v3, v234
	v_mul_f32_e32 v4, v191, v135
	v_fma_f32 v5, v188, v132, -v5
	v_dual_mul_f32 v238, v192, v137 :: v_dual_mul_f32 v239, v194, v139
	v_dual_add_f32 v2, v2, v6 :: v_dual_add_f32 v3, v3, v235
	v_dual_mul_f32 v6, v193, v137 :: v_dual_fmac_f32 v237, v191, v134
	v_fma_f32 v4, v190, v134, -v4
	s_delay_alu instid0(VALU_DEP_3) | instskip(SKIP_3) | instid1(VALU_DEP_4)
	v_dual_add_f32 v2, v2, v5 :: v_dual_add_f32 v3, v3, v236
	v_dual_mul_f32 v240, v196, v141 :: v_dual_mul_f32 v241, v198, v143
	v_dual_mul_f32 v5, v195, v139 :: v_dual_fmac_f32 v238, v193, v136
	v_fma_f32 v6, v192, v136, -v6
	v_dual_add_f32 v2, v2, v4 :: v_dual_add_f32 v3, v3, v237
	v_dual_mul_f32 v4, v197, v141 :: v_dual_fmac_f32 v239, v195, v138
	s_delay_alu instid0(VALU_DEP_4) | instskip(NEXT) | instid1(VALU_DEP_3)
	v_fma_f32 v5, v194, v138, -v5
	v_dual_fmac_f32 v240, v197, v140 :: v_dual_add_f32 v3, v3, v238
	s_delay_alu instid0(VALU_DEP_4) | instskip(SKIP_3) | instid1(VALU_DEP_4)
	v_add_f32_e32 v2, v2, v6
	v_mul_f32_e32 v6, v199, v143
	v_fma_f32 v4, v196, v140, -v4
	v_dual_mul_f32 v242, v200, v145 :: v_dual_mul_f32 v243, v202, v147
	v_dual_add_f32 v3, v3, v239 :: v_dual_add_f32 v2, v2, v5
	v_fmac_f32_e32 v241, v199, v142
	v_mul_f32_e32 v5, v201, v145
	v_fma_f32 v6, v198, v142, -v6
	s_delay_alu instid0(VALU_DEP_4) | instskip(SKIP_4) | instid1(VALU_DEP_4)
	v_add_f32_e32 v3, v3, v240
	v_add_f32_e32 v2, v2, v4
	v_mul_f32_e32 v4, v203, v147
	v_dual_fmac_f32 v242, v201, v144 :: v_dual_fmac_f32 v243, v203, v146
	v_fma_f32 v5, v200, v144, -v5
	v_dual_add_f32 v3, v3, v241 :: v_dual_add_f32 v2, v2, v6
	v_dual_mul_f32 v244, v204, v149 :: v_dual_mul_f32 v245, v206, v151
	s_delay_alu instid0(VALU_DEP_2) | instskip(SKIP_1) | instid1(VALU_DEP_4)
	v_dual_mul_f32 v6, v205, v149 :: v_dual_add_f32 v3, v3, v242
	v_fma_f32 v4, v202, v146, -v4
	v_dual_add_f32 v2, v2, v5 :: v_dual_mul_f32 v5, v207, v151
	s_delay_alu instid0(VALU_DEP_3) | instskip(NEXT) | instid1(VALU_DEP_4)
	v_dual_fmac_f32 v244, v205, v148 :: v_dual_add_f32 v3, v3, v243
	v_fma_f32 v6, v204, v148, -v6
	s_delay_alu instid0(VALU_DEP_3) | instskip(SKIP_1) | instid1(VALU_DEP_4)
	v_dual_add_f32 v2, v2, v4 :: v_dual_fmac_f32 v245, v207, v150
	v_dual_mul_f32 v246, v208, v153 :: v_dual_mul_f32 v247, v210, v155
	v_dual_mul_f32 v4, v209, v153 :: v_dual_add_f32 v3, v3, v244
	v_fma_f32 v5, v206, v150, -v5
	s_delay_alu instid0(VALU_DEP_4)
	v_add_f32_e32 v2, v2, v6
	v_mul_f32_e32 v6, v211, v155
	v_dual_fmac_f32 v246, v209, v152 :: v_dual_fmac_f32 v247, v211, v154
	v_fma_f32 v4, v208, v152, -v4
	v_add_f32_e32 v3, v3, v245
	v_add_f32_e32 v2, v2, v5
	v_dual_mul_f32 v249, v214, v159 :: v_dual_mul_f32 v250, v216, v161
	v_mul_f32_e32 v5, v213, v157
	v_fma_f32 v6, v210, v154, -v6
	s_delay_alu instid0(VALU_DEP_4) | instskip(SKIP_3) | instid1(VALU_DEP_4)
	v_dual_add_f32 v3, v3, v246 :: v_dual_add_f32 v2, v2, v4
	v_mul_f32_e32 v4, v215, v159
	v_dual_fmac_f32 v248, v213, v156 :: v_dual_fmac_f32 v249, v215, v158
	v_fma_f32 v5, v212, v156, -v5
	v_dual_add_f32 v3, v3, v247 :: v_dual_add_f32 v2, v2, v6
	v_mul_f32_e32 v6, v217, v161
	v_fma_f32 v4, v214, v158, -v4
	v_fmac_f32_e32 v251, v223, v218
	s_delay_alu instid0(VALU_DEP_4) | instskip(SKIP_2) | instid1(VALU_DEP_3)
	v_dual_add_f32 v3, v3, v248 :: v_dual_add_f32 v2, v2, v5
	v_dual_mul_f32 v5, v223, v219 :: v_dual_fmac_f32 v250, v217, v160
	v_fma_f32 v6, v216, v160, -v6
	v_dual_add_f32 v3, v3, v249 :: v_dual_add_f32 v2, v2, v4
	s_delay_alu instid0(VALU_DEP_3) | instskip(NEXT) | instid1(VALU_DEP_2)
	v_fma_f32 v4, v222, v218, -v5
	v_add_f32_e32 v3, v3, v250
	s_delay_alu instid0(VALU_DEP_1) | instskip(SKIP_1) | instid1(VALU_DEP_1)
	v_dual_add_f32 v2, v2, v6 :: v_dual_add_f32 v3, v3, v251
	s_wait_loadcnt 0x0
	v_dual_add_f32 v2, v2, v4 :: v_dual_sub_f32 v3, v221, v3
	s_delay_alu instid0(VALU_DEP_1)
	v_sub_f32_e32 v2, v220, v2
	scratch_store_b64 off, v[2:3], off offset:168
	v_cmpx_lt_u32_e32 20, v0
	s_cbranch_execz .LBB50_279
; %bb.278:
	scratch_load_b64 v[3:4], off, off offset:160
	v_mov_b32_e32 v2, v1
	scratch_store_b64 off, v[1:2], off offset:160
	s_wait_loadcnt 0x0
	ds_store_b64 v23, v[3:4]
.LBB50_279:
	s_wait_alu 0xfffe
	s_or_b32 exec_lo, exec_lo, s0
	s_wait_storecnt_dscnt 0x0
	s_barrier_signal -1
	s_barrier_wait -1
	global_inv scope:SCOPE_SE
	s_clause 0x4
	scratch_load_b128 v[2:5], off, off offset:168
	scratch_load_b128 v[6:9], off, off offset:184
	;; [unrolled: 1-line block ×5, first 2 shown]
	ds_load_2addr_b64 v[126:129], v1 offset0:73 offset1:74
	ds_load_2addr_b64 v[130:133], v1 offset0:75 offset1:76
	;; [unrolled: 1-line block ×3, first 2 shown]
	scratch_load_b64 v[138:139], off, off offset:160
	s_mov_b32 s0, exec_lo
	s_wait_loadcnt_dscnt 0x502
	v_dual_mul_f32 v22, v127, v3 :: v_dual_mul_f32 v141, v128, v5
	v_dual_mul_f32 v140, v126, v3 :: v_dual_mul_f32 v3, v129, v5
	s_wait_loadcnt_dscnt 0x300
	v_mul_f32_e32 v142, v136, v13
	s_delay_alu instid0(VALU_DEP_3) | instskip(NEXT) | instid1(VALU_DEP_3)
	v_fma_f32 v22, v126, v2, -v22
	v_dual_fmac_f32 v141, v129, v4 :: v_dual_fmac_f32 v140, v127, v2
	v_fma_f32 v126, v128, v4, -v3
	ds_load_2addr_b64 v[2:5], v1 offset0:79 offset1:80
	v_dual_mul_f32 v127, v130, v7 :: v_dual_mul_f32 v128, v132, v9
	v_mul_f32_e32 v7, v131, v7
	v_mul_f32_e32 v9, v133, v9
	;; [unrolled: 1-line block ×3, first 2 shown]
	v_dual_mul_f32 v11, v135, v11 :: v_dual_fmac_f32 v142, v137, v12
	v_mul_f32_e32 v13, v137, v13
	v_fmac_f32_e32 v127, v131, v6
	v_fma_f32 v130, v130, v6, -v7
	v_fmac_f32_e32 v128, v133, v8
	v_fma_f32 v131, v132, v8, -v9
	scratch_load_b128 v[6:9], off, off offset:248
	v_fmac_f32_e32 v129, v135, v10
	v_fma_f32 v132, v134, v10, -v11
	v_fma_f32 v133, v136, v12, -v13
	ds_load_2addr_b64 v[10:13], v1 offset0:81 offset1:82
	s_wait_loadcnt_dscnt 0x301
	v_mul_f32_e32 v134, v2, v15
	v_mul_f32_e32 v15, v3, v15
	;; [unrolled: 1-line block ×3, first 2 shown]
	s_delay_alu instid0(VALU_DEP_3) | instskip(NEXT) | instid1(VALU_DEP_3)
	v_dual_mul_f32 v17, v5, v17 :: v_dual_fmac_f32 v134, v3, v14
	v_fma_f32 v14, v2, v14, -v15
	s_delay_alu instid0(VALU_DEP_3) | instskip(NEXT) | instid1(VALU_DEP_3)
	v_fmac_f32_e32 v135, v5, v16
	v_fma_f32 v15, v4, v16, -v17
	ds_load_2addr_b64 v[2:5], v1 offset0:83 offset1:84
	s_wait_loadcnt_dscnt 0x201
	v_mul_f32_e32 v16, v10, v19
	v_mul_f32_e32 v17, v11, v19
	;; [unrolled: 1-line block ×3, first 2 shown]
	s_delay_alu instid0(VALU_DEP_3) | instskip(NEXT) | instid1(VALU_DEP_3)
	v_dual_mul_f32 v21, v13, v21 :: v_dual_fmac_f32 v16, v11, v18
	v_fma_f32 v17, v10, v18, -v17
	s_delay_alu instid0(VALU_DEP_3) | instskip(NEXT) | instid1(VALU_DEP_3)
	v_fmac_f32_e32 v19, v13, v20
	v_fma_f32 v18, v12, v20, -v21
	scratch_load_b128 v[10:13], off, off offset:264
	s_wait_loadcnt_dscnt 0x100
	v_mul_f32_e32 v20, v2, v7
	v_mul_f32_e32 v7, v3, v7
	;; [unrolled: 1-line block ×3, first 2 shown]
	s_delay_alu instid0(VALU_DEP_3) | instskip(NEXT) | instid1(VALU_DEP_3)
	v_dual_mul_f32 v9, v5, v9 :: v_dual_fmac_f32 v20, v3, v6
	v_fma_f32 v136, v2, v6, -v7
	s_delay_alu instid0(VALU_DEP_3) | instskip(NEXT) | instid1(VALU_DEP_3)
	v_fmac_f32_e32 v21, v5, v8
	v_fma_f32 v137, v4, v8, -v9
	ds_load_2addr_b64 v[2:5], v1 offset0:85 offset1:86
	ds_load_2addr_b64 v[6:9], v1 offset0:87 offset1:88
	s_wait_loadcnt_dscnt 0x1
	v_mul_f32_e32 v143, v2, v11
	v_dual_mul_f32 v11, v3, v11 :: v_dual_mul_f32 v144, v4, v13
	s_delay_alu instid0(VALU_DEP_2) | instskip(NEXT) | instid1(VALU_DEP_2)
	v_fmac_f32_e32 v143, v3, v10
	v_fma_f32 v145, v2, v10, -v11
	v_mul_f32_e32 v2, v5, v13
	s_delay_alu instid0(VALU_DEP_4) | instskip(NEXT) | instid1(VALU_DEP_2)
	v_fmac_f32_e32 v144, v5, v12
	v_fma_f32 v146, v4, v12, -v2
	s_clause 0x1
	scratch_load_b128 v[2:5], off, off offset:280
	scratch_load_b128 v[10:13], off, off offset:296
	s_wait_loadcnt_dscnt 0x100
	v_mul_f32_e32 v147, v6, v3
	v_mul_f32_e32 v3, v7, v3
	;; [unrolled: 1-line block ×3, first 2 shown]
	s_delay_alu instid0(VALU_DEP_3) | instskip(NEXT) | instid1(VALU_DEP_3)
	v_fmac_f32_e32 v147, v7, v2
	v_fma_f32 v148, v6, v2, -v3
	v_mul_f32_e32 v2, v9, v5
	s_delay_alu instid0(VALU_DEP_4) | instskip(NEXT) | instid1(VALU_DEP_2)
	v_fmac_f32_e32 v149, v9, v4
	v_fma_f32 v150, v8, v4, -v2
	ds_load_2addr_b64 v[2:5], v1 offset0:89 offset1:90
	ds_load_2addr_b64 v[6:9], v1 offset0:91 offset1:92
	s_wait_loadcnt_dscnt 0x1
	v_mul_f32_e32 v151, v2, v11
	v_mul_f32_e32 v153, v4, v13
	s_delay_alu instid0(VALU_DEP_2) | instskip(SKIP_1) | instid1(VALU_DEP_3)
	v_fmac_f32_e32 v151, v3, v10
	v_mul_f32_e32 v3, v3, v11
	v_fmac_f32_e32 v153, v5, v12
	s_delay_alu instid0(VALU_DEP_2) | instskip(SKIP_1) | instid1(VALU_DEP_1)
	v_fma_f32 v152, v2, v10, -v3
	v_mul_f32_e32 v2, v5, v13
	v_fma_f32 v154, v4, v12, -v2
	s_clause 0x1
	scratch_load_b128 v[2:5], off, off offset:312
	scratch_load_b128 v[10:13], off, off offset:328
	s_wait_loadcnt_dscnt 0x100
	v_mul_f32_e32 v155, v6, v3
	v_mul_f32_e32 v3, v7, v3
	s_delay_alu instid0(VALU_DEP_2) | instskip(NEXT) | instid1(VALU_DEP_2)
	v_fmac_f32_e32 v155, v7, v2
	v_fma_f32 v156, v6, v2, -v3
	v_dual_mul_f32 v2, v9, v5 :: v_dual_add_f32 v3, 0, v140
	s_delay_alu instid0(VALU_DEP_1) | instskip(NEXT) | instid1(VALU_DEP_2)
	v_fma_f32 v158, v8, v4, -v2
	v_dual_add_f32 v2, 0, v22 :: v_dual_add_f32 v3, v3, v141
	s_delay_alu instid0(VALU_DEP_1) | instskip(NEXT) | instid1(VALU_DEP_1)
	v_dual_add_f32 v2, v2, v126 :: v_dual_add_f32 v3, v3, v127
	v_dual_add_f32 v2, v2, v130 :: v_dual_add_f32 v3, v3, v128
	s_delay_alu instid0(VALU_DEP_1) | instskip(NEXT) | instid1(VALU_DEP_1)
	v_dual_add_f32 v2, v2, v131 :: v_dual_add_f32 v3, v3, v129
	v_add_f32_e32 v2, v2, v132
	s_delay_alu instid0(VALU_DEP_2) | instskip(NEXT) | instid1(VALU_DEP_2)
	v_add_f32_e32 v6, v3, v142
	v_add_f32_e32 v2, v2, v133
	s_delay_alu instid0(VALU_DEP_1) | instskip(NEXT) | instid1(VALU_DEP_1)
	v_add_f32_e32 v7, v2, v14
	v_dual_add_f32 v14, v6, v134 :: v_dual_add_f32 v15, v7, v15
	s_delay_alu instid0(VALU_DEP_1) | instskip(NEXT) | instid1(VALU_DEP_1)
	v_dual_add_f32 v14, v14, v135 :: v_dual_add_f32 v15, v15, v17
	v_add_f32_e32 v14, v14, v16
	s_delay_alu instid0(VALU_DEP_2) | instskip(NEXT) | instid1(VALU_DEP_1)
	v_add_f32_e32 v18, v15, v18
	v_add_f32_e32 v18, v18, v136
	s_delay_alu instid0(VALU_DEP_1) | instskip(NEXT) | instid1(VALU_DEP_1)
	v_add_f32_e32 v18, v18, v137
	v_add_f32_e32 v18, v18, v145
	;; [unrolled: 1-line block ×3, first 2 shown]
	ds_load_2addr_b64 v[14:17], v1 offset0:95 offset1:96
	v_add_f32_e32 v19, v19, v20
	s_delay_alu instid0(VALU_DEP_1) | instskip(NEXT) | instid1(VALU_DEP_1)
	v_add_f32_e32 v19, v19, v21
	v_dual_mul_f32 v157, v8, v5 :: v_dual_add_f32 v126, v19, v143
	s_delay_alu instid0(VALU_DEP_1) | instskip(NEXT) | instid1(VALU_DEP_2)
	v_add_f32_e32 v126, v126, v144
	v_fmac_f32_e32 v157, v9, v4
	scratch_load_b128 v[6:9], off, off offset:344
	ds_load_2addr_b64 v[2:5], v1 offset0:93 offset1:94
	v_add_f32_e32 v126, v126, v147
	s_wait_loadcnt_dscnt 0x100
	v_mul_f32_e32 v22, v2, v11
	v_dual_mul_f32 v11, v3, v11 :: v_dual_mul_f32 v130, v4, v13
	s_delay_alu instid0(VALU_DEP_2) | instskip(NEXT) | instid1(VALU_DEP_2)
	v_dual_mul_f32 v13, v5, v13 :: v_dual_fmac_f32 v22, v3, v10
	v_fma_f32 v131, v2, v10, -v11
	s_delay_alu instid0(VALU_DEP_3) | instskip(NEXT) | instid1(VALU_DEP_3)
	v_fmac_f32_e32 v130, v5, v12
	v_fma_f32 v132, v4, v12, -v13
	scratch_load_b128 v[10:13], off, off offset:376
	v_add_f32_e32 v127, v18, v146
	s_clause 0x1
	scratch_load_b128 v[18:21], off, off offset:392
	scratch_load_b128 v[2:5], off, off offset:360
	v_add_f32_e32 v127, v127, v148
	s_delay_alu instid0(VALU_DEP_1) | instskip(SKIP_3) | instid1(VALU_DEP_1)
	v_add_f32_e32 v127, v127, v150
	s_wait_loadcnt 0x3
	v_mul_f32_e32 v133, v14, v7
	v_dual_mul_f32 v7, v15, v7 :: v_dual_mul_f32 v134, v16, v9
	v_fma_f32 v135, v14, v6, -v7
	v_add_f32_e32 v14, v126, v149
	v_add_f32_e32 v126, v127, v152
	s_delay_alu instid0(VALU_DEP_2) | instskip(NEXT) | instid1(VALU_DEP_1)
	v_dual_fmac_f32 v134, v17, v8 :: v_dual_add_f32 v127, v14, v151
	v_dual_add_f32 v137, v126, v154 :: v_dual_add_f32 v140, v127, v153
	ds_load_2addr_b64 v[126:129], v1 offset0:101 offset1:102
	v_mul_f32_e32 v9, v17, v9
	v_fmac_f32_e32 v133, v15, v6
	s_delay_alu instid0(VALU_DEP_2) | instskip(SKIP_3) | instid1(VALU_DEP_1)
	v_fma_f32 v136, v16, v8, -v9
	ds_load_2addr_b64 v[6:9], v1 offset0:97 offset1:98
	ds_load_2addr_b64 v[14:17], v1 offset0:99 offset1:100
	v_add_f32_e32 v1, v137, v156
	v_add_f32_e32 v1, v1, v158
	s_delay_alu instid0(VALU_DEP_1) | instskip(SKIP_1) | instid1(VALU_DEP_1)
	v_add_f32_e32 v1, v1, v131
	s_wait_loadcnt_dscnt 0x102
	v_dual_add_f32 v1, v1, v132 :: v_dual_mul_f32 v132, v128, v21
	s_wait_loadcnt_dscnt 0x1
	v_mul_f32_e32 v131, v8, v5
	v_mul_f32_e32 v5, v9, v5
	s_delay_alu instid0(VALU_DEP_3) | instskip(SKIP_3) | instid1(VALU_DEP_4)
	v_add_f32_e32 v1, v1, v135
	v_dual_fmac_f32 v132, v129, v20 :: v_dual_add_f32 v137, v140, v155
	v_mul_f32_e32 v140, v6, v3
	v_mul_f32_e32 v3, v7, v3
	v_add_f32_e32 v1, v1, v136
	v_fmac_f32_e32 v131, v9, v4
	s_delay_alu instid0(VALU_DEP_4) | instskip(NEXT) | instid1(VALU_DEP_4)
	v_dual_add_f32 v137, v137, v157 :: v_dual_fmac_f32 v140, v7, v2
	v_fma_f32 v3, v6, v2, -v3
	s_wait_dscnt 0x0
	v_mul_f32_e32 v6, v15, v11
	v_fma_f32 v4, v8, v4, -v5
	v_dual_add_f32 v22, v137, v22 :: v_dual_mul_f32 v137, v14, v11
	v_add_f32_e32 v1, v1, v3
	v_mul_f32_e32 v141, v16, v13
	s_delay_alu instid0(VALU_DEP_3) | instskip(NEXT) | instid1(VALU_DEP_4)
	v_dual_mul_f32 v3, v17, v13 :: v_dual_add_f32 v22, v22, v130
	v_fmac_f32_e32 v137, v15, v10
	v_fma_f32 v5, v14, v10, -v6
	v_dual_add_f32 v1, v1, v4 :: v_dual_mul_f32 v130, v126, v19
	s_delay_alu instid0(VALU_DEP_4) | instskip(SKIP_2) | instid1(VALU_DEP_3)
	v_add_f32_e32 v22, v22, v133
	v_dual_mul_f32 v4, v127, v19 :: v_dual_fmac_f32 v141, v17, v12
	v_fma_f32 v3, v16, v12, -v3
	v_dual_add_f32 v1, v1, v5 :: v_dual_add_f32 v2, v22, v134
	v_dual_mul_f32 v5, v129, v21 :: v_dual_fmac_f32 v130, v127, v18
	s_delay_alu instid0(VALU_DEP_4) | instskip(NEXT) | instid1(VALU_DEP_3)
	v_fma_f32 v4, v126, v18, -v4
	v_dual_add_f32 v1, v1, v3 :: v_dual_add_f32 v2, v2, v140
	s_delay_alu instid0(VALU_DEP_3) | instskip(NEXT) | instid1(VALU_DEP_2)
	v_fma_f32 v3, v128, v20, -v5
	v_dual_add_f32 v1, v1, v4 :: v_dual_add_f32 v2, v2, v131
	s_delay_alu instid0(VALU_DEP_1) | instskip(NEXT) | instid1(VALU_DEP_1)
	v_dual_add_f32 v1, v1, v3 :: v_dual_add_f32 v2, v2, v137
	v_sub_f32_e32 v1, v138, v1
	s_delay_alu instid0(VALU_DEP_2) | instskip(NEXT) | instid1(VALU_DEP_1)
	v_add_f32_e32 v2, v2, v141
	v_add_f32_e32 v2, v2, v130
	s_delay_alu instid0(VALU_DEP_1) | instskip(NEXT) | instid1(VALU_DEP_1)
	v_add_f32_e32 v2, v2, v132
	v_sub_f32_e32 v2, v139, v2
	scratch_store_b64 off, v[1:2], off offset:160
	v_cmpx_lt_u32_e32 19, v0
	s_cbranch_execz .LBB50_281
; %bb.280:
	scratch_load_b64 v[1:2], off, off offset:152
	v_mov_b32_e32 v3, 0
	s_delay_alu instid0(VALU_DEP_1)
	v_mov_b32_e32 v4, v3
	scratch_store_b64 off, v[3:4], off offset:152
	s_wait_loadcnt 0x0
	ds_store_b64 v23, v[1:2]
.LBB50_281:
	s_wait_alu 0xfffe
	s_or_b32 exec_lo, exec_lo, s0
	s_wait_storecnt_dscnt 0x0
	s_barrier_signal -1
	s_barrier_wait -1
	global_inv scope:SCOPE_SE
	s_clause 0x4
	scratch_load_b128 v[5:8], off, off offset:160
	scratch_load_b128 v[1:4], off, off offset:176
	;; [unrolled: 1-line block ×5, first 2 shown]
	v_mov_b32_e32 v21, 0
	ds_load_b128 v[126:129], v21 offset:576
	ds_load_b128 v[130:133], v21 offset:592
	;; [unrolled: 1-line block ×3, first 2 shown]
	scratch_load_b64 v[138:139], off, off offset:152
	s_mov_b32 s0, exec_lo
	s_wait_loadcnt_dscnt 0x502
	v_mul_f32_e32 v22, v127, v6
	v_dual_mul_f32 v140, v126, v6 :: v_dual_mul_f32 v141, v128, v8
	v_mul_f32_e32 v6, v129, v8
	s_delay_alu instid0(VALU_DEP_3) | instskip(NEXT) | instid1(VALU_DEP_3)
	v_fma_f32 v22, v126, v5, -v22
	v_dual_fmac_f32 v140, v127, v5 :: v_dual_fmac_f32 v141, v129, v7
	s_wait_loadcnt_dscnt 0x401
	v_mul_f32_e32 v127, v130, v2
	v_fma_f32 v126, v128, v7, -v6
	ds_load_b128 v[5:8], v21 offset:624
	s_wait_loadcnt_dscnt 0x301
	v_dual_mul_f32 v128, v132, v4 :: v_dual_mul_f32 v129, v134, v10
	v_dual_mul_f32 v4, v133, v4 :: v_dual_fmac_f32 v127, v131, v1
	v_mul_f32_e32 v10, v135, v10
	s_delay_alu instid0(VALU_DEP_3)
	v_dual_mul_f32 v142, v136, v12 :: v_dual_fmac_f32 v129, v135, v9
	v_mul_f32_e32 v12, v137, v12
	v_mul_f32_e32 v2, v131, v2
	v_fmac_f32_e32 v128, v133, v3
	v_fma_f32 v131, v132, v3, -v4
	v_fma_f32 v132, v134, v9, -v10
	v_fmac_f32_e32 v142, v137, v11
	v_fma_f32 v133, v136, v11, -v12
	ds_load_b128 v[9:12], v21 offset:640
	s_wait_loadcnt_dscnt 0x201
	v_dual_mul_f32 v135, v7, v16 :: v_dual_mul_f32 v134, v5, v14
	v_mul_f32_e32 v14, v6, v14
	v_mul_f32_e32 v16, v8, v16
	s_delay_alu instid0(VALU_DEP_3)
	v_fmac_f32_e32 v135, v8, v15
	v_fma_f32 v130, v130, v1, -v2
	scratch_load_b128 v[1:4], off, off offset:240
	v_fmac_f32_e32 v134, v6, v13
	v_fma_f32 v13, v5, v13, -v14
	v_fma_f32 v14, v7, v15, -v16
	ds_load_b128 v[5:8], v21 offset:656
	s_wait_loadcnt_dscnt 0x201
	v_mul_f32_e32 v15, v9, v18
	v_mul_f32_e32 v16, v10, v18
	;; [unrolled: 1-line block ×3, first 2 shown]
	s_delay_alu instid0(VALU_DEP_3) | instskip(NEXT) | instid1(VALU_DEP_3)
	v_dual_mul_f32 v20, v12, v20 :: v_dual_fmac_f32 v15, v10, v17
	v_fma_f32 v16, v9, v17, -v16
	s_delay_alu instid0(VALU_DEP_3) | instskip(NEXT) | instid1(VALU_DEP_3)
	v_fmac_f32_e32 v18, v12, v19
	v_fma_f32 v17, v11, v19, -v20
	scratch_load_b128 v[9:12], off, off offset:256
	s_wait_loadcnt_dscnt 0x100
	v_mul_f32_e32 v19, v5, v2
	v_mul_f32_e32 v2, v6, v2
	;; [unrolled: 1-line block ×3, first 2 shown]
	s_delay_alu instid0(VALU_DEP_3) | instskip(NEXT) | instid1(VALU_DEP_3)
	v_dual_mul_f32 v4, v8, v4 :: v_dual_fmac_f32 v19, v6, v1
	v_fma_f32 v136, v5, v1, -v2
	s_delay_alu instid0(VALU_DEP_3) | instskip(NEXT) | instid1(VALU_DEP_3)
	v_fmac_f32_e32 v20, v8, v3
	v_fma_f32 v137, v7, v3, -v4
	ds_load_b128 v[1:4], v21 offset:672
	ds_load_b128 v[5:8], v21 offset:688
	s_wait_loadcnt_dscnt 0x1
	v_mul_f32_e32 v143, v1, v10
	v_mul_f32_e32 v10, v2, v10
	s_delay_alu instid0(VALU_DEP_2) | instskip(NEXT) | instid1(VALU_DEP_2)
	v_dual_mul_f32 v144, v3, v12 :: v_dual_fmac_f32 v143, v2, v9
	v_fma_f32 v145, v1, v9, -v10
	v_mul_f32_e32 v1, v4, v12
	s_delay_alu instid0(VALU_DEP_3) | instskip(NEXT) | instid1(VALU_DEP_2)
	v_fmac_f32_e32 v144, v4, v11
	v_fma_f32 v146, v3, v11, -v1
	s_clause 0x1
	scratch_load_b128 v[1:4], off, off offset:272
	scratch_load_b128 v[9:12], off, off offset:288
	s_wait_loadcnt_dscnt 0x100
	v_mul_f32_e32 v147, v5, v2
	v_dual_mul_f32 v2, v6, v2 :: v_dual_mul_f32 v149, v7, v4
	s_delay_alu instid0(VALU_DEP_2) | instskip(NEXT) | instid1(VALU_DEP_2)
	v_fmac_f32_e32 v147, v6, v1
	v_fma_f32 v148, v5, v1, -v2
	v_mul_f32_e32 v1, v8, v4
	s_delay_alu instid0(VALU_DEP_4) | instskip(NEXT) | instid1(VALU_DEP_2)
	v_fmac_f32_e32 v149, v8, v3
	v_fma_f32 v150, v7, v3, -v1
	ds_load_b128 v[1:4], v21 offset:704
	ds_load_b128 v[5:8], v21 offset:720
	s_wait_loadcnt_dscnt 0x1
	v_mul_f32_e32 v151, v1, v10
	v_mul_f32_e32 v153, v3, v12
	s_delay_alu instid0(VALU_DEP_2) | instskip(NEXT) | instid1(VALU_DEP_2)
	v_fmac_f32_e32 v151, v2, v9
	v_dual_mul_f32 v2, v2, v10 :: v_dual_fmac_f32 v153, v4, v11
	s_delay_alu instid0(VALU_DEP_1) | instskip(SKIP_1) | instid1(VALU_DEP_1)
	v_fma_f32 v152, v1, v9, -v2
	v_mul_f32_e32 v1, v4, v12
	v_fma_f32 v154, v3, v11, -v1
	s_clause 0x1
	scratch_load_b128 v[1:4], off, off offset:304
	scratch_load_b128 v[9:12], off, off offset:320
	s_wait_loadcnt_dscnt 0x100
	v_mul_f32_e32 v155, v5, v2
	v_dual_mul_f32 v157, v7, v4 :: v_dual_mul_f32 v2, v6, v2
	s_delay_alu instid0(VALU_DEP_2) | instskip(NEXT) | instid1(VALU_DEP_2)
	v_fmac_f32_e32 v155, v6, v1
	v_fmac_f32_e32 v157, v8, v3
	s_delay_alu instid0(VALU_DEP_3) | instskip(SKIP_1) | instid1(VALU_DEP_1)
	v_fma_f32 v156, v5, v1, -v2
	v_add_f32_e32 v2, 0, v140
	v_dual_mul_f32 v1, v8, v4 :: v_dual_add_f32 v2, v2, v141
	s_delay_alu instid0(VALU_DEP_1) | instskip(NEXT) | instid1(VALU_DEP_2)
	v_fma_f32 v158, v7, v3, -v1
	v_dual_add_f32 v1, 0, v22 :: v_dual_add_f32 v2, v2, v127
	s_delay_alu instid0(VALU_DEP_1) | instskip(NEXT) | instid1(VALU_DEP_1)
	v_dual_add_f32 v1, v1, v126 :: v_dual_add_f32 v2, v2, v128
	v_dual_add_f32 v1, v1, v130 :: v_dual_add_f32 v2, v2, v129
	s_delay_alu instid0(VALU_DEP_1) | instskip(SKIP_2) | instid1(VALU_DEP_1)
	v_add_f32_e32 v1, v1, v131
	scratch_load_b64 v[130:131], off, off offset:400
	v_add_f32_e32 v1, v1, v132
	v_add_f32_e32 v1, v1, v133
	s_delay_alu instid0(VALU_DEP_1)
	v_dual_add_f32 v5, v2, v142 :: v_dual_add_f32 v6, v1, v13
	scratch_load_b128 v[1:4], off, off offset:336
	v_add_f32_e32 v13, v5, v134
	v_add_f32_e32 v14, v6, v14
	ds_load_b128 v[5:8], v21 offset:736
	v_dual_add_f32 v13, v13, v135 :: v_dual_add_f32 v14, v14, v16
	s_delay_alu instid0(VALU_DEP_1) | instskip(NEXT) | instid1(VALU_DEP_1)
	v_add_f32_e32 v13, v13, v15
	v_dual_add_f32 v17, v14, v17 :: v_dual_add_f32 v18, v13, v18
	ds_load_b128 v[13:16], v21 offset:752
	v_add_f32_e32 v18, v18, v19
	s_wait_loadcnt_dscnt 0x201
	v_mul_f32_e32 v22, v5, v10
	v_dual_add_f32 v17, v17, v136 :: v_dual_mul_f32 v10, v6, v10
	v_mul_f32_e32 v134, v7, v12
	v_mul_f32_e32 v12, v8, v12
	s_delay_alu instid0(VALU_DEP_4) | instskip(NEXT) | instid1(VALU_DEP_4)
	v_fmac_f32_e32 v22, v6, v9
	v_add_f32_e32 v17, v17, v137
	v_fma_f32 v135, v5, v9, -v10
	v_fmac_f32_e32 v134, v8, v11
	v_fma_f32 v136, v7, v11, -v12
	scratch_load_b128 v[5:8], off, off offset:352
	v_dual_add_f32 v17, v17, v145 :: v_dual_add_f32 v18, v18, v20
	scratch_load_b128 v[9:12], off, off offset:368
	v_add_f32_e32 v127, v17, v146
	s_delay_alu instid0(VALU_DEP_1) | instskip(SKIP_2) | instid1(VALU_DEP_1)
	v_dual_add_f32 v127, v127, v148 :: v_dual_add_f32 v126, v18, v143
	scratch_load_b128 v[17:20], off, off offset:384
	v_dual_add_f32 v127, v127, v150 :: v_dual_add_f32 v126, v126, v144
	v_add_f32_e32 v127, v127, v152
	s_wait_loadcnt_dscnt 0x300
	s_delay_alu instid0(VALU_DEP_2) | instskip(SKIP_1) | instid1(VALU_DEP_2)
	v_dual_mul_f32 v137, v13, v2 :: v_dual_add_f32 v126, v126, v147
	v_mul_f32_e32 v2, v14, v2
	v_dual_mul_f32 v140, v15, v4 :: v_dual_fmac_f32 v137, v14, v1
	v_add_f32_e32 v14, v127, v154
	s_delay_alu instid0(VALU_DEP_2) | instskip(NEXT) | instid1(VALU_DEP_2)
	v_fmac_f32_e32 v140, v16, v3
	v_add_f32_e32 v132, v14, v156
	s_delay_alu instid0(VALU_DEP_1) | instskip(NEXT) | instid1(VALU_DEP_1)
	v_dual_add_f32 v126, v126, v149 :: v_dual_add_f32 v143, v132, v158
	v_dual_mul_f32 v4, v16, v4 :: v_dual_add_f32 v135, v143, v135
	v_fma_f32 v141, v13, v1, -v2
	s_delay_alu instid0(VALU_DEP_3) | instskip(NEXT) | instid1(VALU_DEP_3)
	v_add_f32_e32 v13, v126, v151
	v_fma_f32 v142, v15, v3, -v4
	ds_load_b128 v[1:4], v21 offset:768
	v_dual_add_f32 v135, v135, v136 :: v_dual_add_f32 v126, v13, v153
	ds_load_b128 v[13:16], v21 offset:784
	v_add_f32_e32 v135, v135, v141
	v_add_f32_e32 v133, v126, v155
	ds_load_b128 v[126:129], v21 offset:800
	v_dual_add_f32 v135, v135, v142 :: v_dual_add_f32 v144, v133, v157
	ds_load_b64 v[132:133], v21 offset:816
	s_wait_loadcnt_dscnt 0x203
	v_mul_f32_e32 v143, v1, v6
	v_add_f32_e32 v22, v144, v22
	v_mul_f32_e32 v6, v2, v6
	s_delay_alu instid0(VALU_DEP_3) | instskip(NEXT) | instid1(VALU_DEP_3)
	v_fmac_f32_e32 v143, v2, v5
	v_add_f32_e32 v22, v22, v134
	v_mul_f32_e32 v134, v3, v8
	v_mul_f32_e32 v8, v4, v8
	v_fma_f32 v1, v1, v5, -v6
	s_wait_loadcnt_dscnt 0x1
	v_mul_f32_e32 v142, v128, v20
	v_mul_f32_e32 v5, v16, v12
	;; [unrolled: 1-line block ×3, first 2 shown]
	v_fma_f32 v2, v3, v7, -v8
	v_mul_f32_e32 v3, v14, v10
	v_add_f32_e32 v1, v135, v1
	v_add_f32_e32 v22, v22, v137
	v_dual_fmac_f32 v134, v4, v7 :: v_dual_fmac_f32 v141, v127, v17
	s_delay_alu instid0(VALU_DEP_4) | instskip(NEXT) | instid1(VALU_DEP_3)
	v_fma_f32 v3, v13, v9, -v3
	v_dual_add_f32 v1, v1, v2 :: v_dual_add_f32 v22, v22, v140
	s_wait_dscnt 0x0
	v_mul_f32_e32 v140, v132, v131
	v_fma_f32 v5, v15, v11, -v5
	v_mul_f32_e32 v137, v15, v12
	v_add_f32_e32 v1, v1, v3
	v_dual_add_f32 v4, v22, v143 :: v_dual_mul_f32 v3, v129, v20
	s_delay_alu instid0(VALU_DEP_3) | instskip(NEXT) | instid1(VALU_DEP_2)
	v_dual_mul_f32 v136, v13, v10 :: v_dual_fmac_f32 v137, v16, v11
	v_dual_add_f32 v1, v1, v5 :: v_dual_add_f32 v2, v4, v134
	s_delay_alu instid0(VALU_DEP_3) | instskip(SKIP_1) | instid1(VALU_DEP_4)
	v_fma_f32 v3, v128, v19, -v3
	v_mul_f32_e32 v4, v127, v18
	v_dual_fmac_f32 v136, v14, v9 :: v_dual_mul_f32 v5, v133, v131
	v_fmac_f32_e32 v140, v133, v130
	s_delay_alu instid0(VALU_DEP_3) | instskip(NEXT) | instid1(VALU_DEP_1)
	v_fma_f32 v4, v126, v17, -v4
	v_add_f32_e32 v1, v1, v4
	s_delay_alu instid0(VALU_DEP_4) | instskip(SKIP_1) | instid1(VALU_DEP_2)
	v_add_f32_e32 v2, v2, v136
	v_fma_f32 v4, v132, v130, -v5
	v_dual_add_f32 v1, v1, v3 :: v_dual_add_f32 v2, v2, v137
	s_delay_alu instid0(VALU_DEP_1) | instskip(SKIP_1) | instid1(VALU_DEP_3)
	v_add_f32_e32 v1, v1, v4
	v_fmac_f32_e32 v142, v129, v19
	v_add_f32_e32 v2, v2, v141
	s_delay_alu instid0(VALU_DEP_3) | instskip(NEXT) | instid1(VALU_DEP_2)
	v_sub_f32_e32 v1, v138, v1
	v_add_f32_e32 v2, v2, v142
	s_delay_alu instid0(VALU_DEP_1) | instskip(NEXT) | instid1(VALU_DEP_1)
	v_add_f32_e32 v2, v2, v140
	v_sub_f32_e32 v2, v139, v2
	scratch_store_b64 off, v[1:2], off offset:152
	v_cmpx_lt_u32_e32 18, v0
	s_cbranch_execz .LBB50_283
; %bb.282:
	scratch_load_b64 v[1:2], off, off offset:144
	v_mov_b32_e32 v22, v21
	scratch_store_b64 off, v[21:22], off offset:144
	s_wait_loadcnt 0x0
	ds_store_b64 v23, v[1:2]
.LBB50_283:
	s_wait_alu 0xfffe
	s_or_b32 exec_lo, exec_lo, s0
	s_wait_storecnt_dscnt 0x0
	s_barrier_signal -1
	s_barrier_wait -1
	global_inv scope:SCOPE_SE
	s_clause 0x4
	scratch_load_b128 v[5:8], off, off offset:152
	scratch_load_b128 v[1:4], off, off offset:168
	;; [unrolled: 1-line block ×5, first 2 shown]
	ds_load_2addr_b64 v[126:129], v21 offset0:71 offset1:72
	ds_load_2addr_b64 v[130:133], v21 offset0:73 offset1:74
	ds_load_2addr_b64 v[134:137], v21 offset0:75 offset1:76
	scratch_load_b64 v[138:139], off, off offset:144
	s_mov_b32 s0, exec_lo
	s_wait_loadcnt_dscnt 0x502
	v_dual_mul_f32 v22, v127, v6 :: v_dual_mul_f32 v141, v128, v8
	v_mul_f32_e32 v140, v126, v6
	v_mul_f32_e32 v6, v129, v8
	s_wait_loadcnt_dscnt 0x300
	v_mul_f32_e32 v142, v136, v12
	v_fma_f32 v22, v126, v5, -v22
	v_dual_fmac_f32 v141, v129, v7 :: v_dual_fmac_f32 v140, v127, v5
	v_mul_f32_e32 v129, v134, v10
	v_mul_f32_e32 v127, v130, v2
	v_fma_f32 v126, v128, v7, -v6
	ds_load_2addr_b64 v[5:8], v21 offset0:77 offset1:78
	v_mul_f32_e32 v128, v132, v4
	v_dual_mul_f32 v4, v133, v4 :: v_dual_fmac_f32 v129, v135, v9
	v_mul_f32_e32 v10, v135, v10
	v_mul_f32_e32 v12, v137, v12
	;; [unrolled: 1-line block ×3, first 2 shown]
	v_dual_fmac_f32 v127, v131, v1 :: v_dual_fmac_f32 v128, v133, v3
	v_fma_f32 v131, v132, v3, -v4
	v_fma_f32 v132, v134, v9, -v10
	v_fmac_f32_e32 v142, v137, v11
	v_fma_f32 v133, v136, v11, -v12
	ds_load_2addr_b64 v[9:12], v21 offset0:79 offset1:80
	s_wait_loadcnt_dscnt 0x201
	v_dual_mul_f32 v135, v7, v16 :: v_dual_mul_f32 v134, v5, v14
	s_delay_alu instid0(VALU_DEP_1)
	v_dual_mul_f32 v14, v6, v14 :: v_dual_fmac_f32 v135, v8, v15
	v_fma_f32 v130, v130, v1, -v2
	scratch_load_b128 v[1:4], off, off offset:232
	v_mul_f32_e32 v16, v8, v16
	v_fmac_f32_e32 v134, v6, v13
	v_fma_f32 v13, v5, v13, -v14
	s_delay_alu instid0(VALU_DEP_3)
	v_fma_f32 v14, v7, v15, -v16
	s_wait_loadcnt_dscnt 0x200
	v_mul_f32_e32 v15, v9, v18
	v_mul_f32_e32 v16, v10, v18
	;; [unrolled: 1-line block ×4, first 2 shown]
	ds_load_2addr_b64 v[5:8], v21 offset0:81 offset1:82
	v_fmac_f32_e32 v15, v10, v17
	v_fma_f32 v16, v9, v17, -v16
	v_fmac_f32_e32 v18, v12, v19
	v_fma_f32 v17, v11, v19, -v20
	scratch_load_b128 v[9:12], off, off offset:248
	s_wait_loadcnt_dscnt 0x100
	v_mul_f32_e32 v19, v5, v2
	v_mul_f32_e32 v2, v6, v2
	;; [unrolled: 1-line block ×3, first 2 shown]
	s_delay_alu instid0(VALU_DEP_3) | instskip(NEXT) | instid1(VALU_DEP_3)
	v_dual_mul_f32 v4, v8, v4 :: v_dual_fmac_f32 v19, v6, v1
	v_fma_f32 v136, v5, v1, -v2
	s_delay_alu instid0(VALU_DEP_3) | instskip(NEXT) | instid1(VALU_DEP_3)
	v_fmac_f32_e32 v20, v8, v3
	v_fma_f32 v137, v7, v3, -v4
	ds_load_2addr_b64 v[1:4], v21 offset0:83 offset1:84
	ds_load_2addr_b64 v[5:8], v21 offset0:85 offset1:86
	s_wait_loadcnt_dscnt 0x1
	v_mul_f32_e32 v143, v1, v10
	v_mul_f32_e32 v10, v2, v10
	s_delay_alu instid0(VALU_DEP_2) | instskip(NEXT) | instid1(VALU_DEP_2)
	v_dual_mul_f32 v144, v3, v12 :: v_dual_fmac_f32 v143, v2, v9
	v_fma_f32 v145, v1, v9, -v10
	v_mul_f32_e32 v1, v4, v12
	s_delay_alu instid0(VALU_DEP_3) | instskip(NEXT) | instid1(VALU_DEP_2)
	v_fmac_f32_e32 v144, v4, v11
	v_fma_f32 v146, v3, v11, -v1
	s_clause 0x1
	scratch_load_b128 v[1:4], off, off offset:264
	scratch_load_b128 v[9:12], off, off offset:280
	s_wait_loadcnt_dscnt 0x100
	v_mul_f32_e32 v147, v5, v2
	v_dual_mul_f32 v2, v6, v2 :: v_dual_mul_f32 v149, v7, v4
	s_delay_alu instid0(VALU_DEP_2) | instskip(NEXT) | instid1(VALU_DEP_2)
	v_fmac_f32_e32 v147, v6, v1
	v_fma_f32 v148, v5, v1, -v2
	v_mul_f32_e32 v1, v8, v4
	s_delay_alu instid0(VALU_DEP_4) | instskip(NEXT) | instid1(VALU_DEP_2)
	v_fmac_f32_e32 v149, v8, v3
	v_fma_f32 v150, v7, v3, -v1
	ds_load_2addr_b64 v[1:4], v21 offset0:87 offset1:88
	ds_load_2addr_b64 v[5:8], v21 offset0:89 offset1:90
	s_wait_loadcnt_dscnt 0x1
	v_mul_f32_e32 v151, v1, v10
	v_mul_f32_e32 v153, v3, v12
	s_delay_alu instid0(VALU_DEP_2) | instskip(NEXT) | instid1(VALU_DEP_2)
	v_fmac_f32_e32 v151, v2, v9
	v_dual_mul_f32 v2, v2, v10 :: v_dual_fmac_f32 v153, v4, v11
	s_delay_alu instid0(VALU_DEP_1) | instskip(SKIP_1) | instid1(VALU_DEP_1)
	v_fma_f32 v152, v1, v9, -v2
	v_mul_f32_e32 v1, v4, v12
	v_fma_f32 v154, v3, v11, -v1
	s_clause 0x1
	scratch_load_b128 v[1:4], off, off offset:296
	scratch_load_b128 v[9:12], off, off offset:312
	s_wait_loadcnt_dscnt 0x100
	v_mul_f32_e32 v155, v5, v2
	v_dual_mul_f32 v2, v6, v2 :: v_dual_mul_f32 v157, v7, v4
	s_delay_alu instid0(VALU_DEP_2) | instskip(NEXT) | instid1(VALU_DEP_2)
	v_fmac_f32_e32 v155, v6, v1
	v_fma_f32 v156, v5, v1, -v2
	v_mul_f32_e32 v1, v8, v4
	s_delay_alu instid0(VALU_DEP_4) | instskip(NEXT) | instid1(VALU_DEP_2)
	v_fmac_f32_e32 v157, v8, v3
	v_fma_f32 v158, v7, v3, -v1
	ds_load_2addr_b64 v[1:4], v21 offset0:91 offset1:92
	ds_load_2addr_b64 v[5:8], v21 offset0:93 offset1:94
	s_wait_loadcnt_dscnt 0x1
	v_mul_f32_e32 v159, v1, v10
	v_mul_f32_e32 v161, v3, v12
	s_delay_alu instid0(VALU_DEP_2) | instskip(NEXT) | instid1(VALU_DEP_2)
	v_fmac_f32_e32 v159, v2, v9
	v_dual_mul_f32 v2, v2, v10 :: v_dual_fmac_f32 v161, v4, v11
	s_delay_alu instid0(VALU_DEP_1) | instskip(SKIP_1) | instid1(VALU_DEP_1)
	v_fma_f32 v160, v1, v9, -v2
	v_mul_f32_e32 v1, v4, v12
	v_fma_f32 v162, v3, v11, -v1
	s_clause 0x1
	scratch_load_b128 v[1:4], off, off offset:328
	scratch_load_b128 v[9:12], off, off offset:344
	s_wait_loadcnt_dscnt 0x100
	v_mul_f32_e32 v163, v5, v2
	v_mul_f32_e32 v2, v6, v2
	s_delay_alu instid0(VALU_DEP_1) | instskip(SKIP_1) | instid1(VALU_DEP_1)
	v_fma_f32 v164, v5, v1, -v2
	v_add_f32_e32 v2, 0, v140
	v_add_f32_e32 v2, v2, v141
	s_delay_alu instid0(VALU_DEP_1) | instskip(SKIP_1) | instid1(VALU_DEP_2)
	v_add_f32_e32 v2, v2, v127
	v_fmac_f32_e32 v163, v6, v1
	v_add_f32_e32 v2, v2, v128
	s_delay_alu instid0(VALU_DEP_1) | instskip(NEXT) | instid1(VALU_DEP_1)
	v_dual_mul_f32 v165, v7, v4 :: v_dual_add_f32 v2, v2, v129
	v_dual_fmac_f32 v165, v8, v3 :: v_dual_add_f32 v2, v2, v142
	s_delay_alu instid0(VALU_DEP_1) | instskip(NEXT) | instid1(VALU_DEP_1)
	v_dual_mul_f32 v1, v8, v4 :: v_dual_add_f32 v2, v2, v134
	v_fma_f32 v166, v7, v3, -v1
	s_delay_alu instid0(VALU_DEP_2) | instskip(NEXT) | instid1(VALU_DEP_1)
	v_dual_add_f32 v1, 0, v22 :: v_dual_add_f32 v2, v2, v135
	v_add_f32_e32 v1, v1, v126
	s_delay_alu instid0(VALU_DEP_1) | instskip(NEXT) | instid1(VALU_DEP_1)
	v_add_f32_e32 v1, v1, v130
	v_add_f32_e32 v1, v1, v131
	s_delay_alu instid0(VALU_DEP_1) | instskip(NEXT) | instid1(VALU_DEP_1)
	v_add_f32_e32 v1, v1, v132
	;; [unrolled: 3-line block ×4, first 2 shown]
	v_dual_add_f32 v5, v2, v15 :: v_dual_add_f32 v6, v1, v17
	ds_load_2addr_b64 v[1:4], v21 offset0:95 offset1:96
	v_dual_add_f32 v5, v5, v18 :: v_dual_add_f32 v6, v6, v136
	s_delay_alu instid0(VALU_DEP_1) | instskip(NEXT) | instid1(VALU_DEP_1)
	v_add_f32_e32 v13, v6, v137
	v_add_f32_e32 v13, v13, v145
	s_delay_alu instid0(VALU_DEP_1) | instskip(NEXT) | instid1(VALU_DEP_1)
	v_add_f32_e32 v13, v13, v146
	v_add_f32_e32 v13, v13, v148
	s_delay_alu instid0(VALU_DEP_1) | instskip(NEXT) | instid1(VALU_DEP_1)
	v_add_f32_e32 v18, v13, v150
	v_dual_add_f32 v5, v5, v19 :: v_dual_add_f32 v18, v18, v152
	s_delay_alu instid0(VALU_DEP_1)
	v_add_f32_e32 v14, v5, v20
	ds_load_2addr_b64 v[5:8], v21 offset0:97 offset1:98
	s_wait_loadcnt_dscnt 0x1
	v_mul_f32_e32 v22, v1, v10
	v_mul_f32_e32 v130, v3, v12
	;; [unrolled: 1-line block ×4, first 2 shown]
	v_add_f32_e32 v14, v14, v143
	v_fmac_f32_e32 v22, v2, v9
	v_fmac_f32_e32 v130, v4, v11
	v_fma_f32 v131, v1, v9, -v10
	v_fma_f32 v132, v3, v11, -v12
	s_clause 0x1
	scratch_load_b128 v[1:4], off, off offset:360
	scratch_load_b128 v[9:12], off, off offset:376
	v_add_f32_e32 v14, v14, v144
	v_add_f32_e32 v18, v18, v154
	s_delay_alu instid0(VALU_DEP_2)
	v_add_f32_e32 v17, v14, v147
	scratch_load_b128 v[13:16], off, off offset:392
	v_add_f32_e32 v126, v18, v156
	s_wait_loadcnt_dscnt 0x200
	v_mul_f32_e32 v135, v7, v4
	v_dual_mul_f32 v4, v8, v4 :: v_dual_add_f32 v17, v17, v149
	s_delay_alu instid0(VALU_DEP_1) | instskip(NEXT) | instid1(VALU_DEP_1)
	v_add_f32_e32 v17, v17, v151
	v_add_f32_e32 v17, v17, v153
	s_delay_alu instid0(VALU_DEP_1)
	v_add_f32_e32 v127, v17, v155
	ds_load_2addr_b64 v[17:20], v21 offset0:99 offset1:100
	v_dual_add_f32 v133, v126, v158 :: v_dual_add_f32 v134, v127, v157
	ds_load_2addr_b64 v[126:129], v21 offset0:101 offset1:102
	s_wait_loadcnt_dscnt 0x101
	v_dual_mul_f32 v136, v17, v10 :: v_dual_fmac_f32 v135, v8, v3
	v_fma_f32 v3, v7, v3, -v4
	v_mul_f32_e32 v4, v20, v12
	s_delay_alu instid0(VALU_DEP_3)
	v_dual_add_f32 v21, v133, v160 :: v_dual_fmac_f32 v136, v18, v9
	v_add_f32_e32 v133, v134, v159
	s_wait_loadcnt_dscnt 0x0
	v_mul_f32_e32 v140, v126, v14
	v_mul_f32_e32 v134, v5, v2
	v_add_f32_e32 v21, v21, v162
	v_mul_f32_e32 v137, v19, v12
	v_add_f32_e32 v133, v133, v161
	v_fmac_f32_e32 v140, v127, v13
	s_delay_alu instid0(VALU_DEP_4) | instskip(NEXT) | instid1(VALU_DEP_4)
	v_dual_fmac_f32 v134, v6, v1 :: v_dual_add_f32 v21, v21, v164
	v_fmac_f32_e32 v137, v20, v11
	s_delay_alu instid0(VALU_DEP_4) | instskip(SKIP_1) | instid1(VALU_DEP_4)
	v_dual_add_f32 v133, v133, v163 :: v_dual_mul_f32 v2, v6, v2
	v_mul_f32_e32 v6, v18, v10
	v_add_f32_e32 v21, v21, v166
	v_fma_f32 v4, v19, v11, -v4
	s_delay_alu instid0(VALU_DEP_4) | instskip(NEXT) | instid1(VALU_DEP_3)
	v_fma_f32 v2, v5, v1, -v2
	v_add_f32_e32 v21, v21, v131
	v_mul_f32_e32 v131, v128, v16
	s_delay_alu instid0(VALU_DEP_2) | instskip(NEXT) | instid1(VALU_DEP_2)
	v_add_f32_e32 v1, v21, v132
	v_fmac_f32_e32 v131, v129, v15
	v_add_f32_e32 v133, v133, v165
	s_delay_alu instid0(VALU_DEP_3) | instskip(NEXT) | instid1(VALU_DEP_2)
	v_add_f32_e32 v1, v1, v2
	v_add_f32_e32 v22, v133, v22
	s_delay_alu instid0(VALU_DEP_2) | instskip(SKIP_1) | instid1(VALU_DEP_3)
	v_add_f32_e32 v1, v1, v3
	v_mul_f32_e32 v3, v127, v14
	v_add_f32_e32 v5, v22, v130
	s_delay_alu instid0(VALU_DEP_2) | instskip(NEXT) | instid1(VALU_DEP_2)
	v_fma_f32 v3, v126, v13, -v3
	v_add_f32_e32 v2, v5, v134
	v_fma_f32 v5, v17, v9, -v6
	s_delay_alu instid0(VALU_DEP_1) | instskip(SKIP_1) | instid1(VALU_DEP_2)
	v_dual_add_f32 v2, v2, v135 :: v_dual_add_f32 v1, v1, v5
	v_mul_f32_e32 v5, v129, v16
	v_add_f32_e32 v2, v2, v136
	s_delay_alu instid0(VALU_DEP_3) | instskip(NEXT) | instid1(VALU_DEP_3)
	v_add_f32_e32 v1, v1, v4
	v_fma_f32 v4, v128, v15, -v5
	s_delay_alu instid0(VALU_DEP_2) | instskip(NEXT) | instid1(VALU_DEP_1)
	v_dual_add_f32 v2, v2, v137 :: v_dual_add_f32 v1, v1, v3
	v_add_f32_e32 v2, v2, v140
	s_delay_alu instid0(VALU_DEP_1) | instskip(NEXT) | instid1(VALU_DEP_1)
	v_dual_add_f32 v1, v1, v4 :: v_dual_add_f32 v2, v2, v131
	v_dual_sub_f32 v1, v138, v1 :: v_dual_sub_f32 v2, v139, v2
	scratch_store_b64 off, v[1:2], off offset:144
	v_cmpx_lt_u32_e32 17, v0
	s_cbranch_execz .LBB50_285
; %bb.284:
	scratch_load_b64 v[1:2], off, off offset:136
	v_mov_b32_e32 v3, 0
	s_delay_alu instid0(VALU_DEP_1)
	v_mov_b32_e32 v4, v3
	scratch_store_b64 off, v[3:4], off offset:136
	s_wait_loadcnt 0x0
	ds_store_b64 v23, v[1:2]
.LBB50_285:
	s_wait_alu 0xfffe
	s_or_b32 exec_lo, exec_lo, s0
	s_wait_storecnt_dscnt 0x0
	s_barrier_signal -1
	s_barrier_wait -1
	global_inv scope:SCOPE_SE
	s_clause 0x4
	scratch_load_b128 v[5:8], off, off offset:144
	scratch_load_b128 v[1:4], off, off offset:160
	;; [unrolled: 1-line block ×5, first 2 shown]
	v_mov_b32_e32 v21, 0
	ds_load_b128 v[126:129], v21 offset:560
	ds_load_b128 v[130:133], v21 offset:576
	;; [unrolled: 1-line block ×3, first 2 shown]
	scratch_load_b64 v[138:139], off, off offset:136
	s_mov_b32 s0, exec_lo
	s_wait_loadcnt_dscnt 0x502
	v_mul_f32_e32 v22, v127, v6
	v_dual_mul_f32 v140, v126, v6 :: v_dual_mul_f32 v141, v128, v8
	v_mul_f32_e32 v6, v129, v8
	s_delay_alu instid0(VALU_DEP_3) | instskip(NEXT) | instid1(VALU_DEP_3)
	v_fma_f32 v22, v126, v5, -v22
	v_dual_fmac_f32 v140, v127, v5 :: v_dual_fmac_f32 v141, v129, v7
	s_wait_loadcnt_dscnt 0x401
	v_mul_f32_e32 v127, v130, v2
	v_fma_f32 v126, v128, v7, -v6
	ds_load_b128 v[5:8], v21 offset:608
	s_wait_loadcnt_dscnt 0x301
	v_dual_mul_f32 v128, v132, v4 :: v_dual_mul_f32 v129, v134, v10
	v_dual_mul_f32 v4, v133, v4 :: v_dual_fmac_f32 v127, v131, v1
	v_mul_f32_e32 v10, v135, v10
	s_delay_alu instid0(VALU_DEP_3)
	v_dual_mul_f32 v142, v136, v12 :: v_dual_fmac_f32 v129, v135, v9
	v_mul_f32_e32 v12, v137, v12
	v_mul_f32_e32 v2, v131, v2
	v_fmac_f32_e32 v128, v133, v3
	v_fma_f32 v131, v132, v3, -v4
	v_fma_f32 v132, v134, v9, -v10
	v_fmac_f32_e32 v142, v137, v11
	v_fma_f32 v133, v136, v11, -v12
	ds_load_b128 v[9:12], v21 offset:624
	s_wait_loadcnt_dscnt 0x201
	v_dual_mul_f32 v135, v7, v16 :: v_dual_mul_f32 v134, v5, v14
	v_mul_f32_e32 v14, v6, v14
	v_mul_f32_e32 v16, v8, v16
	s_delay_alu instid0(VALU_DEP_3)
	v_fmac_f32_e32 v135, v8, v15
	v_fma_f32 v130, v130, v1, -v2
	scratch_load_b128 v[1:4], off, off offset:224
	v_fmac_f32_e32 v134, v6, v13
	v_fma_f32 v13, v5, v13, -v14
	v_fma_f32 v14, v7, v15, -v16
	ds_load_b128 v[5:8], v21 offset:640
	s_wait_loadcnt_dscnt 0x201
	v_mul_f32_e32 v15, v9, v18
	v_mul_f32_e32 v16, v10, v18
	v_mul_f32_e32 v18, v11, v20
	s_delay_alu instid0(VALU_DEP_3) | instskip(NEXT) | instid1(VALU_DEP_3)
	v_dual_mul_f32 v20, v12, v20 :: v_dual_fmac_f32 v15, v10, v17
	v_fma_f32 v16, v9, v17, -v16
	s_delay_alu instid0(VALU_DEP_3) | instskip(NEXT) | instid1(VALU_DEP_3)
	v_fmac_f32_e32 v18, v12, v19
	v_fma_f32 v17, v11, v19, -v20
	scratch_load_b128 v[9:12], off, off offset:240
	s_wait_loadcnt_dscnt 0x100
	v_mul_f32_e32 v19, v5, v2
	v_mul_f32_e32 v2, v6, v2
	v_mul_f32_e32 v20, v7, v4
	s_delay_alu instid0(VALU_DEP_3) | instskip(NEXT) | instid1(VALU_DEP_3)
	v_dual_mul_f32 v4, v8, v4 :: v_dual_fmac_f32 v19, v6, v1
	v_fma_f32 v136, v5, v1, -v2
	s_delay_alu instid0(VALU_DEP_3) | instskip(NEXT) | instid1(VALU_DEP_3)
	v_fmac_f32_e32 v20, v8, v3
	v_fma_f32 v137, v7, v3, -v4
	ds_load_b128 v[1:4], v21 offset:656
	ds_load_b128 v[5:8], v21 offset:672
	s_wait_loadcnt_dscnt 0x1
	v_mul_f32_e32 v143, v1, v10
	v_mul_f32_e32 v10, v2, v10
	s_delay_alu instid0(VALU_DEP_2) | instskip(NEXT) | instid1(VALU_DEP_2)
	v_dual_mul_f32 v144, v3, v12 :: v_dual_fmac_f32 v143, v2, v9
	v_fma_f32 v145, v1, v9, -v10
	v_mul_f32_e32 v1, v4, v12
	s_delay_alu instid0(VALU_DEP_3) | instskip(NEXT) | instid1(VALU_DEP_2)
	v_fmac_f32_e32 v144, v4, v11
	v_fma_f32 v146, v3, v11, -v1
	s_clause 0x1
	scratch_load_b128 v[1:4], off, off offset:256
	scratch_load_b128 v[9:12], off, off offset:272
	s_wait_loadcnt_dscnt 0x100
	v_mul_f32_e32 v147, v5, v2
	v_dual_mul_f32 v2, v6, v2 :: v_dual_mul_f32 v149, v7, v4
	s_delay_alu instid0(VALU_DEP_2) | instskip(NEXT) | instid1(VALU_DEP_2)
	v_fmac_f32_e32 v147, v6, v1
	v_fma_f32 v148, v5, v1, -v2
	v_mul_f32_e32 v1, v8, v4
	s_delay_alu instid0(VALU_DEP_4) | instskip(NEXT) | instid1(VALU_DEP_2)
	v_fmac_f32_e32 v149, v8, v3
	v_fma_f32 v150, v7, v3, -v1
	ds_load_b128 v[1:4], v21 offset:688
	ds_load_b128 v[5:8], v21 offset:704
	s_wait_loadcnt_dscnt 0x1
	v_mul_f32_e32 v151, v1, v10
	v_mul_f32_e32 v153, v3, v12
	s_delay_alu instid0(VALU_DEP_2) | instskip(NEXT) | instid1(VALU_DEP_2)
	v_fmac_f32_e32 v151, v2, v9
	v_dual_mul_f32 v2, v2, v10 :: v_dual_fmac_f32 v153, v4, v11
	s_delay_alu instid0(VALU_DEP_1) | instskip(SKIP_1) | instid1(VALU_DEP_1)
	v_fma_f32 v152, v1, v9, -v2
	v_mul_f32_e32 v1, v4, v12
	v_fma_f32 v154, v3, v11, -v1
	s_clause 0x1
	scratch_load_b128 v[1:4], off, off offset:288
	scratch_load_b128 v[9:12], off, off offset:304
	s_wait_loadcnt_dscnt 0x100
	v_mul_f32_e32 v155, v5, v2
	v_dual_mul_f32 v157, v7, v4 :: v_dual_mul_f32 v2, v6, v2
	s_delay_alu instid0(VALU_DEP_2) | instskip(NEXT) | instid1(VALU_DEP_2)
	v_fmac_f32_e32 v155, v6, v1
	v_fmac_f32_e32 v157, v8, v3
	s_delay_alu instid0(VALU_DEP_3) | instskip(SKIP_1) | instid1(VALU_DEP_1)
	v_fma_f32 v156, v5, v1, -v2
	v_mul_f32_e32 v1, v8, v4
	v_fma_f32 v158, v7, v3, -v1
	ds_load_b128 v[1:4], v21 offset:720
	ds_load_b128 v[5:8], v21 offset:736
	s_wait_loadcnt_dscnt 0x1
	v_mul_f32_e32 v159, v1, v10
	v_mul_f32_e32 v161, v3, v12
	s_delay_alu instid0(VALU_DEP_2) | instskip(NEXT) | instid1(VALU_DEP_2)
	v_fmac_f32_e32 v159, v2, v9
	v_dual_mul_f32 v2, v2, v10 :: v_dual_fmac_f32 v161, v4, v11
	s_delay_alu instid0(VALU_DEP_1) | instskip(SKIP_1) | instid1(VALU_DEP_1)
	v_fma_f32 v160, v1, v9, -v2
	v_mul_f32_e32 v1, v4, v12
	v_fma_f32 v162, v3, v11, -v1
	s_clause 0x1
	scratch_load_b128 v[1:4], off, off offset:320
	scratch_load_b128 v[9:12], off, off offset:336
	s_wait_loadcnt_dscnt 0x100
	v_mul_f32_e32 v163, v5, v2
	v_mul_f32_e32 v2, v6, v2
	s_delay_alu instid0(VALU_DEP_1) | instskip(SKIP_1) | instid1(VALU_DEP_1)
	v_fma_f32 v164, v5, v1, -v2
	v_add_f32_e32 v2, 0, v140
	v_add_f32_e32 v2, v2, v141
	s_delay_alu instid0(VALU_DEP_1) | instskip(NEXT) | instid1(VALU_DEP_1)
	v_add_f32_e32 v2, v2, v127
	v_add_f32_e32 v2, v2, v128
	v_mul_f32_e32 v165, v7, v4
	v_fmac_f32_e32 v163, v6, v1
	s_delay_alu instid0(VALU_DEP_2) | instskip(NEXT) | instid1(VALU_DEP_1)
	v_dual_add_f32 v2, v2, v129 :: v_dual_fmac_f32 v165, v8, v3
	v_dual_add_f32 v2, v2, v142 :: v_dual_mul_f32 v1, v8, v4
	s_delay_alu instid0(VALU_DEP_1) | instskip(NEXT) | instid1(VALU_DEP_2)
	v_add_f32_e32 v2, v2, v134
	v_fma_f32 v166, v7, v3, -v1
	s_delay_alu instid0(VALU_DEP_2) | instskip(NEXT) | instid1(VALU_DEP_1)
	v_dual_add_f32 v1, 0, v22 :: v_dual_add_f32 v2, v2, v135
	v_add_f32_e32 v1, v1, v126
	s_delay_alu instid0(VALU_DEP_1) | instskip(NEXT) | instid1(VALU_DEP_1)
	v_add_f32_e32 v1, v1, v130
	v_add_f32_e32 v1, v1, v131
	scratch_load_b64 v[130:131], off, off offset:400
	v_add_f32_e32 v1, v1, v132
	s_delay_alu instid0(VALU_DEP_1) | instskip(NEXT) | instid1(VALU_DEP_1)
	v_add_f32_e32 v1, v1, v133
	v_add_f32_e32 v1, v1, v13
	s_delay_alu instid0(VALU_DEP_1) | instskip(NEXT) | instid1(VALU_DEP_1)
	v_add_f32_e32 v1, v1, v14
	v_add_f32_e32 v1, v1, v16
	s_delay_alu instid0(VALU_DEP_1) | instskip(SKIP_2) | instid1(VALU_DEP_1)
	v_dual_add_f32 v5, v2, v15 :: v_dual_add_f32 v6, v1, v17
	ds_load_b128 v[1:4], v21 offset:752
	v_dual_add_f32 v5, v5, v18 :: v_dual_add_f32 v6, v6, v136
	v_add_f32_e32 v13, v6, v137
	s_delay_alu instid0(VALU_DEP_1) | instskip(NEXT) | instid1(VALU_DEP_1)
	v_add_f32_e32 v13, v13, v145
	v_add_f32_e32 v13, v13, v146
	s_delay_alu instid0(VALU_DEP_1) | instskip(NEXT) | instid1(VALU_DEP_1)
	v_add_f32_e32 v13, v13, v148
	v_add_f32_e32 v18, v13, v150
	s_delay_alu instid0(VALU_DEP_1) | instskip(NEXT) | instid1(VALU_DEP_1)
	v_dual_add_f32 v5, v5, v19 :: v_dual_add_f32 v18, v18, v152
	v_add_f32_e32 v14, v5, v20
	ds_load_b128 v[5:8], v21 offset:768
	s_wait_loadcnt_dscnt 0x101
	v_mul_f32_e32 v22, v1, v10
	v_mul_f32_e32 v10, v2, v10
	v_mul_f32_e32 v134, v3, v12
	v_mul_f32_e32 v12, v4, v12
	v_add_f32_e32 v14, v14, v143
	v_fmac_f32_e32 v22, v2, v9
	v_fma_f32 v135, v1, v9, -v10
	v_fmac_f32_e32 v134, v4, v11
	v_fma_f32 v136, v3, v11, -v12
	s_clause 0x1
	scratch_load_b128 v[1:4], off, off offset:352
	scratch_load_b128 v[9:12], off, off offset:368
	v_add_f32_e32 v14, v14, v144
	v_add_f32_e32 v18, v18, v154
	s_delay_alu instid0(VALU_DEP_2) | instskip(SKIP_2) | instid1(VALU_DEP_1)
	v_add_f32_e32 v17, v14, v147
	scratch_load_b128 v[13:16], off, off offset:384
	v_dual_add_f32 v18, v18, v156 :: v_dual_add_f32 v17, v17, v149
	v_add_f32_e32 v18, v18, v158
	s_delay_alu instid0(VALU_DEP_1) | instskip(NEXT) | instid1(VALU_DEP_1)
	v_add_f32_e32 v132, v18, v160
	v_add_f32_e32 v137, v132, v162
	s_wait_loadcnt_dscnt 0x200
	v_mul_f32_e32 v141, v5, v2
	v_dual_mul_f32 v2, v6, v2 :: v_dual_add_f32 v17, v17, v151
	v_mul_f32_e32 v142, v7, v4
	v_mul_f32_e32 v4, v8, v4
	s_delay_alu instid0(VALU_DEP_3) | instskip(NEXT) | instid1(VALU_DEP_3)
	v_fma_f32 v2, v5, v1, -v2
	v_dual_add_f32 v17, v17, v153 :: v_dual_fmac_f32 v142, v8, v3
	s_delay_alu instid0(VALU_DEP_1) | instskip(NEXT) | instid1(VALU_DEP_1)
	v_add_f32_e32 v17, v17, v155
	v_add_f32_e32 v126, v17, v157
	ds_load_b128 v[17:20], v21 offset:784
	v_add_f32_e32 v133, v126, v159
	ds_load_b128 v[126:129], v21 offset:800
	v_add_f32_e32 v140, v133, v161
	ds_load_b64 v[132:133], v21 offset:816
	v_add_f32_e32 v140, v140, v163
	s_delay_alu instid0(VALU_DEP_1) | instskip(SKIP_2) | instid1(VALU_DEP_2)
	v_dual_add_f32 v140, v140, v165 :: v_dual_add_f32 v137, v137, v164
	s_wait_loadcnt_dscnt 0x102
	v_mul_f32_e32 v5, v20, v12
	v_add_f32_e32 v22, v140, v22
	s_delay_alu instid0(VALU_DEP_3) | instskip(SKIP_3) | instid1(VALU_DEP_3)
	v_dual_add_f32 v137, v137, v166 :: v_dual_mul_f32 v140, v19, v12
	v_fmac_f32_e32 v141, v6, v1
	s_wait_loadcnt_dscnt 0x1
	v_mul_f32_e32 v143, v126, v14
	v_dual_add_f32 v22, v22, v134 :: v_dual_add_f32 v135, v137, v135
	s_wait_dscnt 0x0
	v_dual_mul_f32 v137, v17, v10 :: v_dual_mul_f32 v134, v132, v131
	v_fma_f32 v1, v7, v3, -v4
	v_dual_mul_f32 v3, v18, v10 :: v_dual_fmac_f32 v140, v20, v11
	v_dual_add_f32 v135, v135, v136 :: v_dual_add_f32 v4, v22, v141
	s_delay_alu instid0(VALU_DEP_4) | instskip(NEXT) | instid1(VALU_DEP_3)
	v_dual_mul_f32 v136, v128, v16 :: v_dual_fmac_f32 v137, v18, v9
	v_fma_f32 v3, v17, v9, -v3
	s_delay_alu instid0(VALU_DEP_3) | instskip(SKIP_1) | instid1(VALU_DEP_2)
	v_add_f32_e32 v2, v135, v2
	v_fmac_f32_e32 v134, v133, v130
	v_dual_fmac_f32 v136, v129, v15 :: v_dual_add_f32 v1, v2, v1
	v_add_f32_e32 v2, v4, v142
	v_mul_f32_e32 v4, v127, v14
	v_fma_f32 v5, v19, v11, -v5
	s_delay_alu instid0(VALU_DEP_3) | instskip(SKIP_1) | instid1(VALU_DEP_4)
	v_dual_add_f32 v1, v1, v3 :: v_dual_add_f32 v2, v2, v137
	v_fmac_f32_e32 v143, v127, v13
	v_fma_f32 v4, v126, v13, -v4
	s_delay_alu instid0(VALU_DEP_3) | instskip(NEXT) | instid1(VALU_DEP_1)
	v_add_f32_e32 v2, v2, v140
	v_dual_mul_f32 v3, v129, v16 :: v_dual_add_f32 v2, v2, v143
	v_add_f32_e32 v1, v1, v5
	s_delay_alu instid0(VALU_DEP_2) | instskip(NEXT) | instid1(VALU_DEP_3)
	v_fma_f32 v3, v128, v15, -v3
	v_dual_add_f32 v2, v2, v136 :: v_dual_mul_f32 v5, v133, v131
	s_delay_alu instid0(VALU_DEP_1) | instskip(NEXT) | instid1(VALU_DEP_2)
	v_dual_add_f32 v2, v2, v134 :: v_dual_add_f32 v1, v1, v4
	v_fma_f32 v4, v132, v130, -v5
	s_delay_alu instid0(VALU_DEP_2) | instskip(NEXT) | instid1(VALU_DEP_1)
	v_dual_sub_f32 v2, v139, v2 :: v_dual_add_f32 v1, v1, v3
	v_add_f32_e32 v1, v1, v4
	s_delay_alu instid0(VALU_DEP_1)
	v_sub_f32_e32 v1, v138, v1
	scratch_store_b64 off, v[1:2], off offset:136
	v_cmpx_lt_u32_e32 16, v0
	s_cbranch_execz .LBB50_287
; %bb.286:
	scratch_load_b64 v[1:2], off, off offset:128
	v_mov_b32_e32 v22, v21
	scratch_store_b64 off, v[21:22], off offset:128
	s_wait_loadcnt 0x0
	ds_store_b64 v23, v[1:2]
.LBB50_287:
	s_wait_alu 0xfffe
	s_or_b32 exec_lo, exec_lo, s0
	s_wait_storecnt_dscnt 0x0
	s_barrier_signal -1
	s_barrier_wait -1
	global_inv scope:SCOPE_SE
	s_clause 0x4
	scratch_load_b128 v[5:8], off, off offset:136
	scratch_load_b128 v[1:4], off, off offset:152
	;; [unrolled: 1-line block ×5, first 2 shown]
	ds_load_2addr_b64 v[126:129], v21 offset0:69 offset1:70
	ds_load_2addr_b64 v[130:133], v21 offset0:71 offset1:72
	;; [unrolled: 1-line block ×3, first 2 shown]
	scratch_load_b64 v[138:139], off, off offset:128
	s_mov_b32 s0, exec_lo
	s_wait_loadcnt_dscnt 0x502
	v_dual_mul_f32 v22, v127, v6 :: v_dual_mul_f32 v141, v128, v8
	v_mul_f32_e32 v140, v126, v6
	v_mul_f32_e32 v6, v129, v8
	s_wait_loadcnt_dscnt 0x300
	v_mul_f32_e32 v142, v136, v12
	v_fma_f32 v22, v126, v5, -v22
	v_dual_fmac_f32 v141, v129, v7 :: v_dual_fmac_f32 v140, v127, v5
	v_mul_f32_e32 v129, v134, v10
	v_mul_f32_e32 v127, v130, v2
	v_fma_f32 v126, v128, v7, -v6
	ds_load_2addr_b64 v[5:8], v21 offset0:75 offset1:76
	v_mul_f32_e32 v128, v132, v4
	v_dual_mul_f32 v4, v133, v4 :: v_dual_fmac_f32 v129, v135, v9
	v_mul_f32_e32 v10, v135, v10
	v_mul_f32_e32 v12, v137, v12
	;; [unrolled: 1-line block ×3, first 2 shown]
	v_dual_fmac_f32 v127, v131, v1 :: v_dual_fmac_f32 v128, v133, v3
	v_fma_f32 v131, v132, v3, -v4
	v_fma_f32 v132, v134, v9, -v10
	v_fmac_f32_e32 v142, v137, v11
	v_fma_f32 v133, v136, v11, -v12
	ds_load_2addr_b64 v[9:12], v21 offset0:77 offset1:78
	s_wait_loadcnt_dscnt 0x201
	v_dual_mul_f32 v135, v7, v16 :: v_dual_mul_f32 v134, v5, v14
	s_delay_alu instid0(VALU_DEP_1)
	v_dual_mul_f32 v14, v6, v14 :: v_dual_fmac_f32 v135, v8, v15
	v_fma_f32 v130, v130, v1, -v2
	scratch_load_b128 v[1:4], off, off offset:216
	v_mul_f32_e32 v16, v8, v16
	v_fmac_f32_e32 v134, v6, v13
	v_fma_f32 v13, v5, v13, -v14
	s_delay_alu instid0(VALU_DEP_3)
	v_fma_f32 v14, v7, v15, -v16
	s_wait_loadcnt_dscnt 0x200
	v_mul_f32_e32 v15, v9, v18
	v_mul_f32_e32 v16, v10, v18
	;; [unrolled: 1-line block ×4, first 2 shown]
	ds_load_2addr_b64 v[5:8], v21 offset0:79 offset1:80
	v_fmac_f32_e32 v15, v10, v17
	v_fma_f32 v16, v9, v17, -v16
	v_fmac_f32_e32 v18, v12, v19
	v_fma_f32 v17, v11, v19, -v20
	scratch_load_b128 v[9:12], off, off offset:232
	s_wait_loadcnt_dscnt 0x100
	v_mul_f32_e32 v19, v5, v2
	v_mul_f32_e32 v2, v6, v2
	;; [unrolled: 1-line block ×3, first 2 shown]
	s_delay_alu instid0(VALU_DEP_3) | instskip(NEXT) | instid1(VALU_DEP_3)
	v_dual_mul_f32 v4, v8, v4 :: v_dual_fmac_f32 v19, v6, v1
	v_fma_f32 v136, v5, v1, -v2
	s_delay_alu instid0(VALU_DEP_3) | instskip(NEXT) | instid1(VALU_DEP_3)
	v_fmac_f32_e32 v20, v8, v3
	v_fma_f32 v137, v7, v3, -v4
	ds_load_2addr_b64 v[1:4], v21 offset0:81 offset1:82
	ds_load_2addr_b64 v[5:8], v21 offset0:83 offset1:84
	s_wait_loadcnt_dscnt 0x1
	v_mul_f32_e32 v143, v1, v10
	v_mul_f32_e32 v10, v2, v10
	s_delay_alu instid0(VALU_DEP_2) | instskip(NEXT) | instid1(VALU_DEP_2)
	v_dual_mul_f32 v144, v3, v12 :: v_dual_fmac_f32 v143, v2, v9
	v_fma_f32 v145, v1, v9, -v10
	v_mul_f32_e32 v1, v4, v12
	s_delay_alu instid0(VALU_DEP_3) | instskip(NEXT) | instid1(VALU_DEP_2)
	v_fmac_f32_e32 v144, v4, v11
	v_fma_f32 v146, v3, v11, -v1
	s_clause 0x1
	scratch_load_b128 v[1:4], off, off offset:248
	scratch_load_b128 v[9:12], off, off offset:264
	s_wait_loadcnt_dscnt 0x100
	v_mul_f32_e32 v147, v5, v2
	v_dual_mul_f32 v2, v6, v2 :: v_dual_mul_f32 v149, v7, v4
	s_delay_alu instid0(VALU_DEP_2) | instskip(NEXT) | instid1(VALU_DEP_2)
	v_fmac_f32_e32 v147, v6, v1
	v_fma_f32 v148, v5, v1, -v2
	v_mul_f32_e32 v1, v8, v4
	s_delay_alu instid0(VALU_DEP_4) | instskip(NEXT) | instid1(VALU_DEP_2)
	v_fmac_f32_e32 v149, v8, v3
	v_fma_f32 v150, v7, v3, -v1
	ds_load_2addr_b64 v[1:4], v21 offset0:85 offset1:86
	ds_load_2addr_b64 v[5:8], v21 offset0:87 offset1:88
	s_wait_loadcnt_dscnt 0x1
	v_mul_f32_e32 v151, v1, v10
	v_mul_f32_e32 v153, v3, v12
	s_delay_alu instid0(VALU_DEP_2) | instskip(NEXT) | instid1(VALU_DEP_2)
	v_fmac_f32_e32 v151, v2, v9
	v_dual_mul_f32 v2, v2, v10 :: v_dual_fmac_f32 v153, v4, v11
	s_delay_alu instid0(VALU_DEP_1) | instskip(SKIP_1) | instid1(VALU_DEP_1)
	v_fma_f32 v152, v1, v9, -v2
	v_mul_f32_e32 v1, v4, v12
	v_fma_f32 v154, v3, v11, -v1
	s_clause 0x1
	scratch_load_b128 v[1:4], off, off offset:280
	scratch_load_b128 v[9:12], off, off offset:296
	s_wait_loadcnt_dscnt 0x100
	v_mul_f32_e32 v155, v5, v2
	v_dual_mul_f32 v2, v6, v2 :: v_dual_mul_f32 v157, v7, v4
	s_delay_alu instid0(VALU_DEP_2) | instskip(NEXT) | instid1(VALU_DEP_2)
	v_fmac_f32_e32 v155, v6, v1
	v_fma_f32 v156, v5, v1, -v2
	v_mul_f32_e32 v1, v8, v4
	s_delay_alu instid0(VALU_DEP_4) | instskip(NEXT) | instid1(VALU_DEP_2)
	v_fmac_f32_e32 v157, v8, v3
	v_fma_f32 v158, v7, v3, -v1
	ds_load_2addr_b64 v[1:4], v21 offset0:89 offset1:90
	ds_load_2addr_b64 v[5:8], v21 offset0:91 offset1:92
	s_wait_loadcnt_dscnt 0x1
	v_mul_f32_e32 v159, v1, v10
	v_mul_f32_e32 v161, v3, v12
	s_delay_alu instid0(VALU_DEP_2) | instskip(NEXT) | instid1(VALU_DEP_2)
	v_fmac_f32_e32 v159, v2, v9
	v_dual_mul_f32 v2, v2, v10 :: v_dual_fmac_f32 v161, v4, v11
	s_delay_alu instid0(VALU_DEP_1) | instskip(SKIP_1) | instid1(VALU_DEP_1)
	v_fma_f32 v160, v1, v9, -v2
	v_mul_f32_e32 v1, v4, v12
	v_fma_f32 v162, v3, v11, -v1
	s_clause 0x1
	scratch_load_b128 v[1:4], off, off offset:312
	scratch_load_b128 v[9:12], off, off offset:328
	s_wait_loadcnt_dscnt 0x100
	v_mul_f32_e32 v163, v5, v2
	v_mul_f32_e32 v2, v6, v2
	s_delay_alu instid0(VALU_DEP_1) | instskip(SKIP_1) | instid1(VALU_DEP_1)
	v_fma_f32 v164, v5, v1, -v2
	v_add_f32_e32 v2, 0, v140
	v_add_f32_e32 v2, v2, v141
	s_delay_alu instid0(VALU_DEP_1) | instskip(SKIP_1) | instid1(VALU_DEP_2)
	v_add_f32_e32 v2, v2, v127
	v_fmac_f32_e32 v163, v6, v1
	v_add_f32_e32 v2, v2, v128
	s_delay_alu instid0(VALU_DEP_1) | instskip(NEXT) | instid1(VALU_DEP_1)
	v_dual_mul_f32 v165, v7, v4 :: v_dual_add_f32 v2, v2, v129
	v_dual_fmac_f32 v165, v8, v3 :: v_dual_add_f32 v2, v2, v142
	s_delay_alu instid0(VALU_DEP_1) | instskip(NEXT) | instid1(VALU_DEP_1)
	v_dual_mul_f32 v1, v8, v4 :: v_dual_add_f32 v2, v2, v134
	v_fma_f32 v166, v7, v3, -v1
	s_delay_alu instid0(VALU_DEP_2) | instskip(NEXT) | instid1(VALU_DEP_1)
	v_dual_add_f32 v1, 0, v22 :: v_dual_add_f32 v2, v2, v135
	v_dual_add_f32 v1, v1, v126 :: v_dual_add_f32 v2, v2, v15
	s_delay_alu instid0(VALU_DEP_1) | instskip(NEXT) | instid1(VALU_DEP_2)
	v_add_f32_e32 v1, v1, v130
	v_add_f32_e32 v5, v2, v18
	s_delay_alu instid0(VALU_DEP_2) | instskip(NEXT) | instid1(VALU_DEP_1)
	v_add_f32_e32 v1, v1, v131
	v_add_f32_e32 v1, v1, v132
	s_delay_alu instid0(VALU_DEP_1) | instskip(NEXT) | instid1(VALU_DEP_1)
	v_add_f32_e32 v1, v1, v133
	v_add_f32_e32 v1, v1, v13
	;; [unrolled: 1-line block ×3, first 2 shown]
	s_delay_alu instid0(VALU_DEP_1) | instskip(NEXT) | instid1(VALU_DEP_1)
	v_add_f32_e32 v13, v13, v20
	v_add_f32_e32 v13, v13, v143
	s_delay_alu instid0(VALU_DEP_1) | instskip(NEXT) | instid1(VALU_DEP_1)
	v_add_f32_e32 v18, v13, v144
	v_dual_add_f32 v18, v18, v147 :: v_dual_add_f32 v1, v1, v14
	s_delay_alu instid0(VALU_DEP_1) | instskip(NEXT) | instid1(VALU_DEP_1)
	v_dual_add_f32 v18, v18, v149 :: v_dual_add_f32 v1, v1, v16
	v_dual_add_f32 v126, v18, v151 :: v_dual_add_f32 v1, v1, v17
	s_delay_alu instid0(VALU_DEP_1) | instskip(NEXT) | instid1(VALU_DEP_2)
	v_add_f32_e32 v126, v126, v153
	v_add_f32_e32 v6, v1, v136
	ds_load_2addr_b64 v[1:4], v21 offset0:93 offset1:94
	v_add_f32_e32 v126, v126, v155
	v_add_f32_e32 v14, v6, v137
	scratch_load_b128 v[5:8], off, off offset:344
	v_add_f32_e32 v14, v14, v145
	s_delay_alu instid0(VALU_DEP_1)
	v_add_f32_e32 v17, v14, v146
	ds_load_2addr_b64 v[13:16], v21 offset0:95 offset1:96
	s_wait_loadcnt_dscnt 0x101
	v_mul_f32_e32 v22, v1, v10
	v_mul_f32_e32 v10, v2, v10
	;; [unrolled: 1-line block ×4, first 2 shown]
	s_delay_alu instid0(VALU_DEP_4) | instskip(NEXT) | instid1(VALU_DEP_4)
	v_fmac_f32_e32 v22, v2, v9
	v_fma_f32 v131, v1, v9, -v10
	s_delay_alu instid0(VALU_DEP_4) | instskip(NEXT) | instid1(VALU_DEP_4)
	v_fmac_f32_e32 v130, v4, v11
	v_fma_f32 v132, v3, v11, -v12
	s_clause 0x1
	scratch_load_b128 v[1:4], off, off offset:360
	scratch_load_b128 v[9:12], off, off offset:376
	s_wait_loadcnt_dscnt 0x200
	v_mul_f32_e32 v134, v15, v8
	v_add_f32_e32 v17, v17, v148
	v_mul_f32_e32 v133, v13, v6
	v_mul_f32_e32 v6, v14, v6
	;; [unrolled: 1-line block ×3, first 2 shown]
	s_delay_alu instid0(VALU_DEP_4) | instskip(NEXT) | instid1(VALU_DEP_3)
	v_dual_fmac_f32 v134, v16, v7 :: v_dual_add_f32 v17, v17, v150
	v_fma_f32 v135, v13, v5, -v6
	v_add_f32_e32 v13, v126, v157
	s_delay_alu instid0(VALU_DEP_4) | instskip(NEXT) | instid1(VALU_DEP_4)
	v_fma_f32 v136, v15, v7, -v8
	v_add_f32_e32 v17, v17, v152
	s_delay_alu instid0(VALU_DEP_1) | instskip(SKIP_2) | instid1(VALU_DEP_1)
	v_add_f32_e32 v127, v17, v154
	scratch_load_b128 v[17:20], off, off offset:392
	v_add_f32_e32 v127, v127, v156
	v_add_f32_e32 v127, v127, v158
	s_delay_alu instid0(VALU_DEP_1)
	v_dual_add_f32 v126, v127, v160 :: v_dual_fmac_f32 v133, v14, v5
	ds_load_2addr_b64 v[5:8], v21 offset0:97 offset1:98
	v_add_f32_e32 v127, v13, v159
	ds_load_2addr_b64 v[13:16], v21 offset0:99 offset1:100
	v_dual_add_f32 v137, v126, v162 :: v_dual_add_f32 v140, v127, v161
	ds_load_2addr_b64 v[126:129], v21 offset0:101 offset1:102
	v_add_f32_e32 v21, v137, v164
	s_wait_loadcnt_dscnt 0x202
	v_dual_add_f32 v137, v140, v163 :: v_dual_mul_f32 v140, v5, v2
	s_delay_alu instid0(VALU_DEP_1) | instskip(NEXT) | instid1(VALU_DEP_2)
	v_dual_mul_f32 v2, v6, v2 :: v_dual_add_f32 v137, v137, v165
	v_fmac_f32_e32 v140, v6, v1
	s_wait_loadcnt_dscnt 0x101
	v_mul_f32_e32 v6, v14, v10
	s_delay_alu instid0(VALU_DEP_3) | instskip(SKIP_2) | instid1(VALU_DEP_3)
	v_add_f32_e32 v22, v137, v22
	v_mul_f32_e32 v137, v13, v10
	v_fma_f32 v2, v5, v1, -v2
	v_add_f32_e32 v22, v22, v130
	s_delay_alu instid0(VALU_DEP_1) | instskip(SKIP_2) | instid1(VALU_DEP_1)
	v_add_f32_e32 v22, v22, v133
	s_wait_loadcnt_dscnt 0x0
	v_mul_f32_e32 v130, v126, v18
	v_dual_add_f32 v21, v21, v166 :: v_dual_fmac_f32 v130, v127, v17
	s_delay_alu instid0(VALU_DEP_1) | instskip(SKIP_2) | instid1(VALU_DEP_2)
	v_add_f32_e32 v21, v21, v131
	v_mul_f32_e32 v131, v7, v4
	v_mul_f32_e32 v4, v8, v4
	v_fmac_f32_e32 v131, v8, v3
	s_delay_alu instid0(VALU_DEP_2) | instskip(SKIP_3) | instid1(VALU_DEP_3)
	v_fma_f32 v3, v7, v3, -v4
	v_dual_mul_f32 v4, v16, v12 :: v_dual_fmac_f32 v137, v14, v9
	v_add_f32_e32 v21, v21, v132
	v_dual_mul_f32 v132, v128, v20 :: v_dual_add_f32 v5, v22, v134
	v_fma_f32 v4, v15, v11, -v4
	s_delay_alu instid0(VALU_DEP_3) | instskip(NEXT) | instid1(VALU_DEP_3)
	v_add_f32_e32 v21, v21, v135
	v_fmac_f32_e32 v132, v129, v19
	s_delay_alu instid0(VALU_DEP_2) | instskip(NEXT) | instid1(VALU_DEP_1)
	v_add_f32_e32 v1, v21, v136
	v_add_f32_e32 v1, v1, v2
	;; [unrolled: 1-line block ×3, first 2 shown]
	v_mul_f32_e32 v141, v15, v12
	v_fma_f32 v5, v13, v9, -v6
	s_delay_alu instid0(VALU_DEP_3) | instskip(NEXT) | instid1(VALU_DEP_1)
	v_add_f32_e32 v2, v2, v131
	v_dual_fmac_f32 v141, v16, v11 :: v_dual_add_f32 v2, v2, v137
	s_delay_alu instid0(VALU_DEP_1) | instskip(NEXT) | instid1(VALU_DEP_1)
	v_add_f32_e32 v2, v2, v141
	v_add_f32_e32 v2, v2, v130
	s_delay_alu instid0(VALU_DEP_1) | instskip(SKIP_1) | instid1(VALU_DEP_2)
	v_dual_add_f32 v2, v2, v132 :: v_dual_add_f32 v1, v1, v3
	v_mul_f32_e32 v3, v127, v18
	v_dual_sub_f32 v2, v139, v2 :: v_dual_add_f32 v1, v1, v5
	v_mul_f32_e32 v5, v129, v20
	s_delay_alu instid0(VALU_DEP_3) | instskip(NEXT) | instid1(VALU_DEP_3)
	v_fma_f32 v3, v126, v17, -v3
	v_add_f32_e32 v1, v1, v4
	s_delay_alu instid0(VALU_DEP_3) | instskip(NEXT) | instid1(VALU_DEP_2)
	v_fma_f32 v4, v128, v19, -v5
	v_add_f32_e32 v1, v1, v3
	s_delay_alu instid0(VALU_DEP_1) | instskip(NEXT) | instid1(VALU_DEP_1)
	v_add_f32_e32 v1, v1, v4
	v_sub_f32_e32 v1, v138, v1
	scratch_store_b64 off, v[1:2], off offset:128
	v_cmpx_lt_u32_e32 15, v0
	s_cbranch_execz .LBB50_289
; %bb.288:
	scratch_load_b64 v[1:2], off, off offset:120
	v_mov_b32_e32 v3, 0
	s_delay_alu instid0(VALU_DEP_1)
	v_mov_b32_e32 v4, v3
	scratch_store_b64 off, v[3:4], off offset:120
	s_wait_loadcnt 0x0
	ds_store_b64 v23, v[1:2]
.LBB50_289:
	s_wait_alu 0xfffe
	s_or_b32 exec_lo, exec_lo, s0
	s_wait_storecnt_dscnt 0x0
	s_barrier_signal -1
	s_barrier_wait -1
	global_inv scope:SCOPE_SE
	s_clause 0x4
	scratch_load_b128 v[5:8], off, off offset:128
	scratch_load_b128 v[1:4], off, off offset:144
	;; [unrolled: 1-line block ×5, first 2 shown]
	v_mov_b32_e32 v21, 0
	ds_load_b128 v[126:129], v21 offset:544
	ds_load_b128 v[130:133], v21 offset:560
	;; [unrolled: 1-line block ×3, first 2 shown]
	scratch_load_b64 v[138:139], off, off offset:120
	s_mov_b32 s0, exec_lo
	s_wait_loadcnt_dscnt 0x502
	v_mul_f32_e32 v22, v127, v6
	v_dual_mul_f32 v140, v126, v6 :: v_dual_mul_f32 v141, v128, v8
	v_mul_f32_e32 v6, v129, v8
	s_delay_alu instid0(VALU_DEP_3) | instskip(NEXT) | instid1(VALU_DEP_3)
	v_fma_f32 v22, v126, v5, -v22
	v_dual_fmac_f32 v140, v127, v5 :: v_dual_fmac_f32 v141, v129, v7
	s_wait_loadcnt_dscnt 0x401
	v_mul_f32_e32 v127, v130, v2
	v_fma_f32 v126, v128, v7, -v6
	ds_load_b128 v[5:8], v21 offset:592
	s_wait_loadcnt_dscnt 0x301
	v_dual_mul_f32 v128, v132, v4 :: v_dual_mul_f32 v129, v134, v10
	v_dual_mul_f32 v4, v133, v4 :: v_dual_fmac_f32 v127, v131, v1
	v_mul_f32_e32 v10, v135, v10
	s_delay_alu instid0(VALU_DEP_3)
	v_dual_mul_f32 v142, v136, v12 :: v_dual_fmac_f32 v129, v135, v9
	v_mul_f32_e32 v12, v137, v12
	v_mul_f32_e32 v2, v131, v2
	v_fmac_f32_e32 v128, v133, v3
	v_fma_f32 v131, v132, v3, -v4
	v_fma_f32 v132, v134, v9, -v10
	v_fmac_f32_e32 v142, v137, v11
	v_fma_f32 v133, v136, v11, -v12
	ds_load_b128 v[9:12], v21 offset:608
	s_wait_loadcnt_dscnt 0x201
	v_dual_mul_f32 v135, v7, v16 :: v_dual_mul_f32 v134, v5, v14
	v_mul_f32_e32 v14, v6, v14
	v_mul_f32_e32 v16, v8, v16
	s_delay_alu instid0(VALU_DEP_3)
	v_fmac_f32_e32 v135, v8, v15
	v_fma_f32 v130, v130, v1, -v2
	scratch_load_b128 v[1:4], off, off offset:208
	v_fmac_f32_e32 v134, v6, v13
	v_fma_f32 v13, v5, v13, -v14
	v_fma_f32 v14, v7, v15, -v16
	ds_load_b128 v[5:8], v21 offset:624
	s_wait_loadcnt_dscnt 0x201
	v_mul_f32_e32 v15, v9, v18
	v_mul_f32_e32 v16, v10, v18
	v_mul_f32_e32 v18, v11, v20
	s_delay_alu instid0(VALU_DEP_3) | instskip(NEXT) | instid1(VALU_DEP_3)
	v_dual_mul_f32 v20, v12, v20 :: v_dual_fmac_f32 v15, v10, v17
	v_fma_f32 v16, v9, v17, -v16
	s_delay_alu instid0(VALU_DEP_3) | instskip(NEXT) | instid1(VALU_DEP_3)
	v_fmac_f32_e32 v18, v12, v19
	v_fma_f32 v17, v11, v19, -v20
	scratch_load_b128 v[9:12], off, off offset:224
	s_wait_loadcnt_dscnt 0x100
	v_mul_f32_e32 v19, v5, v2
	v_mul_f32_e32 v2, v6, v2
	;; [unrolled: 1-line block ×3, first 2 shown]
	s_delay_alu instid0(VALU_DEP_3) | instskip(NEXT) | instid1(VALU_DEP_3)
	v_dual_mul_f32 v4, v8, v4 :: v_dual_fmac_f32 v19, v6, v1
	v_fma_f32 v136, v5, v1, -v2
	s_delay_alu instid0(VALU_DEP_3) | instskip(NEXT) | instid1(VALU_DEP_3)
	v_fmac_f32_e32 v20, v8, v3
	v_fma_f32 v137, v7, v3, -v4
	ds_load_b128 v[1:4], v21 offset:640
	ds_load_b128 v[5:8], v21 offset:656
	s_wait_loadcnt_dscnt 0x1
	v_mul_f32_e32 v143, v1, v10
	v_mul_f32_e32 v10, v2, v10
	s_delay_alu instid0(VALU_DEP_2) | instskip(NEXT) | instid1(VALU_DEP_2)
	v_dual_mul_f32 v144, v3, v12 :: v_dual_fmac_f32 v143, v2, v9
	v_fma_f32 v145, v1, v9, -v10
	v_mul_f32_e32 v1, v4, v12
	s_delay_alu instid0(VALU_DEP_3) | instskip(NEXT) | instid1(VALU_DEP_2)
	v_fmac_f32_e32 v144, v4, v11
	v_fma_f32 v146, v3, v11, -v1
	s_clause 0x1
	scratch_load_b128 v[1:4], off, off offset:240
	scratch_load_b128 v[9:12], off, off offset:256
	s_wait_loadcnt_dscnt 0x100
	v_mul_f32_e32 v147, v5, v2
	v_dual_mul_f32 v2, v6, v2 :: v_dual_mul_f32 v149, v7, v4
	s_delay_alu instid0(VALU_DEP_2) | instskip(NEXT) | instid1(VALU_DEP_2)
	v_fmac_f32_e32 v147, v6, v1
	v_fma_f32 v148, v5, v1, -v2
	v_mul_f32_e32 v1, v8, v4
	s_delay_alu instid0(VALU_DEP_4) | instskip(NEXT) | instid1(VALU_DEP_2)
	v_fmac_f32_e32 v149, v8, v3
	v_fma_f32 v150, v7, v3, -v1
	ds_load_b128 v[1:4], v21 offset:672
	ds_load_b128 v[5:8], v21 offset:688
	s_wait_loadcnt_dscnt 0x1
	v_mul_f32_e32 v151, v1, v10
	v_mul_f32_e32 v153, v3, v12
	s_delay_alu instid0(VALU_DEP_2) | instskip(NEXT) | instid1(VALU_DEP_2)
	v_fmac_f32_e32 v151, v2, v9
	v_dual_mul_f32 v2, v2, v10 :: v_dual_fmac_f32 v153, v4, v11
	s_delay_alu instid0(VALU_DEP_1) | instskip(SKIP_1) | instid1(VALU_DEP_1)
	v_fma_f32 v152, v1, v9, -v2
	v_mul_f32_e32 v1, v4, v12
	v_fma_f32 v154, v3, v11, -v1
	s_clause 0x1
	scratch_load_b128 v[1:4], off, off offset:272
	scratch_load_b128 v[9:12], off, off offset:288
	s_wait_loadcnt_dscnt 0x100
	v_mul_f32_e32 v155, v5, v2
	v_dual_mul_f32 v157, v7, v4 :: v_dual_mul_f32 v2, v6, v2
	s_delay_alu instid0(VALU_DEP_2) | instskip(NEXT) | instid1(VALU_DEP_2)
	v_fmac_f32_e32 v155, v6, v1
	v_fmac_f32_e32 v157, v8, v3
	s_delay_alu instid0(VALU_DEP_3) | instskip(SKIP_1) | instid1(VALU_DEP_1)
	v_fma_f32 v156, v5, v1, -v2
	v_mul_f32_e32 v1, v8, v4
	v_fma_f32 v158, v7, v3, -v1
	ds_load_b128 v[1:4], v21 offset:704
	ds_load_b128 v[5:8], v21 offset:720
	s_wait_loadcnt_dscnt 0x1
	v_mul_f32_e32 v159, v1, v10
	v_mul_f32_e32 v161, v3, v12
	s_delay_alu instid0(VALU_DEP_2) | instskip(NEXT) | instid1(VALU_DEP_2)
	v_fmac_f32_e32 v159, v2, v9
	v_dual_mul_f32 v2, v2, v10 :: v_dual_fmac_f32 v161, v4, v11
	s_delay_alu instid0(VALU_DEP_1) | instskip(SKIP_1) | instid1(VALU_DEP_1)
	v_fma_f32 v160, v1, v9, -v2
	v_mul_f32_e32 v1, v4, v12
	v_fma_f32 v162, v3, v11, -v1
	s_clause 0x1
	scratch_load_b128 v[1:4], off, off offset:304
	scratch_load_b128 v[9:12], off, off offset:320
	s_wait_loadcnt_dscnt 0x100
	v_mul_f32_e32 v163, v5, v2
	v_mul_f32_e32 v2, v6, v2
	s_delay_alu instid0(VALU_DEP_1) | instskip(SKIP_1) | instid1(VALU_DEP_1)
	v_fma_f32 v164, v5, v1, -v2
	v_add_f32_e32 v2, 0, v140
	v_add_f32_e32 v2, v2, v141
	s_delay_alu instid0(VALU_DEP_1) | instskip(NEXT) | instid1(VALU_DEP_1)
	v_add_f32_e32 v2, v2, v127
	v_add_f32_e32 v2, v2, v128
	v_mul_f32_e32 v165, v7, v4
	v_fmac_f32_e32 v163, v6, v1
	s_delay_alu instid0(VALU_DEP_2) | instskip(NEXT) | instid1(VALU_DEP_1)
	v_dual_add_f32 v2, v2, v129 :: v_dual_fmac_f32 v165, v8, v3
	v_dual_add_f32 v2, v2, v142 :: v_dual_mul_f32 v1, v8, v4
	s_delay_alu instid0(VALU_DEP_1) | instskip(NEXT) | instid1(VALU_DEP_2)
	v_add_f32_e32 v2, v2, v134
	v_fma_f32 v166, v7, v3, -v1
	s_delay_alu instid0(VALU_DEP_2) | instskip(NEXT) | instid1(VALU_DEP_1)
	v_dual_add_f32 v1, 0, v22 :: v_dual_add_f32 v2, v2, v135
	v_dual_add_f32 v1, v1, v126 :: v_dual_add_f32 v2, v2, v15
	s_delay_alu instid0(VALU_DEP_1) | instskip(NEXT) | instid1(VALU_DEP_2)
	v_add_f32_e32 v1, v1, v130
	v_add_f32_e32 v5, v2, v18
	s_delay_alu instid0(VALU_DEP_2) | instskip(SKIP_2) | instid1(VALU_DEP_1)
	v_add_f32_e32 v1, v1, v131
	scratch_load_b64 v[130:131], off, off offset:400
	v_add_f32_e32 v1, v1, v132
	v_add_f32_e32 v1, v1, v133
	s_delay_alu instid0(VALU_DEP_1) | instskip(SKIP_1) | instid1(VALU_DEP_2)
	v_add_f32_e32 v1, v1, v13
	v_add_f32_e32 v13, v5, v19
	;; [unrolled: 1-line block ×3, first 2 shown]
	s_delay_alu instid0(VALU_DEP_2) | instskip(NEXT) | instid1(VALU_DEP_2)
	v_add_f32_e32 v13, v13, v20
	v_add_f32_e32 v1, v1, v16
	s_delay_alu instid0(VALU_DEP_2) | instskip(NEXT) | instid1(VALU_DEP_2)
	v_add_f32_e32 v13, v13, v143
	v_add_f32_e32 v1, v1, v17
	;; [unrolled: 3-line block ×3, first 2 shown]
	scratch_load_b128 v[1:4], off, off offset:336
	v_add_f32_e32 v18, v18, v147
	v_add_f32_e32 v14, v6, v137
	ds_load_b128 v[5:8], v21 offset:736
	v_add_f32_e32 v18, v18, v149
	v_add_f32_e32 v14, v14, v145
	s_delay_alu instid0(VALU_DEP_2) | instskip(NEXT) | instid1(VALU_DEP_2)
	v_add_f32_e32 v126, v18, v151
	v_add_f32_e32 v17, v14, v146
	ds_load_b128 v[13:16], v21 offset:752
	v_add_f32_e32 v126, v126, v153
	s_delay_alu instid0(VALU_DEP_1)
	v_add_f32_e32 v126, v126, v155
	s_wait_loadcnt_dscnt 0x201
	v_mul_f32_e32 v22, v5, v10
	v_mul_f32_e32 v10, v6, v10
	;; [unrolled: 1-line block ×4, first 2 shown]
	v_add_f32_e32 v126, v126, v157
	v_fmac_f32_e32 v22, v6, v9
	v_fma_f32 v135, v5, v9, -v10
	v_fmac_f32_e32 v134, v8, v11
	v_fma_f32 v136, v7, v11, -v12
	s_clause 0x1
	scratch_load_b128 v[5:8], off, off offset:352
	scratch_load_b128 v[9:12], off, off offset:368
	s_wait_loadcnt_dscnt 0x200
	v_mul_f32_e32 v140, v15, v4
	v_mul_f32_e32 v4, v16, v4
	v_add_f32_e32 v17, v17, v148
	v_mul_f32_e32 v137, v13, v2
	v_mul_f32_e32 v2, v14, v2
	v_fmac_f32_e32 v140, v16, v3
	v_fma_f32 v142, v15, v3, -v4
	v_add_f32_e32 v17, v17, v150
	s_delay_alu instid0(VALU_DEP_4) | instskip(SKIP_1) | instid1(VALU_DEP_3)
	v_fma_f32 v141, v13, v1, -v2
	v_add_f32_e32 v13, v126, v159
	v_add_f32_e32 v17, v17, v152
	s_delay_alu instid0(VALU_DEP_2) | instskip(NEXT) | instid1(VALU_DEP_2)
	v_add_f32_e32 v126, v13, v161
	v_add_f32_e32 v127, v17, v154
	scratch_load_b128 v[17:20], off, off offset:384
	v_add_f32_e32 v133, v126, v163
	s_delay_alu instid0(VALU_DEP_1) | instskip(NEXT) | instid1(VALU_DEP_1)
	v_dual_add_f32 v127, v127, v156 :: v_dual_add_f32 v144, v133, v165
	v_add_f32_e32 v127, v127, v158
	s_delay_alu instid0(VALU_DEP_1)
	v_dual_add_f32 v22, v144, v22 :: v_dual_add_f32 v127, v127, v160
	v_fmac_f32_e32 v137, v14, v1
	ds_load_b128 v[1:4], v21 offset:768
	v_add_f32_e32 v22, v22, v134
	v_add_f32_e32 v14, v127, v162
	ds_load_b128 v[126:129], v21 offset:800
	v_add_f32_e32 v22, v22, v137
	v_add_f32_e32 v132, v14, v164
	ds_load_b128 v[13:16], v21 offset:784
	v_dual_add_f32 v22, v22, v140 :: v_dual_add_f32 v143, v132, v166
	ds_load_b64 v[132:133], v21 offset:816
	v_add_f32_e32 v135, v143, v135
	s_wait_loadcnt_dscnt 0x203
	v_mul_f32_e32 v143, v1, v6
	v_mul_f32_e32 v6, v2, v6
	;; [unrolled: 1-line block ×3, first 2 shown]
	v_add_f32_e32 v135, v135, v136
	s_delay_alu instid0(VALU_DEP_4) | instskip(NEXT) | instid1(VALU_DEP_4)
	v_dual_mul_f32 v8, v4, v8 :: v_dual_fmac_f32 v143, v2, v5
	v_fma_f32 v1, v1, v5, -v6
	s_delay_alu instid0(VALU_DEP_4)
	v_fmac_f32_e32 v134, v4, v7
	s_wait_loadcnt_dscnt 0x101
	v_dual_mul_f32 v136, v13, v10 :: v_dual_add_f32 v135, v135, v141
	v_fma_f32 v2, v3, v7, -v8
	v_dual_add_f32 v4, v22, v143 :: v_dual_mul_f32 v137, v15, v12
	s_wait_dscnt 0x0
	s_delay_alu instid0(VALU_DEP_3) | instskip(SKIP_1) | instid1(VALU_DEP_2)
	v_dual_mul_f32 v140, v132, v131 :: v_dual_add_f32 v135, v135, v142
	v_dual_mul_f32 v5, v16, v12 :: v_dual_fmac_f32 v136, v14, v9
	v_dual_fmac_f32 v137, v16, v11 :: v_dual_fmac_f32 v140, v133, v130
	s_delay_alu instid0(VALU_DEP_3) | instskip(NEXT) | instid1(VALU_DEP_3)
	v_add_f32_e32 v1, v135, v1
	v_fma_f32 v5, v15, v11, -v5
	s_delay_alu instid0(VALU_DEP_2) | instskip(SKIP_3) | instid1(VALU_DEP_2)
	v_add_f32_e32 v1, v1, v2
	s_wait_loadcnt 0x0
	v_dual_mul_f32 v141, v126, v18 :: v_dual_mul_f32 v142, v128, v20
	v_mul_f32_e32 v3, v14, v10
	v_dual_fmac_f32 v141, v127, v17 :: v_dual_fmac_f32 v142, v129, v19
	s_delay_alu instid0(VALU_DEP_2) | instskip(SKIP_2) | instid1(VALU_DEP_2)
	v_fma_f32 v3, v13, v9, -v3
	v_add_f32_e32 v2, v4, v134
	v_mul_f32_e32 v4, v127, v18
	v_dual_add_f32 v2, v2, v136 :: v_dual_add_f32 v1, v1, v3
	v_mul_f32_e32 v3, v129, v20
	s_delay_alu instid0(VALU_DEP_3) | instskip(NEXT) | instid1(VALU_DEP_3)
	v_fma_f32 v4, v126, v17, -v4
	v_add_f32_e32 v2, v2, v137
	s_delay_alu instid0(VALU_DEP_3) | instskip(NEXT) | instid1(VALU_DEP_2)
	v_fma_f32 v3, v128, v19, -v3
	v_add_f32_e32 v2, v2, v141
	s_delay_alu instid0(VALU_DEP_1) | instskip(NEXT) | instid1(VALU_DEP_1)
	v_dual_add_f32 v1, v1, v5 :: v_dual_add_f32 v2, v2, v142
	v_dual_mul_f32 v5, v133, v131 :: v_dual_add_f32 v2, v2, v140
	s_delay_alu instid0(VALU_DEP_2) | instskip(NEXT) | instid1(VALU_DEP_2)
	v_add_f32_e32 v1, v1, v4
	v_fma_f32 v4, v132, v130, -v5
	s_delay_alu instid0(VALU_DEP_2) | instskip(NEXT) | instid1(VALU_DEP_1)
	v_dual_sub_f32 v2, v139, v2 :: v_dual_add_f32 v1, v1, v3
	v_add_f32_e32 v1, v1, v4
	s_delay_alu instid0(VALU_DEP_1)
	v_sub_f32_e32 v1, v138, v1
	scratch_store_b64 off, v[1:2], off offset:120
	v_cmpx_lt_u32_e32 14, v0
	s_cbranch_execz .LBB50_291
; %bb.290:
	scratch_load_b64 v[1:2], off, off offset:112
	v_mov_b32_e32 v22, v21
	scratch_store_b64 off, v[21:22], off offset:112
	s_wait_loadcnt 0x0
	ds_store_b64 v23, v[1:2]
.LBB50_291:
	s_wait_alu 0xfffe
	s_or_b32 exec_lo, exec_lo, s0
	s_wait_storecnt_dscnt 0x0
	s_barrier_signal -1
	s_barrier_wait -1
	global_inv scope:SCOPE_SE
	s_clause 0x4
	scratch_load_b128 v[5:8], off, off offset:120
	scratch_load_b128 v[1:4], off, off offset:136
	scratch_load_b128 v[9:12], off, off offset:152
	scratch_load_b128 v[13:16], off, off offset:168
	scratch_load_b128 v[17:20], off, off offset:184
	ds_load_2addr_b64 v[126:129], v21 offset0:67 offset1:68
	ds_load_2addr_b64 v[130:133], v21 offset0:69 offset1:70
	;; [unrolled: 1-line block ×3, first 2 shown]
	scratch_load_b64 v[138:139], off, off offset:112
	s_mov_b32 s0, exec_lo
	s_wait_loadcnt_dscnt 0x502
	v_dual_mul_f32 v22, v127, v6 :: v_dual_mul_f32 v141, v128, v8
	v_mul_f32_e32 v140, v126, v6
	v_mul_f32_e32 v6, v129, v8
	s_wait_loadcnt_dscnt 0x300
	v_mul_f32_e32 v142, v136, v12
	v_fma_f32 v22, v126, v5, -v22
	v_dual_fmac_f32 v141, v129, v7 :: v_dual_fmac_f32 v140, v127, v5
	v_mul_f32_e32 v129, v134, v10
	v_mul_f32_e32 v127, v130, v2
	v_fma_f32 v126, v128, v7, -v6
	ds_load_2addr_b64 v[5:8], v21 offset0:73 offset1:74
	v_mul_f32_e32 v128, v132, v4
	v_dual_mul_f32 v4, v133, v4 :: v_dual_fmac_f32 v129, v135, v9
	v_mul_f32_e32 v10, v135, v10
	v_mul_f32_e32 v12, v137, v12
	;; [unrolled: 1-line block ×3, first 2 shown]
	v_dual_fmac_f32 v127, v131, v1 :: v_dual_fmac_f32 v128, v133, v3
	v_fma_f32 v131, v132, v3, -v4
	v_fma_f32 v132, v134, v9, -v10
	v_fmac_f32_e32 v142, v137, v11
	v_fma_f32 v133, v136, v11, -v12
	ds_load_2addr_b64 v[9:12], v21 offset0:75 offset1:76
	s_wait_loadcnt_dscnt 0x201
	v_dual_mul_f32 v135, v7, v16 :: v_dual_mul_f32 v134, v5, v14
	s_delay_alu instid0(VALU_DEP_1)
	v_dual_mul_f32 v14, v6, v14 :: v_dual_fmac_f32 v135, v8, v15
	v_fma_f32 v130, v130, v1, -v2
	scratch_load_b128 v[1:4], off, off offset:200
	v_mul_f32_e32 v16, v8, v16
	v_fmac_f32_e32 v134, v6, v13
	v_fma_f32 v13, v5, v13, -v14
	s_delay_alu instid0(VALU_DEP_3)
	v_fma_f32 v14, v7, v15, -v16
	s_wait_loadcnt_dscnt 0x200
	v_mul_f32_e32 v15, v9, v18
	v_mul_f32_e32 v16, v10, v18
	;; [unrolled: 1-line block ×4, first 2 shown]
	ds_load_2addr_b64 v[5:8], v21 offset0:77 offset1:78
	v_fmac_f32_e32 v15, v10, v17
	v_fma_f32 v16, v9, v17, -v16
	v_fmac_f32_e32 v18, v12, v19
	v_fma_f32 v17, v11, v19, -v20
	scratch_load_b128 v[9:12], off, off offset:216
	s_wait_loadcnt_dscnt 0x100
	v_mul_f32_e32 v19, v5, v2
	v_mul_f32_e32 v2, v6, v2
	v_mul_f32_e32 v20, v7, v4
	s_delay_alu instid0(VALU_DEP_3) | instskip(NEXT) | instid1(VALU_DEP_3)
	v_dual_mul_f32 v4, v8, v4 :: v_dual_fmac_f32 v19, v6, v1
	v_fma_f32 v136, v5, v1, -v2
	s_delay_alu instid0(VALU_DEP_3) | instskip(NEXT) | instid1(VALU_DEP_3)
	v_fmac_f32_e32 v20, v8, v3
	v_fma_f32 v137, v7, v3, -v4
	ds_load_2addr_b64 v[1:4], v21 offset0:79 offset1:80
	ds_load_2addr_b64 v[5:8], v21 offset0:81 offset1:82
	s_wait_loadcnt_dscnt 0x1
	v_mul_f32_e32 v143, v1, v10
	v_mul_f32_e32 v10, v2, v10
	s_delay_alu instid0(VALU_DEP_2) | instskip(NEXT) | instid1(VALU_DEP_2)
	v_dual_mul_f32 v144, v3, v12 :: v_dual_fmac_f32 v143, v2, v9
	v_fma_f32 v145, v1, v9, -v10
	v_mul_f32_e32 v1, v4, v12
	s_delay_alu instid0(VALU_DEP_3) | instskip(NEXT) | instid1(VALU_DEP_2)
	v_fmac_f32_e32 v144, v4, v11
	v_fma_f32 v146, v3, v11, -v1
	s_clause 0x1
	scratch_load_b128 v[1:4], off, off offset:232
	scratch_load_b128 v[9:12], off, off offset:248
	s_wait_loadcnt_dscnt 0x100
	v_mul_f32_e32 v147, v5, v2
	v_dual_mul_f32 v2, v6, v2 :: v_dual_mul_f32 v149, v7, v4
	s_delay_alu instid0(VALU_DEP_2) | instskip(NEXT) | instid1(VALU_DEP_2)
	v_fmac_f32_e32 v147, v6, v1
	v_fma_f32 v148, v5, v1, -v2
	v_mul_f32_e32 v1, v8, v4
	s_delay_alu instid0(VALU_DEP_4) | instskip(NEXT) | instid1(VALU_DEP_2)
	v_fmac_f32_e32 v149, v8, v3
	v_fma_f32 v150, v7, v3, -v1
	ds_load_2addr_b64 v[1:4], v21 offset0:83 offset1:84
	ds_load_2addr_b64 v[5:8], v21 offset0:85 offset1:86
	s_wait_loadcnt_dscnt 0x1
	v_mul_f32_e32 v151, v1, v10
	v_mul_f32_e32 v153, v3, v12
	s_delay_alu instid0(VALU_DEP_2) | instskip(NEXT) | instid1(VALU_DEP_2)
	v_fmac_f32_e32 v151, v2, v9
	v_dual_mul_f32 v2, v2, v10 :: v_dual_fmac_f32 v153, v4, v11
	s_delay_alu instid0(VALU_DEP_1) | instskip(SKIP_1) | instid1(VALU_DEP_1)
	v_fma_f32 v152, v1, v9, -v2
	v_mul_f32_e32 v1, v4, v12
	v_fma_f32 v154, v3, v11, -v1
	s_clause 0x1
	scratch_load_b128 v[1:4], off, off offset:264
	scratch_load_b128 v[9:12], off, off offset:280
	s_wait_loadcnt_dscnt 0x100
	v_mul_f32_e32 v155, v5, v2
	v_dual_mul_f32 v2, v6, v2 :: v_dual_mul_f32 v157, v7, v4
	s_delay_alu instid0(VALU_DEP_2) | instskip(NEXT) | instid1(VALU_DEP_2)
	v_fmac_f32_e32 v155, v6, v1
	v_fma_f32 v156, v5, v1, -v2
	v_mul_f32_e32 v1, v8, v4
	s_delay_alu instid0(VALU_DEP_4) | instskip(NEXT) | instid1(VALU_DEP_2)
	v_fmac_f32_e32 v157, v8, v3
	v_fma_f32 v158, v7, v3, -v1
	ds_load_2addr_b64 v[1:4], v21 offset0:87 offset1:88
	ds_load_2addr_b64 v[5:8], v21 offset0:89 offset1:90
	s_wait_loadcnt_dscnt 0x1
	v_mul_f32_e32 v159, v1, v10
	v_mul_f32_e32 v161, v3, v12
	s_delay_alu instid0(VALU_DEP_2) | instskip(NEXT) | instid1(VALU_DEP_2)
	v_fmac_f32_e32 v159, v2, v9
	v_dual_mul_f32 v2, v2, v10 :: v_dual_fmac_f32 v161, v4, v11
	s_delay_alu instid0(VALU_DEP_1) | instskip(SKIP_1) | instid1(VALU_DEP_1)
	v_fma_f32 v160, v1, v9, -v2
	v_mul_f32_e32 v1, v4, v12
	;; [unrolled: 25-line block ×3, first 2 shown]
	v_fma_f32 v170, v3, v11, -v1
	s_clause 0x1
	scratch_load_b128 v[1:4], off, off offset:328
	scratch_load_b128 v[9:12], off, off offset:344
	s_wait_loadcnt_dscnt 0x100
	v_mul_f32_e32 v171, v5, v2
	v_mul_f32_e32 v2, v6, v2
	s_delay_alu instid0(VALU_DEP_1) | instskip(SKIP_1) | instid1(VALU_DEP_1)
	v_fma_f32 v172, v5, v1, -v2
	v_add_f32_e32 v2, 0, v140
	v_add_f32_e32 v2, v2, v141
	s_delay_alu instid0(VALU_DEP_1) | instskip(NEXT) | instid1(VALU_DEP_1)
	v_add_f32_e32 v2, v2, v127
	v_add_f32_e32 v2, v2, v128
	s_delay_alu instid0(VALU_DEP_1) | instskip(NEXT) | instid1(VALU_DEP_1)
	;; [unrolled: 3-line block ×3, first 2 shown]
	v_add_f32_e32 v2, v2, v134
	v_add_f32_e32 v2, v2, v135
	s_delay_alu instid0(VALU_DEP_1) | instskip(SKIP_1) | instid1(VALU_DEP_2)
	v_add_f32_e32 v2, v2, v15
	v_fmac_f32_e32 v171, v6, v1
	v_dual_mul_f32 v173, v7, v4 :: v_dual_add_f32 v2, v2, v18
	s_delay_alu instid0(VALU_DEP_1) | instskip(NEXT) | instid1(VALU_DEP_1)
	v_dual_mul_f32 v1, v8, v4 :: v_dual_add_f32 v2, v2, v19
	v_fma_f32 v174, v7, v3, -v1
	v_add_f32_e32 v1, 0, v22
	s_delay_alu instid0(VALU_DEP_3) | instskip(NEXT) | instid1(VALU_DEP_2)
	v_dual_fmac_f32 v173, v8, v3 :: v_dual_add_f32 v2, v2, v20
	v_add_f32_e32 v1, v1, v126
	s_delay_alu instid0(VALU_DEP_2) | instskip(NEXT) | instid1(VALU_DEP_2)
	v_add_f32_e32 v5, v2, v143
	v_add_f32_e32 v1, v1, v130
	s_delay_alu instid0(VALU_DEP_2) | instskip(NEXT) | instid1(VALU_DEP_2)
	v_add_f32_e32 v5, v5, v144
	v_add_f32_e32 v1, v1, v131
	s_delay_alu instid0(VALU_DEP_2) | instskip(NEXT) | instid1(VALU_DEP_2)
	v_add_f32_e32 v5, v5, v147
	v_add_f32_e32 v1, v1, v132
	s_delay_alu instid0(VALU_DEP_1) | instskip(NEXT) | instid1(VALU_DEP_1)
	v_add_f32_e32 v1, v1, v133
	v_add_f32_e32 v1, v1, v13
	s_delay_alu instid0(VALU_DEP_1) | instskip(SKIP_1) | instid1(VALU_DEP_1)
	v_add_f32_e32 v1, v1, v14
	v_add_f32_e32 v14, v5, v149
	;; [unrolled: 1-line block ×3, first 2 shown]
	s_delay_alu instid0(VALU_DEP_1) | instskip(NEXT) | instid1(VALU_DEP_1)
	v_dual_add_f32 v14, v14, v153 :: v_dual_add_f32 v1, v1, v16
	v_add_f32_e32 v1, v1, v17
	s_delay_alu instid0(VALU_DEP_1) | instskip(NEXT) | instid1(VALU_DEP_1)
	v_add_f32_e32 v1, v1, v136
	v_add_f32_e32 v1, v1, v137
	s_delay_alu instid0(VALU_DEP_1) | instskip(NEXT) | instid1(VALU_DEP_1)
	v_add_f32_e32 v1, v1, v145
	v_add_f32_e32 v6, v1, v146
	ds_load_2addr_b64 v[1:4], v21 offset0:95 offset1:96
	v_add_f32_e32 v6, v6, v148
	s_delay_alu instid0(VALU_DEP_1)
	v_add_f32_e32 v13, v6, v150
	ds_load_2addr_b64 v[5:8], v21 offset0:97 offset1:98
	s_wait_loadcnt_dscnt 0x1
	v_mul_f32_e32 v22, v1, v10
	v_mul_f32_e32 v130, v3, v12
	;; [unrolled: 1-line block ×4, first 2 shown]
	s_delay_alu instid0(VALU_DEP_4) | instskip(NEXT) | instid1(VALU_DEP_4)
	v_fmac_f32_e32 v22, v2, v9
	v_fmac_f32_e32 v130, v4, v11
	s_delay_alu instid0(VALU_DEP_4) | instskip(NEXT) | instid1(VALU_DEP_4)
	v_fma_f32 v131, v1, v9, -v10
	v_fma_f32 v132, v3, v11, -v12
	s_clause 0x1
	scratch_load_b128 v[1:4], off, off offset:360
	scratch_load_b128 v[9:12], off, off offset:376
	v_add_f32_e32 v13, v13, v152
	v_add_f32_e32 v17, v14, v155
	s_delay_alu instid0(VALU_DEP_1) | instskip(SKIP_3) | instid1(VALU_DEP_2)
	v_add_f32_e32 v17, v17, v157
	s_wait_loadcnt_dscnt 0x100
	v_mul_f32_e32 v135, v7, v4
	v_mul_f32_e32 v4, v8, v4
	v_fmac_f32_e32 v135, v8, v3
	v_add_f32_e32 v13, v13, v154
	s_delay_alu instid0(VALU_DEP_3) | instskip(NEXT) | instid1(VALU_DEP_2)
	v_fma_f32 v3, v7, v3, -v4
	v_add_f32_e32 v13, v13, v156
	s_delay_alu instid0(VALU_DEP_1) | instskip(SKIP_2) | instid1(VALU_DEP_1)
	v_add_f32_e32 v18, v13, v158
	scratch_load_b128 v[13:16], off, off offset:392
	v_dual_add_f32 v17, v17, v159 :: v_dual_add_f32 v18, v18, v160
	v_dual_add_f32 v17, v17, v161 :: v_dual_add_f32 v18, v18, v162
	s_delay_alu instid0(VALU_DEP_1)
	v_dual_add_f32 v127, v17, v163 :: v_dual_add_f32 v126, v18, v164
	ds_load_2addr_b64 v[17:20], v21 offset0:99 offset1:100
	v_dual_add_f32 v134, v127, v165 :: v_dual_add_f32 v133, v126, v166
	ds_load_2addr_b64 v[126:129], v21 offset0:101 offset1:102
	v_add_f32_e32 v21, v133, v168
	v_dual_add_f32 v133, v134, v167 :: v_dual_mul_f32 v134, v5, v2
	v_mul_f32_e32 v2, v6, v2
	s_delay_alu instid0(VALU_DEP_2) | instskip(NEXT) | instid1(VALU_DEP_2)
	v_dual_add_f32 v21, v21, v170 :: v_dual_fmac_f32 v134, v6, v1
	v_fma_f32 v2, v5, v1, -v2
	s_delay_alu instid0(VALU_DEP_2) | instskip(SKIP_3) | instid1(VALU_DEP_3)
	v_add_f32_e32 v21, v21, v172
	s_wait_loadcnt_dscnt 0x101
	v_mul_f32_e32 v136, v17, v10
	v_dual_add_f32 v133, v133, v169 :: v_dual_mul_f32 v6, v18, v10
	v_dual_mul_f32 v4, v20, v12 :: v_dual_add_f32 v21, v21, v174
	s_delay_alu instid0(VALU_DEP_2) | instskip(NEXT) | instid1(VALU_DEP_2)
	v_dual_fmac_f32 v136, v18, v9 :: v_dual_add_f32 v133, v133, v171
	v_fma_f32 v4, v19, v11, -v4
	s_delay_alu instid0(VALU_DEP_3) | instskip(NEXT) | instid1(VALU_DEP_3)
	v_add_f32_e32 v21, v21, v131
	v_add_f32_e32 v133, v133, v173
	s_delay_alu instid0(VALU_DEP_2) | instskip(NEXT) | instid1(VALU_DEP_2)
	v_add_f32_e32 v1, v21, v132
	v_add_f32_e32 v22, v133, v22
	s_delay_alu instid0(VALU_DEP_2) | instskip(NEXT) | instid1(VALU_DEP_2)
	v_add_f32_e32 v1, v1, v2
	v_add_f32_e32 v5, v22, v130
	v_mul_f32_e32 v137, v19, v12
	s_delay_alu instid0(VALU_DEP_3) | instskip(NEXT) | instid1(VALU_DEP_3)
	v_add_f32_e32 v1, v1, v3
	v_add_f32_e32 v2, v5, v134
	v_fma_f32 v5, v17, v9, -v6
	s_delay_alu instid0(VALU_DEP_4) | instskip(NEXT) | instid1(VALU_DEP_2)
	v_fmac_f32_e32 v137, v20, v11
	v_dual_add_f32 v2, v2, v135 :: v_dual_add_f32 v1, v1, v5
	s_delay_alu instid0(VALU_DEP_1) | instskip(NEXT) | instid1(VALU_DEP_1)
	v_add_f32_e32 v2, v2, v136
	v_dual_add_f32 v1, v1, v4 :: v_dual_add_f32 v2, v2, v137
	s_wait_loadcnt_dscnt 0x0
	v_mul_f32_e32 v140, v126, v14
	v_mul_f32_e32 v3, v127, v14
	;; [unrolled: 1-line block ×3, first 2 shown]
	s_delay_alu instid0(VALU_DEP_3) | instskip(NEXT) | instid1(VALU_DEP_3)
	v_dual_mul_f32 v5, v129, v16 :: v_dual_fmac_f32 v140, v127, v13
	v_fma_f32 v3, v126, v13, -v3
	s_delay_alu instid0(VALU_DEP_3) | instskip(NEXT) | instid1(VALU_DEP_3)
	v_fmac_f32_e32 v131, v129, v15
	v_fma_f32 v4, v128, v15, -v5
	s_delay_alu instid0(VALU_DEP_3) | instskip(NEXT) | instid1(VALU_DEP_1)
	v_dual_add_f32 v2, v2, v140 :: v_dual_add_f32 v1, v1, v3
	v_dual_add_f32 v2, v2, v131 :: v_dual_add_f32 v1, v1, v4
	s_delay_alu instid0(VALU_DEP_1)
	v_dual_sub_f32 v2, v139, v2 :: v_dual_sub_f32 v1, v138, v1
	scratch_store_b64 off, v[1:2], off offset:112
	v_cmpx_lt_u32_e32 13, v0
	s_cbranch_execz .LBB50_293
; %bb.292:
	scratch_load_b64 v[1:2], off, off offset:104
	v_mov_b32_e32 v3, 0
	s_delay_alu instid0(VALU_DEP_1)
	v_mov_b32_e32 v4, v3
	scratch_store_b64 off, v[3:4], off offset:104
	s_wait_loadcnt 0x0
	ds_store_b64 v23, v[1:2]
.LBB50_293:
	s_wait_alu 0xfffe
	s_or_b32 exec_lo, exec_lo, s0
	s_wait_storecnt_dscnt 0x0
	s_barrier_signal -1
	s_barrier_wait -1
	global_inv scope:SCOPE_SE
	s_clause 0x4
	scratch_load_b128 v[5:8], off, off offset:112
	scratch_load_b128 v[1:4], off, off offset:128
	;; [unrolled: 1-line block ×5, first 2 shown]
	v_mov_b32_e32 v21, 0
	ds_load_b128 v[126:129], v21 offset:528
	ds_load_b128 v[130:133], v21 offset:544
	;; [unrolled: 1-line block ×3, first 2 shown]
	scratch_load_b64 v[138:139], off, off offset:104
	s_mov_b32 s0, exec_lo
	s_wait_loadcnt_dscnt 0x502
	v_mul_f32_e32 v22, v127, v6
	v_dual_mul_f32 v140, v126, v6 :: v_dual_mul_f32 v141, v128, v8
	v_mul_f32_e32 v6, v129, v8
	s_delay_alu instid0(VALU_DEP_3) | instskip(NEXT) | instid1(VALU_DEP_3)
	v_fma_f32 v22, v126, v5, -v22
	v_dual_fmac_f32 v140, v127, v5 :: v_dual_fmac_f32 v141, v129, v7
	s_wait_loadcnt_dscnt 0x401
	v_mul_f32_e32 v127, v130, v2
	v_fma_f32 v126, v128, v7, -v6
	ds_load_b128 v[5:8], v21 offset:576
	s_wait_loadcnt_dscnt 0x301
	v_dual_mul_f32 v128, v132, v4 :: v_dual_mul_f32 v129, v134, v10
	v_dual_mul_f32 v4, v133, v4 :: v_dual_fmac_f32 v127, v131, v1
	v_mul_f32_e32 v10, v135, v10
	s_delay_alu instid0(VALU_DEP_3)
	v_dual_mul_f32 v142, v136, v12 :: v_dual_fmac_f32 v129, v135, v9
	v_mul_f32_e32 v12, v137, v12
	v_mul_f32_e32 v2, v131, v2
	v_fmac_f32_e32 v128, v133, v3
	v_fma_f32 v131, v132, v3, -v4
	v_fma_f32 v132, v134, v9, -v10
	v_fmac_f32_e32 v142, v137, v11
	v_fma_f32 v133, v136, v11, -v12
	ds_load_b128 v[9:12], v21 offset:592
	s_wait_loadcnt_dscnt 0x201
	v_dual_mul_f32 v135, v7, v16 :: v_dual_mul_f32 v134, v5, v14
	v_mul_f32_e32 v14, v6, v14
	v_mul_f32_e32 v16, v8, v16
	s_delay_alu instid0(VALU_DEP_3)
	v_fmac_f32_e32 v135, v8, v15
	v_fma_f32 v130, v130, v1, -v2
	scratch_load_b128 v[1:4], off, off offset:192
	v_fmac_f32_e32 v134, v6, v13
	v_fma_f32 v13, v5, v13, -v14
	v_fma_f32 v14, v7, v15, -v16
	ds_load_b128 v[5:8], v21 offset:608
	s_wait_loadcnt_dscnt 0x201
	v_mul_f32_e32 v15, v9, v18
	v_mul_f32_e32 v16, v10, v18
	;; [unrolled: 1-line block ×3, first 2 shown]
	s_delay_alu instid0(VALU_DEP_3) | instskip(NEXT) | instid1(VALU_DEP_3)
	v_dual_mul_f32 v20, v12, v20 :: v_dual_fmac_f32 v15, v10, v17
	v_fma_f32 v16, v9, v17, -v16
	s_delay_alu instid0(VALU_DEP_3) | instskip(NEXT) | instid1(VALU_DEP_3)
	v_fmac_f32_e32 v18, v12, v19
	v_fma_f32 v17, v11, v19, -v20
	scratch_load_b128 v[9:12], off, off offset:208
	s_wait_loadcnt_dscnt 0x100
	v_mul_f32_e32 v19, v5, v2
	v_mul_f32_e32 v2, v6, v2
	;; [unrolled: 1-line block ×3, first 2 shown]
	s_delay_alu instid0(VALU_DEP_3) | instskip(NEXT) | instid1(VALU_DEP_3)
	v_dual_mul_f32 v4, v8, v4 :: v_dual_fmac_f32 v19, v6, v1
	v_fma_f32 v136, v5, v1, -v2
	s_delay_alu instid0(VALU_DEP_3) | instskip(NEXT) | instid1(VALU_DEP_3)
	v_fmac_f32_e32 v20, v8, v3
	v_fma_f32 v137, v7, v3, -v4
	ds_load_b128 v[1:4], v21 offset:624
	ds_load_b128 v[5:8], v21 offset:640
	s_wait_loadcnt_dscnt 0x1
	v_mul_f32_e32 v143, v1, v10
	v_mul_f32_e32 v10, v2, v10
	s_delay_alu instid0(VALU_DEP_2) | instskip(NEXT) | instid1(VALU_DEP_2)
	v_dual_mul_f32 v144, v3, v12 :: v_dual_fmac_f32 v143, v2, v9
	v_fma_f32 v145, v1, v9, -v10
	v_mul_f32_e32 v1, v4, v12
	s_delay_alu instid0(VALU_DEP_3) | instskip(NEXT) | instid1(VALU_DEP_2)
	v_fmac_f32_e32 v144, v4, v11
	v_fma_f32 v146, v3, v11, -v1
	s_clause 0x1
	scratch_load_b128 v[1:4], off, off offset:224
	scratch_load_b128 v[9:12], off, off offset:240
	s_wait_loadcnt_dscnt 0x100
	v_mul_f32_e32 v147, v5, v2
	v_dual_mul_f32 v2, v6, v2 :: v_dual_mul_f32 v149, v7, v4
	s_delay_alu instid0(VALU_DEP_2) | instskip(NEXT) | instid1(VALU_DEP_2)
	v_fmac_f32_e32 v147, v6, v1
	v_fma_f32 v148, v5, v1, -v2
	v_mul_f32_e32 v1, v8, v4
	s_delay_alu instid0(VALU_DEP_4) | instskip(NEXT) | instid1(VALU_DEP_2)
	v_fmac_f32_e32 v149, v8, v3
	v_fma_f32 v150, v7, v3, -v1
	ds_load_b128 v[1:4], v21 offset:656
	ds_load_b128 v[5:8], v21 offset:672
	s_wait_loadcnt_dscnt 0x1
	v_mul_f32_e32 v151, v1, v10
	v_mul_f32_e32 v153, v3, v12
	s_delay_alu instid0(VALU_DEP_2) | instskip(NEXT) | instid1(VALU_DEP_2)
	v_fmac_f32_e32 v151, v2, v9
	v_dual_mul_f32 v2, v2, v10 :: v_dual_fmac_f32 v153, v4, v11
	s_delay_alu instid0(VALU_DEP_1) | instskip(SKIP_1) | instid1(VALU_DEP_1)
	v_fma_f32 v152, v1, v9, -v2
	v_mul_f32_e32 v1, v4, v12
	v_fma_f32 v154, v3, v11, -v1
	s_clause 0x1
	scratch_load_b128 v[1:4], off, off offset:256
	scratch_load_b128 v[9:12], off, off offset:272
	s_wait_loadcnt_dscnt 0x100
	v_mul_f32_e32 v155, v5, v2
	v_dual_mul_f32 v157, v7, v4 :: v_dual_mul_f32 v2, v6, v2
	s_delay_alu instid0(VALU_DEP_2) | instskip(NEXT) | instid1(VALU_DEP_2)
	v_fmac_f32_e32 v155, v6, v1
	v_fmac_f32_e32 v157, v8, v3
	s_delay_alu instid0(VALU_DEP_3) | instskip(SKIP_1) | instid1(VALU_DEP_1)
	v_fma_f32 v156, v5, v1, -v2
	v_mul_f32_e32 v1, v8, v4
	v_fma_f32 v158, v7, v3, -v1
	ds_load_b128 v[1:4], v21 offset:688
	ds_load_b128 v[5:8], v21 offset:704
	s_wait_loadcnt_dscnt 0x1
	v_mul_f32_e32 v159, v1, v10
	v_mul_f32_e32 v161, v3, v12
	s_delay_alu instid0(VALU_DEP_2) | instskip(NEXT) | instid1(VALU_DEP_2)
	v_fmac_f32_e32 v159, v2, v9
	v_dual_mul_f32 v2, v2, v10 :: v_dual_fmac_f32 v161, v4, v11
	s_delay_alu instid0(VALU_DEP_1) | instskip(SKIP_1) | instid1(VALU_DEP_1)
	v_fma_f32 v160, v1, v9, -v2
	v_mul_f32_e32 v1, v4, v12
	v_fma_f32 v162, v3, v11, -v1
	s_clause 0x1
	scratch_load_b128 v[1:4], off, off offset:288
	scratch_load_b128 v[9:12], off, off offset:304
	s_wait_loadcnt_dscnt 0x100
	v_mul_f32_e32 v163, v5, v2
	v_dual_mul_f32 v2, v6, v2 :: v_dual_mul_f32 v165, v7, v4
	s_delay_alu instid0(VALU_DEP_2) | instskip(NEXT) | instid1(VALU_DEP_2)
	v_fmac_f32_e32 v163, v6, v1
	v_fma_f32 v164, v5, v1, -v2
	v_mul_f32_e32 v1, v8, v4
	s_delay_alu instid0(VALU_DEP_4) | instskip(NEXT) | instid1(VALU_DEP_2)
	v_fmac_f32_e32 v165, v8, v3
	v_fma_f32 v166, v7, v3, -v1
	ds_load_b128 v[1:4], v21 offset:720
	ds_load_b128 v[5:8], v21 offset:736
	s_wait_loadcnt_dscnt 0x1
	v_mul_f32_e32 v167, v1, v10
	v_mul_f32_e32 v169, v3, v12
	s_delay_alu instid0(VALU_DEP_2) | instskip(NEXT) | instid1(VALU_DEP_2)
	v_fmac_f32_e32 v167, v2, v9
	v_dual_mul_f32 v2, v2, v10 :: v_dual_fmac_f32 v169, v4, v11
	s_delay_alu instid0(VALU_DEP_1) | instskip(SKIP_1) | instid1(VALU_DEP_1)
	v_fma_f32 v168, v1, v9, -v2
	v_mul_f32_e32 v1, v4, v12
	v_fma_f32 v170, v3, v11, -v1
	s_clause 0x1
	scratch_load_b128 v[1:4], off, off offset:320
	scratch_load_b128 v[9:12], off, off offset:336
	s_wait_loadcnt_dscnt 0x100
	v_mul_f32_e32 v171, v5, v2
	v_mul_f32_e32 v2, v6, v2
	s_delay_alu instid0(VALU_DEP_1) | instskip(SKIP_1) | instid1(VALU_DEP_1)
	v_fma_f32 v172, v5, v1, -v2
	v_add_f32_e32 v2, 0, v140
	v_add_f32_e32 v2, v2, v141
	s_delay_alu instid0(VALU_DEP_1) | instskip(NEXT) | instid1(VALU_DEP_1)
	v_add_f32_e32 v2, v2, v127
	v_add_f32_e32 v2, v2, v128
	s_delay_alu instid0(VALU_DEP_1) | instskip(NEXT) | instid1(VALU_DEP_1)
	;; [unrolled: 3-line block ×4, first 2 shown]
	v_dual_add_f32 v2, v2, v15 :: v_dual_mul_f32 v173, v7, v4
	v_add_f32_e32 v2, v2, v18
	s_delay_alu instid0(VALU_DEP_1) | instskip(NEXT) | instid1(VALU_DEP_3)
	v_add_f32_e32 v2, v2, v19
	v_fmac_f32_e32 v173, v8, v3
	v_fmac_f32_e32 v171, v6, v1
	s_delay_alu instid0(VALU_DEP_3) | instskip(NEXT) | instid1(VALU_DEP_1)
	v_add_f32_e32 v2, v2, v20
	v_add_f32_e32 v5, v2, v143
	s_delay_alu instid0(VALU_DEP_1) | instskip(NEXT) | instid1(VALU_DEP_1)
	v_add_f32_e32 v5, v5, v144
	v_add_f32_e32 v5, v5, v147
	v_mul_f32_e32 v1, v8, v4
	s_delay_alu instid0(VALU_DEP_1) | instskip(SKIP_1) | instid1(VALU_DEP_1)
	v_fma_f32 v174, v7, v3, -v1
	v_add_f32_e32 v1, 0, v22
	v_add_f32_e32 v1, v1, v126
	s_delay_alu instid0(VALU_DEP_1) | instskip(NEXT) | instid1(VALU_DEP_1)
	v_add_f32_e32 v1, v1, v130
	v_add_f32_e32 v1, v1, v131
	scratch_load_b64 v[130:131], off, off offset:400
	v_add_f32_e32 v1, v1, v132
	s_delay_alu instid0(VALU_DEP_1) | instskip(NEXT) | instid1(VALU_DEP_1)
	v_add_f32_e32 v1, v1, v133
	v_add_f32_e32 v1, v1, v13
	s_delay_alu instid0(VALU_DEP_1) | instskip(SKIP_1) | instid1(VALU_DEP_1)
	v_add_f32_e32 v1, v1, v14
	v_add_f32_e32 v14, v5, v149
	;; [unrolled: 1-line block ×3, first 2 shown]
	s_delay_alu instid0(VALU_DEP_1) | instskip(NEXT) | instid1(VALU_DEP_1)
	v_dual_add_f32 v14, v14, v153 :: v_dual_add_f32 v1, v1, v16
	v_add_f32_e32 v1, v1, v17
	s_delay_alu instid0(VALU_DEP_2) | instskip(NEXT) | instid1(VALU_DEP_2)
	v_add_f32_e32 v17, v14, v155
	v_add_f32_e32 v1, v1, v136
	s_delay_alu instid0(VALU_DEP_1) | instskip(NEXT) | instid1(VALU_DEP_1)
	v_add_f32_e32 v1, v1, v137
	v_add_f32_e32 v1, v1, v145
	s_delay_alu instid0(VALU_DEP_1) | instskip(SKIP_2) | instid1(VALU_DEP_1)
	v_add_f32_e32 v6, v1, v146
	ds_load_b128 v[1:4], v21 offset:752
	v_add_f32_e32 v6, v6, v148
	v_add_f32_e32 v13, v6, v150
	ds_load_b128 v[5:8], v21 offset:768
	s_wait_loadcnt_dscnt 0x101
	v_mul_f32_e32 v22, v1, v10
	v_mul_f32_e32 v10, v2, v10
	;; [unrolled: 1-line block ×4, first 2 shown]
	s_delay_alu instid0(VALU_DEP_4) | instskip(NEXT) | instid1(VALU_DEP_4)
	v_fmac_f32_e32 v22, v2, v9
	v_fma_f32 v135, v1, v9, -v10
	s_delay_alu instid0(VALU_DEP_4) | instskip(NEXT) | instid1(VALU_DEP_4)
	v_fmac_f32_e32 v134, v4, v11
	v_fma_f32 v136, v3, v11, -v12
	s_clause 0x1
	scratch_load_b128 v[1:4], off, off offset:352
	scratch_load_b128 v[9:12], off, off offset:368
	v_add_f32_e32 v17, v17, v157
	s_delay_alu instid0(VALU_DEP_1) | instskip(SKIP_1) | instid1(VALU_DEP_1)
	v_add_f32_e32 v17, v17, v159
	s_wait_loadcnt_dscnt 0x100
	v_dual_add_f32 v17, v17, v161 :: v_dual_mul_f32 v142, v7, v4
	v_mul_f32_e32 v141, v5, v2
	v_mul_f32_e32 v2, v6, v2
	;; [unrolled: 1-line block ×3, first 2 shown]
	s_delay_alu instid0(VALU_DEP_3) | instskip(NEXT) | instid1(VALU_DEP_3)
	v_dual_fmac_f32 v142, v8, v3 :: v_dual_fmac_f32 v141, v6, v1
	v_fma_f32 v2, v5, v1, -v2
	v_add_f32_e32 v17, v17, v163
	s_delay_alu instid0(VALU_DEP_4) | instskip(NEXT) | instid1(VALU_DEP_2)
	v_fma_f32 v1, v7, v3, -v4
	v_add_f32_e32 v126, v17, v165
	s_delay_alu instid0(VALU_DEP_1) | instskip(SKIP_2) | instid1(VALU_DEP_1)
	v_add_f32_e32 v133, v126, v167
	ds_load_b128 v[126:129], v21 offset:800
	v_add_f32_e32 v140, v133, v169
	v_add_f32_e32 v140, v140, v171
	s_delay_alu instid0(VALU_DEP_1) | instskip(NEXT) | instid1(VALU_DEP_1)
	v_dual_add_f32 v140, v140, v173 :: v_dual_add_f32 v13, v13, v152
	v_add_f32_e32 v22, v140, v22
	s_delay_alu instid0(VALU_DEP_2) | instskip(NEXT) | instid1(VALU_DEP_1)
	v_add_f32_e32 v13, v13, v154
	v_dual_add_f32 v22, v22, v134 :: v_dual_add_f32 v13, v13, v156
	s_delay_alu instid0(VALU_DEP_1) | instskip(SKIP_2) | instid1(VALU_DEP_1)
	v_add_f32_e32 v18, v13, v158
	scratch_load_b128 v[13:16], off, off offset:384
	v_add_f32_e32 v18, v18, v160
	v_add_f32_e32 v18, v18, v162
	s_delay_alu instid0(VALU_DEP_1) | instskip(NEXT) | instid1(VALU_DEP_1)
	v_add_f32_e32 v18, v18, v164
	v_add_f32_e32 v18, v18, v166
	s_delay_alu instid0(VALU_DEP_1)
	v_add_f32_e32 v132, v18, v168
	ds_load_b128 v[17:20], v21 offset:784
	v_add_f32_e32 v137, v132, v170
	ds_load_b64 v[132:133], v21 offset:816
	s_wait_loadcnt_dscnt 0x101
	v_dual_mul_f32 v140, v19, v12 :: v_dual_mul_f32 v3, v18, v10
	s_wait_dscnt 0x0
	v_mul_f32_e32 v134, v132, v131
	s_delay_alu instid0(VALU_DEP_2) | instskip(NEXT) | instid1(VALU_DEP_3)
	v_fma_f32 v3, v17, v9, -v3
	v_fmac_f32_e32 v140, v20, v11
	s_delay_alu instid0(VALU_DEP_3) | instskip(SKIP_1) | instid1(VALU_DEP_1)
	v_fmac_f32_e32 v134, v133, v130
	v_dual_add_f32 v4, v22, v141 :: v_dual_add_f32 v137, v137, v172
	v_add_f32_e32 v137, v137, v174
	s_delay_alu instid0(VALU_DEP_1) | instskip(SKIP_1) | instid1(VALU_DEP_2)
	v_add_f32_e32 v135, v137, v135
	v_mul_f32_e32 v137, v17, v10
	v_add_f32_e32 v135, v135, v136
	s_delay_alu instid0(VALU_DEP_1) | instskip(NEXT) | instid1(VALU_DEP_1)
	v_dual_fmac_f32 v137, v18, v9 :: v_dual_add_f32 v2, v135, v2
	v_dual_add_f32 v1, v2, v1 :: v_dual_add_f32 v2, v4, v142
	s_delay_alu instid0(VALU_DEP_1) | instskip(NEXT) | instid1(VALU_DEP_1)
	v_add_f32_e32 v2, v2, v137
	v_add_f32_e32 v2, v2, v140
	s_wait_loadcnt 0x0
	v_dual_mul_f32 v136, v128, v16 :: v_dual_mul_f32 v143, v126, v14
	v_mul_f32_e32 v4, v127, v14
	s_delay_alu instid0(VALU_DEP_2) | instskip(NEXT) | instid1(VALU_DEP_2)
	v_dual_fmac_f32 v136, v129, v15 :: v_dual_fmac_f32 v143, v127, v13
	v_fma_f32 v4, v126, v13, -v4
	s_delay_alu instid0(VALU_DEP_2) | instskip(SKIP_2) | instid1(VALU_DEP_3)
	v_add_f32_e32 v2, v2, v143
	v_add_f32_e32 v1, v1, v3
	v_mul_f32_e32 v3, v129, v16
	v_add_f32_e32 v2, v2, v136
	v_mul_f32_e32 v5, v20, v12
	s_delay_alu instid0(VALU_DEP_3) | instskip(NEXT) | instid1(VALU_DEP_3)
	v_fma_f32 v3, v128, v15, -v3
	v_add_f32_e32 v2, v2, v134
	s_delay_alu instid0(VALU_DEP_3) | instskip(NEXT) | instid1(VALU_DEP_1)
	v_fma_f32 v5, v19, v11, -v5
	v_dual_sub_f32 v2, v139, v2 :: v_dual_add_f32 v1, v1, v5
	v_mul_f32_e32 v5, v133, v131
	s_delay_alu instid0(VALU_DEP_2) | instskip(NEXT) | instid1(VALU_DEP_2)
	v_add_f32_e32 v1, v1, v4
	v_fma_f32 v4, v132, v130, -v5
	s_delay_alu instid0(VALU_DEP_2) | instskip(NEXT) | instid1(VALU_DEP_1)
	v_add_f32_e32 v1, v1, v3
	v_add_f32_e32 v1, v1, v4
	s_delay_alu instid0(VALU_DEP_1)
	v_sub_f32_e32 v1, v138, v1
	scratch_store_b64 off, v[1:2], off offset:104
	v_cmpx_lt_u32_e32 12, v0
	s_cbranch_execz .LBB50_295
; %bb.294:
	scratch_load_b64 v[1:2], off, off offset:96
	v_mov_b32_e32 v22, v21
	scratch_store_b64 off, v[21:22], off offset:96
	s_wait_loadcnt 0x0
	ds_store_b64 v23, v[1:2]
.LBB50_295:
	s_wait_alu 0xfffe
	s_or_b32 exec_lo, exec_lo, s0
	s_wait_storecnt_dscnt 0x0
	s_barrier_signal -1
	s_barrier_wait -1
	global_inv scope:SCOPE_SE
	s_clause 0x4
	scratch_load_b128 v[5:8], off, off offset:104
	scratch_load_b128 v[1:4], off, off offset:120
	;; [unrolled: 1-line block ×5, first 2 shown]
	ds_load_2addr_b64 v[126:129], v21 offset0:65 offset1:66
	ds_load_2addr_b64 v[130:133], v21 offset0:67 offset1:68
	;; [unrolled: 1-line block ×3, first 2 shown]
	scratch_load_b64 v[138:139], off, off offset:96
	s_mov_b32 s0, exec_lo
	s_wait_loadcnt_dscnt 0x502
	v_dual_mul_f32 v22, v127, v6 :: v_dual_mul_f32 v141, v128, v8
	v_mul_f32_e32 v140, v126, v6
	v_mul_f32_e32 v6, v129, v8
	s_wait_loadcnt_dscnt 0x300
	v_mul_f32_e32 v142, v136, v12
	v_fma_f32 v22, v126, v5, -v22
	v_dual_fmac_f32 v141, v129, v7 :: v_dual_fmac_f32 v140, v127, v5
	v_mul_f32_e32 v129, v134, v10
	v_mul_f32_e32 v127, v130, v2
	v_fma_f32 v126, v128, v7, -v6
	ds_load_2addr_b64 v[5:8], v21 offset0:71 offset1:72
	v_mul_f32_e32 v128, v132, v4
	v_dual_mul_f32 v4, v133, v4 :: v_dual_fmac_f32 v129, v135, v9
	v_mul_f32_e32 v10, v135, v10
	v_mul_f32_e32 v12, v137, v12
	;; [unrolled: 1-line block ×3, first 2 shown]
	v_dual_fmac_f32 v127, v131, v1 :: v_dual_fmac_f32 v128, v133, v3
	v_fma_f32 v131, v132, v3, -v4
	v_fma_f32 v132, v134, v9, -v10
	v_fmac_f32_e32 v142, v137, v11
	v_fma_f32 v133, v136, v11, -v12
	ds_load_2addr_b64 v[9:12], v21 offset0:73 offset1:74
	s_wait_loadcnt_dscnt 0x201
	v_dual_mul_f32 v135, v7, v16 :: v_dual_mul_f32 v134, v5, v14
	s_delay_alu instid0(VALU_DEP_1)
	v_dual_mul_f32 v14, v6, v14 :: v_dual_fmac_f32 v135, v8, v15
	v_fma_f32 v130, v130, v1, -v2
	scratch_load_b128 v[1:4], off, off offset:184
	v_mul_f32_e32 v16, v8, v16
	v_fmac_f32_e32 v134, v6, v13
	v_fma_f32 v13, v5, v13, -v14
	s_delay_alu instid0(VALU_DEP_3)
	v_fma_f32 v14, v7, v15, -v16
	s_wait_loadcnt_dscnt 0x200
	v_mul_f32_e32 v15, v9, v18
	v_mul_f32_e32 v16, v10, v18
	;; [unrolled: 1-line block ×4, first 2 shown]
	ds_load_2addr_b64 v[5:8], v21 offset0:75 offset1:76
	v_fmac_f32_e32 v15, v10, v17
	v_fma_f32 v16, v9, v17, -v16
	v_fmac_f32_e32 v18, v12, v19
	v_fma_f32 v17, v11, v19, -v20
	scratch_load_b128 v[9:12], off, off offset:200
	s_wait_loadcnt_dscnt 0x100
	v_mul_f32_e32 v19, v5, v2
	v_mul_f32_e32 v2, v6, v2
	;; [unrolled: 1-line block ×3, first 2 shown]
	s_delay_alu instid0(VALU_DEP_3) | instskip(NEXT) | instid1(VALU_DEP_3)
	v_dual_mul_f32 v4, v8, v4 :: v_dual_fmac_f32 v19, v6, v1
	v_fma_f32 v136, v5, v1, -v2
	s_delay_alu instid0(VALU_DEP_3) | instskip(NEXT) | instid1(VALU_DEP_3)
	v_fmac_f32_e32 v20, v8, v3
	v_fma_f32 v137, v7, v3, -v4
	ds_load_2addr_b64 v[1:4], v21 offset0:77 offset1:78
	ds_load_2addr_b64 v[5:8], v21 offset0:79 offset1:80
	s_wait_loadcnt_dscnt 0x1
	v_mul_f32_e32 v143, v1, v10
	v_mul_f32_e32 v10, v2, v10
	s_delay_alu instid0(VALU_DEP_2) | instskip(NEXT) | instid1(VALU_DEP_2)
	v_dual_mul_f32 v144, v3, v12 :: v_dual_fmac_f32 v143, v2, v9
	v_fma_f32 v145, v1, v9, -v10
	v_mul_f32_e32 v1, v4, v12
	s_delay_alu instid0(VALU_DEP_3) | instskip(NEXT) | instid1(VALU_DEP_2)
	v_fmac_f32_e32 v144, v4, v11
	v_fma_f32 v146, v3, v11, -v1
	s_clause 0x1
	scratch_load_b128 v[1:4], off, off offset:216
	scratch_load_b128 v[9:12], off, off offset:232
	s_wait_loadcnt_dscnt 0x100
	v_mul_f32_e32 v147, v5, v2
	v_dual_mul_f32 v2, v6, v2 :: v_dual_mul_f32 v149, v7, v4
	s_delay_alu instid0(VALU_DEP_2) | instskip(NEXT) | instid1(VALU_DEP_2)
	v_fmac_f32_e32 v147, v6, v1
	v_fma_f32 v148, v5, v1, -v2
	v_mul_f32_e32 v1, v8, v4
	s_delay_alu instid0(VALU_DEP_4) | instskip(NEXT) | instid1(VALU_DEP_2)
	v_fmac_f32_e32 v149, v8, v3
	v_fma_f32 v150, v7, v3, -v1
	ds_load_2addr_b64 v[1:4], v21 offset0:81 offset1:82
	ds_load_2addr_b64 v[5:8], v21 offset0:83 offset1:84
	s_wait_loadcnt_dscnt 0x1
	v_mul_f32_e32 v151, v1, v10
	v_mul_f32_e32 v153, v3, v12
	s_delay_alu instid0(VALU_DEP_2) | instskip(NEXT) | instid1(VALU_DEP_2)
	v_fmac_f32_e32 v151, v2, v9
	v_dual_mul_f32 v2, v2, v10 :: v_dual_fmac_f32 v153, v4, v11
	s_delay_alu instid0(VALU_DEP_1) | instskip(SKIP_1) | instid1(VALU_DEP_1)
	v_fma_f32 v152, v1, v9, -v2
	v_mul_f32_e32 v1, v4, v12
	v_fma_f32 v154, v3, v11, -v1
	s_clause 0x1
	scratch_load_b128 v[1:4], off, off offset:248
	scratch_load_b128 v[9:12], off, off offset:264
	s_wait_loadcnt_dscnt 0x100
	v_mul_f32_e32 v155, v5, v2
	v_dual_mul_f32 v2, v6, v2 :: v_dual_mul_f32 v157, v7, v4
	s_delay_alu instid0(VALU_DEP_2) | instskip(NEXT) | instid1(VALU_DEP_2)
	v_fmac_f32_e32 v155, v6, v1
	v_fma_f32 v156, v5, v1, -v2
	v_mul_f32_e32 v1, v8, v4
	s_delay_alu instid0(VALU_DEP_4) | instskip(NEXT) | instid1(VALU_DEP_2)
	v_fmac_f32_e32 v157, v8, v3
	v_fma_f32 v158, v7, v3, -v1
	ds_load_2addr_b64 v[1:4], v21 offset0:85 offset1:86
	ds_load_2addr_b64 v[5:8], v21 offset0:87 offset1:88
	s_wait_loadcnt_dscnt 0x1
	v_mul_f32_e32 v159, v1, v10
	v_mul_f32_e32 v161, v3, v12
	s_delay_alu instid0(VALU_DEP_2) | instskip(NEXT) | instid1(VALU_DEP_2)
	v_fmac_f32_e32 v159, v2, v9
	v_dual_mul_f32 v2, v2, v10 :: v_dual_fmac_f32 v161, v4, v11
	s_delay_alu instid0(VALU_DEP_1) | instskip(SKIP_1) | instid1(VALU_DEP_1)
	v_fma_f32 v160, v1, v9, -v2
	v_mul_f32_e32 v1, v4, v12
	;; [unrolled: 25-line block ×3, first 2 shown]
	v_fma_f32 v170, v3, v11, -v1
	s_clause 0x1
	scratch_load_b128 v[1:4], off, off offset:312
	scratch_load_b128 v[9:12], off, off offset:328
	s_wait_loadcnt_dscnt 0x100
	v_mul_f32_e32 v171, v5, v2
	v_mul_f32_e32 v2, v6, v2
	s_delay_alu instid0(VALU_DEP_1) | instskip(SKIP_1) | instid1(VALU_DEP_1)
	v_fma_f32 v172, v5, v1, -v2
	v_add_f32_e32 v2, 0, v140
	v_add_f32_e32 v2, v2, v141
	s_delay_alu instid0(VALU_DEP_1) | instskip(NEXT) | instid1(VALU_DEP_1)
	v_add_f32_e32 v2, v2, v127
	v_add_f32_e32 v2, v2, v128
	s_delay_alu instid0(VALU_DEP_1) | instskip(NEXT) | instid1(VALU_DEP_1)
	;; [unrolled: 3-line block ×3, first 2 shown]
	v_add_f32_e32 v2, v2, v134
	v_add_f32_e32 v2, v2, v135
	s_delay_alu instid0(VALU_DEP_1) | instskip(SKIP_1) | instid1(VALU_DEP_2)
	v_dual_add_f32 v2, v2, v15 :: v_dual_mul_f32 v173, v7, v4
	v_fmac_f32_e32 v171, v6, v1
	v_dual_add_f32 v2, v2, v18 :: v_dual_mul_f32 v1, v8, v4
	s_delay_alu instid0(VALU_DEP_1) | instskip(NEXT) | instid1(VALU_DEP_4)
	v_add_f32_e32 v2, v2, v19
	v_fmac_f32_e32 v173, v8, v3
	s_delay_alu instid0(VALU_DEP_3) | instskip(NEXT) | instid1(VALU_DEP_3)
	v_fma_f32 v174, v7, v3, -v1
	v_dual_add_f32 v2, v2, v20 :: v_dual_add_f32 v1, 0, v22
	s_delay_alu instid0(VALU_DEP_1) | instskip(NEXT) | instid1(VALU_DEP_1)
	v_dual_add_f32 v2, v2, v143 :: v_dual_add_f32 v1, v1, v126
	v_add_f32_e32 v5, v2, v144
	s_delay_alu instid0(VALU_DEP_2) | instskip(NEXT) | instid1(VALU_DEP_1)
	v_add_f32_e32 v1, v1, v130
	v_add_f32_e32 v1, v1, v131
	s_delay_alu instid0(VALU_DEP_1) | instskip(NEXT) | instid1(VALU_DEP_1)
	v_add_f32_e32 v1, v1, v132
	v_add_f32_e32 v1, v1, v133
	s_delay_alu instid0(VALU_DEP_1) | instskip(SKIP_1) | instid1(VALU_DEP_2)
	v_add_f32_e32 v1, v1, v13
	v_add_f32_e32 v13, v5, v147
	;; [unrolled: 1-line block ×3, first 2 shown]
	s_delay_alu instid0(VALU_DEP_2) | instskip(NEXT) | instid1(VALU_DEP_1)
	v_add_f32_e32 v13, v13, v149
	v_add_f32_e32 v13, v13, v151
	s_delay_alu instid0(VALU_DEP_1) | instskip(NEXT) | instid1(VALU_DEP_1)
	v_add_f32_e32 v18, v13, v153
	v_dual_add_f32 v18, v18, v155 :: v_dual_add_f32 v1, v1, v16
	s_delay_alu instid0(VALU_DEP_1) | instskip(NEXT) | instid1(VALU_DEP_2)
	v_add_f32_e32 v18, v18, v157
	v_add_f32_e32 v1, v1, v17
	s_delay_alu instid0(VALU_DEP_1) | instskip(NEXT) | instid1(VALU_DEP_1)
	v_add_f32_e32 v1, v1, v136
	v_add_f32_e32 v1, v1, v137
	s_delay_alu instid0(VALU_DEP_1) | instskip(NEXT) | instid1(VALU_DEP_1)
	v_add_f32_e32 v1, v1, v145
	v_add_f32_e32 v1, v1, v146
	s_delay_alu instid0(VALU_DEP_1)
	v_add_f32_e32 v6, v1, v148
	ds_load_2addr_b64 v[1:4], v21 offset0:93 offset1:94
	v_add_f32_e32 v126, v18, v159
	v_add_f32_e32 v14, v6, v150
	scratch_load_b128 v[5:8], off, off offset:344
	v_add_f32_e32 v126, v126, v161
	v_add_f32_e32 v14, v14, v152
	s_delay_alu instid0(VALU_DEP_1)
	v_add_f32_e32 v17, v14, v154
	ds_load_2addr_b64 v[13:16], v21 offset0:95 offset1:96
	s_wait_loadcnt_dscnt 0x101
	v_mul_f32_e32 v22, v1, v10
	v_mul_f32_e32 v10, v2, v10
	;; [unrolled: 1-line block ×4, first 2 shown]
	v_add_f32_e32 v126, v126, v163
	v_fmac_f32_e32 v22, v2, v9
	v_fma_f32 v131, v1, v9, -v10
	v_fmac_f32_e32 v130, v4, v11
	v_fma_f32 v132, v3, v11, -v12
	s_clause 0x1
	scratch_load_b128 v[9:12], off, off offset:376
	scratch_load_b128 v[1:4], off, off offset:360
	v_add_f32_e32 v17, v17, v156
	s_wait_loadcnt_dscnt 0x200
	v_mul_f32_e32 v133, v13, v6
	v_mul_f32_e32 v6, v14, v6
	v_mul_f32_e32 v134, v15, v8
	s_delay_alu instid0(VALU_DEP_3) | instskip(SKIP_1) | instid1(VALU_DEP_4)
	v_dual_mul_f32 v8, v16, v8 :: v_dual_fmac_f32 v133, v14, v5
	v_add_f32_e32 v17, v17, v158
	v_fma_f32 v135, v13, v5, -v6
	s_delay_alu instid0(VALU_DEP_4) | instskip(NEXT) | instid1(VALU_DEP_4)
	v_fmac_f32_e32 v134, v16, v7
	v_fma_f32 v136, v15, v7, -v8
	ds_load_2addr_b64 v[5:8], v21 offset0:97 offset1:98
	v_add_f32_e32 v17, v17, v160
	s_delay_alu instid0(VALU_DEP_1) | instskip(SKIP_3) | instid1(VALU_DEP_1)
	v_add_f32_e32 v127, v17, v162
	scratch_load_b128 v[17:20], off, off offset:392
	v_add_f32_e32 v13, v126, v165
	v_add_f32_e32 v127, v127, v164
	;; [unrolled: 1-line block ×3, first 2 shown]
	s_delay_alu instid0(VALU_DEP_1)
	v_dual_add_f32 v126, v127, v168 :: v_dual_add_f32 v127, v13, v167
	ds_load_2addr_b64 v[13:16], v21 offset0:99 offset1:100
	v_dual_add_f32 v137, v126, v170 :: v_dual_add_f32 v140, v127, v169
	ds_load_2addr_b64 v[126:129], v21 offset0:101 offset1:102
	v_add_f32_e32 v21, v137, v172
	s_wait_loadcnt_dscnt 0x201
	v_mul_f32_e32 v141, v15, v12
	s_delay_alu instid0(VALU_DEP_1) | instskip(SKIP_2) | instid1(VALU_DEP_1)
	v_fmac_f32_e32 v141, v16, v11
	s_wait_loadcnt 0x1
	v_dual_add_f32 v137, v140, v171 :: v_dual_mul_f32 v140, v5, v2
	v_dual_mul_f32 v2, v6, v2 :: v_dual_add_f32 v137, v137, v173
	s_delay_alu instid0(VALU_DEP_2) | instskip(SKIP_2) | instid1(VALU_DEP_4)
	v_fmac_f32_e32 v140, v6, v1
	v_mul_f32_e32 v6, v14, v10
	v_add_f32_e32 v21, v21, v174
	v_fma_f32 v2, v5, v1, -v2
	v_add_f32_e32 v22, v137, v22
	v_mul_f32_e32 v137, v13, v10
	s_delay_alu instid0(VALU_DEP_2) | instskip(NEXT) | instid1(VALU_DEP_2)
	v_add_f32_e32 v22, v22, v130
	v_fmac_f32_e32 v137, v14, v9
	s_delay_alu instid0(VALU_DEP_2) | instskip(NEXT) | instid1(VALU_DEP_1)
	v_dual_add_f32 v21, v21, v131 :: v_dual_add_f32 v22, v22, v133
	v_add_f32_e32 v21, v21, v132
	s_delay_alu instid0(VALU_DEP_2) | instskip(NEXT) | instid1(VALU_DEP_2)
	v_add_f32_e32 v5, v22, v134
	v_add_f32_e32 v21, v21, v135
	s_delay_alu instid0(VALU_DEP_1) | instskip(NEXT) | instid1(VALU_DEP_1)
	v_add_f32_e32 v1, v21, v136
	v_add_f32_e32 v1, v1, v2
	s_delay_alu instid0(VALU_DEP_4)
	v_add_f32_e32 v2, v5, v140
	v_fma_f32 v5, v13, v9, -v6
	s_wait_loadcnt_dscnt 0x0
	v_mul_f32_e32 v132, v128, v20
	v_mul_f32_e32 v131, v7, v4
	;; [unrolled: 1-line block ×4, first 2 shown]
	s_delay_alu instid0(VALU_DEP_4) | instskip(NEXT) | instid1(VALU_DEP_4)
	v_fmac_f32_e32 v132, v129, v19
	v_fmac_f32_e32 v131, v8, v3
	s_delay_alu instid0(VALU_DEP_4) | instskip(SKIP_2) | instid1(VALU_DEP_4)
	v_fma_f32 v3, v7, v3, -v4
	v_mul_f32_e32 v4, v16, v12
	v_fmac_f32_e32 v130, v127, v17
	v_add_f32_e32 v2, v2, v131
	s_delay_alu instid0(VALU_DEP_4) | instskip(SKIP_2) | instid1(VALU_DEP_4)
	v_add_f32_e32 v1, v1, v3
	v_mul_f32_e32 v3, v127, v18
	v_fma_f32 v4, v15, v11, -v4
	v_add_f32_e32 v2, v2, v137
	s_delay_alu instid0(VALU_DEP_4) | instskip(SKIP_2) | instid1(VALU_DEP_3)
	v_add_f32_e32 v1, v1, v5
	v_mul_f32_e32 v5, v129, v20
	v_fma_f32 v3, v126, v17, -v3
	v_dual_add_f32 v2, v2, v141 :: v_dual_add_f32 v1, v1, v4
	s_delay_alu instid0(VALU_DEP_3) | instskip(NEXT) | instid1(VALU_DEP_2)
	v_fma_f32 v4, v128, v19, -v5
	v_dual_add_f32 v2, v2, v130 :: v_dual_add_f32 v1, v1, v3
	s_delay_alu instid0(VALU_DEP_1) | instskip(NEXT) | instid1(VALU_DEP_1)
	v_add_f32_e32 v2, v2, v132
	v_dual_add_f32 v1, v1, v4 :: v_dual_sub_f32 v2, v139, v2
	s_delay_alu instid0(VALU_DEP_1)
	v_sub_f32_e32 v1, v138, v1
	scratch_store_b64 off, v[1:2], off offset:96
	v_cmpx_lt_u32_e32 11, v0
	s_cbranch_execz .LBB50_297
; %bb.296:
	scratch_load_b64 v[1:2], off, off offset:88
	v_mov_b32_e32 v3, 0
	s_delay_alu instid0(VALU_DEP_1)
	v_mov_b32_e32 v4, v3
	scratch_store_b64 off, v[3:4], off offset:88
	s_wait_loadcnt 0x0
	ds_store_b64 v23, v[1:2]
.LBB50_297:
	s_wait_alu 0xfffe
	s_or_b32 exec_lo, exec_lo, s0
	s_wait_storecnt_dscnt 0x0
	s_barrier_signal -1
	s_barrier_wait -1
	global_inv scope:SCOPE_SE
	s_clause 0x4
	scratch_load_b128 v[5:8], off, off offset:96
	scratch_load_b128 v[1:4], off, off offset:112
	;; [unrolled: 1-line block ×5, first 2 shown]
	v_mov_b32_e32 v21, 0
	ds_load_b128 v[126:129], v21 offset:512
	ds_load_b128 v[130:133], v21 offset:528
	;; [unrolled: 1-line block ×3, first 2 shown]
	scratch_load_b64 v[138:139], off, off offset:88
	s_mov_b32 s0, exec_lo
	s_wait_loadcnt_dscnt 0x502
	v_mul_f32_e32 v22, v127, v6
	v_dual_mul_f32 v140, v126, v6 :: v_dual_mul_f32 v141, v128, v8
	v_mul_f32_e32 v6, v129, v8
	s_delay_alu instid0(VALU_DEP_3) | instskip(NEXT) | instid1(VALU_DEP_3)
	v_fma_f32 v22, v126, v5, -v22
	v_dual_fmac_f32 v140, v127, v5 :: v_dual_fmac_f32 v141, v129, v7
	s_wait_loadcnt_dscnt 0x401
	v_mul_f32_e32 v127, v130, v2
	v_fma_f32 v126, v128, v7, -v6
	ds_load_b128 v[5:8], v21 offset:560
	s_wait_loadcnt_dscnt 0x301
	v_dual_mul_f32 v128, v132, v4 :: v_dual_mul_f32 v129, v134, v10
	v_dual_mul_f32 v4, v133, v4 :: v_dual_fmac_f32 v127, v131, v1
	v_mul_f32_e32 v10, v135, v10
	s_delay_alu instid0(VALU_DEP_3)
	v_dual_mul_f32 v142, v136, v12 :: v_dual_fmac_f32 v129, v135, v9
	v_mul_f32_e32 v12, v137, v12
	v_mul_f32_e32 v2, v131, v2
	v_fmac_f32_e32 v128, v133, v3
	v_fma_f32 v131, v132, v3, -v4
	v_fma_f32 v132, v134, v9, -v10
	v_fmac_f32_e32 v142, v137, v11
	v_fma_f32 v133, v136, v11, -v12
	ds_load_b128 v[9:12], v21 offset:576
	s_wait_loadcnt_dscnt 0x201
	v_dual_mul_f32 v135, v7, v16 :: v_dual_mul_f32 v134, v5, v14
	v_mul_f32_e32 v14, v6, v14
	v_mul_f32_e32 v16, v8, v16
	s_delay_alu instid0(VALU_DEP_3)
	v_fmac_f32_e32 v135, v8, v15
	v_fma_f32 v130, v130, v1, -v2
	scratch_load_b128 v[1:4], off, off offset:176
	v_fmac_f32_e32 v134, v6, v13
	v_fma_f32 v13, v5, v13, -v14
	v_fma_f32 v14, v7, v15, -v16
	ds_load_b128 v[5:8], v21 offset:592
	s_wait_loadcnt_dscnt 0x201
	v_mul_f32_e32 v15, v9, v18
	v_mul_f32_e32 v16, v10, v18
	;; [unrolled: 1-line block ×3, first 2 shown]
	s_delay_alu instid0(VALU_DEP_3) | instskip(NEXT) | instid1(VALU_DEP_3)
	v_dual_mul_f32 v20, v12, v20 :: v_dual_fmac_f32 v15, v10, v17
	v_fma_f32 v16, v9, v17, -v16
	s_delay_alu instid0(VALU_DEP_3) | instskip(NEXT) | instid1(VALU_DEP_3)
	v_fmac_f32_e32 v18, v12, v19
	v_fma_f32 v17, v11, v19, -v20
	scratch_load_b128 v[9:12], off, off offset:192
	s_wait_loadcnt_dscnt 0x100
	v_mul_f32_e32 v19, v5, v2
	v_mul_f32_e32 v2, v6, v2
	;; [unrolled: 1-line block ×3, first 2 shown]
	s_delay_alu instid0(VALU_DEP_3) | instskip(NEXT) | instid1(VALU_DEP_3)
	v_dual_mul_f32 v4, v8, v4 :: v_dual_fmac_f32 v19, v6, v1
	v_fma_f32 v136, v5, v1, -v2
	s_delay_alu instid0(VALU_DEP_3) | instskip(NEXT) | instid1(VALU_DEP_3)
	v_fmac_f32_e32 v20, v8, v3
	v_fma_f32 v137, v7, v3, -v4
	ds_load_b128 v[1:4], v21 offset:608
	ds_load_b128 v[5:8], v21 offset:624
	s_wait_loadcnt_dscnt 0x1
	v_mul_f32_e32 v143, v1, v10
	v_mul_f32_e32 v10, v2, v10
	s_delay_alu instid0(VALU_DEP_2) | instskip(NEXT) | instid1(VALU_DEP_2)
	v_dual_mul_f32 v144, v3, v12 :: v_dual_fmac_f32 v143, v2, v9
	v_fma_f32 v145, v1, v9, -v10
	v_mul_f32_e32 v1, v4, v12
	s_delay_alu instid0(VALU_DEP_3) | instskip(NEXT) | instid1(VALU_DEP_2)
	v_fmac_f32_e32 v144, v4, v11
	v_fma_f32 v146, v3, v11, -v1
	s_clause 0x1
	scratch_load_b128 v[1:4], off, off offset:208
	scratch_load_b128 v[9:12], off, off offset:224
	s_wait_loadcnt_dscnt 0x100
	v_mul_f32_e32 v147, v5, v2
	v_dual_mul_f32 v2, v6, v2 :: v_dual_mul_f32 v149, v7, v4
	s_delay_alu instid0(VALU_DEP_2) | instskip(NEXT) | instid1(VALU_DEP_2)
	v_fmac_f32_e32 v147, v6, v1
	v_fma_f32 v148, v5, v1, -v2
	v_mul_f32_e32 v1, v8, v4
	s_delay_alu instid0(VALU_DEP_4) | instskip(NEXT) | instid1(VALU_DEP_2)
	v_fmac_f32_e32 v149, v8, v3
	v_fma_f32 v150, v7, v3, -v1
	ds_load_b128 v[1:4], v21 offset:640
	ds_load_b128 v[5:8], v21 offset:656
	s_wait_loadcnt_dscnt 0x1
	v_mul_f32_e32 v151, v1, v10
	v_mul_f32_e32 v153, v3, v12
	s_delay_alu instid0(VALU_DEP_2) | instskip(NEXT) | instid1(VALU_DEP_2)
	v_fmac_f32_e32 v151, v2, v9
	v_dual_mul_f32 v2, v2, v10 :: v_dual_fmac_f32 v153, v4, v11
	s_delay_alu instid0(VALU_DEP_1) | instskip(SKIP_1) | instid1(VALU_DEP_1)
	v_fma_f32 v152, v1, v9, -v2
	v_mul_f32_e32 v1, v4, v12
	v_fma_f32 v154, v3, v11, -v1
	s_clause 0x1
	scratch_load_b128 v[1:4], off, off offset:240
	scratch_load_b128 v[9:12], off, off offset:256
	s_wait_loadcnt_dscnt 0x100
	v_mul_f32_e32 v155, v5, v2
	v_dual_mul_f32 v157, v7, v4 :: v_dual_mul_f32 v2, v6, v2
	s_delay_alu instid0(VALU_DEP_2) | instskip(NEXT) | instid1(VALU_DEP_2)
	v_fmac_f32_e32 v155, v6, v1
	v_fmac_f32_e32 v157, v8, v3
	s_delay_alu instid0(VALU_DEP_3) | instskip(SKIP_1) | instid1(VALU_DEP_1)
	v_fma_f32 v156, v5, v1, -v2
	v_mul_f32_e32 v1, v8, v4
	v_fma_f32 v158, v7, v3, -v1
	ds_load_b128 v[1:4], v21 offset:672
	ds_load_b128 v[5:8], v21 offset:688
	s_wait_loadcnt_dscnt 0x1
	v_mul_f32_e32 v159, v1, v10
	v_mul_f32_e32 v161, v3, v12
	s_delay_alu instid0(VALU_DEP_2) | instskip(NEXT) | instid1(VALU_DEP_2)
	v_fmac_f32_e32 v159, v2, v9
	v_dual_mul_f32 v2, v2, v10 :: v_dual_fmac_f32 v161, v4, v11
	s_delay_alu instid0(VALU_DEP_1) | instskip(SKIP_1) | instid1(VALU_DEP_1)
	v_fma_f32 v160, v1, v9, -v2
	v_mul_f32_e32 v1, v4, v12
	v_fma_f32 v162, v3, v11, -v1
	s_clause 0x1
	scratch_load_b128 v[1:4], off, off offset:272
	scratch_load_b128 v[9:12], off, off offset:288
	s_wait_loadcnt_dscnt 0x100
	v_mul_f32_e32 v163, v5, v2
	v_dual_mul_f32 v2, v6, v2 :: v_dual_mul_f32 v165, v7, v4
	s_delay_alu instid0(VALU_DEP_2) | instskip(NEXT) | instid1(VALU_DEP_2)
	v_fmac_f32_e32 v163, v6, v1
	v_fma_f32 v164, v5, v1, -v2
	v_mul_f32_e32 v1, v8, v4
	s_delay_alu instid0(VALU_DEP_4) | instskip(NEXT) | instid1(VALU_DEP_2)
	v_fmac_f32_e32 v165, v8, v3
	v_fma_f32 v166, v7, v3, -v1
	ds_load_b128 v[1:4], v21 offset:704
	ds_load_b128 v[5:8], v21 offset:720
	s_wait_loadcnt_dscnt 0x1
	v_mul_f32_e32 v167, v1, v10
	v_mul_f32_e32 v169, v3, v12
	s_delay_alu instid0(VALU_DEP_2) | instskip(NEXT) | instid1(VALU_DEP_2)
	v_fmac_f32_e32 v167, v2, v9
	v_dual_mul_f32 v2, v2, v10 :: v_dual_fmac_f32 v169, v4, v11
	s_delay_alu instid0(VALU_DEP_1) | instskip(SKIP_1) | instid1(VALU_DEP_1)
	v_fma_f32 v168, v1, v9, -v2
	v_mul_f32_e32 v1, v4, v12
	v_fma_f32 v170, v3, v11, -v1
	s_clause 0x1
	scratch_load_b128 v[1:4], off, off offset:304
	scratch_load_b128 v[9:12], off, off offset:320
	s_wait_loadcnt_dscnt 0x100
	v_mul_f32_e32 v171, v5, v2
	v_mul_f32_e32 v2, v6, v2
	s_delay_alu instid0(VALU_DEP_1) | instskip(SKIP_1) | instid1(VALU_DEP_1)
	v_fma_f32 v172, v5, v1, -v2
	v_add_f32_e32 v2, 0, v140
	v_add_f32_e32 v2, v2, v141
	s_delay_alu instid0(VALU_DEP_1) | instskip(NEXT) | instid1(VALU_DEP_1)
	v_add_f32_e32 v2, v2, v127
	v_add_f32_e32 v2, v2, v128
	s_delay_alu instid0(VALU_DEP_1) | instskip(NEXT) | instid1(VALU_DEP_1)
	;; [unrolled: 3-line block ×4, first 2 shown]
	v_dual_add_f32 v2, v2, v15 :: v_dual_mul_f32 v173, v7, v4
	v_add_f32_e32 v2, v2, v18
	s_delay_alu instid0(VALU_DEP_1) | instskip(SKIP_1) | instid1(VALU_DEP_2)
	v_add_f32_e32 v2, v2, v19
	v_fmac_f32_e32 v171, v6, v1
	v_dual_fmac_f32 v173, v8, v3 :: v_dual_add_f32 v2, v2, v20
	s_delay_alu instid0(VALU_DEP_1) | instskip(NEXT) | instid1(VALU_DEP_1)
	v_dual_mul_f32 v1, v8, v4 :: v_dual_add_f32 v2, v2, v143
	v_fma_f32 v174, v7, v3, -v1
	v_add_f32_e32 v1, 0, v22
	s_delay_alu instid0(VALU_DEP_3) | instskip(NEXT) | instid1(VALU_DEP_2)
	v_add_f32_e32 v5, v2, v144
	v_add_f32_e32 v1, v1, v126
	s_delay_alu instid0(VALU_DEP_1) | instskip(NEXT) | instid1(VALU_DEP_1)
	v_add_f32_e32 v1, v1, v130
	v_add_f32_e32 v1, v1, v131
	scratch_load_b64 v[130:131], off, off offset:400
	v_add_f32_e32 v1, v1, v132
	s_delay_alu instid0(VALU_DEP_1) | instskip(NEXT) | instid1(VALU_DEP_1)
	v_add_f32_e32 v1, v1, v133
	v_add_f32_e32 v1, v1, v13
	;; [unrolled: 1-line block ×3, first 2 shown]
	s_delay_alu instid0(VALU_DEP_1) | instskip(NEXT) | instid1(VALU_DEP_1)
	v_add_f32_e32 v13, v13, v149
	v_add_f32_e32 v13, v13, v151
	s_delay_alu instid0(VALU_DEP_1) | instskip(NEXT) | instid1(VALU_DEP_1)
	v_add_f32_e32 v18, v13, v153
	v_dual_add_f32 v18, v18, v155 :: v_dual_add_f32 v1, v1, v14
	s_delay_alu instid0(VALU_DEP_1) | instskip(NEXT) | instid1(VALU_DEP_1)
	v_dual_add_f32 v18, v18, v157 :: v_dual_add_f32 v1, v1, v16
	v_add_f32_e32 v1, v1, v17
	s_delay_alu instid0(VALU_DEP_1) | instskip(NEXT) | instid1(VALU_DEP_1)
	v_add_f32_e32 v1, v1, v136
	v_add_f32_e32 v1, v1, v137
	s_delay_alu instid0(VALU_DEP_1) | instskip(NEXT) | instid1(VALU_DEP_1)
	v_add_f32_e32 v1, v1, v145
	v_add_f32_e32 v1, v1, v146
	s_delay_alu instid0(VALU_DEP_1)
	v_add_f32_e32 v6, v1, v148
	scratch_load_b128 v[1:4], off, off offset:336
	v_add_f32_e32 v126, v18, v159
	v_add_f32_e32 v14, v6, v150
	ds_load_b128 v[5:8], v21 offset:736
	v_add_f32_e32 v126, v126, v161
	v_add_f32_e32 v14, v14, v152
	s_delay_alu instid0(VALU_DEP_1)
	v_add_f32_e32 v17, v14, v154
	ds_load_b128 v[13:16], v21 offset:752
	s_wait_loadcnt_dscnt 0x201
	v_mul_f32_e32 v22, v5, v10
	v_mul_f32_e32 v10, v6, v10
	;; [unrolled: 1-line block ×4, first 2 shown]
	v_add_f32_e32 v126, v126, v163
	v_fmac_f32_e32 v22, v6, v9
	v_fma_f32 v135, v5, v9, -v10
	v_fmac_f32_e32 v134, v8, v11
	v_fma_f32 v136, v7, v11, -v12
	scratch_load_b128 v[5:8], off, off offset:352
	v_add_f32_e32 v126, v126, v165
	scratch_load_b128 v[9:12], off, off offset:368
	s_wait_loadcnt_dscnt 0x200
	v_mul_f32_e32 v137, v13, v2
	v_mul_f32_e32 v2, v14, v2
	;; [unrolled: 1-line block ×3, first 2 shown]
	s_delay_alu instid0(VALU_DEP_3) | instskip(NEXT) | instid1(VALU_DEP_3)
	v_dual_mul_f32 v4, v16, v4 :: v_dual_fmac_f32 v137, v14, v1
	v_fma_f32 v141, v13, v1, -v2
	v_add_f32_e32 v13, v126, v167
	s_delay_alu instid0(VALU_DEP_4) | instskip(NEXT) | instid1(VALU_DEP_4)
	v_fmac_f32_e32 v140, v16, v3
	v_fma_f32 v142, v15, v3, -v4
	ds_load_b128 v[1:4], v21 offset:768
	v_add_f32_e32 v126, v13, v169
	s_delay_alu instid0(VALU_DEP_1) | instskip(NEXT) | instid1(VALU_DEP_1)
	v_add_f32_e32 v133, v126, v171
	v_add_f32_e32 v144, v133, v173
	s_delay_alu instid0(VALU_DEP_1) | instskip(NEXT) | instid1(VALU_DEP_1)
	v_dual_add_f32 v17, v17, v156 :: v_dual_add_f32 v22, v144, v22
	v_add_f32_e32 v17, v17, v158
	s_delay_alu instid0(VALU_DEP_1) | instskip(NEXT) | instid1(VALU_DEP_1)
	v_dual_add_f32 v22, v22, v134 :: v_dual_add_f32 v17, v17, v160
	v_dual_add_f32 v22, v22, v137 :: v_dual_add_f32 v127, v17, v162
	scratch_load_b128 v[17:20], off, off offset:384
	v_add_f32_e32 v22, v22, v140
	v_add_f32_e32 v127, v127, v164
	s_delay_alu instid0(VALU_DEP_1) | instskip(NEXT) | instid1(VALU_DEP_1)
	v_add_f32_e32 v127, v127, v166
	v_add_f32_e32 v127, v127, v168
	s_delay_alu instid0(VALU_DEP_1)
	v_add_f32_e32 v14, v127, v170
	ds_load_b128 v[126:129], v21 offset:800
	v_add_f32_e32 v132, v14, v172
	ds_load_b128 v[13:16], v21 offset:784
	s_wait_loadcnt_dscnt 0x202
	v_mul_f32_e32 v134, v3, v8
	v_mul_f32_e32 v8, v4, v8
	v_add_f32_e32 v143, v132, v174
	ds_load_b64 v[132:133], v21 offset:816
	v_fmac_f32_e32 v134, v4, v7
	v_add_f32_e32 v135, v143, v135
	v_mul_f32_e32 v143, v1, v6
	v_mul_f32_e32 v6, v2, v6
	s_delay_alu instid0(VALU_DEP_2) | instskip(NEXT) | instid1(VALU_DEP_4)
	v_fmac_f32_e32 v143, v2, v5
	v_add_f32_e32 v135, v135, v136
	s_delay_alu instid0(VALU_DEP_3)
	v_fma_f32 v1, v1, v5, -v6
	v_fma_f32 v2, v3, v7, -v8
	s_wait_loadcnt_dscnt 0x101
	v_mul_f32_e32 v136, v13, v10
	v_add_f32_e32 v4, v22, v143
	v_mul_f32_e32 v3, v14, v10
	s_delay_alu instid0(VALU_DEP_3) | instskip(SKIP_2) | instid1(VALU_DEP_3)
	v_fmac_f32_e32 v136, v14, v9
	s_wait_dscnt 0x0
	v_dual_add_f32 v135, v135, v141 :: v_dual_mul_f32 v140, v132, v131
	v_fma_f32 v3, v13, v9, -v3
	s_delay_alu instid0(VALU_DEP_2) | instskip(NEXT) | instid1(VALU_DEP_1)
	v_add_f32_e32 v135, v135, v142
	v_dual_fmac_f32 v140, v133, v130 :: v_dual_add_f32 v1, v135, v1
	s_delay_alu instid0(VALU_DEP_1) | instskip(SKIP_1) | instid1(VALU_DEP_1)
	v_add_f32_e32 v1, v1, v2
	v_add_f32_e32 v2, v4, v134
	v_add_f32_e32 v2, v2, v136
	s_wait_loadcnt 0x0
	v_mul_f32_e32 v142, v128, v20
	v_mul_f32_e32 v137, v15, v12
	;; [unrolled: 1-line block ×4, first 2 shown]
	s_delay_alu instid0(VALU_DEP_4) | instskip(NEXT) | instid1(VALU_DEP_4)
	v_fmac_f32_e32 v142, v129, v19
	v_fmac_f32_e32 v137, v16, v11
	s_delay_alu instid0(VALU_DEP_4) | instskip(NEXT) | instid1(VALU_DEP_4)
	v_fmac_f32_e32 v141, v127, v17
	v_fma_f32 v4, v126, v17, -v4
	s_delay_alu instid0(VALU_DEP_3) | instskip(NEXT) | instid1(VALU_DEP_1)
	v_dual_add_f32 v2, v2, v137 :: v_dual_mul_f32 v5, v16, v12
	v_add_f32_e32 v2, v2, v141
	s_delay_alu instid0(VALU_DEP_2) | instskip(NEXT) | instid1(VALU_DEP_2)
	v_fma_f32 v5, v15, v11, -v5
	v_add_f32_e32 v2, v2, v142
	s_delay_alu instid0(VALU_DEP_1) | instskip(NEXT) | instid1(VALU_DEP_1)
	v_dual_add_f32 v2, v2, v140 :: v_dual_add_f32 v1, v1, v3
	v_dual_mul_f32 v3, v129, v20 :: v_dual_sub_f32 v2, v139, v2
	s_delay_alu instid0(VALU_DEP_2) | instskip(SKIP_1) | instid1(VALU_DEP_3)
	v_add_f32_e32 v1, v1, v5
	v_mul_f32_e32 v5, v133, v131
	v_fma_f32 v3, v128, v19, -v3
	s_delay_alu instid0(VALU_DEP_3) | instskip(NEXT) | instid1(VALU_DEP_3)
	v_add_f32_e32 v1, v1, v4
	v_fma_f32 v4, v132, v130, -v5
	s_delay_alu instid0(VALU_DEP_2) | instskip(NEXT) | instid1(VALU_DEP_1)
	v_add_f32_e32 v1, v1, v3
	v_add_f32_e32 v1, v1, v4
	s_delay_alu instid0(VALU_DEP_1)
	v_sub_f32_e32 v1, v138, v1
	scratch_store_b64 off, v[1:2], off offset:88
	v_cmpx_lt_u32_e32 10, v0
	s_cbranch_execz .LBB50_299
; %bb.298:
	scratch_load_b64 v[1:2], off, off offset:80
	v_mov_b32_e32 v22, v21
	scratch_store_b64 off, v[21:22], off offset:80
	s_wait_loadcnt 0x0
	ds_store_b64 v23, v[1:2]
.LBB50_299:
	s_wait_alu 0xfffe
	s_or_b32 exec_lo, exec_lo, s0
	s_wait_storecnt_dscnt 0x0
	s_barrier_signal -1
	s_barrier_wait -1
	global_inv scope:SCOPE_SE
	s_clause 0x4
	scratch_load_b128 v[5:8], off, off offset:88
	scratch_load_b128 v[1:4], off, off offset:104
	;; [unrolled: 1-line block ×5, first 2 shown]
	ds_load_2addr_b64 v[126:129], v21 offset0:63 offset1:64
	ds_load_2addr_b64 v[130:133], v21 offset0:65 offset1:66
	ds_load_2addr_b64 v[134:137], v21 offset0:67 offset1:68
	scratch_load_b64 v[138:139], off, off offset:80
	s_mov_b32 s0, exec_lo
	s_wait_loadcnt_dscnt 0x502
	v_dual_mul_f32 v22, v127, v6 :: v_dual_mul_f32 v141, v128, v8
	v_mul_f32_e32 v140, v126, v6
	v_mul_f32_e32 v6, v129, v8
	s_wait_loadcnt_dscnt 0x300
	v_mul_f32_e32 v142, v136, v12
	v_fma_f32 v22, v126, v5, -v22
	v_dual_fmac_f32 v141, v129, v7 :: v_dual_fmac_f32 v140, v127, v5
	v_mul_f32_e32 v129, v134, v10
	v_mul_f32_e32 v127, v130, v2
	v_fma_f32 v126, v128, v7, -v6
	ds_load_2addr_b64 v[5:8], v21 offset0:69 offset1:70
	v_mul_f32_e32 v128, v132, v4
	v_dual_mul_f32 v4, v133, v4 :: v_dual_fmac_f32 v129, v135, v9
	v_mul_f32_e32 v10, v135, v10
	v_mul_f32_e32 v12, v137, v12
	;; [unrolled: 1-line block ×3, first 2 shown]
	v_dual_fmac_f32 v127, v131, v1 :: v_dual_fmac_f32 v128, v133, v3
	v_fma_f32 v131, v132, v3, -v4
	v_fma_f32 v132, v134, v9, -v10
	v_fmac_f32_e32 v142, v137, v11
	v_fma_f32 v133, v136, v11, -v12
	ds_load_2addr_b64 v[9:12], v21 offset0:71 offset1:72
	s_wait_loadcnt_dscnt 0x201
	v_dual_mul_f32 v135, v7, v16 :: v_dual_mul_f32 v134, v5, v14
	s_delay_alu instid0(VALU_DEP_1)
	v_dual_mul_f32 v14, v6, v14 :: v_dual_fmac_f32 v135, v8, v15
	v_fma_f32 v130, v130, v1, -v2
	scratch_load_b128 v[1:4], off, off offset:168
	v_mul_f32_e32 v16, v8, v16
	v_fmac_f32_e32 v134, v6, v13
	v_fma_f32 v13, v5, v13, -v14
	s_delay_alu instid0(VALU_DEP_3)
	v_fma_f32 v14, v7, v15, -v16
	s_wait_loadcnt_dscnt 0x200
	v_mul_f32_e32 v15, v9, v18
	v_mul_f32_e32 v16, v10, v18
	;; [unrolled: 1-line block ×4, first 2 shown]
	ds_load_2addr_b64 v[5:8], v21 offset0:73 offset1:74
	v_fmac_f32_e32 v15, v10, v17
	v_fma_f32 v16, v9, v17, -v16
	v_fmac_f32_e32 v18, v12, v19
	v_fma_f32 v17, v11, v19, -v20
	scratch_load_b128 v[9:12], off, off offset:184
	s_wait_loadcnt_dscnt 0x100
	v_mul_f32_e32 v19, v5, v2
	v_mul_f32_e32 v2, v6, v2
	;; [unrolled: 1-line block ×3, first 2 shown]
	s_delay_alu instid0(VALU_DEP_3) | instskip(NEXT) | instid1(VALU_DEP_3)
	v_dual_mul_f32 v4, v8, v4 :: v_dual_fmac_f32 v19, v6, v1
	v_fma_f32 v136, v5, v1, -v2
	s_delay_alu instid0(VALU_DEP_3) | instskip(NEXT) | instid1(VALU_DEP_3)
	v_fmac_f32_e32 v20, v8, v3
	v_fma_f32 v137, v7, v3, -v4
	ds_load_2addr_b64 v[1:4], v21 offset0:75 offset1:76
	ds_load_2addr_b64 v[5:8], v21 offset0:77 offset1:78
	s_wait_loadcnt_dscnt 0x1
	v_mul_f32_e32 v143, v1, v10
	v_mul_f32_e32 v10, v2, v10
	s_delay_alu instid0(VALU_DEP_2) | instskip(NEXT) | instid1(VALU_DEP_2)
	v_dual_mul_f32 v144, v3, v12 :: v_dual_fmac_f32 v143, v2, v9
	v_fma_f32 v145, v1, v9, -v10
	v_mul_f32_e32 v1, v4, v12
	s_delay_alu instid0(VALU_DEP_3) | instskip(NEXT) | instid1(VALU_DEP_2)
	v_fmac_f32_e32 v144, v4, v11
	v_fma_f32 v146, v3, v11, -v1
	s_clause 0x1
	scratch_load_b128 v[1:4], off, off offset:200
	scratch_load_b128 v[9:12], off, off offset:216
	s_wait_loadcnt_dscnt 0x100
	v_mul_f32_e32 v147, v5, v2
	v_dual_mul_f32 v2, v6, v2 :: v_dual_mul_f32 v149, v7, v4
	s_delay_alu instid0(VALU_DEP_2) | instskip(NEXT) | instid1(VALU_DEP_2)
	v_fmac_f32_e32 v147, v6, v1
	v_fma_f32 v148, v5, v1, -v2
	v_mul_f32_e32 v1, v8, v4
	s_delay_alu instid0(VALU_DEP_4) | instskip(NEXT) | instid1(VALU_DEP_2)
	v_fmac_f32_e32 v149, v8, v3
	v_fma_f32 v150, v7, v3, -v1
	ds_load_2addr_b64 v[1:4], v21 offset0:79 offset1:80
	ds_load_2addr_b64 v[5:8], v21 offset0:81 offset1:82
	s_wait_loadcnt_dscnt 0x1
	v_mul_f32_e32 v151, v1, v10
	v_mul_f32_e32 v153, v3, v12
	s_delay_alu instid0(VALU_DEP_2) | instskip(NEXT) | instid1(VALU_DEP_2)
	v_fmac_f32_e32 v151, v2, v9
	v_dual_mul_f32 v2, v2, v10 :: v_dual_fmac_f32 v153, v4, v11
	s_delay_alu instid0(VALU_DEP_1) | instskip(SKIP_1) | instid1(VALU_DEP_1)
	v_fma_f32 v152, v1, v9, -v2
	v_mul_f32_e32 v1, v4, v12
	v_fma_f32 v154, v3, v11, -v1
	s_clause 0x1
	scratch_load_b128 v[1:4], off, off offset:232
	scratch_load_b128 v[9:12], off, off offset:248
	s_wait_loadcnt_dscnt 0x100
	v_mul_f32_e32 v155, v5, v2
	v_dual_mul_f32 v2, v6, v2 :: v_dual_mul_f32 v157, v7, v4
	s_delay_alu instid0(VALU_DEP_2) | instskip(NEXT) | instid1(VALU_DEP_2)
	v_fmac_f32_e32 v155, v6, v1
	v_fma_f32 v156, v5, v1, -v2
	v_mul_f32_e32 v1, v8, v4
	s_delay_alu instid0(VALU_DEP_4) | instskip(NEXT) | instid1(VALU_DEP_2)
	v_fmac_f32_e32 v157, v8, v3
	v_fma_f32 v158, v7, v3, -v1
	ds_load_2addr_b64 v[1:4], v21 offset0:83 offset1:84
	ds_load_2addr_b64 v[5:8], v21 offset0:85 offset1:86
	s_wait_loadcnt_dscnt 0x1
	v_mul_f32_e32 v159, v1, v10
	v_mul_f32_e32 v161, v3, v12
	s_delay_alu instid0(VALU_DEP_2) | instskip(NEXT) | instid1(VALU_DEP_2)
	v_fmac_f32_e32 v159, v2, v9
	v_dual_mul_f32 v2, v2, v10 :: v_dual_fmac_f32 v161, v4, v11
	s_delay_alu instid0(VALU_DEP_1) | instskip(SKIP_1) | instid1(VALU_DEP_1)
	v_fma_f32 v160, v1, v9, -v2
	v_mul_f32_e32 v1, v4, v12
	;; [unrolled: 25-line block ×4, first 2 shown]
	v_fma_f32 v178, v3, v11, -v1
	s_clause 0x1
	scratch_load_b128 v[1:4], off, off offset:328
	scratch_load_b128 v[9:12], off, off offset:344
	s_wait_loadcnt_dscnt 0x100
	v_mul_f32_e32 v179, v5, v2
	v_mul_f32_e32 v2, v6, v2
	s_delay_alu instid0(VALU_DEP_1) | instskip(SKIP_1) | instid1(VALU_DEP_1)
	v_fma_f32 v180, v5, v1, -v2
	v_add_f32_e32 v2, 0, v140
	v_add_f32_e32 v2, v2, v141
	s_delay_alu instid0(VALU_DEP_1) | instskip(NEXT) | instid1(VALU_DEP_1)
	v_add_f32_e32 v2, v2, v127
	v_add_f32_e32 v2, v2, v128
	s_delay_alu instid0(VALU_DEP_1) | instskip(NEXT) | instid1(VALU_DEP_1)
	;; [unrolled: 3-line block ×6, first 2 shown]
	v_add_f32_e32 v2, v2, v143
	v_add_f32_e32 v2, v2, v144
	v_fmac_f32_e32 v179, v6, v1
	s_delay_alu instid0(VALU_DEP_2) | instskip(NEXT) | instid1(VALU_DEP_1)
	v_dual_add_f32 v2, v2, v147 :: v_dual_mul_f32 v181, v7, v4
	v_add_f32_e32 v2, v2, v149
	s_delay_alu instid0(VALU_DEP_1) | instskip(NEXT) | instid1(VALU_DEP_1)
	v_add_f32_e32 v5, v2, v151
	v_add_f32_e32 v5, v5, v153
	s_delay_alu instid0(VALU_DEP_1) | instskip(SKIP_1) | instid1(VALU_DEP_1)
	v_add_f32_e32 v5, v5, v155
	v_mul_f32_e32 v1, v8, v4
	v_fma_f32 v182, v7, v3, -v1
	v_add_f32_e32 v1, 0, v22
	s_delay_alu instid0(VALU_DEP_1) | instskip(NEXT) | instid1(VALU_DEP_1)
	v_add_f32_e32 v1, v1, v126
	v_add_f32_e32 v1, v1, v130
	s_delay_alu instid0(VALU_DEP_1) | instskip(NEXT) | instid1(VALU_DEP_1)
	v_add_f32_e32 v1, v1, v131
	v_add_f32_e32 v1, v1, v132
	s_delay_alu instid0(VALU_DEP_1) | instskip(NEXT) | instid1(VALU_DEP_1)
	v_add_f32_e32 v1, v1, v133
	v_add_f32_e32 v1, v1, v13
	s_delay_alu instid0(VALU_DEP_1) | instskip(SKIP_1) | instid1(VALU_DEP_2)
	v_add_f32_e32 v1, v1, v14
	v_add_f32_e32 v14, v5, v157
	;; [unrolled: 1-line block ×3, first 2 shown]
	s_delay_alu instid0(VALU_DEP_1) | instskip(NEXT) | instid1(VALU_DEP_1)
	v_add_f32_e32 v1, v1, v17
	v_add_f32_e32 v1, v1, v136
	s_delay_alu instid0(VALU_DEP_1) | instskip(NEXT) | instid1(VALU_DEP_1)
	v_add_f32_e32 v1, v1, v137
	v_add_f32_e32 v1, v1, v145
	;; [unrolled: 3-line block ×4, first 2 shown]
	s_delay_alu instid0(VALU_DEP_1) | instskip(SKIP_3) | instid1(VALU_DEP_2)
	v_dual_add_f32 v6, v1, v154 :: v_dual_fmac_f32 v181, v8, v3
	ds_load_2addr_b64 v[1:4], v21 offset0:95 offset1:96
	v_add_f32_e32 v14, v14, v159
	v_add_f32_e32 v6, v6, v156
	;; [unrolled: 1-line block ×3, first 2 shown]
	s_delay_alu instid0(VALU_DEP_2) | instskip(SKIP_2) | instid1(VALU_DEP_1)
	v_add_f32_e32 v13, v6, v158
	ds_load_2addr_b64 v[5:8], v21 offset0:97 offset1:98
	v_add_f32_e32 v13, v13, v160
	v_add_f32_e32 v13, v13, v162
	s_wait_loadcnt_dscnt 0x1
	v_mul_f32_e32 v22, v1, v10
	v_mul_f32_e32 v130, v3, v12
	;; [unrolled: 1-line block ×4, first 2 shown]
	s_delay_alu instid0(VALU_DEP_4) | instskip(NEXT) | instid1(VALU_DEP_4)
	v_dual_add_f32 v13, v13, v164 :: v_dual_fmac_f32 v22, v2, v9
	v_fmac_f32_e32 v130, v4, v11
	s_delay_alu instid0(VALU_DEP_4) | instskip(NEXT) | instid1(VALU_DEP_4)
	v_fma_f32 v131, v1, v9, -v10
	v_fma_f32 v132, v3, v11, -v12
	s_clause 0x1
	scratch_load_b128 v[1:4], off, off offset:360
	scratch_load_b128 v[9:12], off, off offset:376
	v_dual_add_f32 v17, v14, v163 :: v_dual_add_f32 v18, v13, v166
	scratch_load_b128 v[13:16], off, off offset:392
	v_dual_add_f32 v17, v17, v165 :: v_dual_add_f32 v18, v18, v168
	s_delay_alu instid0(VALU_DEP_1) | instskip(NEXT) | instid1(VALU_DEP_1)
	v_dual_add_f32 v17, v17, v167 :: v_dual_add_f32 v18, v18, v170
	v_dual_add_f32 v17, v17, v169 :: v_dual_add_f32 v126, v18, v172
	s_delay_alu instid0(VALU_DEP_1) | instskip(NEXT) | instid1(VALU_DEP_2)
	v_add_f32_e32 v127, v17, v171
	v_add_f32_e32 v133, v126, v174
	ds_load_2addr_b64 v[17:20], v21 offset0:99 offset1:100
	v_add_f32_e32 v134, v127, v173
	ds_load_2addr_b64 v[126:129], v21 offset0:101 offset1:102
	v_add_f32_e32 v21, v133, v176
	v_add_f32_e32 v133, v134, v175
	s_delay_alu instid0(VALU_DEP_2) | instskip(NEXT) | instid1(VALU_DEP_2)
	v_add_f32_e32 v21, v21, v178
	v_add_f32_e32 v133, v133, v177
	s_delay_alu instid0(VALU_DEP_2) | instskip(NEXT) | instid1(VALU_DEP_2)
	;; [unrolled: 3-line block ×3, first 2 shown]
	v_add_f32_e32 v21, v21, v182
	v_add_f32_e32 v133, v133, v181
	s_delay_alu instid0(VALU_DEP_2) | instskip(SKIP_1) | instid1(VALU_DEP_2)
	v_add_f32_e32 v21, v21, v131
	s_wait_loadcnt_dscnt 0x202
	v_dual_add_f32 v22, v133, v22 :: v_dual_mul_f32 v135, v7, v4
	v_mul_f32_e32 v134, v5, v2
	v_mul_f32_e32 v2, v6, v2
	;; [unrolled: 1-line block ×3, first 2 shown]
	s_wait_loadcnt_dscnt 0x101
	v_dual_mul_f32 v136, v17, v10 :: v_dual_fmac_f32 v135, v8, v3
	v_fmac_f32_e32 v134, v6, v1
	v_fma_f32 v2, v5, v1, -v2
	v_add_f32_e32 v1, v21, v132
	v_add_f32_e32 v5, v22, v130
	v_mul_f32_e32 v6, v18, v10
	v_fma_f32 v3, v7, v3, -v4
	v_mul_f32_e32 v137, v19, v12
	v_add_f32_e32 v1, v1, v2
	v_add_f32_e32 v2, v5, v134
	v_mul_f32_e32 v4, v20, v12
	v_fmac_f32_e32 v136, v18, v9
	v_fma_f32 v5, v17, v9, -v6
	v_add_f32_e32 v1, v1, v3
	v_add_f32_e32 v2, v2, v135
	s_wait_loadcnt_dscnt 0x0
	v_mul_f32_e32 v140, v126, v14
	v_mul_f32_e32 v3, v127, v14
	v_fmac_f32_e32 v137, v20, v11
	v_fma_f32 v4, v19, v11, -v4
	v_dual_add_f32 v1, v1, v5 :: v_dual_add_f32 v2, v2, v136
	v_mul_f32_e32 v131, v128, v16
	v_dual_mul_f32 v5, v129, v16 :: v_dual_fmac_f32 v140, v127, v13
	v_fma_f32 v3, v126, v13, -v3
	s_delay_alu instid0(VALU_DEP_4) | instskip(NEXT) | instid1(VALU_DEP_4)
	v_dual_add_f32 v1, v1, v4 :: v_dual_add_f32 v2, v2, v137
	v_fmac_f32_e32 v131, v129, v15
	s_delay_alu instid0(VALU_DEP_4) | instskip(NEXT) | instid1(VALU_DEP_3)
	v_fma_f32 v4, v128, v15, -v5
	v_dual_add_f32 v1, v1, v3 :: v_dual_add_f32 v2, v2, v140
	s_delay_alu instid0(VALU_DEP_1) | instskip(NEXT) | instid1(VALU_DEP_1)
	v_dual_add_f32 v1, v1, v4 :: v_dual_add_f32 v2, v2, v131
	v_dual_sub_f32 v1, v138, v1 :: v_dual_sub_f32 v2, v139, v2
	scratch_store_b64 off, v[1:2], off offset:80
	v_cmpx_lt_u32_e32 9, v0
	s_cbranch_execz .LBB50_301
; %bb.300:
	scratch_load_b64 v[1:2], off, off offset:72
	v_mov_b32_e32 v3, 0
	s_delay_alu instid0(VALU_DEP_1)
	v_mov_b32_e32 v4, v3
	scratch_store_b64 off, v[3:4], off offset:72
	s_wait_loadcnt 0x0
	ds_store_b64 v23, v[1:2]
.LBB50_301:
	s_wait_alu 0xfffe
	s_or_b32 exec_lo, exec_lo, s0
	s_wait_storecnt_dscnt 0x0
	s_barrier_signal -1
	s_barrier_wait -1
	global_inv scope:SCOPE_SE
	s_clause 0x4
	scratch_load_b128 v[5:8], off, off offset:80
	scratch_load_b128 v[1:4], off, off offset:96
	scratch_load_b128 v[9:12], off, off offset:112
	scratch_load_b128 v[13:16], off, off offset:128
	scratch_load_b128 v[17:20], off, off offset:144
	v_mov_b32_e32 v21, 0
	ds_load_b128 v[126:129], v21 offset:496
	ds_load_b128 v[130:133], v21 offset:512
	;; [unrolled: 1-line block ×3, first 2 shown]
	scratch_load_b64 v[138:139], off, off offset:72
	s_mov_b32 s0, exec_lo
	s_wait_loadcnt_dscnt 0x502
	v_mul_f32_e32 v22, v127, v6
	v_dual_mul_f32 v140, v126, v6 :: v_dual_mul_f32 v141, v128, v8
	v_mul_f32_e32 v6, v129, v8
	s_delay_alu instid0(VALU_DEP_3) | instskip(NEXT) | instid1(VALU_DEP_3)
	v_fma_f32 v22, v126, v5, -v22
	v_dual_fmac_f32 v140, v127, v5 :: v_dual_fmac_f32 v141, v129, v7
	s_wait_loadcnt_dscnt 0x401
	v_mul_f32_e32 v127, v130, v2
	v_fma_f32 v126, v128, v7, -v6
	ds_load_b128 v[5:8], v21 offset:544
	s_wait_loadcnt_dscnt 0x301
	v_dual_mul_f32 v128, v132, v4 :: v_dual_mul_f32 v129, v134, v10
	v_dual_mul_f32 v4, v133, v4 :: v_dual_fmac_f32 v127, v131, v1
	v_mul_f32_e32 v10, v135, v10
	s_delay_alu instid0(VALU_DEP_3)
	v_dual_mul_f32 v142, v136, v12 :: v_dual_fmac_f32 v129, v135, v9
	v_mul_f32_e32 v12, v137, v12
	v_mul_f32_e32 v2, v131, v2
	v_fmac_f32_e32 v128, v133, v3
	v_fma_f32 v131, v132, v3, -v4
	v_fma_f32 v132, v134, v9, -v10
	v_fmac_f32_e32 v142, v137, v11
	v_fma_f32 v133, v136, v11, -v12
	ds_load_b128 v[9:12], v21 offset:560
	s_wait_loadcnt_dscnt 0x201
	v_dual_mul_f32 v135, v7, v16 :: v_dual_mul_f32 v134, v5, v14
	v_mul_f32_e32 v14, v6, v14
	v_mul_f32_e32 v16, v8, v16
	s_delay_alu instid0(VALU_DEP_3)
	v_fmac_f32_e32 v135, v8, v15
	v_fma_f32 v130, v130, v1, -v2
	scratch_load_b128 v[1:4], off, off offset:160
	v_fmac_f32_e32 v134, v6, v13
	v_fma_f32 v13, v5, v13, -v14
	v_fma_f32 v14, v7, v15, -v16
	ds_load_b128 v[5:8], v21 offset:576
	s_wait_loadcnt_dscnt 0x201
	v_mul_f32_e32 v15, v9, v18
	v_mul_f32_e32 v16, v10, v18
	;; [unrolled: 1-line block ×3, first 2 shown]
	s_delay_alu instid0(VALU_DEP_3) | instskip(NEXT) | instid1(VALU_DEP_3)
	v_dual_mul_f32 v20, v12, v20 :: v_dual_fmac_f32 v15, v10, v17
	v_fma_f32 v16, v9, v17, -v16
	s_delay_alu instid0(VALU_DEP_3) | instskip(NEXT) | instid1(VALU_DEP_3)
	v_fmac_f32_e32 v18, v12, v19
	v_fma_f32 v17, v11, v19, -v20
	scratch_load_b128 v[9:12], off, off offset:176
	s_wait_loadcnt_dscnt 0x100
	v_mul_f32_e32 v19, v5, v2
	v_mul_f32_e32 v2, v6, v2
	v_mul_f32_e32 v20, v7, v4
	s_delay_alu instid0(VALU_DEP_3) | instskip(NEXT) | instid1(VALU_DEP_3)
	v_dual_mul_f32 v4, v8, v4 :: v_dual_fmac_f32 v19, v6, v1
	v_fma_f32 v136, v5, v1, -v2
	s_delay_alu instid0(VALU_DEP_3) | instskip(NEXT) | instid1(VALU_DEP_3)
	v_fmac_f32_e32 v20, v8, v3
	v_fma_f32 v137, v7, v3, -v4
	ds_load_b128 v[1:4], v21 offset:592
	ds_load_b128 v[5:8], v21 offset:608
	s_wait_loadcnt_dscnt 0x1
	v_mul_f32_e32 v143, v1, v10
	v_mul_f32_e32 v10, v2, v10
	s_delay_alu instid0(VALU_DEP_2) | instskip(NEXT) | instid1(VALU_DEP_2)
	v_dual_mul_f32 v144, v3, v12 :: v_dual_fmac_f32 v143, v2, v9
	v_fma_f32 v145, v1, v9, -v10
	v_mul_f32_e32 v1, v4, v12
	s_delay_alu instid0(VALU_DEP_3) | instskip(NEXT) | instid1(VALU_DEP_2)
	v_fmac_f32_e32 v144, v4, v11
	v_fma_f32 v146, v3, v11, -v1
	s_clause 0x1
	scratch_load_b128 v[1:4], off, off offset:192
	scratch_load_b128 v[9:12], off, off offset:208
	s_wait_loadcnt_dscnt 0x100
	v_mul_f32_e32 v147, v5, v2
	v_dual_mul_f32 v2, v6, v2 :: v_dual_mul_f32 v149, v7, v4
	s_delay_alu instid0(VALU_DEP_2) | instskip(NEXT) | instid1(VALU_DEP_2)
	v_fmac_f32_e32 v147, v6, v1
	v_fma_f32 v148, v5, v1, -v2
	v_mul_f32_e32 v1, v8, v4
	s_delay_alu instid0(VALU_DEP_4) | instskip(NEXT) | instid1(VALU_DEP_2)
	v_fmac_f32_e32 v149, v8, v3
	v_fma_f32 v150, v7, v3, -v1
	ds_load_b128 v[1:4], v21 offset:624
	ds_load_b128 v[5:8], v21 offset:640
	s_wait_loadcnt_dscnt 0x1
	v_mul_f32_e32 v151, v1, v10
	v_mul_f32_e32 v153, v3, v12
	s_delay_alu instid0(VALU_DEP_2) | instskip(NEXT) | instid1(VALU_DEP_2)
	v_fmac_f32_e32 v151, v2, v9
	v_dual_mul_f32 v2, v2, v10 :: v_dual_fmac_f32 v153, v4, v11
	s_delay_alu instid0(VALU_DEP_1) | instskip(SKIP_1) | instid1(VALU_DEP_1)
	v_fma_f32 v152, v1, v9, -v2
	v_mul_f32_e32 v1, v4, v12
	v_fma_f32 v154, v3, v11, -v1
	s_clause 0x1
	scratch_load_b128 v[1:4], off, off offset:224
	scratch_load_b128 v[9:12], off, off offset:240
	s_wait_loadcnt_dscnt 0x100
	v_mul_f32_e32 v155, v5, v2
	v_dual_mul_f32 v157, v7, v4 :: v_dual_mul_f32 v2, v6, v2
	s_delay_alu instid0(VALU_DEP_2) | instskip(NEXT) | instid1(VALU_DEP_2)
	v_fmac_f32_e32 v155, v6, v1
	v_fmac_f32_e32 v157, v8, v3
	s_delay_alu instid0(VALU_DEP_3) | instskip(SKIP_1) | instid1(VALU_DEP_1)
	v_fma_f32 v156, v5, v1, -v2
	v_mul_f32_e32 v1, v8, v4
	v_fma_f32 v158, v7, v3, -v1
	ds_load_b128 v[1:4], v21 offset:656
	ds_load_b128 v[5:8], v21 offset:672
	s_wait_loadcnt_dscnt 0x1
	v_mul_f32_e32 v159, v1, v10
	v_mul_f32_e32 v161, v3, v12
	s_delay_alu instid0(VALU_DEP_2) | instskip(NEXT) | instid1(VALU_DEP_2)
	v_fmac_f32_e32 v159, v2, v9
	v_dual_mul_f32 v2, v2, v10 :: v_dual_fmac_f32 v161, v4, v11
	s_delay_alu instid0(VALU_DEP_1) | instskip(SKIP_1) | instid1(VALU_DEP_1)
	v_fma_f32 v160, v1, v9, -v2
	v_mul_f32_e32 v1, v4, v12
	v_fma_f32 v162, v3, v11, -v1
	s_clause 0x1
	scratch_load_b128 v[1:4], off, off offset:256
	scratch_load_b128 v[9:12], off, off offset:272
	s_wait_loadcnt_dscnt 0x100
	v_mul_f32_e32 v163, v5, v2
	v_dual_mul_f32 v2, v6, v2 :: v_dual_mul_f32 v165, v7, v4
	s_delay_alu instid0(VALU_DEP_2) | instskip(NEXT) | instid1(VALU_DEP_2)
	v_fmac_f32_e32 v163, v6, v1
	v_fma_f32 v164, v5, v1, -v2
	v_mul_f32_e32 v1, v8, v4
	s_delay_alu instid0(VALU_DEP_4) | instskip(NEXT) | instid1(VALU_DEP_2)
	v_fmac_f32_e32 v165, v8, v3
	v_fma_f32 v166, v7, v3, -v1
	ds_load_b128 v[1:4], v21 offset:688
	ds_load_b128 v[5:8], v21 offset:704
	s_wait_loadcnt_dscnt 0x1
	v_mul_f32_e32 v167, v1, v10
	v_mul_f32_e32 v169, v3, v12
	s_delay_alu instid0(VALU_DEP_2) | instskip(NEXT) | instid1(VALU_DEP_2)
	v_fmac_f32_e32 v167, v2, v9
	v_dual_mul_f32 v2, v2, v10 :: v_dual_fmac_f32 v169, v4, v11
	s_delay_alu instid0(VALU_DEP_1) | instskip(SKIP_1) | instid1(VALU_DEP_1)
	v_fma_f32 v168, v1, v9, -v2
	v_mul_f32_e32 v1, v4, v12
	v_fma_f32 v170, v3, v11, -v1
	s_clause 0x1
	scratch_load_b128 v[1:4], off, off offset:288
	scratch_load_b128 v[9:12], off, off offset:304
	s_wait_loadcnt_dscnt 0x100
	v_mul_f32_e32 v171, v5, v2
	v_dual_mul_f32 v2, v6, v2 :: v_dual_mul_f32 v173, v7, v4
	s_delay_alu instid0(VALU_DEP_2) | instskip(NEXT) | instid1(VALU_DEP_2)
	v_fmac_f32_e32 v171, v6, v1
	v_fma_f32 v172, v5, v1, -v2
	v_mul_f32_e32 v1, v8, v4
	s_delay_alu instid0(VALU_DEP_4) | instskip(NEXT) | instid1(VALU_DEP_2)
	v_fmac_f32_e32 v173, v8, v3
	v_fma_f32 v174, v7, v3, -v1
	ds_load_b128 v[1:4], v21 offset:720
	ds_load_b128 v[5:8], v21 offset:736
	s_wait_loadcnt_dscnt 0x1
	v_mul_f32_e32 v175, v1, v10
	v_mul_f32_e32 v177, v3, v12
	s_delay_alu instid0(VALU_DEP_2) | instskip(NEXT) | instid1(VALU_DEP_2)
	v_fmac_f32_e32 v175, v2, v9
	v_dual_mul_f32 v2, v2, v10 :: v_dual_fmac_f32 v177, v4, v11
	s_delay_alu instid0(VALU_DEP_1) | instskip(SKIP_1) | instid1(VALU_DEP_1)
	v_fma_f32 v176, v1, v9, -v2
	v_mul_f32_e32 v1, v4, v12
	v_fma_f32 v178, v3, v11, -v1
	s_clause 0x1
	scratch_load_b128 v[1:4], off, off offset:320
	scratch_load_b128 v[9:12], off, off offset:336
	s_wait_loadcnt_dscnt 0x100
	v_mul_f32_e32 v179, v5, v2
	v_mul_f32_e32 v2, v6, v2
	s_delay_alu instid0(VALU_DEP_1) | instskip(SKIP_1) | instid1(VALU_DEP_1)
	v_fma_f32 v180, v5, v1, -v2
	v_add_f32_e32 v2, 0, v140
	v_add_f32_e32 v2, v2, v141
	s_delay_alu instid0(VALU_DEP_1) | instskip(NEXT) | instid1(VALU_DEP_1)
	v_add_f32_e32 v2, v2, v127
	v_add_f32_e32 v2, v2, v128
	s_delay_alu instid0(VALU_DEP_1) | instskip(NEXT) | instid1(VALU_DEP_1)
	;; [unrolled: 3-line block ×7, first 2 shown]
	v_add_f32_e32 v2, v2, v147
	v_add_f32_e32 v2, v2, v149
	v_fmac_f32_e32 v179, v6, v1
	v_mul_f32_e32 v1, v8, v4
	s_delay_alu instid0(VALU_DEP_3) | instskip(NEXT) | instid1(VALU_DEP_2)
	v_add_f32_e32 v5, v2, v151
	v_fma_f32 v182, v7, v3, -v1
	v_add_f32_e32 v1, 0, v22
	s_delay_alu instid0(VALU_DEP_3) | instskip(NEXT) | instid1(VALU_DEP_2)
	v_add_f32_e32 v5, v5, v153
	v_add_f32_e32 v1, v1, v126
	s_delay_alu instid0(VALU_DEP_2) | instskip(SKIP_1) | instid1(VALU_DEP_3)
	v_add_f32_e32 v5, v5, v155
	v_mul_f32_e32 v181, v7, v4
	v_add_f32_e32 v1, v1, v130
	s_delay_alu instid0(VALU_DEP_1) | instskip(SKIP_2) | instid1(VALU_DEP_1)
	v_add_f32_e32 v1, v1, v131
	scratch_load_b64 v[130:131], off, off offset:400
	v_add_f32_e32 v1, v1, v132
	v_add_f32_e32 v1, v1, v133
	s_delay_alu instid0(VALU_DEP_1) | instskip(NEXT) | instid1(VALU_DEP_1)
	v_add_f32_e32 v1, v1, v13
	v_add_f32_e32 v1, v1, v14
	;; [unrolled: 1-line block ×3, first 2 shown]
	s_delay_alu instid0(VALU_DEP_2) | instskip(NEXT) | instid1(VALU_DEP_1)
	v_add_f32_e32 v1, v1, v16
	v_add_f32_e32 v1, v1, v17
	s_delay_alu instid0(VALU_DEP_1) | instskip(NEXT) | instid1(VALU_DEP_1)
	v_add_f32_e32 v1, v1, v136
	v_add_f32_e32 v1, v1, v137
	s_delay_alu instid0(VALU_DEP_1) | instskip(NEXT) | instid1(VALU_DEP_1)
	;; [unrolled: 3-line block ×4, first 2 shown]
	v_add_f32_e32 v1, v1, v152
	v_dual_add_f32 v6, v1, v154 :: v_dual_fmac_f32 v181, v8, v3
	ds_load_b128 v[1:4], v21 offset:752
	v_add_f32_e32 v14, v14, v159
	v_add_f32_e32 v6, v6, v156
	s_delay_alu instid0(VALU_DEP_2) | instskip(NEXT) | instid1(VALU_DEP_2)
	v_add_f32_e32 v14, v14, v161
	v_add_f32_e32 v13, v6, v158
	ds_load_b128 v[5:8], v21 offset:768
	s_wait_loadcnt_dscnt 0x101
	v_mul_f32_e32 v22, v1, v10
	v_mul_f32_e32 v10, v2, v10
	v_mul_f32_e32 v134, v3, v12
	v_dual_mul_f32 v12, v4, v12 :: v_dual_add_f32 v17, v14, v163
	s_delay_alu instid0(VALU_DEP_4) | instskip(NEXT) | instid1(VALU_DEP_4)
	v_fmac_f32_e32 v22, v2, v9
	v_fma_f32 v135, v1, v9, -v10
	s_delay_alu instid0(VALU_DEP_4) | instskip(NEXT) | instid1(VALU_DEP_4)
	v_fmac_f32_e32 v134, v4, v11
	v_fma_f32 v136, v3, v11, -v12
	s_clause 0x1
	scratch_load_b128 v[1:4], off, off offset:352
	scratch_load_b128 v[9:12], off, off offset:368
	v_add_f32_e32 v17, v17, v165
	s_delay_alu instid0(VALU_DEP_1) | instskip(NEXT) | instid1(VALU_DEP_1)
	v_add_f32_e32 v17, v17, v167
	v_add_f32_e32 v17, v17, v169
	s_delay_alu instid0(VALU_DEP_1) | instskip(NEXT) | instid1(VALU_DEP_1)
	v_add_f32_e32 v17, v17, v171
	v_add_f32_e32 v126, v17, v173
	s_delay_alu instid0(VALU_DEP_1)
	v_add_f32_e32 v133, v126, v175
	ds_load_b128 v[126:129], v21 offset:800
	v_add_f32_e32 v140, v133, v177
	s_wait_loadcnt_dscnt 0x101
	v_dual_mul_f32 v141, v5, v2 :: v_dual_mul_f32 v142, v7, v4
	v_dual_add_f32 v13, v13, v160 :: v_dual_mul_f32 v2, v6, v2
	s_delay_alu instid0(VALU_DEP_2) | instskip(NEXT) | instid1(VALU_DEP_2)
	v_dual_mul_f32 v4, v8, v4 :: v_dual_fmac_f32 v141, v6, v1
	v_dual_fmac_f32 v142, v8, v3 :: v_dual_add_f32 v13, v13, v162
	s_delay_alu instid0(VALU_DEP_3) | instskip(NEXT) | instid1(VALU_DEP_3)
	v_fma_f32 v2, v5, v1, -v2
	v_fma_f32 v1, v7, v3, -v4
	s_delay_alu instid0(VALU_DEP_3) | instskip(NEXT) | instid1(VALU_DEP_1)
	v_add_f32_e32 v13, v13, v164
	v_add_f32_e32 v18, v13, v166
	scratch_load_b128 v[13:16], off, off offset:384
	v_add_f32_e32 v140, v140, v179
	v_add_f32_e32 v18, v18, v168
	s_delay_alu instid0(VALU_DEP_2) | instskip(NEXT) | instid1(VALU_DEP_2)
	v_add_f32_e32 v140, v140, v181
	v_add_f32_e32 v18, v18, v170
	s_delay_alu instid0(VALU_DEP_2) | instskip(NEXT) | instid1(VALU_DEP_2)
	;; [unrolled: 3-line block ×3, first 2 shown]
	v_add_f32_e32 v22, v22, v134
	v_add_f32_e32 v18, v18, v174
	s_delay_alu instid0(VALU_DEP_1)
	v_add_f32_e32 v132, v18, v176
	ds_load_b128 v[17:20], v21 offset:784
	v_add_f32_e32 v137, v132, v178
	ds_load_b64 v[132:133], v21 offset:816
	s_wait_loadcnt_dscnt 0x101
	v_dual_mul_f32 v3, v18, v10 :: v_dual_mul_f32 v140, v19, v12
	v_mul_f32_e32 v5, v20, v12
	s_delay_alu instid0(VALU_DEP_2) | instskip(NEXT) | instid1(VALU_DEP_3)
	v_fma_f32 v3, v17, v9, -v3
	v_fmac_f32_e32 v140, v20, v11
	s_delay_alu instid0(VALU_DEP_3) | instskip(SKIP_2) | instid1(VALU_DEP_1)
	v_fma_f32 v5, v19, v11, -v5
	s_wait_dscnt 0x0
	v_mul_f32_e32 v134, v132, v131
	v_fmac_f32_e32 v134, v133, v130
	v_add_f32_e32 v4, v22, v141
	s_wait_loadcnt 0x0
	v_mul_f32_e32 v143, v126, v14
	s_delay_alu instid0(VALU_DEP_1) | instskip(SKIP_1) | instid1(VALU_DEP_1)
	v_fmac_f32_e32 v143, v127, v13
	v_add_f32_e32 v137, v137, v180
	v_add_f32_e32 v137, v137, v182
	s_delay_alu instid0(VALU_DEP_1) | instskip(SKIP_1) | instid1(VALU_DEP_2)
	v_add_f32_e32 v135, v137, v135
	v_mul_f32_e32 v137, v17, v10
	v_add_f32_e32 v135, v135, v136
	s_delay_alu instid0(VALU_DEP_2) | instskip(NEXT) | instid1(VALU_DEP_2)
	v_dual_fmac_f32 v137, v18, v9 :: v_dual_mul_f32 v136, v128, v16
	v_add_f32_e32 v2, v135, v2
	s_delay_alu instid0(VALU_DEP_1) | instskip(SKIP_1) | instid1(VALU_DEP_2)
	v_dual_fmac_f32 v136, v129, v15 :: v_dual_add_f32 v1, v2, v1
	v_add_f32_e32 v2, v4, v142
	v_dual_mul_f32 v4, v127, v14 :: v_dual_add_f32 v1, v1, v3
	s_delay_alu instid0(VALU_DEP_2) | instskip(NEXT) | instid1(VALU_DEP_2)
	v_dual_add_f32 v2, v2, v137 :: v_dual_mul_f32 v3, v129, v16
	v_fma_f32 v4, v126, v13, -v4
	s_delay_alu instid0(VALU_DEP_2) | instskip(SKIP_1) | instid1(VALU_DEP_4)
	v_dual_add_f32 v1, v1, v5 :: v_dual_add_f32 v2, v2, v140
	v_mul_f32_e32 v5, v133, v131
	v_fma_f32 v3, v128, v15, -v3
	s_delay_alu instid0(VALU_DEP_3) | instskip(NEXT) | instid1(VALU_DEP_3)
	v_dual_add_f32 v1, v1, v4 :: v_dual_add_f32 v2, v2, v143
	v_fma_f32 v4, v132, v130, -v5
	s_delay_alu instid0(VALU_DEP_2) | instskip(NEXT) | instid1(VALU_DEP_1)
	v_dual_add_f32 v1, v1, v3 :: v_dual_add_f32 v2, v2, v136
	v_dual_add_f32 v1, v1, v4 :: v_dual_add_f32 v2, v2, v134
	s_delay_alu instid0(VALU_DEP_1)
	v_dual_sub_f32 v1, v138, v1 :: v_dual_sub_f32 v2, v139, v2
	scratch_store_b64 off, v[1:2], off offset:72
	v_cmpx_lt_u32_e32 8, v0
	s_cbranch_execz .LBB50_303
; %bb.302:
	scratch_load_b64 v[1:2], off, off offset:64
	v_mov_b32_e32 v22, v21
	scratch_store_b64 off, v[21:22], off offset:64
	s_wait_loadcnt 0x0
	ds_store_b64 v23, v[1:2]
.LBB50_303:
	s_wait_alu 0xfffe
	s_or_b32 exec_lo, exec_lo, s0
	s_wait_storecnt_dscnt 0x0
	s_barrier_signal -1
	s_barrier_wait -1
	global_inv scope:SCOPE_SE
	s_clause 0x4
	scratch_load_b128 v[5:8], off, off offset:72
	scratch_load_b128 v[1:4], off, off offset:88
	;; [unrolled: 1-line block ×5, first 2 shown]
	ds_load_2addr_b64 v[126:129], v21 offset0:61 offset1:62
	ds_load_2addr_b64 v[130:133], v21 offset0:63 offset1:64
	;; [unrolled: 1-line block ×3, first 2 shown]
	scratch_load_b64 v[138:139], off, off offset:64
	s_mov_b32 s0, exec_lo
	s_wait_loadcnt_dscnt 0x502
	v_dual_mul_f32 v22, v127, v6 :: v_dual_mul_f32 v141, v128, v8
	v_mul_f32_e32 v140, v126, v6
	v_mul_f32_e32 v6, v129, v8
	s_wait_loadcnt_dscnt 0x300
	v_mul_f32_e32 v142, v136, v12
	v_fma_f32 v22, v126, v5, -v22
	v_dual_fmac_f32 v141, v129, v7 :: v_dual_fmac_f32 v140, v127, v5
	v_mul_f32_e32 v129, v134, v10
	v_mul_f32_e32 v127, v130, v2
	v_fma_f32 v126, v128, v7, -v6
	ds_load_2addr_b64 v[5:8], v21 offset0:67 offset1:68
	v_mul_f32_e32 v128, v132, v4
	v_dual_mul_f32 v4, v133, v4 :: v_dual_fmac_f32 v129, v135, v9
	v_mul_f32_e32 v10, v135, v10
	v_mul_f32_e32 v12, v137, v12
	;; [unrolled: 1-line block ×3, first 2 shown]
	v_dual_fmac_f32 v127, v131, v1 :: v_dual_fmac_f32 v128, v133, v3
	v_fma_f32 v131, v132, v3, -v4
	v_fma_f32 v132, v134, v9, -v10
	v_fmac_f32_e32 v142, v137, v11
	v_fma_f32 v133, v136, v11, -v12
	ds_load_2addr_b64 v[9:12], v21 offset0:69 offset1:70
	s_wait_loadcnt_dscnt 0x201
	v_dual_mul_f32 v135, v7, v16 :: v_dual_mul_f32 v134, v5, v14
	s_delay_alu instid0(VALU_DEP_1)
	v_dual_mul_f32 v14, v6, v14 :: v_dual_fmac_f32 v135, v8, v15
	v_fma_f32 v130, v130, v1, -v2
	scratch_load_b128 v[1:4], off, off offset:152
	v_mul_f32_e32 v16, v8, v16
	v_fmac_f32_e32 v134, v6, v13
	v_fma_f32 v13, v5, v13, -v14
	s_delay_alu instid0(VALU_DEP_3)
	v_fma_f32 v14, v7, v15, -v16
	s_wait_loadcnt_dscnt 0x200
	v_mul_f32_e32 v15, v9, v18
	v_mul_f32_e32 v16, v10, v18
	;; [unrolled: 1-line block ×4, first 2 shown]
	ds_load_2addr_b64 v[5:8], v21 offset0:71 offset1:72
	v_fmac_f32_e32 v15, v10, v17
	v_fma_f32 v16, v9, v17, -v16
	v_fmac_f32_e32 v18, v12, v19
	v_fma_f32 v17, v11, v19, -v20
	scratch_load_b128 v[9:12], off, off offset:168
	s_wait_loadcnt_dscnt 0x100
	v_mul_f32_e32 v19, v5, v2
	v_mul_f32_e32 v2, v6, v2
	;; [unrolled: 1-line block ×3, first 2 shown]
	s_delay_alu instid0(VALU_DEP_3) | instskip(NEXT) | instid1(VALU_DEP_3)
	v_dual_mul_f32 v4, v8, v4 :: v_dual_fmac_f32 v19, v6, v1
	v_fma_f32 v136, v5, v1, -v2
	s_delay_alu instid0(VALU_DEP_3) | instskip(NEXT) | instid1(VALU_DEP_3)
	v_fmac_f32_e32 v20, v8, v3
	v_fma_f32 v137, v7, v3, -v4
	ds_load_2addr_b64 v[1:4], v21 offset0:73 offset1:74
	ds_load_2addr_b64 v[5:8], v21 offset0:75 offset1:76
	s_wait_loadcnt_dscnt 0x1
	v_mul_f32_e32 v143, v1, v10
	v_mul_f32_e32 v10, v2, v10
	s_delay_alu instid0(VALU_DEP_2) | instskip(NEXT) | instid1(VALU_DEP_2)
	v_dual_mul_f32 v144, v3, v12 :: v_dual_fmac_f32 v143, v2, v9
	v_fma_f32 v145, v1, v9, -v10
	v_mul_f32_e32 v1, v4, v12
	s_delay_alu instid0(VALU_DEP_3) | instskip(NEXT) | instid1(VALU_DEP_2)
	v_fmac_f32_e32 v144, v4, v11
	v_fma_f32 v146, v3, v11, -v1
	s_clause 0x1
	scratch_load_b128 v[1:4], off, off offset:184
	scratch_load_b128 v[9:12], off, off offset:200
	s_wait_loadcnt_dscnt 0x100
	v_mul_f32_e32 v147, v5, v2
	v_dual_mul_f32 v2, v6, v2 :: v_dual_mul_f32 v149, v7, v4
	s_delay_alu instid0(VALU_DEP_2) | instskip(NEXT) | instid1(VALU_DEP_2)
	v_fmac_f32_e32 v147, v6, v1
	v_fma_f32 v148, v5, v1, -v2
	v_mul_f32_e32 v1, v8, v4
	s_delay_alu instid0(VALU_DEP_4) | instskip(NEXT) | instid1(VALU_DEP_2)
	v_fmac_f32_e32 v149, v8, v3
	v_fma_f32 v150, v7, v3, -v1
	ds_load_2addr_b64 v[1:4], v21 offset0:77 offset1:78
	ds_load_2addr_b64 v[5:8], v21 offset0:79 offset1:80
	s_wait_loadcnt_dscnt 0x1
	v_mul_f32_e32 v151, v1, v10
	v_mul_f32_e32 v153, v3, v12
	s_delay_alu instid0(VALU_DEP_2) | instskip(NEXT) | instid1(VALU_DEP_2)
	v_fmac_f32_e32 v151, v2, v9
	v_dual_mul_f32 v2, v2, v10 :: v_dual_fmac_f32 v153, v4, v11
	s_delay_alu instid0(VALU_DEP_1) | instskip(SKIP_1) | instid1(VALU_DEP_1)
	v_fma_f32 v152, v1, v9, -v2
	v_mul_f32_e32 v1, v4, v12
	v_fma_f32 v154, v3, v11, -v1
	s_clause 0x1
	scratch_load_b128 v[1:4], off, off offset:216
	scratch_load_b128 v[9:12], off, off offset:232
	s_wait_loadcnt_dscnt 0x100
	v_mul_f32_e32 v155, v5, v2
	v_dual_mul_f32 v2, v6, v2 :: v_dual_mul_f32 v157, v7, v4
	s_delay_alu instid0(VALU_DEP_2) | instskip(NEXT) | instid1(VALU_DEP_2)
	v_fmac_f32_e32 v155, v6, v1
	v_fma_f32 v156, v5, v1, -v2
	v_mul_f32_e32 v1, v8, v4
	s_delay_alu instid0(VALU_DEP_4) | instskip(NEXT) | instid1(VALU_DEP_2)
	v_fmac_f32_e32 v157, v8, v3
	v_fma_f32 v158, v7, v3, -v1
	ds_load_2addr_b64 v[1:4], v21 offset0:81 offset1:82
	ds_load_2addr_b64 v[5:8], v21 offset0:83 offset1:84
	s_wait_loadcnt_dscnt 0x1
	v_mul_f32_e32 v159, v1, v10
	v_mul_f32_e32 v161, v3, v12
	s_delay_alu instid0(VALU_DEP_2) | instskip(NEXT) | instid1(VALU_DEP_2)
	v_fmac_f32_e32 v159, v2, v9
	v_dual_mul_f32 v2, v2, v10 :: v_dual_fmac_f32 v161, v4, v11
	s_delay_alu instid0(VALU_DEP_1) | instskip(SKIP_1) | instid1(VALU_DEP_1)
	v_fma_f32 v160, v1, v9, -v2
	v_mul_f32_e32 v1, v4, v12
	;; [unrolled: 25-line block ×4, first 2 shown]
	v_fma_f32 v178, v3, v11, -v1
	s_clause 0x1
	scratch_load_b128 v[1:4], off, off offset:312
	scratch_load_b128 v[9:12], off, off offset:328
	s_wait_loadcnt_dscnt 0x100
	v_mul_f32_e32 v179, v5, v2
	v_mul_f32_e32 v2, v6, v2
	s_delay_alu instid0(VALU_DEP_1) | instskip(SKIP_1) | instid1(VALU_DEP_1)
	v_fma_f32 v180, v5, v1, -v2
	v_add_f32_e32 v2, 0, v140
	v_add_f32_e32 v2, v2, v141
	s_delay_alu instid0(VALU_DEP_1) | instskip(NEXT) | instid1(VALU_DEP_1)
	v_add_f32_e32 v2, v2, v127
	v_add_f32_e32 v2, v2, v128
	s_delay_alu instid0(VALU_DEP_1) | instskip(NEXT) | instid1(VALU_DEP_1)
	;; [unrolled: 3-line block ×6, first 2 shown]
	v_add_f32_e32 v2, v2, v143
	v_add_f32_e32 v2, v2, v144
	v_fmac_f32_e32 v179, v6, v1
	s_delay_alu instid0(VALU_DEP_2) | instskip(NEXT) | instid1(VALU_DEP_1)
	v_dual_add_f32 v2, v2, v147 :: v_dual_mul_f32 v181, v7, v4
	v_dual_add_f32 v2, v2, v149 :: v_dual_mul_f32 v1, v8, v4
	s_delay_alu instid0(VALU_DEP_1) | instskip(NEXT) | instid1(VALU_DEP_2)
	v_add_f32_e32 v2, v2, v151
	v_fma_f32 v182, v7, v3, -v1
	v_add_f32_e32 v1, 0, v22
	s_delay_alu instid0(VALU_DEP_3) | instskip(NEXT) | instid1(VALU_DEP_2)
	v_add_f32_e32 v5, v2, v153
	v_add_f32_e32 v1, v1, v126
	s_delay_alu instid0(VALU_DEP_1) | instskip(NEXT) | instid1(VALU_DEP_1)
	v_add_f32_e32 v1, v1, v130
	v_add_f32_e32 v1, v1, v131
	s_delay_alu instid0(VALU_DEP_1) | instskip(NEXT) | instid1(VALU_DEP_1)
	v_add_f32_e32 v1, v1, v132
	v_add_f32_e32 v1, v1, v133
	s_delay_alu instid0(VALU_DEP_1) | instskip(SKIP_1) | instid1(VALU_DEP_2)
	v_add_f32_e32 v1, v1, v13
	v_add_f32_e32 v13, v5, v155
	;; [unrolled: 1-line block ×3, first 2 shown]
	s_delay_alu instid0(VALU_DEP_2) | instskip(NEXT) | instid1(VALU_DEP_2)
	v_add_f32_e32 v13, v13, v157
	v_add_f32_e32 v1, v1, v16
	s_delay_alu instid0(VALU_DEP_1) | instskip(NEXT) | instid1(VALU_DEP_1)
	v_add_f32_e32 v1, v1, v17
	v_add_f32_e32 v1, v1, v136
	s_delay_alu instid0(VALU_DEP_1) | instskip(NEXT) | instid1(VALU_DEP_1)
	;; [unrolled: 3-line block ×5, first 2 shown]
	v_add_f32_e32 v1, v1, v154
	v_dual_add_f32 v6, v1, v156 :: v_dual_fmac_f32 v181, v8, v3
	ds_load_2addr_b64 v[1:4], v21 offset0:93 offset1:94
	v_dual_add_f32 v13, v13, v159 :: v_dual_add_f32 v14, v6, v158
	scratch_load_b128 v[5:8], off, off offset:344
	v_add_f32_e32 v18, v13, v161
	v_add_f32_e32 v14, v14, v160
	s_delay_alu instid0(VALU_DEP_1)
	v_add_f32_e32 v17, v14, v162
	ds_load_2addr_b64 v[13:16], v21 offset0:95 offset1:96
	v_add_f32_e32 v17, v17, v164
	s_wait_loadcnt_dscnt 0x101
	v_mul_f32_e32 v22, v1, v10
	v_mul_f32_e32 v10, v2, v10
	v_mul_f32_e32 v130, v3, v12
	v_mul_f32_e32 v12, v4, v12
	v_add_f32_e32 v18, v18, v163
	v_fmac_f32_e32 v22, v2, v9
	v_fma_f32 v131, v1, v9, -v10
	v_fmac_f32_e32 v130, v4, v11
	v_fma_f32 v132, v3, v11, -v12
	scratch_load_b128 v[9:12], off, off offset:376
	v_dual_add_f32 v17, v17, v166 :: v_dual_add_f32 v18, v18, v165
	scratch_load_b128 v[1:4], off, off offset:360
	v_dual_add_f32 v17, v17, v168 :: v_dual_add_f32 v126, v18, v167
	s_delay_alu instid0(VALU_DEP_1) | instskip(SKIP_3) | instid1(VALU_DEP_1)
	v_add_f32_e32 v127, v17, v170
	scratch_load_b128 v[17:20], off, off offset:392
	v_add_f32_e32 v126, v126, v169
	s_wait_loadcnt_dscnt 0x300
	v_dual_add_f32 v126, v126, v171 :: v_dual_mul_f32 v133, v13, v6
	v_mul_f32_e32 v6, v14, v6
	v_mul_f32_e32 v134, v15, v8
	s_delay_alu instid0(VALU_DEP_3) | instskip(NEXT) | instid1(VALU_DEP_3)
	v_dual_mul_f32 v8, v16, v8 :: v_dual_fmac_f32 v133, v14, v5
	v_fma_f32 v135, v13, v5, -v6
	s_delay_alu instid0(VALU_DEP_3) | instskip(NEXT) | instid1(VALU_DEP_3)
	v_fmac_f32_e32 v134, v16, v7
	v_fma_f32 v136, v15, v7, -v8
	ds_load_2addr_b64 v[5:8], v21 offset0:97 offset1:98
	v_add_f32_e32 v127, v127, v172
	v_add_f32_e32 v13, v126, v173
	s_delay_alu instid0(VALU_DEP_2) | instskip(NEXT) | instid1(VALU_DEP_1)
	v_add_f32_e32 v127, v127, v174
	v_dual_add_f32 v126, v127, v176 :: v_dual_add_f32 v127, v13, v175
	ds_load_2addr_b64 v[13:16], v21 offset0:99 offset1:100
	v_dual_add_f32 v137, v126, v178 :: v_dual_add_f32 v140, v127, v177
	ds_load_2addr_b64 v[126:129], v21 offset0:101 offset1:102
	v_add_f32_e32 v21, v137, v180
	s_delay_alu instid0(VALU_DEP_1) | instskip(NEXT) | instid1(VALU_DEP_1)
	v_add_f32_e32 v21, v21, v182
	v_add_f32_e32 v21, v21, v131
	s_wait_loadcnt_dscnt 0x102
	v_mul_f32_e32 v131, v7, v4
	v_mul_f32_e32 v4, v8, v4
	s_wait_dscnt 0x1
	v_mul_f32_e32 v141, v15, v12
	v_add_f32_e32 v21, v21, v132
	v_fmac_f32_e32 v131, v8, v3
	s_wait_loadcnt_dscnt 0x0
	v_mul_f32_e32 v132, v128, v20
	v_fma_f32 v3, v7, v3, -v4
	v_dual_mul_f32 v4, v16, v12 :: v_dual_add_f32 v21, v21, v135
	v_fmac_f32_e32 v141, v16, v11
	s_delay_alu instid0(VALU_DEP_4) | instskip(SKIP_3) | instid1(VALU_DEP_3)
	v_fmac_f32_e32 v132, v129, v19
	v_dual_add_f32 v137, v140, v179 :: v_dual_mul_f32 v140, v5, v2
	v_mul_f32_e32 v2, v6, v2
	v_fma_f32 v4, v15, v11, -v4
	v_add_f32_e32 v137, v137, v181
	s_delay_alu instid0(VALU_DEP_4) | instskip(NEXT) | instid1(VALU_DEP_4)
	v_fmac_f32_e32 v140, v6, v1
	v_fma_f32 v2, v5, v1, -v2
	v_dual_add_f32 v1, v21, v136 :: v_dual_mul_f32 v6, v14, v10
	s_delay_alu instid0(VALU_DEP_4) | instskip(SKIP_1) | instid1(VALU_DEP_3)
	v_add_f32_e32 v22, v137, v22
	v_mul_f32_e32 v137, v13, v10
	v_add_f32_e32 v1, v1, v2
	s_delay_alu instid0(VALU_DEP_3) | instskip(NEXT) | instid1(VALU_DEP_3)
	v_add_f32_e32 v22, v22, v130
	v_fmac_f32_e32 v137, v14, v9
	s_delay_alu instid0(VALU_DEP_3) | instskip(NEXT) | instid1(VALU_DEP_3)
	v_dual_mul_f32 v130, v126, v18 :: v_dual_add_f32 v1, v1, v3
	v_dual_mul_f32 v3, v127, v18 :: v_dual_add_f32 v22, v22, v133
	s_delay_alu instid0(VALU_DEP_2) | instskip(NEXT) | instid1(VALU_DEP_2)
	v_fmac_f32_e32 v130, v127, v17
	v_fma_f32 v3, v126, v17, -v3
	s_delay_alu instid0(VALU_DEP_3) | instskip(NEXT) | instid1(VALU_DEP_1)
	v_add_f32_e32 v5, v22, v134
	v_add_f32_e32 v2, v5, v140
	v_fma_f32 v5, v13, v9, -v6
	s_delay_alu instid0(VALU_DEP_1) | instskip(NEXT) | instid1(VALU_DEP_1)
	v_dual_add_f32 v2, v2, v131 :: v_dual_add_f32 v1, v1, v5
	v_dual_mul_f32 v5, v129, v20 :: v_dual_add_f32 v2, v2, v137
	s_delay_alu instid0(VALU_DEP_2) | instskip(NEXT) | instid1(VALU_DEP_2)
	v_add_f32_e32 v1, v1, v4
	v_fma_f32 v4, v128, v19, -v5
	s_delay_alu instid0(VALU_DEP_2) | instskip(NEXT) | instid1(VALU_DEP_1)
	v_dual_add_f32 v2, v2, v141 :: v_dual_add_f32 v1, v1, v3
	v_dual_add_f32 v2, v2, v130 :: v_dual_add_f32 v1, v1, v4
	s_delay_alu instid0(VALU_DEP_1) | instskip(NEXT) | instid1(VALU_DEP_1)
	v_add_f32_e32 v2, v2, v132
	v_dual_sub_f32 v1, v138, v1 :: v_dual_sub_f32 v2, v139, v2
	scratch_store_b64 off, v[1:2], off offset:64
	v_cmpx_lt_u32_e32 7, v0
	s_cbranch_execz .LBB50_305
; %bb.304:
	scratch_load_b64 v[1:2], off, off offset:56
	v_mov_b32_e32 v3, 0
	s_delay_alu instid0(VALU_DEP_1)
	v_mov_b32_e32 v4, v3
	scratch_store_b64 off, v[3:4], off offset:56
	s_wait_loadcnt 0x0
	ds_store_b64 v23, v[1:2]
.LBB50_305:
	s_wait_alu 0xfffe
	s_or_b32 exec_lo, exec_lo, s0
	s_wait_storecnt_dscnt 0x0
	s_barrier_signal -1
	s_barrier_wait -1
	global_inv scope:SCOPE_SE
	s_clause 0x4
	scratch_load_b128 v[5:8], off, off offset:64
	scratch_load_b128 v[1:4], off, off offset:80
	;; [unrolled: 1-line block ×5, first 2 shown]
	v_mov_b32_e32 v21, 0
	ds_load_b128 v[126:129], v21 offset:480
	ds_load_b128 v[130:133], v21 offset:496
	;; [unrolled: 1-line block ×3, first 2 shown]
	scratch_load_b64 v[138:139], off, off offset:56
	s_mov_b32 s0, exec_lo
	s_wait_loadcnt_dscnt 0x502
	v_mul_f32_e32 v22, v127, v6
	v_dual_mul_f32 v140, v126, v6 :: v_dual_mul_f32 v141, v128, v8
	v_mul_f32_e32 v6, v129, v8
	s_delay_alu instid0(VALU_DEP_3) | instskip(NEXT) | instid1(VALU_DEP_3)
	v_fma_f32 v22, v126, v5, -v22
	v_dual_fmac_f32 v140, v127, v5 :: v_dual_fmac_f32 v141, v129, v7
	s_wait_loadcnt_dscnt 0x401
	v_mul_f32_e32 v127, v130, v2
	v_fma_f32 v126, v128, v7, -v6
	ds_load_b128 v[5:8], v21 offset:528
	s_wait_loadcnt_dscnt 0x301
	v_dual_mul_f32 v128, v132, v4 :: v_dual_mul_f32 v129, v134, v10
	v_dual_mul_f32 v4, v133, v4 :: v_dual_fmac_f32 v127, v131, v1
	v_mul_f32_e32 v10, v135, v10
	s_delay_alu instid0(VALU_DEP_3)
	v_dual_mul_f32 v142, v136, v12 :: v_dual_fmac_f32 v129, v135, v9
	v_mul_f32_e32 v12, v137, v12
	v_mul_f32_e32 v2, v131, v2
	v_fmac_f32_e32 v128, v133, v3
	v_fma_f32 v131, v132, v3, -v4
	v_fma_f32 v132, v134, v9, -v10
	v_fmac_f32_e32 v142, v137, v11
	v_fma_f32 v133, v136, v11, -v12
	ds_load_b128 v[9:12], v21 offset:544
	s_wait_loadcnt_dscnt 0x201
	v_dual_mul_f32 v135, v7, v16 :: v_dual_mul_f32 v134, v5, v14
	v_mul_f32_e32 v14, v6, v14
	v_mul_f32_e32 v16, v8, v16
	s_delay_alu instid0(VALU_DEP_3)
	v_fmac_f32_e32 v135, v8, v15
	v_fma_f32 v130, v130, v1, -v2
	scratch_load_b128 v[1:4], off, off offset:144
	v_fmac_f32_e32 v134, v6, v13
	v_fma_f32 v13, v5, v13, -v14
	v_fma_f32 v14, v7, v15, -v16
	ds_load_b128 v[5:8], v21 offset:560
	s_wait_loadcnt_dscnt 0x201
	v_mul_f32_e32 v15, v9, v18
	v_mul_f32_e32 v16, v10, v18
	;; [unrolled: 1-line block ×3, first 2 shown]
	s_delay_alu instid0(VALU_DEP_3) | instskip(NEXT) | instid1(VALU_DEP_3)
	v_dual_mul_f32 v20, v12, v20 :: v_dual_fmac_f32 v15, v10, v17
	v_fma_f32 v16, v9, v17, -v16
	s_delay_alu instid0(VALU_DEP_3) | instskip(NEXT) | instid1(VALU_DEP_3)
	v_fmac_f32_e32 v18, v12, v19
	v_fma_f32 v17, v11, v19, -v20
	scratch_load_b128 v[9:12], off, off offset:160
	s_wait_loadcnt_dscnt 0x100
	v_mul_f32_e32 v19, v5, v2
	v_mul_f32_e32 v2, v6, v2
	;; [unrolled: 1-line block ×3, first 2 shown]
	s_delay_alu instid0(VALU_DEP_3) | instskip(NEXT) | instid1(VALU_DEP_3)
	v_dual_mul_f32 v4, v8, v4 :: v_dual_fmac_f32 v19, v6, v1
	v_fma_f32 v136, v5, v1, -v2
	s_delay_alu instid0(VALU_DEP_3) | instskip(NEXT) | instid1(VALU_DEP_3)
	v_fmac_f32_e32 v20, v8, v3
	v_fma_f32 v137, v7, v3, -v4
	ds_load_b128 v[1:4], v21 offset:576
	ds_load_b128 v[5:8], v21 offset:592
	s_wait_loadcnt_dscnt 0x1
	v_mul_f32_e32 v143, v1, v10
	v_mul_f32_e32 v10, v2, v10
	s_delay_alu instid0(VALU_DEP_2) | instskip(NEXT) | instid1(VALU_DEP_2)
	v_dual_mul_f32 v144, v3, v12 :: v_dual_fmac_f32 v143, v2, v9
	v_fma_f32 v145, v1, v9, -v10
	v_mul_f32_e32 v1, v4, v12
	s_delay_alu instid0(VALU_DEP_3) | instskip(NEXT) | instid1(VALU_DEP_2)
	v_fmac_f32_e32 v144, v4, v11
	v_fma_f32 v146, v3, v11, -v1
	s_clause 0x1
	scratch_load_b128 v[1:4], off, off offset:176
	scratch_load_b128 v[9:12], off, off offset:192
	s_wait_loadcnt_dscnt 0x100
	v_mul_f32_e32 v147, v5, v2
	v_dual_mul_f32 v2, v6, v2 :: v_dual_mul_f32 v149, v7, v4
	s_delay_alu instid0(VALU_DEP_2) | instskip(NEXT) | instid1(VALU_DEP_2)
	v_fmac_f32_e32 v147, v6, v1
	v_fma_f32 v148, v5, v1, -v2
	v_mul_f32_e32 v1, v8, v4
	s_delay_alu instid0(VALU_DEP_4) | instskip(NEXT) | instid1(VALU_DEP_2)
	v_fmac_f32_e32 v149, v8, v3
	v_fma_f32 v150, v7, v3, -v1
	ds_load_b128 v[1:4], v21 offset:608
	ds_load_b128 v[5:8], v21 offset:624
	s_wait_loadcnt_dscnt 0x1
	v_mul_f32_e32 v151, v1, v10
	v_mul_f32_e32 v153, v3, v12
	s_delay_alu instid0(VALU_DEP_2) | instskip(NEXT) | instid1(VALU_DEP_2)
	v_fmac_f32_e32 v151, v2, v9
	v_dual_mul_f32 v2, v2, v10 :: v_dual_fmac_f32 v153, v4, v11
	s_delay_alu instid0(VALU_DEP_1) | instskip(SKIP_1) | instid1(VALU_DEP_1)
	v_fma_f32 v152, v1, v9, -v2
	v_mul_f32_e32 v1, v4, v12
	v_fma_f32 v154, v3, v11, -v1
	s_clause 0x1
	scratch_load_b128 v[1:4], off, off offset:208
	scratch_load_b128 v[9:12], off, off offset:224
	s_wait_loadcnt_dscnt 0x100
	v_mul_f32_e32 v155, v5, v2
	v_dual_mul_f32 v157, v7, v4 :: v_dual_mul_f32 v2, v6, v2
	s_delay_alu instid0(VALU_DEP_2) | instskip(NEXT) | instid1(VALU_DEP_2)
	v_fmac_f32_e32 v155, v6, v1
	v_fmac_f32_e32 v157, v8, v3
	s_delay_alu instid0(VALU_DEP_3) | instskip(SKIP_1) | instid1(VALU_DEP_1)
	v_fma_f32 v156, v5, v1, -v2
	v_mul_f32_e32 v1, v8, v4
	v_fma_f32 v158, v7, v3, -v1
	ds_load_b128 v[1:4], v21 offset:640
	ds_load_b128 v[5:8], v21 offset:656
	s_wait_loadcnt_dscnt 0x1
	v_mul_f32_e32 v159, v1, v10
	v_mul_f32_e32 v161, v3, v12
	s_delay_alu instid0(VALU_DEP_2) | instskip(NEXT) | instid1(VALU_DEP_2)
	v_fmac_f32_e32 v159, v2, v9
	v_dual_mul_f32 v2, v2, v10 :: v_dual_fmac_f32 v161, v4, v11
	s_delay_alu instid0(VALU_DEP_1) | instskip(SKIP_1) | instid1(VALU_DEP_1)
	v_fma_f32 v160, v1, v9, -v2
	v_mul_f32_e32 v1, v4, v12
	v_fma_f32 v162, v3, v11, -v1
	s_clause 0x1
	scratch_load_b128 v[1:4], off, off offset:240
	scratch_load_b128 v[9:12], off, off offset:256
	s_wait_loadcnt_dscnt 0x100
	v_mul_f32_e32 v163, v5, v2
	v_dual_mul_f32 v2, v6, v2 :: v_dual_mul_f32 v165, v7, v4
	s_delay_alu instid0(VALU_DEP_2) | instskip(NEXT) | instid1(VALU_DEP_2)
	v_fmac_f32_e32 v163, v6, v1
	v_fma_f32 v164, v5, v1, -v2
	v_mul_f32_e32 v1, v8, v4
	s_delay_alu instid0(VALU_DEP_4) | instskip(NEXT) | instid1(VALU_DEP_2)
	v_fmac_f32_e32 v165, v8, v3
	v_fma_f32 v166, v7, v3, -v1
	ds_load_b128 v[1:4], v21 offset:672
	ds_load_b128 v[5:8], v21 offset:688
	s_wait_loadcnt_dscnt 0x1
	v_mul_f32_e32 v167, v1, v10
	v_mul_f32_e32 v169, v3, v12
	s_delay_alu instid0(VALU_DEP_2) | instskip(NEXT) | instid1(VALU_DEP_2)
	v_fmac_f32_e32 v167, v2, v9
	v_dual_mul_f32 v2, v2, v10 :: v_dual_fmac_f32 v169, v4, v11
	s_delay_alu instid0(VALU_DEP_1) | instskip(SKIP_1) | instid1(VALU_DEP_1)
	v_fma_f32 v168, v1, v9, -v2
	v_mul_f32_e32 v1, v4, v12
	v_fma_f32 v170, v3, v11, -v1
	s_clause 0x1
	scratch_load_b128 v[1:4], off, off offset:272
	scratch_load_b128 v[9:12], off, off offset:288
	s_wait_loadcnt_dscnt 0x100
	v_mul_f32_e32 v171, v5, v2
	v_dual_mul_f32 v2, v6, v2 :: v_dual_mul_f32 v173, v7, v4
	s_delay_alu instid0(VALU_DEP_2) | instskip(NEXT) | instid1(VALU_DEP_2)
	v_fmac_f32_e32 v171, v6, v1
	v_fma_f32 v172, v5, v1, -v2
	v_mul_f32_e32 v1, v8, v4
	s_delay_alu instid0(VALU_DEP_4) | instskip(NEXT) | instid1(VALU_DEP_2)
	v_fmac_f32_e32 v173, v8, v3
	v_fma_f32 v174, v7, v3, -v1
	ds_load_b128 v[1:4], v21 offset:704
	ds_load_b128 v[5:8], v21 offset:720
	s_wait_loadcnt_dscnt 0x1
	v_mul_f32_e32 v175, v1, v10
	v_mul_f32_e32 v177, v3, v12
	s_delay_alu instid0(VALU_DEP_2) | instskip(NEXT) | instid1(VALU_DEP_2)
	v_fmac_f32_e32 v175, v2, v9
	v_dual_mul_f32 v2, v2, v10 :: v_dual_fmac_f32 v177, v4, v11
	s_delay_alu instid0(VALU_DEP_1) | instskip(SKIP_1) | instid1(VALU_DEP_1)
	v_fma_f32 v176, v1, v9, -v2
	v_mul_f32_e32 v1, v4, v12
	v_fma_f32 v178, v3, v11, -v1
	s_clause 0x1
	scratch_load_b128 v[1:4], off, off offset:304
	scratch_load_b128 v[9:12], off, off offset:320
	s_wait_loadcnt_dscnt 0x100
	v_mul_f32_e32 v179, v5, v2
	v_mul_f32_e32 v2, v6, v2
	s_delay_alu instid0(VALU_DEP_1) | instskip(SKIP_1) | instid1(VALU_DEP_1)
	v_fma_f32 v180, v5, v1, -v2
	v_add_f32_e32 v2, 0, v140
	v_add_f32_e32 v2, v2, v141
	s_delay_alu instid0(VALU_DEP_1) | instskip(NEXT) | instid1(VALU_DEP_1)
	v_add_f32_e32 v2, v2, v127
	v_add_f32_e32 v2, v2, v128
	s_delay_alu instid0(VALU_DEP_1) | instskip(NEXT) | instid1(VALU_DEP_1)
	;; [unrolled: 3-line block ×7, first 2 shown]
	v_add_f32_e32 v2, v2, v147
	v_add_f32_e32 v2, v2, v149
	v_fmac_f32_e32 v179, v6, v1
	v_mul_f32_e32 v1, v8, v4
	s_delay_alu instid0(VALU_DEP_3) | instskip(NEXT) | instid1(VALU_DEP_2)
	v_dual_mul_f32 v181, v7, v4 :: v_dual_add_f32 v2, v2, v151
	v_fma_f32 v182, v7, v3, -v1
	v_add_f32_e32 v1, 0, v22
	s_delay_alu instid0(VALU_DEP_3) | instskip(NEXT) | instid1(VALU_DEP_2)
	v_add_f32_e32 v5, v2, v153
	v_add_f32_e32 v1, v1, v126
	s_delay_alu instid0(VALU_DEP_1) | instskip(NEXT) | instid1(VALU_DEP_1)
	v_add_f32_e32 v1, v1, v130
	v_add_f32_e32 v1, v1, v131
	scratch_load_b64 v[130:131], off, off offset:400
	v_add_f32_e32 v1, v1, v132
	s_delay_alu instid0(VALU_DEP_1) | instskip(NEXT) | instid1(VALU_DEP_1)
	v_add_f32_e32 v1, v1, v133
	v_add_f32_e32 v1, v1, v13
	;; [unrolled: 1-line block ×3, first 2 shown]
	s_delay_alu instid0(VALU_DEP_2) | instskip(NEXT) | instid1(VALU_DEP_2)
	v_add_f32_e32 v1, v1, v14
	v_add_f32_e32 v13, v13, v157
	s_delay_alu instid0(VALU_DEP_2) | instskip(NEXT) | instid1(VALU_DEP_1)
	v_add_f32_e32 v1, v1, v16
	v_add_f32_e32 v1, v1, v17
	s_delay_alu instid0(VALU_DEP_1) | instskip(NEXT) | instid1(VALU_DEP_1)
	v_add_f32_e32 v1, v1, v136
	v_add_f32_e32 v1, v1, v137
	s_delay_alu instid0(VALU_DEP_1) | instskip(NEXT) | instid1(VALU_DEP_1)
	;; [unrolled: 3-line block ×4, first 2 shown]
	v_add_f32_e32 v1, v1, v152
	v_add_f32_e32 v1, v1, v154
	s_delay_alu instid0(VALU_DEP_1)
	v_dual_add_f32 v6, v1, v156 :: v_dual_fmac_f32 v181, v8, v3
	scratch_load_b128 v[1:4], off, off offset:336
	v_dual_add_f32 v13, v13, v159 :: v_dual_add_f32 v14, v6, v158
	ds_load_b128 v[5:8], v21 offset:736
	v_add_f32_e32 v18, v13, v161
	v_add_f32_e32 v14, v14, v160
	s_delay_alu instid0(VALU_DEP_1)
	v_add_f32_e32 v17, v14, v162
	ds_load_b128 v[13:16], v21 offset:752
	s_wait_loadcnt_dscnt 0x201
	v_mul_f32_e32 v22, v5, v10
	v_add_f32_e32 v18, v18, v163
	v_mul_f32_e32 v10, v6, v10
	v_mul_f32_e32 v134, v7, v12
	;; [unrolled: 1-line block ×3, first 2 shown]
	v_fmac_f32_e32 v22, v6, v9
	v_add_f32_e32 v18, v18, v165
	v_fma_f32 v135, v5, v9, -v10
	v_fmac_f32_e32 v134, v8, v11
	v_fma_f32 v136, v7, v11, -v12
	scratch_load_b128 v[9:12], off, off offset:368
	v_add_f32_e32 v126, v18, v167
	scratch_load_b128 v[5:8], off, off offset:352
	v_add_f32_e32 v126, v126, v169
	s_delay_alu instid0(VALU_DEP_1) | instskip(SKIP_1) | instid1(VALU_DEP_1)
	v_add_f32_e32 v126, v126, v171
	s_wait_loadcnt_dscnt 0x200
	v_dual_add_f32 v126, v126, v173 :: v_dual_mul_f32 v137, v13, v2
	v_mul_f32_e32 v2, v14, v2
	v_mul_f32_e32 v140, v15, v4
	s_delay_alu instid0(VALU_DEP_3) | instskip(NEXT) | instid1(VALU_DEP_3)
	v_dual_mul_f32 v4, v16, v4 :: v_dual_fmac_f32 v137, v14, v1
	v_fma_f32 v141, v13, v1, -v2
	v_add_f32_e32 v13, v126, v175
	s_delay_alu instid0(VALU_DEP_4) | instskip(NEXT) | instid1(VALU_DEP_4)
	v_fmac_f32_e32 v140, v16, v3
	v_fma_f32 v142, v15, v3, -v4
	ds_load_b128 v[1:4], v21 offset:768
	v_add_f32_e32 v126, v13, v177
	v_add_f32_e32 v17, v17, v164
	s_delay_alu instid0(VALU_DEP_2) | instskip(NEXT) | instid1(VALU_DEP_1)
	v_add_f32_e32 v133, v126, v179
	v_add_f32_e32 v144, v133, v181
	s_delay_alu instid0(VALU_DEP_1) | instskip(NEXT) | instid1(VALU_DEP_1)
	v_add_f32_e32 v22, v144, v22
	v_add_f32_e32 v22, v22, v134
	s_delay_alu instid0(VALU_DEP_1) | instskip(NEXT) | instid1(VALU_DEP_1)
	v_dual_add_f32 v22, v22, v137 :: v_dual_add_f32 v17, v17, v166
	v_add_f32_e32 v22, v22, v140
	s_delay_alu instid0(VALU_DEP_2) | instskip(NEXT) | instid1(VALU_DEP_1)
	v_add_f32_e32 v17, v17, v168
	v_add_f32_e32 v127, v17, v170
	scratch_load_b128 v[17:20], off, off offset:384
	v_add_f32_e32 v127, v127, v172
	s_delay_alu instid0(VALU_DEP_1) | instskip(NEXT) | instid1(VALU_DEP_1)
	v_add_f32_e32 v127, v127, v174
	v_add_f32_e32 v127, v127, v176
	s_delay_alu instid0(VALU_DEP_1)
	v_add_f32_e32 v14, v127, v178
	ds_load_b128 v[126:129], v21 offset:800
	v_add_f32_e32 v132, v14, v180
	ds_load_b128 v[13:16], v21 offset:784
	s_wait_loadcnt_dscnt 0x102
	v_mul_f32_e32 v134, v3, v8
	v_mul_f32_e32 v8, v4, v8
	s_wait_dscnt 0x0
	s_delay_alu instid0(VALU_DEP_2) | instskip(NEXT) | instid1(VALU_DEP_1)
	v_dual_fmac_f32 v134, v4, v7 :: v_dual_mul_f32 v137, v15, v12
	v_fmac_f32_e32 v137, v16, v11
	v_add_f32_e32 v143, v132, v182
	ds_load_b64 v[132:133], v21 offset:816
	s_wait_dscnt 0x0
	v_mul_f32_e32 v140, v132, v131
	s_delay_alu instid0(VALU_DEP_1) | instskip(NEXT) | instid1(VALU_DEP_1)
	v_dual_add_f32 v135, v143, v135 :: v_dual_fmac_f32 v140, v133, v130
	v_add_f32_e32 v135, v135, v136
	v_mul_f32_e32 v143, v1, v6
	v_mul_f32_e32 v6, v2, v6
	s_delay_alu instid0(VALU_DEP_3) | instskip(NEXT) | instid1(VALU_DEP_3)
	v_dual_mul_f32 v136, v13, v10 :: v_dual_add_f32 v135, v135, v141
	v_fmac_f32_e32 v143, v2, v5
	s_delay_alu instid0(VALU_DEP_3) | instskip(SKIP_2) | instid1(VALU_DEP_4)
	v_fma_f32 v1, v1, v5, -v6
	v_fma_f32 v2, v3, v7, -v8
	v_mul_f32_e32 v3, v14, v10
	v_dual_add_f32 v135, v135, v142 :: v_dual_add_f32 v4, v22, v143
	v_dual_mul_f32 v5, v16, v12 :: v_dual_fmac_f32 v136, v14, v9
	s_delay_alu instid0(VALU_DEP_3) | instskip(NEXT) | instid1(VALU_DEP_3)
	v_fma_f32 v3, v13, v9, -v3
	v_add_f32_e32 v1, v135, v1
	s_delay_alu instid0(VALU_DEP_3) | instskip(NEXT) | instid1(VALU_DEP_2)
	v_fma_f32 v5, v15, v11, -v5
	v_add_f32_e32 v1, v1, v2
	s_delay_alu instid0(VALU_DEP_1) | instskip(NEXT) | instid1(VALU_DEP_1)
	v_dual_add_f32 v2, v4, v134 :: v_dual_add_f32 v1, v1, v3
	v_dual_add_f32 v2, v2, v136 :: v_dual_add_f32 v1, v1, v5
	s_delay_alu instid0(VALU_DEP_1)
	v_dual_add_f32 v2, v2, v137 :: v_dual_mul_f32 v5, v133, v131
	s_wait_loadcnt 0x0
	v_mul_f32_e32 v141, v126, v18
	v_mul_f32_e32 v4, v127, v18
	v_mul_f32_e32 v142, v128, v20
	v_mul_f32_e32 v3, v129, v20
	s_delay_alu instid0(VALU_DEP_4) | instskip(NEXT) | instid1(VALU_DEP_4)
	v_fmac_f32_e32 v141, v127, v17
	v_fma_f32 v4, v126, v17, -v4
	s_delay_alu instid0(VALU_DEP_4) | instskip(NEXT) | instid1(VALU_DEP_4)
	v_fmac_f32_e32 v142, v129, v19
	v_fma_f32 v3, v128, v19, -v3
	s_delay_alu instid0(VALU_DEP_3) | instskip(SKIP_1) | instid1(VALU_DEP_2)
	v_dual_add_f32 v2, v2, v141 :: v_dual_add_f32 v1, v1, v4
	v_fma_f32 v4, v132, v130, -v5
	v_dual_add_f32 v2, v2, v142 :: v_dual_add_f32 v1, v1, v3
	s_delay_alu instid0(VALU_DEP_1) | instskip(NEXT) | instid1(VALU_DEP_1)
	v_add_f32_e32 v2, v2, v140
	v_dual_add_f32 v1, v1, v4 :: v_dual_sub_f32 v2, v139, v2
	s_delay_alu instid0(VALU_DEP_1)
	v_sub_f32_e32 v1, v138, v1
	scratch_store_b64 off, v[1:2], off offset:56
	v_cmpx_lt_u32_e32 6, v0
	s_cbranch_execz .LBB50_307
; %bb.306:
	scratch_load_b64 v[1:2], off, off offset:48
	v_mov_b32_e32 v22, v21
	scratch_store_b64 off, v[21:22], off offset:48
	s_wait_loadcnt 0x0
	ds_store_b64 v23, v[1:2]
.LBB50_307:
	s_wait_alu 0xfffe
	s_or_b32 exec_lo, exec_lo, s0
	s_wait_storecnt_dscnt 0x0
	s_barrier_signal -1
	s_barrier_wait -1
	global_inv scope:SCOPE_SE
	s_clause 0x4
	scratch_load_b128 v[5:8], off, off offset:56
	scratch_load_b128 v[1:4], off, off offset:72
	;; [unrolled: 1-line block ×5, first 2 shown]
	ds_load_2addr_b64 v[126:129], v21 offset0:59 offset1:60
	ds_load_2addr_b64 v[130:133], v21 offset0:61 offset1:62
	;; [unrolled: 1-line block ×3, first 2 shown]
	scratch_load_b64 v[138:139], off, off offset:48
	s_mov_b32 s0, exec_lo
	s_wait_loadcnt_dscnt 0x502
	v_dual_mul_f32 v22, v127, v6 :: v_dual_mul_f32 v141, v128, v8
	v_mul_f32_e32 v140, v126, v6
	v_mul_f32_e32 v6, v129, v8
	s_wait_loadcnt_dscnt 0x300
	v_mul_f32_e32 v142, v136, v12
	v_fma_f32 v22, v126, v5, -v22
	v_dual_fmac_f32 v141, v129, v7 :: v_dual_fmac_f32 v140, v127, v5
	v_mul_f32_e32 v129, v134, v10
	v_mul_f32_e32 v127, v130, v2
	v_fma_f32 v126, v128, v7, -v6
	ds_load_2addr_b64 v[5:8], v21 offset0:65 offset1:66
	v_mul_f32_e32 v128, v132, v4
	v_dual_mul_f32 v4, v133, v4 :: v_dual_fmac_f32 v129, v135, v9
	v_mul_f32_e32 v10, v135, v10
	v_mul_f32_e32 v12, v137, v12
	;; [unrolled: 1-line block ×3, first 2 shown]
	v_dual_fmac_f32 v127, v131, v1 :: v_dual_fmac_f32 v128, v133, v3
	v_fma_f32 v131, v132, v3, -v4
	v_fma_f32 v132, v134, v9, -v10
	v_fmac_f32_e32 v142, v137, v11
	v_fma_f32 v133, v136, v11, -v12
	ds_load_2addr_b64 v[9:12], v21 offset0:67 offset1:68
	s_wait_loadcnt_dscnt 0x201
	v_dual_mul_f32 v135, v7, v16 :: v_dual_mul_f32 v134, v5, v14
	s_delay_alu instid0(VALU_DEP_1)
	v_dual_mul_f32 v14, v6, v14 :: v_dual_fmac_f32 v135, v8, v15
	v_fma_f32 v130, v130, v1, -v2
	scratch_load_b128 v[1:4], off, off offset:136
	v_mul_f32_e32 v16, v8, v16
	v_fmac_f32_e32 v134, v6, v13
	v_fma_f32 v13, v5, v13, -v14
	s_delay_alu instid0(VALU_DEP_3)
	v_fma_f32 v14, v7, v15, -v16
	s_wait_loadcnt_dscnt 0x200
	v_mul_f32_e32 v15, v9, v18
	v_mul_f32_e32 v16, v10, v18
	;; [unrolled: 1-line block ×4, first 2 shown]
	ds_load_2addr_b64 v[5:8], v21 offset0:69 offset1:70
	v_fmac_f32_e32 v15, v10, v17
	v_fma_f32 v16, v9, v17, -v16
	v_fmac_f32_e32 v18, v12, v19
	v_fma_f32 v17, v11, v19, -v20
	scratch_load_b128 v[9:12], off, off offset:152
	s_wait_loadcnt_dscnt 0x100
	v_mul_f32_e32 v19, v5, v2
	v_mul_f32_e32 v2, v6, v2
	;; [unrolled: 1-line block ×3, first 2 shown]
	s_delay_alu instid0(VALU_DEP_3) | instskip(NEXT) | instid1(VALU_DEP_3)
	v_dual_mul_f32 v4, v8, v4 :: v_dual_fmac_f32 v19, v6, v1
	v_fma_f32 v136, v5, v1, -v2
	s_delay_alu instid0(VALU_DEP_3) | instskip(NEXT) | instid1(VALU_DEP_3)
	v_fmac_f32_e32 v20, v8, v3
	v_fma_f32 v137, v7, v3, -v4
	ds_load_2addr_b64 v[1:4], v21 offset0:71 offset1:72
	ds_load_2addr_b64 v[5:8], v21 offset0:73 offset1:74
	s_wait_loadcnt_dscnt 0x1
	v_mul_f32_e32 v143, v1, v10
	v_mul_f32_e32 v10, v2, v10
	s_delay_alu instid0(VALU_DEP_2) | instskip(NEXT) | instid1(VALU_DEP_2)
	v_dual_mul_f32 v144, v3, v12 :: v_dual_fmac_f32 v143, v2, v9
	v_fma_f32 v145, v1, v9, -v10
	v_mul_f32_e32 v1, v4, v12
	s_delay_alu instid0(VALU_DEP_3) | instskip(NEXT) | instid1(VALU_DEP_2)
	v_fmac_f32_e32 v144, v4, v11
	v_fma_f32 v146, v3, v11, -v1
	s_clause 0x1
	scratch_load_b128 v[1:4], off, off offset:168
	scratch_load_b128 v[9:12], off, off offset:184
	s_wait_loadcnt_dscnt 0x100
	v_mul_f32_e32 v147, v5, v2
	v_dual_mul_f32 v2, v6, v2 :: v_dual_mul_f32 v149, v7, v4
	s_delay_alu instid0(VALU_DEP_2) | instskip(NEXT) | instid1(VALU_DEP_2)
	v_fmac_f32_e32 v147, v6, v1
	v_fma_f32 v148, v5, v1, -v2
	v_mul_f32_e32 v1, v8, v4
	s_delay_alu instid0(VALU_DEP_4) | instskip(NEXT) | instid1(VALU_DEP_2)
	v_fmac_f32_e32 v149, v8, v3
	v_fma_f32 v150, v7, v3, -v1
	ds_load_2addr_b64 v[1:4], v21 offset0:75 offset1:76
	ds_load_2addr_b64 v[5:8], v21 offset0:77 offset1:78
	s_wait_loadcnt_dscnt 0x1
	v_mul_f32_e32 v151, v1, v10
	v_mul_f32_e32 v153, v3, v12
	s_delay_alu instid0(VALU_DEP_2) | instskip(NEXT) | instid1(VALU_DEP_2)
	v_fmac_f32_e32 v151, v2, v9
	v_dual_mul_f32 v2, v2, v10 :: v_dual_fmac_f32 v153, v4, v11
	s_delay_alu instid0(VALU_DEP_1) | instskip(SKIP_1) | instid1(VALU_DEP_1)
	v_fma_f32 v152, v1, v9, -v2
	v_mul_f32_e32 v1, v4, v12
	v_fma_f32 v154, v3, v11, -v1
	s_clause 0x1
	scratch_load_b128 v[1:4], off, off offset:200
	scratch_load_b128 v[9:12], off, off offset:216
	s_wait_loadcnt_dscnt 0x100
	v_mul_f32_e32 v155, v5, v2
	v_dual_mul_f32 v2, v6, v2 :: v_dual_mul_f32 v157, v7, v4
	s_delay_alu instid0(VALU_DEP_2) | instskip(NEXT) | instid1(VALU_DEP_2)
	v_fmac_f32_e32 v155, v6, v1
	v_fma_f32 v156, v5, v1, -v2
	v_mul_f32_e32 v1, v8, v4
	s_delay_alu instid0(VALU_DEP_4) | instskip(NEXT) | instid1(VALU_DEP_2)
	v_fmac_f32_e32 v157, v8, v3
	v_fma_f32 v158, v7, v3, -v1
	ds_load_2addr_b64 v[1:4], v21 offset0:79 offset1:80
	ds_load_2addr_b64 v[5:8], v21 offset0:81 offset1:82
	s_wait_loadcnt_dscnt 0x1
	v_mul_f32_e32 v159, v1, v10
	v_mul_f32_e32 v161, v3, v12
	s_delay_alu instid0(VALU_DEP_2) | instskip(NEXT) | instid1(VALU_DEP_2)
	v_fmac_f32_e32 v159, v2, v9
	v_dual_mul_f32 v2, v2, v10 :: v_dual_fmac_f32 v161, v4, v11
	s_delay_alu instid0(VALU_DEP_1) | instskip(SKIP_1) | instid1(VALU_DEP_1)
	v_fma_f32 v160, v1, v9, -v2
	v_mul_f32_e32 v1, v4, v12
	;; [unrolled: 25-line block ×5, first 2 shown]
	v_fma_f32 v186, v3, v11, -v1
	s_clause 0x1
	scratch_load_b128 v[1:4], off, off offset:328
	scratch_load_b128 v[9:12], off, off offset:344
	s_wait_loadcnt_dscnt 0x100
	v_mul_f32_e32 v187, v5, v2
	v_mul_f32_e32 v2, v6, v2
	s_delay_alu instid0(VALU_DEP_2) | instskip(NEXT) | instid1(VALU_DEP_2)
	v_fmac_f32_e32 v187, v6, v1
	v_fma_f32 v188, v5, v1, -v2
	v_add_f32_e32 v2, 0, v140
	s_delay_alu instid0(VALU_DEP_1) | instskip(NEXT) | instid1(VALU_DEP_1)
	v_dual_mul_f32 v1, v8, v4 :: v_dual_add_f32 v2, v2, v141
	v_fma_f32 v190, v7, v3, -v1
	s_delay_alu instid0(VALU_DEP_2) | instskip(NEXT) | instid1(VALU_DEP_1)
	v_dual_add_f32 v1, 0, v22 :: v_dual_add_f32 v2, v2, v127
	v_dual_add_f32 v1, v1, v126 :: v_dual_add_f32 v2, v2, v128
	s_delay_alu instid0(VALU_DEP_1) | instskip(NEXT) | instid1(VALU_DEP_1)
	v_dual_add_f32 v1, v1, v130 :: v_dual_add_f32 v2, v2, v129
	v_dual_add_f32 v1, v1, v131 :: v_dual_add_f32 v2, v2, v142
	s_delay_alu instid0(VALU_DEP_1) | instskip(NEXT) | instid1(VALU_DEP_1)
	v_add_f32_e32 v2, v2, v134
	v_add_f32_e32 v2, v2, v135
	s_delay_alu instid0(VALU_DEP_1) | instskip(NEXT) | instid1(VALU_DEP_1)
	v_add_f32_e32 v2, v2, v15
	v_add_f32_e32 v2, v2, v18
	;; [unrolled: 3-line block ×4, first 2 shown]
	s_delay_alu instid0(VALU_DEP_1) | instskip(NEXT) | instid1(VALU_DEP_1)
	v_dual_add_f32 v1, v1, v132 :: v_dual_add_f32 v2, v2, v147
	v_add_f32_e32 v1, v1, v133
	s_delay_alu instid0(VALU_DEP_2) | instskip(NEXT) | instid1(VALU_DEP_1)
	v_add_f32_e32 v2, v2, v149
	v_dual_add_f32 v1, v1, v13 :: v_dual_add_f32 v2, v2, v151
	s_delay_alu instid0(VALU_DEP_1) | instskip(NEXT) | instid1(VALU_DEP_1)
	v_dual_add_f32 v1, v1, v14 :: v_dual_add_f32 v2, v2, v153
	v_dual_add_f32 v1, v1, v16 :: v_dual_add_f32 v2, v2, v155
	s_delay_alu instid0(VALU_DEP_1) | instskip(NEXT) | instid1(VALU_DEP_1)
	v_add_f32_e32 v1, v1, v17
	v_dual_add_f32 v2, v2, v157 :: v_dual_add_f32 v1, v1, v136
	s_delay_alu instid0(VALU_DEP_1) | instskip(NEXT) | instid1(VALU_DEP_1)
	v_add_f32_e32 v1, v1, v137
	v_add_f32_e32 v1, v1, v145
	s_delay_alu instid0(VALU_DEP_1) | instskip(NEXT) | instid1(VALU_DEP_1)
	v_add_f32_e32 v1, v1, v146
	v_add_f32_e32 v1, v1, v148
	;; [unrolled: 3-line block ×5, first 2 shown]
	s_delay_alu instid0(VALU_DEP_1) | instskip(NEXT) | instid1(VALU_DEP_1)
	v_dual_add_f32 v6, v1, v162 :: v_dual_add_f32 v5, v2, v159
	v_dual_add_f32 v6, v6, v164 :: v_dual_add_f32 v5, v5, v161
	s_delay_alu instid0(VALU_DEP_1) | instskip(NEXT) | instid1(VALU_DEP_2)
	v_add_f32_e32 v13, v6, v166
	v_add_f32_e32 v5, v5, v163
	v_mul_f32_e32 v189, v7, v4
	s_delay_alu instid0(VALU_DEP_3) | instskip(NEXT) | instid1(VALU_DEP_2)
	v_add_f32_e32 v13, v13, v168
	v_dual_add_f32 v14, v5, v165 :: v_dual_fmac_f32 v189, v8, v3
	ds_load_2addr_b64 v[1:4], v21 offset0:95 offset1:96
	ds_load_2addr_b64 v[5:8], v21 offset0:97 offset1:98
	v_add_f32_e32 v13, v13, v170
	s_delay_alu instid0(VALU_DEP_1) | instskip(NEXT) | instid1(VALU_DEP_1)
	v_add_f32_e32 v13, v13, v172
	v_add_f32_e32 v18, v13, v174
	s_delay_alu instid0(VALU_DEP_1)
	v_add_f32_e32 v18, v18, v176
	s_wait_loadcnt_dscnt 0x1
	v_mul_f32_e32 v22, v1, v10
	v_mul_f32_e32 v130, v3, v12
	;; [unrolled: 1-line block ×4, first 2 shown]
	v_add_f32_e32 v14, v14, v167
	v_fmac_f32_e32 v22, v2, v9
	v_fmac_f32_e32 v130, v4, v11
	v_fma_f32 v131, v1, v9, -v10
	v_fma_f32 v132, v3, v11, -v12
	s_clause 0x1
	scratch_load_b128 v[1:4], off, off offset:360
	scratch_load_b128 v[9:12], off, off offset:376
	v_add_f32_e32 v14, v14, v169
	v_add_f32_e32 v18, v18, v178
	s_delay_alu instid0(VALU_DEP_2) | instskip(SKIP_2) | instid1(VALU_DEP_1)
	v_add_f32_e32 v17, v14, v171
	scratch_load_b128 v[13:16], off, off offset:392
	v_dual_add_f32 v126, v18, v180 :: v_dual_add_f32 v17, v17, v173
	v_add_f32_e32 v133, v126, v182
	s_delay_alu instid0(VALU_DEP_2) | instskip(NEXT) | instid1(VALU_DEP_1)
	v_add_f32_e32 v17, v17, v175
	v_add_f32_e32 v17, v17, v177
	s_delay_alu instid0(VALU_DEP_1)
	v_add_f32_e32 v127, v17, v179
	ds_load_2addr_b64 v[17:20], v21 offset0:99 offset1:100
	v_add_f32_e32 v134, v127, v181
	ds_load_2addr_b64 v[126:129], v21 offset0:101 offset1:102
	v_add_f32_e32 v21, v133, v184
	v_add_f32_e32 v133, v134, v183
	s_delay_alu instid0(VALU_DEP_2) | instskip(NEXT) | instid1(VALU_DEP_2)
	v_add_f32_e32 v21, v21, v186
	v_add_f32_e32 v133, v133, v185
	s_delay_alu instid0(VALU_DEP_2) | instskip(NEXT) | instid1(VALU_DEP_1)
	v_add_f32_e32 v21, v21, v188
	v_add_f32_e32 v21, v21, v190
	s_delay_alu instid0(VALU_DEP_1)
	v_add_f32_e32 v21, v21, v131
	s_wait_loadcnt_dscnt 0x202
	v_mul_f32_e32 v134, v5, v2
	s_wait_loadcnt_dscnt 0x101
	v_mul_f32_e32 v136, v17, v10
	v_dual_add_f32 v133, v133, v187 :: v_dual_mul_f32 v2, v6, v2
	v_mul_f32_e32 v135, v7, v4
	v_mul_f32_e32 v4, v8, v4
	v_fmac_f32_e32 v134, v6, v1
	s_delay_alu instid0(VALU_DEP_4) | instskip(SKIP_2) | instid1(VALU_DEP_3)
	v_add_f32_e32 v133, v133, v189
	v_fma_f32 v2, v5, v1, -v2
	v_dual_add_f32 v1, v21, v132 :: v_dual_mul_f32 v6, v18, v10
	v_dual_fmac_f32 v135, v8, v3 :: v_dual_add_f32 v22, v133, v22
	v_fma_f32 v3, v7, v3, -v4
	s_delay_alu instid0(VALU_DEP_3) | instskip(SKIP_1) | instid1(VALU_DEP_4)
	v_add_f32_e32 v1, v1, v2
	v_mul_f32_e32 v137, v19, v12
	v_dual_mul_f32 v4, v20, v12 :: v_dual_add_f32 v5, v22, v130
	s_delay_alu instid0(VALU_DEP_3)
	v_dual_fmac_f32 v136, v18, v9 :: v_dual_add_f32 v1, v1, v3
	s_wait_loadcnt_dscnt 0x0
	v_mul_f32_e32 v140, v126, v14
	v_mul_f32_e32 v3, v127, v14
	v_add_f32_e32 v2, v5, v134
	v_fma_f32 v5, v17, v9, -v6
	v_fmac_f32_e32 v137, v20, v11
	v_fma_f32 v4, v19, v11, -v4
	s_delay_alu instid0(VALU_DEP_4) | instskip(NEXT) | instid1(VALU_DEP_4)
	v_dual_mul_f32 v131, v128, v16 :: v_dual_add_f32 v2, v2, v135
	v_add_f32_e32 v1, v1, v5
	v_dual_mul_f32 v5, v129, v16 :: v_dual_fmac_f32 v140, v127, v13
	v_fma_f32 v3, v126, v13, -v3
	s_delay_alu instid0(VALU_DEP_4) | instskip(NEXT) | instid1(VALU_DEP_4)
	v_add_f32_e32 v2, v2, v136
	v_add_f32_e32 v1, v1, v4
	v_fmac_f32_e32 v131, v129, v15
	v_fma_f32 v4, v128, v15, -v5
	s_delay_alu instid0(VALU_DEP_3) | instskip(NEXT) | instid1(VALU_DEP_1)
	v_dual_add_f32 v2, v2, v137 :: v_dual_add_f32 v1, v1, v3
	v_add_f32_e32 v2, v2, v140
	s_delay_alu instid0(VALU_DEP_1) | instskip(NEXT) | instid1(VALU_DEP_1)
	v_dual_add_f32 v1, v1, v4 :: v_dual_add_f32 v2, v2, v131
	v_dual_sub_f32 v1, v138, v1 :: v_dual_sub_f32 v2, v139, v2
	scratch_store_b64 off, v[1:2], off offset:48
	v_cmpx_lt_u32_e32 5, v0
	s_cbranch_execz .LBB50_309
; %bb.308:
	scratch_load_b64 v[1:2], off, off offset:40
	v_mov_b32_e32 v3, 0
	s_delay_alu instid0(VALU_DEP_1)
	v_mov_b32_e32 v4, v3
	scratch_store_b64 off, v[3:4], off offset:40
	s_wait_loadcnt 0x0
	ds_store_b64 v23, v[1:2]
.LBB50_309:
	s_wait_alu 0xfffe
	s_or_b32 exec_lo, exec_lo, s0
	s_wait_storecnt_dscnt 0x0
	s_barrier_signal -1
	s_barrier_wait -1
	global_inv scope:SCOPE_SE
	s_clause 0x4
	scratch_load_b128 v[5:8], off, off offset:48
	scratch_load_b128 v[1:4], off, off offset:64
	;; [unrolled: 1-line block ×5, first 2 shown]
	v_mov_b32_e32 v21, 0
	ds_load_b128 v[126:129], v21 offset:464
	ds_load_b128 v[130:133], v21 offset:480
	ds_load_b128 v[134:137], v21 offset:496
	scratch_load_b64 v[138:139], off, off offset:40
	s_mov_b32 s0, exec_lo
	s_wait_loadcnt_dscnt 0x502
	v_mul_f32_e32 v22, v127, v6
	v_dual_mul_f32 v140, v126, v6 :: v_dual_mul_f32 v141, v128, v8
	v_mul_f32_e32 v6, v129, v8
	s_delay_alu instid0(VALU_DEP_3) | instskip(NEXT) | instid1(VALU_DEP_3)
	v_fma_f32 v22, v126, v5, -v22
	v_dual_fmac_f32 v140, v127, v5 :: v_dual_fmac_f32 v141, v129, v7
	s_wait_loadcnt_dscnt 0x401
	v_mul_f32_e32 v127, v130, v2
	v_fma_f32 v126, v128, v7, -v6
	ds_load_b128 v[5:8], v21 offset:512
	s_wait_loadcnt_dscnt 0x301
	v_dual_mul_f32 v128, v132, v4 :: v_dual_mul_f32 v129, v134, v10
	v_dual_mul_f32 v4, v133, v4 :: v_dual_fmac_f32 v127, v131, v1
	v_mul_f32_e32 v10, v135, v10
	s_delay_alu instid0(VALU_DEP_3)
	v_dual_mul_f32 v142, v136, v12 :: v_dual_fmac_f32 v129, v135, v9
	v_mul_f32_e32 v12, v137, v12
	v_mul_f32_e32 v2, v131, v2
	v_fmac_f32_e32 v128, v133, v3
	v_fma_f32 v131, v132, v3, -v4
	v_fma_f32 v132, v134, v9, -v10
	v_fmac_f32_e32 v142, v137, v11
	v_fma_f32 v133, v136, v11, -v12
	ds_load_b128 v[9:12], v21 offset:528
	s_wait_loadcnt_dscnt 0x201
	v_dual_mul_f32 v135, v7, v16 :: v_dual_mul_f32 v134, v5, v14
	v_mul_f32_e32 v14, v6, v14
	v_mul_f32_e32 v16, v8, v16
	s_delay_alu instid0(VALU_DEP_3)
	v_fmac_f32_e32 v135, v8, v15
	v_fma_f32 v130, v130, v1, -v2
	scratch_load_b128 v[1:4], off, off offset:128
	v_fmac_f32_e32 v134, v6, v13
	v_fma_f32 v13, v5, v13, -v14
	v_fma_f32 v14, v7, v15, -v16
	ds_load_b128 v[5:8], v21 offset:544
	s_wait_loadcnt_dscnt 0x201
	v_mul_f32_e32 v15, v9, v18
	v_mul_f32_e32 v16, v10, v18
	;; [unrolled: 1-line block ×3, first 2 shown]
	s_delay_alu instid0(VALU_DEP_3) | instskip(NEXT) | instid1(VALU_DEP_3)
	v_dual_mul_f32 v20, v12, v20 :: v_dual_fmac_f32 v15, v10, v17
	v_fma_f32 v16, v9, v17, -v16
	s_delay_alu instid0(VALU_DEP_3) | instskip(NEXT) | instid1(VALU_DEP_3)
	v_fmac_f32_e32 v18, v12, v19
	v_fma_f32 v17, v11, v19, -v20
	scratch_load_b128 v[9:12], off, off offset:144
	s_wait_loadcnt_dscnt 0x100
	v_mul_f32_e32 v19, v5, v2
	v_mul_f32_e32 v2, v6, v2
	;; [unrolled: 1-line block ×3, first 2 shown]
	s_delay_alu instid0(VALU_DEP_3) | instskip(NEXT) | instid1(VALU_DEP_3)
	v_dual_mul_f32 v4, v8, v4 :: v_dual_fmac_f32 v19, v6, v1
	v_fma_f32 v136, v5, v1, -v2
	s_delay_alu instid0(VALU_DEP_3) | instskip(NEXT) | instid1(VALU_DEP_3)
	v_fmac_f32_e32 v20, v8, v3
	v_fma_f32 v137, v7, v3, -v4
	ds_load_b128 v[1:4], v21 offset:560
	ds_load_b128 v[5:8], v21 offset:576
	s_wait_loadcnt_dscnt 0x1
	v_mul_f32_e32 v143, v1, v10
	v_mul_f32_e32 v10, v2, v10
	s_delay_alu instid0(VALU_DEP_2) | instskip(NEXT) | instid1(VALU_DEP_2)
	v_dual_mul_f32 v144, v3, v12 :: v_dual_fmac_f32 v143, v2, v9
	v_fma_f32 v145, v1, v9, -v10
	v_mul_f32_e32 v1, v4, v12
	s_delay_alu instid0(VALU_DEP_3) | instskip(NEXT) | instid1(VALU_DEP_2)
	v_fmac_f32_e32 v144, v4, v11
	v_fma_f32 v146, v3, v11, -v1
	s_clause 0x1
	scratch_load_b128 v[1:4], off, off offset:160
	scratch_load_b128 v[9:12], off, off offset:176
	s_wait_loadcnt_dscnt 0x100
	v_mul_f32_e32 v147, v5, v2
	v_dual_mul_f32 v2, v6, v2 :: v_dual_mul_f32 v149, v7, v4
	s_delay_alu instid0(VALU_DEP_2) | instskip(NEXT) | instid1(VALU_DEP_2)
	v_fmac_f32_e32 v147, v6, v1
	v_fma_f32 v148, v5, v1, -v2
	v_mul_f32_e32 v1, v8, v4
	s_delay_alu instid0(VALU_DEP_4) | instskip(NEXT) | instid1(VALU_DEP_2)
	v_fmac_f32_e32 v149, v8, v3
	v_fma_f32 v150, v7, v3, -v1
	ds_load_b128 v[1:4], v21 offset:592
	ds_load_b128 v[5:8], v21 offset:608
	s_wait_loadcnt_dscnt 0x1
	v_mul_f32_e32 v151, v1, v10
	v_mul_f32_e32 v153, v3, v12
	s_delay_alu instid0(VALU_DEP_2) | instskip(NEXT) | instid1(VALU_DEP_2)
	v_fmac_f32_e32 v151, v2, v9
	v_dual_mul_f32 v2, v2, v10 :: v_dual_fmac_f32 v153, v4, v11
	s_delay_alu instid0(VALU_DEP_1) | instskip(SKIP_1) | instid1(VALU_DEP_1)
	v_fma_f32 v152, v1, v9, -v2
	v_mul_f32_e32 v1, v4, v12
	v_fma_f32 v154, v3, v11, -v1
	s_clause 0x1
	scratch_load_b128 v[1:4], off, off offset:192
	scratch_load_b128 v[9:12], off, off offset:208
	s_wait_loadcnt_dscnt 0x100
	v_mul_f32_e32 v155, v5, v2
	v_dual_mul_f32 v157, v7, v4 :: v_dual_mul_f32 v2, v6, v2
	s_delay_alu instid0(VALU_DEP_2) | instskip(NEXT) | instid1(VALU_DEP_2)
	v_fmac_f32_e32 v155, v6, v1
	v_fmac_f32_e32 v157, v8, v3
	s_delay_alu instid0(VALU_DEP_3) | instskip(SKIP_1) | instid1(VALU_DEP_1)
	v_fma_f32 v156, v5, v1, -v2
	v_mul_f32_e32 v1, v8, v4
	v_fma_f32 v158, v7, v3, -v1
	ds_load_b128 v[1:4], v21 offset:624
	ds_load_b128 v[5:8], v21 offset:640
	s_wait_loadcnt_dscnt 0x1
	v_mul_f32_e32 v159, v1, v10
	v_mul_f32_e32 v161, v3, v12
	s_delay_alu instid0(VALU_DEP_2) | instskip(NEXT) | instid1(VALU_DEP_2)
	v_fmac_f32_e32 v159, v2, v9
	v_dual_mul_f32 v2, v2, v10 :: v_dual_fmac_f32 v161, v4, v11
	s_delay_alu instid0(VALU_DEP_1) | instskip(SKIP_1) | instid1(VALU_DEP_1)
	v_fma_f32 v160, v1, v9, -v2
	v_mul_f32_e32 v1, v4, v12
	v_fma_f32 v162, v3, v11, -v1
	s_clause 0x1
	scratch_load_b128 v[1:4], off, off offset:224
	scratch_load_b128 v[9:12], off, off offset:240
	s_wait_loadcnt_dscnt 0x100
	v_mul_f32_e32 v163, v5, v2
	v_dual_mul_f32 v2, v6, v2 :: v_dual_mul_f32 v165, v7, v4
	s_delay_alu instid0(VALU_DEP_2) | instskip(NEXT) | instid1(VALU_DEP_2)
	v_fmac_f32_e32 v163, v6, v1
	v_fma_f32 v164, v5, v1, -v2
	v_mul_f32_e32 v1, v8, v4
	s_delay_alu instid0(VALU_DEP_4) | instskip(NEXT) | instid1(VALU_DEP_2)
	v_fmac_f32_e32 v165, v8, v3
	v_fma_f32 v166, v7, v3, -v1
	ds_load_b128 v[1:4], v21 offset:656
	ds_load_b128 v[5:8], v21 offset:672
	s_wait_loadcnt_dscnt 0x1
	v_mul_f32_e32 v167, v1, v10
	v_mul_f32_e32 v169, v3, v12
	s_delay_alu instid0(VALU_DEP_2) | instskip(NEXT) | instid1(VALU_DEP_2)
	v_fmac_f32_e32 v167, v2, v9
	v_dual_mul_f32 v2, v2, v10 :: v_dual_fmac_f32 v169, v4, v11
	s_delay_alu instid0(VALU_DEP_1) | instskip(SKIP_1) | instid1(VALU_DEP_1)
	v_fma_f32 v168, v1, v9, -v2
	v_mul_f32_e32 v1, v4, v12
	v_fma_f32 v170, v3, v11, -v1
	s_clause 0x1
	scratch_load_b128 v[1:4], off, off offset:256
	scratch_load_b128 v[9:12], off, off offset:272
	s_wait_loadcnt_dscnt 0x100
	v_mul_f32_e32 v171, v5, v2
	v_dual_mul_f32 v2, v6, v2 :: v_dual_mul_f32 v173, v7, v4
	s_delay_alu instid0(VALU_DEP_2) | instskip(NEXT) | instid1(VALU_DEP_2)
	v_fmac_f32_e32 v171, v6, v1
	v_fma_f32 v172, v5, v1, -v2
	v_mul_f32_e32 v1, v8, v4
	s_delay_alu instid0(VALU_DEP_4) | instskip(NEXT) | instid1(VALU_DEP_2)
	v_fmac_f32_e32 v173, v8, v3
	;; [unrolled: 25-line block ×3, first 2 shown]
	v_fma_f32 v182, v7, v3, -v1
	ds_load_b128 v[1:4], v21 offset:720
	ds_load_b128 v[5:8], v21 offset:736
	s_wait_loadcnt_dscnt 0x1
	v_mul_f32_e32 v183, v1, v10
	v_mul_f32_e32 v185, v3, v12
	s_delay_alu instid0(VALU_DEP_2) | instskip(NEXT) | instid1(VALU_DEP_2)
	v_fmac_f32_e32 v183, v2, v9
	v_dual_mul_f32 v2, v2, v10 :: v_dual_fmac_f32 v185, v4, v11
	s_delay_alu instid0(VALU_DEP_1) | instskip(SKIP_1) | instid1(VALU_DEP_1)
	v_fma_f32 v184, v1, v9, -v2
	v_mul_f32_e32 v1, v4, v12
	v_fma_f32 v186, v3, v11, -v1
	s_clause 0x1
	scratch_load_b128 v[1:4], off, off offset:320
	scratch_load_b128 v[9:12], off, off offset:336
	s_wait_loadcnt_dscnt 0x100
	v_mul_f32_e32 v187, v5, v2
	v_dual_mul_f32 v2, v6, v2 :: v_dual_mul_f32 v189, v7, v4
	s_delay_alu instid0(VALU_DEP_2) | instskip(NEXT) | instid1(VALU_DEP_2)
	v_fmac_f32_e32 v187, v6, v1
	v_fma_f32 v188, v5, v1, -v2
	v_add_f32_e32 v2, 0, v140
	v_mul_f32_e32 v1, v8, v4
	s_delay_alu instid0(VALU_DEP_2) | instskip(NEXT) | instid1(VALU_DEP_2)
	v_dual_fmac_f32 v189, v8, v3 :: v_dual_add_f32 v2, v2, v141
	v_fma_f32 v190, v7, v3, -v1
	s_delay_alu instid0(VALU_DEP_2) | instskip(NEXT) | instid1(VALU_DEP_1)
	v_add_f32_e32 v2, v2, v127
	v_dual_add_f32 v2, v2, v128 :: v_dual_add_f32 v1, 0, v22
	s_delay_alu instid0(VALU_DEP_1) | instskip(NEXT) | instid1(VALU_DEP_1)
	v_dual_add_f32 v2, v2, v129 :: v_dual_add_f32 v1, v1, v126
	v_add_f32_e32 v2, v2, v142
	s_delay_alu instid0(VALU_DEP_2) | instskip(NEXT) | instid1(VALU_DEP_1)
	v_add_f32_e32 v1, v1, v130
	v_dual_add_f32 v2, v2, v134 :: v_dual_add_f32 v1, v1, v131
	scratch_load_b64 v[130:131], off, off offset:400
	v_dual_add_f32 v2, v2, v135 :: v_dual_add_f32 v1, v1, v132
	s_delay_alu instid0(VALU_DEP_1) | instskip(NEXT) | instid1(VALU_DEP_1)
	v_dual_add_f32 v2, v2, v15 :: v_dual_add_f32 v1, v1, v133
	v_dual_add_f32 v2, v2, v18 :: v_dual_add_f32 v1, v1, v13
	s_delay_alu instid0(VALU_DEP_1) | instskip(NEXT) | instid1(VALU_DEP_1)
	v_dual_add_f32 v2, v2, v19 :: v_dual_add_f32 v1, v1, v14
	v_add_f32_e32 v2, v2, v20
	s_delay_alu instid0(VALU_DEP_1) | instskip(NEXT) | instid1(VALU_DEP_1)
	v_dual_add_f32 v1, v1, v16 :: v_dual_add_f32 v2, v2, v143
	v_dual_add_f32 v1, v1, v17 :: v_dual_add_f32 v2, v2, v144
	s_delay_alu instid0(VALU_DEP_1) | instskip(NEXT) | instid1(VALU_DEP_1)
	v_dual_add_f32 v1, v1, v136 :: v_dual_add_f32 v2, v2, v147
	v_add_f32_e32 v1, v1, v137
	s_delay_alu instid0(VALU_DEP_2) | instskip(NEXT) | instid1(VALU_DEP_1)
	v_add_f32_e32 v2, v2, v149
	v_dual_add_f32 v1, v1, v145 :: v_dual_add_f32 v2, v2, v151
	s_delay_alu instid0(VALU_DEP_1) | instskip(NEXT) | instid1(VALU_DEP_1)
	v_dual_add_f32 v1, v1, v146 :: v_dual_add_f32 v2, v2, v153
	v_dual_add_f32 v1, v1, v148 :: v_dual_add_f32 v2, v2, v155
	s_delay_alu instid0(VALU_DEP_1) | instskip(NEXT) | instid1(VALU_DEP_1)
	v_dual_add_f32 v1, v1, v150 :: v_dual_add_f32 v2, v2, v157
	v_add_f32_e32 v1, v1, v152
	s_delay_alu instid0(VALU_DEP_1) | instskip(NEXT) | instid1(VALU_DEP_1)
	v_add_f32_e32 v1, v1, v154
	v_add_f32_e32 v1, v1, v156
	s_delay_alu instid0(VALU_DEP_1) | instskip(NEXT) | instid1(VALU_DEP_1)
	v_add_f32_e32 v1, v1, v158
	v_add_f32_e32 v1, v1, v160
	s_delay_alu instid0(VALU_DEP_1) | instskip(SKIP_2) | instid1(VALU_DEP_1)
	v_dual_add_f32 v6, v1, v162 :: v_dual_add_f32 v5, v2, v159
	ds_load_b128 v[1:4], v21 offset:752
	v_dual_add_f32 v6, v6, v164 :: v_dual_add_f32 v5, v5, v161
	v_add_f32_e32 v13, v6, v166
	s_delay_alu instid0(VALU_DEP_2) | instskip(NEXT) | instid1(VALU_DEP_2)
	v_add_f32_e32 v5, v5, v163
	v_add_f32_e32 v13, v13, v168
	s_delay_alu instid0(VALU_DEP_2)
	v_add_f32_e32 v14, v5, v165
	ds_load_b128 v[5:8], v21 offset:768
	v_add_f32_e32 v13, v13, v170
	s_wait_loadcnt_dscnt 0x101
	v_mul_f32_e32 v22, v1, v10
	v_mul_f32_e32 v10, v2, v10
	;; [unrolled: 1-line block ×4, first 2 shown]
	v_add_f32_e32 v14, v14, v167
	v_fmac_f32_e32 v22, v2, v9
	v_fma_f32 v135, v1, v9, -v10
	v_fmac_f32_e32 v134, v4, v11
	v_fma_f32 v136, v3, v11, -v12
	s_clause 0x1
	scratch_load_b128 v[1:4], off, off offset:352
	scratch_load_b128 v[9:12], off, off offset:368
	v_dual_add_f32 v14, v14, v169 :: v_dual_add_f32 v13, v13, v172
	s_delay_alu instid0(VALU_DEP_1) | instskip(SKIP_2) | instid1(VALU_DEP_1)
	v_dual_add_f32 v17, v14, v171 :: v_dual_add_f32 v18, v13, v174
	scratch_load_b128 v[13:16], off, off offset:384
	v_dual_add_f32 v17, v17, v173 :: v_dual_add_f32 v18, v18, v176
	v_dual_add_f32 v17, v17, v175 :: v_dual_add_f32 v18, v18, v178
	s_delay_alu instid0(VALU_DEP_1) | instskip(NEXT) | instid1(VALU_DEP_1)
	v_dual_add_f32 v17, v17, v177 :: v_dual_add_f32 v18, v18, v180
	v_dual_add_f32 v17, v17, v179 :: v_dual_add_f32 v18, v18, v182
	s_delay_alu instid0(VALU_DEP_1) | instskip(NEXT) | instid1(VALU_DEP_2)
	v_add_f32_e32 v126, v17, v181
	v_add_f32_e32 v132, v18, v184
	ds_load_b128 v[17:20], v21 offset:784
	v_add_f32_e32 v133, v126, v183
	ds_load_b128 v[126:129], v21 offset:800
	v_dual_add_f32 v137, v132, v186 :: v_dual_add_f32 v140, v133, v185
	ds_load_b64 v[132:133], v21 offset:816
	v_add_f32_e32 v137, v137, v188
	s_delay_alu instid0(VALU_DEP_1) | instskip(NEXT) | instid1(VALU_DEP_1)
	v_add_f32_e32 v137, v137, v190
	v_add_f32_e32 v135, v137, v135
	s_delay_alu instid0(VALU_DEP_1)
	v_add_f32_e32 v135, v135, v136
	s_wait_loadcnt_dscnt 0x203
	v_mul_f32_e32 v142, v7, v4
	v_dual_add_f32 v140, v140, v187 :: v_dual_mul_f32 v141, v5, v2
	v_mul_f32_e32 v2, v6, v2
	s_wait_loadcnt_dscnt 0x102
	v_dual_mul_f32 v4, v8, v4 :: v_dual_mul_f32 v137, v17, v10
	s_delay_alu instid0(VALU_DEP_3)
	v_add_f32_e32 v140, v140, v189
	v_fmac_f32_e32 v141, v6, v1
	v_fma_f32 v2, v5, v1, -v2
	v_fmac_f32_e32 v142, v8, v3
	v_fma_f32 v1, v7, v3, -v4
	v_add_f32_e32 v22, v140, v22
	v_mul_f32_e32 v3, v18, v10
	v_add_f32_e32 v2, v135, v2
	v_mul_f32_e32 v140, v19, v12
	s_delay_alu instid0(VALU_DEP_4)
	v_dual_mul_f32 v5, v20, v12 :: v_dual_add_f32 v22, v22, v134
	v_fmac_f32_e32 v137, v18, v9
	v_fma_f32 v3, v17, v9, -v3
	v_add_f32_e32 v1, v2, v1
	s_wait_loadcnt_dscnt 0x1
	v_mul_f32_e32 v143, v126, v14
	v_add_f32_e32 v4, v22, v141
	v_fmac_f32_e32 v140, v20, v11
	v_fma_f32 v5, v19, v11, -v5
	v_dual_add_f32 v1, v1, v3 :: v_dual_mul_f32 v136, v128, v16
	s_delay_alu instid0(VALU_DEP_4) | instskip(SKIP_2) | instid1(VALU_DEP_4)
	v_add_f32_e32 v2, v4, v142
	v_dual_mul_f32 v4, v127, v14 :: v_dual_mul_f32 v3, v129, v16
	v_fmac_f32_e32 v143, v127, v13
	v_add_f32_e32 v1, v1, v5
	s_delay_alu instid0(VALU_DEP_4) | instskip(NEXT) | instid1(VALU_DEP_4)
	v_add_f32_e32 v2, v2, v137
	v_fma_f32 v4, v126, v13, -v4
	s_wait_dscnt 0x0
	v_mul_f32_e32 v134, v132, v131
	v_mul_f32_e32 v5, v133, v131
	v_fmac_f32_e32 v136, v129, v15
	v_add_f32_e32 v2, v2, v140
	v_fma_f32 v3, v128, v15, -v3
	v_add_f32_e32 v1, v1, v4
	v_fmac_f32_e32 v134, v133, v130
	v_fma_f32 v4, v132, v130, -v5
	v_add_f32_e32 v2, v2, v143
	s_delay_alu instid0(VALU_DEP_1) | instskip(NEXT) | instid1(VALU_DEP_1)
	v_dual_add_f32 v1, v1, v3 :: v_dual_add_f32 v2, v2, v136
	v_dual_add_f32 v1, v1, v4 :: v_dual_add_f32 v2, v2, v134
	s_delay_alu instid0(VALU_DEP_1)
	v_dual_sub_f32 v1, v138, v1 :: v_dual_sub_f32 v2, v139, v2
	scratch_store_b64 off, v[1:2], off offset:40
	v_cmpx_lt_u32_e32 4, v0
	s_cbranch_execz .LBB50_311
; %bb.310:
	scratch_load_b64 v[1:2], off, off offset:32
	v_mov_b32_e32 v22, v21
	scratch_store_b64 off, v[21:22], off offset:32
	s_wait_loadcnt 0x0
	ds_store_b64 v23, v[1:2]
.LBB50_311:
	s_wait_alu 0xfffe
	s_or_b32 exec_lo, exec_lo, s0
	s_wait_storecnt_dscnt 0x0
	s_barrier_signal -1
	s_barrier_wait -1
	global_inv scope:SCOPE_SE
	s_clause 0x4
	scratch_load_b128 v[5:8], off, off offset:40
	scratch_load_b128 v[1:4], off, off offset:56
	;; [unrolled: 1-line block ×5, first 2 shown]
	ds_load_2addr_b64 v[126:129], v21 offset0:57 offset1:58
	ds_load_2addr_b64 v[130:133], v21 offset0:59 offset1:60
	;; [unrolled: 1-line block ×3, first 2 shown]
	scratch_load_b64 v[138:139], off, off offset:32
	s_mov_b32 s0, exec_lo
	s_wait_loadcnt_dscnt 0x502
	v_dual_mul_f32 v22, v127, v6 :: v_dual_mul_f32 v141, v128, v8
	v_mul_f32_e32 v140, v126, v6
	v_mul_f32_e32 v6, v129, v8
	s_wait_loadcnt_dscnt 0x300
	v_mul_f32_e32 v142, v136, v12
	v_fma_f32 v22, v126, v5, -v22
	v_dual_fmac_f32 v141, v129, v7 :: v_dual_fmac_f32 v140, v127, v5
	v_mul_f32_e32 v129, v134, v10
	v_mul_f32_e32 v127, v130, v2
	v_fma_f32 v126, v128, v7, -v6
	ds_load_2addr_b64 v[5:8], v21 offset0:63 offset1:64
	v_mul_f32_e32 v128, v132, v4
	v_dual_mul_f32 v4, v133, v4 :: v_dual_fmac_f32 v129, v135, v9
	v_mul_f32_e32 v10, v135, v10
	v_mul_f32_e32 v12, v137, v12
	;; [unrolled: 1-line block ×3, first 2 shown]
	v_dual_fmac_f32 v127, v131, v1 :: v_dual_fmac_f32 v128, v133, v3
	v_fma_f32 v131, v132, v3, -v4
	v_fma_f32 v132, v134, v9, -v10
	v_fmac_f32_e32 v142, v137, v11
	v_fma_f32 v133, v136, v11, -v12
	ds_load_2addr_b64 v[9:12], v21 offset0:65 offset1:66
	s_wait_loadcnt_dscnt 0x201
	v_dual_mul_f32 v135, v7, v16 :: v_dual_mul_f32 v134, v5, v14
	s_delay_alu instid0(VALU_DEP_1)
	v_dual_mul_f32 v14, v6, v14 :: v_dual_fmac_f32 v135, v8, v15
	v_fma_f32 v130, v130, v1, -v2
	scratch_load_b128 v[1:4], off, off offset:120
	v_mul_f32_e32 v16, v8, v16
	v_fmac_f32_e32 v134, v6, v13
	v_fma_f32 v13, v5, v13, -v14
	s_delay_alu instid0(VALU_DEP_3)
	v_fma_f32 v14, v7, v15, -v16
	s_wait_loadcnt_dscnt 0x200
	v_mul_f32_e32 v15, v9, v18
	v_mul_f32_e32 v16, v10, v18
	;; [unrolled: 1-line block ×4, first 2 shown]
	ds_load_2addr_b64 v[5:8], v21 offset0:67 offset1:68
	v_fmac_f32_e32 v15, v10, v17
	v_fma_f32 v16, v9, v17, -v16
	v_fmac_f32_e32 v18, v12, v19
	v_fma_f32 v17, v11, v19, -v20
	scratch_load_b128 v[9:12], off, off offset:136
	s_wait_loadcnt_dscnt 0x100
	v_mul_f32_e32 v19, v5, v2
	v_mul_f32_e32 v2, v6, v2
	;; [unrolled: 1-line block ×3, first 2 shown]
	s_delay_alu instid0(VALU_DEP_3) | instskip(NEXT) | instid1(VALU_DEP_3)
	v_dual_mul_f32 v4, v8, v4 :: v_dual_fmac_f32 v19, v6, v1
	v_fma_f32 v136, v5, v1, -v2
	s_delay_alu instid0(VALU_DEP_3) | instskip(NEXT) | instid1(VALU_DEP_3)
	v_fmac_f32_e32 v20, v8, v3
	v_fma_f32 v137, v7, v3, -v4
	ds_load_2addr_b64 v[1:4], v21 offset0:69 offset1:70
	ds_load_2addr_b64 v[5:8], v21 offset0:71 offset1:72
	s_wait_loadcnt_dscnt 0x1
	v_mul_f32_e32 v143, v1, v10
	v_mul_f32_e32 v10, v2, v10
	s_delay_alu instid0(VALU_DEP_2) | instskip(NEXT) | instid1(VALU_DEP_2)
	v_dual_mul_f32 v144, v3, v12 :: v_dual_fmac_f32 v143, v2, v9
	v_fma_f32 v145, v1, v9, -v10
	v_mul_f32_e32 v1, v4, v12
	s_delay_alu instid0(VALU_DEP_3) | instskip(NEXT) | instid1(VALU_DEP_2)
	v_fmac_f32_e32 v144, v4, v11
	v_fma_f32 v146, v3, v11, -v1
	s_clause 0x1
	scratch_load_b128 v[1:4], off, off offset:152
	scratch_load_b128 v[9:12], off, off offset:168
	s_wait_loadcnt_dscnt 0x100
	v_mul_f32_e32 v147, v5, v2
	v_dual_mul_f32 v2, v6, v2 :: v_dual_mul_f32 v149, v7, v4
	s_delay_alu instid0(VALU_DEP_2) | instskip(NEXT) | instid1(VALU_DEP_2)
	v_fmac_f32_e32 v147, v6, v1
	v_fma_f32 v148, v5, v1, -v2
	v_mul_f32_e32 v1, v8, v4
	s_delay_alu instid0(VALU_DEP_4) | instskip(NEXT) | instid1(VALU_DEP_2)
	v_fmac_f32_e32 v149, v8, v3
	v_fma_f32 v150, v7, v3, -v1
	ds_load_2addr_b64 v[1:4], v21 offset0:73 offset1:74
	ds_load_2addr_b64 v[5:8], v21 offset0:75 offset1:76
	s_wait_loadcnt_dscnt 0x1
	v_mul_f32_e32 v151, v1, v10
	v_mul_f32_e32 v153, v3, v12
	s_delay_alu instid0(VALU_DEP_2) | instskip(NEXT) | instid1(VALU_DEP_2)
	v_fmac_f32_e32 v151, v2, v9
	v_dual_mul_f32 v2, v2, v10 :: v_dual_fmac_f32 v153, v4, v11
	s_delay_alu instid0(VALU_DEP_1) | instskip(SKIP_1) | instid1(VALU_DEP_1)
	v_fma_f32 v152, v1, v9, -v2
	v_mul_f32_e32 v1, v4, v12
	v_fma_f32 v154, v3, v11, -v1
	s_clause 0x1
	scratch_load_b128 v[1:4], off, off offset:184
	scratch_load_b128 v[9:12], off, off offset:200
	s_wait_loadcnt_dscnt 0x100
	v_mul_f32_e32 v155, v5, v2
	v_dual_mul_f32 v2, v6, v2 :: v_dual_mul_f32 v157, v7, v4
	s_delay_alu instid0(VALU_DEP_2) | instskip(NEXT) | instid1(VALU_DEP_2)
	v_fmac_f32_e32 v155, v6, v1
	v_fma_f32 v156, v5, v1, -v2
	v_mul_f32_e32 v1, v8, v4
	s_delay_alu instid0(VALU_DEP_4) | instskip(NEXT) | instid1(VALU_DEP_2)
	v_fmac_f32_e32 v157, v8, v3
	v_fma_f32 v158, v7, v3, -v1
	ds_load_2addr_b64 v[1:4], v21 offset0:77 offset1:78
	ds_load_2addr_b64 v[5:8], v21 offset0:79 offset1:80
	s_wait_loadcnt_dscnt 0x1
	v_mul_f32_e32 v159, v1, v10
	v_mul_f32_e32 v161, v3, v12
	s_delay_alu instid0(VALU_DEP_2) | instskip(NEXT) | instid1(VALU_DEP_2)
	v_fmac_f32_e32 v159, v2, v9
	v_dual_mul_f32 v2, v2, v10 :: v_dual_fmac_f32 v161, v4, v11
	s_delay_alu instid0(VALU_DEP_1) | instskip(SKIP_1) | instid1(VALU_DEP_1)
	v_fma_f32 v160, v1, v9, -v2
	v_mul_f32_e32 v1, v4, v12
	;; [unrolled: 25-line block ×5, first 2 shown]
	v_fma_f32 v186, v3, v11, -v1
	s_clause 0x1
	scratch_load_b128 v[1:4], off, off offset:312
	scratch_load_b128 v[9:12], off, off offset:328
	s_wait_loadcnt_dscnt 0x100
	v_mul_f32_e32 v187, v5, v2
	v_mul_f32_e32 v2, v6, v2
	s_delay_alu instid0(VALU_DEP_2) | instskip(NEXT) | instid1(VALU_DEP_2)
	v_fmac_f32_e32 v187, v6, v1
	v_fma_f32 v188, v5, v1, -v2
	v_add_f32_e32 v2, 0, v140
	s_delay_alu instid0(VALU_DEP_1) | instskip(NEXT) | instid1(VALU_DEP_1)
	v_dual_mul_f32 v1, v8, v4 :: v_dual_add_f32 v2, v2, v141
	v_fma_f32 v190, v7, v3, -v1
	s_delay_alu instid0(VALU_DEP_2) | instskip(NEXT) | instid1(VALU_DEP_1)
	v_dual_add_f32 v1, 0, v22 :: v_dual_add_f32 v2, v2, v127
	v_dual_add_f32 v1, v1, v126 :: v_dual_add_f32 v2, v2, v128
	s_delay_alu instid0(VALU_DEP_1) | instskip(NEXT) | instid1(VALU_DEP_1)
	v_add_f32_e32 v2, v2, v129
	v_add_f32_e32 v2, v2, v142
	s_delay_alu instid0(VALU_DEP_1) | instskip(NEXT) | instid1(VALU_DEP_1)
	v_add_f32_e32 v2, v2, v134
	v_dual_add_f32 v1, v1, v130 :: v_dual_add_f32 v2, v2, v135
	s_delay_alu instid0(VALU_DEP_1) | instskip(NEXT) | instid1(VALU_DEP_1)
	v_add_f32_e32 v1, v1, v131
	v_dual_add_f32 v2, v2, v15 :: v_dual_add_f32 v1, v1, v132
	s_delay_alu instid0(VALU_DEP_1) | instskip(NEXT) | instid1(VALU_DEP_1)
	v_dual_add_f32 v2, v2, v18 :: v_dual_add_f32 v1, v1, v133
	v_dual_add_f32 v2, v2, v19 :: v_dual_add_f32 v1, v1, v13
	s_delay_alu instid0(VALU_DEP_1) | instskip(NEXT) | instid1(VALU_DEP_1)
	v_dual_add_f32 v2, v2, v20 :: v_dual_add_f32 v1, v1, v14
	v_add_f32_e32 v2, v2, v143
	s_delay_alu instid0(VALU_DEP_1) | instskip(NEXT) | instid1(VALU_DEP_1)
	v_add_f32_e32 v2, v2, v144
	v_add_f32_e32 v2, v2, v147
	s_delay_alu instid0(VALU_DEP_1) | instskip(NEXT) | instid1(VALU_DEP_1)
	v_add_f32_e32 v2, v2, v149
	;; [unrolled: 3-line block ×3, first 2 shown]
	v_add_f32_e32 v2, v2, v155
	s_delay_alu instid0(VALU_DEP_1) | instskip(NEXT) | instid1(VALU_DEP_1)
	v_dual_add_f32 v2, v2, v157 :: v_dual_add_f32 v1, v1, v16
	v_add_f32_e32 v1, v1, v17
	s_delay_alu instid0(VALU_DEP_1) | instskip(NEXT) | instid1(VALU_DEP_1)
	v_add_f32_e32 v1, v1, v136
	v_add_f32_e32 v1, v1, v137
	s_delay_alu instid0(VALU_DEP_1) | instskip(NEXT) | instid1(VALU_DEP_1)
	v_add_f32_e32 v1, v1, v145
	;; [unrolled: 3-line block ×6, first 2 shown]
	v_add_f32_e32 v1, v1, v162
	s_delay_alu instid0(VALU_DEP_1) | instskip(SKIP_1) | instid1(VALU_DEP_2)
	v_add_f32_e32 v6, v1, v164
	v_dual_add_f32 v2, v2, v159 :: v_dual_mul_f32 v189, v7, v4
	v_add_f32_e32 v14, v6, v166
	s_delay_alu instid0(VALU_DEP_2) | instskip(NEXT) | instid1(VALU_DEP_3)
	v_add_f32_e32 v5, v2, v161
	v_fmac_f32_e32 v189, v8, v3
	ds_load_2addr_b64 v[1:4], v21 offset0:93 offset1:94
	v_dual_add_f32 v14, v14, v168 :: v_dual_add_f32 v13, v5, v163
	scratch_load_b128 v[5:8], off, off offset:344
	v_add_f32_e32 v17, v14, v170
	v_add_f32_e32 v13, v13, v165
	s_delay_alu instid0(VALU_DEP_2) | instskip(NEXT) | instid1(VALU_DEP_2)
	v_add_f32_e32 v17, v17, v172
	v_add_f32_e32 v13, v13, v167
	s_delay_alu instid0(VALU_DEP_2) | instskip(NEXT) | instid1(VALU_DEP_2)
	v_add_f32_e32 v17, v17, v174
	v_add_f32_e32 v18, v13, v169
	ds_load_2addr_b64 v[13:16], v21 offset0:95 offset1:96
	s_wait_loadcnt_dscnt 0x101
	v_mul_f32_e32 v22, v1, v10
	v_mul_f32_e32 v10, v2, v10
	;; [unrolled: 1-line block ×4, first 2 shown]
	v_add_f32_e32 v18, v18, v171
	v_fmac_f32_e32 v22, v2, v9
	v_fma_f32 v131, v1, v9, -v10
	v_fmac_f32_e32 v130, v4, v11
	v_fma_f32 v132, v3, v11, -v12
	s_clause 0x1
	scratch_load_b128 v[1:4], off, off offset:360
	scratch_load_b128 v[9:12], off, off offset:376
	v_dual_add_f32 v18, v18, v173 :: v_dual_add_f32 v17, v17, v176
	s_delay_alu instid0(VALU_DEP_1)
	v_dual_add_f32 v126, v18, v175 :: v_dual_add_f32 v127, v17, v178
	scratch_load_b128 v[17:20], off, off offset:392
	s_wait_loadcnt_dscnt 0x300
	v_dual_add_f32 v126, v126, v177 :: v_dual_mul_f32 v133, v13, v6
	v_mul_f32_e32 v6, v14, v6
	v_mul_f32_e32 v134, v15, v8
	v_mul_f32_e32 v8, v16, v8
	s_delay_alu instid0(VALU_DEP_4)
	v_add_f32_e32 v126, v126, v179
	v_fmac_f32_e32 v133, v14, v5
	v_fma_f32 v135, v13, v5, -v6
	v_fmac_f32_e32 v134, v16, v7
	v_fma_f32 v136, v15, v7, -v8
	ds_load_2addr_b64 v[5:8], v21 offset0:97 offset1:98
	v_add_f32_e32 v127, v127, v180
	v_add_f32_e32 v13, v126, v181
	s_delay_alu instid0(VALU_DEP_2) | instskip(NEXT) | instid1(VALU_DEP_1)
	v_add_f32_e32 v127, v127, v182
	v_dual_add_f32 v126, v127, v184 :: v_dual_add_f32 v127, v13, v183
	ds_load_2addr_b64 v[13:16], v21 offset0:99 offset1:100
	v_dual_add_f32 v137, v126, v186 :: v_dual_add_f32 v140, v127, v185
	ds_load_2addr_b64 v[126:129], v21 offset0:101 offset1:102
	v_add_f32_e32 v21, v137, v188
	s_wait_loadcnt_dscnt 0x202
	v_dual_add_f32 v137, v140, v187 :: v_dual_mul_f32 v140, v5, v2
	v_mul_f32_e32 v2, v6, v2
	s_delay_alu instid0(VALU_DEP_3) | instskip(NEXT) | instid1(VALU_DEP_3)
	v_add_f32_e32 v21, v21, v190
	v_add_f32_e32 v137, v137, v189
	s_delay_alu instid0(VALU_DEP_4) | instskip(NEXT) | instid1(VALU_DEP_4)
	v_fmac_f32_e32 v140, v6, v1
	v_fma_f32 v2, v5, v1, -v2
	s_delay_alu instid0(VALU_DEP_4) | instskip(NEXT) | instid1(VALU_DEP_4)
	v_add_f32_e32 v21, v21, v131
	v_dual_add_f32 v22, v137, v22 :: v_dual_mul_f32 v131, v7, v4
	s_wait_loadcnt_dscnt 0x101
	v_dual_mul_f32 v4, v8, v4 :: v_dual_mul_f32 v137, v13, v10
	s_delay_alu instid0(VALU_DEP_2) | instskip(NEXT) | instid1(VALU_DEP_3)
	v_dual_add_f32 v21, v21, v132 :: v_dual_add_f32 v22, v22, v130
	v_dual_mul_f32 v6, v14, v10 :: v_dual_fmac_f32 v131, v8, v3
	s_delay_alu instid0(VALU_DEP_3) | instskip(NEXT) | instid1(VALU_DEP_3)
	v_fma_f32 v3, v7, v3, -v4
	v_dual_add_f32 v21, v21, v135 :: v_dual_add_f32 v22, v22, v133
	v_mul_f32_e32 v141, v15, v12
	v_dual_mul_f32 v4, v16, v12 :: v_dual_fmac_f32 v137, v14, v9
	s_delay_alu instid0(VALU_DEP_3) | instskip(NEXT) | instid1(VALU_DEP_4)
	v_add_f32_e32 v1, v21, v136
	v_add_f32_e32 v5, v22, v134
	s_wait_loadcnt_dscnt 0x0
	v_dual_mul_f32 v130, v126, v18 :: v_dual_fmac_f32 v141, v16, v11
	v_fma_f32 v4, v15, v11, -v4
	v_add_f32_e32 v1, v1, v2
	v_add_f32_e32 v2, v5, v140
	v_fma_f32 v5, v13, v9, -v6
	v_mul_f32_e32 v132, v128, v20
	s_delay_alu instid0(VALU_DEP_4) | instskip(NEXT) | instid1(VALU_DEP_4)
	v_dual_fmac_f32 v130, v127, v17 :: v_dual_add_f32 v1, v1, v3
	v_dual_add_f32 v2, v2, v131 :: v_dual_mul_f32 v3, v127, v18
	s_delay_alu instid0(VALU_DEP_3) | instskip(NEXT) | instid1(VALU_DEP_3)
	v_fmac_f32_e32 v132, v129, v19
	v_add_f32_e32 v1, v1, v5
	s_delay_alu instid0(VALU_DEP_3) | instskip(NEXT) | instid1(VALU_DEP_4)
	v_dual_add_f32 v2, v2, v137 :: v_dual_mul_f32 v5, v129, v20
	v_fma_f32 v3, v126, v17, -v3
	s_delay_alu instid0(VALU_DEP_2) | instskip(NEXT) | instid1(VALU_DEP_3)
	v_dual_add_f32 v1, v1, v4 :: v_dual_add_f32 v2, v2, v141
	v_fma_f32 v4, v128, v19, -v5
	s_delay_alu instid0(VALU_DEP_2) | instskip(NEXT) | instid1(VALU_DEP_1)
	v_dual_add_f32 v1, v1, v3 :: v_dual_add_f32 v2, v2, v130
	v_add_f32_e32 v1, v1, v4
	s_delay_alu instid0(VALU_DEP_2) | instskip(NEXT) | instid1(VALU_DEP_1)
	v_add_f32_e32 v2, v2, v132
	v_dual_sub_f32 v1, v138, v1 :: v_dual_sub_f32 v2, v139, v2
	scratch_store_b64 off, v[1:2], off offset:32
	v_cmpx_lt_u32_e32 3, v0
	s_cbranch_execz .LBB50_313
; %bb.312:
	scratch_load_b64 v[1:2], off, off offset:24
	v_mov_b32_e32 v3, 0
	s_delay_alu instid0(VALU_DEP_1)
	v_mov_b32_e32 v4, v3
	scratch_store_b64 off, v[3:4], off offset:24
	s_wait_loadcnt 0x0
	ds_store_b64 v23, v[1:2]
.LBB50_313:
	s_wait_alu 0xfffe
	s_or_b32 exec_lo, exec_lo, s0
	s_wait_storecnt_dscnt 0x0
	s_barrier_signal -1
	s_barrier_wait -1
	global_inv scope:SCOPE_SE
	s_clause 0x4
	scratch_load_b128 v[5:8], off, off offset:32
	scratch_load_b128 v[1:4], off, off offset:48
	;; [unrolled: 1-line block ×5, first 2 shown]
	v_mov_b32_e32 v21, 0
	ds_load_b128 v[126:129], v21 offset:448
	ds_load_b128 v[130:133], v21 offset:464
	;; [unrolled: 1-line block ×3, first 2 shown]
	scratch_load_b64 v[138:139], off, off offset:24
	s_mov_b32 s0, exec_lo
	s_wait_loadcnt_dscnt 0x502
	v_mul_f32_e32 v22, v127, v6
	v_dual_mul_f32 v140, v126, v6 :: v_dual_mul_f32 v141, v128, v8
	v_mul_f32_e32 v6, v129, v8
	s_delay_alu instid0(VALU_DEP_3) | instskip(NEXT) | instid1(VALU_DEP_3)
	v_fma_f32 v22, v126, v5, -v22
	v_dual_fmac_f32 v140, v127, v5 :: v_dual_fmac_f32 v141, v129, v7
	s_wait_loadcnt_dscnt 0x401
	v_mul_f32_e32 v127, v130, v2
	v_fma_f32 v126, v128, v7, -v6
	ds_load_b128 v[5:8], v21 offset:496
	s_wait_loadcnt_dscnt 0x301
	v_dual_mul_f32 v128, v132, v4 :: v_dual_mul_f32 v129, v134, v10
	v_dual_mul_f32 v4, v133, v4 :: v_dual_fmac_f32 v127, v131, v1
	v_mul_f32_e32 v10, v135, v10
	s_delay_alu instid0(VALU_DEP_3)
	v_dual_mul_f32 v142, v136, v12 :: v_dual_fmac_f32 v129, v135, v9
	v_mul_f32_e32 v12, v137, v12
	v_mul_f32_e32 v2, v131, v2
	v_fmac_f32_e32 v128, v133, v3
	v_fma_f32 v131, v132, v3, -v4
	v_fma_f32 v132, v134, v9, -v10
	v_fmac_f32_e32 v142, v137, v11
	v_fma_f32 v133, v136, v11, -v12
	ds_load_b128 v[9:12], v21 offset:512
	s_wait_loadcnt_dscnt 0x201
	v_dual_mul_f32 v135, v7, v16 :: v_dual_mul_f32 v134, v5, v14
	v_mul_f32_e32 v14, v6, v14
	v_mul_f32_e32 v16, v8, v16
	s_delay_alu instid0(VALU_DEP_3)
	v_fmac_f32_e32 v135, v8, v15
	v_fma_f32 v130, v130, v1, -v2
	scratch_load_b128 v[1:4], off, off offset:112
	v_fmac_f32_e32 v134, v6, v13
	v_fma_f32 v13, v5, v13, -v14
	v_fma_f32 v14, v7, v15, -v16
	ds_load_b128 v[5:8], v21 offset:528
	s_wait_loadcnt_dscnt 0x201
	v_mul_f32_e32 v15, v9, v18
	v_mul_f32_e32 v16, v10, v18
	v_mul_f32_e32 v18, v11, v20
	s_delay_alu instid0(VALU_DEP_3) | instskip(NEXT) | instid1(VALU_DEP_3)
	v_dual_mul_f32 v20, v12, v20 :: v_dual_fmac_f32 v15, v10, v17
	v_fma_f32 v16, v9, v17, -v16
	s_delay_alu instid0(VALU_DEP_3) | instskip(NEXT) | instid1(VALU_DEP_3)
	v_fmac_f32_e32 v18, v12, v19
	v_fma_f32 v17, v11, v19, -v20
	scratch_load_b128 v[9:12], off, off offset:128
	s_wait_loadcnt_dscnt 0x100
	v_mul_f32_e32 v19, v5, v2
	v_mul_f32_e32 v2, v6, v2
	;; [unrolled: 1-line block ×3, first 2 shown]
	s_delay_alu instid0(VALU_DEP_3) | instskip(NEXT) | instid1(VALU_DEP_3)
	v_dual_mul_f32 v4, v8, v4 :: v_dual_fmac_f32 v19, v6, v1
	v_fma_f32 v136, v5, v1, -v2
	s_delay_alu instid0(VALU_DEP_3) | instskip(NEXT) | instid1(VALU_DEP_3)
	v_fmac_f32_e32 v20, v8, v3
	v_fma_f32 v137, v7, v3, -v4
	ds_load_b128 v[1:4], v21 offset:544
	ds_load_b128 v[5:8], v21 offset:560
	s_wait_loadcnt_dscnt 0x1
	v_mul_f32_e32 v143, v1, v10
	v_mul_f32_e32 v10, v2, v10
	s_delay_alu instid0(VALU_DEP_2) | instskip(NEXT) | instid1(VALU_DEP_2)
	v_dual_mul_f32 v144, v3, v12 :: v_dual_fmac_f32 v143, v2, v9
	v_fma_f32 v145, v1, v9, -v10
	v_mul_f32_e32 v1, v4, v12
	s_delay_alu instid0(VALU_DEP_3) | instskip(NEXT) | instid1(VALU_DEP_2)
	v_fmac_f32_e32 v144, v4, v11
	v_fma_f32 v146, v3, v11, -v1
	s_clause 0x1
	scratch_load_b128 v[1:4], off, off offset:144
	scratch_load_b128 v[9:12], off, off offset:160
	s_wait_loadcnt_dscnt 0x100
	v_mul_f32_e32 v147, v5, v2
	v_dual_mul_f32 v2, v6, v2 :: v_dual_mul_f32 v149, v7, v4
	s_delay_alu instid0(VALU_DEP_2) | instskip(NEXT) | instid1(VALU_DEP_2)
	v_fmac_f32_e32 v147, v6, v1
	v_fma_f32 v148, v5, v1, -v2
	v_mul_f32_e32 v1, v8, v4
	s_delay_alu instid0(VALU_DEP_4) | instskip(NEXT) | instid1(VALU_DEP_2)
	v_fmac_f32_e32 v149, v8, v3
	v_fma_f32 v150, v7, v3, -v1
	ds_load_b128 v[1:4], v21 offset:576
	ds_load_b128 v[5:8], v21 offset:592
	s_wait_loadcnt_dscnt 0x1
	v_mul_f32_e32 v151, v1, v10
	v_mul_f32_e32 v153, v3, v12
	s_delay_alu instid0(VALU_DEP_2) | instskip(NEXT) | instid1(VALU_DEP_2)
	v_fmac_f32_e32 v151, v2, v9
	v_dual_mul_f32 v2, v2, v10 :: v_dual_fmac_f32 v153, v4, v11
	s_delay_alu instid0(VALU_DEP_1) | instskip(SKIP_1) | instid1(VALU_DEP_1)
	v_fma_f32 v152, v1, v9, -v2
	v_mul_f32_e32 v1, v4, v12
	v_fma_f32 v154, v3, v11, -v1
	s_clause 0x1
	scratch_load_b128 v[1:4], off, off offset:176
	scratch_load_b128 v[9:12], off, off offset:192
	s_wait_loadcnt_dscnt 0x100
	v_mul_f32_e32 v155, v5, v2
	v_dual_mul_f32 v157, v7, v4 :: v_dual_mul_f32 v2, v6, v2
	s_delay_alu instid0(VALU_DEP_2) | instskip(NEXT) | instid1(VALU_DEP_2)
	v_fmac_f32_e32 v155, v6, v1
	v_fmac_f32_e32 v157, v8, v3
	s_delay_alu instid0(VALU_DEP_3) | instskip(SKIP_1) | instid1(VALU_DEP_1)
	v_fma_f32 v156, v5, v1, -v2
	v_mul_f32_e32 v1, v8, v4
	v_fma_f32 v158, v7, v3, -v1
	ds_load_b128 v[1:4], v21 offset:608
	ds_load_b128 v[5:8], v21 offset:624
	s_wait_loadcnt_dscnt 0x1
	v_mul_f32_e32 v159, v1, v10
	v_mul_f32_e32 v161, v3, v12
	s_delay_alu instid0(VALU_DEP_2) | instskip(NEXT) | instid1(VALU_DEP_2)
	v_fmac_f32_e32 v159, v2, v9
	v_dual_mul_f32 v2, v2, v10 :: v_dual_fmac_f32 v161, v4, v11
	s_delay_alu instid0(VALU_DEP_1) | instskip(SKIP_1) | instid1(VALU_DEP_1)
	v_fma_f32 v160, v1, v9, -v2
	v_mul_f32_e32 v1, v4, v12
	v_fma_f32 v162, v3, v11, -v1
	s_clause 0x1
	scratch_load_b128 v[1:4], off, off offset:208
	scratch_load_b128 v[9:12], off, off offset:224
	s_wait_loadcnt_dscnt 0x100
	v_mul_f32_e32 v163, v5, v2
	v_dual_mul_f32 v2, v6, v2 :: v_dual_mul_f32 v165, v7, v4
	s_delay_alu instid0(VALU_DEP_2) | instskip(NEXT) | instid1(VALU_DEP_2)
	v_fmac_f32_e32 v163, v6, v1
	v_fma_f32 v164, v5, v1, -v2
	v_mul_f32_e32 v1, v8, v4
	s_delay_alu instid0(VALU_DEP_4) | instskip(NEXT) | instid1(VALU_DEP_2)
	v_fmac_f32_e32 v165, v8, v3
	v_fma_f32 v166, v7, v3, -v1
	ds_load_b128 v[1:4], v21 offset:640
	ds_load_b128 v[5:8], v21 offset:656
	s_wait_loadcnt_dscnt 0x1
	v_mul_f32_e32 v167, v1, v10
	v_mul_f32_e32 v169, v3, v12
	s_delay_alu instid0(VALU_DEP_2) | instskip(NEXT) | instid1(VALU_DEP_2)
	v_fmac_f32_e32 v167, v2, v9
	v_dual_mul_f32 v2, v2, v10 :: v_dual_fmac_f32 v169, v4, v11
	s_delay_alu instid0(VALU_DEP_1) | instskip(SKIP_1) | instid1(VALU_DEP_1)
	v_fma_f32 v168, v1, v9, -v2
	v_mul_f32_e32 v1, v4, v12
	v_fma_f32 v170, v3, v11, -v1
	s_clause 0x1
	scratch_load_b128 v[1:4], off, off offset:240
	scratch_load_b128 v[9:12], off, off offset:256
	s_wait_loadcnt_dscnt 0x100
	v_mul_f32_e32 v171, v5, v2
	v_dual_mul_f32 v2, v6, v2 :: v_dual_mul_f32 v173, v7, v4
	s_delay_alu instid0(VALU_DEP_2) | instskip(NEXT) | instid1(VALU_DEP_2)
	v_fmac_f32_e32 v171, v6, v1
	v_fma_f32 v172, v5, v1, -v2
	v_mul_f32_e32 v1, v8, v4
	s_delay_alu instid0(VALU_DEP_4) | instskip(NEXT) | instid1(VALU_DEP_2)
	v_fmac_f32_e32 v173, v8, v3
	;; [unrolled: 25-line block ×3, first 2 shown]
	v_fma_f32 v182, v7, v3, -v1
	ds_load_b128 v[1:4], v21 offset:704
	ds_load_b128 v[5:8], v21 offset:720
	s_wait_loadcnt_dscnt 0x1
	v_mul_f32_e32 v183, v1, v10
	v_mul_f32_e32 v185, v3, v12
	s_delay_alu instid0(VALU_DEP_2) | instskip(NEXT) | instid1(VALU_DEP_2)
	v_fmac_f32_e32 v183, v2, v9
	v_dual_mul_f32 v2, v2, v10 :: v_dual_fmac_f32 v185, v4, v11
	s_delay_alu instid0(VALU_DEP_1) | instskip(SKIP_1) | instid1(VALU_DEP_1)
	v_fma_f32 v184, v1, v9, -v2
	v_mul_f32_e32 v1, v4, v12
	v_fma_f32 v186, v3, v11, -v1
	s_clause 0x1
	scratch_load_b128 v[1:4], off, off offset:304
	scratch_load_b128 v[9:12], off, off offset:320
	s_wait_loadcnt_dscnt 0x100
	v_mul_f32_e32 v187, v5, v2
	v_mul_f32_e32 v2, v6, v2
	s_delay_alu instid0(VALU_DEP_2) | instskip(NEXT) | instid1(VALU_DEP_2)
	v_fmac_f32_e32 v187, v6, v1
	v_fma_f32 v188, v5, v1, -v2
	v_add_f32_e32 v2, 0, v140
	s_delay_alu instid0(VALU_DEP_1) | instskip(NEXT) | instid1(VALU_DEP_1)
	v_dual_mul_f32 v1, v8, v4 :: v_dual_add_f32 v2, v2, v141
	v_fma_f32 v190, v7, v3, -v1
	s_delay_alu instid0(VALU_DEP_2) | instskip(NEXT) | instid1(VALU_DEP_1)
	v_dual_add_f32 v1, 0, v22 :: v_dual_add_f32 v2, v2, v127
	v_dual_add_f32 v1, v1, v126 :: v_dual_add_f32 v2, v2, v128
	s_delay_alu instid0(VALU_DEP_1) | instskip(NEXT) | instid1(VALU_DEP_1)
	v_add_f32_e32 v2, v2, v129
	v_add_f32_e32 v2, v2, v142
	s_delay_alu instid0(VALU_DEP_1) | instskip(NEXT) | instid1(VALU_DEP_1)
	v_add_f32_e32 v2, v2, v134
	v_dual_add_f32 v1, v1, v130 :: v_dual_add_f32 v2, v2, v135
	s_delay_alu instid0(VALU_DEP_1) | instskip(NEXT) | instid1(VALU_DEP_1)
	v_add_f32_e32 v2, v2, v15
	v_add_f32_e32 v2, v2, v18
	s_delay_alu instid0(VALU_DEP_1) | instskip(NEXT) | instid1(VALU_DEP_1)
	v_add_f32_e32 v2, v2, v19
	v_dual_add_f32 v2, v2, v20 :: v_dual_add_f32 v1, v1, v131
	scratch_load_b64 v[130:131], off, off offset:400
	v_dual_add_f32 v2, v2, v143 :: v_dual_add_f32 v1, v1, v132
	s_delay_alu instid0(VALU_DEP_1) | instskip(NEXT) | instid1(VALU_DEP_1)
	v_dual_add_f32 v2, v2, v144 :: v_dual_add_f32 v1, v1, v133
	v_dual_add_f32 v2, v2, v147 :: v_dual_add_f32 v1, v1, v13
	s_delay_alu instid0(VALU_DEP_1) | instskip(NEXT) | instid1(VALU_DEP_1)
	v_dual_add_f32 v2, v2, v149 :: v_dual_add_f32 v1, v1, v14
	v_dual_add_f32 v2, v2, v151 :: v_dual_add_f32 v1, v1, v16
	s_delay_alu instid0(VALU_DEP_1) | instskip(NEXT) | instid1(VALU_DEP_1)
	v_add_f32_e32 v2, v2, v153
	v_dual_add_f32 v1, v1, v17 :: v_dual_add_f32 v2, v2, v155
	s_delay_alu instid0(VALU_DEP_1) | instskip(NEXT) | instid1(VALU_DEP_1)
	v_dual_add_f32 v1, v1, v136 :: v_dual_add_f32 v2, v2, v157
	v_add_f32_e32 v1, v1, v137
	s_delay_alu instid0(VALU_DEP_1) | instskip(NEXT) | instid1(VALU_DEP_1)
	v_add_f32_e32 v1, v1, v145
	v_add_f32_e32 v1, v1, v146
	s_delay_alu instid0(VALU_DEP_1) | instskip(NEXT) | instid1(VALU_DEP_1)
	v_add_f32_e32 v1, v1, v148
	;; [unrolled: 3-line block ×5, first 2 shown]
	v_add_f32_e32 v1, v1, v162
	s_delay_alu instid0(VALU_DEP_1) | instskip(SKIP_1) | instid1(VALU_DEP_2)
	v_add_f32_e32 v6, v1, v164
	v_dual_add_f32 v2, v2, v159 :: v_dual_mul_f32 v189, v7, v4
	v_add_f32_e32 v14, v6, v166
	s_delay_alu instid0(VALU_DEP_2) | instskip(NEXT) | instid1(VALU_DEP_1)
	v_add_f32_e32 v5, v2, v161
	v_dual_add_f32 v14, v14, v168 :: v_dual_add_f32 v13, v5, v163
	s_delay_alu instid0(VALU_DEP_1) | instskip(NEXT) | instid1(VALU_DEP_2)
	v_add_f32_e32 v17, v14, v170
	v_add_f32_e32 v13, v13, v165
	s_delay_alu instid0(VALU_DEP_1)
	v_add_f32_e32 v13, v13, v167
	v_fmac_f32_e32 v189, v8, v3
	scratch_load_b128 v[1:4], off, off offset:336
	ds_load_b128 v[5:8], v21 offset:736
	v_add_f32_e32 v18, v13, v169
	ds_load_b128 v[13:16], v21 offset:752
	s_wait_loadcnt_dscnt 0x201
	v_mul_f32_e32 v134, v7, v12
	v_mul_f32_e32 v12, v8, v12
	v_add_f32_e32 v18, v18, v171
	v_mul_f32_e32 v22, v5, v10
	v_mul_f32_e32 v10, v6, v10
	v_fmac_f32_e32 v134, v8, v11
	v_fma_f32 v136, v7, v11, -v12
	v_add_f32_e32 v18, v18, v173
	v_fmac_f32_e32 v22, v6, v9
	v_fma_f32 v135, v5, v9, -v10
	s_clause 0x1
	scratch_load_b128 v[5:8], off, off offset:352
	scratch_load_b128 v[9:12], off, off offset:368
	v_add_f32_e32 v126, v18, v175
	s_delay_alu instid0(VALU_DEP_1) | instskip(SKIP_2) | instid1(VALU_DEP_2)
	v_add_f32_e32 v126, v126, v177
	s_wait_loadcnt_dscnt 0x200
	v_mul_f32_e32 v140, v15, v4
	v_dual_add_f32 v126, v126, v179 :: v_dual_mul_f32 v137, v13, v2
	v_mul_f32_e32 v2, v14, v2
	v_mul_f32_e32 v4, v16, v4
	s_delay_alu instid0(VALU_DEP_4) | instskip(NEXT) | instid1(VALU_DEP_4)
	v_fmac_f32_e32 v140, v16, v3
	v_add_f32_e32 v126, v126, v181
	v_fmac_f32_e32 v137, v14, v1
	v_fma_f32 v141, v13, v1, -v2
	v_fma_f32 v142, v15, v3, -v4
	ds_load_b128 v[1:4], v21 offset:768
	v_add_f32_e32 v13, v126, v183
	s_delay_alu instid0(VALU_DEP_1) | instskip(SKIP_1) | instid1(VALU_DEP_2)
	v_add_f32_e32 v126, v13, v185
	v_add_f32_e32 v17, v17, v172
	;; [unrolled: 1-line block ×3, first 2 shown]
	s_delay_alu instid0(VALU_DEP_2) | instskip(NEXT) | instid1(VALU_DEP_2)
	v_add_f32_e32 v17, v17, v174
	v_add_f32_e32 v144, v133, v189
	s_delay_alu instid0(VALU_DEP_1) | instskip(NEXT) | instid1(VALU_DEP_1)
	v_dual_add_f32 v17, v17, v176 :: v_dual_add_f32 v22, v144, v22
	v_add_f32_e32 v127, v17, v178
	scratch_load_b128 v[17:20], off, off offset:384
	v_dual_add_f32 v22, v22, v134 :: v_dual_add_f32 v127, v127, v180
	s_delay_alu instid0(VALU_DEP_1) | instskip(NEXT) | instid1(VALU_DEP_1)
	v_dual_add_f32 v22, v22, v137 :: v_dual_add_f32 v127, v127, v182
	v_add_f32_e32 v22, v22, v140
	s_delay_alu instid0(VALU_DEP_2) | instskip(NEXT) | instid1(VALU_DEP_1)
	v_add_f32_e32 v127, v127, v184
	v_add_f32_e32 v14, v127, v186
	ds_load_b128 v[126:129], v21 offset:800
	v_add_f32_e32 v132, v14, v188
	ds_load_b128 v[13:16], v21 offset:784
	s_wait_loadcnt_dscnt 0x202
	v_mul_f32_e32 v134, v3, v8
	v_mul_f32_e32 v8, v4, v8
	v_add_f32_e32 v143, v132, v190
	ds_load_b64 v[132:133], v21 offset:816
	v_fmac_f32_e32 v134, v4, v7
	v_add_f32_e32 v135, v143, v135
	v_mul_f32_e32 v143, v1, v6
	s_delay_alu instid0(VALU_DEP_2) | instskip(NEXT) | instid1(VALU_DEP_2)
	v_dual_mul_f32 v6, v2, v6 :: v_dual_add_f32 v135, v135, v136
	v_fmac_f32_e32 v143, v2, v5
	s_delay_alu instid0(VALU_DEP_2)
	v_fma_f32 v1, v1, v5, -v6
	v_fma_f32 v2, v3, v7, -v8
	s_wait_loadcnt_dscnt 0x101
	v_dual_add_f32 v135, v135, v141 :: v_dual_mul_f32 v136, v13, v10
	v_mul_f32_e32 v3, v14, v10
	v_dual_add_f32 v4, v22, v143 :: v_dual_mul_f32 v137, v15, v12
	s_delay_alu instid0(VALU_DEP_3) | instskip(NEXT) | instid1(VALU_DEP_4)
	v_add_f32_e32 v135, v135, v142
	v_dual_mul_f32 v5, v16, v12 :: v_dual_fmac_f32 v136, v14, v9
	s_delay_alu instid0(VALU_DEP_4) | instskip(NEXT) | instid1(VALU_DEP_4)
	v_fma_f32 v3, v13, v9, -v3
	v_fmac_f32_e32 v137, v16, v11
	s_delay_alu instid0(VALU_DEP_4) | instskip(NEXT) | instid1(VALU_DEP_4)
	v_add_f32_e32 v1, v135, v1
	v_fma_f32 v5, v15, v11, -v5
	s_wait_dscnt 0x0
	s_delay_alu instid0(VALU_DEP_2) | instskip(SKIP_1) | instid1(VALU_DEP_2)
	v_dual_mul_f32 v140, v132, v131 :: v_dual_add_f32 v1, v1, v2
	v_add_f32_e32 v2, v4, v134
	v_fmac_f32_e32 v140, v133, v130
	s_delay_alu instid0(VALU_DEP_2) | instskip(NEXT) | instid1(VALU_DEP_1)
	v_dual_add_f32 v1, v1, v3 :: v_dual_add_f32 v2, v2, v136
	v_add_f32_e32 v1, v1, v5
	s_delay_alu instid0(VALU_DEP_2)
	v_dual_add_f32 v2, v2, v137 :: v_dual_mul_f32 v5, v133, v131
	s_wait_loadcnt 0x0
	v_mul_f32_e32 v141, v126, v18
	v_mul_f32_e32 v4, v127, v18
	;; [unrolled: 1-line block ×4, first 2 shown]
	s_delay_alu instid0(VALU_DEP_4) | instskip(NEXT) | instid1(VALU_DEP_4)
	v_fmac_f32_e32 v141, v127, v17
	v_fma_f32 v4, v126, v17, -v4
	s_delay_alu instid0(VALU_DEP_4) | instskip(NEXT) | instid1(VALU_DEP_4)
	v_fmac_f32_e32 v142, v129, v19
	v_fma_f32 v3, v128, v19, -v3
	s_delay_alu instid0(VALU_DEP_3) | instskip(SKIP_1) | instid1(VALU_DEP_2)
	v_dual_add_f32 v2, v2, v141 :: v_dual_add_f32 v1, v1, v4
	v_fma_f32 v4, v132, v130, -v5
	v_dual_add_f32 v2, v2, v142 :: v_dual_add_f32 v1, v1, v3
	s_delay_alu instid0(VALU_DEP_1) | instskip(NEXT) | instid1(VALU_DEP_1)
	v_add_f32_e32 v2, v2, v140
	v_dual_add_f32 v1, v1, v4 :: v_dual_sub_f32 v2, v139, v2
	s_delay_alu instid0(VALU_DEP_1)
	v_sub_f32_e32 v1, v138, v1
	scratch_store_b64 off, v[1:2], off offset:24
	v_cmpx_lt_u32_e32 2, v0
	s_cbranch_execz .LBB50_315
; %bb.314:
	scratch_load_b64 v[1:2], off, off offset:16
	v_mov_b32_e32 v22, v21
	scratch_store_b64 off, v[21:22], off offset:16
	s_wait_loadcnt 0x0
	ds_store_b64 v23, v[1:2]
.LBB50_315:
	s_wait_alu 0xfffe
	s_or_b32 exec_lo, exec_lo, s0
	s_wait_storecnt_dscnt 0x0
	s_barrier_signal -1
	s_barrier_wait -1
	global_inv scope:SCOPE_SE
	s_clause 0x4
	scratch_load_b128 v[5:8], off, off offset:24
	scratch_load_b128 v[1:4], off, off offset:40
	;; [unrolled: 1-line block ×5, first 2 shown]
	ds_load_2addr_b64 v[126:129], v21 offset0:55 offset1:56
	ds_load_2addr_b64 v[130:133], v21 offset0:57 offset1:58
	;; [unrolled: 1-line block ×3, first 2 shown]
	scratch_load_b64 v[138:139], off, off offset:16
	s_mov_b32 s0, exec_lo
	s_wait_loadcnt_dscnt 0x502
	v_dual_mul_f32 v22, v127, v6 :: v_dual_mul_f32 v141, v128, v8
	v_mul_f32_e32 v140, v126, v6
	v_mul_f32_e32 v6, v129, v8
	s_wait_loadcnt_dscnt 0x300
	v_mul_f32_e32 v142, v136, v12
	v_fma_f32 v22, v126, v5, -v22
	v_dual_fmac_f32 v141, v129, v7 :: v_dual_fmac_f32 v140, v127, v5
	v_mul_f32_e32 v129, v134, v10
	v_mul_f32_e32 v127, v130, v2
	v_fma_f32 v126, v128, v7, -v6
	ds_load_2addr_b64 v[5:8], v21 offset0:61 offset1:62
	v_mul_f32_e32 v128, v132, v4
	v_dual_mul_f32 v4, v133, v4 :: v_dual_fmac_f32 v129, v135, v9
	v_mul_f32_e32 v10, v135, v10
	v_mul_f32_e32 v12, v137, v12
	;; [unrolled: 1-line block ×3, first 2 shown]
	v_dual_fmac_f32 v127, v131, v1 :: v_dual_fmac_f32 v128, v133, v3
	v_fma_f32 v131, v132, v3, -v4
	v_fma_f32 v132, v134, v9, -v10
	v_fmac_f32_e32 v142, v137, v11
	v_fma_f32 v133, v136, v11, -v12
	ds_load_2addr_b64 v[9:12], v21 offset0:63 offset1:64
	s_wait_loadcnt_dscnt 0x201
	v_dual_mul_f32 v135, v7, v16 :: v_dual_mul_f32 v134, v5, v14
	s_delay_alu instid0(VALU_DEP_1)
	v_dual_mul_f32 v14, v6, v14 :: v_dual_fmac_f32 v135, v8, v15
	v_fma_f32 v130, v130, v1, -v2
	scratch_load_b128 v[1:4], off, off offset:104
	v_mul_f32_e32 v16, v8, v16
	v_fmac_f32_e32 v134, v6, v13
	v_fma_f32 v13, v5, v13, -v14
	s_delay_alu instid0(VALU_DEP_3)
	v_fma_f32 v14, v7, v15, -v16
	s_wait_loadcnt_dscnt 0x200
	v_mul_f32_e32 v15, v9, v18
	v_mul_f32_e32 v16, v10, v18
	;; [unrolled: 1-line block ×4, first 2 shown]
	ds_load_2addr_b64 v[5:8], v21 offset0:65 offset1:66
	v_fmac_f32_e32 v15, v10, v17
	v_fma_f32 v16, v9, v17, -v16
	v_fmac_f32_e32 v18, v12, v19
	v_fma_f32 v17, v11, v19, -v20
	scratch_load_b128 v[9:12], off, off offset:120
	s_wait_loadcnt_dscnt 0x100
	v_mul_f32_e32 v19, v5, v2
	v_mul_f32_e32 v2, v6, v2
	;; [unrolled: 1-line block ×3, first 2 shown]
	s_delay_alu instid0(VALU_DEP_3) | instskip(NEXT) | instid1(VALU_DEP_3)
	v_dual_mul_f32 v4, v8, v4 :: v_dual_fmac_f32 v19, v6, v1
	v_fma_f32 v136, v5, v1, -v2
	s_delay_alu instid0(VALU_DEP_3) | instskip(NEXT) | instid1(VALU_DEP_3)
	v_fmac_f32_e32 v20, v8, v3
	v_fma_f32 v137, v7, v3, -v4
	ds_load_2addr_b64 v[1:4], v21 offset0:67 offset1:68
	ds_load_2addr_b64 v[5:8], v21 offset0:69 offset1:70
	s_wait_loadcnt_dscnt 0x1
	v_mul_f32_e32 v143, v1, v10
	v_mul_f32_e32 v10, v2, v10
	s_delay_alu instid0(VALU_DEP_2) | instskip(NEXT) | instid1(VALU_DEP_2)
	v_dual_mul_f32 v144, v3, v12 :: v_dual_fmac_f32 v143, v2, v9
	v_fma_f32 v145, v1, v9, -v10
	v_mul_f32_e32 v1, v4, v12
	s_delay_alu instid0(VALU_DEP_3) | instskip(NEXT) | instid1(VALU_DEP_2)
	v_fmac_f32_e32 v144, v4, v11
	v_fma_f32 v146, v3, v11, -v1
	s_clause 0x1
	scratch_load_b128 v[1:4], off, off offset:136
	scratch_load_b128 v[9:12], off, off offset:152
	s_wait_loadcnt_dscnt 0x100
	v_mul_f32_e32 v147, v5, v2
	v_dual_mul_f32 v2, v6, v2 :: v_dual_mul_f32 v149, v7, v4
	s_delay_alu instid0(VALU_DEP_2) | instskip(NEXT) | instid1(VALU_DEP_2)
	v_fmac_f32_e32 v147, v6, v1
	v_fma_f32 v148, v5, v1, -v2
	v_mul_f32_e32 v1, v8, v4
	s_delay_alu instid0(VALU_DEP_4) | instskip(NEXT) | instid1(VALU_DEP_2)
	v_fmac_f32_e32 v149, v8, v3
	v_fma_f32 v150, v7, v3, -v1
	ds_load_2addr_b64 v[1:4], v21 offset0:71 offset1:72
	ds_load_2addr_b64 v[5:8], v21 offset0:73 offset1:74
	s_wait_loadcnt_dscnt 0x1
	v_mul_f32_e32 v151, v1, v10
	v_mul_f32_e32 v153, v3, v12
	s_delay_alu instid0(VALU_DEP_2) | instskip(NEXT) | instid1(VALU_DEP_2)
	v_fmac_f32_e32 v151, v2, v9
	v_dual_mul_f32 v2, v2, v10 :: v_dual_fmac_f32 v153, v4, v11
	s_delay_alu instid0(VALU_DEP_1) | instskip(SKIP_1) | instid1(VALU_DEP_1)
	v_fma_f32 v152, v1, v9, -v2
	v_mul_f32_e32 v1, v4, v12
	v_fma_f32 v154, v3, v11, -v1
	s_clause 0x1
	scratch_load_b128 v[1:4], off, off offset:168
	scratch_load_b128 v[9:12], off, off offset:184
	s_wait_loadcnt_dscnt 0x100
	v_mul_f32_e32 v155, v5, v2
	v_dual_mul_f32 v2, v6, v2 :: v_dual_mul_f32 v157, v7, v4
	s_delay_alu instid0(VALU_DEP_2) | instskip(NEXT) | instid1(VALU_DEP_2)
	v_fmac_f32_e32 v155, v6, v1
	v_fma_f32 v156, v5, v1, -v2
	v_mul_f32_e32 v1, v8, v4
	s_delay_alu instid0(VALU_DEP_4) | instskip(NEXT) | instid1(VALU_DEP_2)
	v_fmac_f32_e32 v157, v8, v3
	v_fma_f32 v158, v7, v3, -v1
	ds_load_2addr_b64 v[1:4], v21 offset0:75 offset1:76
	ds_load_2addr_b64 v[5:8], v21 offset0:77 offset1:78
	s_wait_loadcnt_dscnt 0x1
	v_mul_f32_e32 v159, v1, v10
	v_mul_f32_e32 v161, v3, v12
	s_delay_alu instid0(VALU_DEP_2) | instskip(NEXT) | instid1(VALU_DEP_2)
	v_fmac_f32_e32 v159, v2, v9
	v_dual_mul_f32 v2, v2, v10 :: v_dual_fmac_f32 v161, v4, v11
	s_delay_alu instid0(VALU_DEP_1) | instskip(SKIP_1) | instid1(VALU_DEP_1)
	v_fma_f32 v160, v1, v9, -v2
	v_mul_f32_e32 v1, v4, v12
	;; [unrolled: 25-line block ×6, first 2 shown]
	v_fma_f32 v194, v3, v11, -v1
	s_clause 0x1
	scratch_load_b128 v[1:4], off, off offset:328
	scratch_load_b128 v[9:12], off, off offset:344
	s_wait_loadcnt_dscnt 0x100
	v_mul_f32_e32 v195, v5, v2
	v_dual_mul_f32 v2, v6, v2 :: v_dual_mul_f32 v197, v7, v4
	s_delay_alu instid0(VALU_DEP_2) | instskip(NEXT) | instid1(VALU_DEP_2)
	v_fmac_f32_e32 v195, v6, v1
	v_fma_f32 v196, v5, v1, -v2
	s_delay_alu instid0(VALU_DEP_3) | instskip(NEXT) | instid1(VALU_DEP_1)
	v_dual_add_f32 v2, 0, v140 :: v_dual_fmac_f32 v197, v8, v3
	v_add_f32_e32 v2, v2, v141
	s_delay_alu instid0(VALU_DEP_1) | instskip(NEXT) | instid1(VALU_DEP_1)
	v_add_f32_e32 v2, v2, v127
	v_add_f32_e32 v2, v2, v128
	s_delay_alu instid0(VALU_DEP_1) | instskip(NEXT) | instid1(VALU_DEP_1)
	v_add_f32_e32 v2, v2, v129
	;; [unrolled: 3-line block ×4, first 2 shown]
	v_dual_add_f32 v2, v2, v18 :: v_dual_mul_f32 v1, v8, v4
	s_delay_alu instid0(VALU_DEP_1) | instskip(NEXT) | instid1(VALU_DEP_2)
	v_add_f32_e32 v2, v2, v19
	v_fma_f32 v198, v7, v3, -v1
	s_delay_alu instid0(VALU_DEP_2) | instskip(NEXT) | instid1(VALU_DEP_1)
	v_dual_add_f32 v1, 0, v22 :: v_dual_add_f32 v2, v2, v20
	v_dual_add_f32 v1, v1, v126 :: v_dual_add_f32 v2, v2, v143
	s_delay_alu instid0(VALU_DEP_1) | instskip(NEXT) | instid1(VALU_DEP_1)
	v_dual_add_f32 v1, v1, v130 :: v_dual_add_f32 v2, v2, v144
	v_add_f32_e32 v1, v1, v131
	s_delay_alu instid0(VALU_DEP_1) | instskip(NEXT) | instid1(VALU_DEP_1)
	v_dual_add_f32 v2, v2, v147 :: v_dual_add_f32 v1, v1, v132
	v_add_f32_e32 v2, v2, v149
	;; [unrolled: 3-line block ×3, first 2 shown]
	s_delay_alu instid0(VALU_DEP_1) | instskip(NEXT) | instid1(VALU_DEP_1)
	v_dual_add_f32 v2, v2, v153 :: v_dual_add_f32 v1, v1, v14
	v_dual_add_f32 v2, v2, v155 :: v_dual_add_f32 v1, v1, v16
	s_delay_alu instid0(VALU_DEP_1) | instskip(NEXT) | instid1(VALU_DEP_2)
	v_add_f32_e32 v2, v2, v157
	v_add_f32_e32 v1, v1, v17
	s_delay_alu instid0(VALU_DEP_1) | instskip(NEXT) | instid1(VALU_DEP_1)
	v_add_f32_e32 v1, v1, v136
	v_add_f32_e32 v1, v1, v137
	s_delay_alu instid0(VALU_DEP_1) | instskip(NEXT) | instid1(VALU_DEP_1)
	v_add_f32_e32 v1, v1, v145
	v_add_f32_e32 v1, v1, v146
	s_delay_alu instid0(VALU_DEP_1) | instskip(NEXT) | instid1(VALU_DEP_1)
	v_add_f32_e32 v1, v1, v148
	v_add_f32_e32 v1, v1, v150
	s_delay_alu instid0(VALU_DEP_1) | instskip(NEXT) | instid1(VALU_DEP_1)
	v_add_f32_e32 v1, v1, v152
	v_add_f32_e32 v1, v1, v154
	s_delay_alu instid0(VALU_DEP_1) | instskip(NEXT) | instid1(VALU_DEP_1)
	v_add_f32_e32 v1, v1, v156
	v_add_f32_e32 v1, v1, v158
	s_delay_alu instid0(VALU_DEP_1) | instskip(NEXT) | instid1(VALU_DEP_1)
	v_add_f32_e32 v1, v1, v160
	v_add_f32_e32 v1, v1, v162
	s_delay_alu instid0(VALU_DEP_1) | instskip(NEXT) | instid1(VALU_DEP_1)
	v_add_f32_e32 v1, v1, v164
	v_add_f32_e32 v1, v1, v166
	s_delay_alu instid0(VALU_DEP_1) | instskip(NEXT) | instid1(VALU_DEP_1)
	v_add_f32_e32 v1, v1, v168
	v_add_f32_e32 v6, v1, v170
	;; [unrolled: 1-line block ×3, first 2 shown]
	s_delay_alu instid0(VALU_DEP_2) | instskip(NEXT) | instid1(VALU_DEP_2)
	v_add_f32_e32 v6, v6, v172
	v_add_f32_e32 v2, v2, v161
	s_delay_alu instid0(VALU_DEP_2) | instskip(NEXT) | instid1(VALU_DEP_1)
	v_add_f32_e32 v13, v6, v174
	v_dual_add_f32 v2, v2, v163 :: v_dual_add_f32 v13, v13, v176
	s_delay_alu instid0(VALU_DEP_1) | instskip(NEXT) | instid1(VALU_DEP_1)
	v_dual_add_f32 v2, v2, v165 :: v_dual_add_f32 v13, v13, v178
	v_add_f32_e32 v5, v2, v167
	ds_load_2addr_b64 v[1:4], v21 offset0:95 offset1:96
	v_add_f32_e32 v13, v13, v180
	v_add_f32_e32 v5, v5, v169
	s_delay_alu instid0(VALU_DEP_2) | instskip(NEXT) | instid1(VALU_DEP_1)
	v_add_f32_e32 v18, v13, v182
	v_dual_add_f32 v5, v5, v171 :: v_dual_add_f32 v18, v18, v184
	s_delay_alu instid0(VALU_DEP_1)
	v_add_f32_e32 v14, v5, v173
	ds_load_2addr_b64 v[5:8], v21 offset0:97 offset1:98
	v_add_f32_e32 v18, v18, v186
	s_wait_loadcnt_dscnt 0x1
	v_mul_f32_e32 v22, v1, v10
	v_mul_f32_e32 v130, v3, v12
	;; [unrolled: 1-line block ×4, first 2 shown]
	v_add_f32_e32 v126, v18, v188
	v_fmac_f32_e32 v22, v2, v9
	v_fmac_f32_e32 v130, v4, v11
	v_fma_f32 v131, v1, v9, -v10
	v_fma_f32 v132, v3, v11, -v12
	s_clause 0x1
	scratch_load_b128 v[1:4], off, off offset:360
	scratch_load_b128 v[9:12], off, off offset:376
	v_add_f32_e32 v14, v14, v175
	v_add_f32_e32 v133, v126, v190
	s_delay_alu instid0(VALU_DEP_2) | instskip(NEXT) | instid1(VALU_DEP_1)
	v_add_f32_e32 v14, v14, v177
	v_add_f32_e32 v17, v14, v179
	scratch_load_b128 v[13:16], off, off offset:392
	v_add_f32_e32 v17, v17, v181
	s_delay_alu instid0(VALU_DEP_1) | instskip(NEXT) | instid1(VALU_DEP_1)
	v_add_f32_e32 v17, v17, v183
	v_add_f32_e32 v17, v17, v185
	s_delay_alu instid0(VALU_DEP_1) | instskip(SKIP_4) | instid1(VALU_DEP_1)
	v_add_f32_e32 v127, v17, v187
	ds_load_2addr_b64 v[17:20], v21 offset0:99 offset1:100
	v_add_f32_e32 v134, v127, v189
	ds_load_2addr_b64 v[126:129], v21 offset0:101 offset1:102
	v_add_f32_e32 v21, v133, v192
	v_add_f32_e32 v21, v21, v194
	s_delay_alu instid0(VALU_DEP_1) | instskip(NEXT) | instid1(VALU_DEP_1)
	v_add_f32_e32 v21, v21, v196
	v_add_f32_e32 v21, v21, v198
	s_delay_alu instid0(VALU_DEP_1)
	v_add_f32_e32 v21, v21, v131
	s_wait_loadcnt_dscnt 0x202
	v_mul_f32_e32 v135, v7, v4
	v_dual_mul_f32 v4, v8, v4 :: v_dual_add_f32 v133, v134, v191
	v_mul_f32_e32 v134, v5, v2
	v_mul_f32_e32 v2, v6, v2
	s_wait_loadcnt_dscnt 0x101
	v_dual_mul_f32 v136, v17, v10 :: v_dual_fmac_f32 v135, v8, v3
	v_add_f32_e32 v133, v133, v193
	v_fmac_f32_e32 v134, v6, v1
	v_fma_f32 v2, v5, v1, -v2
	v_dual_add_f32 v1, v21, v132 :: v_dual_mul_f32 v6, v18, v10
	s_delay_alu instid0(VALU_DEP_4) | instskip(SKIP_2) | instid1(VALU_DEP_4)
	v_add_f32_e32 v133, v133, v195
	v_fma_f32 v3, v7, v3, -v4
	v_mul_f32_e32 v137, v19, v12
	v_dual_add_f32 v1, v1, v2 :: v_dual_mul_f32 v4, v20, v12
	s_delay_alu instid0(VALU_DEP_4) | instskip(SKIP_2) | instid1(VALU_DEP_3)
	v_add_f32_e32 v133, v133, v197
	v_fmac_f32_e32 v136, v18, v9
	s_wait_loadcnt_dscnt 0x0
	v_dual_mul_f32 v140, v126, v14 :: v_dual_add_f32 v1, v1, v3
	v_mul_f32_e32 v3, v127, v14
	v_dual_add_f32 v22, v133, v22 :: v_dual_fmac_f32 v137, v20, v11
	v_fma_f32 v4, v19, v11, -v4
	s_delay_alu instid0(VALU_DEP_4) | instskip(NEXT) | instid1(VALU_DEP_3)
	v_dual_mul_f32 v131, v128, v16 :: v_dual_fmac_f32 v140, v127, v13
	v_add_f32_e32 v5, v22, v130
	v_fma_f32 v3, v126, v13, -v3
	s_delay_alu instid0(VALU_DEP_3) | instskip(NEXT) | instid1(VALU_DEP_3)
	v_fmac_f32_e32 v131, v129, v15
	v_add_f32_e32 v2, v5, v134
	v_fma_f32 v5, v17, v9, -v6
	s_delay_alu instid0(VALU_DEP_1) | instskip(SKIP_1) | instid1(VALU_DEP_2)
	v_dual_add_f32 v2, v2, v135 :: v_dual_add_f32 v1, v1, v5
	v_mul_f32_e32 v5, v129, v16
	v_add_f32_e32 v2, v2, v136
	s_delay_alu instid0(VALU_DEP_3) | instskip(NEXT) | instid1(VALU_DEP_3)
	v_add_f32_e32 v1, v1, v4
	v_fma_f32 v4, v128, v15, -v5
	s_delay_alu instid0(VALU_DEP_2) | instskip(NEXT) | instid1(VALU_DEP_1)
	v_dual_add_f32 v2, v2, v137 :: v_dual_add_f32 v1, v1, v3
	v_add_f32_e32 v2, v2, v140
	s_delay_alu instid0(VALU_DEP_1) | instskip(NEXT) | instid1(VALU_DEP_1)
	v_dual_add_f32 v1, v1, v4 :: v_dual_add_f32 v2, v2, v131
	v_dual_sub_f32 v1, v138, v1 :: v_dual_sub_f32 v2, v139, v2
	scratch_store_b64 off, v[1:2], off offset:16
	v_cmpx_lt_u32_e32 1, v0
	s_cbranch_execz .LBB50_317
; %bb.316:
	scratch_load_b64 v[1:2], off, off offset:8
	v_mov_b32_e32 v3, 0
	s_delay_alu instid0(VALU_DEP_1)
	v_mov_b32_e32 v4, v3
	scratch_store_b64 off, v[3:4], off offset:8
	s_wait_loadcnt 0x0
	ds_store_b64 v23, v[1:2]
.LBB50_317:
	s_wait_alu 0xfffe
	s_or_b32 exec_lo, exec_lo, s0
	s_wait_storecnt_dscnt 0x0
	s_barrier_signal -1
	s_barrier_wait -1
	global_inv scope:SCOPE_SE
	s_clause 0x4
	scratch_load_b128 v[5:8], off, off offset:16
	scratch_load_b128 v[1:4], off, off offset:32
	;; [unrolled: 1-line block ×5, first 2 shown]
	v_mov_b32_e32 v126, 0
	ds_load_b128 v[127:130], v126 offset:432
	ds_load_b128 v[131:134], v126 offset:448
	;; [unrolled: 1-line block ×3, first 2 shown]
	scratch_load_b64 v[21:22], off, off offset:8
	s_mov_b32 s0, exec_lo
	s_wait_loadcnt_dscnt 0x502
	v_mul_f32_e32 v139, v128, v6
	v_dual_mul_f32 v140, v127, v6 :: v_dual_mul_f32 v141, v129, v8
	v_mul_f32_e32 v6, v130, v8
	s_delay_alu instid0(VALU_DEP_3) | instskip(NEXT) | instid1(VALU_DEP_3)
	v_fma_f32 v127, v127, v5, -v139
	v_dual_fmac_f32 v140, v128, v5 :: v_dual_fmac_f32 v141, v130, v7
	s_delay_alu instid0(VALU_DEP_3)
	v_fma_f32 v128, v129, v7, -v6
	ds_load_b128 v[5:8], v126 offset:480
	s_wait_loadcnt_dscnt 0x402
	v_dual_mul_f32 v129, v131, v2 :: v_dual_mul_f32 v130, v133, v4
	s_wait_loadcnt_dscnt 0x301
	v_dual_mul_f32 v139, v135, v10 :: v_dual_mul_f32 v4, v134, v4
	v_mul_f32_e32 v10, v136, v10
	v_mul_f32_e32 v142, v137, v12
	;; [unrolled: 1-line block ×4, first 2 shown]
	v_dual_fmac_f32 v129, v132, v1 :: v_dual_fmac_f32 v130, v134, v3
	v_fma_f32 v132, v133, v3, -v4
	v_fmac_f32_e32 v139, v136, v9
	v_fma_f32 v133, v135, v9, -v10
	v_fmac_f32_e32 v142, v138, v11
	v_fma_f32 v134, v137, v11, -v12
	ds_load_b128 v[9:12], v126 offset:496
	s_wait_loadcnt_dscnt 0x201
	v_mul_f32_e32 v135, v5, v14
	v_mul_f32_e32 v14, v6, v14
	;; [unrolled: 1-line block ×3, first 2 shown]
	s_delay_alu instid0(VALU_DEP_3)
	v_dual_mul_f32 v16, v8, v16 :: v_dual_fmac_f32 v135, v6, v13
	v_fma_f32 v131, v131, v1, -v2
	scratch_load_b128 v[1:4], off, off offset:96
	v_fma_f32 v13, v5, v13, -v14
	v_fmac_f32_e32 v136, v8, v15
	v_fma_f32 v14, v7, v15, -v16
	ds_load_b128 v[5:8], v126 offset:512
	s_wait_loadcnt_dscnt 0x201
	v_mul_f32_e32 v15, v9, v18
	v_mul_f32_e32 v16, v10, v18
	v_mul_f32_e32 v18, v11, v20
	s_delay_alu instid0(VALU_DEP_3) | instskip(NEXT) | instid1(VALU_DEP_3)
	v_dual_mul_f32 v20, v12, v20 :: v_dual_fmac_f32 v15, v10, v17
	v_fma_f32 v16, v9, v17, -v16
	s_delay_alu instid0(VALU_DEP_3) | instskip(NEXT) | instid1(VALU_DEP_3)
	v_fmac_f32_e32 v18, v12, v19
	v_fma_f32 v17, v11, v19, -v20
	scratch_load_b128 v[9:12], off, off offset:112
	s_wait_loadcnt_dscnt 0x100
	v_mul_f32_e32 v19, v5, v2
	v_mul_f32_e32 v2, v6, v2
	;; [unrolled: 1-line block ×3, first 2 shown]
	s_delay_alu instid0(VALU_DEP_3) | instskip(NEXT) | instid1(VALU_DEP_3)
	v_dual_mul_f32 v4, v8, v4 :: v_dual_fmac_f32 v19, v6, v1
	v_fma_f32 v137, v5, v1, -v2
	s_delay_alu instid0(VALU_DEP_3) | instskip(NEXT) | instid1(VALU_DEP_3)
	v_fmac_f32_e32 v20, v8, v3
	v_fma_f32 v138, v7, v3, -v4
	ds_load_b128 v[1:4], v126 offset:528
	ds_load_b128 v[5:8], v126 offset:544
	s_wait_loadcnt_dscnt 0x1
	v_mul_f32_e32 v143, v1, v10
	v_mul_f32_e32 v10, v2, v10
	s_delay_alu instid0(VALU_DEP_2) | instskip(NEXT) | instid1(VALU_DEP_2)
	v_dual_mul_f32 v144, v3, v12 :: v_dual_fmac_f32 v143, v2, v9
	v_fma_f32 v145, v1, v9, -v10
	v_mul_f32_e32 v1, v4, v12
	s_delay_alu instid0(VALU_DEP_3) | instskip(NEXT) | instid1(VALU_DEP_2)
	v_fmac_f32_e32 v144, v4, v11
	v_fma_f32 v146, v3, v11, -v1
	s_clause 0x1
	scratch_load_b128 v[1:4], off, off offset:128
	scratch_load_b128 v[9:12], off, off offset:144
	s_wait_loadcnt_dscnt 0x100
	v_mul_f32_e32 v147, v5, v2
	v_dual_mul_f32 v2, v6, v2 :: v_dual_mul_f32 v149, v7, v4
	s_delay_alu instid0(VALU_DEP_2) | instskip(NEXT) | instid1(VALU_DEP_2)
	v_fmac_f32_e32 v147, v6, v1
	v_fma_f32 v148, v5, v1, -v2
	v_mul_f32_e32 v1, v8, v4
	s_delay_alu instid0(VALU_DEP_4) | instskip(NEXT) | instid1(VALU_DEP_2)
	v_fmac_f32_e32 v149, v8, v3
	v_fma_f32 v150, v7, v3, -v1
	ds_load_b128 v[1:4], v126 offset:560
	ds_load_b128 v[5:8], v126 offset:576
	s_wait_loadcnt_dscnt 0x1
	v_mul_f32_e32 v151, v1, v10
	v_mul_f32_e32 v153, v3, v12
	s_delay_alu instid0(VALU_DEP_2) | instskip(NEXT) | instid1(VALU_DEP_2)
	v_fmac_f32_e32 v151, v2, v9
	v_dual_mul_f32 v2, v2, v10 :: v_dual_fmac_f32 v153, v4, v11
	s_delay_alu instid0(VALU_DEP_1) | instskip(SKIP_1) | instid1(VALU_DEP_1)
	v_fma_f32 v152, v1, v9, -v2
	v_mul_f32_e32 v1, v4, v12
	v_fma_f32 v154, v3, v11, -v1
	s_clause 0x1
	scratch_load_b128 v[1:4], off, off offset:160
	scratch_load_b128 v[9:12], off, off offset:176
	s_wait_loadcnt_dscnt 0x100
	v_mul_f32_e32 v155, v5, v2
	v_dual_mul_f32 v157, v7, v4 :: v_dual_mul_f32 v2, v6, v2
	s_delay_alu instid0(VALU_DEP_2) | instskip(NEXT) | instid1(VALU_DEP_2)
	v_fmac_f32_e32 v155, v6, v1
	v_fmac_f32_e32 v157, v8, v3
	s_delay_alu instid0(VALU_DEP_3) | instskip(SKIP_1) | instid1(VALU_DEP_1)
	v_fma_f32 v156, v5, v1, -v2
	v_mul_f32_e32 v1, v8, v4
	v_fma_f32 v158, v7, v3, -v1
	ds_load_b128 v[1:4], v126 offset:592
	ds_load_b128 v[5:8], v126 offset:608
	s_wait_loadcnt_dscnt 0x1
	v_mul_f32_e32 v159, v1, v10
	v_mul_f32_e32 v161, v3, v12
	s_delay_alu instid0(VALU_DEP_2) | instskip(NEXT) | instid1(VALU_DEP_2)
	v_fmac_f32_e32 v159, v2, v9
	v_dual_mul_f32 v2, v2, v10 :: v_dual_fmac_f32 v161, v4, v11
	s_delay_alu instid0(VALU_DEP_1) | instskip(SKIP_1) | instid1(VALU_DEP_1)
	v_fma_f32 v160, v1, v9, -v2
	v_mul_f32_e32 v1, v4, v12
	v_fma_f32 v162, v3, v11, -v1
	s_clause 0x1
	scratch_load_b128 v[1:4], off, off offset:192
	scratch_load_b128 v[9:12], off, off offset:208
	s_wait_loadcnt_dscnt 0x100
	v_mul_f32_e32 v163, v5, v2
	v_dual_mul_f32 v2, v6, v2 :: v_dual_mul_f32 v165, v7, v4
	s_delay_alu instid0(VALU_DEP_2) | instskip(NEXT) | instid1(VALU_DEP_2)
	v_fmac_f32_e32 v163, v6, v1
	v_fma_f32 v164, v5, v1, -v2
	v_mul_f32_e32 v1, v8, v4
	s_delay_alu instid0(VALU_DEP_4) | instskip(NEXT) | instid1(VALU_DEP_2)
	v_fmac_f32_e32 v165, v8, v3
	v_fma_f32 v166, v7, v3, -v1
	ds_load_b128 v[1:4], v126 offset:624
	ds_load_b128 v[5:8], v126 offset:640
	s_wait_loadcnt_dscnt 0x1
	v_mul_f32_e32 v167, v1, v10
	v_mul_f32_e32 v169, v3, v12
	s_delay_alu instid0(VALU_DEP_2) | instskip(NEXT) | instid1(VALU_DEP_2)
	v_fmac_f32_e32 v167, v2, v9
	v_dual_mul_f32 v2, v2, v10 :: v_dual_fmac_f32 v169, v4, v11
	s_delay_alu instid0(VALU_DEP_1) | instskip(SKIP_1) | instid1(VALU_DEP_1)
	v_fma_f32 v168, v1, v9, -v2
	v_mul_f32_e32 v1, v4, v12
	v_fma_f32 v170, v3, v11, -v1
	s_clause 0x1
	scratch_load_b128 v[1:4], off, off offset:224
	scratch_load_b128 v[9:12], off, off offset:240
	s_wait_loadcnt_dscnt 0x100
	v_mul_f32_e32 v171, v5, v2
	v_dual_mul_f32 v2, v6, v2 :: v_dual_mul_f32 v173, v7, v4
	s_delay_alu instid0(VALU_DEP_2) | instskip(NEXT) | instid1(VALU_DEP_2)
	v_fmac_f32_e32 v171, v6, v1
	v_fma_f32 v172, v5, v1, -v2
	v_mul_f32_e32 v1, v8, v4
	s_delay_alu instid0(VALU_DEP_4) | instskip(NEXT) | instid1(VALU_DEP_2)
	v_fmac_f32_e32 v173, v8, v3
	;; [unrolled: 25-line block ×4, first 2 shown]
	v_fma_f32 v190, v7, v3, -v1
	ds_load_b128 v[1:4], v126 offset:720
	ds_load_b128 v[5:8], v126 offset:736
	s_wait_loadcnt_dscnt 0x1
	v_mul_f32_e32 v191, v1, v10
	v_mul_f32_e32 v193, v3, v12
	s_delay_alu instid0(VALU_DEP_2) | instskip(NEXT) | instid1(VALU_DEP_2)
	v_fmac_f32_e32 v191, v2, v9
	v_dual_mul_f32 v2, v2, v10 :: v_dual_fmac_f32 v193, v4, v11
	s_delay_alu instid0(VALU_DEP_1) | instskip(SKIP_1) | instid1(VALU_DEP_1)
	v_fma_f32 v192, v1, v9, -v2
	v_mul_f32_e32 v1, v4, v12
	v_fma_f32 v194, v3, v11, -v1
	s_clause 0x1
	scratch_load_b128 v[1:4], off, off offset:320
	scratch_load_b128 v[9:12], off, off offset:336
	s_wait_loadcnt_dscnt 0x100
	v_mul_f32_e32 v195, v5, v2
	v_mul_f32_e32 v2, v6, v2
	s_delay_alu instid0(VALU_DEP_2) | instskip(NEXT) | instid1(VALU_DEP_2)
	v_fmac_f32_e32 v195, v6, v1
	v_fma_f32 v196, v5, v1, -v2
	v_mul_f32_e32 v1, v8, v4
	v_add_f32_e32 v2, 0, v140
	s_delay_alu instid0(VALU_DEP_2) | instskip(NEXT) | instid1(VALU_DEP_2)
	v_fma_f32 v198, v7, v3, -v1
	v_dual_add_f32 v1, 0, v127 :: v_dual_add_f32 v2, v2, v141
	s_delay_alu instid0(VALU_DEP_1) | instskip(NEXT) | instid1(VALU_DEP_1)
	v_dual_add_f32 v1, v1, v128 :: v_dual_add_f32 v2, v2, v129
	v_dual_add_f32 v1, v1, v131 :: v_dual_add_f32 v2, v2, v130
	s_delay_alu instid0(VALU_DEP_1) | instskip(SKIP_2) | instid1(VALU_DEP_1)
	v_dual_add_f32 v1, v1, v132 :: v_dual_add_f32 v2, v2, v139
	scratch_load_b64 v[131:132], off, off offset:400
	v_dual_add_f32 v1, v1, v133 :: v_dual_add_f32 v2, v2, v142
	v_dual_add_f32 v1, v1, v134 :: v_dual_add_f32 v2, v2, v135
	s_delay_alu instid0(VALU_DEP_1) | instskip(NEXT) | instid1(VALU_DEP_1)
	v_dual_add_f32 v1, v1, v13 :: v_dual_add_f32 v2, v2, v136
	v_dual_add_f32 v1, v1, v14 :: v_dual_add_f32 v2, v2, v15
	s_delay_alu instid0(VALU_DEP_1) | instskip(NEXT) | instid1(VALU_DEP_1)
	;; [unrolled: 3-line block ×7, first 2 shown]
	v_dual_add_f32 v1, v1, v156 :: v_dual_add_f32 v2, v2, v157
	v_add_f32_e32 v1, v1, v158
	s_delay_alu instid0(VALU_DEP_1) | instskip(NEXT) | instid1(VALU_DEP_1)
	v_add_f32_e32 v1, v1, v160
	v_add_f32_e32 v1, v1, v162
	s_delay_alu instid0(VALU_DEP_1) | instskip(NEXT) | instid1(VALU_DEP_1)
	v_add_f32_e32 v1, v1, v164
	;; [unrolled: 3-line block ×3, first 2 shown]
	v_add_f32_e32 v6, v1, v170
	v_add_f32_e32 v2, v2, v159
	s_delay_alu instid0(VALU_DEP_2) | instskip(NEXT) | instid1(VALU_DEP_2)
	v_add_f32_e32 v6, v6, v172
	v_add_f32_e32 v2, v2, v161
	s_delay_alu instid0(VALU_DEP_2) | instskip(NEXT) | instid1(VALU_DEP_1)
	v_add_f32_e32 v13, v6, v174
	v_dual_add_f32 v2, v2, v163 :: v_dual_add_f32 v13, v13, v176
	s_delay_alu instid0(VALU_DEP_1) | instskip(NEXT) | instid1(VALU_DEP_1)
	v_dual_add_f32 v2, v2, v165 :: v_dual_add_f32 v13, v13, v178
	v_add_f32_e32 v5, v2, v167
	s_delay_alu instid0(VALU_DEP_2) | instskip(NEXT) | instid1(VALU_DEP_2)
	v_add_f32_e32 v13, v13, v180
	v_add_f32_e32 v5, v5, v169
	s_delay_alu instid0(VALU_DEP_2) | instskip(NEXT) | instid1(VALU_DEP_1)
	v_add_f32_e32 v18, v13, v182
	v_dual_add_f32 v5, v5, v171 :: v_dual_add_f32 v18, v18, v184
	s_delay_alu instid0(VALU_DEP_1) | instskip(NEXT) | instid1(VALU_DEP_2)
	v_add_f32_e32 v14, v5, v173
	v_add_f32_e32 v18, v18, v186
	s_delay_alu instid0(VALU_DEP_2) | instskip(NEXT) | instid1(VALU_DEP_2)
	v_dual_add_f32 v14, v14, v175 :: v_dual_mul_f32 v197, v7, v4
	v_add_f32_e32 v18, v18, v188
	s_delay_alu instid0(VALU_DEP_2)
	v_dual_add_f32 v14, v14, v177 :: v_dual_fmac_f32 v197, v8, v3
	ds_load_b128 v[1:4], v126 offset:752
	ds_load_b128 v[5:8], v126 offset:768
	v_add_f32_e32 v18, v18, v190
	v_add_f32_e32 v17, v14, v179
	scratch_load_b128 v[13:16], off, off offset:384
	v_add_f32_e32 v133, v18, v192
	v_add_f32_e32 v17, v17, v181
	s_delay_alu instid0(VALU_DEP_2) | instskip(NEXT) | instid1(VALU_DEP_2)
	v_add_f32_e32 v139, v133, v194
	v_add_f32_e32 v17, v17, v183
	s_delay_alu instid0(VALU_DEP_2) | instskip(NEXT) | instid1(VALU_DEP_2)
	v_add_f32_e32 v139, v139, v196
	v_add_f32_e32 v17, v17, v185
	s_wait_loadcnt_dscnt 0x201
	v_mul_f32_e32 v135, v1, v10
	v_mul_f32_e32 v10, v2, v10
	;; [unrolled: 1-line block ×3, first 2 shown]
	v_dual_mul_f32 v12, v4, v12 :: v_dual_add_f32 v139, v139, v198
	s_delay_alu instid0(VALU_DEP_3) | instskip(NEXT) | instid1(VALU_DEP_3)
	v_fma_f32 v137, v1, v9, -v10
	v_fmac_f32_e32 v136, v4, v11
	s_delay_alu instid0(VALU_DEP_3) | instskip(NEXT) | instid1(VALU_DEP_3)
	v_fma_f32 v138, v3, v11, -v12
	v_add_f32_e32 v137, v139, v137
	s_delay_alu instid0(VALU_DEP_1)
	v_add_f32_e32 v137, v137, v138
	v_fmac_f32_e32 v135, v2, v9
	s_clause 0x1
	scratch_load_b128 v[1:4], off, off offset:352
	scratch_load_b128 v[9:12], off, off offset:368
	s_wait_loadcnt_dscnt 0x100
	v_dual_mul_f32 v142, v7, v4 :: v_dual_add_f32 v17, v17, v187
	v_dual_mul_f32 v4, v8, v4 :: v_dual_mul_f32 v141, v5, v2
	v_mul_f32_e32 v2, v6, v2
	s_delay_alu instid0(VALU_DEP_3)
	v_dual_fmac_f32 v142, v8, v3 :: v_dual_add_f32 v127, v17, v189
	ds_load_b128 v[17:20], v126 offset:784
	v_fmac_f32_e32 v141, v6, v1
	v_fma_f32 v2, v5, v1, -v2
	v_fma_f32 v1, v7, v3, -v4
	v_add_f32_e32 v134, v127, v191
	ds_load_b128 v[127:130], v126 offset:800
	v_add_f32_e32 v2, v137, v2
	v_add_f32_e32 v140, v134, v193
	ds_load_b64 v[133:134], v126 offset:816
	v_dual_add_f32 v1, v2, v1 :: v_dual_add_f32 v140, v140, v195
	s_wait_loadcnt_dscnt 0x2
	s_delay_alu instid0(VALU_DEP_1) | instskip(SKIP_2) | instid1(VALU_DEP_3)
	v_dual_add_f32 v140, v140, v197 :: v_dual_mul_f32 v139, v17, v10
	v_mul_f32_e32 v3, v18, v10
	v_mul_f32_e32 v5, v20, v12
	v_dual_add_f32 v135, v140, v135 :: v_dual_mul_f32 v140, v19, v12
	s_delay_alu instid0(VALU_DEP_4) | instskip(NEXT) | instid1(VALU_DEP_4)
	v_fmac_f32_e32 v139, v18, v9
	v_fma_f32 v3, v17, v9, -v3
	s_wait_dscnt 0x1
	v_mul_f32_e32 v143, v127, v14
	v_dual_add_f32 v135, v135, v136 :: v_dual_fmac_f32 v140, v20, v11
	v_fma_f32 v5, v19, v11, -v5
	v_add_f32_e32 v1, v1, v3
	v_mul_f32_e32 v138, v129, v16
	s_delay_alu instid0(VALU_DEP_4) | instskip(SKIP_1) | instid1(VALU_DEP_4)
	v_dual_add_f32 v4, v135, v141 :: v_dual_mul_f32 v3, v130, v16
	v_fmac_f32_e32 v143, v128, v13
	v_add_f32_e32 v1, v1, v5
	s_wait_dscnt 0x0
	v_mul_f32_e32 v136, v133, v132
	v_add_f32_e32 v2, v4, v142
	v_dual_mul_f32 v4, v128, v14 :: v_dual_mul_f32 v5, v134, v132
	v_fmac_f32_e32 v138, v130, v15
	v_fma_f32 v3, v129, v15, -v3
	s_delay_alu instid0(VALU_DEP_4) | instskip(NEXT) | instid1(VALU_DEP_4)
	v_add_f32_e32 v2, v2, v139
	v_fma_f32 v4, v127, v13, -v4
	v_fmac_f32_e32 v136, v134, v131
	s_delay_alu instid0(VALU_DEP_3) | instskip(NEXT) | instid1(VALU_DEP_3)
	v_add_f32_e32 v2, v2, v140
	v_add_f32_e32 v1, v1, v4
	v_fma_f32 v4, v133, v131, -v5
	s_delay_alu instid0(VALU_DEP_3) | instskip(NEXT) | instid1(VALU_DEP_1)
	v_add_f32_e32 v2, v2, v143
	v_dual_add_f32 v1, v1, v3 :: v_dual_add_f32 v2, v2, v138
	s_delay_alu instid0(VALU_DEP_1) | instskip(NEXT) | instid1(VALU_DEP_1)
	v_add_f32_e32 v1, v1, v4
	v_dual_add_f32 v2, v2, v136 :: v_dual_sub_f32 v1, v21, v1
	s_delay_alu instid0(VALU_DEP_1)
	v_sub_f32_e32 v2, v22, v2
	scratch_store_b64 off, v[1:2], off offset:8
	v_cmpx_ne_u32_e32 0, v0
	s_cbranch_execz .LBB50_319
; %bb.318:
	scratch_load_b64 v[0:1], off, off
	v_mov_b32_e32 v127, v126
	scratch_store_b64 off, v[126:127], off
	s_wait_loadcnt 0x0
	ds_store_b64 v23, v[0:1]
.LBB50_319:
	s_wait_alu 0xfffe
	s_or_b32 exec_lo, exec_lo, s0
	s_wait_storecnt_dscnt 0x0
	s_barrier_signal -1
	s_barrier_wait -1
	global_inv scope:SCOPE_SE
	s_clause 0x6
	scratch_load_b128 v[0:3], off, off offset:8
	scratch_load_b128 v[4:7], off, off offset:24
	;; [unrolled: 1-line block ×7, first 2 shown]
	ds_load_2addr_b64 v[131:134], v126 offset0:53 offset1:54
	ds_load_2addr_b64 v[135:138], v126 offset0:55 offset1:56
	scratch_load_b64 v[139:140], off, off
	s_and_b32 vcc_lo, exec_lo, s18
	s_wait_loadcnt_dscnt 0x701
	v_dual_mul_f32 v141, v131, v1 :: v_dual_mul_f32 v142, v133, v3
	v_mul_f32_e32 v1, v132, v1
	v_mul_f32_e32 v3, v134, v3
	s_delay_alu instid0(VALU_DEP_3) | instskip(NEXT) | instid1(VALU_DEP_3)
	v_dual_fmac_f32 v141, v132, v0 :: v_dual_fmac_f32 v142, v134, v2
	v_fma_f32 v131, v131, v0, -v1
	s_delay_alu instid0(VALU_DEP_3)
	v_fma_f32 v132, v133, v2, -v3
	ds_load_2addr_b64 v[0:3], v126 offset0:57 offset1:58
	s_wait_loadcnt_dscnt 0x601
	v_dual_mul_f32 v134, v137, v7 :: v_dual_mul_f32 v133, v135, v5
	v_mul_f32_e32 v5, v136, v5
	v_mul_f32_e32 v7, v138, v7
	s_delay_alu instid0(VALU_DEP_3) | instskip(NEXT) | instid1(VALU_DEP_3)
	v_dual_fmac_f32 v134, v138, v6 :: v_dual_fmac_f32 v133, v136, v4
	v_fma_f32 v135, v135, v4, -v5
	s_delay_alu instid0(VALU_DEP_3)
	v_fma_f32 v136, v137, v6, -v7
	ds_load_2addr_b64 v[4:7], v126 offset0:59 offset1:60
	s_wait_loadcnt_dscnt 0x501
	v_mul_f32_e32 v137, v0, v9
	v_dual_mul_f32 v9, v1, v9 :: v_dual_mul_f32 v138, v2, v11
	v_mul_f32_e32 v11, v3, v11
	s_delay_alu instid0(VALU_DEP_3) | instskip(NEXT) | instid1(VALU_DEP_3)
	v_fmac_f32_e32 v137, v1, v8
	v_fma_f32 v143, v0, v8, -v9
	s_delay_alu instid0(VALU_DEP_4) | instskip(NEXT) | instid1(VALU_DEP_4)
	v_fmac_f32_e32 v138, v3, v10
	v_fma_f32 v144, v2, v10, -v11
	ds_load_2addr_b64 v[0:3], v126 offset0:61 offset1:62
	s_wait_loadcnt_dscnt 0x401
	v_mul_f32_e32 v145, v4, v13
	v_dual_mul_f32 v8, v5, v13 :: v_dual_mul_f32 v13, v6, v15
	v_mul_f32_e32 v9, v7, v15
	s_delay_alu instid0(VALU_DEP_3) | instskip(NEXT) | instid1(VALU_DEP_3)
	v_fmac_f32_e32 v145, v5, v12
	v_fma_f32 v12, v4, v12, -v8
	s_delay_alu instid0(VALU_DEP_4) | instskip(NEXT) | instid1(VALU_DEP_4)
	v_fmac_f32_e32 v13, v7, v14
	;; [unrolled: 11-line block ×4, first 2 shown]
	v_fma_f32 v22, v6, v22, -v9
	ds_load_2addr_b64 v[4:7], v126 offset0:67 offset1:68
	s_wait_loadcnt_dscnt 0x101
	v_mul_f32_e32 v23, v0, v128
	v_mul_f32_e32 v8, v1, v128
	;; [unrolled: 1-line block ×4, first 2 shown]
	s_delay_alu instid0(VALU_DEP_4) | instskip(NEXT) | instid1(VALU_DEP_4)
	v_fmac_f32_e32 v23, v1, v127
	v_fma_f32 v127, v0, v127, -v8
	s_delay_alu instid0(VALU_DEP_4) | instskip(NEXT) | instid1(VALU_DEP_4)
	v_fmac_f32_e32 v128, v3, v129
	v_fma_f32 v129, v2, v129, -v9
	s_clause 0x1
	scratch_load_b128 v[0:3], off, off offset:120
	scratch_load_b128 v[8:11], off, off offset:136
	s_wait_loadcnt_dscnt 0x100
	v_mul_f32_e32 v130, v4, v1
	v_mul_f32_e32 v1, v5, v1
	s_delay_alu instid0(VALU_DEP_2) | instskip(NEXT) | instid1(VALU_DEP_2)
	v_dual_mul_f32 v147, v6, v3 :: v_dual_fmac_f32 v130, v5, v0
	v_fma_f32 v146, v4, v0, -v1
	v_mul_f32_e32 v0, v7, v3
	s_delay_alu instid0(VALU_DEP_3) | instskip(NEXT) | instid1(VALU_DEP_2)
	v_fmac_f32_e32 v147, v7, v2
	v_fma_f32 v148, v6, v2, -v0
	ds_load_2addr_b64 v[0:3], v126 offset0:69 offset1:70
	ds_load_2addr_b64 v[4:7], v126 offset0:71 offset1:72
	s_wait_loadcnt_dscnt 0x1
	v_mul_f32_e32 v149, v0, v9
	v_mul_f32_e32 v151, v2, v11
	s_delay_alu instid0(VALU_DEP_2) | instskip(SKIP_1) | instid1(VALU_DEP_3)
	v_fmac_f32_e32 v149, v1, v8
	v_mul_f32_e32 v1, v1, v9
	v_fmac_f32_e32 v151, v3, v10
	s_delay_alu instid0(VALU_DEP_2) | instskip(SKIP_1) | instid1(VALU_DEP_1)
	v_fma_f32 v150, v0, v8, -v1
	v_mul_f32_e32 v0, v3, v11
	v_fma_f32 v152, v2, v10, -v0
	s_clause 0x1
	scratch_load_b128 v[0:3], off, off offset:152
	scratch_load_b128 v[8:11], off, off offset:168
	s_wait_loadcnt_dscnt 0x100
	v_mul_f32_e32 v153, v4, v1
	v_mul_f32_e32 v1, v5, v1
	;; [unrolled: 1-line block ×3, first 2 shown]
	s_delay_alu instid0(VALU_DEP_3) | instskip(NEXT) | instid1(VALU_DEP_3)
	v_fmac_f32_e32 v153, v5, v0
	v_fma_f32 v154, v4, v0, -v1
	v_mul_f32_e32 v0, v7, v3
	s_delay_alu instid0(VALU_DEP_4) | instskip(NEXT) | instid1(VALU_DEP_2)
	v_fmac_f32_e32 v155, v7, v2
	v_fma_f32 v156, v6, v2, -v0
	ds_load_2addr_b64 v[0:3], v126 offset0:73 offset1:74
	ds_load_2addr_b64 v[4:7], v126 offset0:75 offset1:76
	s_wait_loadcnt_dscnt 0x1
	v_mul_f32_e32 v157, v0, v9
	v_mul_f32_e32 v159, v2, v11
	s_delay_alu instid0(VALU_DEP_2) | instskip(SKIP_1) | instid1(VALU_DEP_3)
	v_fmac_f32_e32 v157, v1, v8
	v_mul_f32_e32 v1, v1, v9
	v_fmac_f32_e32 v159, v3, v10
	s_delay_alu instid0(VALU_DEP_2) | instskip(SKIP_1) | instid1(VALU_DEP_1)
	v_fma_f32 v158, v0, v8, -v1
	v_mul_f32_e32 v0, v3, v11
	v_fma_f32 v160, v2, v10, -v0
	s_clause 0x1
	scratch_load_b128 v[0:3], off, off offset:184
	scratch_load_b128 v[8:11], off, off offset:200
	s_wait_loadcnt_dscnt 0x100
	v_mul_f32_e32 v161, v4, v1
	v_mul_f32_e32 v1, v5, v1
	s_delay_alu instid0(VALU_DEP_2) | instskip(NEXT) | instid1(VALU_DEP_2)
	v_fmac_f32_e32 v161, v5, v0
	v_fma_f32 v162, v4, v0, -v1
	v_mul_f32_e32 v163, v6, v3
	v_mul_f32_e32 v0, v7, v3
	s_delay_alu instid0(VALU_DEP_1) | instskip(NEXT) | instid1(VALU_DEP_3)
	v_fma_f32 v164, v6, v2, -v0
	v_fmac_f32_e32 v163, v7, v2
	ds_load_2addr_b64 v[0:3], v126 offset0:77 offset1:78
	ds_load_2addr_b64 v[4:7], v126 offset0:79 offset1:80
	s_wait_loadcnt_dscnt 0x1
	v_mul_f32_e32 v165, v0, v9
	v_mul_f32_e32 v167, v2, v11
	s_delay_alu instid0(VALU_DEP_2) | instskip(SKIP_1) | instid1(VALU_DEP_3)
	v_fmac_f32_e32 v165, v1, v8
	v_mul_f32_e32 v1, v1, v9
	v_fmac_f32_e32 v167, v3, v10
	s_delay_alu instid0(VALU_DEP_2) | instskip(SKIP_1) | instid1(VALU_DEP_1)
	v_fma_f32 v166, v0, v8, -v1
	v_mul_f32_e32 v0, v3, v11
	v_fma_f32 v168, v2, v10, -v0
	s_clause 0x1
	scratch_load_b128 v[0:3], off, off offset:216
	scratch_load_b128 v[8:11], off, off offset:232
	s_wait_loadcnt_dscnt 0x100
	v_mul_f32_e32 v169, v4, v1
	v_mul_f32_e32 v1, v5, v1
	;; [unrolled: 1-line block ×3, first 2 shown]
	s_delay_alu instid0(VALU_DEP_2) | instskip(NEXT) | instid1(VALU_DEP_2)
	v_fma_f32 v170, v4, v0, -v1
	v_fmac_f32_e32 v171, v7, v2
	v_dual_fmac_f32 v169, v5, v0 :: v_dual_mul_f32 v0, v7, v3
	s_delay_alu instid0(VALU_DEP_1)
	v_fma_f32 v172, v6, v2, -v0
	ds_load_2addr_b64 v[0:3], v126 offset0:81 offset1:82
	ds_load_2addr_b64 v[4:7], v126 offset0:83 offset1:84
	s_wait_loadcnt_dscnt 0x1
	v_mul_f32_e32 v173, v0, v9
	v_mul_f32_e32 v175, v2, v11
	s_delay_alu instid0(VALU_DEP_2) | instskip(SKIP_1) | instid1(VALU_DEP_3)
	v_fmac_f32_e32 v173, v1, v8
	v_mul_f32_e32 v1, v1, v9
	v_fmac_f32_e32 v175, v3, v10
	s_delay_alu instid0(VALU_DEP_2) | instskip(SKIP_1) | instid1(VALU_DEP_1)
	v_fma_f32 v174, v0, v8, -v1
	v_mul_f32_e32 v0, v3, v11
	v_fma_f32 v176, v2, v10, -v0
	s_clause 0x1
	scratch_load_b128 v[0:3], off, off offset:248
	scratch_load_b128 v[8:11], off, off offset:264
	s_wait_loadcnt_dscnt 0x100
	v_mul_f32_e32 v177, v4, v1
	v_mul_f32_e32 v1, v5, v1
	;; [unrolled: 1-line block ×3, first 2 shown]
	s_delay_alu instid0(VALU_DEP_3) | instskip(NEXT) | instid1(VALU_DEP_3)
	v_fmac_f32_e32 v177, v5, v0
	v_fma_f32 v178, v4, v0, -v1
	v_mul_f32_e32 v0, v7, v3
	s_delay_alu instid0(VALU_DEP_4) | instskip(NEXT) | instid1(VALU_DEP_2)
	v_fmac_f32_e32 v179, v7, v2
	v_fma_f32 v180, v6, v2, -v0
	ds_load_2addr_b64 v[0:3], v126 offset0:85 offset1:86
	ds_load_2addr_b64 v[4:7], v126 offset0:87 offset1:88
	s_wait_loadcnt_dscnt 0x1
	v_mul_f32_e32 v181, v0, v9
	v_mul_f32_e32 v183, v2, v11
	s_delay_alu instid0(VALU_DEP_2) | instskip(SKIP_1) | instid1(VALU_DEP_3)
	v_fmac_f32_e32 v181, v1, v8
	v_mul_f32_e32 v1, v1, v9
	v_fmac_f32_e32 v183, v3, v10
	s_delay_alu instid0(VALU_DEP_2) | instskip(SKIP_1) | instid1(VALU_DEP_1)
	v_fma_f32 v182, v0, v8, -v1
	v_mul_f32_e32 v0, v3, v11
	v_fma_f32 v184, v2, v10, -v0
	s_clause 0x1
	scratch_load_b128 v[0:3], off, off offset:280
	scratch_load_b128 v[8:11], off, off offset:296
	s_wait_loadcnt_dscnt 0x100
	v_mul_f32_e32 v185, v4, v1
	v_mul_f32_e32 v1, v5, v1
	;; [unrolled: 1-line block ×3, first 2 shown]
	s_delay_alu instid0(VALU_DEP_3) | instskip(NEXT) | instid1(VALU_DEP_3)
	v_fmac_f32_e32 v185, v5, v0
	v_fma_f32 v186, v4, v0, -v1
	v_mul_f32_e32 v0, v7, v3
	s_delay_alu instid0(VALU_DEP_4) | instskip(NEXT) | instid1(VALU_DEP_2)
	v_fmac_f32_e32 v187, v7, v2
	v_fma_f32 v188, v6, v2, -v0
	ds_load_2addr_b64 v[0:3], v126 offset0:89 offset1:90
	ds_load_2addr_b64 v[4:7], v126 offset0:91 offset1:92
	s_wait_loadcnt_dscnt 0x1
	v_mul_f32_e32 v189, v0, v9
	v_mul_f32_e32 v191, v2, v11
	s_delay_alu instid0(VALU_DEP_2) | instskip(SKIP_1) | instid1(VALU_DEP_3)
	v_fmac_f32_e32 v189, v1, v8
	v_mul_f32_e32 v1, v1, v9
	v_fmac_f32_e32 v191, v3, v10
	s_delay_alu instid0(VALU_DEP_2) | instskip(SKIP_1) | instid1(VALU_DEP_1)
	v_fma_f32 v190, v0, v8, -v1
	v_mul_f32_e32 v0, v3, v11
	v_fma_f32 v192, v2, v10, -v0
	s_clause 0x1
	scratch_load_b128 v[0:3], off, off offset:312
	scratch_load_b128 v[8:11], off, off offset:328
	s_wait_loadcnt_dscnt 0x100
	v_mul_f32_e32 v193, v4, v1
	v_mul_f32_e32 v1, v5, v1
	;; [unrolled: 1-line block ×3, first 2 shown]
	s_delay_alu instid0(VALU_DEP_3) | instskip(NEXT) | instid1(VALU_DEP_3)
	v_fmac_f32_e32 v193, v5, v0
	v_fma_f32 v194, v4, v0, -v1
	v_dual_mul_f32 v0, v7, v3 :: v_dual_add_f32 v1, 0, v141
	s_delay_alu instid0(VALU_DEP_4) | instskip(NEXT) | instid1(VALU_DEP_2)
	v_fmac_f32_e32 v195, v7, v2
	v_fma_f32 v196, v6, v2, -v0
	s_delay_alu instid0(VALU_DEP_3) | instskip(NEXT) | instid1(VALU_DEP_1)
	v_dual_add_f32 v0, 0, v131 :: v_dual_add_f32 v1, v1, v142
	v_dual_add_f32 v0, v0, v132 :: v_dual_add_f32 v1, v1, v133
	s_delay_alu instid0(VALU_DEP_1) | instskip(NEXT) | instid1(VALU_DEP_1)
	v_dual_add_f32 v0, v0, v135 :: v_dual_add_f32 v1, v1, v134
	v_dual_add_f32 v0, v0, v136 :: v_dual_add_f32 v1, v1, v137
	s_delay_alu instid0(VALU_DEP_1) | instskip(NEXT) | instid1(VALU_DEP_1)
	;; [unrolled: 3-line block ×11, first 2 shown]
	v_add_f32_e32 v0, v0, v162
	v_dual_add_f32 v0, v0, v164 :: v_dual_add_f32 v1, v1, v163
	s_delay_alu instid0(VALU_DEP_1) | instskip(SKIP_2) | instid1(VALU_DEP_1)
	v_dual_add_f32 v4, v0, v166 :: v_dual_add_f32 v5, v1, v165
	ds_load_2addr_b64 v[0:3], v126 offset0:93 offset1:94
	v_dual_add_f32 v4, v4, v168 :: v_dual_add_f32 v5, v5, v167
	v_add_f32_e32 v4, v4, v170
	s_delay_alu instid0(VALU_DEP_1)
	v_dual_add_f32 v12, v5, v169 :: v_dual_add_f32 v13, v4, v172
	ds_load_2addr_b64 v[4:7], v126 offset0:95 offset1:96
	v_dual_add_f32 v12, v12, v171 :: v_dual_add_f32 v13, v13, v174
	s_wait_loadcnt_dscnt 0x1
	v_mul_f32_e32 v135, v0, v9
	v_dual_mul_f32 v9, v1, v9 :: v_dual_mul_f32 v136, v2, v11
	s_delay_alu instid0(VALU_DEP_3) | instskip(SKIP_1) | instid1(VALU_DEP_4)
	v_add_f32_e32 v13, v13, v176
	v_mul_f32_e32 v11, v3, v11
	v_fmac_f32_e32 v135, v1, v8
	s_delay_alu instid0(VALU_DEP_4)
	v_fma_f32 v137, v0, v8, -v9
	v_fmac_f32_e32 v136, v3, v10
	v_add_f32_e32 v13, v13, v178
	v_fma_f32 v138, v2, v10, -v11
	s_clause 0x1
	scratch_load_b128 v[0:3], off, off offset:344
	scratch_load_b128 v[8:11], off, off offset:360
	v_add_f32_e32 v16, v13, v180
	s_delay_alu instid0(VALU_DEP_1) | instskip(SKIP_1) | instid1(VALU_DEP_2)
	v_add_f32_e32 v20, v16, v182
	v_add_f32_e32 v12, v12, v173
	;; [unrolled: 1-line block ×3, first 2 shown]
	s_delay_alu instid0(VALU_DEP_1) | instskip(NEXT) | instid1(VALU_DEP_1)
	v_add_f32_e32 v20, v20, v186
	v_add_f32_e32 v20, v20, v188
	s_delay_alu instid0(VALU_DEP_4) | instskip(NEXT) | instid1(VALU_DEP_2)
	v_add_f32_e32 v12, v12, v175
	v_add_f32_e32 v128, v20, v190
	s_delay_alu instid0(VALU_DEP_2) | instskip(NEXT) | instid1(VALU_DEP_2)
	v_add_f32_e32 v12, v12, v177
	v_add_f32_e32 v131, v128, v192
	s_delay_alu instid0(VALU_DEP_2)
	v_add_f32_e32 v17, v12, v179
	scratch_load_b128 v[12:15], off, off offset:376
	v_dual_add_f32 v142, v131, v194 :: v_dual_add_f32 v21, v17, v181
	scratch_load_b128 v[16:19], off, off offset:392
	ds_load_2addr_b64 v[131:134], v126 offset0:101 offset1:102
	v_dual_add_f32 v142, v142, v196 :: v_dual_add_f32 v21, v21, v183
	s_delay_alu instid0(VALU_DEP_1) | instskip(NEXT) | instid1(VALU_DEP_2)
	v_add_f32_e32 v137, v142, v137
	v_add_f32_e32 v21, v21, v185
	s_delay_alu instid0(VALU_DEP_1) | instskip(SKIP_2) | instid1(VALU_DEP_1)
	v_add_f32_e32 v127, v21, v187
	ds_load_2addr_b64 v[20:23], v126 offset0:97 offset1:98
	v_add_f32_e32 v127, v127, v189
	v_add_f32_e32 v141, v127, v191
	ds_load_2addr_b64 v[127:130], v126 offset0:99 offset1:100
	v_add_f32_e32 v126, v141, v193
	s_delay_alu instid0(VALU_DEP_1) | instskip(SKIP_1) | instid1(VALU_DEP_1)
	v_add_f32_e32 v126, v126, v195
	s_wait_loadcnt_dscnt 0x303
	v_dual_add_f32 v126, v126, v135 :: v_dual_mul_f32 v141, v4, v1
	v_mul_f32_e32 v1, v5, v1
	v_mul_f32_e32 v143, v6, v3
	s_wait_loadcnt_dscnt 0x201
	v_dual_mul_f32 v3, v7, v3 :: v_dual_mul_f32 v142, v20, v9
	v_fmac_f32_e32 v141, v5, v0
	v_fma_f32 v0, v4, v0, -v1
	v_dual_add_f32 v4, v137, v138 :: v_dual_add_f32 v5, v126, v136
	v_fmac_f32_e32 v143, v7, v2
	v_fma_f32 v1, v6, v2, -v3
	s_delay_alu instid0(VALU_DEP_3) | instskip(NEXT) | instid1(VALU_DEP_4)
	v_dual_mul_f32 v7, v21, v9 :: v_dual_add_f32 v0, v4, v0
	v_dual_add_f32 v4, v5, v141 :: v_dual_mul_f32 v135, v22, v11
	v_dual_mul_f32 v5, v23, v11 :: v_dual_fmac_f32 v142, v21, v8
	s_delay_alu instid0(VALU_DEP_3) | instskip(NEXT) | instid1(VALU_DEP_4)
	v_fma_f32 v7, v20, v8, -v7
	v_add_f32_e32 v0, v0, v1
	s_delay_alu instid0(VALU_DEP_4) | instskip(SKIP_2) | instid1(VALU_DEP_3)
	v_add_f32_e32 v1, v4, v143
	v_fmac_f32_e32 v135, v23, v10
	v_fma_f32 v5, v22, v10, -v5
	v_dual_add_f32 v0, v0, v7 :: v_dual_add_f32 v1, v1, v142
	s_delay_alu instid0(VALU_DEP_1) | instskip(SKIP_3) | instid1(VALU_DEP_2)
	v_dual_add_f32 v0, v0, v5 :: v_dual_add_f32 v1, v1, v135
	s_wait_loadcnt_dscnt 0x100
	v_mul_f32_e32 v2, v127, v13
	v_dual_mul_f32 v4, v128, v13 :: v_dual_mul_f32 v3, v129, v15
	v_dual_mul_f32 v7, v130, v15 :: v_dual_fmac_f32 v2, v128, v12
	s_delay_alu instid0(VALU_DEP_2)
	v_fma_f32 v4, v127, v12, -v4
	s_wait_loadcnt 0x0
	v_mul_f32_e32 v6, v131, v17
	v_mul_f32_e32 v5, v132, v17
	v_fmac_f32_e32 v3, v130, v14
	v_fma_f32 v7, v129, v14, -v7
	v_dual_add_f32 v0, v0, v4 :: v_dual_add_f32 v1, v1, v2
	v_mul_f32_e32 v9, v133, v19
	v_mul_f32_e32 v2, v134, v19
	v_fmac_f32_e32 v6, v132, v16
	v_fma_f32 v4, v131, v16, -v5
	v_add_f32_e32 v0, v0, v7
	v_add_f32_e32 v1, v1, v3
	v_fmac_f32_e32 v9, v134, v18
	v_fma_f32 v2, v133, v18, -v2
	s_delay_alu instid0(VALU_DEP_3) | instskip(NEXT) | instid1(VALU_DEP_1)
	v_dual_add_f32 v0, v0, v4 :: v_dual_add_f32 v1, v1, v6
	v_dual_add_f32 v0, v0, v2 :: v_dual_add_f32 v1, v1, v9
	s_delay_alu instid0(VALU_DEP_1)
	v_dual_sub_f32 v0, v139, v0 :: v_dual_sub_f32 v1, v140, v1
	scratch_store_b64 off, v[0:1], off
	s_wait_alu 0xfffe
	s_cbranch_vccz .LBB50_420
; %bb.320:
	v_mov_b32_e32 v0, 0
	global_load_b32 v1, v0, s[2:3] offset:196
	s_wait_loadcnt 0x0
	v_cmp_ne_u32_e32 vcc_lo, 50, v1
	s_cbranch_vccz .LBB50_322
; %bb.321:
	v_lshlrev_b32_e32 v1, 3, v1
	s_delay_alu instid0(VALU_DEP_1)
	v_mov_b32_e32 v5, v1
	scratch_load_b64 v[1:2], v5, off offset:-8
	scratch_load_b64 v[3:4], off, off offset:392
	s_wait_loadcnt 0x1
	scratch_store_b64 off, v[1:2], off offset:392
	s_wait_loadcnt 0x0
	scratch_store_b64 v5, v[3:4], off offset:-8
.LBB50_322:
	global_load_b32 v0, v0, s[2:3] offset:192
	s_wait_loadcnt 0x0
	v_cmp_eq_u32_e32 vcc_lo, 49, v0
	s_cbranch_vccnz .LBB50_324
; %bb.323:
	v_lshlrev_b32_e32 v0, 3, v0
	s_delay_alu instid0(VALU_DEP_1)
	v_mov_b32_e32 v4, v0
	scratch_load_b64 v[0:1], v4, off offset:-8
	scratch_load_b64 v[2:3], off, off offset:384
	s_wait_loadcnt 0x1
	scratch_store_b64 off, v[0:1], off offset:384
	s_wait_loadcnt 0x0
	scratch_store_b64 v4, v[2:3], off offset:-8
.LBB50_324:
	v_mov_b32_e32 v0, 0
	global_load_b32 v1, v0, s[2:3] offset:188
	s_wait_loadcnt 0x0
	v_cmp_eq_u32_e32 vcc_lo, 48, v1
	s_cbranch_vccnz .LBB50_326
; %bb.325:
	v_lshlrev_b32_e32 v1, 3, v1
	s_delay_alu instid0(VALU_DEP_1)
	v_mov_b32_e32 v5, v1
	scratch_load_b64 v[1:2], v5, off offset:-8
	scratch_load_b64 v[3:4], off, off offset:376
	s_wait_loadcnt 0x1
	scratch_store_b64 off, v[1:2], off offset:376
	s_wait_loadcnt 0x0
	scratch_store_b64 v5, v[3:4], off offset:-8
.LBB50_326:
	global_load_b32 v0, v0, s[2:3] offset:184
	s_wait_loadcnt 0x0
	v_cmp_eq_u32_e32 vcc_lo, 47, v0
	s_cbranch_vccnz .LBB50_328
; %bb.327:
	v_lshlrev_b32_e32 v0, 3, v0
	s_delay_alu instid0(VALU_DEP_1)
	v_mov_b32_e32 v4, v0
	scratch_load_b64 v[0:1], v4, off offset:-8
	scratch_load_b64 v[2:3], off, off offset:368
	s_wait_loadcnt 0x1
	scratch_store_b64 off, v[0:1], off offset:368
	s_wait_loadcnt 0x0
	scratch_store_b64 v4, v[2:3], off offset:-8
.LBB50_328:
	v_mov_b32_e32 v0, 0
	global_load_b32 v1, v0, s[2:3] offset:180
	s_wait_loadcnt 0x0
	v_cmp_eq_u32_e32 vcc_lo, 46, v1
	s_cbranch_vccnz .LBB50_330
; %bb.329:
	v_lshlrev_b32_e32 v1, 3, v1
	s_delay_alu instid0(VALU_DEP_1)
	v_mov_b32_e32 v5, v1
	scratch_load_b64 v[1:2], v5, off offset:-8
	scratch_load_b64 v[3:4], off, off offset:360
	s_wait_loadcnt 0x1
	scratch_store_b64 off, v[1:2], off offset:360
	s_wait_loadcnt 0x0
	scratch_store_b64 v5, v[3:4], off offset:-8
.LBB50_330:
	;; [unrolled: 31-line block ×24, first 2 shown]
	global_load_b32 v0, v0, s[2:3]
	s_wait_loadcnt 0x0
	v_cmp_eq_u32_e32 vcc_lo, 1, v0
	s_cbranch_vccnz .LBB50_420
; %bb.419:
	v_lshlrev_b32_e32 v0, 3, v0
	s_delay_alu instid0(VALU_DEP_1)
	v_mov_b32_e32 v4, v0
	scratch_load_b64 v[0:1], v4, off offset:-8
	scratch_load_b64 v[2:3], off, off
	s_wait_loadcnt 0x1
	scratch_store_b64 off, v[0:1], off
	s_wait_loadcnt 0x0
	scratch_store_b64 v4, v[2:3], off offset:-8
.LBB50_420:
	s_clause 0x19
	scratch_load_b128 v[0:3], off, off
	scratch_load_b128 v[4:7], off, off offset:16
	scratch_load_b128 v[8:11], off, off offset:32
	;; [unrolled: 1-line block ×24, first 2 shown]
	scratch_load_b64 v[202:203], off, off offset:400
	s_wait_loadcnt 0x19
	s_clause 0x1
	global_store_b64 v[24:25], v[0:1], off
	global_store_b64 v[26:27], v[2:3], off
	s_wait_loadcnt 0x18
	s_clause 0x1
	global_store_b64 v[28:29], v[4:5], off
	global_store_b64 v[30:31], v[6:7], off
	;; [unrolled: 4-line block ×25, first 2 shown]
	s_wait_loadcnt 0x0
	global_store_b64 v[124:125], v[202:203], off
	s_nop 0
	s_sendmsg sendmsg(MSG_DEALLOC_VGPRS)
	s_endpgm
	.section	.rodata,"a",@progbits
	.p2align	6, 0x0
	.amdhsa_kernel _ZN9rocsolver6v33100L18getri_kernel_smallILi51E19rocblas_complex_numIfEPS3_EEvT1_iilPiilS6_bb
		.amdhsa_group_segment_fixed_size 824
		.amdhsa_private_segment_fixed_size 416
		.amdhsa_kernarg_size 60
		.amdhsa_user_sgpr_count 2
		.amdhsa_user_sgpr_dispatch_ptr 0
		.amdhsa_user_sgpr_queue_ptr 0
		.amdhsa_user_sgpr_kernarg_segment_ptr 1
		.amdhsa_user_sgpr_dispatch_id 0
		.amdhsa_user_sgpr_private_segment_size 0
		.amdhsa_wavefront_size32 1
		.amdhsa_uses_dynamic_stack 0
		.amdhsa_enable_private_segment 1
		.amdhsa_system_sgpr_workgroup_id_x 1
		.amdhsa_system_sgpr_workgroup_id_y 0
		.amdhsa_system_sgpr_workgroup_id_z 0
		.amdhsa_system_sgpr_workgroup_info 0
		.amdhsa_system_vgpr_workitem_id 0
		.amdhsa_next_free_vgpr 252
		.amdhsa_next_free_sgpr 19
		.amdhsa_reserve_vcc 1
		.amdhsa_float_round_mode_32 0
		.amdhsa_float_round_mode_16_64 0
		.amdhsa_float_denorm_mode_32 3
		.amdhsa_float_denorm_mode_16_64 3
		.amdhsa_fp16_overflow 0
		.amdhsa_workgroup_processor_mode 1
		.amdhsa_memory_ordered 1
		.amdhsa_forward_progress 1
		.amdhsa_inst_pref_size 255
		.amdhsa_round_robin_scheduling 0
		.amdhsa_exception_fp_ieee_invalid_op 0
		.amdhsa_exception_fp_denorm_src 0
		.amdhsa_exception_fp_ieee_div_zero 0
		.amdhsa_exception_fp_ieee_overflow 0
		.amdhsa_exception_fp_ieee_underflow 0
		.amdhsa_exception_fp_ieee_inexact 0
		.amdhsa_exception_int_div_zero 0
	.end_amdhsa_kernel
	.section	.text._ZN9rocsolver6v33100L18getri_kernel_smallILi51E19rocblas_complex_numIfEPS3_EEvT1_iilPiilS6_bb,"axG",@progbits,_ZN9rocsolver6v33100L18getri_kernel_smallILi51E19rocblas_complex_numIfEPS3_EEvT1_iilPiilS6_bb,comdat
.Lfunc_end50:
	.size	_ZN9rocsolver6v33100L18getri_kernel_smallILi51E19rocblas_complex_numIfEPS3_EEvT1_iilPiilS6_bb, .Lfunc_end50-_ZN9rocsolver6v33100L18getri_kernel_smallILi51E19rocblas_complex_numIfEPS3_EEvT1_iilPiilS6_bb
                                        ; -- End function
	.set _ZN9rocsolver6v33100L18getri_kernel_smallILi51E19rocblas_complex_numIfEPS3_EEvT1_iilPiilS6_bb.num_vgpr, 252
	.set _ZN9rocsolver6v33100L18getri_kernel_smallILi51E19rocblas_complex_numIfEPS3_EEvT1_iilPiilS6_bb.num_agpr, 0
	.set _ZN9rocsolver6v33100L18getri_kernel_smallILi51E19rocblas_complex_numIfEPS3_EEvT1_iilPiilS6_bb.numbered_sgpr, 19
	.set _ZN9rocsolver6v33100L18getri_kernel_smallILi51E19rocblas_complex_numIfEPS3_EEvT1_iilPiilS6_bb.num_named_barrier, 0
	.set _ZN9rocsolver6v33100L18getri_kernel_smallILi51E19rocblas_complex_numIfEPS3_EEvT1_iilPiilS6_bb.private_seg_size, 416
	.set _ZN9rocsolver6v33100L18getri_kernel_smallILi51E19rocblas_complex_numIfEPS3_EEvT1_iilPiilS6_bb.uses_vcc, 1
	.set _ZN9rocsolver6v33100L18getri_kernel_smallILi51E19rocblas_complex_numIfEPS3_EEvT1_iilPiilS6_bb.uses_flat_scratch, 1
	.set _ZN9rocsolver6v33100L18getri_kernel_smallILi51E19rocblas_complex_numIfEPS3_EEvT1_iilPiilS6_bb.has_dyn_sized_stack, 0
	.set _ZN9rocsolver6v33100L18getri_kernel_smallILi51E19rocblas_complex_numIfEPS3_EEvT1_iilPiilS6_bb.has_recursion, 0
	.set _ZN9rocsolver6v33100L18getri_kernel_smallILi51E19rocblas_complex_numIfEPS3_EEvT1_iilPiilS6_bb.has_indirect_call, 0
	.section	.AMDGPU.csdata,"",@progbits
; Kernel info:
; codeLenInByte = 87620
; TotalNumSgprs: 21
; NumVgprs: 252
; ScratchSize: 416
; MemoryBound: 0
; FloatMode: 240
; IeeeMode: 1
; LDSByteSize: 824 bytes/workgroup (compile time only)
; SGPRBlocks: 0
; VGPRBlocks: 31
; NumSGPRsForWavesPerEU: 21
; NumVGPRsForWavesPerEU: 252
; Occupancy: 5
; WaveLimiterHint : 1
; COMPUTE_PGM_RSRC2:SCRATCH_EN: 1
; COMPUTE_PGM_RSRC2:USER_SGPR: 2
; COMPUTE_PGM_RSRC2:TRAP_HANDLER: 0
; COMPUTE_PGM_RSRC2:TGID_X_EN: 1
; COMPUTE_PGM_RSRC2:TGID_Y_EN: 0
; COMPUTE_PGM_RSRC2:TGID_Z_EN: 0
; COMPUTE_PGM_RSRC2:TIDIG_COMP_CNT: 0
	.section	.text._ZN9rocsolver6v33100L18getri_kernel_smallILi52E19rocblas_complex_numIfEPS3_EEvT1_iilPiilS6_bb,"axG",@progbits,_ZN9rocsolver6v33100L18getri_kernel_smallILi52E19rocblas_complex_numIfEPS3_EEvT1_iilPiilS6_bb,comdat
	.globl	_ZN9rocsolver6v33100L18getri_kernel_smallILi52E19rocblas_complex_numIfEPS3_EEvT1_iilPiilS6_bb ; -- Begin function _ZN9rocsolver6v33100L18getri_kernel_smallILi52E19rocblas_complex_numIfEPS3_EEvT1_iilPiilS6_bb
	.p2align	8
	.type	_ZN9rocsolver6v33100L18getri_kernel_smallILi52E19rocblas_complex_numIfEPS3_EEvT1_iilPiilS6_bb,@function
_ZN9rocsolver6v33100L18getri_kernel_smallILi52E19rocblas_complex_numIfEPS3_EEvT1_iilPiilS6_bb: ; @_ZN9rocsolver6v33100L18getri_kernel_smallILi52E19rocblas_complex_numIfEPS3_EEvT1_iilPiilS6_bb
; %bb.0:
	s_mov_b32 s2, exec_lo
	v_cmpx_gt_u32_e32 52, v0
	s_cbranch_execz .LBB51_222
; %bb.1:
	s_clause 0x2
	s_load_b32 s2, s[0:1], 0x38
	s_load_b128 s[12:15], s[0:1], 0x10
	s_load_b128 s[4:7], s[0:1], 0x28
	s_mov_b32 s16, ttmp9
	s_wait_kmcnt 0x0
	s_bitcmp1_b32 s2, 8
	s_cselect_b32 s18, -1, 0
	s_bfe_u32 s2, s2, 0x10008
	s_ashr_i32 s17, ttmp9, 31
	s_cmp_eq_u32 s2, 0
                                        ; implicit-def: $sgpr2_sgpr3
	s_cbranch_scc1 .LBB51_3
; %bb.2:
	s_load_b32 s2, s[0:1], 0x20
	s_mul_u64 s[4:5], s[4:5], s[16:17]
	s_delay_alu instid0(SALU_CYCLE_1) | instskip(NEXT) | instid1(SALU_CYCLE_1)
	s_lshl_b64 s[4:5], s[4:5], 2
	s_add_nc_u64 s[4:5], s[14:15], s[4:5]
	s_wait_kmcnt 0x0
	s_ashr_i32 s3, s2, 31
	s_delay_alu instid0(SALU_CYCLE_1) | instskip(NEXT) | instid1(SALU_CYCLE_1)
	s_lshl_b64 s[2:3], s[2:3], 2
	s_add_nc_u64 s[2:3], s[4:5], s[2:3]
.LBB51_3:
	s_clause 0x1
	s_load_b128 s[8:11], s[0:1], 0x0
	s_load_b32 s4, s[0:1], 0x38
	s_mul_u64 s[0:1], s[12:13], s[16:17]
	v_lshlrev_b32_e32 v13, 3, v0
	s_lshl_b64 s[0:1], s[0:1], 3
	s_wait_kmcnt 0x0
	v_add3_u32 v3, s11, s11, v0
	s_ashr_i32 s13, s10, 31
	s_mov_b32 s12, s10
	s_add_nc_u64 s[0:1], s[8:9], s[0:1]
	s_lshl_b64 s[12:13], s[12:13], 3
	v_add_nc_u32_e32 v5, s11, v3
	v_ashrrev_i32_e32 v4, 31, v3
	s_add_nc_u64 s[0:1], s[0:1], s[12:13]
	s_ashr_i32 s9, s11, 31
	v_add_co_u32 v28, s5, s0, v13
	v_add_nc_u32_e32 v7, s11, v5
	s_mov_b32 s8, s11
	v_lshlrev_b64_e32 v[3:4], 3, v[3:4]
	v_add_co_ci_u32_e64 v29, null, s1, 0, s5
	s_delay_alu instid0(VALU_DEP_3) | instskip(SKIP_3) | instid1(VALU_DEP_1)
	v_add_nc_u32_e32 v9, s11, v7
	s_lshl_b64 s[8:9], s[8:9], 3
	v_ashrrev_i32_e32 v6, 31, v5
	v_add_co_u32 v30, vcc_lo, v28, s8
	v_add_co_ci_u32_e64 v31, null, s9, v29, vcc_lo
	v_add_co_u32 v32, vcc_lo, s0, v3
	v_add_nc_u32_e32 v3, s11, v9
	v_lshlrev_b64_e32 v[5:6], 3, v[5:6]
	v_ashrrev_i32_e32 v8, 31, v7
	v_ashrrev_i32_e32 v10, 31, v9
	s_wait_alu 0xfffd
	v_add_co_ci_u32_e64 v33, null, s1, v4, vcc_lo
	v_add_nc_u32_e32 v11, s11, v3
	v_ashrrev_i32_e32 v4, 31, v3
	v_lshlrev_b64_e32 v[7:8], 3, v[7:8]
	v_add_co_u32 v34, vcc_lo, s0, v5
	s_wait_alu 0xfffd
	v_add_co_ci_u32_e64 v35, null, s1, v6, vcc_lo
	v_lshlrev_b64_e32 v[5:6], 3, v[9:10]
	v_add_nc_u32_e32 v16, s11, v11
	v_lshlrev_b64_e32 v[14:15], 3, v[3:4]
	v_ashrrev_i32_e32 v12, 31, v11
	v_add_co_u32 v36, vcc_lo, s0, v7
	s_delay_alu instid0(VALU_DEP_4)
	v_ashrrev_i32_e32 v17, 31, v16
	v_add_nc_u32_e32 v18, s11, v16
	s_wait_alu 0xfffd
	v_add_co_ci_u32_e64 v37, null, s1, v8, vcc_lo
	v_add_co_u32 v38, vcc_lo, s0, v5
	v_lshlrev_b64_e32 v[11:12], 3, v[11:12]
	s_wait_alu 0xfffd
	v_add_co_ci_u32_e64 v39, null, s1, v6, vcc_lo
	v_add_co_u32 v40, vcc_lo, s0, v14
	s_wait_alu 0xfffd
	v_add_co_ci_u32_e64 v41, null, s1, v15, vcc_lo
	v_lshlrev_b64_e32 v[14:15], 3, v[16:17]
	v_ashrrev_i32_e32 v19, 31, v18
	v_add_nc_u32_e32 v16, s11, v18
	v_add_co_u32 v42, vcc_lo, s0, v11
	s_wait_alu 0xfffd
	v_add_co_ci_u32_e64 v43, null, s1, v12, vcc_lo
	v_lshlrev_b64_e32 v[11:12], 3, v[18:19]
	v_ashrrev_i32_e32 v17, 31, v16
	v_add_nc_u32_e32 v18, s11, v16
	;; [unrolled: 6-line block ×24, first 2 shown]
	v_add_co_u32 v88, vcc_lo, s0, v14
	s_wait_alu 0xfffd
	v_add_co_ci_u32_e64 v89, null, s1, v15, vcc_lo
	v_lshlrev_b64_e32 v[14:15], 3, v[16:17]
	v_add_nc_u32_e32 v16, s11, v18
	v_ashrrev_i32_e32 v19, 31, v18
	v_add_co_u32 v90, vcc_lo, s0, v11
	s_wait_alu 0xfffd
	v_add_co_ci_u32_e64 v91, null, s1, v12, vcc_lo
	v_add_nc_u32_e32 v26, s11, v16
	v_lshlrev_b64_e32 v[11:12], 3, v[18:19]
	v_add_co_u32 v92, vcc_lo, s0, v14
	s_wait_alu 0xfffd
	v_add_co_ci_u32_e64 v93, null, s1, v15, vcc_lo
	v_ashrrev_i32_e32 v27, 31, v26
	s_delay_alu instid0(VALU_DEP_4) | instskip(SKIP_2) | instid1(VALU_DEP_3)
	v_add_co_u32 v94, vcc_lo, s0, v11
	s_wait_alu 0xfffd
	v_add_co_ci_u32_e64 v95, null, s1, v12, vcc_lo
	v_lshlrev_b64_e32 v[11:12], 3, v[26:27]
	v_add_nc_u32_e32 v26, s11, v26
	v_ashrrev_i32_e32 v17, 31, v16
	s_clause 0x4
	global_load_b64 v[1:2], v13, s[0:1]
	global_load_b64 v[3:4], v[30:31], off
	global_load_b64 v[5:6], v[32:33], off
	;; [unrolled: 1-line block ×4, first 2 shown]
	s_bitcmp0_b32 s4, 0
	v_add_nc_u32_e32 v102, s11, v26
	v_ashrrev_i32_e32 v27, 31, v26
	v_lshlrev_b64_e32 v[14:15], 3, v[16:17]
	s_delay_alu instid0(VALU_DEP_3) | instskip(NEXT) | instid1(VALU_DEP_3)
	v_add_nc_u32_e32 v104, s11, v102
	v_lshlrev_b64_e32 v[26:27], 3, v[26:27]
	v_ashrrev_i32_e32 v103, 31, v102
	s_delay_alu instid0(VALU_DEP_4)
	v_add_co_u32 v96, vcc_lo, s0, v14
	s_wait_alu 0xfffd
	v_add_co_ci_u32_e64 v97, null, s1, v15, vcc_lo
	v_add_co_u32 v98, vcc_lo, s0, v11
	v_add_nc_u32_e32 v106, s11, v104
	s_wait_alu 0xfffd
	v_add_co_ci_u32_e64 v99, null, s1, v12, vcc_lo
	v_add_co_u32 v100, vcc_lo, s0, v26
	s_wait_alu 0xfffd
	v_add_co_ci_u32_e64 v101, null, s1, v27, vcc_lo
	v_lshlrev_b64_e32 v[26:27], 3, v[102:103]
	v_ashrrev_i32_e32 v105, 31, v104
	v_add_nc_u32_e32 v108, s11, v106
	v_ashrrev_i32_e32 v107, 31, v106
	s_clause 0x13
	global_load_b64 v[11:12], v[38:39], off
	global_load_b64 v[14:15], v[40:41], off
	;; [unrolled: 1-line block ×20, first 2 shown]
	v_lshlrev_b64_e32 v[104:105], 3, v[104:105]
	v_add_co_u32 v102, vcc_lo, s0, v26
	v_ashrrev_i32_e32 v109, 31, v108
	s_wait_alu 0xfffd
	v_add_co_ci_u32_e64 v103, null, s1, v27, vcc_lo
	v_lshlrev_b64_e32 v[26:27], 3, v[106:107]
	v_add_nc_u32_e32 v111, s11, v108
	v_lshlrev_b64_e32 v[109:110], 3, v[108:109]
	v_add_co_u32 v104, vcc_lo, s0, v104
	s_wait_alu 0xfffd
	v_add_co_ci_u32_e64 v105, null, s1, v105, vcc_lo
	v_add_co_u32 v106, vcc_lo, s0, v26
	v_ashrrev_i32_e32 v112, 31, v111
	v_add_nc_u32_e32 v26, s11, v111
	s_wait_alu 0xfffd
	v_add_co_ci_u32_e64 v107, null, s1, v27, vcc_lo
	v_add_co_u32 v108, vcc_lo, s0, v109
	s_wait_alu 0xfffd
	v_add_co_ci_u32_e64 v109, null, s1, v110, vcc_lo
	v_lshlrev_b64_e32 v[110:111], 3, v[111:112]
	v_add_nc_u32_e32 v112, s11, v26
	v_ashrrev_i32_e32 v27, 31, v26
	s_clause 0xb
	global_load_b64 v[158:159], v[78:79], off
	global_load_b64 v[160:161], v[80:81], off
	;; [unrolled: 1-line block ×12, first 2 shown]
	v_add_nc_u32_e32 v114, s11, v112
	v_lshlrev_b64_e32 v[26:27], 3, v[26:27]
	v_ashrrev_i32_e32 v113, 31, v112
	v_add_co_u32 v110, vcc_lo, s0, v110
	s_delay_alu instid0(VALU_DEP_4)
	v_add_nc_u32_e32 v118, s11, v114
	v_ashrrev_i32_e32 v115, 31, v114
	s_wait_alu 0xfffd
	v_add_co_ci_u32_e64 v111, null, s1, v111, vcc_lo
	v_lshlrev_b64_e32 v[116:117], 3, v[112:113]
	v_add_nc_u32_e32 v120, s11, v118
	v_add_co_u32 v112, vcc_lo, s0, v26
	s_wait_alu 0xfffd
	v_add_co_ci_u32_e64 v113, null, s1, v27, vcc_lo
	v_lshlrev_b64_e32 v[26:27], 3, v[114:115]
	v_add_nc_u32_e32 v122, s11, v120
	v_ashrrev_i32_e32 v119, 31, v118
	v_add_co_u32 v114, vcc_lo, s0, v116
	s_wait_alu 0xfffd
	v_add_co_ci_u32_e64 v115, null, s1, v117, vcc_lo
	v_add_co_u32 v116, vcc_lo, s0, v26
	v_add_nc_u32_e32 v124, s11, v122
	s_wait_alu 0xfffd
	v_add_co_ci_u32_e64 v117, null, s1, v27, vcc_lo
	v_lshlrev_b64_e32 v[26:27], 3, v[118:119]
	v_ashrrev_i32_e32 v121, 31, v120
	v_ashrrev_i32_e32 v123, 31, v122
	v_add_nc_u32_e32 v126, s11, v124
	v_ashrrev_i32_e32 v125, 31, v124
	s_clause 0x3
	global_load_b64 v[182:183], v[102:103], off
	global_load_b64 v[184:185], v[104:105], off
	global_load_b64 v[186:187], v[106:107], off
	global_load_b64 v[188:189], v[108:109], off
	v_lshlrev_b64_e32 v[120:121], 3, v[120:121]
	v_add_co_u32 v118, vcc_lo, s0, v26
	s_wait_alu 0xfffd
	v_add_co_ci_u32_e64 v119, null, s1, v27, vcc_lo
	v_lshlrev_b64_e32 v[26:27], 3, v[122:123]
	v_add_nc_u32_e32 v128, s11, v126
	v_ashrrev_i32_e32 v127, 31, v126
	v_add_co_u32 v120, vcc_lo, s0, v120
	s_wait_alu 0xfffd
	v_add_co_ci_u32_e64 v121, null, s1, v121, vcc_lo
	v_lshlrev_b64_e32 v[124:125], 3, v[124:125]
	v_add_co_u32 v122, vcc_lo, s0, v26
	v_add_nc_u32_e32 v130, s11, v128
	s_wait_alu 0xfffd
	v_add_co_ci_u32_e64 v123, null, s1, v27, vcc_lo
	v_lshlrev_b64_e32 v[26:27], 3, v[126:127]
	v_ashrrev_i32_e32 v129, 31, v128
	v_ashrrev_i32_e32 v131, 31, v130
	v_add_co_u32 v124, vcc_lo, s0, v124
	s_wait_alu 0xfffd
	v_add_co_ci_u32_e64 v125, null, s1, v125, vcc_lo
	v_lshlrev_b64_e32 v[128:129], 3, v[128:129]
	v_add_co_u32 v126, vcc_lo, s0, v26
	s_wait_alu 0xfffd
	v_add_co_ci_u32_e64 v127, null, s1, v27, vcc_lo
	v_lshlrev_b64_e32 v[26:27], 3, v[130:131]
	s_delay_alu instid0(VALU_DEP_4)
	v_add_co_u32 v128, vcc_lo, s0, v128
	s_wait_alu 0xfffd
	v_add_co_ci_u32_e64 v129, null, s1, v129, vcc_lo
	s_clause 0x3
	global_load_b64 v[190:191], v[110:111], off
	global_load_b64 v[192:193], v[112:113], off
	;; [unrolled: 1-line block ×4, first 2 shown]
	v_add_co_u32 v130, vcc_lo, s0, v26
	s_wait_alu 0xfffd
	v_add_co_ci_u32_e64 v131, null, s1, v27, vcc_lo
	s_clause 0x6
	global_load_b64 v[198:199], v[118:119], off
	global_load_b64 v[200:201], v[120:121], off
	;; [unrolled: 1-line block ×7, first 2 shown]
	s_mov_b32 s1, -1
	s_wait_loadcnt 0x32
	scratch_store_b128 off, v[1:4], off
	s_wait_loadcnt 0x30
	scratch_store_b128 off, v[5:8], off offset:16
	s_wait_loadcnt 0x2e
	scratch_store_b128 off, v[9:12], off offset:32
	;; [unrolled: 2-line block ×25, first 2 shown]
	s_cbranch_scc1 .LBB51_220
; %bb.4:
	v_cmp_eq_u32_e64 s0, 0, v0
	s_and_saveexec_b32 s1, s0
; %bb.5:
	v_mov_b32_e32 v1, 0
	ds_store_b32 v1, v1 offset:832
; %bb.6:
	s_wait_alu 0xfffe
	s_or_b32 exec_lo, exec_lo, s1
	s_wait_storecnt_dscnt 0x0
	s_barrier_signal -1
	s_barrier_wait -1
	global_inv scope:SCOPE_SE
	scratch_load_b64 v[1:2], v13, off
	s_wait_loadcnt 0x0
	v_cmp_eq_f32_e32 vcc_lo, 0, v1
	v_cmp_eq_f32_e64 s1, 0, v2
	s_and_b32 s1, vcc_lo, s1
	s_wait_alu 0xfffe
	s_and_saveexec_b32 s4, s1
	s_cbranch_execz .LBB51_10
; %bb.7:
	v_mov_b32_e32 v1, 0
	s_mov_b32 s5, 0
	ds_load_b32 v2, v1 offset:832
	s_wait_dscnt 0x0
	v_readfirstlane_b32 s1, v2
	v_add_nc_u32_e32 v2, 1, v0
	s_cmp_eq_u32 s1, 0
	s_delay_alu instid0(VALU_DEP_1)
	v_cmp_gt_i32_e32 vcc_lo, s1, v2
	s_cselect_b32 s8, -1, 0
	s_wait_alu 0xfffe
	s_or_b32 s8, s8, vcc_lo
	s_wait_alu 0xfffe
	s_and_b32 exec_lo, exec_lo, s8
	s_cbranch_execz .LBB51_10
; %bb.8:
	v_mov_b32_e32 v3, s1
.LBB51_9:                               ; =>This Inner Loop Header: Depth=1
	ds_cmpstore_rtn_b32 v3, v1, v2, v3 offset:832
	s_wait_dscnt 0x0
	v_cmp_ne_u32_e32 vcc_lo, 0, v3
	v_cmp_le_i32_e64 s1, v3, v2
	s_and_b32 s1, vcc_lo, s1
	s_wait_alu 0xfffe
	s_and_b32 s1, exec_lo, s1
	s_wait_alu 0xfffe
	s_or_b32 s5, s1, s5
	s_wait_alu 0xfffe
	s_and_not1_b32 exec_lo, exec_lo, s5
	s_cbranch_execnz .LBB51_9
.LBB51_10:
	s_wait_alu 0xfffe
	s_or_b32 exec_lo, exec_lo, s4
	v_mov_b32_e32 v1, 0
	s_barrier_signal -1
	s_barrier_wait -1
	global_inv scope:SCOPE_SE
	ds_load_b32 v2, v1 offset:832
	s_and_saveexec_b32 s1, s0
	s_cbranch_execz .LBB51_12
; %bb.11:
	s_lshl_b64 s[4:5], s[16:17], 2
	s_wait_alu 0xfffe
	s_add_nc_u64 s[4:5], s[6:7], s[4:5]
	s_wait_dscnt 0x0
	global_store_b32 v1, v2, s[4:5]
.LBB51_12:
	s_wait_alu 0xfffe
	s_or_b32 exec_lo, exec_lo, s1
	s_wait_dscnt 0x0
	v_cmp_ne_u32_e32 vcc_lo, 0, v2
	s_mov_b32 s1, 0
	s_cbranch_vccnz .LBB51_220
; %bb.13:
	v_mov_b32_e32 v7, v13
                                        ; implicit-def: $vgpr3
                                        ; implicit-def: $vgpr5
	scratch_load_b64 v[1:2], v7, off
	s_wait_loadcnt 0x0
	v_cmp_ngt_f32_e64 s1, |v1|, |v2|
	s_wait_alu 0xfffe
	s_and_saveexec_b32 s4, s1
	s_wait_alu 0xfffe
	s_xor_b32 s1, exec_lo, s4
	s_cbranch_execz .LBB51_15
; %bb.14:
	v_div_scale_f32 v3, null, v2, v2, v1
	v_div_scale_f32 v6, vcc_lo, v1, v2, v1
	s_delay_alu instid0(VALU_DEP_2) | instskip(NEXT) | instid1(TRANS32_DEP_1)
	v_rcp_f32_e32 v4, v3
	v_fma_f32 v5, -v3, v4, 1.0
	s_delay_alu instid0(VALU_DEP_1) | instskip(NEXT) | instid1(VALU_DEP_1)
	v_fmac_f32_e32 v4, v5, v4
	v_mul_f32_e32 v5, v6, v4
	s_delay_alu instid0(VALU_DEP_1) | instskip(NEXT) | instid1(VALU_DEP_1)
	v_fma_f32 v8, -v3, v5, v6
	v_fmac_f32_e32 v5, v8, v4
	s_delay_alu instid0(VALU_DEP_1) | instskip(SKIP_1) | instid1(VALU_DEP_1)
	v_fma_f32 v3, -v3, v5, v6
	s_wait_alu 0xfffd
	v_div_fmas_f32 v3, v3, v4, v5
	s_delay_alu instid0(VALU_DEP_1) | instskip(NEXT) | instid1(VALU_DEP_1)
	v_div_fixup_f32 v3, v3, v2, v1
	v_fmac_f32_e32 v2, v1, v3
	s_delay_alu instid0(VALU_DEP_1) | instskip(NEXT) | instid1(VALU_DEP_1)
	v_div_scale_f32 v1, null, v2, v2, 1.0
	v_rcp_f32_e32 v4, v1
	s_delay_alu instid0(TRANS32_DEP_1) | instskip(NEXT) | instid1(VALU_DEP_1)
	v_fma_f32 v5, -v1, v4, 1.0
	v_fmac_f32_e32 v4, v5, v4
	v_div_scale_f32 v5, vcc_lo, 1.0, v2, 1.0
	s_delay_alu instid0(VALU_DEP_1) | instskip(NEXT) | instid1(VALU_DEP_1)
	v_mul_f32_e32 v6, v5, v4
	v_fma_f32 v8, -v1, v6, v5
	s_delay_alu instid0(VALU_DEP_1) | instskip(NEXT) | instid1(VALU_DEP_1)
	v_fmac_f32_e32 v6, v8, v4
	v_fma_f32 v1, -v1, v6, v5
	s_wait_alu 0xfffd
	s_delay_alu instid0(VALU_DEP_1) | instskip(NEXT) | instid1(VALU_DEP_1)
	v_div_fmas_f32 v1, v1, v4, v6
	v_div_fixup_f32 v1, v1, v2, 1.0
	s_delay_alu instid0(VALU_DEP_1) | instskip(SKIP_1) | instid1(VALU_DEP_2)
	v_mul_f32_e32 v3, v3, v1
	v_xor_b32_e32 v4, 0x80000000, v1
                                        ; implicit-def: $vgpr1_vgpr2
	v_xor_b32_e32 v5, 0x80000000, v3
.LBB51_15:
	s_wait_alu 0xfffe
	s_and_not1_saveexec_b32 s1, s1
	s_cbranch_execz .LBB51_17
; %bb.16:
	v_div_scale_f32 v3, null, v1, v1, v2
	v_div_scale_f32 v6, vcc_lo, v2, v1, v2
	s_delay_alu instid0(VALU_DEP_2) | instskip(NEXT) | instid1(TRANS32_DEP_1)
	v_rcp_f32_e32 v4, v3
	v_fma_f32 v5, -v3, v4, 1.0
	s_delay_alu instid0(VALU_DEP_1) | instskip(NEXT) | instid1(VALU_DEP_1)
	v_fmac_f32_e32 v4, v5, v4
	v_mul_f32_e32 v5, v6, v4
	s_delay_alu instid0(VALU_DEP_1) | instskip(NEXT) | instid1(VALU_DEP_1)
	v_fma_f32 v8, -v3, v5, v6
	v_fmac_f32_e32 v5, v8, v4
	s_delay_alu instid0(VALU_DEP_1) | instskip(SKIP_1) | instid1(VALU_DEP_1)
	v_fma_f32 v3, -v3, v5, v6
	s_wait_alu 0xfffd
	v_div_fmas_f32 v3, v3, v4, v5
	s_delay_alu instid0(VALU_DEP_1) | instskip(NEXT) | instid1(VALU_DEP_1)
	v_div_fixup_f32 v4, v3, v1, v2
	v_fmac_f32_e32 v1, v2, v4
	s_delay_alu instid0(VALU_DEP_1) | instskip(SKIP_1) | instid1(VALU_DEP_2)
	v_div_scale_f32 v2, null, v1, v1, 1.0
	v_div_scale_f32 v6, vcc_lo, 1.0, v1, 1.0
	v_rcp_f32_e32 v3, v2
	s_delay_alu instid0(TRANS32_DEP_1) | instskip(NEXT) | instid1(VALU_DEP_1)
	v_fma_f32 v5, -v2, v3, 1.0
	v_fmac_f32_e32 v3, v5, v3
	s_delay_alu instid0(VALU_DEP_1) | instskip(NEXT) | instid1(VALU_DEP_1)
	v_mul_f32_e32 v5, v6, v3
	v_fma_f32 v8, -v2, v5, v6
	s_delay_alu instid0(VALU_DEP_1) | instskip(NEXT) | instid1(VALU_DEP_1)
	v_fmac_f32_e32 v5, v8, v3
	v_fma_f32 v2, -v2, v5, v6
	s_wait_alu 0xfffd
	s_delay_alu instid0(VALU_DEP_1) | instskip(NEXT) | instid1(VALU_DEP_1)
	v_div_fmas_f32 v2, v2, v3, v5
	v_div_fixup_f32 v3, v2, v1, 1.0
	s_delay_alu instid0(VALU_DEP_1)
	v_xor_b32_e32 v5, 0x80000000, v3
	v_mul_f32_e64 v4, v4, -v3
.LBB51_17:
	s_wait_alu 0xfffe
	s_or_b32 exec_lo, exec_lo, s1
	scratch_store_b64 v7, v[3:4], off
	scratch_load_b64 v[2:3], off, off offset:8
	v_xor_b32_e32 v6, 0x80000000, v4
	v_add_nc_u32_e32 v1, 0x1a0, v13
	s_wait_loadcnt 0x0
	ds_store_2addr_b64 v13, v[5:6], v[2:3] offset1:52
	s_wait_storecnt_dscnt 0x0
	s_barrier_signal -1
	s_barrier_wait -1
	global_inv scope:SCOPE_SE
	s_and_saveexec_b32 s1, s0
	s_cbranch_execz .LBB51_19
; %bb.18:
	scratch_load_b64 v[2:3], v7, off
	ds_load_b64 v[4:5], v1
	v_mov_b32_e32 v6, 0
	ds_load_b64 v[8:9], v6 offset:8
	s_wait_loadcnt_dscnt 0x1
	v_mul_f32_e32 v6, v4, v3
	v_mul_f32_e32 v3, v5, v3
	s_delay_alu instid0(VALU_DEP_2) | instskip(NEXT) | instid1(VALU_DEP_2)
	v_fmac_f32_e32 v6, v5, v2
	v_fma_f32 v2, v4, v2, -v3
	s_delay_alu instid0(VALU_DEP_2) | instskip(SKIP_1) | instid1(VALU_DEP_1)
	v_add_f32_e32 v4, 0, v6
	s_wait_dscnt 0x0
	v_dual_add_f32 v2, 0, v2 :: v_dual_mul_f32 v5, v4, v9
	s_delay_alu instid0(VALU_DEP_1) | instskip(NEXT) | instid1(VALU_DEP_1)
	v_mul_f32_e32 v3, v2, v9
	v_fmac_f32_e32 v3, v4, v8
	s_delay_alu instid0(VALU_DEP_3)
	v_fma_f32 v2, v2, v8, -v5
	scratch_store_b64 off, v[2:3], off offset:8
.LBB51_19:
	s_wait_alu 0xfffe
	s_or_b32 exec_lo, exec_lo, s1
	s_wait_loadcnt 0x0
	s_wait_storecnt 0x0
	s_barrier_signal -1
	s_barrier_wait -1
	global_inv scope:SCOPE_SE
	scratch_load_b64 v[2:3], off, off offset:16
	s_mov_b32 s1, exec_lo
	s_wait_loadcnt 0x0
	ds_store_b64 v1, v[2:3]
	s_wait_dscnt 0x0
	s_barrier_signal -1
	s_barrier_wait -1
	global_inv scope:SCOPE_SE
	v_cmpx_gt_u32_e32 2, v0
	s_cbranch_execz .LBB51_23
; %bb.20:
	scratch_load_b64 v[2:3], v7, off
	ds_load_b64 v[4:5], v1
	s_wait_loadcnt_dscnt 0x0
	v_mul_f32_e32 v6, v5, v3
	v_mul_f32_e32 v8, v4, v3
	s_delay_alu instid0(VALU_DEP_2) | instskip(NEXT) | instid1(VALU_DEP_1)
	v_fma_f32 v3, v4, v2, -v6
	v_dual_fmac_f32 v8, v5, v2 :: v_dual_add_f32 v3, 0, v3
	s_delay_alu instid0(VALU_DEP_1)
	v_add_f32_e32 v2, 0, v8
	s_and_saveexec_b32 s4, s0
	s_cbranch_execz .LBB51_22
; %bb.21:
	scratch_load_b64 v[4:5], off, off offset:8
	v_mov_b32_e32 v6, 0
	ds_load_b64 v[8:9], v6 offset:424
	s_wait_loadcnt_dscnt 0x0
	v_mul_f32_e32 v6, v8, v5
	v_mul_f32_e32 v5, v9, v5
	s_delay_alu instid0(VALU_DEP_2) | instskip(NEXT) | instid1(VALU_DEP_2)
	v_fmac_f32_e32 v6, v9, v4
	v_fma_f32 v4, v8, v4, -v5
	s_delay_alu instid0(VALU_DEP_1)
	v_dual_add_f32 v2, v2, v6 :: v_dual_add_f32 v3, v3, v4
.LBB51_22:
	s_wait_alu 0xfffe
	s_or_b32 exec_lo, exec_lo, s4
	v_mov_b32_e32 v4, 0
	ds_load_b64 v[4:5], v4 offset:16
	s_wait_dscnt 0x0
	v_mul_f32_e32 v8, v2, v5
	v_mul_f32_e32 v6, v3, v5
	s_delay_alu instid0(VALU_DEP_2) | instskip(NEXT) | instid1(VALU_DEP_2)
	v_fma_f32 v5, v3, v4, -v8
	v_fmac_f32_e32 v6, v2, v4
	scratch_store_b64 off, v[5:6], off offset:16
.LBB51_23:
	s_wait_alu 0xfffe
	s_or_b32 exec_lo, exec_lo, s1
	s_wait_loadcnt 0x0
	s_wait_storecnt 0x0
	s_barrier_signal -1
	s_barrier_wait -1
	global_inv scope:SCOPE_SE
	scratch_load_b64 v[3:4], off, off offset:24
	v_add_nc_u32_e32 v2, -1, v0
	s_mov_b32 s0, exec_lo
	s_wait_loadcnt 0x0
	ds_store_b64 v1, v[3:4]
	s_wait_dscnt 0x0
	s_barrier_signal -1
	s_barrier_wait -1
	global_inv scope:SCOPE_SE
	v_cmpx_gt_u32_e32 3, v0
	s_cbranch_execz .LBB51_27
; %bb.24:
	v_dual_mov_b32 v3, 0 :: v_dual_add_nc_u32 v4, -1, v0
	v_dual_mov_b32 v6, v13 :: v_dual_add_nc_u32 v5, 0x1a0, v13
	v_mov_b32_e32 v8, 0
	s_mov_b32 s1, 0
.LBB51_25:                              ; =>This Inner Loop Header: Depth=1
	scratch_load_b64 v[9:10], v6, off
	ds_load_b64 v[11:12], v5
	v_add_nc_u32_e32 v6, 8, v6
	s_wait_loadcnt_dscnt 0x0
	v_dual_mul_f32 v14, v12, v10 :: v_dual_add_nc_u32 v5, 8, v5
	v_mul_f32_e32 v10, v11, v10
	s_delay_alu instid0(VALU_DEP_2) | instskip(NEXT) | instid1(VALU_DEP_2)
	v_fma_f32 v11, v11, v9, -v14
	v_fmac_f32_e32 v10, v12, v9
	v_add_nc_u32_e32 v4, 1, v4
	s_delay_alu instid0(VALU_DEP_2) | instskip(NEXT) | instid1(VALU_DEP_2)
	v_dual_add_f32 v8, v8, v11 :: v_dual_add_f32 v3, v3, v10
	v_cmp_lt_u32_e32 vcc_lo, 1, v4
	s_wait_alu 0xfffe
	s_or_b32 s1, vcc_lo, s1
	s_wait_alu 0xfffe
	s_and_not1_b32 exec_lo, exec_lo, s1
	s_cbranch_execnz .LBB51_25
; %bb.26:
	s_or_b32 exec_lo, exec_lo, s1
	v_mov_b32_e32 v4, 0
	ds_load_b64 v[4:5], v4 offset:24
	s_wait_dscnt 0x0
	v_mul_f32_e32 v9, v3, v5
	v_mul_f32_e32 v6, v8, v5
	s_delay_alu instid0(VALU_DEP_2) | instskip(NEXT) | instid1(VALU_DEP_2)
	v_fma_f32 v5, v8, v4, -v9
	v_fmac_f32_e32 v6, v3, v4
	scratch_store_b64 off, v[5:6], off offset:24
.LBB51_27:
	s_wait_alu 0xfffe
	s_or_b32 exec_lo, exec_lo, s0
	s_wait_loadcnt 0x0
	s_wait_storecnt 0x0
	s_barrier_signal -1
	s_barrier_wait -1
	global_inv scope:SCOPE_SE
	scratch_load_b64 v[3:4], off, off offset:32
	s_mov_b32 s0, exec_lo
	s_wait_loadcnt 0x0
	ds_store_b64 v1, v[3:4]
	s_wait_dscnt 0x0
	s_barrier_signal -1
	s_barrier_wait -1
	global_inv scope:SCOPE_SE
	v_cmpx_gt_u32_e32 4, v0
	s_cbranch_execz .LBB51_31
; %bb.28:
	v_dual_mov_b32 v3, 0 :: v_dual_add_nc_u32 v4, -1, v0
	v_dual_mov_b32 v6, v13 :: v_dual_add_nc_u32 v5, 0x1a0, v13
	v_mov_b32_e32 v8, 0
	s_mov_b32 s1, 0
.LBB51_29:                              ; =>This Inner Loop Header: Depth=1
	scratch_load_b64 v[9:10], v6, off
	ds_load_b64 v[11:12], v5
	v_add_nc_u32_e32 v6, 8, v6
	s_wait_loadcnt_dscnt 0x0
	v_dual_mul_f32 v14, v12, v10 :: v_dual_add_nc_u32 v5, 8, v5
	v_mul_f32_e32 v10, v11, v10
	s_delay_alu instid0(VALU_DEP_2) | instskip(NEXT) | instid1(VALU_DEP_2)
	v_fma_f32 v11, v11, v9, -v14
	v_fmac_f32_e32 v10, v12, v9
	v_add_nc_u32_e32 v4, 1, v4
	s_delay_alu instid0(VALU_DEP_2) | instskip(NEXT) | instid1(VALU_DEP_2)
	v_dual_add_f32 v8, v8, v11 :: v_dual_add_f32 v3, v3, v10
	v_cmp_lt_u32_e32 vcc_lo, 2, v4
	s_wait_alu 0xfffe
	s_or_b32 s1, vcc_lo, s1
	s_wait_alu 0xfffe
	s_and_not1_b32 exec_lo, exec_lo, s1
	s_cbranch_execnz .LBB51_29
; %bb.30:
	s_or_b32 exec_lo, exec_lo, s1
	v_mov_b32_e32 v4, 0
	ds_load_b64 v[4:5], v4 offset:32
	s_wait_dscnt 0x0
	v_mul_f32_e32 v9, v3, v5
	v_mul_f32_e32 v6, v8, v5
	s_delay_alu instid0(VALU_DEP_2) | instskip(NEXT) | instid1(VALU_DEP_2)
	v_fma_f32 v5, v8, v4, -v9
	v_fmac_f32_e32 v6, v3, v4
	scratch_store_b64 off, v[5:6], off offset:32
.LBB51_31:
	s_wait_alu 0xfffe
	s_or_b32 exec_lo, exec_lo, s0
	s_wait_loadcnt 0x0
	s_wait_storecnt 0x0
	s_barrier_signal -1
	s_barrier_wait -1
	global_inv scope:SCOPE_SE
	scratch_load_b64 v[3:4], off, off offset:40
	;; [unrolled: 53-line block ×19, first 2 shown]
	s_mov_b32 s0, exec_lo
	s_wait_loadcnt 0x0
	ds_store_b64 v1, v[3:4]
	s_wait_dscnt 0x0
	s_barrier_signal -1
	s_barrier_wait -1
	global_inv scope:SCOPE_SE
	v_cmpx_gt_u32_e32 22, v0
	s_cbranch_execz .LBB51_103
; %bb.100:
	v_dual_mov_b32 v3, 0 :: v_dual_add_nc_u32 v4, -1, v0
	v_dual_mov_b32 v6, v13 :: v_dual_add_nc_u32 v5, 0x1a0, v13
	v_mov_b32_e32 v8, 0
	s_mov_b32 s1, 0
.LBB51_101:                             ; =>This Inner Loop Header: Depth=1
	scratch_load_b64 v[9:10], v6, off
	ds_load_b64 v[11:12], v5
	v_add_nc_u32_e32 v6, 8, v6
	s_wait_loadcnt_dscnt 0x0
	v_dual_mul_f32 v14, v12, v10 :: v_dual_add_nc_u32 v5, 8, v5
	v_mul_f32_e32 v10, v11, v10
	s_delay_alu instid0(VALU_DEP_2) | instskip(NEXT) | instid1(VALU_DEP_2)
	v_fma_f32 v11, v11, v9, -v14
	v_fmac_f32_e32 v10, v12, v9
	v_add_nc_u32_e32 v4, 1, v4
	s_delay_alu instid0(VALU_DEP_2) | instskip(NEXT) | instid1(VALU_DEP_2)
	v_dual_add_f32 v8, v8, v11 :: v_dual_add_f32 v3, v3, v10
	v_cmp_lt_u32_e32 vcc_lo, 20, v4
	s_wait_alu 0xfffe
	s_or_b32 s1, vcc_lo, s1
	s_wait_alu 0xfffe
	s_and_not1_b32 exec_lo, exec_lo, s1
	s_cbranch_execnz .LBB51_101
; %bb.102:
	s_or_b32 exec_lo, exec_lo, s1
	v_mov_b32_e32 v4, 0
	ds_load_b64 v[4:5], v4 offset:176
	s_wait_dscnt 0x0
	v_mul_f32_e32 v9, v3, v5
	v_mul_f32_e32 v6, v8, v5
	s_delay_alu instid0(VALU_DEP_2) | instskip(NEXT) | instid1(VALU_DEP_2)
	v_fma_f32 v5, v8, v4, -v9
	v_fmac_f32_e32 v6, v3, v4
	scratch_store_b64 off, v[5:6], off offset:176
.LBB51_103:
	s_wait_alu 0xfffe
	s_or_b32 exec_lo, exec_lo, s0
	s_wait_loadcnt 0x0
	s_wait_storecnt 0x0
	s_barrier_signal -1
	s_barrier_wait -1
	global_inv scope:SCOPE_SE
	scratch_load_b64 v[3:4], off, off offset:184
	s_mov_b32 s0, exec_lo
	s_wait_loadcnt 0x0
	ds_store_b64 v1, v[3:4]
	s_wait_dscnt 0x0
	s_barrier_signal -1
	s_barrier_wait -1
	global_inv scope:SCOPE_SE
	v_cmpx_gt_u32_e32 23, v0
	s_cbranch_execz .LBB51_107
; %bb.104:
	v_dual_mov_b32 v3, 0 :: v_dual_add_nc_u32 v4, -1, v0
	v_dual_mov_b32 v6, v13 :: v_dual_add_nc_u32 v5, 0x1a0, v13
	v_mov_b32_e32 v8, 0
	s_mov_b32 s1, 0
.LBB51_105:                             ; =>This Inner Loop Header: Depth=1
	scratch_load_b64 v[9:10], v6, off
	ds_load_b64 v[11:12], v5
	v_add_nc_u32_e32 v6, 8, v6
	s_wait_loadcnt_dscnt 0x0
	v_dual_mul_f32 v14, v12, v10 :: v_dual_add_nc_u32 v5, 8, v5
	v_mul_f32_e32 v10, v11, v10
	s_delay_alu instid0(VALU_DEP_2) | instskip(NEXT) | instid1(VALU_DEP_2)
	v_fma_f32 v11, v11, v9, -v14
	v_fmac_f32_e32 v10, v12, v9
	v_add_nc_u32_e32 v4, 1, v4
	s_delay_alu instid0(VALU_DEP_2) | instskip(NEXT) | instid1(VALU_DEP_2)
	v_dual_add_f32 v8, v8, v11 :: v_dual_add_f32 v3, v3, v10
	v_cmp_lt_u32_e32 vcc_lo, 21, v4
	s_wait_alu 0xfffe
	s_or_b32 s1, vcc_lo, s1
	s_wait_alu 0xfffe
	s_and_not1_b32 exec_lo, exec_lo, s1
	s_cbranch_execnz .LBB51_105
; %bb.106:
	s_or_b32 exec_lo, exec_lo, s1
	v_mov_b32_e32 v4, 0
	ds_load_b64 v[4:5], v4 offset:184
	s_wait_dscnt 0x0
	v_mul_f32_e32 v9, v3, v5
	v_mul_f32_e32 v6, v8, v5
	s_delay_alu instid0(VALU_DEP_2) | instskip(NEXT) | instid1(VALU_DEP_2)
	v_fma_f32 v5, v8, v4, -v9
	v_fmac_f32_e32 v6, v3, v4
	scratch_store_b64 off, v[5:6], off offset:184
.LBB51_107:
	s_wait_alu 0xfffe
	s_or_b32 exec_lo, exec_lo, s0
	s_wait_loadcnt 0x0
	s_wait_storecnt 0x0
	s_barrier_signal -1
	s_barrier_wait -1
	global_inv scope:SCOPE_SE
	scratch_load_b64 v[3:4], off, off offset:192
	;; [unrolled: 53-line block ×28, first 2 shown]
	s_mov_b32 s0, exec_lo
	s_wait_loadcnt 0x0
	ds_store_b64 v1, v[3:4]
	s_wait_dscnt 0x0
	s_barrier_signal -1
	s_barrier_wait -1
	global_inv scope:SCOPE_SE
	v_cmpx_gt_u32_e32 50, v0
	s_cbranch_execz .LBB51_215
; %bb.212:
	v_dual_mov_b32 v3, 0 :: v_dual_add_nc_u32 v4, -1, v0
	v_dual_mov_b32 v6, v13 :: v_dual_add_nc_u32 v5, 0x1a0, v13
	v_mov_b32_e32 v8, 0
	s_mov_b32 s1, 0
.LBB51_213:                             ; =>This Inner Loop Header: Depth=1
	scratch_load_b64 v[9:10], v6, off
	ds_load_b64 v[11:12], v5
	v_add_nc_u32_e32 v6, 8, v6
	v_add_nc_u32_e32 v4, 1, v4
	;; [unrolled: 1-line block ×3, first 2 shown]
	s_delay_alu instid0(VALU_DEP_2)
	v_cmp_lt_u32_e32 vcc_lo, 48, v4
	s_wait_alu 0xfffe
	s_or_b32 s1, vcc_lo, s1
	s_wait_loadcnt_dscnt 0x0
	v_mul_f32_e32 v13, v12, v10
	v_mul_f32_e32 v10, v11, v10
	s_delay_alu instid0(VALU_DEP_2) | instskip(NEXT) | instid1(VALU_DEP_2)
	v_fma_f32 v11, v11, v9, -v13
	v_fmac_f32_e32 v10, v12, v9
	s_delay_alu instid0(VALU_DEP_1)
	v_dual_add_f32 v8, v8, v11 :: v_dual_add_f32 v3, v3, v10
	s_wait_alu 0xfffe
	s_and_not1_b32 exec_lo, exec_lo, s1
	s_cbranch_execnz .LBB51_213
; %bb.214:
	s_or_b32 exec_lo, exec_lo, s1
	v_mov_b32_e32 v4, 0
	ds_load_b64 v[4:5], v4 offset:400
	s_wait_dscnt 0x0
	v_mul_f32_e32 v9, v3, v5
	v_mul_f32_e32 v6, v8, v5
	s_delay_alu instid0(VALU_DEP_2) | instskip(NEXT) | instid1(VALU_DEP_2)
	v_fma_f32 v5, v8, v4, -v9
	v_fmac_f32_e32 v6, v3, v4
	scratch_store_b64 off, v[5:6], off offset:400
.LBB51_215:
	s_wait_alu 0xfffe
	s_or_b32 exec_lo, exec_lo, s0
	s_wait_loadcnt 0x0
	s_wait_storecnt 0x0
	s_barrier_signal -1
	s_barrier_wait -1
	global_inv scope:SCOPE_SE
	scratch_load_b64 v[3:4], off, off offset:408
	s_mov_b32 s0, exec_lo
	s_wait_loadcnt 0x0
	ds_store_b64 v1, v[3:4]
	s_wait_dscnt 0x0
	s_barrier_signal -1
	s_barrier_wait -1
	global_inv scope:SCOPE_SE
	v_cmpx_ne_u32_e32 51, v0
	s_cbranch_execz .LBB51_219
; %bb.216:
	v_dual_mov_b32 v3, 0 :: v_dual_mov_b32 v4, 0
	s_mov_b32 s1, 0
.LBB51_217:                             ; =>This Inner Loop Header: Depth=1
	scratch_load_b64 v[5:6], v7, off
	ds_load_b64 v[8:9], v1
	v_add_nc_u32_e32 v2, 1, v2
	v_add_nc_u32_e32 v1, 8, v1
	;; [unrolled: 1-line block ×3, first 2 shown]
	s_delay_alu instid0(VALU_DEP_3)
	v_cmp_lt_u32_e32 vcc_lo, 49, v2
	s_wait_alu 0xfffe
	s_or_b32 s1, vcc_lo, s1
	s_wait_loadcnt_dscnt 0x0
	v_mul_f32_e32 v10, v9, v6
	v_mul_f32_e32 v6, v8, v6
	s_delay_alu instid0(VALU_DEP_2) | instskip(NEXT) | instid1(VALU_DEP_2)
	v_fma_f32 v8, v8, v5, -v10
	v_fmac_f32_e32 v6, v9, v5
	s_delay_alu instid0(VALU_DEP_1)
	v_dual_add_f32 v4, v4, v8 :: v_dual_add_f32 v3, v3, v6
	s_wait_alu 0xfffe
	s_and_not1_b32 exec_lo, exec_lo, s1
	s_cbranch_execnz .LBB51_217
; %bb.218:
	s_or_b32 exec_lo, exec_lo, s1
	v_mov_b32_e32 v1, 0
	ds_load_b64 v[1:2], v1 offset:408
	s_wait_dscnt 0x0
	v_mul_f32_e32 v6, v3, v2
	v_mul_f32_e32 v5, v4, v2
	s_delay_alu instid0(VALU_DEP_2) | instskip(NEXT) | instid1(VALU_DEP_2)
	v_fma_f32 v4, v4, v1, -v6
	v_fmac_f32_e32 v5, v3, v1
	scratch_store_b64 off, v[4:5], off offset:408
.LBB51_219:
	s_wait_alu 0xfffe
	s_or_b32 exec_lo, exec_lo, s0
	s_mov_b32 s1, -1
	s_wait_loadcnt 0x0
	s_wait_storecnt 0x0
	s_barrier_signal -1
	s_barrier_wait -1
	global_inv scope:SCOPE_SE
.LBB51_220:
	s_wait_alu 0xfffe
	s_and_b32 vcc_lo, exec_lo, s1
	s_wait_alu 0xfffe
	s_cbranch_vccz .LBB51_222
; %bb.221:
	v_mov_b32_e32 v1, 0
	s_lshl_b64 s[0:1], s[16:17], 2
	s_wait_alu 0xfffe
	s_add_nc_u64 s[0:1], s[6:7], s[0:1]
	global_load_b32 v1, v1, s[0:1]
	s_wait_loadcnt 0x0
	v_cmp_ne_u32_e32 vcc_lo, 0, v1
	s_cbranch_vccz .LBB51_223
.LBB51_222:
	s_nop 0
	s_sendmsg sendmsg(MSG_DEALLOC_VGPRS)
	s_endpgm
.LBB51_223:
	v_lshl_add_u32 v27, v0, 3, 0x1a0
	s_mov_b32 s0, exec_lo
	v_cmpx_eq_u32_e32 51, v0
	s_cbranch_execz .LBB51_225
; %bb.224:
	scratch_load_b64 v[1:2], off, off offset:400
	v_mov_b32_e32 v3, 0
	s_delay_alu instid0(VALU_DEP_1)
	v_mov_b32_e32 v4, v3
	scratch_store_b64 off, v[3:4], off offset:400
	s_wait_loadcnt 0x0
	ds_store_b64 v27, v[1:2]
.LBB51_225:
	s_wait_alu 0xfffe
	s_or_b32 exec_lo, exec_lo, s0
	s_wait_storecnt_dscnt 0x0
	s_barrier_signal -1
	s_barrier_wait -1
	global_inv scope:SCOPE_SE
	s_clause 0x1
	scratch_load_b64 v[2:3], off, off offset:408
	scratch_load_b64 v[4:5], off, off offset:400
	v_mov_b32_e32 v1, 0
	s_mov_b32 s0, exec_lo
	ds_load_b64 v[6:7], v1 offset:824
	s_wait_loadcnt_dscnt 0x100
	v_mul_f32_e32 v8, v7, v3
	v_mul_f32_e32 v3, v6, v3
	s_delay_alu instid0(VALU_DEP_2) | instskip(NEXT) | instid1(VALU_DEP_2)
	v_fma_f32 v6, v6, v2, -v8
	v_fmac_f32_e32 v3, v7, v2
	s_delay_alu instid0(VALU_DEP_1) | instskip(SKIP_1) | instid1(VALU_DEP_1)
	v_dual_add_f32 v2, 0, v6 :: v_dual_add_f32 v3, 0, v3
	s_wait_loadcnt 0x0
	v_dual_sub_f32 v2, v4, v2 :: v_dual_sub_f32 v3, v5, v3
	scratch_store_b64 off, v[2:3], off offset:400
	v_cmpx_lt_u32_e32 49, v0
	s_cbranch_execz .LBB51_227
; %bb.226:
	scratch_load_b64 v[3:4], off, off offset:392
	v_mov_b32_e32 v2, v1
	scratch_store_b64 off, v[1:2], off offset:392
	s_wait_loadcnt 0x0
	ds_store_b64 v27, v[3:4]
.LBB51_227:
	s_wait_alu 0xfffe
	s_or_b32 exec_lo, exec_lo, s0
	s_wait_storecnt_dscnt 0x0
	s_barrier_signal -1
	s_barrier_wait -1
	global_inv scope:SCOPE_SE
	s_clause 0x1
	scratch_load_b128 v[2:5], off, off offset:400
	scratch_load_b64 v[10:11], off, off offset:392
	ds_load_b128 v[6:9], v1 offset:816
	s_mov_b32 s0, exec_lo
	s_wait_loadcnt_dscnt 0x100
	v_dual_mul_f32 v1, v7, v3 :: v_dual_mul_f32 v12, v8, v5
	v_mul_f32_e32 v3, v6, v3
	s_delay_alu instid0(VALU_DEP_2) | instskip(NEXT) | instid1(VALU_DEP_2)
	v_fma_f32 v1, v6, v2, -v1
	v_dual_fmac_f32 v12, v9, v4 :: v_dual_fmac_f32 v3, v7, v2
	s_delay_alu instid0(VALU_DEP_2) | instskip(NEXT) | instid1(VALU_DEP_2)
	v_add_f32_e32 v1, 0, v1
	v_add_f32_e32 v3, 0, v3
	v_mul_f32_e32 v5, v9, v5
	s_delay_alu instid0(VALU_DEP_1) | instskip(NEXT) | instid1(VALU_DEP_1)
	v_fma_f32 v2, v8, v4, -v5
	v_dual_add_f32 v1, v1, v2 :: v_dual_add_f32 v2, v3, v12
	s_wait_loadcnt 0x0
	s_delay_alu instid0(VALU_DEP_1)
	v_dual_sub_f32 v1, v10, v1 :: v_dual_sub_f32 v2, v11, v2
	scratch_store_b64 off, v[1:2], off offset:392
	v_cmpx_lt_u32_e32 48, v0
	s_cbranch_execz .LBB51_229
; %bb.228:
	scratch_load_b64 v[1:2], off, off offset:384
	v_mov_b32_e32 v3, 0
	s_delay_alu instid0(VALU_DEP_1)
	v_mov_b32_e32 v4, v3
	scratch_store_b64 off, v[3:4], off offset:384
	s_wait_loadcnt 0x0
	ds_store_b64 v27, v[1:2]
.LBB51_229:
	s_wait_alu 0xfffe
	s_or_b32 exec_lo, exec_lo, s0
	s_wait_storecnt_dscnt 0x0
	s_barrier_signal -1
	s_barrier_wait -1
	global_inv scope:SCOPE_SE
	s_clause 0x2
	scratch_load_b128 v[2:5], off, off offset:392
	scratch_load_b64 v[10:11], off, off offset:408
	scratch_load_b64 v[12:13], off, off offset:384
	v_mov_b32_e32 v1, 0
	ds_load_2addr_b64 v[6:9], v1 offset0:101 offset1:102
	ds_load_b64 v[14:15], v1 offset:824
	s_mov_b32 s0, exec_lo
	s_wait_loadcnt_dscnt 0x201
	v_dual_mul_f32 v16, v7, v3 :: v_dual_mul_f32 v17, v8, v5
	s_wait_loadcnt_dscnt 0x100
	v_mul_f32_e32 v18, v14, v11
	v_mul_f32_e32 v3, v6, v3
	;; [unrolled: 1-line block ×3, first 2 shown]
	v_fma_f32 v6, v6, v2, -v16
	s_delay_alu instid0(VALU_DEP_4) | instskip(NEXT) | instid1(VALU_DEP_4)
	v_fmac_f32_e32 v18, v15, v10
	v_fmac_f32_e32 v3, v7, v2
	v_mul_f32_e32 v2, v15, v11
	s_delay_alu instid0(VALU_DEP_1) | instskip(SKIP_3) | instid1(VALU_DEP_1)
	v_fma_f32 v2, v14, v10, -v2
	v_fmac_f32_e32 v17, v9, v4
	v_fma_f32 v4, v8, v4, -v5
	v_add_f32_e32 v5, 0, v6
	v_add_f32_e32 v4, v5, v4
	s_delay_alu instid0(VALU_DEP_1) | instskip(SKIP_1) | instid1(VALU_DEP_1)
	v_dual_add_f32 v2, v4, v2 :: v_dual_add_f32 v3, 0, v3
	s_wait_loadcnt 0x0
	v_dual_sub_f32 v2, v12, v2 :: v_dual_add_f32 v3, v3, v17
	s_delay_alu instid0(VALU_DEP_1) | instskip(NEXT) | instid1(VALU_DEP_1)
	v_add_f32_e32 v3, v3, v18
	v_sub_f32_e32 v3, v13, v3
	scratch_store_b64 off, v[2:3], off offset:384
	v_cmpx_lt_u32_e32 47, v0
	s_cbranch_execz .LBB51_231
; %bb.230:
	scratch_load_b64 v[3:4], off, off offset:376
	v_mov_b32_e32 v2, v1
	scratch_store_b64 off, v[1:2], off offset:376
	s_wait_loadcnt 0x0
	ds_store_b64 v27, v[3:4]
.LBB51_231:
	s_wait_alu 0xfffe
	s_or_b32 exec_lo, exec_lo, s0
	s_wait_storecnt_dscnt 0x0
	s_barrier_signal -1
	s_barrier_wait -1
	global_inv scope:SCOPE_SE
	s_clause 0x2
	scratch_load_b128 v[2:5], off, off offset:384
	scratch_load_b128 v[6:9], off, off offset:400
	scratch_load_b64 v[18:19], off, off offset:376
	ds_load_b128 v[10:13], v1 offset:800
	ds_load_b128 v[14:17], v1 offset:816
	s_mov_b32 s0, exec_lo
	s_wait_loadcnt_dscnt 0x201
	v_dual_mul_f32 v1, v10, v3 :: v_dual_mul_f32 v20, v12, v5
	s_wait_loadcnt_dscnt 0x100
	v_dual_mul_f32 v3, v11, v3 :: v_dual_mul_f32 v22, v16, v9
	v_mul_f32_e32 v5, v13, v5
	s_delay_alu instid0(VALU_DEP_3) | instskip(NEXT) | instid1(VALU_DEP_3)
	v_dual_mul_f32 v21, v14, v7 :: v_dual_fmac_f32 v20, v13, v4
	v_fma_f32 v3, v10, v2, -v3
	s_delay_alu instid0(VALU_DEP_4) | instskip(SKIP_2) | instid1(VALU_DEP_4)
	v_dual_fmac_f32 v1, v11, v2 :: v_dual_fmac_f32 v22, v17, v8
	v_mul_f32_e32 v2, v15, v7
	v_fma_f32 v4, v12, v4, -v5
	v_add_f32_e32 v3, 0, v3
	v_fmac_f32_e32 v21, v15, v6
	s_delay_alu instid0(VALU_DEP_4) | instskip(NEXT) | instid1(VALU_DEP_3)
	v_fma_f32 v2, v14, v6, -v2
	v_add_f32_e32 v3, v3, v4
	s_delay_alu instid0(VALU_DEP_1) | instskip(NEXT) | instid1(VALU_DEP_1)
	v_dual_add_f32 v1, 0, v1 :: v_dual_add_f32 v2, v3, v2
	v_add_f32_e32 v1, v1, v20
	s_delay_alu instid0(VALU_DEP_1) | instskip(NEXT) | instid1(VALU_DEP_1)
	v_add_f32_e32 v1, v1, v21
	v_add_f32_e32 v3, v1, v22
	v_mul_f32_e32 v5, v17, v9
	s_delay_alu instid0(VALU_DEP_1) | instskip(NEXT) | instid1(VALU_DEP_1)
	v_fma_f32 v4, v16, v8, -v5
	v_add_f32_e32 v2, v2, v4
	s_wait_loadcnt 0x0
	s_delay_alu instid0(VALU_DEP_1)
	v_dual_sub_f32 v1, v18, v2 :: v_dual_sub_f32 v2, v19, v3
	scratch_store_b64 off, v[1:2], off offset:376
	v_cmpx_lt_u32_e32 46, v0
	s_cbranch_execz .LBB51_233
; %bb.232:
	scratch_load_b64 v[1:2], off, off offset:368
	v_mov_b32_e32 v3, 0
	s_delay_alu instid0(VALU_DEP_1)
	v_mov_b32_e32 v4, v3
	scratch_store_b64 off, v[3:4], off offset:368
	s_wait_loadcnt 0x0
	ds_store_b64 v27, v[1:2]
.LBB51_233:
	s_wait_alu 0xfffe
	s_or_b32 exec_lo, exec_lo, s0
	s_wait_storecnt_dscnt 0x0
	s_barrier_signal -1
	s_barrier_wait -1
	global_inv scope:SCOPE_SE
	s_clause 0x3
	scratch_load_b128 v[2:5], off, off offset:376
	scratch_load_b128 v[6:9], off, off offset:392
	scratch_load_b64 v[18:19], off, off offset:408
	scratch_load_b64 v[20:21], off, off offset:368
	v_mov_b32_e32 v1, 0
	ds_load_2addr_b64 v[10:13], v1 offset0:99 offset1:100
	ds_load_2addr_b64 v[14:17], v1 offset0:101 offset1:102
	ds_load_b64 v[22:23], v1 offset:824
	s_mov_b32 s0, exec_lo
	s_wait_loadcnt_dscnt 0x302
	v_mul_f32_e32 v24, v10, v3
	s_wait_loadcnt_dscnt 0x201
	v_dual_mul_f32 v3, v11, v3 :: v_dual_mul_f32 v132, v16, v9
	v_dual_mul_f32 v25, v12, v5 :: v_dual_mul_f32 v26, v14, v7
	s_wait_loadcnt_dscnt 0x100
	v_dual_mul_f32 v133, v22, v19 :: v_dual_fmac_f32 v24, v11, v2
	v_mul_f32_e32 v5, v13, v5
	v_fma_f32 v3, v10, v2, -v3
	v_dual_mul_f32 v2, v15, v7 :: v_dual_fmac_f32 v25, v13, v4
	v_fmac_f32_e32 v26, v15, v6
	s_delay_alu instid0(VALU_DEP_4) | instskip(SKIP_1) | instid1(VALU_DEP_4)
	v_fma_f32 v4, v12, v4, -v5
	v_fmac_f32_e32 v133, v23, v18
	v_fma_f32 v2, v14, v6, -v2
	v_add_f32_e32 v5, 0, v24
	v_dual_add_f32 v3, 0, v3 :: v_dual_fmac_f32 v132, v17, v8
	s_delay_alu instid0(VALU_DEP_1) | instskip(NEXT) | instid1(VALU_DEP_1)
	v_add_f32_e32 v3, v3, v4
	v_dual_add_f32 v2, v3, v2 :: v_dual_mul_f32 v7, v17, v9
	s_delay_alu instid0(VALU_DEP_4) | instskip(NEXT) | instid1(VALU_DEP_2)
	v_dual_add_f32 v4, v5, v25 :: v_dual_mul_f32 v5, v23, v19
	v_fma_f32 v6, v16, v8, -v7
	s_delay_alu instid0(VALU_DEP_1) | instskip(NEXT) | instid1(VALU_DEP_3)
	v_add_f32_e32 v2, v2, v6
	v_add_f32_e32 v3, v4, v26
	s_delay_alu instid0(VALU_DEP_4) | instskip(NEXT) | instid1(VALU_DEP_1)
	v_fma_f32 v4, v22, v18, -v5
	v_add_f32_e32 v2, v2, v4
	s_wait_loadcnt 0x0
	s_delay_alu instid0(VALU_DEP_1) | instskip(NEXT) | instid1(VALU_DEP_1)
	v_dual_add_f32 v3, v3, v132 :: v_dual_sub_f32 v2, v20, v2
	v_add_f32_e32 v3, v3, v133
	s_delay_alu instid0(VALU_DEP_1)
	v_sub_f32_e32 v3, v21, v3
	scratch_store_b64 off, v[2:3], off offset:368
	v_cmpx_lt_u32_e32 45, v0
	s_cbranch_execz .LBB51_235
; %bb.234:
	scratch_load_b64 v[3:4], off, off offset:360
	v_mov_b32_e32 v2, v1
	scratch_store_b64 off, v[1:2], off offset:360
	s_wait_loadcnt 0x0
	ds_store_b64 v27, v[3:4]
.LBB51_235:
	s_wait_alu 0xfffe
	s_or_b32 exec_lo, exec_lo, s0
	s_wait_storecnt_dscnt 0x0
	s_barrier_signal -1
	s_barrier_wait -1
	global_inv scope:SCOPE_SE
	s_clause 0x3
	scratch_load_b128 v[2:5], off, off offset:368
	scratch_load_b128 v[6:9], off, off offset:384
	;; [unrolled: 1-line block ×3, first 2 shown]
	scratch_load_b64 v[132:133], off, off offset:360
	ds_load_b128 v[14:17], v1 offset:784
	ds_load_b128 v[18:21], v1 offset:800
	;; [unrolled: 1-line block ×3, first 2 shown]
	s_mov_b32 s0, exec_lo
	s_wait_loadcnt_dscnt 0x302
	v_dual_mul_f32 v1, v14, v3 :: v_dual_mul_f32 v26, v16, v5
	v_mul_f32_e32 v3, v15, v3
	s_wait_loadcnt_dscnt 0x201
	v_dual_mul_f32 v5, v17, v5 :: v_dual_mul_f32 v134, v18, v7
	s_delay_alu instid0(VALU_DEP_3) | instskip(NEXT) | instid1(VALU_DEP_3)
	v_dual_mul_f32 v135, v20, v9 :: v_dual_fmac_f32 v26, v17, v4
	v_fma_f32 v3, v14, v2, -v3
	v_fmac_f32_e32 v1, v15, v2
	v_mul_f32_e32 v2, v19, v7
	v_fma_f32 v4, v16, v4, -v5
	s_delay_alu instid0(VALU_DEP_4)
	v_dual_fmac_f32 v134, v19, v6 :: v_dual_add_f32 v3, 0, v3
	s_wait_loadcnt_dscnt 0x100
	v_dual_mul_f32 v136, v22, v11 :: v_dual_mul_f32 v137, v24, v13
	v_fma_f32 v2, v18, v6, -v2
	v_fmac_f32_e32 v135, v21, v8
	v_add_f32_e32 v3, v3, v4
	s_delay_alu instid0(VALU_DEP_4) | instskip(SKIP_1) | instid1(VALU_DEP_3)
	v_dual_mul_f32 v5, v21, v9 :: v_dual_fmac_f32 v136, v23, v10
	v_dual_fmac_f32 v137, v25, v12 :: v_dual_mul_f32 v4, v23, v11
	v_add_f32_e32 v2, v3, v2
	s_delay_alu instid0(VALU_DEP_3) | instskip(SKIP_1) | instid1(VALU_DEP_4)
	v_fma_f32 v5, v20, v8, -v5
	v_mul_f32_e32 v3, v25, v13
	v_fma_f32 v4, v22, v10, -v4
	s_delay_alu instid0(VALU_DEP_3) | instskip(SKIP_1) | instid1(VALU_DEP_4)
	v_add_f32_e32 v2, v2, v5
	v_add_f32_e32 v1, 0, v1
	v_fma_f32 v3, v24, v12, -v3
	s_delay_alu instid0(VALU_DEP_2) | instskip(NEXT) | instid1(VALU_DEP_1)
	v_dual_add_f32 v2, v2, v4 :: v_dual_add_f32 v1, v1, v26
	v_dual_add_f32 v2, v2, v3 :: v_dual_add_f32 v1, v1, v134
	s_delay_alu instid0(VALU_DEP_1) | instskip(NEXT) | instid1(VALU_DEP_1)
	v_add_f32_e32 v1, v1, v135
	v_add_f32_e32 v1, v1, v136
	s_delay_alu instid0(VALU_DEP_1) | instskip(SKIP_1) | instid1(VALU_DEP_1)
	v_add_f32_e32 v3, v1, v137
	s_wait_loadcnt 0x0
	v_dual_sub_f32 v1, v132, v2 :: v_dual_sub_f32 v2, v133, v3
	scratch_store_b64 off, v[1:2], off offset:360
	v_cmpx_lt_u32_e32 44, v0
	s_cbranch_execz .LBB51_237
; %bb.236:
	scratch_load_b64 v[1:2], off, off offset:352
	v_mov_b32_e32 v3, 0
	s_delay_alu instid0(VALU_DEP_1)
	v_mov_b32_e32 v4, v3
	scratch_store_b64 off, v[3:4], off offset:352
	s_wait_loadcnt 0x0
	ds_store_b64 v27, v[1:2]
.LBB51_237:
	s_wait_alu 0xfffe
	s_or_b32 exec_lo, exec_lo, s0
	s_wait_storecnt_dscnt 0x0
	s_barrier_signal -1
	s_barrier_wait -1
	global_inv scope:SCOPE_SE
	s_clause 0x4
	scratch_load_b128 v[2:5], off, off offset:360
	scratch_load_b128 v[6:9], off, off offset:376
	;; [unrolled: 1-line block ×3, first 2 shown]
	scratch_load_b64 v[132:133], off, off offset:408
	scratch_load_b64 v[134:135], off, off offset:352
	v_mov_b32_e32 v1, 0
	ds_load_2addr_b64 v[14:17], v1 offset0:97 offset1:98
	ds_load_2addr_b64 v[18:21], v1 offset0:99 offset1:100
	;; [unrolled: 1-line block ×3, first 2 shown]
	ds_load_b64 v[136:137], v1 offset:824
	s_mov_b32 s0, exec_lo
	s_wait_loadcnt_dscnt 0x403
	v_mul_f32_e32 v26, v14, v3
	s_wait_loadcnt_dscnt 0x302
	v_dual_mul_f32 v140, v20, v9 :: v_dual_mul_f32 v3, v15, v3
	v_dual_mul_f32 v138, v16, v5 :: v_dual_mul_f32 v139, v18, v7
	s_wait_loadcnt_dscnt 0x100
	v_dual_mul_f32 v143, v136, v133 :: v_dual_fmac_f32 v26, v15, v2
	v_mul_f32_e32 v5, v17, v5
	v_fma_f32 v3, v14, v2, -v3
	v_mul_f32_e32 v2, v19, v7
	v_dual_fmac_f32 v138, v17, v4 :: v_dual_fmac_f32 v139, v19, v6
	s_delay_alu instid0(VALU_DEP_4) | instskip(NEXT) | instid1(VALU_DEP_4)
	v_fma_f32 v4, v16, v4, -v5
	v_add_f32_e32 v3, 0, v3
	v_dual_add_f32 v5, 0, v26 :: v_dual_fmac_f32 v140, v21, v8
	v_fma_f32 v2, v18, v6, -v2
	v_dual_mul_f32 v141, v22, v11 :: v_dual_mul_f32 v142, v24, v13
	s_delay_alu instid0(VALU_DEP_3) | instskip(SKIP_1) | instid1(VALU_DEP_3)
	v_dual_add_f32 v3, v3, v4 :: v_dual_add_f32 v4, v5, v138
	v_mul_f32_e32 v7, v21, v9
	v_dual_fmac_f32 v141, v23, v10 :: v_dual_fmac_f32 v142, v25, v12
	s_delay_alu instid0(VALU_DEP_3) | instskip(NEXT) | instid1(VALU_DEP_3)
	v_dual_add_f32 v2, v3, v2 :: v_dual_add_f32 v3, v4, v139
	v_fma_f32 v6, v20, v8, -v7
	v_dual_mul_f32 v5, v23, v11 :: v_dual_mul_f32 v4, v25, v13
	s_delay_alu instid0(VALU_DEP_2) | instskip(NEXT) | instid1(VALU_DEP_2)
	v_add_f32_e32 v2, v2, v6
	v_fma_f32 v5, v22, v10, -v5
	v_dual_mul_f32 v6, v137, v133 :: v_dual_add_f32 v3, v3, v140
	s_delay_alu instid0(VALU_DEP_4) | instskip(NEXT) | instid1(VALU_DEP_3)
	v_fma_f32 v4, v24, v12, -v4
	v_add_f32_e32 v2, v2, v5
	s_delay_alu instid0(VALU_DEP_3) | instskip(NEXT) | instid1(VALU_DEP_2)
	v_fma_f32 v5, v136, v132, -v6
	v_dual_add_f32 v3, v3, v141 :: v_dual_add_f32 v2, v2, v4
	v_fmac_f32_e32 v143, v137, v132
	s_delay_alu instid0(VALU_DEP_2) | instskip(SKIP_1) | instid1(VALU_DEP_1)
	v_dual_add_f32 v3, v3, v142 :: v_dual_add_f32 v2, v2, v5
	s_wait_loadcnt 0x0
	v_dual_add_f32 v3, v3, v143 :: v_dual_sub_f32 v2, v134, v2
	s_delay_alu instid0(VALU_DEP_1)
	v_sub_f32_e32 v3, v135, v3
	scratch_store_b64 off, v[2:3], off offset:352
	v_cmpx_lt_u32_e32 43, v0
	s_cbranch_execz .LBB51_239
; %bb.238:
	scratch_load_b64 v[3:4], off, off offset:344
	v_mov_b32_e32 v2, v1
	scratch_store_b64 off, v[1:2], off offset:344
	s_wait_loadcnt 0x0
	ds_store_b64 v27, v[3:4]
.LBB51_239:
	s_wait_alu 0xfffe
	s_or_b32 exec_lo, exec_lo, s0
	s_wait_storecnt_dscnt 0x0
	s_barrier_signal -1
	s_barrier_wait -1
	global_inv scope:SCOPE_SE
	s_clause 0x4
	scratch_load_b128 v[2:5], off, off offset:352
	scratch_load_b128 v[6:9], off, off offset:368
	;; [unrolled: 1-line block ×4, first 2 shown]
	scratch_load_b64 v[140:141], off, off offset:344
	ds_load_b128 v[18:21], v1 offset:768
	ds_load_b128 v[22:25], v1 offset:784
	;; [unrolled: 1-line block ×4, first 2 shown]
	s_mov_b32 s0, exec_lo
	s_wait_loadcnt_dscnt 0x403
	v_dual_mul_f32 v1, v18, v3 :: v_dual_mul_f32 v26, v20, v5
	v_mul_f32_e32 v3, v19, v3
	s_wait_loadcnt_dscnt 0x302
	v_dual_mul_f32 v5, v21, v5 :: v_dual_mul_f32 v142, v22, v7
	s_delay_alu instid0(VALU_DEP_3) | instskip(NEXT) | instid1(VALU_DEP_3)
	v_dual_mul_f32 v143, v24, v9 :: v_dual_fmac_f32 v26, v21, v4
	v_fma_f32 v3, v18, v2, -v3
	v_fmac_f32_e32 v1, v19, v2
	v_mul_f32_e32 v2, v23, v7
	v_fma_f32 v4, v20, v4, -v5
	s_wait_loadcnt_dscnt 0x201
	v_dual_mul_f32 v144, v132, v11 :: v_dual_mul_f32 v145, v134, v13
	v_dual_add_f32 v3, 0, v3 :: v_dual_fmac_f32 v142, v23, v6
	v_fma_f32 v2, v22, v6, -v2
	s_delay_alu instid0(VALU_DEP_3)
	v_fmac_f32_e32 v144, v133, v10
	s_wait_loadcnt_dscnt 0x100
	v_dual_mul_f32 v146, v136, v15 :: v_dual_mul_f32 v147, v138, v17
	v_dual_add_f32 v3, v3, v4 :: v_dual_mul_f32 v4, v133, v11
	v_add_f32_e32 v1, 0, v1
	v_fmac_f32_e32 v143, v25, v8
	s_delay_alu instid0(VALU_DEP_4) | instskip(NEXT) | instid1(VALU_DEP_4)
	v_fmac_f32_e32 v146, v137, v14
	v_add_f32_e32 v2, v3, v2
	v_fma_f32 v4, v132, v10, -v4
	v_mul_f32_e32 v5, v25, v9
	v_mul_f32_e32 v3, v135, v13
	v_fmac_f32_e32 v147, v139, v16
	s_delay_alu instid0(VALU_DEP_3) | instskip(SKIP_1) | instid1(VALU_DEP_4)
	v_fma_f32 v5, v24, v8, -v5
	v_add_f32_e32 v1, v1, v26
	v_fma_f32 v3, v134, v12, -v3
	s_delay_alu instid0(VALU_DEP_3) | instskip(NEXT) | instid1(VALU_DEP_1)
	v_dual_add_f32 v2, v2, v5 :: v_dual_mul_f32 v5, v137, v15
	v_dual_add_f32 v2, v2, v4 :: v_dual_add_f32 v1, v1, v142
	v_mul_f32_e32 v4, v139, v17
	s_delay_alu instid0(VALU_DEP_3) | instskip(NEXT) | instid1(VALU_DEP_3)
	v_fma_f32 v5, v136, v14, -v5
	v_add_f32_e32 v2, v2, v3
	s_delay_alu instid0(VALU_DEP_4) | instskip(NEXT) | instid1(VALU_DEP_4)
	v_add_f32_e32 v1, v1, v143
	v_fma_f32 v3, v138, v16, -v4
	s_delay_alu instid0(VALU_DEP_3) | instskip(NEXT) | instid1(VALU_DEP_1)
	v_dual_add_f32 v2, v2, v5 :: v_dual_fmac_f32 v145, v135, v12
	v_dual_add_f32 v1, v1, v144 :: v_dual_add_f32 v2, v2, v3
	s_delay_alu instid0(VALU_DEP_1) | instskip(NEXT) | instid1(VALU_DEP_1)
	v_add_f32_e32 v1, v1, v145
	v_add_f32_e32 v1, v1, v146
	s_delay_alu instid0(VALU_DEP_1) | instskip(SKIP_1) | instid1(VALU_DEP_1)
	v_add_f32_e32 v3, v1, v147
	s_wait_loadcnt 0x0
	v_dual_sub_f32 v1, v140, v2 :: v_dual_sub_f32 v2, v141, v3
	scratch_store_b64 off, v[1:2], off offset:344
	v_cmpx_lt_u32_e32 42, v0
	s_cbranch_execz .LBB51_241
; %bb.240:
	scratch_load_b64 v[1:2], off, off offset:336
	v_mov_b32_e32 v3, 0
	s_delay_alu instid0(VALU_DEP_1)
	v_mov_b32_e32 v4, v3
	scratch_store_b64 off, v[3:4], off offset:336
	s_wait_loadcnt 0x0
	ds_store_b64 v27, v[1:2]
.LBB51_241:
	s_wait_alu 0xfffe
	s_or_b32 exec_lo, exec_lo, s0
	s_wait_storecnt_dscnt 0x0
	s_barrier_signal -1
	s_barrier_wait -1
	global_inv scope:SCOPE_SE
	s_clause 0x5
	scratch_load_b128 v[2:5], off, off offset:344
	scratch_load_b128 v[6:9], off, off offset:360
	;; [unrolled: 1-line block ×4, first 2 shown]
	scratch_load_b64 v[140:141], off, off offset:408
	scratch_load_b64 v[142:143], off, off offset:336
	v_mov_b32_e32 v1, 0
	ds_load_2addr_b64 v[18:21], v1 offset0:95 offset1:96
	ds_load_2addr_b64 v[22:25], v1 offset0:97 offset1:98
	;; [unrolled: 1-line block ×4, first 2 shown]
	ds_load_b64 v[144:145], v1 offset:824
	s_mov_b32 s0, exec_lo
	s_wait_loadcnt_dscnt 0x504
	v_mul_f32_e32 v26, v18, v3
	s_wait_loadcnt_dscnt 0x403
	v_dual_mul_f32 v148, v24, v9 :: v_dual_mul_f32 v3, v19, v3
	v_dual_mul_f32 v146, v20, v5 :: v_dual_mul_f32 v147, v22, v7
	s_wait_loadcnt_dscnt 0x100
	v_dual_mul_f32 v153, v144, v141 :: v_dual_fmac_f32 v26, v19, v2
	v_mul_f32_e32 v5, v21, v5
	v_fma_f32 v3, v18, v2, -v3
	v_mul_f32_e32 v2, v23, v7
	v_fmac_f32_e32 v146, v21, v4
	v_fmac_f32_e32 v148, v25, v8
	v_fma_f32 v4, v20, v4, -v5
	v_add_f32_e32 v3, 0, v3
	v_add_f32_e32 v5, 0, v26
	v_fma_f32 v2, v22, v6, -v2
	v_fmac_f32_e32 v147, v23, v6
	v_dual_mul_f32 v149, v132, v11 :: v_dual_mul_f32 v150, v134, v13
	s_delay_alu instid0(VALU_DEP_4) | instskip(SKIP_1) | instid1(VALU_DEP_3)
	v_dual_add_f32 v3, v3, v4 :: v_dual_add_f32 v4, v5, v146
	v_mul_f32_e32 v7, v25, v9
	v_dual_mul_f32 v5, v133, v11 :: v_dual_fmac_f32 v150, v135, v12
	s_delay_alu instid0(VALU_DEP_3) | instskip(SKIP_1) | instid1(VALU_DEP_4)
	v_dual_add_f32 v2, v3, v2 :: v_dual_mul_f32 v151, v136, v15
	v_mul_f32_e32 v152, v138, v17
	v_fma_f32 v6, v24, v8, -v7
	s_delay_alu instid0(VALU_DEP_2) | instskip(NEXT) | instid1(VALU_DEP_2)
	v_dual_fmac_f32 v151, v137, v14 :: v_dual_fmac_f32 v152, v139, v16
	v_add_f32_e32 v2, v2, v6
	v_mul_f32_e32 v6, v137, v15
	v_dual_add_f32 v3, v4, v147 :: v_dual_mul_f32 v4, v135, v13
	v_fma_f32 v5, v132, v10, -v5
	s_delay_alu instid0(VALU_DEP_3) | instskip(NEXT) | instid1(VALU_DEP_3)
	v_fma_f32 v6, v136, v14, -v6
	v_add_f32_e32 v3, v3, v148
	s_delay_alu instid0(VALU_DEP_3) | instskip(SKIP_1) | instid1(VALU_DEP_1)
	v_dual_fmac_f32 v149, v133, v10 :: v_dual_add_f32 v2, v2, v5
	v_fma_f32 v4, v134, v12, -v4
	v_dual_add_f32 v3, v3, v149 :: v_dual_add_f32 v2, v2, v4
	v_mul_f32_e32 v5, v139, v17
	s_delay_alu instid0(VALU_DEP_2) | instskip(NEXT) | instid1(VALU_DEP_3)
	v_dual_mul_f32 v4, v145, v141 :: v_dual_add_f32 v3, v3, v150
	v_add_f32_e32 v2, v2, v6
	s_delay_alu instid0(VALU_DEP_3) | instskip(NEXT) | instid1(VALU_DEP_3)
	v_fma_f32 v5, v138, v16, -v5
	v_fma_f32 v4, v144, v140, -v4
	s_delay_alu instid0(VALU_DEP_2) | instskip(NEXT) | instid1(VALU_DEP_1)
	v_dual_add_f32 v3, v3, v151 :: v_dual_add_f32 v2, v2, v5
	v_add_f32_e32 v3, v3, v152
	s_delay_alu instid0(VALU_DEP_2) | instskip(SKIP_1) | instid1(VALU_DEP_1)
	v_add_f32_e32 v2, v2, v4
	s_wait_loadcnt 0x0
	v_dual_fmac_f32 v153, v145, v140 :: v_dual_sub_f32 v2, v142, v2
	s_delay_alu instid0(VALU_DEP_1) | instskip(NEXT) | instid1(VALU_DEP_1)
	v_add_f32_e32 v3, v3, v153
	v_sub_f32_e32 v3, v143, v3
	scratch_store_b64 off, v[2:3], off offset:336
	v_cmpx_lt_u32_e32 41, v0
	s_cbranch_execz .LBB51_243
; %bb.242:
	scratch_load_b64 v[3:4], off, off offset:328
	v_mov_b32_e32 v2, v1
	scratch_store_b64 off, v[1:2], off offset:328
	s_wait_loadcnt 0x0
	ds_store_b64 v27, v[3:4]
.LBB51_243:
	s_wait_alu 0xfffe
	s_or_b32 exec_lo, exec_lo, s0
	s_wait_storecnt_dscnt 0x0
	s_barrier_signal -1
	s_barrier_wait -1
	global_inv scope:SCOPE_SE
	s_clause 0x5
	scratch_load_b128 v[2:5], off, off offset:336
	scratch_load_b128 v[6:9], off, off offset:352
	;; [unrolled: 1-line block ×5, first 2 shown]
	scratch_load_b64 v[148:149], off, off offset:328
	ds_load_b128 v[22:25], v1 offset:752
	ds_load_b128 v[132:135], v1 offset:768
	;; [unrolled: 1-line block ×5, first 2 shown]
	s_mov_b32 s0, exec_lo
	s_wait_loadcnt_dscnt 0x504
	v_dual_mul_f32 v1, v22, v3 :: v_dual_mul_f32 v26, v24, v5
	v_mul_f32_e32 v3, v23, v3
	s_wait_loadcnt_dscnt 0x403
	v_dual_mul_f32 v150, v132, v7 :: v_dual_mul_f32 v151, v134, v9
	s_delay_alu instid0(VALU_DEP_3) | instskip(NEXT) | instid1(VALU_DEP_3)
	v_dual_fmac_f32 v1, v23, v2 :: v_dual_fmac_f32 v26, v25, v4
	v_fma_f32 v3, v22, v2, -v3
	v_mul_f32_e32 v2, v133, v7
	s_wait_loadcnt_dscnt 0x302
	v_dual_mul_f32 v152, v136, v11 :: v_dual_mul_f32 v153, v138, v13
	s_delay_alu instid0(VALU_DEP_3) | instskip(NEXT) | instid1(VALU_DEP_3)
	v_dual_fmac_f32 v150, v133, v6 :: v_dual_add_f32 v3, 0, v3
	v_fma_f32 v2, v132, v6, -v2
	v_mul_f32_e32 v5, v25, v5
	s_delay_alu instid0(VALU_DEP_4) | instskip(SKIP_2) | instid1(VALU_DEP_3)
	v_dual_fmac_f32 v152, v137, v10 :: v_dual_add_f32 v1, 0, v1
	s_wait_loadcnt_dscnt 0x100
	v_dual_mul_f32 v156, v144, v19 :: v_dual_mul_f32 v157, v146, v21
	v_fma_f32 v4, v24, v4, -v5
	v_dual_mul_f32 v5, v135, v9 :: v_dual_mul_f32 v154, v140, v15
	s_delay_alu instid0(VALU_DEP_3) | instskip(SKIP_1) | instid1(VALU_DEP_3)
	v_dual_mul_f32 v155, v142, v17 :: v_dual_fmac_f32 v156, v145, v18
	v_fmac_f32_e32 v151, v135, v8
	v_fma_f32 v5, v134, v8, -v5
	v_dual_add_f32 v3, v3, v4 :: v_dual_mul_f32 v4, v137, v11
	s_delay_alu instid0(VALU_DEP_4) | instskip(SKIP_1) | instid1(VALU_DEP_3)
	v_dual_fmac_f32 v154, v141, v14 :: v_dual_fmac_f32 v155, v143, v16
	v_fmac_f32_e32 v157, v147, v20
	v_add_f32_e32 v2, v3, v2
	s_delay_alu instid0(VALU_DEP_4) | instskip(SKIP_1) | instid1(VALU_DEP_3)
	v_fma_f32 v4, v136, v10, -v4
	v_mul_f32_e32 v3, v139, v13
	v_dual_add_f32 v2, v2, v5 :: v_dual_add_f32 v1, v1, v26
	s_delay_alu instid0(VALU_DEP_2) | instskip(NEXT) | instid1(VALU_DEP_2)
	v_fma_f32 v3, v138, v12, -v3
	v_dual_add_f32 v2, v2, v4 :: v_dual_add_f32 v1, v1, v150
	v_mul_f32_e32 v4, v143, v17
	s_delay_alu instid0(VALU_DEP_2) | instskip(SKIP_1) | instid1(VALU_DEP_3)
	v_dual_fmac_f32 v153, v139, v12 :: v_dual_add_f32 v2, v2, v3
	v_mul_f32_e32 v3, v145, v19
	v_fma_f32 v4, v142, v16, -v4
	v_mul_f32_e32 v5, v141, v15
	s_delay_alu instid0(VALU_DEP_3) | instskip(NEXT) | instid1(VALU_DEP_2)
	v_fma_f32 v3, v144, v18, -v3
	v_fma_f32 v5, v140, v14, -v5
	s_delay_alu instid0(VALU_DEP_1) | instskip(NEXT) | instid1(VALU_DEP_1)
	v_dual_add_f32 v1, v1, v151 :: v_dual_add_f32 v2, v2, v5
	v_dual_mul_f32 v5, v147, v21 :: v_dual_add_f32 v2, v2, v4
	s_delay_alu instid0(VALU_DEP_2) | instskip(NEXT) | instid1(VALU_DEP_2)
	v_add_f32_e32 v1, v1, v152
	v_fma_f32 v4, v146, v20, -v5
	s_delay_alu instid0(VALU_DEP_2) | instskip(NEXT) | instid1(VALU_DEP_1)
	v_dual_add_f32 v2, v2, v3 :: v_dual_add_f32 v1, v1, v153
	v_dual_add_f32 v2, v2, v4 :: v_dual_add_f32 v1, v1, v154
	s_delay_alu instid0(VALU_DEP_1) | instskip(NEXT) | instid1(VALU_DEP_1)
	v_add_f32_e32 v1, v1, v155
	v_add_f32_e32 v1, v1, v156
	s_delay_alu instid0(VALU_DEP_1) | instskip(SKIP_1) | instid1(VALU_DEP_1)
	v_add_f32_e32 v3, v1, v157
	s_wait_loadcnt 0x0
	v_dual_sub_f32 v1, v148, v2 :: v_dual_sub_f32 v2, v149, v3
	scratch_store_b64 off, v[1:2], off offset:328
	v_cmpx_lt_u32_e32 40, v0
	s_cbranch_execz .LBB51_245
; %bb.244:
	scratch_load_b64 v[1:2], off, off offset:320
	v_mov_b32_e32 v3, 0
	s_delay_alu instid0(VALU_DEP_1)
	v_mov_b32_e32 v4, v3
	scratch_store_b64 off, v[3:4], off offset:320
	s_wait_loadcnt 0x0
	ds_store_b64 v27, v[1:2]
.LBB51_245:
	s_wait_alu 0xfffe
	s_or_b32 exec_lo, exec_lo, s0
	s_wait_storecnt_dscnt 0x0
	s_barrier_signal -1
	s_barrier_wait -1
	global_inv scope:SCOPE_SE
	s_clause 0x6
	scratch_load_b128 v[2:5], off, off offset:328
	scratch_load_b128 v[6:9], off, off offset:344
	;; [unrolled: 1-line block ×5, first 2 shown]
	scratch_load_b64 v[148:149], off, off offset:408
	scratch_load_b64 v[150:151], off, off offset:320
	v_mov_b32_e32 v1, 0
	ds_load_2addr_b64 v[22:25], v1 offset0:93 offset1:94
	ds_load_2addr_b64 v[132:135], v1 offset0:95 offset1:96
	;; [unrolled: 1-line block ×5, first 2 shown]
	ds_load_b64 v[152:153], v1 offset:824
	s_mov_b32 s0, exec_lo
	s_wait_loadcnt_dscnt 0x605
	v_mul_f32_e32 v26, v22, v3
	v_dual_mul_f32 v154, v24, v5 :: v_dual_mul_f32 v3, v23, v3
	s_wait_loadcnt_dscnt 0x504
	v_dual_mul_f32 v155, v132, v7 :: v_dual_mul_f32 v156, v134, v9
	v_mul_f32_e32 v5, v25, v5
	s_wait_loadcnt_dscnt 0x100
	v_dual_mul_f32 v163, v152, v149 :: v_dual_fmac_f32 v26, v23, v2
	v_fma_f32 v3, v22, v2, -v3
	v_mul_f32_e32 v2, v133, v7
	v_fmac_f32_e32 v154, v25, v4
	v_fmac_f32_e32 v156, v135, v8
	v_fma_f32 v4, v24, v4, -v5
	v_add_f32_e32 v3, 0, v3
	v_add_f32_e32 v5, 0, v26
	v_mul_f32_e32 v7, v135, v9
	v_fma_f32 v2, v132, v6, -v2
	v_fmac_f32_e32 v155, v133, v6
	s_delay_alu instid0(VALU_DEP_4) | instskip(SKIP_3) | instid1(VALU_DEP_4)
	v_dual_add_f32 v3, v3, v4 :: v_dual_add_f32 v4, v5, v154
	v_mul_f32_e32 v5, v137, v11
	v_fma_f32 v6, v134, v8, -v7
	v_dual_mul_f32 v157, v136, v11 :: v_dual_mul_f32 v158, v138, v13
	v_dual_add_f32 v2, v3, v2 :: v_dual_add_f32 v3, v4, v155
	v_mul_f32_e32 v4, v139, v13
	v_fma_f32 v5, v136, v10, -v5
	s_delay_alu instid0(VALU_DEP_4) | instskip(NEXT) | instid1(VALU_DEP_4)
	v_fmac_f32_e32 v158, v139, v12
	v_add_f32_e32 v2, v2, v6
	v_fmac_f32_e32 v157, v137, v10
	v_dual_add_f32 v3, v3, v156 :: v_dual_mul_f32 v6, v141, v15
	v_fma_f32 v4, v138, v12, -v4
	s_delay_alu instid0(VALU_DEP_4) | instskip(SKIP_1) | instid1(VALU_DEP_4)
	v_dual_add_f32 v2, v2, v5 :: v_dual_mul_f32 v159, v140, v15
	v_mul_f32_e32 v160, v142, v17
	v_add_f32_e32 v3, v3, v157
	v_mul_f32_e32 v5, v143, v17
	v_fma_f32 v6, v140, v14, -v6
	v_dual_add_f32 v2, v2, v4 :: v_dual_fmac_f32 v159, v141, v14
	v_fmac_f32_e32 v160, v143, v16
	v_mul_f32_e32 v4, v145, v19
	v_fma_f32 v5, v142, v16, -v5
	s_delay_alu instid0(VALU_DEP_4) | instskip(SKIP_4) | instid1(VALU_DEP_4)
	v_add_f32_e32 v2, v2, v6
	v_add_f32_e32 v3, v3, v158
	v_dual_mul_f32 v161, v144, v19 :: v_dual_mul_f32 v162, v146, v21
	v_mul_f32_e32 v6, v147, v21
	v_fma_f32 v4, v144, v18, -v4
	v_dual_add_f32 v2, v2, v5 :: v_dual_add_f32 v3, v3, v159
	s_delay_alu instid0(VALU_DEP_4) | instskip(SKIP_2) | instid1(VALU_DEP_4)
	v_fmac_f32_e32 v161, v145, v18
	v_dual_mul_f32 v5, v153, v149 :: v_dual_fmac_f32 v162, v147, v20
	v_fma_f32 v6, v146, v20, -v6
	v_add_f32_e32 v2, v2, v4
	v_add_f32_e32 v3, v3, v160
	s_delay_alu instid0(VALU_DEP_4) | instskip(NEXT) | instid1(VALU_DEP_2)
	v_fma_f32 v4, v152, v148, -v5
	v_dual_add_f32 v2, v2, v6 :: v_dual_add_f32 v3, v3, v161
	s_delay_alu instid0(VALU_DEP_1) | instskip(SKIP_1) | instid1(VALU_DEP_1)
	v_dual_add_f32 v2, v2, v4 :: v_dual_add_f32 v3, v3, v162
	s_wait_loadcnt 0x0
	v_dual_fmac_f32 v163, v153, v148 :: v_dual_sub_f32 v2, v150, v2
	s_delay_alu instid0(VALU_DEP_1) | instskip(NEXT) | instid1(VALU_DEP_1)
	v_add_f32_e32 v3, v3, v163
	v_sub_f32_e32 v3, v151, v3
	scratch_store_b64 off, v[2:3], off offset:320
	v_cmpx_lt_u32_e32 39, v0
	s_cbranch_execz .LBB51_247
; %bb.246:
	scratch_load_b64 v[3:4], off, off offset:312
	v_mov_b32_e32 v2, v1
	scratch_store_b64 off, v[1:2], off offset:312
	s_wait_loadcnt 0x0
	ds_store_b64 v27, v[3:4]
.LBB51_247:
	s_wait_alu 0xfffe
	s_or_b32 exec_lo, exec_lo, s0
	s_wait_storecnt_dscnt 0x0
	s_barrier_signal -1
	s_barrier_wait -1
	global_inv scope:SCOPE_SE
	s_clause 0x6
	scratch_load_b128 v[2:5], off, off offset:320
	scratch_load_b128 v[6:9], off, off offset:336
	;; [unrolled: 1-line block ×6, first 2 shown]
	scratch_load_b64 v[156:157], off, off offset:312
	ds_load_b128 v[132:135], v1 offset:736
	ds_load_b128 v[136:139], v1 offset:752
	;; [unrolled: 1-line block ×6, first 2 shown]
	s_mov_b32 s0, exec_lo
	s_wait_loadcnt_dscnt 0x605
	v_dual_mul_f32 v1, v132, v3 :: v_dual_mul_f32 v26, v134, v5
	v_mul_f32_e32 v3, v133, v3
	s_wait_loadcnt_dscnt 0x504
	v_dual_mul_f32 v5, v135, v5 :: v_dual_mul_f32 v158, v136, v7
	s_delay_alu instid0(VALU_DEP_3) | instskip(NEXT) | instid1(VALU_DEP_3)
	v_dual_mul_f32 v159, v138, v9 :: v_dual_fmac_f32 v26, v135, v4
	v_fma_f32 v3, v132, v2, -v3
	v_fmac_f32_e32 v1, v133, v2
	v_mul_f32_e32 v2, v137, v7
	v_fma_f32 v4, v134, v4, -v5
	s_wait_loadcnt_dscnt 0x403
	v_dual_mul_f32 v160, v140, v11 :: v_dual_mul_f32 v161, v142, v13
	v_dual_add_f32 v3, 0, v3 :: v_dual_fmac_f32 v158, v137, v6
	s_wait_loadcnt_dscnt 0x302
	v_dual_mul_f32 v162, v144, v15 :: v_dual_mul_f32 v163, v146, v17
	s_delay_alu instid0(VALU_DEP_3) | instskip(SKIP_1) | instid1(VALU_DEP_3)
	v_dual_mul_f32 v5, v139, v9 :: v_dual_fmac_f32 v160, v141, v10
	v_fma_f32 v2, v136, v6, -v2
	v_dual_add_f32 v3, v3, v4 :: v_dual_fmac_f32 v162, v145, v14
	s_delay_alu instid0(VALU_DEP_3)
	v_fma_f32 v5, v138, v8, -v5
	v_mul_f32_e32 v4, v141, v11
	s_wait_loadcnt_dscnt 0x201
	v_dual_mul_f32 v164, v148, v19 :: v_dual_mul_f32 v165, v150, v21
	v_add_f32_e32 v2, v3, v2
	v_mul_f32_e32 v3, v143, v13
	v_fma_f32 v4, v140, v10, -v4
	s_delay_alu instid0(VALU_DEP_4)
	v_fmac_f32_e32 v164, v149, v18
	s_wait_loadcnt_dscnt 0x100
	v_dual_mul_f32 v166, v152, v23 :: v_dual_mul_f32 v167, v154, v25
	v_add_f32_e32 v2, v2, v5
	v_add_f32_e32 v1, 0, v1
	v_fma_f32 v3, v142, v12, -v3
	v_fmac_f32_e32 v163, v147, v16
	v_fmac_f32_e32 v165, v151, v20
	s_delay_alu instid0(VALU_DEP_4) | instskip(SKIP_2) | instid1(VALU_DEP_3)
	v_dual_add_f32 v2, v2, v4 :: v_dual_add_f32 v1, v1, v26
	v_mul_f32_e32 v4, v147, v17
	v_fmac_f32_e32 v159, v139, v8
	v_dual_fmac_f32 v167, v155, v24 :: v_dual_add_f32 v2, v2, v3
	s_delay_alu instid0(VALU_DEP_4) | instskip(NEXT) | instid1(VALU_DEP_4)
	v_add_f32_e32 v1, v1, v158
	v_fma_f32 v4, v146, v16, -v4
	v_mul_f32_e32 v5, v145, v15
	v_fmac_f32_e32 v166, v153, v22
	s_delay_alu instid0(VALU_DEP_4) | instskip(NEXT) | instid1(VALU_DEP_3)
	v_add_f32_e32 v1, v1, v159
	v_fma_f32 v5, v144, v14, -v5
	s_delay_alu instid0(VALU_DEP_1) | instskip(NEXT) | instid1(VALU_DEP_1)
	v_dual_fmac_f32 v161, v143, v12 :: v_dual_add_f32 v2, v2, v5
	v_dual_mul_f32 v5, v151, v21 :: v_dual_add_f32 v2, v2, v4
	s_delay_alu instid0(VALU_DEP_1) | instskip(SKIP_2) | instid1(VALU_DEP_2)
	v_fma_f32 v5, v150, v20, -v5
	v_mul_f32_e32 v3, v149, v19
	v_mul_f32_e32 v4, v153, v23
	v_fma_f32 v3, v148, v18, -v3
	v_add_f32_e32 v1, v1, v160
	s_delay_alu instid0(VALU_DEP_3) | instskip(NEXT) | instid1(VALU_DEP_3)
	v_fma_f32 v4, v152, v22, -v4
	v_dual_add_f32 v2, v2, v3 :: v_dual_mul_f32 v3, v155, v25
	s_delay_alu instid0(VALU_DEP_1) | instskip(NEXT) | instid1(VALU_DEP_4)
	v_add_f32_e32 v2, v2, v5
	v_add_f32_e32 v1, v1, v161
	s_delay_alu instid0(VALU_DEP_3) | instskip(NEXT) | instid1(VALU_DEP_2)
	v_fma_f32 v3, v154, v24, -v3
	v_dual_add_f32 v2, v2, v4 :: v_dual_add_f32 v1, v1, v162
	s_delay_alu instid0(VALU_DEP_1) | instskip(NEXT) | instid1(VALU_DEP_2)
	v_add_f32_e32 v2, v2, v3
	v_add_f32_e32 v1, v1, v163
	s_delay_alu instid0(VALU_DEP_1) | instskip(NEXT) | instid1(VALU_DEP_1)
	v_add_f32_e32 v1, v1, v164
	v_add_f32_e32 v1, v1, v165
	s_delay_alu instid0(VALU_DEP_1) | instskip(NEXT) | instid1(VALU_DEP_1)
	v_add_f32_e32 v1, v1, v166
	v_add_f32_e32 v3, v1, v167
	s_wait_loadcnt 0x0
	s_delay_alu instid0(VALU_DEP_1)
	v_dual_sub_f32 v1, v156, v2 :: v_dual_sub_f32 v2, v157, v3
	scratch_store_b64 off, v[1:2], off offset:312
	v_cmpx_lt_u32_e32 38, v0
	s_cbranch_execz .LBB51_249
; %bb.248:
	scratch_load_b64 v[1:2], off, off offset:304
	v_mov_b32_e32 v3, 0
	s_delay_alu instid0(VALU_DEP_1)
	v_mov_b32_e32 v4, v3
	scratch_store_b64 off, v[3:4], off offset:304
	s_wait_loadcnt 0x0
	ds_store_b64 v27, v[1:2]
.LBB51_249:
	s_wait_alu 0xfffe
	s_or_b32 exec_lo, exec_lo, s0
	s_wait_storecnt_dscnt 0x0
	s_barrier_signal -1
	s_barrier_wait -1
	global_inv scope:SCOPE_SE
	s_clause 0x7
	scratch_load_b128 v[2:5], off, off offset:312
	scratch_load_b128 v[6:9], off, off offset:328
	;; [unrolled: 1-line block ×6, first 2 shown]
	scratch_load_b64 v[156:157], off, off offset:408
	scratch_load_b64 v[158:159], off, off offset:304
	v_mov_b32_e32 v1, 0
	ds_load_2addr_b64 v[132:135], v1 offset0:91 offset1:92
	ds_load_2addr_b64 v[136:139], v1 offset0:93 offset1:94
	ds_load_2addr_b64 v[140:143], v1 offset0:95 offset1:96
	ds_load_2addr_b64 v[144:147], v1 offset0:97 offset1:98
	ds_load_2addr_b64 v[148:151], v1 offset0:99 offset1:100
	ds_load_2addr_b64 v[152:155], v1 offset0:101 offset1:102
	ds_load_b64 v[160:161], v1 offset:824
	s_mov_b32 s0, exec_lo
	s_wait_loadcnt_dscnt 0x706
	v_mul_f32_e32 v26, v132, v3
	v_dual_mul_f32 v3, v133, v3 :: v_dual_mul_f32 v162, v134, v5
	s_wait_loadcnt_dscnt 0x302
	v_dual_mul_f32 v163, v136, v7 :: v_dual_mul_f32 v170, v150, v21
	v_mul_f32_e32 v5, v135, v5
	s_delay_alu instid0(VALU_DEP_3)
	v_fma_f32 v3, v132, v2, -v3
	v_dual_mul_f32 v164, v138, v9 :: v_dual_mul_f32 v165, v140, v11
	s_wait_loadcnt_dscnt 0x100
	v_dual_mul_f32 v173, v160, v157 :: v_dual_fmac_f32 v26, v133, v2
	v_mul_f32_e32 v2, v137, v7
	v_dual_fmac_f32 v162, v135, v4 :: v_dual_add_f32 v3, 0, v3
	v_fma_f32 v4, v134, v4, -v5
	s_delay_alu instid0(VALU_DEP_4) | instskip(SKIP_2) | instid1(VALU_DEP_4)
	v_dual_add_f32 v5, 0, v26 :: v_dual_fmac_f32 v164, v139, v8
	v_mul_f32_e32 v7, v139, v9
	v_fma_f32 v2, v136, v6, -v2
	v_add_f32_e32 v3, v3, v4
	v_fmac_f32_e32 v163, v137, v6
	v_add_f32_e32 v4, v5, v162
	v_mul_f32_e32 v5, v141, v11
	v_fma_f32 v6, v138, v8, -v7
	v_add_f32_e32 v2, v3, v2
	v_dual_mul_f32 v166, v142, v13 :: v_dual_mul_f32 v167, v144, v15
	v_dual_add_f32 v3, v4, v163 :: v_dual_mul_f32 v4, v143, v13
	v_fma_f32 v5, v140, v10, -v5
	s_delay_alu instid0(VALU_DEP_4)
	v_add_f32_e32 v2, v2, v6
	v_fmac_f32_e32 v165, v141, v10
	v_mul_f32_e32 v6, v145, v15
	v_fmac_f32_e32 v166, v143, v12
	v_add_f32_e32 v3, v3, v164
	v_fma_f32 v4, v142, v12, -v4
	v_add_f32_e32 v2, v2, v5
	v_dual_mul_f32 v168, v146, v17 :: v_dual_mul_f32 v169, v148, v19
	s_delay_alu instid0(VALU_DEP_4)
	v_add_f32_e32 v3, v3, v165
	v_mul_f32_e32 v5, v147, v17
	v_fma_f32 v6, v144, v14, -v6
	v_dual_add_f32 v2, v2, v4 :: v_dual_fmac_f32 v167, v145, v14
	v_fmac_f32_e32 v168, v147, v16
	v_mul_f32_e32 v4, v149, v19
	v_fma_f32 v5, v146, v16, -v5
	s_delay_alu instid0(VALU_DEP_4) | instskip(SKIP_3) | instid1(VALU_DEP_3)
	v_add_f32_e32 v2, v2, v6
	v_add_f32_e32 v3, v3, v166
	v_dual_mul_f32 v6, v151, v21 :: v_dual_fmac_f32 v169, v149, v18
	v_fma_f32 v4, v148, v18, -v4
	v_dual_add_f32 v2, v2, v5 :: v_dual_add_f32 v3, v3, v167
	s_delay_alu instid0(VALU_DEP_3) | instskip(SKIP_1) | instid1(VALU_DEP_3)
	v_fma_f32 v6, v150, v20, -v6
	v_dual_mul_f32 v171, v152, v23 :: v_dual_mul_f32 v172, v154, v25
	v_add_f32_e32 v2, v2, v4
	s_delay_alu instid0(VALU_DEP_4) | instskip(SKIP_1) | instid1(VALU_DEP_4)
	v_add_f32_e32 v3, v3, v168
	v_dual_mul_f32 v5, v153, v23 :: v_dual_fmac_f32 v170, v151, v20
	v_dual_mul_f32 v4, v155, v25 :: v_dual_fmac_f32 v171, v153, v22
	s_delay_alu instid0(VALU_DEP_3) | instskip(NEXT) | instid1(VALU_DEP_3)
	v_dual_add_f32 v2, v2, v6 :: v_dual_add_f32 v3, v3, v169
	v_fma_f32 v5, v152, v22, -v5
	v_mul_f32_e32 v6, v161, v157
	v_fmac_f32_e32 v172, v155, v24
	v_fma_f32 v4, v154, v24, -v4
	s_delay_alu instid0(VALU_DEP_4) | instskip(NEXT) | instid1(VALU_DEP_4)
	v_dual_add_f32 v3, v3, v170 :: v_dual_add_f32 v2, v2, v5
	v_fma_f32 v5, v160, v156, -v6
	s_delay_alu instid0(VALU_DEP_2) | instskip(NEXT) | instid1(VALU_DEP_1)
	v_add_f32_e32 v3, v3, v171
	v_add_f32_e32 v3, v3, v172
	s_delay_alu instid0(VALU_DEP_4) | instskip(NEXT) | instid1(VALU_DEP_1)
	v_add_f32_e32 v2, v2, v4
	v_dual_fmac_f32 v173, v161, v156 :: v_dual_add_f32 v2, v2, v5
	s_wait_loadcnt 0x0
	s_delay_alu instid0(VALU_DEP_1) | instskip(NEXT) | instid1(VALU_DEP_1)
	v_dual_sub_f32 v2, v158, v2 :: v_dual_add_f32 v3, v3, v173
	v_sub_f32_e32 v3, v159, v3
	scratch_store_b64 off, v[2:3], off offset:304
	v_cmpx_lt_u32_e32 37, v0
	s_cbranch_execz .LBB51_251
; %bb.250:
	scratch_load_b64 v[3:4], off, off offset:296
	v_mov_b32_e32 v2, v1
	scratch_store_b64 off, v[1:2], off offset:296
	s_wait_loadcnt 0x0
	ds_store_b64 v27, v[3:4]
.LBB51_251:
	s_wait_alu 0xfffe
	s_or_b32 exec_lo, exec_lo, s0
	s_wait_storecnt_dscnt 0x0
	s_barrier_signal -1
	s_barrier_wait -1
	global_inv scope:SCOPE_SE
	s_clause 0x7
	scratch_load_b128 v[2:5], off, off offset:304
	scratch_load_b128 v[6:9], off, off offset:320
	;; [unrolled: 1-line block ×7, first 2 shown]
	scratch_load_b64 v[164:165], off, off offset:296
	ds_load_b128 v[136:139], v1 offset:720
	ds_load_b128 v[140:143], v1 offset:736
	;; [unrolled: 1-line block ×7, first 2 shown]
	s_mov_b32 s0, exec_lo
	s_wait_loadcnt_dscnt 0x706
	v_dual_mul_f32 v1, v136, v3 :: v_dual_mul_f32 v26, v138, v5
	v_mul_f32_e32 v3, v137, v3
	s_wait_loadcnt_dscnt 0x605
	v_dual_mul_f32 v5, v139, v5 :: v_dual_mul_f32 v166, v140, v7
	v_mul_f32_e32 v167, v142, v9
	s_wait_loadcnt_dscnt 0x100
	v_mul_f32_e32 v176, v160, v133
	v_fma_f32 v3, v136, v2, -v3
	v_dual_mul_f32 v177, v162, v135 :: v_dual_fmac_f32 v26, v139, v4
	v_fmac_f32_e32 v1, v137, v2
	v_mul_f32_e32 v2, v141, v7
	v_fma_f32 v4, v138, v4, -v5
	v_dual_add_f32 v3, 0, v3 :: v_dual_fmac_f32 v166, v141, v6
	v_dual_mul_f32 v168, v144, v11 :: v_dual_mul_f32 v169, v146, v13
	v_dual_mul_f32 v170, v148, v15 :: v_dual_mul_f32 v171, v150, v17
	s_delay_alu instid0(VALU_DEP_2) | instskip(SKIP_1) | instid1(VALU_DEP_3)
	v_dual_mul_f32 v5, v143, v9 :: v_dual_fmac_f32 v168, v145, v10
	v_fma_f32 v2, v140, v6, -v2
	v_dual_add_f32 v3, v3, v4 :: v_dual_fmac_f32 v170, v149, v14
	s_delay_alu instid0(VALU_DEP_3) | instskip(SKIP_2) | instid1(VALU_DEP_4)
	v_fma_f32 v5, v142, v8, -v5
	v_mul_f32_e32 v4, v145, v11
	v_dual_mul_f32 v172, v152, v19 :: v_dual_mul_f32 v173, v154, v21
	v_add_f32_e32 v2, v3, v2
	v_mul_f32_e32 v3, v147, v13
	s_delay_alu instid0(VALU_DEP_4) | instskip(NEXT) | instid1(VALU_DEP_4)
	v_fma_f32 v4, v144, v10, -v4
	v_fmac_f32_e32 v172, v153, v18
	v_dual_mul_f32 v174, v156, v23 :: v_dual_mul_f32 v175, v158, v25
	v_add_f32_e32 v2, v2, v5
	v_add_f32_e32 v1, 0, v1
	v_fma_f32 v3, v146, v12, -v3
	v_fmac_f32_e32 v171, v151, v16
	v_fmac_f32_e32 v175, v159, v24
	s_delay_alu instid0(VALU_DEP_4) | instskip(SKIP_2) | instid1(VALU_DEP_3)
	v_dual_add_f32 v2, v2, v4 :: v_dual_add_f32 v1, v1, v26
	v_mul_f32_e32 v4, v151, v17
	v_fmac_f32_e32 v167, v143, v8
	v_dual_fmac_f32 v177, v163, v134 :: v_dual_add_f32 v2, v2, v3
	s_delay_alu instid0(VALU_DEP_4) | instskip(NEXT) | instid1(VALU_DEP_4)
	v_add_f32_e32 v1, v1, v166
	v_fma_f32 v4, v150, v16, -v4
	v_mul_f32_e32 v5, v149, v15
	v_fmac_f32_e32 v174, v157, v22
	v_fmac_f32_e32 v176, v161, v132
	v_add_f32_e32 v1, v1, v167
	s_delay_alu instid0(VALU_DEP_4) | instskip(NEXT) | instid1(VALU_DEP_1)
	v_fma_f32 v5, v148, v14, -v5
	v_dual_fmac_f32 v169, v147, v12 :: v_dual_add_f32 v2, v2, v5
	s_delay_alu instid0(VALU_DEP_1) | instskip(NEXT) | instid1(VALU_DEP_1)
	v_dual_mul_f32 v5, v155, v21 :: v_dual_add_f32 v2, v2, v4
	v_fma_f32 v5, v154, v20, -v5
	v_mul_f32_e32 v3, v153, v19
	v_mul_f32_e32 v4, v157, v23
	s_delay_alu instid0(VALU_DEP_2) | instskip(SKIP_1) | instid1(VALU_DEP_3)
	v_fma_f32 v3, v152, v18, -v3
	v_add_f32_e32 v1, v1, v168
	v_fma_f32 v4, v156, v22, -v4
	s_delay_alu instid0(VALU_DEP_3) | instskip(NEXT) | instid1(VALU_DEP_1)
	v_dual_add_f32 v2, v2, v3 :: v_dual_mul_f32 v3, v159, v25
	v_add_f32_e32 v2, v2, v5
	s_delay_alu instid0(VALU_DEP_4) | instskip(SKIP_1) | instid1(VALU_DEP_4)
	v_add_f32_e32 v1, v1, v169
	v_mul_f32_e32 v5, v161, v133
	v_fma_f32 v3, v158, v24, -v3
	s_delay_alu instid0(VALU_DEP_3) | instskip(SKIP_3) | instid1(VALU_DEP_4)
	v_dual_add_f32 v2, v2, v4 :: v_dual_add_f32 v1, v1, v170
	v_mul_f32_e32 v4, v163, v135
	v_fmac_f32_e32 v173, v155, v20
	v_fma_f32 v5, v160, v132, -v5
	v_add_f32_e32 v2, v2, v3
	v_add_f32_e32 v1, v1, v171
	v_fma_f32 v3, v162, v134, -v4
	s_delay_alu instid0(VALU_DEP_2) | instskip(NEXT) | instid1(VALU_DEP_1)
	v_dual_add_f32 v2, v2, v5 :: v_dual_add_f32 v1, v1, v172
	v_dual_add_f32 v2, v2, v3 :: v_dual_add_f32 v1, v1, v173
	s_delay_alu instid0(VALU_DEP_1) | instskip(NEXT) | instid1(VALU_DEP_1)
	v_add_f32_e32 v1, v1, v174
	v_add_f32_e32 v1, v1, v175
	s_delay_alu instid0(VALU_DEP_1) | instskip(NEXT) | instid1(VALU_DEP_1)
	v_add_f32_e32 v1, v1, v176
	v_add_f32_e32 v3, v1, v177
	s_wait_loadcnt 0x0
	s_delay_alu instid0(VALU_DEP_1)
	v_dual_sub_f32 v1, v164, v2 :: v_dual_sub_f32 v2, v165, v3
	scratch_store_b64 off, v[1:2], off offset:296
	v_cmpx_lt_u32_e32 36, v0
	s_cbranch_execz .LBB51_253
; %bb.252:
	scratch_load_b64 v[1:2], off, off offset:288
	v_mov_b32_e32 v3, 0
	s_delay_alu instid0(VALU_DEP_1)
	v_mov_b32_e32 v4, v3
	scratch_store_b64 off, v[3:4], off offset:288
	s_wait_loadcnt 0x0
	ds_store_b64 v27, v[1:2]
.LBB51_253:
	s_wait_alu 0xfffe
	s_or_b32 exec_lo, exec_lo, s0
	s_wait_storecnt_dscnt 0x0
	s_barrier_signal -1
	s_barrier_wait -1
	global_inv scope:SCOPE_SE
	s_clause 0x8
	scratch_load_b128 v[2:5], off, off offset:296
	scratch_load_b128 v[6:9], off, off offset:312
	;; [unrolled: 1-line block ×7, first 2 shown]
	scratch_load_b64 v[164:165], off, off offset:408
	scratch_load_b64 v[166:167], off, off offset:288
	v_mov_b32_e32 v1, 0
	ds_load_2addr_b64 v[136:139], v1 offset0:89 offset1:90
	ds_load_2addr_b64 v[140:143], v1 offset0:91 offset1:92
	;; [unrolled: 1-line block ×7, first 2 shown]
	ds_load_b64 v[168:169], v1 offset:824
	s_mov_b32 s0, exec_lo
	s_wait_loadcnt_dscnt 0x807
	v_mul_f32_e32 v26, v136, v3
	v_dual_mul_f32 v3, v137, v3 :: v_dual_mul_f32 v170, v138, v5
	s_wait_loadcnt_dscnt 0x706
	v_mul_f32_e32 v171, v140, v7
	v_mul_f32_e32 v5, v139, v5
	s_wait_loadcnt_dscnt 0x302
	v_mul_f32_e32 v180, v158, v25
	v_fma_f32 v3, v136, v2, -v3
	v_dual_mul_f32 v172, v142, v9 :: v_dual_mul_f32 v173, v144, v11
	s_wait_loadcnt_dscnt 0x100
	v_dual_mul_f32 v183, v168, v165 :: v_dual_fmac_f32 v26, v137, v2
	v_mul_f32_e32 v2, v141, v7
	v_dual_fmac_f32 v170, v139, v4 :: v_dual_add_f32 v3, 0, v3
	v_fma_f32 v4, v138, v4, -v5
	s_delay_alu instid0(VALU_DEP_4) | instskip(SKIP_2) | instid1(VALU_DEP_4)
	v_dual_add_f32 v5, 0, v26 :: v_dual_fmac_f32 v172, v143, v8
	v_mul_f32_e32 v7, v143, v9
	v_fma_f32 v2, v140, v6, -v2
	v_add_f32_e32 v3, v3, v4
	v_fmac_f32_e32 v171, v141, v6
	v_add_f32_e32 v4, v5, v170
	v_mul_f32_e32 v5, v145, v11
	v_fma_f32 v6, v142, v8, -v7
	v_add_f32_e32 v2, v3, v2
	v_dual_mul_f32 v174, v146, v13 :: v_dual_mul_f32 v175, v148, v15
	v_dual_add_f32 v3, v4, v171 :: v_dual_mul_f32 v4, v147, v13
	v_fma_f32 v5, v144, v10, -v5
	s_delay_alu instid0(VALU_DEP_4)
	v_add_f32_e32 v2, v2, v6
	v_fmac_f32_e32 v173, v145, v10
	v_mul_f32_e32 v6, v149, v15
	v_fmac_f32_e32 v174, v147, v12
	v_add_f32_e32 v3, v3, v172
	v_fma_f32 v4, v146, v12, -v4
	v_add_f32_e32 v2, v2, v5
	v_dual_mul_f32 v176, v150, v17 :: v_dual_mul_f32 v177, v152, v19
	s_delay_alu instid0(VALU_DEP_4)
	v_add_f32_e32 v3, v3, v173
	v_mul_f32_e32 v5, v151, v17
	v_fma_f32 v6, v148, v14, -v6
	v_dual_add_f32 v2, v2, v4 :: v_dual_fmac_f32 v175, v149, v14
	v_fmac_f32_e32 v176, v151, v16
	v_mul_f32_e32 v4, v153, v19
	v_fma_f32 v5, v150, v16, -v5
	s_delay_alu instid0(VALU_DEP_4) | instskip(SKIP_3) | instid1(VALU_DEP_3)
	v_add_f32_e32 v2, v2, v6
	v_add_f32_e32 v3, v3, v174
	v_dual_mul_f32 v6, v155, v21 :: v_dual_fmac_f32 v177, v153, v18
	v_fma_f32 v4, v152, v18, -v4
	v_dual_add_f32 v2, v2, v5 :: v_dual_add_f32 v3, v3, v175
	v_dual_mul_f32 v178, v154, v21 :: v_dual_mul_f32 v179, v156, v23
	s_delay_alu instid0(VALU_DEP_4) | instskip(NEXT) | instid1(VALU_DEP_3)
	v_fma_f32 v6, v154, v20, -v6
	v_add_f32_e32 v2, v2, v4
	s_delay_alu instid0(VALU_DEP_4) | instskip(NEXT) | instid1(VALU_DEP_4)
	v_add_f32_e32 v3, v3, v176
	v_dual_mul_f32 v5, v157, v23 :: v_dual_fmac_f32 v178, v155, v20
	v_dual_mul_f32 v4, v159, v25 :: v_dual_fmac_f32 v179, v157, v22
	s_delay_alu instid0(VALU_DEP_3) | instskip(NEXT) | instid1(VALU_DEP_3)
	v_dual_add_f32 v2, v2, v6 :: v_dual_add_f32 v3, v3, v177
	v_fma_f32 v5, v156, v22, -v5
	v_dual_mul_f32 v181, v160, v133 :: v_dual_mul_f32 v182, v162, v135
	s_delay_alu instid0(VALU_DEP_3) | instskip(SKIP_2) | instid1(VALU_DEP_4)
	v_dual_mul_f32 v6, v161, v133 :: v_dual_add_f32 v3, v3, v178
	v_fmac_f32_e32 v180, v159, v24
	v_fma_f32 v4, v158, v24, -v4
	v_dual_add_f32 v2, v2, v5 :: v_dual_fmac_f32 v181, v161, v132
	v_fmac_f32_e32 v182, v163, v134
	v_add_f32_e32 v3, v3, v179
	s_delay_alu instid0(VALU_DEP_3) | instskip(SKIP_1) | instid1(VALU_DEP_3)
	v_dual_mul_f32 v5, v163, v135 :: v_dual_add_f32 v2, v2, v4
	v_fma_f32 v6, v160, v132, -v6
	v_dual_mul_f32 v4, v169, v165 :: v_dual_add_f32 v3, v3, v180
	s_delay_alu instid0(VALU_DEP_3) | instskip(NEXT) | instid1(VALU_DEP_3)
	v_fma_f32 v5, v162, v134, -v5
	v_add_f32_e32 v2, v2, v6
	s_delay_alu instid0(VALU_DEP_3) | instskip(NEXT) | instid1(VALU_DEP_4)
	v_fma_f32 v4, v168, v164, -v4
	v_add_f32_e32 v3, v3, v181
	s_delay_alu instid0(VALU_DEP_3) | instskip(NEXT) | instid1(VALU_DEP_1)
	v_dual_fmac_f32 v183, v169, v164 :: v_dual_add_f32 v2, v2, v5
	v_dual_add_f32 v3, v3, v182 :: v_dual_add_f32 v2, v2, v4
	s_wait_loadcnt 0x0
	s_delay_alu instid0(VALU_DEP_1) | instskip(NEXT) | instid1(VALU_DEP_1)
	v_dual_add_f32 v3, v3, v183 :: v_dual_sub_f32 v2, v166, v2
	v_sub_f32_e32 v3, v167, v3
	scratch_store_b64 off, v[2:3], off offset:288
	v_cmpx_lt_u32_e32 35, v0
	s_cbranch_execz .LBB51_255
; %bb.254:
	scratch_load_b64 v[3:4], off, off offset:280
	v_mov_b32_e32 v2, v1
	scratch_store_b64 off, v[1:2], off offset:280
	s_wait_loadcnt 0x0
	ds_store_b64 v27, v[3:4]
.LBB51_255:
	s_wait_alu 0xfffe
	s_or_b32 exec_lo, exec_lo, s0
	s_wait_storecnt_dscnt 0x0
	s_barrier_signal -1
	s_barrier_wait -1
	global_inv scope:SCOPE_SE
	s_clause 0x8
	scratch_load_b128 v[2:5], off, off offset:288
	scratch_load_b128 v[6:9], off, off offset:304
	;; [unrolled: 1-line block ×8, first 2 shown]
	scratch_load_b64 v[172:173], off, off offset:280
	ds_load_b128 v[140:143], v1 offset:704
	ds_load_b128 v[144:147], v1 offset:720
	;; [unrolled: 1-line block ×8, first 2 shown]
	s_mov_b32 s0, exec_lo
	s_wait_loadcnt_dscnt 0x807
	v_dual_mul_f32 v1, v140, v3 :: v_dual_mul_f32 v26, v142, v5
	v_mul_f32_e32 v3, v141, v3
	s_wait_loadcnt_dscnt 0x706
	v_dual_mul_f32 v5, v143, v5 :: v_dual_mul_f32 v174, v144, v7
	v_mul_f32_e32 v175, v146, v9
	s_wait_loadcnt_dscnt 0x201
	v_mul_f32_e32 v184, v164, v133
	v_fma_f32 v3, v140, v2, -v3
	s_wait_loadcnt_dscnt 0x100
	v_dual_mul_f32 v187, v170, v139 :: v_dual_fmac_f32 v26, v143, v4
	v_fmac_f32_e32 v1, v141, v2
	v_mul_f32_e32 v2, v145, v7
	v_fma_f32 v4, v142, v4, -v5
	v_dual_add_f32 v3, 0, v3 :: v_dual_fmac_f32 v174, v145, v6
	v_dual_mul_f32 v176, v148, v11 :: v_dual_mul_f32 v177, v150, v13
	v_dual_mul_f32 v178, v152, v15 :: v_dual_mul_f32 v179, v154, v17
	s_delay_alu instid0(VALU_DEP_2) | instskip(SKIP_1) | instid1(VALU_DEP_3)
	v_dual_mul_f32 v5, v147, v9 :: v_dual_fmac_f32 v176, v149, v10
	v_fma_f32 v2, v144, v6, -v2
	v_dual_add_f32 v3, v3, v4 :: v_dual_fmac_f32 v178, v153, v14
	s_delay_alu instid0(VALU_DEP_3) | instskip(SKIP_1) | instid1(VALU_DEP_3)
	v_fma_f32 v5, v146, v8, -v5
	v_dual_mul_f32 v180, v156, v19 :: v_dual_mul_f32 v181, v158, v21
	v_add_f32_e32 v2, v3, v2
	v_dual_mul_f32 v4, v149, v11 :: v_dual_mul_f32 v3, v151, v13
	s_delay_alu instid0(VALU_DEP_3) | instskip(SKIP_1) | instid1(VALU_DEP_4)
	v_fmac_f32_e32 v180, v157, v18
	v_dual_mul_f32 v182, v160, v23 :: v_dual_mul_f32 v183, v162, v25
	v_add_f32_e32 v2, v2, v5
	v_add_f32_e32 v1, 0, v1
	v_fma_f32 v4, v148, v10, -v4
	v_fma_f32 v3, v150, v12, -v3
	v_fmac_f32_e32 v179, v155, v16
	v_fmac_f32_e32 v183, v163, v24
	s_delay_alu instid0(VALU_DEP_4) | instskip(SKIP_3) | instid1(VALU_DEP_4)
	v_dual_add_f32 v1, v1, v26 :: v_dual_add_f32 v2, v2, v4
	v_mul_f32_e32 v4, v155, v17
	v_fmac_f32_e32 v175, v147, v8
	v_dual_mul_f32 v185, v166, v135 :: v_dual_mul_f32 v186, v168, v137
	v_add_f32_e32 v1, v1, v174
	s_delay_alu instid0(VALU_DEP_4) | instskip(SKIP_1) | instid1(VALU_DEP_4)
	v_fma_f32 v4, v154, v16, -v4
	v_mul_f32_e32 v5, v153, v15
	v_dual_add_f32 v2, v2, v3 :: v_dual_fmac_f32 v185, v167, v134
	v_fmac_f32_e32 v186, v169, v136
	v_add_f32_e32 v1, v1, v175
	s_delay_alu instid0(VALU_DEP_4) | instskip(SKIP_2) | instid1(VALU_DEP_3)
	v_fma_f32 v5, v152, v14, -v5
	v_dual_fmac_f32 v177, v151, v12 :: v_dual_fmac_f32 v182, v161, v22
	v_dual_fmac_f32 v187, v171, v138 :: v_dual_fmac_f32 v184, v165, v132
	v_add_f32_e32 v2, v2, v5
	s_delay_alu instid0(VALU_DEP_1) | instskip(NEXT) | instid1(VALU_DEP_1)
	v_dual_mul_f32 v5, v159, v21 :: v_dual_add_f32 v2, v2, v4
	v_fma_f32 v5, v158, v20, -v5
	v_mul_f32_e32 v3, v157, v19
	v_mul_f32_e32 v4, v161, v23
	s_delay_alu instid0(VALU_DEP_2) | instskip(SKIP_1) | instid1(VALU_DEP_3)
	v_fma_f32 v3, v156, v18, -v3
	v_add_f32_e32 v1, v1, v176
	v_fma_f32 v4, v160, v22, -v4
	s_delay_alu instid0(VALU_DEP_3) | instskip(NEXT) | instid1(VALU_DEP_1)
	v_dual_add_f32 v2, v2, v3 :: v_dual_mul_f32 v3, v163, v25
	v_add_f32_e32 v2, v2, v5
	s_delay_alu instid0(VALU_DEP_4) | instskip(NEXT) | instid1(VALU_DEP_3)
	v_add_f32_e32 v1, v1, v177
	v_fma_f32 v3, v162, v24, -v3
	s_delay_alu instid0(VALU_DEP_2) | instskip(SKIP_1) | instid1(VALU_DEP_2)
	v_dual_add_f32 v2, v2, v4 :: v_dual_add_f32 v1, v1, v178
	v_mul_f32_e32 v4, v167, v135
	v_dual_fmac_f32 v181, v159, v20 :: v_dual_add_f32 v2, v2, v3
	v_mul_f32_e32 v3, v169, v137
	s_delay_alu instid0(VALU_DEP_3) | instskip(SKIP_1) | instid1(VALU_DEP_3)
	v_fma_f32 v4, v166, v134, -v4
	v_mul_f32_e32 v5, v165, v133
	v_fma_f32 v3, v168, v136, -v3
	s_delay_alu instid0(VALU_DEP_2) | instskip(NEXT) | instid1(VALU_DEP_1)
	v_fma_f32 v5, v164, v132, -v5
	v_dual_add_f32 v1, v1, v179 :: v_dual_add_f32 v2, v2, v5
	s_delay_alu instid0(VALU_DEP_1) | instskip(NEXT) | instid1(VALU_DEP_2)
	v_dual_mul_f32 v5, v171, v139 :: v_dual_add_f32 v2, v2, v4
	v_add_f32_e32 v1, v1, v180
	s_delay_alu instid0(VALU_DEP_2) | instskip(NEXT) | instid1(VALU_DEP_2)
	v_fma_f32 v4, v170, v138, -v5
	v_dual_add_f32 v2, v2, v3 :: v_dual_add_f32 v1, v1, v181
	s_delay_alu instid0(VALU_DEP_1) | instskip(NEXT) | instid1(VALU_DEP_1)
	v_dual_add_f32 v2, v2, v4 :: v_dual_add_f32 v1, v1, v182
	v_add_f32_e32 v1, v1, v183
	s_delay_alu instid0(VALU_DEP_1) | instskip(NEXT) | instid1(VALU_DEP_1)
	v_add_f32_e32 v1, v1, v184
	v_add_f32_e32 v1, v1, v185
	s_delay_alu instid0(VALU_DEP_1) | instskip(NEXT) | instid1(VALU_DEP_1)
	v_add_f32_e32 v1, v1, v186
	v_add_f32_e32 v3, v1, v187
	s_wait_loadcnt 0x0
	s_delay_alu instid0(VALU_DEP_1)
	v_dual_sub_f32 v1, v172, v2 :: v_dual_sub_f32 v2, v173, v3
	scratch_store_b64 off, v[1:2], off offset:280
	v_cmpx_lt_u32_e32 34, v0
	s_cbranch_execz .LBB51_257
; %bb.256:
	scratch_load_b64 v[1:2], off, off offset:272
	v_mov_b32_e32 v3, 0
	s_delay_alu instid0(VALU_DEP_1)
	v_mov_b32_e32 v4, v3
	scratch_store_b64 off, v[3:4], off offset:272
	s_wait_loadcnt 0x0
	ds_store_b64 v27, v[1:2]
.LBB51_257:
	s_wait_alu 0xfffe
	s_or_b32 exec_lo, exec_lo, s0
	s_wait_storecnt_dscnt 0x0
	s_barrier_signal -1
	s_barrier_wait -1
	global_inv scope:SCOPE_SE
	s_clause 0x9
	scratch_load_b128 v[2:5], off, off offset:280
	scratch_load_b128 v[6:9], off, off offset:296
	;; [unrolled: 1-line block ×8, first 2 shown]
	scratch_load_b64 v[172:173], off, off offset:408
	scratch_load_b64 v[174:175], off, off offset:272
	v_mov_b32_e32 v1, 0
	ds_load_2addr_b64 v[140:143], v1 offset0:87 offset1:88
	ds_load_2addr_b64 v[144:147], v1 offset0:89 offset1:90
	;; [unrolled: 1-line block ×8, first 2 shown]
	ds_load_b64 v[176:177], v1 offset:824
	s_mov_b32 s0, exec_lo
	s_wait_loadcnt_dscnt 0x908
	v_mul_f32_e32 v26, v140, v3
	v_dual_mul_f32 v3, v141, v3 :: v_dual_mul_f32 v178, v142, v5
	s_wait_loadcnt_dscnt 0x807
	v_mul_f32_e32 v179, v144, v7
	v_mul_f32_e32 v5, v143, v5
	s_wait_loadcnt_dscnt 0x403
	v_mul_f32_e32 v188, v162, v25
	v_fma_f32 v3, v140, v2, -v3
	v_dual_mul_f32 v180, v146, v9 :: v_dual_mul_f32 v181, v148, v11
	s_wait_loadcnt_dscnt 0x100
	v_dual_mul_f32 v193, v176, v173 :: v_dual_fmac_f32 v26, v141, v2
	v_mul_f32_e32 v2, v145, v7
	v_dual_fmac_f32 v178, v143, v4 :: v_dual_add_f32 v3, 0, v3
	v_fma_f32 v4, v142, v4, -v5
	s_delay_alu instid0(VALU_DEP_4) | instskip(SKIP_2) | instid1(VALU_DEP_4)
	v_dual_add_f32 v5, 0, v26 :: v_dual_fmac_f32 v180, v147, v8
	v_mul_f32_e32 v7, v147, v9
	v_fma_f32 v2, v144, v6, -v2
	v_add_f32_e32 v3, v3, v4
	v_fmac_f32_e32 v179, v145, v6
	v_add_f32_e32 v4, v5, v178
	v_mul_f32_e32 v5, v149, v11
	v_fma_f32 v6, v146, v8, -v7
	v_add_f32_e32 v2, v3, v2
	v_dual_mul_f32 v182, v150, v13 :: v_dual_mul_f32 v183, v152, v15
	v_dual_add_f32 v3, v4, v179 :: v_dual_mul_f32 v4, v151, v13
	v_fma_f32 v5, v148, v10, -v5
	s_delay_alu instid0(VALU_DEP_4)
	v_add_f32_e32 v2, v2, v6
	v_fmac_f32_e32 v181, v149, v10
	v_mul_f32_e32 v6, v153, v15
	v_fmac_f32_e32 v182, v151, v12
	v_add_f32_e32 v3, v3, v180
	v_fma_f32 v4, v150, v12, -v4
	v_add_f32_e32 v2, v2, v5
	v_dual_mul_f32 v184, v154, v17 :: v_dual_mul_f32 v185, v156, v19
	s_delay_alu instid0(VALU_DEP_4)
	v_add_f32_e32 v3, v3, v181
	v_mul_f32_e32 v5, v155, v17
	v_fma_f32 v6, v152, v14, -v6
	v_dual_add_f32 v2, v2, v4 :: v_dual_fmac_f32 v183, v153, v14
	v_fmac_f32_e32 v184, v155, v16
	v_mul_f32_e32 v4, v157, v19
	v_fma_f32 v5, v154, v16, -v5
	s_delay_alu instid0(VALU_DEP_4) | instskip(SKIP_3) | instid1(VALU_DEP_3)
	v_add_f32_e32 v2, v2, v6
	v_add_f32_e32 v3, v3, v182
	v_dual_mul_f32 v6, v159, v21 :: v_dual_fmac_f32 v185, v157, v18
	v_fma_f32 v4, v156, v18, -v4
	v_dual_add_f32 v2, v2, v5 :: v_dual_add_f32 v3, v3, v183
	v_dual_mul_f32 v186, v158, v21 :: v_dual_mul_f32 v187, v160, v23
	v_mul_f32_e32 v5, v161, v23
	v_fma_f32 v6, v158, v20, -v6
	s_delay_alu instid0(VALU_DEP_4) | instskip(SKIP_4) | instid1(VALU_DEP_4)
	v_add_f32_e32 v2, v2, v4
	v_add_f32_e32 v3, v3, v184
	v_fmac_f32_e32 v186, v159, v20
	v_dual_mul_f32 v4, v163, v25 :: v_dual_fmac_f32 v187, v161, v22
	v_fma_f32 v5, v160, v22, -v5
	v_dual_add_f32 v2, v2, v6 :: v_dual_add_f32 v3, v3, v185
	v_mul_f32_e32 v6, v165, v133
	s_delay_alu instid0(VALU_DEP_4) | instskip(SKIP_1) | instid1(VALU_DEP_4)
	v_fma_f32 v4, v162, v24, -v4
	v_dual_mul_f32 v189, v164, v133 :: v_dual_mul_f32 v190, v166, v135
	v_dual_add_f32 v3, v3, v186 :: v_dual_add_f32 v2, v2, v5
	s_delay_alu instid0(VALU_DEP_4) | instskip(SKIP_1) | instid1(VALU_DEP_4)
	v_fma_f32 v6, v164, v132, -v6
	v_fmac_f32_e32 v188, v163, v24
	v_dual_fmac_f32 v189, v165, v132 :: v_dual_fmac_f32 v190, v167, v134
	s_delay_alu instid0(VALU_DEP_4) | instskip(SKIP_3) | instid1(VALU_DEP_3)
	v_add_f32_e32 v3, v3, v187
	v_dual_mul_f32 v5, v167, v135 :: v_dual_add_f32 v2, v2, v4
	v_dual_mul_f32 v191, v168, v137 :: v_dual_mul_f32 v192, v170, v139
	v_mul_f32_e32 v4, v169, v137
	v_fma_f32 v5, v166, v134, -v5
	s_delay_alu instid0(VALU_DEP_4) | instskip(NEXT) | instid1(VALU_DEP_4)
	v_add_f32_e32 v2, v2, v6
	v_dual_mul_f32 v6, v171, v139 :: v_dual_fmac_f32 v191, v169, v136
	s_delay_alu instid0(VALU_DEP_4) | instskip(SKIP_1) | instid1(VALU_DEP_4)
	v_fma_f32 v4, v168, v136, -v4
	v_dual_fmac_f32 v192, v171, v138 :: v_dual_fmac_f32 v193, v177, v172
	v_add_f32_e32 v2, v2, v5
	v_mul_f32_e32 v5, v177, v173
	v_add_f32_e32 v3, v3, v188
	v_fma_f32 v6, v170, v138, -v6
	s_delay_alu instid0(VALU_DEP_2) | instskip(NEXT) | instid1(VALU_DEP_1)
	v_add_f32_e32 v3, v3, v189
	v_dual_add_f32 v3, v3, v190 :: v_dual_add_f32 v2, v2, v4
	v_fma_f32 v4, v176, v172, -v5
	s_delay_alu instid0(VALU_DEP_2) | instskip(NEXT) | instid1(VALU_DEP_1)
	v_dual_add_f32 v3, v3, v191 :: v_dual_add_f32 v2, v2, v6
	v_add_f32_e32 v3, v3, v192
	s_delay_alu instid0(VALU_DEP_1) | instskip(SKIP_1) | instid1(VALU_DEP_1)
	v_dual_add_f32 v2, v2, v4 :: v_dual_add_f32 v3, v3, v193
	s_wait_loadcnt 0x0
	v_dual_sub_f32 v2, v174, v2 :: v_dual_sub_f32 v3, v175, v3
	scratch_store_b64 off, v[2:3], off offset:272
	v_cmpx_lt_u32_e32 33, v0
	s_cbranch_execz .LBB51_259
; %bb.258:
	scratch_load_b64 v[3:4], off, off offset:264
	v_mov_b32_e32 v2, v1
	scratch_store_b64 off, v[1:2], off offset:264
	s_wait_loadcnt 0x0
	ds_store_b64 v27, v[3:4]
.LBB51_259:
	s_wait_alu 0xfffe
	s_or_b32 exec_lo, exec_lo, s0
	s_wait_storecnt_dscnt 0x0
	s_barrier_signal -1
	s_barrier_wait -1
	global_inv scope:SCOPE_SE
	s_clause 0x9
	scratch_load_b128 v[2:5], off, off offset:272
	scratch_load_b128 v[6:9], off, off offset:288
	;; [unrolled: 1-line block ×9, first 2 shown]
	scratch_load_b64 v[180:181], off, off offset:264
	ds_load_b128 v[144:147], v1 offset:688
	ds_load_b128 v[148:151], v1 offset:704
	;; [unrolled: 1-line block ×9, first 2 shown]
	s_mov_b32 s0, exec_lo
	s_wait_loadcnt_dscnt 0x908
	v_dual_mul_f32 v1, v144, v3 :: v_dual_mul_f32 v26, v146, v5
	v_mul_f32_e32 v5, v147, v5
	v_mul_f32_e32 v3, v145, v3
	s_wait_loadcnt_dscnt 0x807
	v_dual_mul_f32 v182, v148, v7 :: v_dual_mul_f32 v183, v150, v9
	s_wait_loadcnt_dscnt 0x201
	v_dual_fmac_f32 v1, v145, v2 :: v_dual_mul_f32 v194, v172, v137
	v_fma_f32 v3, v144, v2, -v3
	s_wait_loadcnt_dscnt 0x100
	v_dual_mul_f32 v197, v178, v143 :: v_dual_fmac_f32 v26, v147, v4
	v_mul_f32_e32 v2, v149, v7
	v_fma_f32 v4, v146, v4, -v5
	v_dual_add_f32 v3, 0, v3 :: v_dual_fmac_f32 v182, v149, v6
	v_dual_mul_f32 v184, v152, v11 :: v_dual_mul_f32 v185, v154, v13
	v_dual_mul_f32 v186, v156, v15 :: v_dual_mul_f32 v187, v158, v17
	s_delay_alu instid0(VALU_DEP_2) | instskip(SKIP_1) | instid1(VALU_DEP_3)
	v_dual_mul_f32 v5, v151, v9 :: v_dual_fmac_f32 v184, v153, v10
	v_fma_f32 v2, v148, v6, -v2
	v_dual_add_f32 v3, v3, v4 :: v_dual_fmac_f32 v186, v157, v14
	s_delay_alu instid0(VALU_DEP_3) | instskip(SKIP_1) | instid1(VALU_DEP_3)
	v_fma_f32 v5, v150, v8, -v5
	v_dual_mul_f32 v188, v160, v19 :: v_dual_mul_f32 v189, v162, v21
	v_add_f32_e32 v2, v3, v2
	v_dual_mul_f32 v4, v153, v11 :: v_dual_mul_f32 v3, v155, v13
	s_delay_alu instid0(VALU_DEP_3) | instskip(SKIP_1) | instid1(VALU_DEP_4)
	v_fmac_f32_e32 v188, v161, v18
	v_dual_mul_f32 v190, v164, v23 :: v_dual_mul_f32 v191, v166, v25
	v_add_f32_e32 v2, v2, v5
	v_add_f32_e32 v1, 0, v1
	v_fma_f32 v4, v152, v10, -v4
	v_fma_f32 v3, v154, v12, -v3
	v_dual_fmac_f32 v187, v159, v16 :: v_dual_mul_f32 v192, v168, v133
	v_mul_f32_e32 v193, v170, v135
	s_delay_alu instid0(VALU_DEP_4) | instskip(SKIP_3) | instid1(VALU_DEP_4)
	v_dual_add_f32 v1, v1, v26 :: v_dual_add_f32 v2, v2, v4
	v_mul_f32_e32 v4, v159, v17
	v_fmac_f32_e32 v183, v151, v8
	v_dual_mul_f32 v195, v174, v139 :: v_dual_mul_f32 v196, v176, v141
	v_add_f32_e32 v1, v1, v182
	s_delay_alu instid0(VALU_DEP_4) | instskip(SKIP_2) | instid1(VALU_DEP_4)
	v_fma_f32 v4, v158, v16, -v4
	v_mul_f32_e32 v5, v157, v15
	v_dual_add_f32 v2, v2, v3 :: v_dual_fmac_f32 v191, v167, v24
	v_add_f32_e32 v1, v1, v183
	v_dual_fmac_f32 v193, v171, v134 :: v_dual_fmac_f32 v194, v173, v136
	s_delay_alu instid0(VALU_DEP_4) | instskip(SKIP_2) | instid1(VALU_DEP_3)
	v_fma_f32 v5, v156, v14, -v5
	v_dual_fmac_f32 v185, v155, v12 :: v_dual_fmac_f32 v190, v165, v22
	v_dual_fmac_f32 v197, v179, v142 :: v_dual_fmac_f32 v192, v169, v132
	v_add_f32_e32 v2, v2, v5
	v_dual_mul_f32 v5, v163, v21 :: v_dual_fmac_f32 v196, v177, v140
	s_delay_alu instid0(VALU_DEP_2) | instskip(NEXT) | instid1(VALU_DEP_2)
	v_add_f32_e32 v2, v2, v4
	v_fma_f32 v5, v162, v20, -v5
	v_mul_f32_e32 v3, v161, v19
	v_mul_f32_e32 v4, v165, v23
	s_delay_alu instid0(VALU_DEP_2) | instskip(SKIP_1) | instid1(VALU_DEP_3)
	v_fma_f32 v3, v160, v18, -v3
	v_add_f32_e32 v1, v1, v184
	v_fma_f32 v4, v164, v22, -v4
	s_delay_alu instid0(VALU_DEP_3) | instskip(NEXT) | instid1(VALU_DEP_1)
	v_dual_add_f32 v2, v2, v3 :: v_dual_mul_f32 v3, v167, v25
	v_add_f32_e32 v2, v2, v5
	s_delay_alu instid0(VALU_DEP_4) | instskip(NEXT) | instid1(VALU_DEP_3)
	v_add_f32_e32 v1, v1, v185
	v_fma_f32 v3, v166, v24, -v3
	s_delay_alu instid0(VALU_DEP_2) | instskip(SKIP_1) | instid1(VALU_DEP_2)
	v_dual_add_f32 v2, v2, v4 :: v_dual_add_f32 v1, v1, v186
	v_mul_f32_e32 v4, v171, v135
	v_dual_fmac_f32 v189, v163, v20 :: v_dual_add_f32 v2, v2, v3
	v_mul_f32_e32 v3, v173, v137
	s_delay_alu instid0(VALU_DEP_3) | instskip(SKIP_1) | instid1(VALU_DEP_3)
	v_fma_f32 v4, v170, v134, -v4
	v_mul_f32_e32 v5, v169, v133
	v_fma_f32 v3, v172, v136, -v3
	s_delay_alu instid0(VALU_DEP_2) | instskip(NEXT) | instid1(VALU_DEP_1)
	v_fma_f32 v5, v168, v132, -v5
	v_dual_add_f32 v1, v1, v187 :: v_dual_add_f32 v2, v2, v5
	s_delay_alu instid0(VALU_DEP_1) | instskip(NEXT) | instid1(VALU_DEP_2)
	v_dual_mul_f32 v5, v175, v139 :: v_dual_add_f32 v2, v2, v4
	v_add_f32_e32 v1, v1, v188
	v_mul_f32_e32 v4, v177, v141
	s_delay_alu instid0(VALU_DEP_3) | instskip(NEXT) | instid1(VALU_DEP_4)
	v_fma_f32 v5, v174, v138, -v5
	v_dual_add_f32 v2, v2, v3 :: v_dual_fmac_f32 v195, v175, v138
	v_mul_f32_e32 v3, v179, v143
	s_delay_alu instid0(VALU_DEP_4) | instskip(NEXT) | instid1(VALU_DEP_3)
	v_fma_f32 v4, v176, v140, -v4
	v_add_f32_e32 v2, v2, v5
	v_add_f32_e32 v1, v1, v189
	s_delay_alu instid0(VALU_DEP_4) | instskip(NEXT) | instid1(VALU_DEP_2)
	v_fma_f32 v3, v178, v142, -v3
	v_dual_add_f32 v2, v2, v4 :: v_dual_add_f32 v1, v1, v190
	s_delay_alu instid0(VALU_DEP_1) | instskip(NEXT) | instid1(VALU_DEP_2)
	v_add_f32_e32 v2, v2, v3
	v_add_f32_e32 v1, v1, v191
	s_delay_alu instid0(VALU_DEP_1) | instskip(NEXT) | instid1(VALU_DEP_1)
	v_add_f32_e32 v1, v1, v192
	v_add_f32_e32 v1, v1, v193
	s_delay_alu instid0(VALU_DEP_1) | instskip(NEXT) | instid1(VALU_DEP_1)
	;; [unrolled: 3-line block ×3, first 2 shown]
	v_add_f32_e32 v1, v1, v196
	v_add_f32_e32 v3, v1, v197
	s_wait_loadcnt 0x0
	s_delay_alu instid0(VALU_DEP_1)
	v_dual_sub_f32 v1, v180, v2 :: v_dual_sub_f32 v2, v181, v3
	scratch_store_b64 off, v[1:2], off offset:264
	v_cmpx_lt_u32_e32 32, v0
	s_cbranch_execz .LBB51_261
; %bb.260:
	scratch_load_b64 v[1:2], off, off offset:256
	v_mov_b32_e32 v3, 0
	s_delay_alu instid0(VALU_DEP_1)
	v_mov_b32_e32 v4, v3
	scratch_store_b64 off, v[3:4], off offset:256
	s_wait_loadcnt 0x0
	ds_store_b64 v27, v[1:2]
.LBB51_261:
	s_wait_alu 0xfffe
	s_or_b32 exec_lo, exec_lo, s0
	s_wait_storecnt_dscnt 0x0
	s_barrier_signal -1
	s_barrier_wait -1
	global_inv scope:SCOPE_SE
	s_clause 0xa
	scratch_load_b128 v[2:5], off, off offset:264
	scratch_load_b128 v[6:9], off, off offset:280
	;; [unrolled: 1-line block ×9, first 2 shown]
	scratch_load_b64 v[180:181], off, off offset:408
	scratch_load_b64 v[182:183], off, off offset:256
	v_mov_b32_e32 v1, 0
	ds_load_2addr_b64 v[144:147], v1 offset0:85 offset1:86
	ds_load_2addr_b64 v[148:151], v1 offset0:87 offset1:88
	;; [unrolled: 1-line block ×9, first 2 shown]
	ds_load_b64 v[184:185], v1 offset:824
	s_mov_b32 s0, exec_lo
	s_wait_loadcnt_dscnt 0xa09
	v_mul_f32_e32 v26, v144, v3
	v_dual_mul_f32 v3, v145, v3 :: v_dual_mul_f32 v186, v146, v5
	s_wait_loadcnt_dscnt 0x908
	v_mul_f32_e32 v187, v148, v7
	v_mul_f32_e32 v5, v147, v5
	s_wait_loadcnt_dscnt 0x504
	v_mul_f32_e32 v196, v166, v25
	v_fma_f32 v3, v144, v2, -v3
	v_dual_mul_f32 v188, v150, v9 :: v_dual_mul_f32 v189, v152, v11
	s_wait_loadcnt_dscnt 0x100
	v_dual_mul_f32 v203, v184, v181 :: v_dual_fmac_f32 v26, v145, v2
	v_mul_f32_e32 v2, v149, v7
	v_dual_fmac_f32 v186, v147, v4 :: v_dual_add_f32 v3, 0, v3
	v_fma_f32 v4, v146, v4, -v5
	s_delay_alu instid0(VALU_DEP_4) | instskip(SKIP_2) | instid1(VALU_DEP_4)
	v_dual_add_f32 v5, 0, v26 :: v_dual_fmac_f32 v188, v151, v8
	v_mul_f32_e32 v7, v151, v9
	v_fma_f32 v2, v148, v6, -v2
	v_add_f32_e32 v3, v3, v4
	v_fmac_f32_e32 v187, v149, v6
	v_add_f32_e32 v4, v5, v186
	v_mul_f32_e32 v5, v153, v11
	v_fma_f32 v6, v150, v8, -v7
	v_add_f32_e32 v2, v3, v2
	v_dual_mul_f32 v190, v154, v13 :: v_dual_mul_f32 v191, v156, v15
	v_dual_add_f32 v3, v4, v187 :: v_dual_mul_f32 v4, v155, v13
	v_fma_f32 v5, v152, v10, -v5
	s_delay_alu instid0(VALU_DEP_4)
	v_add_f32_e32 v2, v2, v6
	v_fmac_f32_e32 v189, v153, v10
	v_mul_f32_e32 v6, v157, v15
	v_fmac_f32_e32 v190, v155, v12
	v_add_f32_e32 v3, v3, v188
	v_fma_f32 v4, v154, v12, -v4
	v_add_f32_e32 v2, v2, v5
	v_dual_mul_f32 v192, v158, v17 :: v_dual_mul_f32 v193, v160, v19
	s_delay_alu instid0(VALU_DEP_4)
	v_add_f32_e32 v3, v3, v189
	v_mul_f32_e32 v5, v159, v17
	v_fma_f32 v6, v156, v14, -v6
	v_dual_add_f32 v2, v2, v4 :: v_dual_fmac_f32 v191, v157, v14
	v_fmac_f32_e32 v192, v159, v16
	v_mul_f32_e32 v4, v161, v19
	v_fma_f32 v5, v158, v16, -v5
	s_delay_alu instid0(VALU_DEP_4) | instskip(SKIP_3) | instid1(VALU_DEP_3)
	v_add_f32_e32 v2, v2, v6
	v_add_f32_e32 v3, v3, v190
	v_dual_mul_f32 v6, v163, v21 :: v_dual_fmac_f32 v193, v161, v18
	v_fma_f32 v4, v160, v18, -v4
	v_dual_add_f32 v2, v2, v5 :: v_dual_add_f32 v3, v3, v191
	v_dual_mul_f32 v194, v162, v21 :: v_dual_mul_f32 v195, v164, v23
	v_mul_f32_e32 v5, v165, v23
	v_fma_f32 v6, v162, v20, -v6
	s_delay_alu instid0(VALU_DEP_4) | instskip(SKIP_4) | instid1(VALU_DEP_4)
	v_add_f32_e32 v2, v2, v4
	v_add_f32_e32 v3, v3, v192
	v_fmac_f32_e32 v194, v163, v20
	v_dual_mul_f32 v4, v167, v25 :: v_dual_fmac_f32 v195, v165, v22
	v_fma_f32 v5, v164, v22, -v5
	v_dual_add_f32 v2, v2, v6 :: v_dual_add_f32 v3, v3, v193
	v_mul_f32_e32 v6, v169, v133
	s_delay_alu instid0(VALU_DEP_4) | instskip(SKIP_1) | instid1(VALU_DEP_4)
	v_fma_f32 v4, v166, v24, -v4
	v_dual_mul_f32 v197, v168, v133 :: v_dual_mul_f32 v198, v170, v135
	v_dual_add_f32 v3, v3, v194 :: v_dual_add_f32 v2, v2, v5
	s_delay_alu instid0(VALU_DEP_4) | instskip(SKIP_1) | instid1(VALU_DEP_4)
	v_fma_f32 v6, v168, v132, -v6
	v_fmac_f32_e32 v196, v167, v24
	v_dual_fmac_f32 v197, v169, v132 :: v_dual_fmac_f32 v198, v171, v134
	s_delay_alu instid0(VALU_DEP_4) | instskip(SKIP_3) | instid1(VALU_DEP_3)
	v_add_f32_e32 v3, v3, v195
	v_dual_mul_f32 v5, v171, v135 :: v_dual_add_f32 v2, v2, v4
	v_dual_mul_f32 v199, v172, v137 :: v_dual_mul_f32 v200, v174, v139
	v_mul_f32_e32 v4, v173, v137
	v_fma_f32 v5, v170, v134, -v5
	s_delay_alu instid0(VALU_DEP_4) | instskip(NEXT) | instid1(VALU_DEP_4)
	v_add_f32_e32 v2, v2, v6
	v_dual_mul_f32 v6, v175, v139 :: v_dual_fmac_f32 v199, v173, v136
	s_delay_alu instid0(VALU_DEP_4) | instskip(SKIP_1) | instid1(VALU_DEP_4)
	v_fma_f32 v4, v172, v136, -v4
	v_dual_mul_f32 v201, v176, v141 :: v_dual_mul_f32 v202, v178, v143
	v_add_f32_e32 v2, v2, v5
	v_mul_f32_e32 v5, v177, v141
	v_add_f32_e32 v3, v3, v196
	s_delay_alu instid0(VALU_DEP_4) | instskip(SKIP_1) | instid1(VALU_DEP_4)
	v_dual_fmac_f32 v200, v175, v138 :: v_dual_fmac_f32 v201, v177, v140
	v_fma_f32 v6, v174, v138, -v6
	v_fma_f32 v5, v176, v140, -v5
	s_delay_alu instid0(VALU_DEP_4) | instskip(SKIP_1) | instid1(VALU_DEP_2)
	v_add_f32_e32 v3, v3, v197
	v_dual_fmac_f32 v202, v179, v142 :: v_dual_fmac_f32 v203, v185, v180
	v_dual_add_f32 v3, v3, v198 :: v_dual_add_f32 v2, v2, v4
	v_mul_f32_e32 v4, v179, v143
	s_delay_alu instid0(VALU_DEP_2) | instskip(NEXT) | instid1(VALU_DEP_2)
	v_dual_add_f32 v3, v3, v199 :: v_dual_add_f32 v2, v2, v6
	v_fma_f32 v4, v178, v142, -v4
	s_delay_alu instid0(VALU_DEP_2) | instskip(NEXT) | instid1(VALU_DEP_1)
	v_add_f32_e32 v3, v3, v200
	v_add_f32_e32 v3, v3, v201
	s_delay_alu instid0(VALU_DEP_1) | instskip(SKIP_1) | instid1(VALU_DEP_2)
	v_dual_mul_f32 v6, v185, v181 :: v_dual_add_f32 v3, v3, v202
	v_add_f32_e32 v2, v2, v5
	v_fma_f32 v5, v184, v180, -v6
	s_delay_alu instid0(VALU_DEP_2) | instskip(SKIP_1) | instid1(VALU_DEP_1)
	v_dual_add_f32 v3, v3, v203 :: v_dual_add_f32 v2, v2, v4
	s_wait_loadcnt 0x0
	v_dual_sub_f32 v3, v183, v3 :: v_dual_add_f32 v2, v2, v5
	s_delay_alu instid0(VALU_DEP_1)
	v_sub_f32_e32 v2, v182, v2
	scratch_store_b64 off, v[2:3], off offset:256
	v_cmpx_lt_u32_e32 31, v0
	s_cbranch_execz .LBB51_263
; %bb.262:
	scratch_load_b64 v[3:4], off, off offset:248
	v_mov_b32_e32 v2, v1
	scratch_store_b64 off, v[1:2], off offset:248
	s_wait_loadcnt 0x0
	ds_store_b64 v27, v[3:4]
.LBB51_263:
	s_wait_alu 0xfffe
	s_or_b32 exec_lo, exec_lo, s0
	s_wait_storecnt_dscnt 0x0
	s_barrier_signal -1
	s_barrier_wait -1
	global_inv scope:SCOPE_SE
	s_clause 0xa
	scratch_load_b128 v[2:5], off, off offset:256
	scratch_load_b128 v[6:9], off, off offset:272
	;; [unrolled: 1-line block ×10, first 2 shown]
	scratch_load_b64 v[188:189], off, off offset:248
	ds_load_b128 v[148:151], v1 offset:672
	ds_load_b128 v[152:155], v1 offset:688
	;; [unrolled: 1-line block ×10, first 2 shown]
	s_mov_b32 s0, exec_lo
	s_wait_loadcnt_dscnt 0xa09
	v_dual_mul_f32 v1, v148, v3 :: v_dual_mul_f32 v26, v150, v5
	s_wait_loadcnt_dscnt 0x908
	v_dual_mul_f32 v5, v151, v5 :: v_dual_mul_f32 v190, v152, v7
	v_mul_f32_e32 v191, v154, v9
	v_mul_f32_e32 v3, v149, v3
	v_dual_fmac_f32 v1, v149, v2 :: v_dual_fmac_f32 v26, v151, v4
	s_wait_loadcnt_dscnt 0x100
	v_dual_mul_f32 v204, v180, v141 :: v_dual_mul_f32 v207, v186, v147
	s_delay_alu instid0(VALU_DEP_3) | instskip(SKIP_3) | instid1(VALU_DEP_4)
	v_fma_f32 v3, v148, v2, -v3
	v_mul_f32_e32 v2, v153, v7
	v_fma_f32 v4, v150, v4, -v5
	v_dual_mul_f32 v192, v156, v11 :: v_dual_mul_f32 v193, v158, v13
	v_dual_add_f32 v3, 0, v3 :: v_dual_fmac_f32 v190, v153, v6
	v_dual_mul_f32 v194, v160, v15 :: v_dual_mul_f32 v195, v162, v17
	s_delay_alu instid0(VALU_DEP_3) | instskip(SKIP_1) | instid1(VALU_DEP_3)
	v_dual_mul_f32 v5, v155, v9 :: v_dual_fmac_f32 v192, v157, v10
	v_fma_f32 v2, v152, v6, -v2
	v_dual_add_f32 v3, v3, v4 :: v_dual_fmac_f32 v194, v161, v14
	s_delay_alu instid0(VALU_DEP_3) | instskip(SKIP_1) | instid1(VALU_DEP_3)
	v_fma_f32 v5, v154, v8, -v5
	v_dual_mul_f32 v196, v164, v19 :: v_dual_mul_f32 v197, v166, v21
	v_add_f32_e32 v2, v3, v2
	v_dual_mul_f32 v3, v159, v13 :: v_dual_mul_f32 v4, v157, v11
	s_delay_alu instid0(VALU_DEP_3) | instskip(SKIP_1) | instid1(VALU_DEP_4)
	v_fmac_f32_e32 v196, v165, v18
	v_dual_mul_f32 v198, v168, v23 :: v_dual_mul_f32 v199, v170, v25
	v_add_f32_e32 v2, v2, v5
	v_add_f32_e32 v1, 0, v1
	v_fma_f32 v4, v156, v10, -v4
	v_fma_f32 v3, v158, v12, -v3
	v_dual_fmac_f32 v195, v163, v16 :: v_dual_mul_f32 v200, v172, v133
	v_mul_f32_e32 v201, v174, v135
	s_delay_alu instid0(VALU_DEP_4) | instskip(SKIP_3) | instid1(VALU_DEP_4)
	v_dual_add_f32 v1, v1, v26 :: v_dual_add_f32 v2, v2, v4
	v_mul_f32_e32 v4, v163, v17
	v_dual_fmac_f32 v191, v155, v8 :: v_dual_mul_f32 v202, v176, v137
	v_mul_f32_e32 v203, v178, v139
	v_add_f32_e32 v1, v1, v190
	s_delay_alu instid0(VALU_DEP_4) | instskip(SKIP_2) | instid1(VALU_DEP_4)
	v_fma_f32 v4, v162, v16, -v4
	v_mul_f32_e32 v5, v161, v15
	v_dual_add_f32 v2, v2, v3 :: v_dual_fmac_f32 v199, v171, v24
	v_add_f32_e32 v1, v1, v191
	v_dual_mul_f32 v205, v182, v143 :: v_dual_mul_f32 v206, v184, v145
	s_delay_alu instid0(VALU_DEP_4) | instskip(SKIP_2) | instid1(VALU_DEP_3)
	v_fma_f32 v5, v160, v14, -v5
	v_dual_fmac_f32 v193, v159, v12 :: v_dual_fmac_f32 v198, v169, v22
	v_dual_fmac_f32 v201, v175, v134 :: v_dual_fmac_f32 v202, v177, v136
	v_add_f32_e32 v2, v2, v5
	v_mul_f32_e32 v5, v167, v21
	v_fmac_f32_e32 v205, v183, v142
	v_dual_fmac_f32 v207, v187, v146 :: v_dual_fmac_f32 v200, v173, v132
	s_delay_alu instid0(VALU_DEP_4) | instskip(NEXT) | instid1(VALU_DEP_4)
	v_add_f32_e32 v2, v2, v4
	v_fma_f32 v5, v166, v20, -v5
	v_mul_f32_e32 v3, v165, v19
	v_mul_f32_e32 v4, v169, v23
	v_fmac_f32_e32 v204, v181, v140
	v_fmac_f32_e32 v206, v185, v144
	s_delay_alu instid0(VALU_DEP_4) | instskip(SKIP_2) | instid1(VALU_DEP_3)
	v_fma_f32 v3, v164, v18, -v3
	v_add_f32_e32 v1, v1, v192
	v_fma_f32 v4, v168, v22, -v4
	v_dual_add_f32 v2, v2, v3 :: v_dual_mul_f32 v3, v171, v25
	s_delay_alu instid0(VALU_DEP_1) | instskip(NEXT) | instid1(VALU_DEP_4)
	v_add_f32_e32 v2, v2, v5
	v_add_f32_e32 v1, v1, v193
	s_delay_alu instid0(VALU_DEP_3) | instskip(NEXT) | instid1(VALU_DEP_2)
	v_fma_f32 v3, v170, v24, -v3
	v_dual_add_f32 v2, v2, v4 :: v_dual_add_f32 v1, v1, v194
	v_mul_f32_e32 v4, v175, v135
	s_delay_alu instid0(VALU_DEP_2) | instskip(SKIP_1) | instid1(VALU_DEP_3)
	v_dual_fmac_f32 v197, v167, v20 :: v_dual_add_f32 v2, v2, v3
	v_mul_f32_e32 v3, v177, v137
	v_fma_f32 v4, v174, v134, -v4
	v_mul_f32_e32 v5, v173, v133
	s_delay_alu instid0(VALU_DEP_3) | instskip(NEXT) | instid1(VALU_DEP_2)
	v_fma_f32 v3, v176, v136, -v3
	v_fma_f32 v5, v172, v132, -v5
	s_delay_alu instid0(VALU_DEP_1) | instskip(NEXT) | instid1(VALU_DEP_1)
	v_dual_add_f32 v1, v1, v195 :: v_dual_add_f32 v2, v2, v5
	v_dual_mul_f32 v5, v179, v139 :: v_dual_add_f32 v2, v2, v4
	s_delay_alu instid0(VALU_DEP_2) | instskip(SKIP_1) | instid1(VALU_DEP_3)
	v_add_f32_e32 v1, v1, v196
	v_mul_f32_e32 v4, v181, v141
	v_fma_f32 v5, v178, v138, -v5
	s_delay_alu instid0(VALU_DEP_4) | instskip(SKIP_1) | instid1(VALU_DEP_4)
	v_dual_add_f32 v2, v2, v3 :: v_dual_fmac_f32 v203, v179, v138
	v_mul_f32_e32 v3, v183, v143
	v_fma_f32 v4, v180, v140, -v4
	s_delay_alu instid0(VALU_DEP_3) | instskip(SKIP_1) | instid1(VALU_DEP_4)
	v_add_f32_e32 v2, v2, v5
	v_add_f32_e32 v1, v1, v197
	v_fma_f32 v3, v182, v142, -v3
	s_delay_alu instid0(VALU_DEP_2) | instskip(SKIP_1) | instid1(VALU_DEP_2)
	v_dual_add_f32 v2, v2, v4 :: v_dual_add_f32 v1, v1, v198
	v_dual_mul_f32 v4, v187, v147 :: v_dual_mul_f32 v5, v185, v145
	v_add_f32_e32 v2, v2, v3
	s_delay_alu instid0(VALU_DEP_2) | instskip(NEXT) | instid1(VALU_DEP_3)
	v_fma_f32 v3, v186, v146, -v4
	v_fma_f32 v5, v184, v144, -v5
	s_delay_alu instid0(VALU_DEP_1) | instskip(NEXT) | instid1(VALU_DEP_1)
	v_dual_add_f32 v1, v1, v199 :: v_dual_add_f32 v2, v2, v5
	v_dual_add_f32 v1, v1, v200 :: v_dual_add_f32 v2, v2, v3
	s_delay_alu instid0(VALU_DEP_1) | instskip(NEXT) | instid1(VALU_DEP_1)
	v_add_f32_e32 v1, v1, v201
	v_add_f32_e32 v1, v1, v202
	s_delay_alu instid0(VALU_DEP_1) | instskip(NEXT) | instid1(VALU_DEP_1)
	v_add_f32_e32 v1, v1, v203
	v_add_f32_e32 v1, v1, v204
	;; [unrolled: 3-line block ×3, first 2 shown]
	s_delay_alu instid0(VALU_DEP_1) | instskip(SKIP_1) | instid1(VALU_DEP_1)
	v_add_f32_e32 v3, v1, v207
	s_wait_loadcnt 0x0
	v_dual_sub_f32 v1, v188, v2 :: v_dual_sub_f32 v2, v189, v3
	scratch_store_b64 off, v[1:2], off offset:248
	v_cmpx_lt_u32_e32 30, v0
	s_cbranch_execz .LBB51_265
; %bb.264:
	scratch_load_b64 v[1:2], off, off offset:240
	v_mov_b32_e32 v3, 0
	s_delay_alu instid0(VALU_DEP_1)
	v_mov_b32_e32 v4, v3
	scratch_store_b64 off, v[3:4], off offset:240
	s_wait_loadcnt 0x0
	ds_store_b64 v27, v[1:2]
.LBB51_265:
	s_wait_alu 0xfffe
	s_or_b32 exec_lo, exec_lo, s0
	s_wait_storecnt_dscnt 0x0
	s_barrier_signal -1
	s_barrier_wait -1
	global_inv scope:SCOPE_SE
	s_clause 0xb
	scratch_load_b128 v[2:5], off, off offset:248
	scratch_load_b128 v[6:9], off, off offset:264
	;; [unrolled: 1-line block ×10, first 2 shown]
	scratch_load_b64 v[188:189], off, off offset:408
	scratch_load_b64 v[190:191], off, off offset:240
	v_mov_b32_e32 v1, 0
	ds_load_2addr_b64 v[148:151], v1 offset0:83 offset1:84
	ds_load_2addr_b64 v[152:155], v1 offset0:85 offset1:86
	;; [unrolled: 1-line block ×10, first 2 shown]
	ds_load_b64 v[192:193], v1 offset:824
	s_mov_b32 s0, exec_lo
	s_wait_loadcnt_dscnt 0xb0a
	v_mul_f32_e32 v26, v148, v3
	v_dual_mul_f32 v3, v149, v3 :: v_dual_mul_f32 v194, v150, v5
	s_wait_loadcnt_dscnt 0xa09
	v_mul_f32_e32 v195, v152, v7
	v_mul_f32_e32 v5, v151, v5
	s_wait_loadcnt_dscnt 0x605
	v_mul_f32_e32 v204, v170, v25
	v_fma_f32 v3, v148, v2, -v3
	v_dual_mul_f32 v196, v154, v9 :: v_dual_mul_f32 v197, v156, v11
	s_wait_loadcnt_dscnt 0x100
	v_dual_fmac_f32 v26, v149, v2 :: v_dual_mul_f32 v213, v192, v189
	v_mul_f32_e32 v2, v153, v7
	v_dual_fmac_f32 v194, v151, v4 :: v_dual_add_f32 v3, 0, v3
	v_fma_f32 v4, v150, v4, -v5
	s_delay_alu instid0(VALU_DEP_4) | instskip(SKIP_2) | instid1(VALU_DEP_4)
	v_dual_add_f32 v5, 0, v26 :: v_dual_fmac_f32 v196, v155, v8
	v_mul_f32_e32 v7, v155, v9
	v_fma_f32 v2, v152, v6, -v2
	v_add_f32_e32 v3, v3, v4
	v_fmac_f32_e32 v195, v153, v6
	v_add_f32_e32 v4, v5, v194
	v_mul_f32_e32 v5, v157, v11
	v_fma_f32 v6, v154, v8, -v7
	v_add_f32_e32 v2, v3, v2
	v_dual_mul_f32 v198, v158, v13 :: v_dual_mul_f32 v199, v160, v15
	v_dual_add_f32 v3, v4, v195 :: v_dual_mul_f32 v4, v159, v13
	v_fma_f32 v5, v156, v10, -v5
	s_delay_alu instid0(VALU_DEP_4)
	v_add_f32_e32 v2, v2, v6
	v_fmac_f32_e32 v197, v157, v10
	v_mul_f32_e32 v6, v161, v15
	v_fmac_f32_e32 v198, v159, v12
	v_add_f32_e32 v3, v3, v196
	v_fma_f32 v4, v158, v12, -v4
	v_add_f32_e32 v2, v2, v5
	v_dual_mul_f32 v200, v162, v17 :: v_dual_mul_f32 v201, v164, v19
	s_delay_alu instid0(VALU_DEP_4)
	v_add_f32_e32 v3, v3, v197
	v_mul_f32_e32 v5, v163, v17
	v_fma_f32 v6, v160, v14, -v6
	v_dual_add_f32 v2, v2, v4 :: v_dual_fmac_f32 v199, v161, v14
	v_fmac_f32_e32 v200, v163, v16
	v_mul_f32_e32 v4, v165, v19
	v_fma_f32 v5, v162, v16, -v5
	s_delay_alu instid0(VALU_DEP_4) | instskip(SKIP_3) | instid1(VALU_DEP_3)
	v_add_f32_e32 v2, v2, v6
	v_add_f32_e32 v3, v3, v198
	v_dual_mul_f32 v6, v167, v21 :: v_dual_fmac_f32 v201, v165, v18
	v_fma_f32 v4, v164, v18, -v4
	v_dual_add_f32 v2, v2, v5 :: v_dual_add_f32 v3, v3, v199
	v_dual_mul_f32 v202, v166, v21 :: v_dual_mul_f32 v203, v168, v23
	v_mul_f32_e32 v5, v169, v23
	v_fma_f32 v6, v166, v20, -v6
	s_delay_alu instid0(VALU_DEP_4) | instskip(SKIP_4) | instid1(VALU_DEP_4)
	v_add_f32_e32 v2, v2, v4
	v_add_f32_e32 v3, v3, v200
	v_fmac_f32_e32 v202, v167, v20
	v_dual_mul_f32 v4, v171, v25 :: v_dual_fmac_f32 v203, v169, v22
	v_fma_f32 v5, v168, v22, -v5
	v_dual_add_f32 v2, v2, v6 :: v_dual_add_f32 v3, v3, v201
	v_mul_f32_e32 v6, v173, v133
	s_delay_alu instid0(VALU_DEP_4) | instskip(SKIP_1) | instid1(VALU_DEP_4)
	v_fma_f32 v4, v170, v24, -v4
	v_dual_mul_f32 v205, v172, v133 :: v_dual_mul_f32 v206, v174, v135
	v_dual_add_f32 v3, v3, v202 :: v_dual_add_f32 v2, v2, v5
	s_delay_alu instid0(VALU_DEP_4) | instskip(SKIP_1) | instid1(VALU_DEP_4)
	v_fma_f32 v6, v172, v132, -v6
	v_fmac_f32_e32 v204, v171, v24
	v_dual_fmac_f32 v205, v173, v132 :: v_dual_fmac_f32 v206, v175, v134
	s_delay_alu instid0(VALU_DEP_4) | instskip(SKIP_3) | instid1(VALU_DEP_3)
	v_add_f32_e32 v3, v3, v203
	v_dual_mul_f32 v5, v175, v135 :: v_dual_add_f32 v2, v2, v4
	v_dual_mul_f32 v207, v176, v137 :: v_dual_mul_f32 v208, v178, v139
	v_mul_f32_e32 v4, v177, v137
	v_fma_f32 v5, v174, v134, -v5
	s_delay_alu instid0(VALU_DEP_4) | instskip(NEXT) | instid1(VALU_DEP_4)
	v_add_f32_e32 v2, v2, v6
	v_dual_mul_f32 v6, v179, v139 :: v_dual_fmac_f32 v207, v177, v136
	s_delay_alu instid0(VALU_DEP_4) | instskip(SKIP_1) | instid1(VALU_DEP_4)
	v_fma_f32 v4, v176, v136, -v4
	v_dual_mul_f32 v209, v180, v141 :: v_dual_mul_f32 v210, v182, v143
	v_add_f32_e32 v2, v2, v5
	v_mul_f32_e32 v5, v181, v141
	v_add_f32_e32 v3, v3, v204
	s_delay_alu instid0(VALU_DEP_4) | instskip(SKIP_2) | instid1(VALU_DEP_4)
	v_dual_fmac_f32 v208, v179, v138 :: v_dual_fmac_f32 v209, v181, v140
	v_fma_f32 v6, v178, v138, -v6
	v_dual_mul_f32 v211, v184, v145 :: v_dual_mul_f32 v212, v186, v147
	v_add_f32_e32 v3, v3, v205
	v_fma_f32 v5, v180, v140, -v5
	v_dual_fmac_f32 v210, v183, v142 :: v_dual_fmac_f32 v213, v193, v188
	s_delay_alu instid0(VALU_DEP_4) | instskip(NEXT) | instid1(VALU_DEP_4)
	v_fmac_f32_e32 v211, v185, v144
	v_dual_add_f32 v3, v3, v206 :: v_dual_add_f32 v2, v2, v4
	v_mul_f32_e32 v4, v183, v143
	v_fmac_f32_e32 v212, v187, v146
	s_delay_alu instid0(VALU_DEP_3) | instskip(NEXT) | instid1(VALU_DEP_3)
	v_dual_add_f32 v3, v3, v207 :: v_dual_add_f32 v2, v2, v6
	v_fma_f32 v4, v182, v142, -v4
	s_delay_alu instid0(VALU_DEP_2) | instskip(NEXT) | instid1(VALU_DEP_1)
	v_dual_mul_f32 v6, v185, v145 :: v_dual_add_f32 v3, v3, v208
	v_add_f32_e32 v3, v3, v209
	s_delay_alu instid0(VALU_DEP_4) | instskip(NEXT) | instid1(VALU_DEP_3)
	v_dual_add_f32 v2, v2, v5 :: v_dual_mul_f32 v5, v187, v147
	v_fma_f32 v6, v184, v144, -v6
	s_delay_alu instid0(VALU_DEP_2) | instskip(SKIP_1) | instid1(VALU_DEP_4)
	v_dual_add_f32 v3, v3, v210 :: v_dual_add_f32 v2, v2, v4
	v_mul_f32_e32 v4, v193, v189
	v_fma_f32 v5, v186, v146, -v5
	s_delay_alu instid0(VALU_DEP_3) | instskip(NEXT) | instid1(VALU_DEP_3)
	v_dual_add_f32 v3, v3, v211 :: v_dual_add_f32 v2, v2, v6
	v_fma_f32 v4, v192, v188, -v4
	s_delay_alu instid0(VALU_DEP_2) | instskip(NEXT) | instid1(VALU_DEP_1)
	v_add_f32_e32 v3, v3, v212
	v_add_f32_e32 v3, v3, v213
	s_wait_loadcnt 0x0
	s_delay_alu instid0(VALU_DEP_1) | instskip(NEXT) | instid1(VALU_DEP_1)
	v_dual_add_f32 v2, v2, v5 :: v_dual_sub_f32 v3, v191, v3
	v_add_f32_e32 v2, v2, v4
	s_delay_alu instid0(VALU_DEP_1)
	v_sub_f32_e32 v2, v190, v2
	scratch_store_b64 off, v[2:3], off offset:240
	v_cmpx_lt_u32_e32 29, v0
	s_cbranch_execz .LBB51_267
; %bb.266:
	scratch_load_b64 v[3:4], off, off offset:232
	v_mov_b32_e32 v2, v1
	scratch_store_b64 off, v[1:2], off offset:232
	s_wait_loadcnt 0x0
	ds_store_b64 v27, v[3:4]
.LBB51_267:
	s_wait_alu 0xfffe
	s_or_b32 exec_lo, exec_lo, s0
	s_wait_storecnt_dscnt 0x0
	s_barrier_signal -1
	s_barrier_wait -1
	global_inv scope:SCOPE_SE
	s_clause 0xb
	scratch_load_b128 v[2:5], off, off offset:240
	scratch_load_b128 v[6:9], off, off offset:256
	;; [unrolled: 1-line block ×11, first 2 shown]
	scratch_load_b64 v[196:197], off, off offset:232
	ds_load_b128 v[152:155], v1 offset:656
	ds_load_b128 v[156:159], v1 offset:672
	ds_load_b128 v[160:163], v1 offset:688
	ds_load_b128 v[164:167], v1 offset:704
	ds_load_b128 v[168:171], v1 offset:720
	ds_load_b128 v[172:175], v1 offset:736
	ds_load_b128 v[176:179], v1 offset:752
	ds_load_b128 v[180:183], v1 offset:768
	ds_load_b128 v[184:187], v1 offset:784
	ds_load_b128 v[188:191], v1 offset:800
	ds_load_b128 v[192:195], v1 offset:816
	s_mov_b32 s0, exec_lo
	s_wait_loadcnt_dscnt 0xb0a
	v_dual_mul_f32 v1, v152, v3 :: v_dual_mul_f32 v26, v154, v5
	s_wait_loadcnt_dscnt 0xa09
	v_dual_mul_f32 v5, v155, v5 :: v_dual_mul_f32 v198, v156, v7
	v_mul_f32_e32 v199, v158, v9
	v_mul_f32_e32 v3, v153, v3
	v_dual_fmac_f32 v1, v153, v2 :: v_dual_fmac_f32 v26, v155, v4
	s_wait_loadcnt_dscnt 0x908
	v_dual_mul_f32 v200, v160, v11 :: v_dual_mul_f32 v201, v162, v13
	s_wait_loadcnt_dscnt 0x201
	v_mul_f32_e32 v214, v188, v145
	v_fma_f32 v3, v152, v2, -v3
	s_wait_loadcnt_dscnt 0x100
	v_mul_f32_e32 v217, v194, v151
	v_mul_f32_e32 v2, v157, v7
	v_fma_f32 v4, v154, v4, -v5
	v_dual_mul_f32 v202, v164, v15 :: v_dual_mul_f32 v203, v166, v17
	v_dual_add_f32 v3, 0, v3 :: v_dual_fmac_f32 v198, v157, v6
	v_dual_mul_f32 v5, v159, v9 :: v_dual_fmac_f32 v200, v161, v10
	v_fma_f32 v2, v156, v6, -v2
	s_delay_alu instid0(VALU_DEP_3) | instskip(NEXT) | instid1(VALU_DEP_3)
	v_dual_add_f32 v3, v3, v4 :: v_dual_fmac_f32 v202, v165, v14
	v_fma_f32 v5, v158, v8, -v5
	v_dual_mul_f32 v204, v168, v19 :: v_dual_mul_f32 v205, v170, v21
	s_delay_alu instid0(VALU_DEP_3) | instskip(SKIP_2) | instid1(VALU_DEP_3)
	v_add_f32_e32 v2, v3, v2
	v_dual_mul_f32 v3, v163, v13 :: v_dual_mul_f32 v206, v172, v23
	v_dual_mul_f32 v207, v174, v25 :: v_dual_mul_f32 v4, v161, v11
	v_add_f32_e32 v2, v2, v5
	v_dual_add_f32 v1, 0, v1 :: v_dual_fmac_f32 v204, v169, v18
	s_delay_alu instid0(VALU_DEP_4) | instskip(NEXT) | instid1(VALU_DEP_4)
	v_fma_f32 v3, v162, v12, -v3
	v_fma_f32 v4, v160, v10, -v4
	v_fmac_f32_e32 v203, v167, v16
	s_delay_alu instid0(VALU_DEP_4) | instskip(SKIP_1) | instid1(VALU_DEP_4)
	v_dual_add_f32 v1, v1, v26 :: v_dual_mul_f32 v208, v176, v133
	v_mul_f32_e32 v209, v178, v135
	v_add_f32_e32 v2, v2, v4
	s_delay_alu instid0(VALU_DEP_3) | instskip(SKIP_2) | instid1(VALU_DEP_3)
	v_dual_mul_f32 v4, v167, v17 :: v_dual_add_f32 v1, v1, v198
	v_dual_fmac_f32 v199, v159, v8 :: v_dual_mul_f32 v212, v184, v141
	v_mul_f32_e32 v213, v186, v143
	v_fma_f32 v4, v166, v16, -v4
	v_mul_f32_e32 v5, v165, v15
	v_add_f32_e32 v2, v2, v3
	v_dual_add_f32 v1, v1, v199 :: v_dual_mul_f32 v210, v180, v137
	v_mul_f32_e32 v211, v182, v139
	s_delay_alu instid0(VALU_DEP_4) | instskip(SKIP_3) | instid1(VALU_DEP_4)
	v_fma_f32 v5, v164, v14, -v5
	v_dual_fmac_f32 v201, v163, v12 :: v_dual_fmac_f32 v206, v173, v22
	v_fmac_f32_e32 v207, v175, v24
	v_dual_fmac_f32 v209, v179, v134 :: v_dual_fmac_f32 v210, v181, v136
	v_add_f32_e32 v2, v2, v5
	v_mul_f32_e32 v5, v171, v21
	v_dual_mul_f32 v215, v190, v147 :: v_dual_mul_f32 v216, v192, v149
	s_delay_alu instid0(VALU_DEP_3) | instskip(NEXT) | instid1(VALU_DEP_3)
	v_dual_fmac_f32 v213, v187, v142 :: v_dual_add_f32 v2, v2, v4
	v_fma_f32 v5, v170, v20, -v5
	v_mul_f32_e32 v3, v169, v19
	v_mul_f32_e32 v4, v173, v23
	v_dual_fmac_f32 v216, v193, v148 :: v_dual_fmac_f32 v215, v191, v146
	v_fmac_f32_e32 v208, v177, v132
	s_delay_alu instid0(VALU_DEP_4) | instskip(SKIP_3) | instid1(VALU_DEP_4)
	v_fma_f32 v3, v168, v18, -v3
	v_add_f32_e32 v1, v1, v200
	v_fma_f32 v4, v172, v22, -v4
	v_dual_fmac_f32 v217, v195, v150 :: v_dual_fmac_f32 v212, v185, v140
	v_dual_add_f32 v2, v2, v3 :: v_dual_mul_f32 v3, v175, v25
	v_fmac_f32_e32 v214, v189, v144
	s_delay_alu instid0(VALU_DEP_2) | instskip(SKIP_1) | instid1(VALU_DEP_4)
	v_add_f32_e32 v2, v2, v5
	v_add_f32_e32 v1, v1, v201
	v_fma_f32 v3, v174, v24, -v3
	s_delay_alu instid0(VALU_DEP_2) | instskip(SKIP_1) | instid1(VALU_DEP_2)
	v_dual_add_f32 v2, v2, v4 :: v_dual_add_f32 v1, v1, v202
	v_mul_f32_e32 v4, v179, v135
	v_dual_fmac_f32 v205, v171, v20 :: v_dual_add_f32 v2, v2, v3
	v_mul_f32_e32 v3, v181, v137
	s_delay_alu instid0(VALU_DEP_3) | instskip(SKIP_1) | instid1(VALU_DEP_3)
	v_fma_f32 v4, v178, v134, -v4
	v_mul_f32_e32 v5, v177, v133
	v_fma_f32 v3, v180, v136, -v3
	s_delay_alu instid0(VALU_DEP_2) | instskip(NEXT) | instid1(VALU_DEP_1)
	v_fma_f32 v5, v176, v132, -v5
	v_dual_add_f32 v1, v1, v203 :: v_dual_add_f32 v2, v2, v5
	s_delay_alu instid0(VALU_DEP_1) | instskip(NEXT) | instid1(VALU_DEP_2)
	v_dual_mul_f32 v5, v183, v139 :: v_dual_add_f32 v2, v2, v4
	v_add_f32_e32 v1, v1, v204
	v_mul_f32_e32 v4, v185, v141
	s_delay_alu instid0(VALU_DEP_3) | instskip(NEXT) | instid1(VALU_DEP_4)
	v_fma_f32 v5, v182, v138, -v5
	v_dual_add_f32 v2, v2, v3 :: v_dual_fmac_f32 v211, v183, v138
	v_mul_f32_e32 v3, v187, v143
	s_delay_alu instid0(VALU_DEP_4) | instskip(NEXT) | instid1(VALU_DEP_3)
	v_fma_f32 v4, v184, v140, -v4
	v_add_f32_e32 v2, v2, v5
	v_add_f32_e32 v1, v1, v205
	s_delay_alu instid0(VALU_DEP_4) | instskip(NEXT) | instid1(VALU_DEP_3)
	v_fma_f32 v3, v186, v142, -v3
	v_dual_add_f32 v2, v2, v4 :: v_dual_mul_f32 v5, v189, v145
	s_delay_alu instid0(VALU_DEP_3) | instskip(NEXT) | instid1(VALU_DEP_2)
	v_dual_add_f32 v1, v1, v206 :: v_dual_mul_f32 v4, v191, v147
	v_add_f32_e32 v2, v2, v3
	s_delay_alu instid0(VALU_DEP_3) | instskip(NEXT) | instid1(VALU_DEP_3)
	v_fma_f32 v5, v188, v144, -v5
	v_add_f32_e32 v1, v1, v207
	v_mul_f32_e32 v3, v193, v149
	v_fma_f32 v4, v190, v146, -v4
	s_delay_alu instid0(VALU_DEP_4) | instskip(NEXT) | instid1(VALU_DEP_3)
	v_dual_add_f32 v2, v2, v5 :: v_dual_mul_f32 v5, v195, v151
	v_fma_f32 v3, v192, v148, -v3
	s_delay_alu instid0(VALU_DEP_2) | instskip(SKIP_1) | instid1(VALU_DEP_4)
	v_add_f32_e32 v2, v2, v4
	v_add_f32_e32 v1, v1, v208
	v_fma_f32 v4, v194, v150, -v5
	s_delay_alu instid0(VALU_DEP_2) | instskip(NEXT) | instid1(VALU_DEP_1)
	v_dual_add_f32 v2, v2, v3 :: v_dual_add_f32 v1, v1, v209
	v_dual_add_f32 v2, v2, v4 :: v_dual_add_f32 v1, v1, v210
	s_delay_alu instid0(VALU_DEP_1) | instskip(NEXT) | instid1(VALU_DEP_1)
	v_add_f32_e32 v1, v1, v211
	v_add_f32_e32 v1, v1, v212
	s_delay_alu instid0(VALU_DEP_1) | instskip(NEXT) | instid1(VALU_DEP_1)
	v_add_f32_e32 v1, v1, v213
	v_add_f32_e32 v1, v1, v214
	;; [unrolled: 3-line block ×3, first 2 shown]
	s_delay_alu instid0(VALU_DEP_1) | instskip(SKIP_1) | instid1(VALU_DEP_1)
	v_add_f32_e32 v3, v1, v217
	s_wait_loadcnt 0x0
	v_dual_sub_f32 v1, v196, v2 :: v_dual_sub_f32 v2, v197, v3
	scratch_store_b64 off, v[1:2], off offset:232
	v_cmpx_lt_u32_e32 28, v0
	s_cbranch_execz .LBB51_269
; %bb.268:
	scratch_load_b64 v[1:2], off, off offset:224
	v_mov_b32_e32 v3, 0
	s_delay_alu instid0(VALU_DEP_1)
	v_mov_b32_e32 v4, v3
	scratch_store_b64 off, v[3:4], off offset:224
	s_wait_loadcnt 0x0
	ds_store_b64 v27, v[1:2]
.LBB51_269:
	s_wait_alu 0xfffe
	s_or_b32 exec_lo, exec_lo, s0
	s_wait_storecnt_dscnt 0x0
	s_barrier_signal -1
	s_barrier_wait -1
	global_inv scope:SCOPE_SE
	s_clause 0xc
	scratch_load_b128 v[2:5], off, off offset:232
	scratch_load_b128 v[6:9], off, off offset:248
	;; [unrolled: 1-line block ×11, first 2 shown]
	scratch_load_b64 v[196:197], off, off offset:408
	scratch_load_b64 v[198:199], off, off offset:224
	v_mov_b32_e32 v1, 0
	ds_load_2addr_b64 v[152:155], v1 offset0:81 offset1:82
	ds_load_2addr_b64 v[156:159], v1 offset0:83 offset1:84
	ds_load_2addr_b64 v[160:163], v1 offset0:85 offset1:86
	ds_load_2addr_b64 v[164:167], v1 offset0:87 offset1:88
	ds_load_2addr_b64 v[168:171], v1 offset0:89 offset1:90
	ds_load_2addr_b64 v[172:175], v1 offset0:91 offset1:92
	ds_load_2addr_b64 v[176:179], v1 offset0:93 offset1:94
	ds_load_2addr_b64 v[180:183], v1 offset0:95 offset1:96
	ds_load_2addr_b64 v[184:187], v1 offset0:97 offset1:98
	ds_load_2addr_b64 v[188:191], v1 offset0:99 offset1:100
	ds_load_2addr_b64 v[192:195], v1 offset0:101 offset1:102
	ds_load_b64 v[200:201], v1 offset:824
	s_mov_b32 s0, exec_lo
	s_wait_loadcnt_dscnt 0xc0b
	v_mul_f32_e32 v26, v152, v3
	v_dual_mul_f32 v3, v153, v3 :: v_dual_mul_f32 v202, v154, v5
	s_wait_loadcnt_dscnt 0xb0a
	v_mul_f32_e32 v203, v156, v7
	v_mul_f32_e32 v5, v155, v5
	s_wait_loadcnt_dscnt 0x706
	v_mul_f32_e32 v212, v174, v25
	v_fma_f32 v3, v152, v2, -v3
	v_dual_mul_f32 v204, v158, v9 :: v_dual_mul_f32 v205, v160, v11
	v_fmac_f32_e32 v26, v153, v2
	s_wait_loadcnt_dscnt 0x100
	v_dual_mul_f32 v2, v157, v7 :: v_dual_mul_f32 v223, v200, v197
	v_dual_fmac_f32 v202, v155, v4 :: v_dual_add_f32 v3, 0, v3
	v_fma_f32 v4, v154, v4, -v5
	v_dual_add_f32 v5, 0, v26 :: v_dual_fmac_f32 v204, v159, v8
	v_mul_f32_e32 v7, v159, v9
	v_fma_f32 v2, v156, v6, -v2
	s_delay_alu instid0(VALU_DEP_4)
	v_add_f32_e32 v3, v3, v4
	v_fmac_f32_e32 v203, v157, v6
	v_add_f32_e32 v4, v5, v202
	v_mul_f32_e32 v5, v161, v11
	v_fma_f32 v6, v158, v8, -v7
	v_add_f32_e32 v2, v3, v2
	v_dual_mul_f32 v206, v162, v13 :: v_dual_mul_f32 v207, v164, v15
	v_dual_add_f32 v3, v4, v203 :: v_dual_mul_f32 v4, v163, v13
	v_fma_f32 v5, v160, v10, -v5
	s_delay_alu instid0(VALU_DEP_4)
	v_add_f32_e32 v2, v2, v6
	v_fmac_f32_e32 v205, v161, v10
	v_mul_f32_e32 v6, v165, v15
	v_fmac_f32_e32 v206, v163, v12
	v_add_f32_e32 v3, v3, v204
	v_fma_f32 v4, v162, v12, -v4
	v_add_f32_e32 v2, v2, v5
	v_dual_mul_f32 v208, v166, v17 :: v_dual_mul_f32 v209, v168, v19
	s_delay_alu instid0(VALU_DEP_4)
	v_add_f32_e32 v3, v3, v205
	v_mul_f32_e32 v5, v167, v17
	v_fma_f32 v6, v164, v14, -v6
	v_dual_add_f32 v2, v2, v4 :: v_dual_fmac_f32 v207, v165, v14
	v_fmac_f32_e32 v208, v167, v16
	v_mul_f32_e32 v4, v169, v19
	v_fma_f32 v5, v166, v16, -v5
	s_delay_alu instid0(VALU_DEP_4) | instskip(SKIP_3) | instid1(VALU_DEP_3)
	v_add_f32_e32 v2, v2, v6
	v_add_f32_e32 v3, v3, v206
	v_dual_mul_f32 v6, v171, v21 :: v_dual_fmac_f32 v209, v169, v18
	v_fma_f32 v4, v168, v18, -v4
	v_dual_add_f32 v2, v2, v5 :: v_dual_add_f32 v3, v3, v207
	v_dual_mul_f32 v210, v170, v21 :: v_dual_mul_f32 v211, v172, v23
	v_mul_f32_e32 v5, v173, v23
	v_fma_f32 v6, v170, v20, -v6
	s_delay_alu instid0(VALU_DEP_4) | instskip(SKIP_4) | instid1(VALU_DEP_4)
	v_add_f32_e32 v2, v2, v4
	v_add_f32_e32 v3, v3, v208
	v_fmac_f32_e32 v210, v171, v20
	v_dual_mul_f32 v4, v175, v25 :: v_dual_fmac_f32 v211, v173, v22
	v_fma_f32 v5, v172, v22, -v5
	v_dual_add_f32 v2, v2, v6 :: v_dual_add_f32 v3, v3, v209
	v_mul_f32_e32 v6, v177, v133
	s_delay_alu instid0(VALU_DEP_4) | instskip(SKIP_1) | instid1(VALU_DEP_4)
	v_fma_f32 v4, v174, v24, -v4
	v_dual_mul_f32 v213, v176, v133 :: v_dual_mul_f32 v214, v178, v135
	v_dual_add_f32 v3, v3, v210 :: v_dual_add_f32 v2, v2, v5
	s_delay_alu instid0(VALU_DEP_4) | instskip(SKIP_1) | instid1(VALU_DEP_4)
	v_fma_f32 v6, v176, v132, -v6
	v_fmac_f32_e32 v212, v175, v24
	v_dual_fmac_f32 v213, v177, v132 :: v_dual_fmac_f32 v214, v179, v134
	s_delay_alu instid0(VALU_DEP_4) | instskip(SKIP_3) | instid1(VALU_DEP_3)
	v_add_f32_e32 v3, v3, v211
	v_dual_mul_f32 v5, v179, v135 :: v_dual_add_f32 v2, v2, v4
	v_dual_mul_f32 v215, v180, v137 :: v_dual_mul_f32 v216, v182, v139
	v_mul_f32_e32 v4, v181, v137
	v_fma_f32 v5, v178, v134, -v5
	s_delay_alu instid0(VALU_DEP_4) | instskip(NEXT) | instid1(VALU_DEP_4)
	v_add_f32_e32 v2, v2, v6
	v_dual_mul_f32 v6, v183, v139 :: v_dual_fmac_f32 v215, v181, v136
	s_delay_alu instid0(VALU_DEP_4) | instskip(SKIP_1) | instid1(VALU_DEP_4)
	v_fma_f32 v4, v180, v136, -v4
	v_dual_mul_f32 v217, v184, v141 :: v_dual_mul_f32 v218, v186, v143
	v_add_f32_e32 v2, v2, v5
	v_mul_f32_e32 v5, v185, v141
	v_add_f32_e32 v3, v3, v212
	s_delay_alu instid0(VALU_DEP_4) | instskip(SKIP_2) | instid1(VALU_DEP_4)
	v_dual_fmac_f32 v216, v183, v138 :: v_dual_fmac_f32 v217, v185, v140
	v_fma_f32 v6, v182, v138, -v6
	v_dual_mul_f32 v219, v188, v145 :: v_dual_mul_f32 v220, v190, v147
	v_add_f32_e32 v3, v3, v213
	v_dual_mul_f32 v221, v192, v149 :: v_dual_mul_f32 v222, v194, v151
	v_fma_f32 v5, v184, v140, -v5
	v_fmac_f32_e32 v218, v187, v142
	s_delay_alu instid0(VALU_DEP_4) | instskip(SKIP_2) | instid1(VALU_DEP_3)
	v_dual_add_f32 v3, v3, v214 :: v_dual_add_f32 v2, v2, v4
	v_dual_mul_f32 v4, v187, v143 :: v_dual_fmac_f32 v219, v189, v144
	v_fmac_f32_e32 v221, v193, v148
	v_dual_add_f32 v3, v3, v215 :: v_dual_add_f32 v2, v2, v6
	v_mul_f32_e32 v6, v189, v145
	s_delay_alu instid0(VALU_DEP_4) | instskip(SKIP_1) | instid1(VALU_DEP_4)
	v_fma_f32 v4, v186, v142, -v4
	v_fmac_f32_e32 v220, v191, v146
	v_add_f32_e32 v3, v3, v216
	v_dual_fmac_f32 v222, v195, v150 :: v_dual_fmac_f32 v223, v201, v196
	s_delay_alu instid0(VALU_DEP_2) | instskip(SKIP_2) | instid1(VALU_DEP_2)
	v_add_f32_e32 v3, v3, v217
	v_dual_add_f32 v2, v2, v5 :: v_dual_mul_f32 v5, v191, v147
	v_fma_f32 v6, v188, v144, -v6
	v_dual_add_f32 v3, v3, v218 :: v_dual_add_f32 v2, v2, v4
	v_mul_f32_e32 v4, v193, v149
	s_delay_alu instid0(VALU_DEP_4) | instskip(NEXT) | instid1(VALU_DEP_3)
	v_fma_f32 v5, v190, v146, -v5
	v_dual_add_f32 v3, v3, v219 :: v_dual_add_f32 v2, v2, v6
	v_mul_f32_e32 v6, v195, v151
	s_delay_alu instid0(VALU_DEP_4) | instskip(NEXT) | instid1(VALU_DEP_3)
	v_fma_f32 v4, v192, v148, -v4
	v_add_f32_e32 v2, v2, v5
	v_mul_f32_e32 v5, v201, v197
	v_add_f32_e32 v3, v3, v220
	v_fma_f32 v6, v194, v150, -v6
	s_delay_alu instid0(VALU_DEP_2) | instskip(NEXT) | instid1(VALU_DEP_1)
	v_add_f32_e32 v3, v3, v221
	v_dual_add_f32 v3, v3, v222 :: v_dual_add_f32 v2, v2, v4
	v_fma_f32 v4, v200, v196, -v5
	s_delay_alu instid0(VALU_DEP_2) | instskip(SKIP_1) | instid1(VALU_DEP_1)
	v_dual_add_f32 v3, v3, v223 :: v_dual_add_f32 v2, v2, v6
	s_wait_loadcnt 0x0
	v_dual_sub_f32 v3, v199, v3 :: v_dual_add_f32 v2, v2, v4
	s_delay_alu instid0(VALU_DEP_1)
	v_sub_f32_e32 v2, v198, v2
	scratch_store_b64 off, v[2:3], off offset:224
	v_cmpx_lt_u32_e32 27, v0
	s_cbranch_execz .LBB51_271
; %bb.270:
	scratch_load_b64 v[3:4], off, off offset:216
	v_mov_b32_e32 v2, v1
	scratch_store_b64 off, v[1:2], off offset:216
	s_wait_loadcnt 0x0
	ds_store_b64 v27, v[3:4]
.LBB51_271:
	s_wait_alu 0xfffe
	s_or_b32 exec_lo, exec_lo, s0
	s_wait_storecnt_dscnt 0x0
	s_barrier_signal -1
	s_barrier_wait -1
	global_inv scope:SCOPE_SE
	s_clause 0xc
	scratch_load_b128 v[2:5], off, off offset:224
	scratch_load_b128 v[6:9], off, off offset:240
	;; [unrolled: 1-line block ×12, first 2 shown]
	scratch_load_b64 v[204:205], off, off offset:216
	ds_load_b128 v[156:159], v1 offset:640
	ds_load_b128 v[160:163], v1 offset:656
	;; [unrolled: 1-line block ×12, first 2 shown]
	s_mov_b32 s0, exec_lo
	s_wait_loadcnt_dscnt 0xc0b
	v_dual_mul_f32 v1, v156, v3 :: v_dual_mul_f32 v26, v158, v5
	s_wait_loadcnt_dscnt 0xb0a
	v_dual_mul_f32 v5, v159, v5 :: v_dual_mul_f32 v206, v160, v7
	v_mul_f32_e32 v207, v162, v9
	s_delay_alu instid0(VALU_DEP_3)
	v_fmac_f32_e32 v1, v157, v2
	v_dual_mul_f32 v3, v157, v3 :: v_dual_fmac_f32 v26, v159, v4
	s_wait_loadcnt_dscnt 0xa09
	v_dual_mul_f32 v208, v164, v11 :: v_dual_mul_f32 v209, v166, v13
	s_wait_loadcnt_dscnt 0x201
	v_mul_f32_e32 v224, v196, v149
	v_fma_f32 v3, v156, v2, -v3
	s_wait_loadcnt_dscnt 0x100
	v_mul_f32_e32 v227, v202, v155
	v_mul_f32_e32 v2, v161, v7
	v_fma_f32 v4, v158, v4, -v5
	v_dual_mul_f32 v210, v168, v15 :: v_dual_mul_f32 v211, v170, v17
	v_dual_add_f32 v3, 0, v3 :: v_dual_fmac_f32 v206, v161, v6
	v_dual_mul_f32 v5, v163, v9 :: v_dual_fmac_f32 v208, v165, v10
	v_fma_f32 v2, v160, v6, -v2
	s_delay_alu instid0(VALU_DEP_3) | instskip(NEXT) | instid1(VALU_DEP_3)
	v_dual_add_f32 v3, v3, v4 :: v_dual_fmac_f32 v210, v169, v14
	v_fma_f32 v5, v162, v8, -v5
	v_dual_mul_f32 v212, v172, v19 :: v_dual_mul_f32 v213, v174, v21
	s_delay_alu instid0(VALU_DEP_3) | instskip(SKIP_2) | instid1(VALU_DEP_3)
	v_add_f32_e32 v2, v3, v2
	v_dual_mul_f32 v3, v167, v13 :: v_dual_mul_f32 v214, v176, v23
	v_dual_mul_f32 v215, v178, v25 :: v_dual_mul_f32 v4, v165, v11
	v_add_f32_e32 v2, v2, v5
	v_dual_add_f32 v1, 0, v1 :: v_dual_fmac_f32 v212, v173, v18
	s_delay_alu instid0(VALU_DEP_4) | instskip(NEXT) | instid1(VALU_DEP_4)
	v_fma_f32 v3, v166, v12, -v3
	v_fma_f32 v4, v164, v10, -v4
	v_fmac_f32_e32 v211, v171, v16
	s_delay_alu instid0(VALU_DEP_4) | instskip(SKIP_1) | instid1(VALU_DEP_4)
	v_dual_add_f32 v1, v1, v26 :: v_dual_mul_f32 v216, v180, v133
	v_mul_f32_e32 v217, v182, v135
	v_add_f32_e32 v2, v2, v4
	s_delay_alu instid0(VALU_DEP_3) | instskip(SKIP_2) | instid1(VALU_DEP_3)
	v_dual_mul_f32 v4, v171, v17 :: v_dual_add_f32 v1, v1, v206
	v_dual_fmac_f32 v207, v163, v8 :: v_dual_mul_f32 v220, v188, v141
	v_mul_f32_e32 v221, v190, v143
	v_fma_f32 v4, v170, v16, -v4
	v_mul_f32_e32 v5, v169, v15
	v_add_f32_e32 v2, v2, v3
	v_dual_add_f32 v1, v1, v207 :: v_dual_mul_f32 v218, v184, v137
	v_mul_f32_e32 v219, v186, v139
	s_delay_alu instid0(VALU_DEP_4) | instskip(SKIP_3) | instid1(VALU_DEP_4)
	v_fma_f32 v5, v168, v14, -v5
	v_fmac_f32_e32 v209, v167, v12
	v_dual_fmac_f32 v215, v179, v24 :: v_dual_fmac_f32 v214, v177, v22
	v_dual_mul_f32 v222, v192, v145 :: v_dual_mul_f32 v223, v194, v147
	v_add_f32_e32 v2, v2, v5
	v_mul_f32_e32 v5, v175, v21
	v_dual_mul_f32 v225, v198, v151 :: v_dual_mul_f32 v226, v200, v153
	v_dual_fmac_f32 v217, v183, v134 :: v_dual_fmac_f32 v218, v185, v136
	s_delay_alu instid0(VALU_DEP_3) | instskip(SKIP_3) | instid1(VALU_DEP_3)
	v_fma_f32 v5, v174, v20, -v5
	v_dual_mul_f32 v3, v173, v19 :: v_dual_add_f32 v2, v2, v4
	v_dual_mul_f32 v4, v177, v23 :: v_dual_fmac_f32 v223, v195, v146
	v_dual_fmac_f32 v221, v191, v142 :: v_dual_fmac_f32 v224, v197, v148
	v_fma_f32 v3, v172, v18, -v3
	v_add_f32_e32 v1, v1, v208
	s_delay_alu instid0(VALU_DEP_4) | instskip(SKIP_1) | instid1(VALU_DEP_4)
	v_fma_f32 v4, v176, v22, -v4
	v_dual_fmac_f32 v216, v181, v132 :: v_dual_fmac_f32 v227, v203, v154
	v_dual_add_f32 v2, v2, v3 :: v_dual_mul_f32 v3, v179, v25
	v_fmac_f32_e32 v220, v189, v140
	v_fmac_f32_e32 v222, v193, v144
	;; [unrolled: 1-line block ×3, first 2 shown]
	s_delay_alu instid0(VALU_DEP_4) | instskip(SKIP_2) | instid1(VALU_DEP_2)
	v_add_f32_e32 v2, v2, v5
	v_add_f32_e32 v1, v1, v209
	v_fma_f32 v3, v178, v24, -v3
	v_dual_add_f32 v2, v2, v4 :: v_dual_add_f32 v1, v1, v210
	v_mul_f32_e32 v4, v183, v135
	s_delay_alu instid0(VALU_DEP_2) | instskip(SKIP_1) | instid1(VALU_DEP_3)
	v_dual_fmac_f32 v213, v175, v20 :: v_dual_add_f32 v2, v2, v3
	v_mul_f32_e32 v3, v185, v137
	v_fma_f32 v4, v182, v134, -v4
	v_mul_f32_e32 v5, v181, v133
	s_delay_alu instid0(VALU_DEP_3) | instskip(NEXT) | instid1(VALU_DEP_2)
	v_fma_f32 v3, v184, v136, -v3
	v_fma_f32 v5, v180, v132, -v5
	s_delay_alu instid0(VALU_DEP_1) | instskip(NEXT) | instid1(VALU_DEP_1)
	v_dual_add_f32 v1, v1, v211 :: v_dual_add_f32 v2, v2, v5
	v_dual_mul_f32 v5, v187, v139 :: v_dual_add_f32 v2, v2, v4
	s_delay_alu instid0(VALU_DEP_2) | instskip(SKIP_1) | instid1(VALU_DEP_3)
	v_add_f32_e32 v1, v1, v212
	v_mul_f32_e32 v4, v189, v141
	v_fma_f32 v5, v186, v138, -v5
	s_delay_alu instid0(VALU_DEP_4) | instskip(SKIP_1) | instid1(VALU_DEP_4)
	v_dual_add_f32 v2, v2, v3 :: v_dual_fmac_f32 v219, v187, v138
	v_mul_f32_e32 v3, v191, v143
	v_fma_f32 v4, v188, v140, -v4
	s_delay_alu instid0(VALU_DEP_3) | instskip(SKIP_1) | instid1(VALU_DEP_4)
	v_add_f32_e32 v2, v2, v5
	v_add_f32_e32 v1, v1, v213
	v_fma_f32 v3, v190, v142, -v3
	s_delay_alu instid0(VALU_DEP_3) | instskip(NEXT) | instid1(VALU_DEP_3)
	v_dual_add_f32 v2, v2, v4 :: v_dual_mul_f32 v5, v193, v145
	v_dual_add_f32 v1, v1, v214 :: v_dual_mul_f32 v4, v195, v147
	s_delay_alu instid0(VALU_DEP_2) | instskip(NEXT) | instid1(VALU_DEP_3)
	v_add_f32_e32 v2, v2, v3
	v_fma_f32 v5, v192, v144, -v5
	s_delay_alu instid0(VALU_DEP_3) | instskip(SKIP_2) | instid1(VALU_DEP_4)
	v_add_f32_e32 v1, v1, v215
	v_mul_f32_e32 v3, v197, v149
	v_fma_f32 v4, v194, v146, -v4
	v_dual_add_f32 v2, v2, v5 :: v_dual_mul_f32 v5, v199, v151
	s_delay_alu instid0(VALU_DEP_3) | instskip(NEXT) | instid1(VALU_DEP_2)
	v_fma_f32 v3, v196, v148, -v3
	v_add_f32_e32 v2, v2, v4
	v_add_f32_e32 v1, v1, v216
	v_mul_f32_e32 v4, v201, v153
	v_fma_f32 v5, v198, v150, -v5
	s_delay_alu instid0(VALU_DEP_4) | instskip(SKIP_1) | instid1(VALU_DEP_4)
	v_dual_add_f32 v2, v2, v3 :: v_dual_fmac_f32 v225, v199, v150
	v_mul_f32_e32 v3, v203, v155
	v_fma_f32 v4, v200, v152, -v4
	s_delay_alu instid0(VALU_DEP_3) | instskip(SKIP_1) | instid1(VALU_DEP_4)
	v_add_f32_e32 v2, v2, v5
	v_add_f32_e32 v1, v1, v217
	v_fma_f32 v3, v202, v154, -v3
	s_delay_alu instid0(VALU_DEP_2) | instskip(NEXT) | instid1(VALU_DEP_1)
	v_dual_add_f32 v2, v2, v4 :: v_dual_add_f32 v1, v1, v218
	v_add_f32_e32 v2, v2, v3
	s_delay_alu instid0(VALU_DEP_2) | instskip(NEXT) | instid1(VALU_DEP_1)
	v_add_f32_e32 v1, v1, v219
	v_add_f32_e32 v1, v1, v220
	s_delay_alu instid0(VALU_DEP_1) | instskip(NEXT) | instid1(VALU_DEP_1)
	v_add_f32_e32 v1, v1, v221
	v_add_f32_e32 v1, v1, v222
	s_delay_alu instid0(VALU_DEP_1) | instskip(NEXT) | instid1(VALU_DEP_1)
	;; [unrolled: 3-line block ×3, first 2 shown]
	v_add_f32_e32 v1, v1, v225
	v_add_f32_e32 v1, v1, v226
	s_delay_alu instid0(VALU_DEP_1) | instskip(SKIP_1) | instid1(VALU_DEP_1)
	v_add_f32_e32 v3, v1, v227
	s_wait_loadcnt 0x0
	v_dual_sub_f32 v1, v204, v2 :: v_dual_sub_f32 v2, v205, v3
	scratch_store_b64 off, v[1:2], off offset:216
	v_cmpx_lt_u32_e32 26, v0
	s_cbranch_execz .LBB51_273
; %bb.272:
	scratch_load_b64 v[1:2], off, off offset:208
	v_mov_b32_e32 v3, 0
	s_delay_alu instid0(VALU_DEP_1)
	v_mov_b32_e32 v4, v3
	scratch_store_b64 off, v[3:4], off offset:208
	s_wait_loadcnt 0x0
	ds_store_b64 v27, v[1:2]
.LBB51_273:
	s_wait_alu 0xfffe
	s_or_b32 exec_lo, exec_lo, s0
	s_wait_storecnt_dscnt 0x0
	s_barrier_signal -1
	s_barrier_wait -1
	global_inv scope:SCOPE_SE
	s_clause 0xd
	scratch_load_b128 v[2:5], off, off offset:216
	scratch_load_b128 v[6:9], off, off offset:232
	;; [unrolled: 1-line block ×12, first 2 shown]
	scratch_load_b64 v[204:205], off, off offset:408
	scratch_load_b64 v[206:207], off, off offset:208
	v_mov_b32_e32 v1, 0
	ds_load_2addr_b64 v[156:159], v1 offset0:79 offset1:80
	ds_load_2addr_b64 v[160:163], v1 offset0:81 offset1:82
	;; [unrolled: 1-line block ×12, first 2 shown]
	ds_load_b64 v[208:209], v1 offset:824
	s_mov_b32 s0, exec_lo
	s_wait_loadcnt_dscnt 0xd0c
	v_mul_f32_e32 v26, v156, v3
	v_dual_mul_f32 v3, v157, v3 :: v_dual_mul_f32 v210, v158, v5
	s_wait_loadcnt_dscnt 0xc0b
	v_mul_f32_e32 v211, v160, v7
	v_mul_f32_e32 v5, v159, v5
	s_wait_loadcnt_dscnt 0x807
	v_mul_f32_e32 v220, v178, v25
	v_fma_f32 v3, v156, v2, -v3
	v_dual_mul_f32 v212, v162, v9 :: v_dual_mul_f32 v213, v164, v11
	v_fmac_f32_e32 v26, v157, v2
	v_mul_f32_e32 v2, v161, v7
	s_delay_alu instid0(VALU_DEP_4)
	v_dual_fmac_f32 v210, v159, v4 :: v_dual_add_f32 v3, 0, v3
	s_wait_loadcnt_dscnt 0x100
	v_mul_f32_e32 v233, v208, v205
	v_fma_f32 v4, v158, v4, -v5
	v_dual_add_f32 v5, 0, v26 :: v_dual_fmac_f32 v212, v163, v8
	v_mul_f32_e32 v7, v163, v9
	v_fma_f32 v2, v160, v6, -v2
	s_delay_alu instid0(VALU_DEP_4)
	v_add_f32_e32 v3, v3, v4
	v_fmac_f32_e32 v211, v161, v6
	v_add_f32_e32 v4, v5, v210
	v_mul_f32_e32 v5, v165, v11
	v_fma_f32 v6, v162, v8, -v7
	v_add_f32_e32 v2, v3, v2
	v_dual_mul_f32 v214, v166, v13 :: v_dual_mul_f32 v215, v168, v15
	v_dual_add_f32 v3, v4, v211 :: v_dual_mul_f32 v4, v167, v13
	v_fma_f32 v5, v164, v10, -v5
	s_delay_alu instid0(VALU_DEP_4)
	v_add_f32_e32 v2, v2, v6
	v_fmac_f32_e32 v213, v165, v10
	v_mul_f32_e32 v6, v169, v15
	v_fmac_f32_e32 v214, v167, v12
	v_add_f32_e32 v3, v3, v212
	v_fma_f32 v4, v166, v12, -v4
	v_add_f32_e32 v2, v2, v5
	v_dual_mul_f32 v216, v170, v17 :: v_dual_mul_f32 v217, v172, v19
	s_delay_alu instid0(VALU_DEP_4)
	v_add_f32_e32 v3, v3, v213
	v_mul_f32_e32 v5, v171, v17
	v_fma_f32 v6, v168, v14, -v6
	v_dual_add_f32 v2, v2, v4 :: v_dual_fmac_f32 v215, v169, v14
	v_fmac_f32_e32 v216, v171, v16
	v_mul_f32_e32 v4, v173, v19
	v_fma_f32 v5, v170, v16, -v5
	s_delay_alu instid0(VALU_DEP_4) | instskip(SKIP_3) | instid1(VALU_DEP_3)
	v_add_f32_e32 v2, v2, v6
	v_add_f32_e32 v3, v3, v214
	v_dual_mul_f32 v6, v175, v21 :: v_dual_fmac_f32 v217, v173, v18
	v_fma_f32 v4, v172, v18, -v4
	v_dual_add_f32 v2, v2, v5 :: v_dual_add_f32 v3, v3, v215
	v_dual_mul_f32 v218, v174, v21 :: v_dual_mul_f32 v219, v176, v23
	v_mul_f32_e32 v5, v177, v23
	v_fma_f32 v6, v174, v20, -v6
	s_delay_alu instid0(VALU_DEP_4) | instskip(SKIP_4) | instid1(VALU_DEP_4)
	v_add_f32_e32 v2, v2, v4
	v_add_f32_e32 v3, v3, v216
	v_fmac_f32_e32 v218, v175, v20
	v_dual_mul_f32 v4, v179, v25 :: v_dual_fmac_f32 v219, v177, v22
	v_fma_f32 v5, v176, v22, -v5
	v_dual_add_f32 v2, v2, v6 :: v_dual_add_f32 v3, v3, v217
	v_mul_f32_e32 v6, v181, v133
	s_delay_alu instid0(VALU_DEP_4) | instskip(SKIP_1) | instid1(VALU_DEP_4)
	v_fma_f32 v4, v178, v24, -v4
	v_dual_mul_f32 v221, v180, v133 :: v_dual_mul_f32 v222, v182, v135
	v_dual_add_f32 v3, v3, v218 :: v_dual_add_f32 v2, v2, v5
	s_delay_alu instid0(VALU_DEP_4) | instskip(SKIP_1) | instid1(VALU_DEP_4)
	v_fma_f32 v6, v180, v132, -v6
	v_fmac_f32_e32 v220, v179, v24
	v_dual_fmac_f32 v221, v181, v132 :: v_dual_fmac_f32 v222, v183, v134
	s_delay_alu instid0(VALU_DEP_4) | instskip(SKIP_3) | instid1(VALU_DEP_3)
	v_add_f32_e32 v3, v3, v219
	v_dual_mul_f32 v5, v183, v135 :: v_dual_add_f32 v2, v2, v4
	v_dual_mul_f32 v223, v184, v137 :: v_dual_mul_f32 v224, v186, v139
	v_mul_f32_e32 v4, v185, v137
	v_fma_f32 v5, v182, v134, -v5
	s_delay_alu instid0(VALU_DEP_4) | instskip(NEXT) | instid1(VALU_DEP_4)
	v_add_f32_e32 v2, v2, v6
	v_dual_mul_f32 v6, v187, v139 :: v_dual_fmac_f32 v223, v185, v136
	s_delay_alu instid0(VALU_DEP_4) | instskip(SKIP_1) | instid1(VALU_DEP_4)
	v_fma_f32 v4, v184, v136, -v4
	v_dual_mul_f32 v225, v188, v141 :: v_dual_mul_f32 v226, v190, v143
	v_add_f32_e32 v2, v2, v5
	v_mul_f32_e32 v5, v189, v141
	v_add_f32_e32 v3, v3, v220
	s_delay_alu instid0(VALU_DEP_4) | instskip(SKIP_2) | instid1(VALU_DEP_4)
	v_dual_fmac_f32 v224, v187, v138 :: v_dual_fmac_f32 v225, v189, v140
	v_fma_f32 v6, v186, v138, -v6
	v_dual_mul_f32 v227, v192, v145 :: v_dual_mul_f32 v228, v194, v147
	v_add_f32_e32 v3, v3, v221
	v_dual_mul_f32 v229, v196, v149 :: v_dual_mul_f32 v230, v198, v151
	v_fma_f32 v5, v188, v140, -v5
	v_fmac_f32_e32 v226, v191, v142
	s_delay_alu instid0(VALU_DEP_4) | instskip(SKIP_2) | instid1(VALU_DEP_3)
	v_dual_add_f32 v3, v3, v222 :: v_dual_add_f32 v2, v2, v4
	v_dual_mul_f32 v4, v191, v143 :: v_dual_fmac_f32 v227, v193, v144
	v_fmac_f32_e32 v229, v197, v148
	v_dual_add_f32 v3, v3, v223 :: v_dual_add_f32 v2, v2, v6
	v_mul_f32_e32 v6, v193, v145
	s_delay_alu instid0(VALU_DEP_4) | instskip(SKIP_1) | instid1(VALU_DEP_4)
	v_fma_f32 v4, v190, v142, -v4
	v_fmac_f32_e32 v228, v195, v146
	v_add_f32_e32 v3, v3, v224
	v_dual_mul_f32 v231, v200, v153 :: v_dual_mul_f32 v232, v202, v155
	v_dual_fmac_f32 v230, v199, v150 :: v_dual_fmac_f32 v233, v209, v204
	s_delay_alu instid0(VALU_DEP_3) | instskip(SKIP_3) | instid1(VALU_DEP_3)
	v_add_f32_e32 v3, v3, v225
	v_dual_add_f32 v2, v2, v5 :: v_dual_mul_f32 v5, v195, v147
	v_fma_f32 v6, v192, v144, -v6
	v_fmac_f32_e32 v231, v201, v152
	v_dual_add_f32 v3, v3, v226 :: v_dual_add_f32 v2, v2, v4
	v_mul_f32_e32 v4, v197, v149
	v_fma_f32 v5, v194, v146, -v5
	v_fmac_f32_e32 v232, v203, v154
	s_delay_alu instid0(VALU_DEP_4) | instskip(SKIP_2) | instid1(VALU_DEP_3)
	v_dual_add_f32 v3, v3, v227 :: v_dual_add_f32 v2, v2, v6
	v_mul_f32_e32 v6, v199, v151
	v_fma_f32 v4, v196, v148, -v4
	v_add_f32_e32 v2, v2, v5
	v_mul_f32_e32 v5, v201, v153
	v_add_f32_e32 v3, v3, v228
	v_fma_f32 v6, v198, v150, -v6
	s_delay_alu instid0(VALU_DEP_3) | instskip(NEXT) | instid1(VALU_DEP_3)
	v_fma_f32 v5, v200, v152, -v5
	v_add_f32_e32 v3, v3, v229
	s_delay_alu instid0(VALU_DEP_1) | instskip(SKIP_1) | instid1(VALU_DEP_2)
	v_dual_add_f32 v3, v3, v230 :: v_dual_add_f32 v2, v2, v4
	v_mul_f32_e32 v4, v203, v155
	v_dual_add_f32 v3, v3, v231 :: v_dual_add_f32 v2, v2, v6
	v_mul_f32_e32 v6, v209, v205
	s_delay_alu instid0(VALU_DEP_3) | instskip(NEXT) | instid1(VALU_DEP_3)
	v_fma_f32 v4, v202, v154, -v4
	v_add_f32_e32 v3, v3, v232
	s_delay_alu instid0(VALU_DEP_1) | instskip(SKIP_3) | instid1(VALU_DEP_2)
	v_add_f32_e32 v3, v3, v233
	v_add_f32_e32 v2, v2, v5
	v_fma_f32 v5, v208, v204, -v6
	s_wait_loadcnt 0x0
	v_dual_sub_f32 v3, v207, v3 :: v_dual_add_f32 v2, v2, v4
	s_delay_alu instid0(VALU_DEP_1) | instskip(NEXT) | instid1(VALU_DEP_1)
	v_add_f32_e32 v2, v2, v5
	v_sub_f32_e32 v2, v206, v2
	scratch_store_b64 off, v[2:3], off offset:208
	v_cmpx_lt_u32_e32 25, v0
	s_cbranch_execz .LBB51_275
; %bb.274:
	scratch_load_b64 v[3:4], off, off offset:200
	v_mov_b32_e32 v2, v1
	scratch_store_b64 off, v[1:2], off offset:200
	s_wait_loadcnt 0x0
	ds_store_b64 v27, v[3:4]
.LBB51_275:
	s_wait_alu 0xfffe
	s_or_b32 exec_lo, exec_lo, s0
	s_wait_storecnt_dscnt 0x0
	s_barrier_signal -1
	s_barrier_wait -1
	global_inv scope:SCOPE_SE
	s_clause 0xd
	scratch_load_b128 v[2:5], off, off offset:208
	scratch_load_b128 v[6:9], off, off offset:224
	;; [unrolled: 1-line block ×13, first 2 shown]
	scratch_load_b64 v[212:213], off, off offset:200
	ds_load_b128 v[160:163], v1 offset:624
	ds_load_b128 v[164:167], v1 offset:640
	;; [unrolled: 1-line block ×13, first 2 shown]
	s_mov_b32 s0, exec_lo
	s_wait_loadcnt_dscnt 0xd0c
	v_dual_mul_f32 v1, v160, v3 :: v_dual_mul_f32 v26, v162, v5
	s_wait_loadcnt_dscnt 0xc0b
	v_dual_mul_f32 v5, v163, v5 :: v_dual_mul_f32 v214, v164, v7
	v_mul_f32_e32 v215, v166, v9
	s_wait_loadcnt_dscnt 0xb0a
	v_dual_fmac_f32 v1, v161, v2 :: v_dual_mul_f32 v216, v168, v11
	v_mul_f32_e32 v217, v170, v13
	v_dual_mul_f32 v3, v161, v3 :: v_dual_fmac_f32 v26, v163, v4
	s_wait_loadcnt_dscnt 0xa09
	v_dual_mul_f32 v218, v172, v15 :: v_dual_mul_f32 v219, v174, v17
	s_wait_loadcnt_dscnt 0x201
	v_mul_f32_e32 v234, v204, v153
	v_fma_f32 v3, v160, v2, -v3
	s_wait_loadcnt_dscnt 0x100
	v_mul_f32_e32 v237, v210, v159
	v_mul_f32_e32 v2, v165, v7
	v_fma_f32 v4, v162, v4, -v5
	v_dual_mul_f32 v5, v167, v9 :: v_dual_fmac_f32 v216, v169, v10
	v_dual_add_f32 v3, 0, v3 :: v_dual_fmac_f32 v214, v165, v6
	s_delay_alu instid0(VALU_DEP_4) | instskip(NEXT) | instid1(VALU_DEP_3)
	v_fma_f32 v2, v164, v6, -v2
	v_fma_f32 v5, v166, v8, -v5
	s_delay_alu instid0(VALU_DEP_3) | instskip(SKIP_2) | instid1(VALU_DEP_3)
	v_dual_fmac_f32 v218, v173, v14 :: v_dual_add_f32 v3, v3, v4
	v_dual_mul_f32 v220, v176, v19 :: v_dual_mul_f32 v221, v178, v21
	v_dual_mul_f32 v222, v180, v23 :: v_dual_mul_f32 v223, v182, v25
	v_add_f32_e32 v2, v3, v2
	s_delay_alu instid0(VALU_DEP_3) | instskip(SKIP_1) | instid1(VALU_DEP_3)
	v_dual_mul_f32 v3, v171, v13 :: v_dual_fmac_f32 v220, v177, v18
	v_dual_mul_f32 v4, v169, v11 :: v_dual_fmac_f32 v219, v175, v16
	v_add_f32_e32 v2, v2, v5
	v_add_f32_e32 v1, 0, v1
	s_delay_alu instid0(VALU_DEP_4) | instskip(NEXT) | instid1(VALU_DEP_4)
	v_fma_f32 v3, v170, v12, -v3
	v_fma_f32 v4, v168, v10, -v4
	v_dual_mul_f32 v224, v184, v133 :: v_dual_mul_f32 v225, v186, v135
	s_delay_alu instid0(VALU_DEP_4) | instskip(SKIP_1) | instid1(VALU_DEP_4)
	v_dual_add_f32 v1, v1, v26 :: v_dual_mul_f32 v228, v192, v141
	v_mul_f32_e32 v229, v194, v143
	v_add_f32_e32 v2, v2, v4
	s_delay_alu instid0(VALU_DEP_3) | instskip(SKIP_2) | instid1(VALU_DEP_3)
	v_dual_mul_f32 v4, v175, v17 :: v_dual_add_f32 v1, v1, v214
	v_dual_fmac_f32 v215, v167, v8 :: v_dual_mul_f32 v226, v188, v137
	v_mul_f32_e32 v227, v190, v139
	v_fma_f32 v4, v174, v16, -v4
	v_mul_f32_e32 v5, v173, v15
	v_add_f32_e32 v2, v2, v3
	v_add_f32_e32 v1, v1, v215
	v_dual_fmac_f32 v223, v183, v24 :: v_dual_mul_f32 v230, v196, v145
	v_mul_f32_e32 v231, v198, v147
	v_fma_f32 v5, v172, v14, -v5
	v_dual_fmac_f32 v217, v171, v12 :: v_dual_fmac_f32 v222, v181, v22
	v_dual_mul_f32 v232, v200, v149 :: v_dual_mul_f32 v233, v202, v151
	s_delay_alu instid0(VALU_DEP_3) | instskip(SKIP_2) | instid1(VALU_DEP_3)
	v_add_f32_e32 v2, v2, v5
	v_mul_f32_e32 v5, v179, v21
	v_dual_fmac_f32 v225, v187, v134 :: v_dual_fmac_f32 v226, v189, v136
	v_dual_fmac_f32 v231, v199, v146 :: v_dual_add_f32 v2, v2, v4
	s_delay_alu instid0(VALU_DEP_3) | instskip(SKIP_4) | instid1(VALU_DEP_4)
	v_fma_f32 v5, v178, v20, -v5
	v_mul_f32_e32 v3, v177, v19
	v_mul_f32_e32 v4, v181, v23
	v_dual_mul_f32 v235, v206, v155 :: v_dual_mul_f32 v236, v208, v157
	v_fmac_f32_e32 v224, v185, v132
	v_fma_f32 v3, v176, v18, -v3
	v_add_f32_e32 v1, v1, v216
	v_fma_f32 v4, v180, v22, -v4
	v_dual_fmac_f32 v229, v195, v142 :: v_dual_fmac_f32 v232, v201, v148
	s_delay_alu instid0(VALU_DEP_4) | instskip(SKIP_2) | instid1(VALU_DEP_3)
	v_dual_add_f32 v2, v2, v3 :: v_dual_mul_f32 v3, v183, v25
	v_fmac_f32_e32 v235, v207, v154
	v_dual_fmac_f32 v237, v211, v158 :: v_dual_fmac_f32 v228, v193, v140
	v_add_f32_e32 v2, v2, v5
	v_add_f32_e32 v1, v1, v217
	v_fma_f32 v3, v182, v24, -v3
	v_fmac_f32_e32 v230, v197, v144
	v_fmac_f32_e32 v234, v205, v152
	s_delay_alu instid0(VALU_DEP_4) | instskip(SKIP_3) | instid1(VALU_DEP_4)
	v_dual_add_f32 v2, v2, v4 :: v_dual_add_f32 v1, v1, v218
	v_mul_f32_e32 v4, v187, v135
	v_fmac_f32_e32 v221, v179, v20
	v_fmac_f32_e32 v236, v209, v156
	v_dual_add_f32 v2, v2, v3 :: v_dual_mul_f32 v3, v189, v137
	s_delay_alu instid0(VALU_DEP_4) | instskip(SKIP_1) | instid1(VALU_DEP_3)
	v_fma_f32 v4, v186, v134, -v4
	v_mul_f32_e32 v5, v185, v133
	v_fma_f32 v3, v188, v136, -v3
	s_delay_alu instid0(VALU_DEP_2) | instskip(NEXT) | instid1(VALU_DEP_1)
	v_fma_f32 v5, v184, v132, -v5
	v_dual_add_f32 v1, v1, v219 :: v_dual_add_f32 v2, v2, v5
	s_delay_alu instid0(VALU_DEP_1) | instskip(NEXT) | instid1(VALU_DEP_2)
	v_dual_mul_f32 v5, v191, v139 :: v_dual_add_f32 v2, v2, v4
	v_add_f32_e32 v1, v1, v220
	v_mul_f32_e32 v4, v193, v141
	s_delay_alu instid0(VALU_DEP_3) | instskip(NEXT) | instid1(VALU_DEP_4)
	v_fma_f32 v5, v190, v138, -v5
	v_dual_add_f32 v2, v2, v3 :: v_dual_fmac_f32 v227, v191, v138
	v_mul_f32_e32 v3, v195, v143
	s_delay_alu instid0(VALU_DEP_4) | instskip(NEXT) | instid1(VALU_DEP_3)
	v_fma_f32 v4, v192, v140, -v4
	v_add_f32_e32 v2, v2, v5
	v_add_f32_e32 v1, v1, v221
	s_delay_alu instid0(VALU_DEP_4) | instskip(NEXT) | instid1(VALU_DEP_3)
	v_fma_f32 v3, v194, v142, -v3
	v_dual_add_f32 v2, v2, v4 :: v_dual_mul_f32 v5, v197, v145
	s_delay_alu instid0(VALU_DEP_3) | instskip(NEXT) | instid1(VALU_DEP_2)
	v_dual_add_f32 v1, v1, v222 :: v_dual_mul_f32 v4, v199, v147
	v_add_f32_e32 v2, v2, v3
	s_delay_alu instid0(VALU_DEP_3) | instskip(NEXT) | instid1(VALU_DEP_3)
	v_fma_f32 v5, v196, v144, -v5
	v_add_f32_e32 v1, v1, v223
	v_mul_f32_e32 v3, v201, v149
	v_fma_f32 v4, v198, v146, -v4
	s_delay_alu instid0(VALU_DEP_4) | instskip(NEXT) | instid1(VALU_DEP_3)
	v_dual_add_f32 v2, v2, v5 :: v_dual_mul_f32 v5, v203, v151
	v_fma_f32 v3, v200, v148, -v3
	s_delay_alu instid0(VALU_DEP_2) | instskip(SKIP_3) | instid1(VALU_DEP_4)
	v_add_f32_e32 v2, v2, v4
	v_add_f32_e32 v1, v1, v224
	v_mul_f32_e32 v4, v205, v153
	v_fma_f32 v5, v202, v150, -v5
	v_dual_add_f32 v2, v2, v3 :: v_dual_fmac_f32 v233, v203, v150
	v_mul_f32_e32 v3, v207, v155
	s_delay_alu instid0(VALU_DEP_4) | instskip(NEXT) | instid1(VALU_DEP_3)
	v_fma_f32 v4, v204, v152, -v4
	v_add_f32_e32 v2, v2, v5
	v_add_f32_e32 v1, v1, v225
	s_delay_alu instid0(VALU_DEP_4) | instskip(NEXT) | instid1(VALU_DEP_2)
	v_fma_f32 v3, v206, v154, -v3
	v_dual_add_f32 v2, v2, v4 :: v_dual_add_f32 v1, v1, v226
	v_dual_mul_f32 v4, v211, v159 :: v_dual_mul_f32 v5, v209, v157
	s_delay_alu instid0(VALU_DEP_2) | instskip(NEXT) | instid1(VALU_DEP_2)
	v_add_f32_e32 v2, v2, v3
	v_fma_f32 v3, v210, v158, -v4
	s_delay_alu instid0(VALU_DEP_3) | instskip(NEXT) | instid1(VALU_DEP_1)
	v_fma_f32 v5, v208, v156, -v5
	v_dual_add_f32 v1, v1, v227 :: v_dual_add_f32 v2, v2, v5
	s_delay_alu instid0(VALU_DEP_1) | instskip(NEXT) | instid1(VALU_DEP_1)
	v_dual_add_f32 v1, v1, v228 :: v_dual_add_f32 v2, v2, v3
	v_add_f32_e32 v1, v1, v229
	s_delay_alu instid0(VALU_DEP_1) | instskip(NEXT) | instid1(VALU_DEP_1)
	v_add_f32_e32 v1, v1, v230
	v_add_f32_e32 v1, v1, v231
	s_delay_alu instid0(VALU_DEP_1) | instskip(NEXT) | instid1(VALU_DEP_1)
	v_add_f32_e32 v1, v1, v232
	;; [unrolled: 3-line block ×4, first 2 shown]
	v_add_f32_e32 v3, v1, v237
	s_wait_loadcnt 0x0
	s_delay_alu instid0(VALU_DEP_1)
	v_dual_sub_f32 v1, v212, v2 :: v_dual_sub_f32 v2, v213, v3
	scratch_store_b64 off, v[1:2], off offset:200
	v_cmpx_lt_u32_e32 24, v0
	s_cbranch_execz .LBB51_277
; %bb.276:
	scratch_load_b64 v[1:2], off, off offset:192
	v_mov_b32_e32 v3, 0
	s_delay_alu instid0(VALU_DEP_1)
	v_mov_b32_e32 v4, v3
	scratch_store_b64 off, v[3:4], off offset:192
	s_wait_loadcnt 0x0
	ds_store_b64 v27, v[1:2]
.LBB51_277:
	s_wait_alu 0xfffe
	s_or_b32 exec_lo, exec_lo, s0
	s_wait_storecnt_dscnt 0x0
	s_barrier_signal -1
	s_barrier_wait -1
	global_inv scope:SCOPE_SE
	s_clause 0xe
	scratch_load_b128 v[2:5], off, off offset:200
	scratch_load_b128 v[6:9], off, off offset:216
	scratch_load_b128 v[10:13], off, off offset:232
	scratch_load_b128 v[14:17], off, off offset:248
	scratch_load_b128 v[18:21], off, off offset:264
	scratch_load_b128 v[22:25], off, off offset:280
	scratch_load_b128 v[132:135], off, off offset:296
	scratch_load_b128 v[136:139], off, off offset:312
	scratch_load_b128 v[140:143], off, off offset:328
	scratch_load_b128 v[144:147], off, off offset:344
	scratch_load_b128 v[148:151], off, off offset:360
	scratch_load_b128 v[152:155], off, off offset:376
	scratch_load_b128 v[156:159], off, off offset:392
	scratch_load_b64 v[212:213], off, off offset:408
	scratch_load_b64 v[214:215], off, off offset:192
	v_mov_b32_e32 v1, 0
	ds_load_2addr_b64 v[160:163], v1 offset0:77 offset1:78
	ds_load_2addr_b64 v[164:167], v1 offset0:79 offset1:80
	;; [unrolled: 1-line block ×13, first 2 shown]
	ds_load_b64 v[216:217], v1 offset:824
	s_mov_b32 s0, exec_lo
	s_wait_loadcnt_dscnt 0xe0d
	v_mul_f32_e32 v26, v160, v3
	v_dual_mul_f32 v3, v161, v3 :: v_dual_mul_f32 v218, v162, v5
	s_wait_loadcnt_dscnt 0xd0c
	v_mul_f32_e32 v219, v164, v7
	v_mul_f32_e32 v5, v163, v5
	s_wait_loadcnt_dscnt 0x908
	v_mul_f32_e32 v228, v182, v25
	v_fma_f32 v3, v160, v2, -v3
	v_dual_mul_f32 v220, v166, v9 :: v_dual_mul_f32 v221, v168, v11
	v_fmac_f32_e32 v26, v161, v2
	v_mul_f32_e32 v2, v165, v7
	s_delay_alu instid0(VALU_DEP_4)
	v_dual_fmac_f32 v218, v163, v4 :: v_dual_add_f32 v3, 0, v3
	s_wait_loadcnt_dscnt 0x100
	v_mul_f32_e32 v243, v216, v213
	v_fma_f32 v4, v162, v4, -v5
	v_dual_add_f32 v5, 0, v26 :: v_dual_fmac_f32 v220, v167, v8
	v_mul_f32_e32 v7, v167, v9
	v_fma_f32 v2, v164, v6, -v2
	s_delay_alu instid0(VALU_DEP_4)
	v_add_f32_e32 v3, v3, v4
	v_fmac_f32_e32 v219, v165, v6
	v_add_f32_e32 v4, v5, v218
	v_mul_f32_e32 v5, v169, v11
	v_fma_f32 v6, v166, v8, -v7
	v_add_f32_e32 v2, v3, v2
	v_dual_mul_f32 v222, v170, v13 :: v_dual_mul_f32 v223, v172, v15
	v_dual_add_f32 v3, v4, v219 :: v_dual_mul_f32 v4, v171, v13
	v_fma_f32 v5, v168, v10, -v5
	s_delay_alu instid0(VALU_DEP_4)
	v_add_f32_e32 v2, v2, v6
	v_fmac_f32_e32 v221, v169, v10
	v_mul_f32_e32 v6, v173, v15
	v_fmac_f32_e32 v222, v171, v12
	v_add_f32_e32 v3, v3, v220
	v_fma_f32 v4, v170, v12, -v4
	v_add_f32_e32 v2, v2, v5
	v_dual_mul_f32 v224, v174, v17 :: v_dual_mul_f32 v225, v176, v19
	s_delay_alu instid0(VALU_DEP_4)
	v_add_f32_e32 v3, v3, v221
	v_mul_f32_e32 v5, v175, v17
	v_fma_f32 v6, v172, v14, -v6
	v_dual_add_f32 v2, v2, v4 :: v_dual_fmac_f32 v223, v173, v14
	v_fmac_f32_e32 v224, v175, v16
	v_mul_f32_e32 v4, v177, v19
	v_fma_f32 v5, v174, v16, -v5
	s_delay_alu instid0(VALU_DEP_4) | instskip(SKIP_3) | instid1(VALU_DEP_3)
	v_add_f32_e32 v2, v2, v6
	v_add_f32_e32 v3, v3, v222
	v_dual_mul_f32 v6, v179, v21 :: v_dual_fmac_f32 v225, v177, v18
	v_fma_f32 v4, v176, v18, -v4
	v_dual_add_f32 v2, v2, v5 :: v_dual_add_f32 v3, v3, v223
	v_dual_mul_f32 v226, v178, v21 :: v_dual_mul_f32 v227, v180, v23
	v_mul_f32_e32 v5, v181, v23
	v_fma_f32 v6, v178, v20, -v6
	s_delay_alu instid0(VALU_DEP_4) | instskip(SKIP_4) | instid1(VALU_DEP_4)
	v_add_f32_e32 v2, v2, v4
	v_add_f32_e32 v3, v3, v224
	v_fmac_f32_e32 v226, v179, v20
	v_dual_mul_f32 v4, v183, v25 :: v_dual_fmac_f32 v227, v181, v22
	v_fma_f32 v5, v180, v22, -v5
	v_dual_add_f32 v2, v2, v6 :: v_dual_add_f32 v3, v3, v225
	v_mul_f32_e32 v6, v185, v133
	s_delay_alu instid0(VALU_DEP_4) | instskip(SKIP_1) | instid1(VALU_DEP_4)
	v_fma_f32 v4, v182, v24, -v4
	v_dual_mul_f32 v229, v184, v133 :: v_dual_mul_f32 v230, v186, v135
	v_dual_add_f32 v3, v3, v226 :: v_dual_add_f32 v2, v2, v5
	s_delay_alu instid0(VALU_DEP_4) | instskip(SKIP_1) | instid1(VALU_DEP_4)
	v_fma_f32 v6, v184, v132, -v6
	v_fmac_f32_e32 v228, v183, v24
	v_dual_fmac_f32 v229, v185, v132 :: v_dual_fmac_f32 v230, v187, v134
	s_delay_alu instid0(VALU_DEP_4) | instskip(SKIP_3) | instid1(VALU_DEP_3)
	v_add_f32_e32 v3, v3, v227
	v_dual_mul_f32 v5, v187, v135 :: v_dual_add_f32 v2, v2, v4
	v_dual_mul_f32 v231, v188, v137 :: v_dual_mul_f32 v232, v190, v139
	v_mul_f32_e32 v4, v189, v137
	v_fma_f32 v5, v186, v134, -v5
	s_delay_alu instid0(VALU_DEP_4) | instskip(NEXT) | instid1(VALU_DEP_4)
	v_add_f32_e32 v2, v2, v6
	v_dual_mul_f32 v6, v191, v139 :: v_dual_fmac_f32 v231, v189, v136
	s_delay_alu instid0(VALU_DEP_4) | instskip(SKIP_1) | instid1(VALU_DEP_4)
	v_fma_f32 v4, v188, v136, -v4
	v_dual_mul_f32 v233, v192, v141 :: v_dual_mul_f32 v234, v194, v143
	v_add_f32_e32 v2, v2, v5
	v_mul_f32_e32 v5, v193, v141
	v_add_f32_e32 v3, v3, v228
	s_delay_alu instid0(VALU_DEP_4) | instskip(SKIP_2) | instid1(VALU_DEP_4)
	v_dual_fmac_f32 v232, v191, v138 :: v_dual_fmac_f32 v233, v193, v140
	v_fma_f32 v6, v190, v138, -v6
	v_dual_mul_f32 v235, v196, v145 :: v_dual_mul_f32 v236, v198, v147
	v_add_f32_e32 v3, v3, v229
	v_dual_mul_f32 v237, v200, v149 :: v_dual_mul_f32 v238, v202, v151
	v_fma_f32 v5, v192, v140, -v5
	v_fmac_f32_e32 v234, v195, v142
	s_delay_alu instid0(VALU_DEP_4) | instskip(SKIP_2) | instid1(VALU_DEP_3)
	v_dual_add_f32 v3, v3, v230 :: v_dual_add_f32 v2, v2, v4
	v_dual_mul_f32 v4, v195, v143 :: v_dual_fmac_f32 v235, v197, v144
	v_fmac_f32_e32 v237, v201, v148
	v_dual_add_f32 v3, v3, v231 :: v_dual_add_f32 v2, v2, v6
	v_mul_f32_e32 v6, v197, v145
	s_delay_alu instid0(VALU_DEP_4) | instskip(SKIP_1) | instid1(VALU_DEP_4)
	v_fma_f32 v4, v194, v142, -v4
	v_dual_mul_f32 v241, v208, v157 :: v_dual_mul_f32 v242, v210, v159
	v_add_f32_e32 v3, v3, v232
	v_dual_fmac_f32 v236, v199, v146 :: v_dual_mul_f32 v239, v204, v153
	v_mul_f32_e32 v240, v206, v155
	s_delay_alu instid0(VALU_DEP_4) | instskip(NEXT) | instid1(VALU_DEP_4)
	v_dual_fmac_f32 v238, v203, v150 :: v_dual_fmac_f32 v241, v209, v156
	v_add_f32_e32 v3, v3, v233
	v_dual_add_f32 v2, v2, v5 :: v_dual_mul_f32 v5, v199, v147
	v_fma_f32 v6, v196, v144, -v6
	v_fmac_f32_e32 v239, v205, v152
	s_delay_alu instid0(VALU_DEP_3) | instskip(SKIP_3) | instid1(VALU_DEP_4)
	v_dual_add_f32 v3, v3, v234 :: v_dual_add_f32 v2, v2, v4
	v_mul_f32_e32 v4, v201, v149
	v_fma_f32 v5, v198, v146, -v5
	v_fmac_f32_e32 v240, v207, v154
	v_dual_add_f32 v3, v3, v235 :: v_dual_add_f32 v2, v2, v6
	v_mul_f32_e32 v6, v203, v151
	v_fma_f32 v4, v200, v148, -v4
	v_dual_fmac_f32 v243, v217, v212 :: v_dual_fmac_f32 v242, v211, v158
	s_delay_alu instid0(VALU_DEP_4) | instskip(SKIP_3) | instid1(VALU_DEP_3)
	v_add_f32_e32 v2, v2, v5
	v_mul_f32_e32 v5, v205, v153
	v_add_f32_e32 v3, v3, v236
	v_fma_f32 v6, v202, v150, -v6
	v_fma_f32 v5, v204, v152, -v5
	s_delay_alu instid0(VALU_DEP_3) | instskip(NEXT) | instid1(VALU_DEP_1)
	v_add_f32_e32 v3, v3, v237
	v_dual_add_f32 v3, v3, v238 :: v_dual_add_f32 v2, v2, v4
	v_mul_f32_e32 v4, v207, v155
	s_delay_alu instid0(VALU_DEP_2) | instskip(SKIP_1) | instid1(VALU_DEP_3)
	v_dual_add_f32 v3, v3, v239 :: v_dual_add_f32 v2, v2, v6
	v_mul_f32_e32 v6, v209, v157
	v_fma_f32 v4, v206, v154, -v4
	s_delay_alu instid0(VALU_DEP_3) | instskip(SKIP_1) | instid1(VALU_DEP_4)
	v_dual_add_f32 v3, v3, v240 :: v_dual_add_f32 v2, v2, v5
	v_mul_f32_e32 v5, v211, v159
	v_fma_f32 v6, v208, v156, -v6
	s_delay_alu instid0(VALU_DEP_3) | instskip(SKIP_1) | instid1(VALU_DEP_4)
	v_dual_add_f32 v3, v3, v241 :: v_dual_add_f32 v2, v2, v4
	v_mul_f32_e32 v4, v217, v213
	v_fma_f32 v5, v210, v158, -v5
	s_delay_alu instid0(VALU_DEP_3) | instskip(NEXT) | instid1(VALU_DEP_4)
	v_add_f32_e32 v3, v3, v242
	v_add_f32_e32 v2, v2, v6
	s_delay_alu instid0(VALU_DEP_4) | instskip(NEXT) | instid1(VALU_DEP_2)
	v_fma_f32 v4, v216, v212, -v4
	v_dual_add_f32 v3, v3, v243 :: v_dual_add_f32 v2, v2, v5
	s_wait_loadcnt 0x0
	s_delay_alu instid0(VALU_DEP_1) | instskip(NEXT) | instid1(VALU_DEP_1)
	v_dual_sub_f32 v3, v215, v3 :: v_dual_add_f32 v2, v2, v4
	v_sub_f32_e32 v2, v214, v2
	scratch_store_b64 off, v[2:3], off offset:192
	v_cmpx_lt_u32_e32 23, v0
	s_cbranch_execz .LBB51_279
; %bb.278:
	scratch_load_b64 v[3:4], off, off offset:184
	v_mov_b32_e32 v2, v1
	scratch_store_b64 off, v[1:2], off offset:184
	s_wait_loadcnt 0x0
	ds_store_b64 v27, v[3:4]
.LBB51_279:
	s_wait_alu 0xfffe
	s_or_b32 exec_lo, exec_lo, s0
	s_wait_storecnt_dscnt 0x0
	s_barrier_signal -1
	s_barrier_wait -1
	global_inv scope:SCOPE_SE
	s_clause 0xe
	scratch_load_b128 v[2:5], off, off offset:192
	scratch_load_b128 v[6:9], off, off offset:208
	;; [unrolled: 1-line block ×14, first 2 shown]
	scratch_load_b64 v[220:221], off, off offset:184
	ds_load_b128 v[164:167], v1 offset:608
	ds_load_b128 v[168:171], v1 offset:624
	;; [unrolled: 1-line block ×14, first 2 shown]
	s_mov_b32 s0, exec_lo
	s_wait_loadcnt_dscnt 0xe0d
	v_dual_mul_f32 v1, v164, v3 :: v_dual_mul_f32 v26, v166, v5
	s_wait_loadcnt_dscnt 0xd0c
	v_dual_mul_f32 v5, v167, v5 :: v_dual_mul_f32 v222, v168, v7
	v_mul_f32_e32 v223, v170, v9
	s_wait_loadcnt_dscnt 0xc0b
	v_dual_fmac_f32 v1, v165, v2 :: v_dual_mul_f32 v224, v172, v11
	v_mul_f32_e32 v225, v174, v13
	v_dual_mul_f32 v3, v165, v3 :: v_dual_fmac_f32 v26, v167, v4
	s_wait_loadcnt_dscnt 0xb0a
	v_dual_mul_f32 v226, v176, v15 :: v_dual_mul_f32 v227, v178, v17
	s_wait_loadcnt_dscnt 0x201
	v_mul_f32_e32 v244, v212, v157
	v_fma_f32 v3, v164, v2, -v3
	s_wait_loadcnt_dscnt 0x100
	v_mul_f32_e32 v247, v218, v163
	v_mul_f32_e32 v2, v169, v7
	v_fma_f32 v4, v166, v4, -v5
	v_dual_mul_f32 v5, v171, v9 :: v_dual_fmac_f32 v224, v173, v10
	v_dual_add_f32 v3, 0, v3 :: v_dual_fmac_f32 v222, v169, v6
	s_delay_alu instid0(VALU_DEP_4) | instskip(NEXT) | instid1(VALU_DEP_3)
	v_fma_f32 v2, v168, v6, -v2
	v_fma_f32 v5, v170, v8, -v5
	s_delay_alu instid0(VALU_DEP_3) | instskip(SKIP_2) | instid1(VALU_DEP_3)
	v_dual_fmac_f32 v226, v177, v14 :: v_dual_add_f32 v3, v3, v4
	v_dual_mul_f32 v228, v180, v19 :: v_dual_mul_f32 v229, v182, v21
	v_dual_mul_f32 v230, v184, v23 :: v_dual_mul_f32 v231, v186, v25
	v_add_f32_e32 v2, v3, v2
	s_delay_alu instid0(VALU_DEP_3) | instskip(SKIP_1) | instid1(VALU_DEP_3)
	v_dual_mul_f32 v3, v175, v13 :: v_dual_fmac_f32 v228, v181, v18
	v_dual_fmac_f32 v227, v179, v16 :: v_dual_mul_f32 v4, v173, v11
	v_add_f32_e32 v2, v2, v5
	v_add_f32_e32 v1, 0, v1
	s_delay_alu instid0(VALU_DEP_4) | instskip(SKIP_2) | instid1(VALU_DEP_4)
	v_fma_f32 v3, v174, v12, -v3
	v_dual_mul_f32 v232, v188, v133 :: v_dual_mul_f32 v233, v190, v135
	v_fma_f32 v4, v172, v10, -v4
	v_dual_add_f32 v1, v1, v26 :: v_dual_mul_f32 v236, v196, v141
	v_dual_mul_f32 v237, v198, v143 :: v_dual_mul_f32 v234, v192, v137
	v_mul_f32_e32 v235, v194, v139
	s_delay_alu instid0(VALU_DEP_3) | instskip(SKIP_2) | instid1(VALU_DEP_3)
	v_dual_add_f32 v2, v2, v4 :: v_dual_add_f32 v1, v1, v222
	v_mul_f32_e32 v4, v179, v17
	v_fmac_f32_e32 v223, v171, v8
	v_dual_fmac_f32 v231, v187, v24 :: v_dual_add_f32 v2, v2, v3
	v_dual_mul_f32 v238, v200, v145 :: v_dual_mul_f32 v239, v202, v147
	s_delay_alu instid0(VALU_DEP_4) | instskip(SKIP_3) | instid1(VALU_DEP_3)
	v_fma_f32 v4, v178, v16, -v4
	v_mul_f32_e32 v5, v177, v15
	v_dual_add_f32 v1, v1, v223 :: v_dual_mul_f32 v242, v208, v153
	v_dual_mul_f32 v243, v210, v155 :: v_dual_fmac_f32 v230, v185, v22
	v_fma_f32 v5, v176, v14, -v5
	v_dual_fmac_f32 v225, v175, v12 :: v_dual_mul_f32 v240, v204, v149
	v_mul_f32_e32 v241, v206, v151
	s_delay_alu instid0(VALU_DEP_3) | instskip(SKIP_3) | instid1(VALU_DEP_3)
	v_dual_fmac_f32 v239, v203, v146 :: v_dual_add_f32 v2, v2, v5
	v_mul_f32_e32 v5, v183, v21
	v_dual_fmac_f32 v233, v191, v134 :: v_dual_fmac_f32 v234, v193, v136
	v_dual_fmac_f32 v237, v199, v142 :: v_dual_fmac_f32 v240, v205, v148
	v_fma_f32 v5, v182, v20, -v5
	v_dual_mul_f32 v3, v181, v19 :: v_dual_add_f32 v2, v2, v4
	v_mul_f32_e32 v4, v185, v23
	v_dual_fmac_f32 v232, v189, v132 :: v_dual_mul_f32 v245, v214, v159
	v_mul_f32_e32 v246, v216, v161
	s_delay_alu instid0(VALU_DEP_4) | instskip(SKIP_2) | instid1(VALU_DEP_4)
	v_fma_f32 v3, v180, v18, -v3
	v_add_f32_e32 v1, v1, v224
	v_fma_f32 v4, v184, v22, -v4
	v_dual_fmac_f32 v243, v211, v154 :: v_dual_fmac_f32 v246, v217, v160
	s_delay_alu instid0(VALU_DEP_4) | instskip(SKIP_2) | instid1(VALU_DEP_3)
	v_dual_add_f32 v2, v2, v3 :: v_dual_mul_f32 v3, v187, v25
	v_fmac_f32_e32 v245, v215, v158
	v_dual_fmac_f32 v247, v219, v162 :: v_dual_fmac_f32 v236, v197, v140
	v_add_f32_e32 v2, v2, v5
	v_add_f32_e32 v1, v1, v225
	v_fma_f32 v3, v186, v24, -v3
	v_fmac_f32_e32 v238, v201, v144
	v_fmac_f32_e32 v242, v209, v152
	s_delay_alu instid0(VALU_DEP_4) | instskip(SKIP_3) | instid1(VALU_DEP_4)
	v_dual_add_f32 v2, v2, v4 :: v_dual_add_f32 v1, v1, v226
	v_mul_f32_e32 v4, v191, v135
	v_fmac_f32_e32 v229, v183, v20
	v_fmac_f32_e32 v244, v213, v156
	v_dual_add_f32 v2, v2, v3 :: v_dual_mul_f32 v3, v193, v137
	s_delay_alu instid0(VALU_DEP_4) | instskip(SKIP_1) | instid1(VALU_DEP_3)
	v_fma_f32 v4, v190, v134, -v4
	v_mul_f32_e32 v5, v189, v133
	v_fma_f32 v3, v192, v136, -v3
	s_delay_alu instid0(VALU_DEP_2) | instskip(NEXT) | instid1(VALU_DEP_1)
	v_fma_f32 v5, v188, v132, -v5
	v_dual_add_f32 v1, v1, v227 :: v_dual_add_f32 v2, v2, v5
	s_delay_alu instid0(VALU_DEP_1) | instskip(NEXT) | instid1(VALU_DEP_2)
	v_dual_mul_f32 v5, v195, v139 :: v_dual_add_f32 v2, v2, v4
	v_add_f32_e32 v1, v1, v228
	v_mul_f32_e32 v4, v197, v141
	s_delay_alu instid0(VALU_DEP_3) | instskip(NEXT) | instid1(VALU_DEP_4)
	v_fma_f32 v5, v194, v138, -v5
	v_dual_add_f32 v2, v2, v3 :: v_dual_fmac_f32 v235, v195, v138
	v_mul_f32_e32 v3, v199, v143
	s_delay_alu instid0(VALU_DEP_4) | instskip(NEXT) | instid1(VALU_DEP_3)
	v_fma_f32 v4, v196, v140, -v4
	v_add_f32_e32 v2, v2, v5
	v_add_f32_e32 v1, v1, v229
	s_delay_alu instid0(VALU_DEP_4) | instskip(NEXT) | instid1(VALU_DEP_3)
	v_fma_f32 v3, v198, v142, -v3
	v_dual_add_f32 v2, v2, v4 :: v_dual_mul_f32 v5, v201, v145
	s_delay_alu instid0(VALU_DEP_3) | instskip(NEXT) | instid1(VALU_DEP_2)
	v_dual_add_f32 v1, v1, v230 :: v_dual_mul_f32 v4, v203, v147
	v_add_f32_e32 v2, v2, v3
	s_delay_alu instid0(VALU_DEP_3) | instskip(NEXT) | instid1(VALU_DEP_3)
	v_fma_f32 v5, v200, v144, -v5
	v_add_f32_e32 v1, v1, v231
	v_mul_f32_e32 v3, v205, v149
	v_fma_f32 v4, v202, v146, -v4
	s_delay_alu instid0(VALU_DEP_4) | instskip(NEXT) | instid1(VALU_DEP_3)
	v_dual_add_f32 v2, v2, v5 :: v_dual_mul_f32 v5, v207, v151
	v_fma_f32 v3, v204, v148, -v3
	s_delay_alu instid0(VALU_DEP_2) | instskip(SKIP_3) | instid1(VALU_DEP_4)
	v_add_f32_e32 v2, v2, v4
	v_add_f32_e32 v1, v1, v232
	v_mul_f32_e32 v4, v209, v153
	v_fma_f32 v5, v206, v150, -v5
	v_dual_add_f32 v2, v2, v3 :: v_dual_fmac_f32 v241, v207, v150
	v_mul_f32_e32 v3, v211, v155
	s_delay_alu instid0(VALU_DEP_4) | instskip(NEXT) | instid1(VALU_DEP_3)
	v_fma_f32 v4, v208, v152, -v4
	v_add_f32_e32 v2, v2, v5
	v_add_f32_e32 v1, v1, v233
	s_delay_alu instid0(VALU_DEP_4) | instskip(NEXT) | instid1(VALU_DEP_3)
	v_fma_f32 v3, v210, v154, -v3
	v_dual_add_f32 v2, v2, v4 :: v_dual_mul_f32 v5, v213, v157
	s_delay_alu instid0(VALU_DEP_3) | instskip(NEXT) | instid1(VALU_DEP_2)
	v_dual_add_f32 v1, v1, v234 :: v_dual_mul_f32 v4, v215, v159
	v_add_f32_e32 v2, v2, v3
	s_delay_alu instid0(VALU_DEP_3) | instskip(NEXT) | instid1(VALU_DEP_3)
	v_fma_f32 v5, v212, v156, -v5
	v_add_f32_e32 v1, v1, v235
	v_mul_f32_e32 v3, v217, v161
	v_fma_f32 v4, v214, v158, -v4
	s_delay_alu instid0(VALU_DEP_4) | instskip(NEXT) | instid1(VALU_DEP_3)
	v_dual_add_f32 v2, v2, v5 :: v_dual_mul_f32 v5, v219, v163
	v_fma_f32 v3, v216, v160, -v3
	s_delay_alu instid0(VALU_DEP_2) | instskip(SKIP_1) | instid1(VALU_DEP_4)
	v_add_f32_e32 v2, v2, v4
	v_add_f32_e32 v1, v1, v236
	v_fma_f32 v4, v218, v162, -v5
	s_delay_alu instid0(VALU_DEP_2) | instskip(NEXT) | instid1(VALU_DEP_1)
	v_dual_add_f32 v2, v2, v3 :: v_dual_add_f32 v1, v1, v237
	v_dual_add_f32 v2, v2, v4 :: v_dual_add_f32 v1, v1, v238
	s_delay_alu instid0(VALU_DEP_1) | instskip(NEXT) | instid1(VALU_DEP_1)
	v_add_f32_e32 v1, v1, v239
	v_add_f32_e32 v1, v1, v240
	s_delay_alu instid0(VALU_DEP_1) | instskip(NEXT) | instid1(VALU_DEP_1)
	v_add_f32_e32 v1, v1, v241
	v_add_f32_e32 v1, v1, v242
	;; [unrolled: 3-line block ×4, first 2 shown]
	s_delay_alu instid0(VALU_DEP_1) | instskip(SKIP_1) | instid1(VALU_DEP_1)
	v_add_f32_e32 v3, v1, v247
	s_wait_loadcnt 0x0
	v_dual_sub_f32 v1, v220, v2 :: v_dual_sub_f32 v2, v221, v3
	scratch_store_b64 off, v[1:2], off offset:184
	v_cmpx_lt_u32_e32 22, v0
	s_cbranch_execz .LBB51_281
; %bb.280:
	scratch_load_b64 v[1:2], off, off offset:176
	v_mov_b32_e32 v3, 0
	s_delay_alu instid0(VALU_DEP_1)
	v_mov_b32_e32 v4, v3
	scratch_store_b64 off, v[3:4], off offset:176
	s_wait_loadcnt 0x0
	ds_store_b64 v27, v[1:2]
.LBB51_281:
	s_wait_alu 0xfffe
	s_or_b32 exec_lo, exec_lo, s0
	s_wait_storecnt_dscnt 0x0
	s_barrier_signal -1
	s_barrier_wait -1
	global_inv scope:SCOPE_SE
	s_clause 0xf
	scratch_load_b128 v[2:5], off, off offset:184
	scratch_load_b128 v[6:9], off, off offset:200
	scratch_load_b128 v[10:13], off, off offset:216
	scratch_load_b128 v[14:17], off, off offset:232
	scratch_load_b128 v[18:21], off, off offset:248
	scratch_load_b128 v[22:25], off, off offset:264
	scratch_load_b128 v[132:135], off, off offset:280
	scratch_load_b128 v[136:139], off, off offset:296
	scratch_load_b128 v[140:143], off, off offset:312
	scratch_load_b128 v[144:147], off, off offset:328
	scratch_load_b128 v[148:151], off, off offset:344
	scratch_load_b128 v[152:155], off, off offset:360
	scratch_load_b128 v[156:159], off, off offset:376
	scratch_load_b128 v[160:163], off, off offset:392
	scratch_load_b64 v[220:221], off, off offset:408
	scratch_load_b64 v[222:223], off, off offset:176
	v_mov_b32_e32 v1, 0
	ds_load_2addr_b64 v[164:167], v1 offset0:75 offset1:76
	ds_load_2addr_b64 v[168:171], v1 offset0:77 offset1:78
	ds_load_2addr_b64 v[172:175], v1 offset0:79 offset1:80
	ds_load_2addr_b64 v[176:179], v1 offset0:81 offset1:82
	ds_load_2addr_b64 v[180:183], v1 offset0:83 offset1:84
	ds_load_2addr_b64 v[184:187], v1 offset0:85 offset1:86
	ds_load_2addr_b64 v[188:191], v1 offset0:87 offset1:88
	ds_load_2addr_b64 v[192:195], v1 offset0:89 offset1:90
	ds_load_2addr_b64 v[196:199], v1 offset0:91 offset1:92
	ds_load_2addr_b64 v[200:203], v1 offset0:93 offset1:94
	ds_load_2addr_b64 v[204:207], v1 offset0:95 offset1:96
	ds_load_2addr_b64 v[208:211], v1 offset0:97 offset1:98
	ds_load_2addr_b64 v[212:215], v1 offset0:99 offset1:100
	ds_load_2addr_b64 v[216:219], v1 offset0:101 offset1:102
	ds_load_b64 v[224:225], v1 offset:824
	s_mov_b32 s0, exec_lo
	s_wait_loadcnt_dscnt 0xf0e
	v_mul_f32_e32 v26, v164, v3
	v_dual_mul_f32 v3, v165, v3 :: v_dual_mul_f32 v226, v166, v5
	s_wait_loadcnt_dscnt 0xe0d
	v_mul_f32_e32 v227, v168, v7
	v_mul_f32_e32 v5, v167, v5
	s_wait_loadcnt_dscnt 0xa09
	v_mul_f32_e32 v236, v186, v25
	v_fma_f32 v3, v164, v2, -v3
	v_dual_mul_f32 v228, v170, v9 :: v_dual_mul_f32 v229, v172, v11
	v_fmac_f32_e32 v226, v167, v4
	v_fmac_f32_e32 v26, v165, v2
	v_mul_f32_e32 v2, v169, v7
	v_fma_f32 v4, v166, v4, -v5
	v_add_f32_e32 v3, 0, v3
	s_wait_loadcnt_dscnt 0x100
	v_mul_f32_e32 v253, v224, v221
	v_dual_add_f32 v5, 0, v26 :: v_dual_fmac_f32 v228, v171, v8
	v_mul_f32_e32 v7, v171, v9
	v_fma_f32 v2, v168, v6, -v2
	v_add_f32_e32 v3, v3, v4
	v_fmac_f32_e32 v227, v169, v6
	v_add_f32_e32 v4, v5, v226
	v_mul_f32_e32 v5, v173, v11
	v_fma_f32 v6, v170, v8, -v7
	v_add_f32_e32 v2, v3, v2
	v_dual_mul_f32 v230, v174, v13 :: v_dual_mul_f32 v231, v176, v15
	v_dual_add_f32 v3, v4, v227 :: v_dual_mul_f32 v4, v175, v13
	v_fma_f32 v5, v172, v10, -v5
	s_delay_alu instid0(VALU_DEP_4)
	v_add_f32_e32 v2, v2, v6
	v_fmac_f32_e32 v229, v173, v10
	v_mul_f32_e32 v6, v177, v15
	v_fmac_f32_e32 v230, v175, v12
	v_add_f32_e32 v3, v3, v228
	v_fma_f32 v4, v174, v12, -v4
	v_add_f32_e32 v2, v2, v5
	v_dual_mul_f32 v232, v178, v17 :: v_dual_mul_f32 v233, v180, v19
	s_delay_alu instid0(VALU_DEP_4)
	v_add_f32_e32 v3, v3, v229
	v_mul_f32_e32 v5, v179, v17
	v_fma_f32 v6, v176, v14, -v6
	v_dual_add_f32 v2, v2, v4 :: v_dual_fmac_f32 v231, v177, v14
	v_fmac_f32_e32 v232, v179, v16
	v_mul_f32_e32 v4, v181, v19
	v_fma_f32 v5, v178, v16, -v5
	s_delay_alu instid0(VALU_DEP_4) | instskip(SKIP_3) | instid1(VALU_DEP_3)
	v_add_f32_e32 v2, v2, v6
	v_add_f32_e32 v3, v3, v230
	v_dual_mul_f32 v6, v183, v21 :: v_dual_fmac_f32 v233, v181, v18
	v_fma_f32 v4, v180, v18, -v4
	v_dual_add_f32 v2, v2, v5 :: v_dual_add_f32 v3, v3, v231
	v_dual_mul_f32 v234, v182, v21 :: v_dual_mul_f32 v235, v184, v23
	v_mul_f32_e32 v5, v185, v23
	v_fma_f32 v6, v182, v20, -v6
	s_delay_alu instid0(VALU_DEP_4) | instskip(SKIP_4) | instid1(VALU_DEP_4)
	v_add_f32_e32 v2, v2, v4
	v_add_f32_e32 v3, v3, v232
	v_fmac_f32_e32 v234, v183, v20
	v_dual_mul_f32 v4, v187, v25 :: v_dual_fmac_f32 v235, v185, v22
	v_fma_f32 v5, v184, v22, -v5
	v_dual_add_f32 v2, v2, v6 :: v_dual_add_f32 v3, v3, v233
	v_mul_f32_e32 v6, v189, v133
	s_delay_alu instid0(VALU_DEP_4) | instskip(SKIP_1) | instid1(VALU_DEP_4)
	v_fma_f32 v4, v186, v24, -v4
	v_dual_mul_f32 v237, v188, v133 :: v_dual_mul_f32 v238, v190, v135
	v_dual_add_f32 v3, v3, v234 :: v_dual_add_f32 v2, v2, v5
	s_delay_alu instid0(VALU_DEP_4) | instskip(SKIP_1) | instid1(VALU_DEP_4)
	v_fma_f32 v6, v188, v132, -v6
	v_fmac_f32_e32 v236, v187, v24
	v_dual_fmac_f32 v237, v189, v132 :: v_dual_fmac_f32 v238, v191, v134
	s_delay_alu instid0(VALU_DEP_4) | instskip(SKIP_3) | instid1(VALU_DEP_3)
	v_add_f32_e32 v3, v3, v235
	v_dual_mul_f32 v5, v191, v135 :: v_dual_add_f32 v2, v2, v4
	v_dual_mul_f32 v239, v192, v137 :: v_dual_mul_f32 v240, v194, v139
	v_mul_f32_e32 v4, v193, v137
	v_fma_f32 v5, v190, v134, -v5
	s_delay_alu instid0(VALU_DEP_4) | instskip(NEXT) | instid1(VALU_DEP_4)
	v_add_f32_e32 v2, v2, v6
	v_dual_mul_f32 v6, v195, v139 :: v_dual_fmac_f32 v239, v193, v136
	s_delay_alu instid0(VALU_DEP_4) | instskip(SKIP_1) | instid1(VALU_DEP_4)
	v_fma_f32 v4, v192, v136, -v4
	v_dual_mul_f32 v241, v196, v141 :: v_dual_mul_f32 v242, v198, v143
	v_add_f32_e32 v2, v2, v5
	v_mul_f32_e32 v5, v197, v141
	v_add_f32_e32 v3, v3, v236
	s_delay_alu instid0(VALU_DEP_4) | instskip(SKIP_2) | instid1(VALU_DEP_4)
	v_dual_fmac_f32 v240, v195, v138 :: v_dual_fmac_f32 v241, v197, v140
	v_fma_f32 v6, v194, v138, -v6
	v_dual_mul_f32 v243, v200, v145 :: v_dual_mul_f32 v244, v202, v147
	v_add_f32_e32 v3, v3, v237
	v_dual_mul_f32 v245, v204, v149 :: v_dual_mul_f32 v246, v206, v151
	v_fma_f32 v5, v196, v140, -v5
	v_fmac_f32_e32 v242, v199, v142
	s_delay_alu instid0(VALU_DEP_4) | instskip(SKIP_2) | instid1(VALU_DEP_3)
	v_dual_add_f32 v3, v3, v238 :: v_dual_add_f32 v2, v2, v4
	v_dual_mul_f32 v4, v199, v143 :: v_dual_fmac_f32 v243, v201, v144
	v_fmac_f32_e32 v245, v205, v148
	v_dual_add_f32 v3, v3, v239 :: v_dual_add_f32 v2, v2, v6
	v_mul_f32_e32 v6, v201, v145
	s_delay_alu instid0(VALU_DEP_4) | instskip(SKIP_1) | instid1(VALU_DEP_4)
	v_fma_f32 v4, v198, v142, -v4
	v_dual_mul_f32 v249, v212, v157 :: v_dual_mul_f32 v250, v214, v159
	v_add_f32_e32 v3, v3, v240
	v_dual_fmac_f32 v244, v203, v146 :: v_dual_mul_f32 v247, v208, v153
	v_mul_f32_e32 v248, v210, v155
	s_delay_alu instid0(VALU_DEP_4) | instskip(NEXT) | instid1(VALU_DEP_4)
	v_dual_fmac_f32 v246, v207, v150 :: v_dual_fmac_f32 v249, v213, v156
	v_add_f32_e32 v3, v3, v241
	v_dual_add_f32 v2, v2, v5 :: v_dual_mul_f32 v5, v203, v147
	v_fma_f32 v6, v200, v144, -v6
	v_fmac_f32_e32 v247, v209, v152
	s_delay_alu instid0(VALU_DEP_3) | instskip(SKIP_3) | instid1(VALU_DEP_4)
	v_dual_add_f32 v3, v3, v242 :: v_dual_add_f32 v2, v2, v4
	v_mul_f32_e32 v4, v205, v149
	v_fma_f32 v5, v202, v146, -v5
	v_dual_mul_f32 v251, v216, v161 :: v_dual_mul_f32 v252, v218, v163
	v_dual_add_f32 v3, v3, v243 :: v_dual_add_f32 v2, v2, v6
	v_mul_f32_e32 v6, v207, v151
	v_fma_f32 v4, v204, v148, -v4
	s_delay_alu instid0(VALU_DEP_4) | instskip(NEXT) | instid1(VALU_DEP_4)
	v_dual_fmac_f32 v248, v211, v154 :: v_dual_fmac_f32 v251, v217, v160
	v_add_f32_e32 v2, v2, v5
	v_mul_f32_e32 v5, v209, v153
	v_add_f32_e32 v3, v3, v244
	v_fma_f32 v6, v206, v150, -v6
	v_fmac_f32_e32 v252, v219, v162
	v_dual_fmac_f32 v250, v215, v158 :: v_dual_fmac_f32 v253, v225, v220
	s_delay_alu instid0(VALU_DEP_4) | instskip(SKIP_1) | instid1(VALU_DEP_2)
	v_add_f32_e32 v3, v3, v245
	v_fma_f32 v5, v208, v152, -v5
	v_dual_add_f32 v3, v3, v246 :: v_dual_add_f32 v2, v2, v4
	v_mul_f32_e32 v4, v211, v155
	s_delay_alu instid0(VALU_DEP_2) | instskip(SKIP_1) | instid1(VALU_DEP_3)
	v_dual_add_f32 v3, v3, v247 :: v_dual_add_f32 v2, v2, v6
	v_mul_f32_e32 v6, v213, v157
	v_fma_f32 v4, v210, v154, -v4
	s_delay_alu instid0(VALU_DEP_3) | instskip(NEXT) | instid1(VALU_DEP_3)
	v_dual_add_f32 v2, v2, v5 :: v_dual_mul_f32 v5, v215, v159
	v_fma_f32 v6, v212, v156, -v6
	s_delay_alu instid0(VALU_DEP_2) | instskip(NEXT) | instid1(VALU_DEP_3)
	v_add_f32_e32 v2, v2, v4
	v_fma_f32 v5, v214, v158, -v5
	s_delay_alu instid0(VALU_DEP_2) | instskip(SKIP_1) | instid1(VALU_DEP_2)
	v_add_f32_e32 v2, v2, v6
	v_mul_f32_e32 v6, v219, v163
	v_add_f32_e32 v2, v2, v5
	v_mul_f32_e32 v5, v225, v221
	v_add_f32_e32 v3, v3, v248
	s_delay_alu instid0(VALU_DEP_4) | instskip(NEXT) | instid1(VALU_DEP_2)
	v_fma_f32 v6, v218, v162, -v6
	v_add_f32_e32 v3, v3, v249
	s_delay_alu instid0(VALU_DEP_1) | instskip(NEXT) | instid1(VALU_DEP_1)
	v_dual_mul_f32 v4, v217, v161 :: v_dual_add_f32 v3, v3, v250
	v_fma_f32 v4, v216, v160, -v4
	s_delay_alu instid0(VALU_DEP_2) | instskip(NEXT) | instid1(VALU_DEP_1)
	v_add_f32_e32 v3, v3, v251
	v_add_f32_e32 v3, v3, v252
	s_delay_alu instid0(VALU_DEP_3) | instskip(SKIP_1) | instid1(VALU_DEP_2)
	v_add_f32_e32 v2, v2, v4
	v_fma_f32 v4, v224, v220, -v5
	v_dual_add_f32 v3, v3, v253 :: v_dual_add_f32 v2, v2, v6
	s_wait_loadcnt 0x0
	s_delay_alu instid0(VALU_DEP_1) | instskip(NEXT) | instid1(VALU_DEP_1)
	v_dual_sub_f32 v3, v223, v3 :: v_dual_add_f32 v2, v2, v4
	v_sub_f32_e32 v2, v222, v2
	scratch_store_b64 off, v[2:3], off offset:176
	v_cmpx_lt_u32_e32 21, v0
	s_cbranch_execz .LBB51_283
; %bb.282:
	scratch_load_b64 v[3:4], off, off offset:168
	v_mov_b32_e32 v2, v1
	scratch_store_b64 off, v[1:2], off offset:168
	s_wait_loadcnt 0x0
	ds_store_b64 v27, v[3:4]
.LBB51_283:
	s_wait_alu 0xfffe
	s_or_b32 exec_lo, exec_lo, s0
	s_wait_storecnt_dscnt 0x0
	s_barrier_signal -1
	s_barrier_wait -1
	global_inv scope:SCOPE_SE
	s_clause 0x4
	scratch_load_b128 v[2:5], off, off offset:176
	scratch_load_b128 v[6:9], off, off offset:192
	scratch_load_b128 v[10:13], off, off offset:208
	scratch_load_b128 v[14:17], off, off offset:224
	scratch_load_b128 v[18:21], off, off offset:240
	ds_load_b128 v[22:25], v1 offset:592
	ds_load_b128 v[132:135], v1 offset:608
	;; [unrolled: 1-line block ×3, first 2 shown]
	scratch_load_b64 v[140:141], off, off offset:168
	s_mov_b32 s0, exec_lo
	s_wait_loadcnt_dscnt 0x502
	v_dual_mul_f32 v26, v23, v3 :: v_dual_mul_f32 v143, v24, v5
	v_dual_mul_f32 v142, v22, v3 :: v_dual_mul_f32 v3, v25, v5
	s_wait_loadcnt_dscnt 0x300
	v_mul_f32_e32 v144, v138, v13
	s_delay_alu instid0(VALU_DEP_3) | instskip(NEXT) | instid1(VALU_DEP_3)
	v_fma_f32 v22, v22, v2, -v26
	v_dual_fmac_f32 v143, v25, v4 :: v_dual_fmac_f32 v142, v23, v2
	v_fma_f32 v23, v24, v4, -v3
	ds_load_b128 v[2:5], v1 offset:640
	v_dual_mul_f32 v24, v132, v7 :: v_dual_mul_f32 v25, v134, v9
	v_mul_f32_e32 v7, v133, v7
	v_dual_mul_f32 v9, v135, v9 :: v_dual_mul_f32 v26, v136, v11
	v_dual_mul_f32 v11, v137, v11 :: v_dual_fmac_f32 v144, v139, v12
	s_delay_alu instid0(VALU_DEP_4) | instskip(SKIP_1) | instid1(VALU_DEP_4)
	v_dual_mul_f32 v13, v139, v13 :: v_dual_fmac_f32 v24, v133, v6
	v_fmac_f32_e32 v25, v135, v8
	v_fma_f32 v133, v134, v8, -v9
	v_fmac_f32_e32 v26, v137, v10
	v_fma_f32 v134, v136, v10, -v11
	v_fma_f32 v135, v138, v12, -v13
	ds_load_b128 v[10:13], v1 offset:656
	v_fma_f32 v132, v132, v6, -v7
	scratch_load_b128 v[6:9], off, off offset:256
	s_wait_loadcnt_dscnt 0x301
	v_dual_mul_f32 v136, v2, v15 :: v_dual_mul_f32 v137, v4, v17
	v_mul_f32_e32 v15, v3, v15
	s_delay_alu instid0(VALU_DEP_2) | instskip(NEXT) | instid1(VALU_DEP_3)
	v_dual_mul_f32 v17, v5, v17 :: v_dual_fmac_f32 v136, v3, v14
	v_fmac_f32_e32 v137, v5, v16
	s_delay_alu instid0(VALU_DEP_3) | instskip(NEXT) | instid1(VALU_DEP_3)
	v_fma_f32 v14, v2, v14, -v15
	v_fma_f32 v15, v4, v16, -v17
	ds_load_b128 v[2:5], v1 offset:672
	s_wait_loadcnt_dscnt 0x201
	v_mul_f32_e32 v16, v10, v19
	v_mul_f32_e32 v17, v11, v19
	;; [unrolled: 1-line block ×3, first 2 shown]
	s_delay_alu instid0(VALU_DEP_3) | instskip(NEXT) | instid1(VALU_DEP_3)
	v_dual_mul_f32 v21, v13, v21 :: v_dual_fmac_f32 v16, v11, v18
	v_fma_f32 v17, v10, v18, -v17
	s_delay_alu instid0(VALU_DEP_3) | instskip(NEXT) | instid1(VALU_DEP_3)
	v_fmac_f32_e32 v19, v13, v20
	v_fma_f32 v18, v12, v20, -v21
	scratch_load_b128 v[10:13], off, off offset:272
	s_wait_loadcnt_dscnt 0x100
	v_mul_f32_e32 v20, v2, v7
	v_mul_f32_e32 v7, v3, v7
	;; [unrolled: 1-line block ×3, first 2 shown]
	s_delay_alu instid0(VALU_DEP_3) | instskip(NEXT) | instid1(VALU_DEP_3)
	v_dual_mul_f32 v9, v5, v9 :: v_dual_fmac_f32 v20, v3, v6
	v_fma_f32 v138, v2, v6, -v7
	s_delay_alu instid0(VALU_DEP_3) | instskip(NEXT) | instid1(VALU_DEP_3)
	v_fmac_f32_e32 v21, v5, v8
	v_fma_f32 v139, v4, v8, -v9
	ds_load_b128 v[2:5], v1 offset:688
	ds_load_b128 v[6:9], v1 offset:704
	s_wait_loadcnt_dscnt 0x1
	v_mul_f32_e32 v145, v2, v11
	v_dual_mul_f32 v11, v3, v11 :: v_dual_mul_f32 v146, v4, v13
	s_delay_alu instid0(VALU_DEP_2) | instskip(NEXT) | instid1(VALU_DEP_2)
	v_fmac_f32_e32 v145, v3, v10
	v_fma_f32 v147, v2, v10, -v11
	v_mul_f32_e32 v2, v5, v13
	s_delay_alu instid0(VALU_DEP_4) | instskip(NEXT) | instid1(VALU_DEP_2)
	v_fmac_f32_e32 v146, v5, v12
	v_fma_f32 v148, v4, v12, -v2
	s_clause 0x1
	scratch_load_b128 v[2:5], off, off offset:288
	scratch_load_b128 v[10:13], off, off offset:304
	s_wait_loadcnt_dscnt 0x100
	v_mul_f32_e32 v149, v6, v3
	v_mul_f32_e32 v3, v7, v3
	;; [unrolled: 1-line block ×3, first 2 shown]
	s_delay_alu instid0(VALU_DEP_3) | instskip(NEXT) | instid1(VALU_DEP_3)
	v_fmac_f32_e32 v149, v7, v2
	v_fma_f32 v150, v6, v2, -v3
	v_mul_f32_e32 v2, v9, v5
	s_delay_alu instid0(VALU_DEP_4) | instskip(NEXT) | instid1(VALU_DEP_2)
	v_fmac_f32_e32 v151, v9, v4
	v_fma_f32 v152, v8, v4, -v2
	ds_load_b128 v[2:5], v1 offset:720
	ds_load_b128 v[6:9], v1 offset:736
	s_wait_loadcnt_dscnt 0x1
	v_mul_f32_e32 v153, v2, v11
	v_mul_f32_e32 v155, v4, v13
	s_delay_alu instid0(VALU_DEP_2) | instskip(SKIP_1) | instid1(VALU_DEP_3)
	v_fmac_f32_e32 v153, v3, v10
	v_mul_f32_e32 v3, v3, v11
	v_fmac_f32_e32 v155, v5, v12
	s_delay_alu instid0(VALU_DEP_2) | instskip(SKIP_1) | instid1(VALU_DEP_1)
	v_fma_f32 v154, v2, v10, -v3
	v_mul_f32_e32 v2, v5, v13
	v_fma_f32 v156, v4, v12, -v2
	s_clause 0x1
	scratch_load_b128 v[2:5], off, off offset:320
	scratch_load_b128 v[10:13], off, off offset:336
	s_wait_loadcnt_dscnt 0x100
	v_mul_f32_e32 v157, v6, v3
	v_mul_f32_e32 v3, v7, v3
	;; [unrolled: 1-line block ×3, first 2 shown]
	s_delay_alu instid0(VALU_DEP_3) | instskip(NEXT) | instid1(VALU_DEP_3)
	v_fmac_f32_e32 v157, v7, v2
	v_fma_f32 v158, v6, v2, -v3
	v_dual_mul_f32 v2, v9, v5 :: v_dual_add_f32 v3, 0, v142
	s_delay_alu instid0(VALU_DEP_1) | instskip(NEXT) | instid1(VALU_DEP_2)
	v_fma_f32 v160, v8, v4, -v2
	v_dual_add_f32 v2, 0, v22 :: v_dual_add_f32 v3, v3, v143
	s_delay_alu instid0(VALU_DEP_1) | instskip(NEXT) | instid1(VALU_DEP_1)
	v_add_f32_e32 v2, v2, v23
	v_add_f32_e32 v2, v2, v132
	s_delay_alu instid0(VALU_DEP_1) | instskip(NEXT) | instid1(VALU_DEP_1)
	v_dual_add_f32 v3, v3, v24 :: v_dual_add_f32 v2, v2, v133
	v_dual_add_f32 v3, v3, v25 :: v_dual_add_f32 v2, v2, v134
	s_delay_alu instid0(VALU_DEP_1) | instskip(NEXT) | instid1(VALU_DEP_1)
	v_dual_add_f32 v3, v3, v26 :: v_dual_add_f32 v2, v2, v135
	v_dual_add_f32 v6, v3, v144 :: v_dual_add_f32 v7, v2, v14
	s_delay_alu instid0(VALU_DEP_1) | instskip(NEXT) | instid1(VALU_DEP_1)
	v_dual_add_f32 v14, v6, v136 :: v_dual_add_f32 v15, v7, v15
	v_add_f32_e32 v14, v14, v137
	s_delay_alu instid0(VALU_DEP_1) | instskip(NEXT) | instid1(VALU_DEP_1)
	v_dual_add_f32 v15, v15, v17 :: v_dual_add_f32 v14, v14, v16
	v_add_f32_e32 v18, v15, v18
	s_delay_alu instid0(VALU_DEP_1) | instskip(NEXT) | instid1(VALU_DEP_1)
	v_add_f32_e32 v18, v18, v138
	v_dual_add_f32 v18, v18, v139 :: v_dual_fmac_f32 v159, v9, v4
	scratch_load_b128 v[6:9], off, off offset:352
	ds_load_b128 v[2:5], v1 offset:752
	v_add_f32_e32 v18, v18, v147
	s_delay_alu instid0(VALU_DEP_1) | instskip(NEXT) | instid1(VALU_DEP_1)
	v_add_f32_e32 v23, v18, v148
	v_add_f32_e32 v23, v23, v150
	s_delay_alu instid0(VALU_DEP_1)
	v_add_f32_e32 v23, v23, v152
	v_add_f32_e32 v19, v14, v19
	ds_load_b128 v[14:17], v1 offset:768
	s_wait_loadcnt_dscnt 0x101
	v_mul_f32_e32 v26, v2, v11
	v_dual_mul_f32 v11, v3, v11 :: v_dual_mul_f32 v132, v4, v13
	s_delay_alu instid0(VALU_DEP_2) | instskip(NEXT) | instid1(VALU_DEP_2)
	v_dual_mul_f32 v13, v5, v13 :: v_dual_fmac_f32 v26, v3, v10
	v_fma_f32 v133, v2, v10, -v11
	s_delay_alu instid0(VALU_DEP_3) | instskip(NEXT) | instid1(VALU_DEP_3)
	v_fmac_f32_e32 v132, v5, v12
	v_fma_f32 v134, v4, v12, -v13
	s_clause 0x1
	scratch_load_b128 v[10:13], off, off offset:384
	scratch_load_b128 v[2:5], off, off offset:368
	s_wait_loadcnt_dscnt 0x200
	v_dual_mul_f32 v135, v14, v7 :: v_dual_mul_f32 v136, v16, v9
	v_mul_f32_e32 v7, v15, v7
	s_delay_alu instid0(VALU_DEP_2) | instskip(SKIP_1) | instid1(VALU_DEP_4)
	v_fmac_f32_e32 v135, v15, v6
	v_add_f32_e32 v19, v19, v20
	v_fmac_f32_e32 v136, v17, v8
	s_delay_alu instid0(VALU_DEP_4) | instskip(NEXT) | instid1(VALU_DEP_3)
	v_fma_f32 v137, v14, v6, -v7
	v_add_f32_e32 v19, v19, v21
	s_delay_alu instid0(VALU_DEP_1) | instskip(SKIP_2) | instid1(VALU_DEP_1)
	v_add_f32_e32 v22, v19, v145
	scratch_load_b128 v[18:21], off, off offset:400
	v_dual_mul_f32 v9, v17, v9 :: v_dual_add_f32 v22, v22, v146
	v_fma_f32 v138, v16, v8, -v9
	ds_load_b128 v[6:9], v1 offset:784
	v_add_f32_e32 v22, v22, v149
	s_delay_alu instid0(VALU_DEP_1) | instskip(NEXT) | instid1(VALU_DEP_1)
	v_add_f32_e32 v14, v22, v151
	v_dual_add_f32 v22, v23, v154 :: v_dual_add_f32 v23, v14, v153
	ds_load_b128 v[14:17], v1 offset:800
	v_dual_add_f32 v139, v22, v156 :: v_dual_add_f32 v142, v23, v155
	ds_load_b128 v[22:25], v1 offset:816
	s_wait_loadcnt_dscnt 0x201
	v_mul_f32_e32 v143, v16, v13
	s_delay_alu instid0(VALU_DEP_1)
	v_fmac_f32_e32 v143, v17, v12
	v_add_f32_e32 v1, v139, v158
	v_add_f32_e32 v139, v142, v157
	s_wait_loadcnt 0x1
	v_mul_f32_e32 v142, v6, v3
	v_mul_f32_e32 v3, v7, v3
	v_add_f32_e32 v1, v1, v160
	v_add_f32_e32 v139, v139, v159
	s_delay_alu instid0(VALU_DEP_4) | instskip(NEXT) | instid1(VALU_DEP_4)
	v_fmac_f32_e32 v142, v7, v2
	v_fma_f32 v3, v6, v2, -v3
	s_delay_alu instid0(VALU_DEP_4) | instskip(NEXT) | instid1(VALU_DEP_4)
	v_dual_mul_f32 v6, v15, v11 :: v_dual_add_f32 v1, v1, v133
	v_dual_add_f32 v26, v139, v26 :: v_dual_mul_f32 v133, v8, v5
	v_mul_f32_e32 v5, v9, v5
	v_mul_f32_e32 v139, v14, v11
	s_delay_alu instid0(VALU_DEP_3) | instskip(NEXT) | instid1(VALU_DEP_4)
	v_dual_add_f32 v1, v1, v134 :: v_dual_add_f32 v26, v26, v132
	v_fmac_f32_e32 v133, v9, v4
	s_delay_alu instid0(VALU_DEP_4) | instskip(NEXT) | instid1(VALU_DEP_4)
	v_fma_f32 v4, v8, v4, -v5
	v_fmac_f32_e32 v139, v15, v10
	s_delay_alu instid0(VALU_DEP_4) | instskip(SKIP_1) | instid1(VALU_DEP_2)
	v_dual_add_f32 v1, v1, v137 :: v_dual_add_f32 v26, v26, v135
	v_fma_f32 v5, v14, v10, -v6
	v_dual_add_f32 v1, v1, v138 :: v_dual_add_f32 v2, v26, v136
	s_delay_alu instid0(VALU_DEP_1) | instskip(SKIP_1) | instid1(VALU_DEP_2)
	v_dual_add_f32 v1, v1, v3 :: v_dual_add_f32 v2, v2, v142
	v_mul_f32_e32 v3, v17, v13
	v_dual_add_f32 v1, v1, v4 :: v_dual_add_f32 v2, v2, v133
	s_delay_alu instid0(VALU_DEP_2) | instskip(NEXT) | instid1(VALU_DEP_2)
	v_fma_f32 v3, v16, v12, -v3
	v_dual_add_f32 v1, v1, v5 :: v_dual_add_f32 v2, v2, v139
	s_delay_alu instid0(VALU_DEP_1) | instskip(NEXT) | instid1(VALU_DEP_2)
	v_add_f32_e32 v1, v1, v3
	v_add_f32_e32 v2, v2, v143
	s_wait_loadcnt_dscnt 0x0
	v_mul_f32_e32 v132, v22, v19
	v_mul_f32_e32 v4, v23, v19
	;; [unrolled: 1-line block ×3, first 2 shown]
	s_delay_alu instid0(VALU_DEP_3) | instskip(NEXT) | instid1(VALU_DEP_3)
	v_dual_mul_f32 v5, v25, v21 :: v_dual_fmac_f32 v132, v23, v18
	v_fma_f32 v4, v22, v18, -v4
	s_delay_alu instid0(VALU_DEP_3) | instskip(NEXT) | instid1(VALU_DEP_3)
	v_fmac_f32_e32 v134, v25, v20
	v_fma_f32 v3, v24, v20, -v5
	s_delay_alu instid0(VALU_DEP_4) | instskip(NEXT) | instid1(VALU_DEP_1)
	v_add_f32_e32 v2, v2, v132
	v_dual_add_f32 v1, v1, v4 :: v_dual_add_f32 v2, v2, v134
	s_delay_alu instid0(VALU_DEP_1) | instskip(NEXT) | instid1(VALU_DEP_1)
	v_add_f32_e32 v1, v1, v3
	v_dual_sub_f32 v2, v141, v2 :: v_dual_sub_f32 v1, v140, v1
	scratch_store_b64 off, v[1:2], off offset:168
	v_cmpx_lt_u32_e32 20, v0
	s_cbranch_execz .LBB51_285
; %bb.284:
	scratch_load_b64 v[1:2], off, off offset:160
	v_mov_b32_e32 v3, 0
	s_delay_alu instid0(VALU_DEP_1)
	v_mov_b32_e32 v4, v3
	scratch_store_b64 off, v[3:4], off offset:160
	s_wait_loadcnt 0x0
	ds_store_b64 v27, v[1:2]
.LBB51_285:
	s_wait_alu 0xfffe
	s_or_b32 exec_lo, exec_lo, s0
	s_wait_storecnt_dscnt 0x0
	s_barrier_signal -1
	s_barrier_wait -1
	global_inv scope:SCOPE_SE
	s_clause 0x4
	scratch_load_b128 v[5:8], off, off offset:168
	scratch_load_b128 v[1:4], off, off offset:184
	;; [unrolled: 1-line block ×5, first 2 shown]
	v_mov_b32_e32 v21, 0
	ds_load_2addr_b64 v[22:25], v21 offset0:73 offset1:74
	ds_load_2addr_b64 v[132:135], v21 offset0:75 offset1:76
	ds_load_2addr_b64 v[136:139], v21 offset0:77 offset1:78
	scratch_load_b64 v[140:141], off, off offset:160
	s_mov_b32 s0, exec_lo
	s_wait_loadcnt_dscnt 0x502
	v_dual_mul_f32 v142, v22, v6 :: v_dual_mul_f32 v143, v24, v8
	v_mul_f32_e32 v26, v23, v6
	v_mul_f32_e32 v6, v25, v8
	s_wait_loadcnt_dscnt 0x300
	v_mul_f32_e32 v144, v138, v12
	v_dual_fmac_f32 v142, v23, v5 :: v_dual_fmac_f32 v143, v25, v7
	v_mul_f32_e32 v25, v134, v4
	v_fma_f32 v22, v22, v5, -v26
	v_mul_f32_e32 v26, v136, v10
	v_mul_f32_e32 v4, v135, v4
	s_delay_alu instid0(VALU_DEP_4)
	v_dual_mul_f32 v10, v137, v10 :: v_dual_fmac_f32 v25, v135, v3
	v_fma_f32 v23, v24, v7, -v6
	ds_load_2addr_b64 v[5:8], v21 offset0:79 offset1:80
	v_mul_f32_e32 v24, v132, v2
	v_mul_f32_e32 v12, v139, v12
	;; [unrolled: 1-line block ×3, first 2 shown]
	v_fmac_f32_e32 v26, v137, v9
	v_fmac_f32_e32 v144, v139, v11
	;; [unrolled: 1-line block ×3, first 2 shown]
	v_fma_f32 v133, v134, v3, -v4
	v_fma_f32 v134, v136, v9, -v10
	;; [unrolled: 1-line block ×3, first 2 shown]
	ds_load_2addr_b64 v[9:12], v21 offset0:81 offset1:82
	s_wait_loadcnt_dscnt 0x201
	v_dual_mul_f32 v137, v7, v16 :: v_dual_mul_f32 v136, v5, v14
	v_mul_f32_e32 v14, v6, v14
	v_mul_f32_e32 v16, v8, v16
	s_delay_alu instid0(VALU_DEP_3)
	v_fmac_f32_e32 v137, v8, v15
	v_fma_f32 v132, v132, v1, -v2
	scratch_load_b128 v[1:4], off, off offset:248
	v_fmac_f32_e32 v136, v6, v13
	v_fma_f32 v13, v5, v13, -v14
	v_fma_f32 v14, v7, v15, -v16
	s_wait_loadcnt_dscnt 0x200
	v_mul_f32_e32 v15, v9, v18
	v_mul_f32_e32 v16, v10, v18
	;; [unrolled: 1-line block ×4, first 2 shown]
	ds_load_2addr_b64 v[5:8], v21 offset0:83 offset1:84
	v_fmac_f32_e32 v15, v10, v17
	v_fma_f32 v16, v9, v17, -v16
	v_fmac_f32_e32 v18, v12, v19
	v_fma_f32 v17, v11, v19, -v20
	scratch_load_b128 v[9:12], off, off offset:264
	s_wait_loadcnt_dscnt 0x100
	v_mul_f32_e32 v19, v5, v2
	v_mul_f32_e32 v2, v6, v2
	;; [unrolled: 1-line block ×3, first 2 shown]
	s_delay_alu instid0(VALU_DEP_3) | instskip(NEXT) | instid1(VALU_DEP_3)
	v_dual_mul_f32 v4, v8, v4 :: v_dual_fmac_f32 v19, v6, v1
	v_fma_f32 v138, v5, v1, -v2
	s_delay_alu instid0(VALU_DEP_3) | instskip(NEXT) | instid1(VALU_DEP_3)
	v_fmac_f32_e32 v20, v8, v3
	v_fma_f32 v139, v7, v3, -v4
	ds_load_2addr_b64 v[1:4], v21 offset0:85 offset1:86
	ds_load_2addr_b64 v[5:8], v21 offset0:87 offset1:88
	s_wait_loadcnt_dscnt 0x1
	v_mul_f32_e32 v145, v1, v10
	v_mul_f32_e32 v10, v2, v10
	s_delay_alu instid0(VALU_DEP_2) | instskip(NEXT) | instid1(VALU_DEP_2)
	v_dual_mul_f32 v146, v3, v12 :: v_dual_fmac_f32 v145, v2, v9
	v_fma_f32 v147, v1, v9, -v10
	v_mul_f32_e32 v1, v4, v12
	s_delay_alu instid0(VALU_DEP_3) | instskip(NEXT) | instid1(VALU_DEP_2)
	v_fmac_f32_e32 v146, v4, v11
	v_fma_f32 v148, v3, v11, -v1
	s_clause 0x1
	scratch_load_b128 v[1:4], off, off offset:280
	scratch_load_b128 v[9:12], off, off offset:296
	s_wait_loadcnt_dscnt 0x100
	v_mul_f32_e32 v149, v5, v2
	v_dual_mul_f32 v2, v6, v2 :: v_dual_mul_f32 v151, v7, v4
	s_delay_alu instid0(VALU_DEP_2) | instskip(NEXT) | instid1(VALU_DEP_2)
	v_fmac_f32_e32 v149, v6, v1
	v_fma_f32 v150, v5, v1, -v2
	v_mul_f32_e32 v1, v8, v4
	s_delay_alu instid0(VALU_DEP_4) | instskip(NEXT) | instid1(VALU_DEP_2)
	v_fmac_f32_e32 v151, v8, v3
	v_fma_f32 v152, v7, v3, -v1
	ds_load_2addr_b64 v[1:4], v21 offset0:89 offset1:90
	ds_load_2addr_b64 v[5:8], v21 offset0:91 offset1:92
	s_wait_loadcnt_dscnt 0x1
	v_mul_f32_e32 v153, v1, v10
	v_mul_f32_e32 v155, v3, v12
	s_delay_alu instid0(VALU_DEP_2) | instskip(NEXT) | instid1(VALU_DEP_2)
	v_fmac_f32_e32 v153, v2, v9
	v_dual_mul_f32 v2, v2, v10 :: v_dual_fmac_f32 v155, v4, v11
	s_delay_alu instid0(VALU_DEP_1) | instskip(SKIP_1) | instid1(VALU_DEP_1)
	v_fma_f32 v154, v1, v9, -v2
	v_mul_f32_e32 v1, v4, v12
	v_fma_f32 v156, v3, v11, -v1
	s_clause 0x1
	scratch_load_b128 v[1:4], off, off offset:312
	scratch_load_b128 v[9:12], off, off offset:328
	s_wait_loadcnt_dscnt 0x100
	v_mul_f32_e32 v157, v5, v2
	v_dual_mul_f32 v2, v6, v2 :: v_dual_mul_f32 v159, v7, v4
	s_delay_alu instid0(VALU_DEP_2) | instskip(NEXT) | instid1(VALU_DEP_2)
	v_fmac_f32_e32 v157, v6, v1
	v_fma_f32 v158, v5, v1, -v2
	v_mul_f32_e32 v1, v8, v4
	s_delay_alu instid0(VALU_DEP_4) | instskip(NEXT) | instid1(VALU_DEP_2)
	v_fmac_f32_e32 v159, v8, v3
	v_fma_f32 v160, v7, v3, -v1
	v_add_f32_e32 v1, 0, v22
	s_delay_alu instid0(VALU_DEP_1) | instskip(NEXT) | instid1(VALU_DEP_1)
	v_add_f32_e32 v1, v1, v23
	v_dual_add_f32 v1, v1, v132 :: v_dual_add_f32 v2, 0, v142
	s_delay_alu instid0(VALU_DEP_1) | instskip(SKIP_2) | instid1(VALU_DEP_1)
	v_dual_add_f32 v1, v1, v133 :: v_dual_add_f32 v2, v2, v143
	scratch_load_b64 v[132:133], off, off offset:408
	v_dual_add_f32 v1, v1, v134 :: v_dual_add_f32 v2, v2, v24
	v_dual_add_f32 v1, v1, v135 :: v_dual_add_f32 v2, v2, v25
	s_delay_alu instid0(VALU_DEP_1) | instskip(NEXT) | instid1(VALU_DEP_2)
	v_add_f32_e32 v6, v1, v13
	v_add_f32_e32 v2, v2, v26
	s_delay_alu instid0(VALU_DEP_1) | instskip(SKIP_2) | instid1(VALU_DEP_1)
	v_add_f32_e32 v5, v2, v144
	scratch_load_b128 v[1:4], off, off offset:344
	v_add_f32_e32 v13, v5, v136
	v_dual_add_f32 v13, v13, v137 :: v_dual_add_f32 v14, v6, v14
	ds_load_2addr_b64 v[5:8], v21 offset0:93 offset1:94
	v_dual_add_f32 v13, v13, v15 :: v_dual_add_f32 v14, v14, v16
	s_delay_alu instid0(VALU_DEP_1) | instskip(SKIP_3) | instid1(VALU_DEP_1)
	v_dual_add_f32 v18, v13, v18 :: v_dual_add_f32 v17, v14, v17
	ds_load_2addr_b64 v[13:16], v21 offset0:95 offset1:96
	v_add_f32_e32 v17, v17, v138
	s_wait_loadcnt_dscnt 0x201
	v_dual_add_f32 v17, v17, v139 :: v_dual_mul_f32 v136, v7, v12
	s_delay_alu instid0(VALU_DEP_1) | instskip(SKIP_1) | instid1(VALU_DEP_2)
	v_dual_mul_f32 v12, v8, v12 :: v_dual_add_f32 v17, v17, v147
	v_add_f32_e32 v18, v18, v19
	v_fma_f32 v138, v7, v11, -v12
	s_delay_alu instid0(VALU_DEP_3) | instskip(NEXT) | instid1(VALU_DEP_1)
	v_dual_add_f32 v23, v17, v148 :: v_dual_fmac_f32 v136, v8, v11
	v_add_f32_e32 v23, v23, v150
	v_mul_f32_e32 v26, v5, v10
	s_delay_alu instid0(VALU_DEP_2) | instskip(NEXT) | instid1(VALU_DEP_2)
	v_dual_mul_f32 v10, v6, v10 :: v_dual_add_f32 v23, v23, v152
	v_fmac_f32_e32 v26, v6, v9
	s_delay_alu instid0(VALU_DEP_2)
	v_fma_f32 v137, v5, v9, -v10
	s_clause 0x1
	scratch_load_b128 v[5:8], off, off offset:360
	scratch_load_b128 v[9:12], off, off offset:376
	v_dual_add_f32 v18, v18, v20 :: v_dual_add_f32 v23, v23, v154
	s_wait_loadcnt_dscnt 0x200
	v_dual_mul_f32 v139, v13, v2 :: v_dual_mul_f32 v142, v15, v4
	s_delay_alu instid0(VALU_DEP_1) | instskip(NEXT) | instid1(VALU_DEP_2)
	v_dual_mul_f32 v4, v16, v4 :: v_dual_fmac_f32 v139, v14, v1
	v_fmac_f32_e32 v142, v16, v3
	s_delay_alu instid0(VALU_DEP_2) | instskip(SKIP_2) | instid1(VALU_DEP_2)
	v_fma_f32 v144, v15, v3, -v4
	v_mul_f32_e32 v2, v14, v2
	v_add_f32_e32 v14, v23, v156
	v_fma_f32 v143, v13, v1, -v2
	ds_load_2addr_b64 v[1:4], v21 offset0:97 offset1:98
	v_add_f32_e32 v22, v18, v145
	scratch_load_b128 v[17:20], off, off offset:392
	v_add_f32_e32 v134, v14, v158
	s_delay_alu instid0(VALU_DEP_1) | instskip(NEXT) | instid1(VALU_DEP_1)
	v_add_f32_e32 v145, v134, v160
	v_add_f32_e32 v137, v145, v137
	s_delay_alu instid0(VALU_DEP_1) | instskip(NEXT) | instid1(VALU_DEP_1)
	v_add_f32_e32 v137, v137, v138
	v_dual_add_f32 v22, v22, v146 :: v_dual_add_f32 v137, v137, v143
	s_delay_alu instid0(VALU_DEP_1) | instskip(NEXT) | instid1(VALU_DEP_1)
	v_dual_add_f32 v22, v22, v149 :: v_dual_add_f32 v137, v137, v144
	v_add_f32_e32 v22, v22, v151
	s_delay_alu instid0(VALU_DEP_1) | instskip(NEXT) | instid1(VALU_DEP_1)
	v_add_f32_e32 v13, v22, v153
	v_add_f32_e32 v22, v13, v155
	ds_load_2addr_b64 v[13:16], v21 offset0:99 offset1:100
	s_wait_loadcnt_dscnt 0x201
	v_mul_f32_e32 v145, v1, v6
	v_mul_f32_e32 v6, v2, v6
	s_delay_alu instid0(VALU_DEP_2)
	v_fmac_f32_e32 v145, v2, v5
	v_add_f32_e32 v135, v22, v157
	ds_load_2addr_b64 v[22:25], v21 offset0:101 offset1:102
	v_fma_f32 v1, v1, v5, -v6
	v_add_f32_e32 v146, v135, v159
	ds_load_b64 v[134:135], v21 offset:824
	v_dual_add_f32 v1, v137, v1 :: v_dual_add_f32 v26, v146, v26
	s_wait_loadcnt_dscnt 0x102
	v_mul_f32_e32 v5, v16, v12
	s_delay_alu instid0(VALU_DEP_2) | instskip(SKIP_2) | instid1(VALU_DEP_4)
	v_add_f32_e32 v26, v26, v136
	v_mul_f32_e32 v136, v3, v8
	v_mul_f32_e32 v8, v4, v8
	v_fma_f32 v5, v15, v11, -v5
	s_delay_alu instid0(VALU_DEP_2) | instskip(SKIP_1) | instid1(VALU_DEP_2)
	v_fma_f32 v2, v3, v7, -v8
	v_mul_f32_e32 v3, v14, v10
	v_dual_add_f32 v1, v1, v2 :: v_dual_add_f32 v26, v26, v139
	s_delay_alu instid0(VALU_DEP_2) | instskip(SKIP_1) | instid1(VALU_DEP_2)
	v_fma_f32 v3, v13, v9, -v3
	v_mul_f32_e32 v139, v15, v12
	v_add_f32_e32 v1, v1, v3
	s_delay_alu instid0(VALU_DEP_2) | instskip(NEXT) | instid1(VALU_DEP_2)
	v_fmac_f32_e32 v139, v16, v11
	v_add_f32_e32 v1, v1, v5
	s_wait_dscnt 0x0
	v_mul_f32_e32 v5, v135, v133
	s_wait_loadcnt 0x0
	v_dual_mul_f32 v3, v25, v20 :: v_dual_add_f32 v26, v26, v142
	v_mul_f32_e32 v143, v22, v18
	v_mul_f32_e32 v138, v13, v10
	;; [unrolled: 1-line block ×3, first 2 shown]
	v_fmac_f32_e32 v136, v4, v7
	v_fma_f32 v3, v24, v19, -v3
	v_add_f32_e32 v4, v26, v145
	v_fmac_f32_e32 v143, v23, v17
	v_fmac_f32_e32 v138, v14, v9
	;; [unrolled: 1-line block ×3, first 2 shown]
	s_delay_alu instid0(VALU_DEP_4) | instskip(SKIP_1) | instid1(VALU_DEP_2)
	v_add_f32_e32 v2, v4, v136
	v_mul_f32_e32 v4, v23, v18
	v_add_f32_e32 v2, v2, v138
	s_delay_alu instid0(VALU_DEP_2) | instskip(SKIP_1) | instid1(VALU_DEP_2)
	v_fma_f32 v4, v22, v17, -v4
	v_mul_f32_e32 v142, v134, v133
	v_dual_add_f32 v2, v2, v139 :: v_dual_add_f32 v1, v1, v4
	s_delay_alu instid0(VALU_DEP_2) | instskip(SKIP_1) | instid1(VALU_DEP_3)
	v_fmac_f32_e32 v142, v135, v132
	v_fma_f32 v4, v134, v132, -v5
	v_add_f32_e32 v2, v2, v143
	s_delay_alu instid0(VALU_DEP_1) | instskip(NEXT) | instid1(VALU_DEP_1)
	v_dual_add_f32 v1, v1, v3 :: v_dual_add_f32 v2, v2, v144
	v_dual_add_f32 v1, v1, v4 :: v_dual_add_f32 v2, v2, v142
	s_delay_alu instid0(VALU_DEP_1)
	v_dual_sub_f32 v1, v140, v1 :: v_dual_sub_f32 v2, v141, v2
	scratch_store_b64 off, v[1:2], off offset:160
	v_cmpx_lt_u32_e32 19, v0
	s_cbranch_execz .LBB51_287
; %bb.286:
	scratch_load_b64 v[1:2], off, off offset:152
	v_mov_b32_e32 v22, v21
	scratch_store_b64 off, v[21:22], off offset:152
	s_wait_loadcnt 0x0
	ds_store_b64 v27, v[1:2]
.LBB51_287:
	s_wait_alu 0xfffe
	s_or_b32 exec_lo, exec_lo, s0
	s_wait_storecnt_dscnt 0x0
	s_barrier_signal -1
	s_barrier_wait -1
	global_inv scope:SCOPE_SE
	s_clause 0x4
	scratch_load_b128 v[5:8], off, off offset:160
	scratch_load_b128 v[1:4], off, off offset:176
	;; [unrolled: 1-line block ×5, first 2 shown]
	ds_load_b128 v[22:25], v21 offset:576
	ds_load_b128 v[132:135], v21 offset:592
	;; [unrolled: 1-line block ×3, first 2 shown]
	scratch_load_b64 v[140:141], off, off offset:152
	s_mov_b32 s0, exec_lo
	s_wait_loadcnt_dscnt 0x502
	v_dual_mul_f32 v26, v23, v6 :: v_dual_mul_f32 v143, v24, v8
	v_mul_f32_e32 v142, v22, v6
	v_mul_f32_e32 v6, v25, v8
	s_wait_loadcnt_dscnt 0x300
	v_mul_f32_e32 v144, v138, v12
	v_fma_f32 v22, v22, v5, -v26
	v_dual_fmac_f32 v143, v25, v7 :: v_dual_fmac_f32 v142, v23, v5
	v_mul_f32_e32 v25, v134, v4
	v_mul_f32_e32 v4, v135, v4
	;; [unrolled: 1-line block ×5, first 2 shown]
	v_fmac_f32_e32 v25, v135, v3
	v_fma_f32 v23, v24, v7, -v6
	ds_load_b128 v[5:8], v21 offset:624
	v_mul_f32_e32 v24, v132, v2
	v_mul_f32_e32 v2, v133, v2
	v_fmac_f32_e32 v26, v137, v9
	v_fmac_f32_e32 v144, v139, v11
	v_fma_f32 v135, v138, v11, -v12
	v_fmac_f32_e32 v24, v133, v1
	v_fma_f32 v133, v134, v3, -v4
	v_fma_f32 v134, v136, v9, -v10
	ds_load_b128 v[9:12], v21 offset:640
	s_wait_loadcnt_dscnt 0x201
	v_dual_mul_f32 v137, v7, v16 :: v_dual_mul_f32 v136, v5, v14
	v_mul_f32_e32 v14, v6, v14
	v_mul_f32_e32 v16, v8, v16
	s_delay_alu instid0(VALU_DEP_3)
	v_fmac_f32_e32 v137, v8, v15
	v_fma_f32 v132, v132, v1, -v2
	scratch_load_b128 v[1:4], off, off offset:240
	v_fmac_f32_e32 v136, v6, v13
	v_fma_f32 v13, v5, v13, -v14
	v_fma_f32 v14, v7, v15, -v16
	s_wait_loadcnt_dscnt 0x200
	v_mul_f32_e32 v15, v9, v18
	v_mul_f32_e32 v16, v10, v18
	;; [unrolled: 1-line block ×4, first 2 shown]
	ds_load_b128 v[5:8], v21 offset:656
	v_fmac_f32_e32 v15, v10, v17
	v_fma_f32 v16, v9, v17, -v16
	v_fmac_f32_e32 v18, v12, v19
	v_fma_f32 v17, v11, v19, -v20
	scratch_load_b128 v[9:12], off, off offset:256
	s_wait_loadcnt_dscnt 0x100
	v_mul_f32_e32 v19, v5, v2
	v_mul_f32_e32 v2, v6, v2
	;; [unrolled: 1-line block ×3, first 2 shown]
	s_delay_alu instid0(VALU_DEP_3) | instskip(NEXT) | instid1(VALU_DEP_3)
	v_dual_mul_f32 v4, v8, v4 :: v_dual_fmac_f32 v19, v6, v1
	v_fma_f32 v138, v5, v1, -v2
	s_delay_alu instid0(VALU_DEP_3) | instskip(NEXT) | instid1(VALU_DEP_3)
	v_fmac_f32_e32 v20, v8, v3
	v_fma_f32 v139, v7, v3, -v4
	ds_load_b128 v[1:4], v21 offset:672
	ds_load_b128 v[5:8], v21 offset:688
	s_wait_loadcnt_dscnt 0x1
	v_mul_f32_e32 v145, v1, v10
	v_mul_f32_e32 v10, v2, v10
	s_delay_alu instid0(VALU_DEP_2) | instskip(NEXT) | instid1(VALU_DEP_2)
	v_dual_mul_f32 v146, v3, v12 :: v_dual_fmac_f32 v145, v2, v9
	v_fma_f32 v147, v1, v9, -v10
	v_mul_f32_e32 v1, v4, v12
	s_delay_alu instid0(VALU_DEP_3) | instskip(NEXT) | instid1(VALU_DEP_2)
	v_fmac_f32_e32 v146, v4, v11
	v_fma_f32 v148, v3, v11, -v1
	s_clause 0x1
	scratch_load_b128 v[1:4], off, off offset:272
	scratch_load_b128 v[9:12], off, off offset:288
	s_wait_loadcnt_dscnt 0x100
	v_mul_f32_e32 v149, v5, v2
	v_dual_mul_f32 v2, v6, v2 :: v_dual_mul_f32 v151, v7, v4
	s_delay_alu instid0(VALU_DEP_2) | instskip(NEXT) | instid1(VALU_DEP_2)
	v_fmac_f32_e32 v149, v6, v1
	v_fma_f32 v150, v5, v1, -v2
	v_mul_f32_e32 v1, v8, v4
	s_delay_alu instid0(VALU_DEP_4) | instskip(NEXT) | instid1(VALU_DEP_2)
	v_fmac_f32_e32 v151, v8, v3
	v_fma_f32 v152, v7, v3, -v1
	ds_load_b128 v[1:4], v21 offset:704
	ds_load_b128 v[5:8], v21 offset:720
	s_wait_loadcnt_dscnt 0x1
	v_mul_f32_e32 v153, v1, v10
	v_mul_f32_e32 v155, v3, v12
	s_delay_alu instid0(VALU_DEP_2) | instskip(NEXT) | instid1(VALU_DEP_2)
	v_fmac_f32_e32 v153, v2, v9
	v_dual_mul_f32 v2, v2, v10 :: v_dual_fmac_f32 v155, v4, v11
	s_delay_alu instid0(VALU_DEP_1) | instskip(SKIP_1) | instid1(VALU_DEP_1)
	v_fma_f32 v154, v1, v9, -v2
	v_mul_f32_e32 v1, v4, v12
	v_fma_f32 v156, v3, v11, -v1
	s_clause 0x1
	scratch_load_b128 v[1:4], off, off offset:304
	scratch_load_b128 v[9:12], off, off offset:320
	s_wait_loadcnt_dscnt 0x100
	v_mul_f32_e32 v157, v5, v2
	v_dual_mul_f32 v2, v6, v2 :: v_dual_mul_f32 v159, v7, v4
	s_delay_alu instid0(VALU_DEP_2) | instskip(NEXT) | instid1(VALU_DEP_2)
	v_fmac_f32_e32 v157, v6, v1
	v_fma_f32 v158, v5, v1, -v2
	v_mul_f32_e32 v1, v8, v4
	s_delay_alu instid0(VALU_DEP_4) | instskip(NEXT) | instid1(VALU_DEP_2)
	v_fmac_f32_e32 v159, v8, v3
	v_fma_f32 v160, v7, v3, -v1
	ds_load_b128 v[1:4], v21 offset:736
	ds_load_b128 v[5:8], v21 offset:752
	s_wait_loadcnt_dscnt 0x1
	v_mul_f32_e32 v161, v1, v10
	v_mul_f32_e32 v163, v3, v12
	s_delay_alu instid0(VALU_DEP_2) | instskip(NEXT) | instid1(VALU_DEP_2)
	v_fmac_f32_e32 v161, v2, v9
	v_dual_mul_f32 v2, v2, v10 :: v_dual_fmac_f32 v163, v4, v11
	s_delay_alu instid0(VALU_DEP_1) | instskip(SKIP_1) | instid1(VALU_DEP_1)
	v_fma_f32 v162, v1, v9, -v2
	v_mul_f32_e32 v1, v4, v12
	v_fma_f32 v164, v3, v11, -v1
	s_clause 0x1
	scratch_load_b128 v[1:4], off, off offset:336
	scratch_load_b128 v[9:12], off, off offset:352
	s_wait_loadcnt_dscnt 0x100
	v_mul_f32_e32 v165, v5, v2
	v_dual_mul_f32 v2, v6, v2 :: v_dual_mul_f32 v167, v7, v4
	s_delay_alu instid0(VALU_DEP_1) | instskip(NEXT) | instid1(VALU_DEP_2)
	v_fma_f32 v166, v5, v1, -v2
	v_dual_fmac_f32 v167, v8, v3 :: v_dual_add_f32 v2, 0, v142
	s_delay_alu instid0(VALU_DEP_1) | instskip(NEXT) | instid1(VALU_DEP_1)
	v_add_f32_e32 v2, v2, v143
	v_add_f32_e32 v2, v2, v24
	s_delay_alu instid0(VALU_DEP_1) | instskip(NEXT) | instid1(VALU_DEP_1)
	v_add_f32_e32 v2, v2, v25
	v_add_f32_e32 v2, v2, v26
	;; [unrolled: 3-line block ×5, first 2 shown]
	v_fmac_f32_e32 v165, v6, v1
	v_mul_f32_e32 v1, v8, v4
	s_delay_alu instid0(VALU_DEP_1) | instskip(SKIP_1) | instid1(VALU_DEP_1)
	v_fma_f32 v168, v7, v3, -v1
	v_add_f32_e32 v1, 0, v22
	v_add_f32_e32 v1, v1, v23
	s_delay_alu instid0(VALU_DEP_1) | instskip(NEXT) | instid1(VALU_DEP_1)
	v_add_f32_e32 v1, v1, v132
	v_add_f32_e32 v1, v1, v133
	s_delay_alu instid0(VALU_DEP_1) | instskip(NEXT) | instid1(VALU_DEP_1)
	;; [unrolled: 3-line block ×3, first 2 shown]
	v_add_f32_e32 v1, v1, v13
	v_add_f32_e32 v1, v1, v14
	;; [unrolled: 1-line block ×3, first 2 shown]
	s_delay_alu instid0(VALU_DEP_1) | instskip(NEXT) | instid1(VALU_DEP_1)
	v_dual_add_f32 v1, v1, v16 :: v_dual_add_f32 v14, v14, v145
	v_add_f32_e32 v6, v1, v17
	ds_load_b128 v[1:4], v21 offset:768
	v_add_f32_e32 v14, v14, v146
	v_add_f32_e32 v6, v6, v138
	s_delay_alu instid0(VALU_DEP_2) | instskip(NEXT) | instid1(VALU_DEP_2)
	v_add_f32_e32 v17, v14, v149
	v_add_f32_e32 v13, v6, v139
	ds_load_b128 v[5:8], v21 offset:784
	s_wait_loadcnt_dscnt 0x1
	v_dual_mul_f32 v26, v3, v12 :: v_dual_mul_f32 v25, v1, v10
	v_mul_f32_e32 v10, v2, v10
	v_mul_f32_e32 v12, v4, v12
	s_delay_alu instid0(VALU_DEP_3) | instskip(NEXT) | instid1(VALU_DEP_3)
	v_dual_fmac_f32 v26, v4, v11 :: v_dual_fmac_f32 v25, v2, v9
	v_fma_f32 v132, v1, v9, -v10
	s_delay_alu instid0(VALU_DEP_3)
	v_fma_f32 v133, v3, v11, -v12
	s_clause 0x1
	scratch_load_b128 v[1:4], off, off offset:368
	scratch_load_b128 v[9:12], off, off offset:384
	s_wait_loadcnt_dscnt 0x100
	v_mul_f32_e32 v136, v5, v2
	v_add_f32_e32 v13, v13, v147
	v_dual_mul_f32 v137, v7, v4 :: v_dual_mul_f32 v2, v6, v2
	v_mul_f32_e32 v4, v8, v4
	s_delay_alu instid0(VALU_DEP_3) | instskip(NEXT) | instid1(VALU_DEP_3)
	v_dual_fmac_f32 v136, v6, v1 :: v_dual_add_f32 v13, v13, v148
	v_fma_f32 v2, v5, v1, -v2
	s_delay_alu instid0(VALU_DEP_2) | instskip(NEXT) | instid1(VALU_DEP_1)
	v_add_f32_e32 v13, v13, v150
	v_add_f32_e32 v18, v13, v152
	scratch_load_b128 v[13:16], off, off offset:400
	v_add_f32_e32 v18, v18, v154
	s_delay_alu instid0(VALU_DEP_1) | instskip(NEXT) | instid1(VALU_DEP_1)
	v_add_f32_e32 v18, v18, v156
	v_dual_add_f32 v22, v18, v158 :: v_dual_add_f32 v17, v17, v151
	s_delay_alu instid0(VALU_DEP_1) | instskip(NEXT) | instid1(VALU_DEP_1)
	v_dual_add_f32 v134, v22, v160 :: v_dual_add_f32 v17, v17, v153
	v_dual_add_f32 v134, v134, v162 :: v_dual_add_f32 v17, v17, v155
	s_delay_alu instid0(VALU_DEP_1) | instskip(SKIP_4) | instid1(VALU_DEP_1)
	v_dual_add_f32 v134, v134, v164 :: v_dual_add_f32 v23, v17, v157
	ds_load_b128 v[17:20], v21 offset:800
	v_dual_add_f32 v134, v134, v166 :: v_dual_add_f32 v135, v23, v159
	ds_load_b128 v[21:24], v21 offset:816
	v_add_f32_e32 v134, v134, v168
	v_add_f32_e32 v132, v134, v132
	s_wait_loadcnt_dscnt 0x101
	s_delay_alu instid0(VALU_DEP_1) | instskip(SKIP_4) | instid1(VALU_DEP_4)
	v_dual_add_f32 v1, v132, v133 :: v_dual_mul_f32 v138, v17, v10
	v_add_f32_e32 v135, v135, v161
	v_fmac_f32_e32 v137, v8, v3
	v_fma_f32 v3, v7, v3, -v4
	v_mul_f32_e32 v4, v20, v12
	v_dual_fmac_f32 v138, v18, v9 :: v_dual_add_f32 v135, v135, v163
	v_dual_mul_f32 v139, v19, v12 :: v_dual_mul_f32 v6, v18, v10
	s_delay_alu instid0(VALU_DEP_3) | instskip(SKIP_1) | instid1(VALU_DEP_4)
	v_fma_f32 v4, v19, v11, -v4
	v_add_f32_e32 v1, v1, v2
	v_add_f32_e32 v135, v135, v165
	s_delay_alu instid0(VALU_DEP_1) | instskip(NEXT) | instid1(VALU_DEP_1)
	v_add_f32_e32 v135, v135, v167
	v_add_f32_e32 v25, v135, v25
	s_delay_alu instid0(VALU_DEP_1) | instskip(NEXT) | instid1(VALU_DEP_1)
	v_add_f32_e32 v5, v25, v26
	v_add_f32_e32 v2, v5, v136
	v_fma_f32 v5, v17, v9, -v6
	s_delay_alu instid0(VALU_DEP_2) | instskip(NEXT) | instid1(VALU_DEP_1)
	v_dual_add_f32 v2, v2, v137 :: v_dual_add_f32 v1, v1, v3
	v_add_f32_e32 v2, v2, v138
	s_wait_loadcnt_dscnt 0x0
	v_mul_f32_e32 v134, v23, v16
	v_dual_mul_f32 v142, v21, v14 :: v_dual_fmac_f32 v139, v20, v11
	s_delay_alu instid0(VALU_DEP_2) | instskip(NEXT) | instid1(VALU_DEP_2)
	v_dual_mul_f32 v3, v22, v14 :: v_dual_fmac_f32 v134, v24, v15
	v_fmac_f32_e32 v142, v22, v13
	s_delay_alu instid0(VALU_DEP_3) | instskip(SKIP_1) | instid1(VALU_DEP_4)
	v_dual_add_f32 v1, v1, v5 :: v_dual_add_f32 v2, v2, v139
	v_mul_f32_e32 v5, v24, v16
	v_fma_f32 v3, v21, v13, -v3
	s_delay_alu instid0(VALU_DEP_3) | instskip(NEXT) | instid1(VALU_DEP_3)
	v_dual_add_f32 v2, v2, v142 :: v_dual_add_f32 v1, v1, v4
	v_fma_f32 v4, v23, v15, -v5
	s_delay_alu instid0(VALU_DEP_2) | instskip(NEXT) | instid1(VALU_DEP_1)
	v_dual_add_f32 v2, v2, v134 :: v_dual_add_f32 v1, v1, v3
	v_sub_f32_e32 v2, v141, v2
	s_delay_alu instid0(VALU_DEP_2) | instskip(NEXT) | instid1(VALU_DEP_1)
	v_add_f32_e32 v1, v1, v4
	v_sub_f32_e32 v1, v140, v1
	scratch_store_b64 off, v[1:2], off offset:152
	v_cmpx_lt_u32_e32 18, v0
	s_cbranch_execz .LBB51_289
; %bb.288:
	scratch_load_b64 v[1:2], off, off offset:144
	v_mov_b32_e32 v3, 0
	s_delay_alu instid0(VALU_DEP_1)
	v_mov_b32_e32 v4, v3
	scratch_store_b64 off, v[3:4], off offset:144
	s_wait_loadcnt 0x0
	ds_store_b64 v27, v[1:2]
.LBB51_289:
	s_wait_alu 0xfffe
	s_or_b32 exec_lo, exec_lo, s0
	s_wait_storecnt_dscnt 0x0
	s_barrier_signal -1
	s_barrier_wait -1
	global_inv scope:SCOPE_SE
	s_clause 0x4
	scratch_load_b128 v[5:8], off, off offset:152
	scratch_load_b128 v[1:4], off, off offset:168
	;; [unrolled: 1-line block ×5, first 2 shown]
	v_mov_b32_e32 v21, 0
	ds_load_2addr_b64 v[22:25], v21 offset0:71 offset1:72
	ds_load_2addr_b64 v[132:135], v21 offset0:73 offset1:74
	;; [unrolled: 1-line block ×3, first 2 shown]
	scratch_load_b64 v[140:141], off, off offset:144
	s_mov_b32 s0, exec_lo
	s_wait_loadcnt_dscnt 0x502
	v_dual_mul_f32 v142, v22, v6 :: v_dual_mul_f32 v143, v24, v8
	v_mul_f32_e32 v26, v23, v6
	v_mul_f32_e32 v6, v25, v8
	s_wait_loadcnt_dscnt 0x300
	v_mul_f32_e32 v144, v138, v12
	v_dual_fmac_f32 v142, v23, v5 :: v_dual_fmac_f32 v143, v25, v7
	v_mul_f32_e32 v25, v134, v4
	v_fma_f32 v22, v22, v5, -v26
	v_mul_f32_e32 v26, v136, v10
	v_mul_f32_e32 v4, v135, v4
	s_delay_alu instid0(VALU_DEP_4)
	v_dual_mul_f32 v10, v137, v10 :: v_dual_fmac_f32 v25, v135, v3
	v_fma_f32 v23, v24, v7, -v6
	ds_load_2addr_b64 v[5:8], v21 offset0:77 offset1:78
	v_mul_f32_e32 v24, v132, v2
	v_mul_f32_e32 v12, v139, v12
	v_mul_f32_e32 v2, v133, v2
	v_fmac_f32_e32 v26, v137, v9
	v_fmac_f32_e32 v144, v139, v11
	;; [unrolled: 1-line block ×3, first 2 shown]
	v_fma_f32 v133, v134, v3, -v4
	v_fma_f32 v134, v136, v9, -v10
	;; [unrolled: 1-line block ×3, first 2 shown]
	ds_load_2addr_b64 v[9:12], v21 offset0:79 offset1:80
	s_wait_loadcnt_dscnt 0x201
	v_dual_mul_f32 v137, v7, v16 :: v_dual_mul_f32 v136, v5, v14
	v_mul_f32_e32 v14, v6, v14
	v_mul_f32_e32 v16, v8, v16
	s_delay_alu instid0(VALU_DEP_3)
	v_fmac_f32_e32 v137, v8, v15
	v_fma_f32 v132, v132, v1, -v2
	scratch_load_b128 v[1:4], off, off offset:232
	v_fmac_f32_e32 v136, v6, v13
	v_fma_f32 v13, v5, v13, -v14
	v_fma_f32 v14, v7, v15, -v16
	s_wait_loadcnt_dscnt 0x200
	v_mul_f32_e32 v15, v9, v18
	v_mul_f32_e32 v16, v10, v18
	;; [unrolled: 1-line block ×4, first 2 shown]
	ds_load_2addr_b64 v[5:8], v21 offset0:81 offset1:82
	v_fmac_f32_e32 v15, v10, v17
	v_fma_f32 v16, v9, v17, -v16
	v_fmac_f32_e32 v18, v12, v19
	v_fma_f32 v17, v11, v19, -v20
	scratch_load_b128 v[9:12], off, off offset:248
	s_wait_loadcnt_dscnt 0x100
	v_mul_f32_e32 v19, v5, v2
	v_mul_f32_e32 v2, v6, v2
	;; [unrolled: 1-line block ×3, first 2 shown]
	s_delay_alu instid0(VALU_DEP_3) | instskip(NEXT) | instid1(VALU_DEP_3)
	v_dual_mul_f32 v4, v8, v4 :: v_dual_fmac_f32 v19, v6, v1
	v_fma_f32 v138, v5, v1, -v2
	s_delay_alu instid0(VALU_DEP_3) | instskip(NEXT) | instid1(VALU_DEP_3)
	v_fmac_f32_e32 v20, v8, v3
	v_fma_f32 v139, v7, v3, -v4
	ds_load_2addr_b64 v[1:4], v21 offset0:83 offset1:84
	ds_load_2addr_b64 v[5:8], v21 offset0:85 offset1:86
	s_wait_loadcnt_dscnt 0x1
	v_mul_f32_e32 v145, v1, v10
	v_mul_f32_e32 v10, v2, v10
	s_delay_alu instid0(VALU_DEP_2) | instskip(NEXT) | instid1(VALU_DEP_2)
	v_dual_mul_f32 v146, v3, v12 :: v_dual_fmac_f32 v145, v2, v9
	v_fma_f32 v147, v1, v9, -v10
	v_mul_f32_e32 v1, v4, v12
	s_delay_alu instid0(VALU_DEP_3) | instskip(NEXT) | instid1(VALU_DEP_2)
	v_fmac_f32_e32 v146, v4, v11
	v_fma_f32 v148, v3, v11, -v1
	s_clause 0x1
	scratch_load_b128 v[1:4], off, off offset:264
	scratch_load_b128 v[9:12], off, off offset:280
	s_wait_loadcnt_dscnt 0x100
	v_mul_f32_e32 v149, v5, v2
	v_dual_mul_f32 v2, v6, v2 :: v_dual_mul_f32 v151, v7, v4
	s_delay_alu instid0(VALU_DEP_2) | instskip(NEXT) | instid1(VALU_DEP_2)
	v_fmac_f32_e32 v149, v6, v1
	v_fma_f32 v150, v5, v1, -v2
	v_mul_f32_e32 v1, v8, v4
	s_delay_alu instid0(VALU_DEP_4) | instskip(NEXT) | instid1(VALU_DEP_2)
	v_fmac_f32_e32 v151, v8, v3
	v_fma_f32 v152, v7, v3, -v1
	ds_load_2addr_b64 v[1:4], v21 offset0:87 offset1:88
	ds_load_2addr_b64 v[5:8], v21 offset0:89 offset1:90
	s_wait_loadcnt_dscnt 0x1
	v_mul_f32_e32 v153, v1, v10
	v_mul_f32_e32 v155, v3, v12
	s_delay_alu instid0(VALU_DEP_2) | instskip(NEXT) | instid1(VALU_DEP_2)
	v_fmac_f32_e32 v153, v2, v9
	v_dual_mul_f32 v2, v2, v10 :: v_dual_fmac_f32 v155, v4, v11
	s_delay_alu instid0(VALU_DEP_1) | instskip(SKIP_1) | instid1(VALU_DEP_1)
	v_fma_f32 v154, v1, v9, -v2
	v_mul_f32_e32 v1, v4, v12
	v_fma_f32 v156, v3, v11, -v1
	s_clause 0x1
	scratch_load_b128 v[1:4], off, off offset:296
	scratch_load_b128 v[9:12], off, off offset:312
	s_wait_loadcnt_dscnt 0x100
	v_mul_f32_e32 v157, v5, v2
	v_dual_mul_f32 v2, v6, v2 :: v_dual_mul_f32 v159, v7, v4
	s_delay_alu instid0(VALU_DEP_2) | instskip(NEXT) | instid1(VALU_DEP_2)
	v_fmac_f32_e32 v157, v6, v1
	v_fma_f32 v158, v5, v1, -v2
	v_mul_f32_e32 v1, v8, v4
	s_delay_alu instid0(VALU_DEP_4) | instskip(NEXT) | instid1(VALU_DEP_2)
	v_fmac_f32_e32 v159, v8, v3
	v_fma_f32 v160, v7, v3, -v1
	ds_load_2addr_b64 v[1:4], v21 offset0:91 offset1:92
	ds_load_2addr_b64 v[5:8], v21 offset0:93 offset1:94
	s_wait_loadcnt_dscnt 0x1
	v_mul_f32_e32 v161, v1, v10
	v_mul_f32_e32 v163, v3, v12
	s_delay_alu instid0(VALU_DEP_2) | instskip(NEXT) | instid1(VALU_DEP_2)
	v_fmac_f32_e32 v161, v2, v9
	v_dual_mul_f32 v2, v2, v10 :: v_dual_fmac_f32 v163, v4, v11
	s_delay_alu instid0(VALU_DEP_1) | instskip(SKIP_1) | instid1(VALU_DEP_1)
	v_fma_f32 v162, v1, v9, -v2
	v_mul_f32_e32 v1, v4, v12
	v_fma_f32 v164, v3, v11, -v1
	s_clause 0x1
	scratch_load_b128 v[1:4], off, off offset:328
	scratch_load_b128 v[9:12], off, off offset:344
	s_wait_loadcnt_dscnt 0x100
	v_mul_f32_e32 v165, v5, v2
	v_dual_mul_f32 v2, v6, v2 :: v_dual_mul_f32 v167, v7, v4
	s_delay_alu instid0(VALU_DEP_1) | instskip(SKIP_1) | instid1(VALU_DEP_1)
	v_fma_f32 v166, v5, v1, -v2
	v_add_f32_e32 v2, 0, v142
	v_add_f32_e32 v2, v2, v143
	s_delay_alu instid0(VALU_DEP_1) | instskip(NEXT) | instid1(VALU_DEP_1)
	v_dual_fmac_f32 v167, v8, v3 :: v_dual_add_f32 v2, v2, v24
	v_add_f32_e32 v2, v2, v25
	s_delay_alu instid0(VALU_DEP_1) | instskip(NEXT) | instid1(VALU_DEP_1)
	v_add_f32_e32 v2, v2, v26
	v_add_f32_e32 v2, v2, v144
	s_delay_alu instid0(VALU_DEP_1) | instskip(NEXT) | instid1(VALU_DEP_1)
	v_add_f32_e32 v2, v2, v136
	v_add_f32_e32 v2, v2, v137
	s_delay_alu instid0(VALU_DEP_1) | instskip(NEXT) | instid1(VALU_DEP_1)
	v_add_f32_e32 v5, v2, v15
	v_add_f32_e32 v5, v5, v18
	s_delay_alu instid0(VALU_DEP_1) | instskip(SKIP_2) | instid1(VALU_DEP_1)
	v_add_f32_e32 v5, v5, v19
	v_fmac_f32_e32 v165, v6, v1
	v_mul_f32_e32 v1, v8, v4
	v_fma_f32 v168, v7, v3, -v1
	v_add_f32_e32 v1, 0, v22
	s_delay_alu instid0(VALU_DEP_1) | instskip(NEXT) | instid1(VALU_DEP_1)
	v_add_f32_e32 v1, v1, v23
	v_add_f32_e32 v1, v1, v132
	s_delay_alu instid0(VALU_DEP_1) | instskip(SKIP_2) | instid1(VALU_DEP_1)
	v_add_f32_e32 v1, v1, v133
	scratch_load_b64 v[132:133], off, off offset:408
	v_add_f32_e32 v1, v1, v134
	v_add_f32_e32 v1, v1, v135
	s_delay_alu instid0(VALU_DEP_1) | instskip(NEXT) | instid1(VALU_DEP_1)
	v_add_f32_e32 v1, v1, v13
	v_add_f32_e32 v1, v1, v14
	;; [unrolled: 1-line block ×3, first 2 shown]
	s_delay_alu instid0(VALU_DEP_1) | instskip(NEXT) | instid1(VALU_DEP_1)
	v_dual_add_f32 v1, v1, v16 :: v_dual_add_f32 v14, v14, v145
	v_add_f32_e32 v6, v1, v17
	ds_load_2addr_b64 v[1:4], v21 offset0:95 offset1:96
	v_add_f32_e32 v14, v14, v146
	v_add_f32_e32 v6, v6, v138
	s_delay_alu instid0(VALU_DEP_1)
	v_add_f32_e32 v13, v6, v139
	ds_load_2addr_b64 v[5:8], v21 offset0:97 offset1:98
	s_wait_loadcnt_dscnt 0x101
	v_mul_f32_e32 v26, v1, v10
	v_dual_add_f32 v13, v13, v147 :: v_dual_mul_f32 v10, v2, v10
	v_mul_f32_e32 v136, v3, v12
	v_mul_f32_e32 v12, v4, v12
	s_delay_alu instid0(VALU_DEP_3) | instskip(NEXT) | instid1(VALU_DEP_4)
	v_dual_fmac_f32 v26, v2, v9 :: v_dual_add_f32 v13, v13, v148
	v_fma_f32 v137, v1, v9, -v10
	s_delay_alu instid0(VALU_DEP_4) | instskip(NEXT) | instid1(VALU_DEP_4)
	v_fmac_f32_e32 v136, v4, v11
	v_fma_f32 v138, v3, v11, -v12
	s_clause 0x1
	scratch_load_b128 v[1:4], off, off offset:360
	scratch_load_b128 v[9:12], off, off offset:376
	v_add_f32_e32 v13, v13, v150
	s_delay_alu instid0(VALU_DEP_1) | instskip(SKIP_2) | instid1(VALU_DEP_1)
	v_dual_add_f32 v17, v14, v149 :: v_dual_add_f32 v18, v13, v152
	scratch_load_b128 v[13:16], off, off offset:392
	v_add_f32_e32 v18, v18, v154
	v_dual_add_f32 v18, v18, v156 :: v_dual_add_f32 v17, v17, v151
	s_delay_alu instid0(VALU_DEP_1) | instskip(NEXT) | instid1(VALU_DEP_1)
	v_dual_add_f32 v18, v18, v158 :: v_dual_add_f32 v17, v17, v153
	v_dual_add_f32 v18, v18, v160 :: v_dual_add_f32 v17, v17, v155
	s_delay_alu instid0(VALU_DEP_1) | instskip(NEXT) | instid1(VALU_DEP_1)
	v_dual_add_f32 v134, v18, v162 :: v_dual_add_f32 v17, v17, v157
	v_dual_add_f32 v139, v134, v164 :: v_dual_add_f32 v22, v17, v159
	ds_load_2addr_b64 v[17:20], v21 offset0:99 offset1:100
	v_add_f32_e32 v135, v22, v161
	ds_load_2addr_b64 v[22:25], v21 offset0:101 offset1:102
	s_wait_loadcnt_dscnt 0x202
	v_mul_f32_e32 v144, v7, v4
	v_add_f32_e32 v142, v135, v163
	v_add_f32_e32 v139, v139, v166
	ds_load_b64 v[134:135], v21 offset:824
	v_fmac_f32_e32 v144, v8, v3
	v_dual_add_f32 v142, v142, v165 :: v_dual_mul_f32 v143, v5, v2
	v_dual_add_f32 v139, v139, v168 :: v_dual_mul_f32 v2, v6, v2
	v_mul_f32_e32 v4, v8, v4
	s_delay_alu instid0(VALU_DEP_3) | instskip(NEXT) | instid1(VALU_DEP_4)
	v_add_f32_e32 v142, v142, v167
	v_fmac_f32_e32 v143, v6, v1
	s_delay_alu instid0(VALU_DEP_4)
	v_add_f32_e32 v137, v139, v137
	v_fma_f32 v2, v5, v1, -v2
	s_wait_loadcnt_dscnt 0x102
	v_dual_mul_f32 v5, v20, v12 :: v_dual_add_f32 v26, v142, v26
	v_dual_mul_f32 v139, v17, v10 :: v_dual_mul_f32 v142, v19, v12
	v_add_f32_e32 v137, v137, v138
	v_fma_f32 v1, v7, v3, -v4
	s_delay_alu instid0(VALU_DEP_4) | instskip(NEXT) | instid1(VALU_DEP_4)
	v_add_f32_e32 v26, v26, v136
	v_fmac_f32_e32 v139, v18, v9
	v_fma_f32 v5, v19, v11, -v5
	v_add_f32_e32 v2, v137, v2
	s_wait_loadcnt_dscnt 0x1
	v_dual_mul_f32 v145, v22, v14 :: v_dual_mul_f32 v138, v24, v16
	v_add_f32_e32 v4, v26, v143
	v_mul_f32_e32 v3, v18, v10
	v_dual_add_f32 v1, v2, v1 :: v_dual_fmac_f32 v142, v20, v11
	s_delay_alu instid0(VALU_DEP_3) | instskip(NEXT) | instid1(VALU_DEP_3)
	v_dual_fmac_f32 v145, v23, v13 :: v_dual_add_f32 v2, v4, v144
	v_fma_f32 v3, v17, v9, -v3
	v_mul_f32_e32 v4, v23, v14
	s_wait_dscnt 0x0
	s_delay_alu instid0(VALU_DEP_2) | instskip(SKIP_1) | instid1(VALU_DEP_3)
	v_dual_mul_f32 v136, v134, v133 :: v_dual_add_f32 v1, v1, v3
	v_dual_add_f32 v2, v2, v139 :: v_dual_mul_f32 v3, v25, v16
	v_fma_f32 v4, v22, v13, -v4
	s_delay_alu instid0(VALU_DEP_2) | instskip(SKIP_1) | instid1(VALU_DEP_4)
	v_dual_add_f32 v1, v1, v5 :: v_dual_add_f32 v2, v2, v142
	v_mul_f32_e32 v5, v135, v133
	v_fma_f32 v3, v24, v15, -v3
	s_delay_alu instid0(VALU_DEP_3) | instskip(SKIP_1) | instid1(VALU_DEP_4)
	v_dual_add_f32 v1, v1, v4 :: v_dual_add_f32 v2, v2, v145
	v_fmac_f32_e32 v136, v135, v132
	v_fma_f32 v4, v134, v132, -v5
	s_delay_alu instid0(VALU_DEP_3) | instskip(NEXT) | instid1(VALU_DEP_1)
	v_add_f32_e32 v1, v1, v3
	v_add_f32_e32 v1, v1, v4
	s_delay_alu instid0(VALU_DEP_1) | instskip(NEXT) | instid1(VALU_DEP_1)
	v_dual_fmac_f32 v138, v25, v15 :: v_dual_sub_f32 v1, v140, v1
	v_add_f32_e32 v2, v2, v138
	s_delay_alu instid0(VALU_DEP_1) | instskip(NEXT) | instid1(VALU_DEP_1)
	v_add_f32_e32 v2, v2, v136
	v_sub_f32_e32 v2, v141, v2
	scratch_store_b64 off, v[1:2], off offset:144
	v_cmpx_lt_u32_e32 17, v0
	s_cbranch_execz .LBB51_291
; %bb.290:
	scratch_load_b64 v[1:2], off, off offset:136
	v_mov_b32_e32 v22, v21
	scratch_store_b64 off, v[21:22], off offset:136
	s_wait_loadcnt 0x0
	ds_store_b64 v27, v[1:2]
.LBB51_291:
	s_wait_alu 0xfffe
	s_or_b32 exec_lo, exec_lo, s0
	s_wait_storecnt_dscnt 0x0
	s_barrier_signal -1
	s_barrier_wait -1
	global_inv scope:SCOPE_SE
	s_clause 0x4
	scratch_load_b128 v[5:8], off, off offset:144
	scratch_load_b128 v[1:4], off, off offset:160
	;; [unrolled: 1-line block ×5, first 2 shown]
	ds_load_b128 v[22:25], v21 offset:560
	ds_load_b128 v[132:135], v21 offset:576
	ds_load_b128 v[136:139], v21 offset:592
	scratch_load_b64 v[140:141], off, off offset:136
	s_mov_b32 s0, exec_lo
	s_wait_loadcnt_dscnt 0x502
	v_dual_mul_f32 v26, v23, v6 :: v_dual_mul_f32 v143, v24, v8
	v_mul_f32_e32 v142, v22, v6
	v_mul_f32_e32 v6, v25, v8
	s_wait_loadcnt_dscnt 0x300
	v_mul_f32_e32 v144, v138, v12
	v_fma_f32 v22, v22, v5, -v26
	v_dual_fmac_f32 v143, v25, v7 :: v_dual_fmac_f32 v142, v23, v5
	v_mul_f32_e32 v25, v134, v4
	v_mul_f32_e32 v4, v135, v4
	;; [unrolled: 1-line block ×5, first 2 shown]
	v_fmac_f32_e32 v25, v135, v3
	v_fma_f32 v23, v24, v7, -v6
	ds_load_b128 v[5:8], v21 offset:608
	v_mul_f32_e32 v24, v132, v2
	v_mul_f32_e32 v2, v133, v2
	v_fmac_f32_e32 v26, v137, v9
	v_fmac_f32_e32 v144, v139, v11
	v_fma_f32 v135, v138, v11, -v12
	v_fmac_f32_e32 v24, v133, v1
	v_fma_f32 v133, v134, v3, -v4
	v_fma_f32 v134, v136, v9, -v10
	ds_load_b128 v[9:12], v21 offset:624
	s_wait_loadcnt_dscnt 0x201
	v_dual_mul_f32 v137, v7, v16 :: v_dual_mul_f32 v136, v5, v14
	v_mul_f32_e32 v14, v6, v14
	v_mul_f32_e32 v16, v8, v16
	s_delay_alu instid0(VALU_DEP_3)
	v_fmac_f32_e32 v137, v8, v15
	v_fma_f32 v132, v132, v1, -v2
	scratch_load_b128 v[1:4], off, off offset:224
	v_fmac_f32_e32 v136, v6, v13
	v_fma_f32 v13, v5, v13, -v14
	v_fma_f32 v14, v7, v15, -v16
	s_wait_loadcnt_dscnt 0x200
	v_mul_f32_e32 v15, v9, v18
	v_mul_f32_e32 v16, v10, v18
	;; [unrolled: 1-line block ×4, first 2 shown]
	ds_load_b128 v[5:8], v21 offset:640
	v_fmac_f32_e32 v15, v10, v17
	v_fma_f32 v16, v9, v17, -v16
	v_fmac_f32_e32 v18, v12, v19
	v_fma_f32 v17, v11, v19, -v20
	scratch_load_b128 v[9:12], off, off offset:240
	s_wait_loadcnt_dscnt 0x100
	v_mul_f32_e32 v19, v5, v2
	v_mul_f32_e32 v2, v6, v2
	;; [unrolled: 1-line block ×3, first 2 shown]
	s_delay_alu instid0(VALU_DEP_3) | instskip(NEXT) | instid1(VALU_DEP_3)
	v_dual_mul_f32 v4, v8, v4 :: v_dual_fmac_f32 v19, v6, v1
	v_fma_f32 v138, v5, v1, -v2
	s_delay_alu instid0(VALU_DEP_3) | instskip(NEXT) | instid1(VALU_DEP_3)
	v_fmac_f32_e32 v20, v8, v3
	v_fma_f32 v139, v7, v3, -v4
	ds_load_b128 v[1:4], v21 offset:656
	ds_load_b128 v[5:8], v21 offset:672
	s_wait_loadcnt_dscnt 0x1
	v_mul_f32_e32 v145, v1, v10
	v_mul_f32_e32 v10, v2, v10
	s_delay_alu instid0(VALU_DEP_2) | instskip(NEXT) | instid1(VALU_DEP_2)
	v_dual_mul_f32 v146, v3, v12 :: v_dual_fmac_f32 v145, v2, v9
	v_fma_f32 v147, v1, v9, -v10
	v_mul_f32_e32 v1, v4, v12
	s_delay_alu instid0(VALU_DEP_3) | instskip(NEXT) | instid1(VALU_DEP_2)
	v_fmac_f32_e32 v146, v4, v11
	v_fma_f32 v148, v3, v11, -v1
	s_clause 0x1
	scratch_load_b128 v[1:4], off, off offset:256
	scratch_load_b128 v[9:12], off, off offset:272
	s_wait_loadcnt_dscnt 0x100
	v_mul_f32_e32 v149, v5, v2
	v_dual_mul_f32 v2, v6, v2 :: v_dual_mul_f32 v151, v7, v4
	s_delay_alu instid0(VALU_DEP_2) | instskip(NEXT) | instid1(VALU_DEP_2)
	v_fmac_f32_e32 v149, v6, v1
	v_fma_f32 v150, v5, v1, -v2
	v_mul_f32_e32 v1, v8, v4
	s_delay_alu instid0(VALU_DEP_4) | instskip(NEXT) | instid1(VALU_DEP_2)
	v_fmac_f32_e32 v151, v8, v3
	v_fma_f32 v152, v7, v3, -v1
	ds_load_b128 v[1:4], v21 offset:688
	ds_load_b128 v[5:8], v21 offset:704
	s_wait_loadcnt_dscnt 0x1
	v_mul_f32_e32 v153, v1, v10
	v_mul_f32_e32 v155, v3, v12
	s_delay_alu instid0(VALU_DEP_2) | instskip(NEXT) | instid1(VALU_DEP_2)
	v_fmac_f32_e32 v153, v2, v9
	v_dual_mul_f32 v2, v2, v10 :: v_dual_fmac_f32 v155, v4, v11
	s_delay_alu instid0(VALU_DEP_1) | instskip(SKIP_1) | instid1(VALU_DEP_1)
	v_fma_f32 v154, v1, v9, -v2
	v_mul_f32_e32 v1, v4, v12
	v_fma_f32 v156, v3, v11, -v1
	s_clause 0x1
	scratch_load_b128 v[1:4], off, off offset:288
	scratch_load_b128 v[9:12], off, off offset:304
	s_wait_loadcnt_dscnt 0x100
	v_mul_f32_e32 v157, v5, v2
	v_dual_mul_f32 v2, v6, v2 :: v_dual_mul_f32 v159, v7, v4
	s_delay_alu instid0(VALU_DEP_2) | instskip(NEXT) | instid1(VALU_DEP_2)
	v_fmac_f32_e32 v157, v6, v1
	v_fma_f32 v158, v5, v1, -v2
	v_mul_f32_e32 v1, v8, v4
	s_delay_alu instid0(VALU_DEP_4) | instskip(NEXT) | instid1(VALU_DEP_2)
	v_fmac_f32_e32 v159, v8, v3
	v_fma_f32 v160, v7, v3, -v1
	ds_load_b128 v[1:4], v21 offset:720
	ds_load_b128 v[5:8], v21 offset:736
	s_wait_loadcnt_dscnt 0x1
	v_mul_f32_e32 v161, v1, v10
	v_mul_f32_e32 v163, v3, v12
	s_delay_alu instid0(VALU_DEP_2) | instskip(NEXT) | instid1(VALU_DEP_2)
	v_fmac_f32_e32 v161, v2, v9
	v_dual_mul_f32 v2, v2, v10 :: v_dual_fmac_f32 v163, v4, v11
	s_delay_alu instid0(VALU_DEP_1) | instskip(SKIP_1) | instid1(VALU_DEP_1)
	v_fma_f32 v162, v1, v9, -v2
	v_mul_f32_e32 v1, v4, v12
	v_fma_f32 v164, v3, v11, -v1
	s_clause 0x1
	scratch_load_b128 v[1:4], off, off offset:320
	scratch_load_b128 v[9:12], off, off offset:336
	s_wait_loadcnt_dscnt 0x100
	v_mul_f32_e32 v165, v5, v2
	v_dual_mul_f32 v2, v6, v2 :: v_dual_mul_f32 v167, v7, v4
	s_delay_alu instid0(VALU_DEP_1) | instskip(NEXT) | instid1(VALU_DEP_2)
	v_fma_f32 v166, v5, v1, -v2
	v_dual_fmac_f32 v167, v8, v3 :: v_dual_add_f32 v2, 0, v142
	s_delay_alu instid0(VALU_DEP_1) | instskip(SKIP_1) | instid1(VALU_DEP_2)
	v_add_f32_e32 v2, v2, v143
	v_fmac_f32_e32 v165, v6, v1
	v_add_f32_e32 v2, v2, v24
	s_delay_alu instid0(VALU_DEP_1) | instskip(NEXT) | instid1(VALU_DEP_1)
	v_dual_mul_f32 v1, v8, v4 :: v_dual_add_f32 v2, v2, v25
	v_fma_f32 v168, v7, v3, -v1
	s_delay_alu instid0(VALU_DEP_2) | instskip(NEXT) | instid1(VALU_DEP_1)
	v_add_f32_e32 v2, v2, v26
	v_dual_add_f32 v1, 0, v22 :: v_dual_add_f32 v2, v2, v144
	s_delay_alu instid0(VALU_DEP_1) | instskip(NEXT) | instid1(VALU_DEP_1)
	v_dual_add_f32 v1, v1, v23 :: v_dual_add_f32 v2, v2, v136
	v_dual_add_f32 v1, v1, v132 :: v_dual_add_f32 v2, v2, v137
	s_delay_alu instid0(VALU_DEP_1) | instskip(NEXT) | instid1(VALU_DEP_1)
	v_dual_add_f32 v1, v1, v133 :: v_dual_add_f32 v2, v2, v15
	v_add_f32_e32 v1, v1, v134
	s_delay_alu instid0(VALU_DEP_2) | instskip(NEXT) | instid1(VALU_DEP_2)
	v_add_f32_e32 v5, v2, v18
	v_add_f32_e32 v1, v1, v135
	s_delay_alu instid0(VALU_DEP_1) | instskip(NEXT) | instid1(VALU_DEP_3)
	v_add_f32_e32 v1, v1, v13
	v_add_f32_e32 v13, v5, v19
	s_delay_alu instid0(VALU_DEP_2) | instskip(NEXT) | instid1(VALU_DEP_1)
	v_add_f32_e32 v1, v1, v14
	v_add_f32_e32 v1, v1, v16
	s_delay_alu instid0(VALU_DEP_1) | instskip(NEXT) | instid1(VALU_DEP_1)
	v_add_f32_e32 v1, v1, v17
	v_add_f32_e32 v6, v1, v138
	ds_load_b128 v[1:4], v21 offset:752
	v_dual_add_f32 v13, v13, v20 :: v_dual_add_f32 v14, v6, v139
	scratch_load_b128 v[5:8], off, off offset:352
	v_dual_add_f32 v13, v13, v145 :: v_dual_add_f32 v14, v14, v147
	s_delay_alu instid0(VALU_DEP_1) | instskip(SKIP_4) | instid1(VALU_DEP_2)
	v_dual_add_f32 v18, v13, v146 :: v_dual_add_f32 v17, v14, v148
	ds_load_b128 v[13:16], v21 offset:768
	v_add_f32_e32 v18, v18, v149
	s_wait_loadcnt_dscnt 0x101
	v_mul_f32_e32 v26, v3, v12
	v_dual_add_f32 v18, v18, v151 :: v_dual_add_f32 v17, v17, v150
	v_mul_f32_e32 v12, v4, v12
	s_delay_alu instid0(VALU_DEP_3) | instskip(NEXT) | instid1(VALU_DEP_3)
	v_fmac_f32_e32 v26, v4, v11
	v_dual_add_f32 v22, v18, v153 :: v_dual_mul_f32 v25, v1, v10
	v_mul_f32_e32 v10, v2, v10
	s_delay_alu instid0(VALU_DEP_4) | instskip(NEXT) | instid1(VALU_DEP_3)
	v_fma_f32 v133, v3, v11, -v12
	v_add_f32_e32 v22, v22, v155
	s_delay_alu instid0(VALU_DEP_4) | instskip(NEXT) | instid1(VALU_DEP_4)
	v_fmac_f32_e32 v25, v2, v9
	v_fma_f32 v132, v1, v9, -v10
	scratch_load_b128 v[1:4], off, off offset:368
	v_add_f32_e32 v17, v17, v152
	scratch_load_b128 v[9:12], off, off offset:384
	v_add_f32_e32 v22, v22, v157
	s_wait_loadcnt_dscnt 0x200
	v_mul_f32_e32 v134, v13, v6
	v_mul_f32_e32 v6, v14, v6
	v_add_f32_e32 v17, v17, v154
	v_mul_f32_e32 v135, v15, v8
	v_mul_f32_e32 v8, v16, v8
	v_fmac_f32_e32 v134, v14, v5
	v_fma_f32 v136, v13, v5, -v6
	v_add_f32_e32 v23, v17, v156
	scratch_load_b128 v[17:20], off, off offset:400
	v_fma_f32 v137, v15, v7, -v8
	v_add_f32_e32 v23, v23, v158
	s_delay_alu instid0(VALU_DEP_1) | instskip(NEXT) | instid1(VALU_DEP_1)
	v_add_f32_e32 v23, v23, v160
	v_dual_add_f32 v13, v22, v159 :: v_dual_add_f32 v22, v23, v162
	s_delay_alu instid0(VALU_DEP_1) | instskip(NEXT) | instid1(VALU_DEP_1)
	v_dual_add_f32 v23, v13, v161 :: v_dual_add_f32 v138, v22, v164
	v_dual_add_f32 v138, v138, v166 :: v_dual_fmac_f32 v135, v16, v7
	ds_load_b128 v[5:8], v21 offset:784
	ds_load_b128 v[13:16], v21 offset:800
	v_dual_add_f32 v138, v138, v168 :: v_dual_add_f32 v139, v23, v163
	ds_load_b128 v[21:24], v21 offset:816
	v_dual_add_f32 v132, v138, v132 :: v_dual_add_f32 v139, v139, v165
	s_delay_alu instid0(VALU_DEP_1) | instskip(SKIP_1) | instid1(VALU_DEP_1)
	v_dual_add_f32 v132, v132, v133 :: v_dual_add_f32 v139, v139, v167
	s_wait_loadcnt_dscnt 0x202
	v_dual_add_f32 v25, v139, v25 :: v_dual_mul_f32 v142, v5, v2
	v_mul_f32_e32 v2, v6, v2
	s_wait_loadcnt_dscnt 0x101
	v_dual_mul_f32 v138, v7, v4 :: v_dual_mul_f32 v139, v13, v10
	s_delay_alu instid0(VALU_DEP_3) | instskip(SKIP_2) | instid1(VALU_DEP_3)
	v_dual_add_f32 v25, v25, v26 :: v_dual_mul_f32 v4, v8, v4
	v_add_f32_e32 v132, v132, v136
	v_dual_mul_f32 v143, v15, v12 :: v_dual_fmac_f32 v142, v6, v1
	v_add_f32_e32 v25, v25, v134
	v_fma_f32 v2, v5, v1, -v2
	v_fmac_f32_e32 v138, v8, v3
	v_fma_f32 v3, v7, v3, -v4
	s_delay_alu instid0(VALU_DEP_4) | instskip(SKIP_3) | instid1(VALU_DEP_4)
	v_dual_mul_f32 v4, v16, v12 :: v_dual_add_f32 v5, v25, v135
	v_add_f32_e32 v1, v132, v137
	v_fmac_f32_e32 v139, v14, v9
	v_mul_f32_e32 v6, v14, v10
	v_fma_f32 v4, v15, v11, -v4
	s_delay_alu instid0(VALU_DEP_4) | instskip(SKIP_1) | instid1(VALU_DEP_4)
	v_add_f32_e32 v1, v1, v2
	v_add_f32_e32 v2, v5, v142
	v_fma_f32 v5, v13, v9, -v6
	s_delay_alu instid0(VALU_DEP_2) | instskip(NEXT) | instid1(VALU_DEP_1)
	v_dual_add_f32 v1, v1, v3 :: v_dual_add_f32 v2, v2, v138
	v_dual_add_f32 v1, v1, v5 :: v_dual_add_f32 v2, v2, v139
	s_wait_loadcnt_dscnt 0x0
	v_dual_mul_f32 v133, v23, v20 :: v_dual_mul_f32 v26, v21, v18
	v_mul_f32_e32 v3, v22, v18
	v_fmac_f32_e32 v143, v16, v11
	s_delay_alu instid0(VALU_DEP_3) | instskip(NEXT) | instid1(VALU_DEP_2)
	v_dual_fmac_f32 v133, v24, v19 :: v_dual_fmac_f32 v26, v22, v17
	v_dual_mul_f32 v5, v24, v20 :: v_dual_add_f32 v2, v2, v143
	s_delay_alu instid0(VALU_DEP_4) | instskip(SKIP_1) | instid1(VALU_DEP_3)
	v_fma_f32 v3, v21, v17, -v3
	v_add_f32_e32 v1, v1, v4
	v_fma_f32 v4, v23, v19, -v5
	s_delay_alu instid0(VALU_DEP_2) | instskip(NEXT) | instid1(VALU_DEP_1)
	v_dual_add_f32 v2, v2, v26 :: v_dual_add_f32 v1, v1, v3
	v_dual_add_f32 v2, v2, v133 :: v_dual_add_f32 v1, v1, v4
	s_delay_alu instid0(VALU_DEP_1)
	v_dual_sub_f32 v2, v141, v2 :: v_dual_sub_f32 v1, v140, v1
	scratch_store_b64 off, v[1:2], off offset:136
	v_cmpx_lt_u32_e32 16, v0
	s_cbranch_execz .LBB51_293
; %bb.292:
	scratch_load_b64 v[1:2], off, off offset:128
	v_mov_b32_e32 v3, 0
	s_delay_alu instid0(VALU_DEP_1)
	v_mov_b32_e32 v4, v3
	scratch_store_b64 off, v[3:4], off offset:128
	s_wait_loadcnt 0x0
	ds_store_b64 v27, v[1:2]
.LBB51_293:
	s_wait_alu 0xfffe
	s_or_b32 exec_lo, exec_lo, s0
	s_wait_storecnt_dscnt 0x0
	s_barrier_signal -1
	s_barrier_wait -1
	global_inv scope:SCOPE_SE
	s_clause 0x4
	scratch_load_b128 v[5:8], off, off offset:136
	scratch_load_b128 v[1:4], off, off offset:152
	;; [unrolled: 1-line block ×5, first 2 shown]
	v_mov_b32_e32 v21, 0
	ds_load_2addr_b64 v[22:25], v21 offset0:69 offset1:70
	ds_load_2addr_b64 v[132:135], v21 offset0:71 offset1:72
	ds_load_2addr_b64 v[136:139], v21 offset0:73 offset1:74
	scratch_load_b64 v[140:141], off, off offset:128
	s_mov_b32 s0, exec_lo
	s_wait_loadcnt_dscnt 0x502
	v_dual_mul_f32 v142, v22, v6 :: v_dual_mul_f32 v143, v24, v8
	v_mul_f32_e32 v26, v23, v6
	v_mul_f32_e32 v6, v25, v8
	s_wait_loadcnt_dscnt 0x300
	v_mul_f32_e32 v144, v138, v12
	v_dual_fmac_f32 v142, v23, v5 :: v_dual_fmac_f32 v143, v25, v7
	v_mul_f32_e32 v25, v134, v4
	v_fma_f32 v22, v22, v5, -v26
	v_mul_f32_e32 v26, v136, v10
	v_mul_f32_e32 v4, v135, v4
	s_delay_alu instid0(VALU_DEP_4)
	v_dual_mul_f32 v10, v137, v10 :: v_dual_fmac_f32 v25, v135, v3
	v_fma_f32 v23, v24, v7, -v6
	ds_load_2addr_b64 v[5:8], v21 offset0:75 offset1:76
	v_mul_f32_e32 v24, v132, v2
	v_mul_f32_e32 v12, v139, v12
	;; [unrolled: 1-line block ×3, first 2 shown]
	v_fmac_f32_e32 v26, v137, v9
	v_fmac_f32_e32 v144, v139, v11
	;; [unrolled: 1-line block ×3, first 2 shown]
	v_fma_f32 v133, v134, v3, -v4
	v_fma_f32 v134, v136, v9, -v10
	;; [unrolled: 1-line block ×3, first 2 shown]
	ds_load_2addr_b64 v[9:12], v21 offset0:77 offset1:78
	s_wait_loadcnt_dscnt 0x201
	v_dual_mul_f32 v137, v7, v16 :: v_dual_mul_f32 v136, v5, v14
	v_mul_f32_e32 v14, v6, v14
	v_mul_f32_e32 v16, v8, v16
	s_delay_alu instid0(VALU_DEP_3)
	v_fmac_f32_e32 v137, v8, v15
	v_fma_f32 v132, v132, v1, -v2
	scratch_load_b128 v[1:4], off, off offset:216
	v_fmac_f32_e32 v136, v6, v13
	v_fma_f32 v13, v5, v13, -v14
	v_fma_f32 v14, v7, v15, -v16
	s_wait_loadcnt_dscnt 0x200
	v_mul_f32_e32 v15, v9, v18
	v_mul_f32_e32 v16, v10, v18
	;; [unrolled: 1-line block ×4, first 2 shown]
	ds_load_2addr_b64 v[5:8], v21 offset0:79 offset1:80
	v_fmac_f32_e32 v15, v10, v17
	v_fma_f32 v16, v9, v17, -v16
	v_fmac_f32_e32 v18, v12, v19
	v_fma_f32 v17, v11, v19, -v20
	scratch_load_b128 v[9:12], off, off offset:232
	s_wait_loadcnt_dscnt 0x100
	v_mul_f32_e32 v19, v5, v2
	v_mul_f32_e32 v2, v6, v2
	;; [unrolled: 1-line block ×3, first 2 shown]
	s_delay_alu instid0(VALU_DEP_3) | instskip(NEXT) | instid1(VALU_DEP_3)
	v_dual_mul_f32 v4, v8, v4 :: v_dual_fmac_f32 v19, v6, v1
	v_fma_f32 v138, v5, v1, -v2
	s_delay_alu instid0(VALU_DEP_3) | instskip(NEXT) | instid1(VALU_DEP_3)
	v_fmac_f32_e32 v20, v8, v3
	v_fma_f32 v139, v7, v3, -v4
	ds_load_2addr_b64 v[1:4], v21 offset0:81 offset1:82
	ds_load_2addr_b64 v[5:8], v21 offset0:83 offset1:84
	s_wait_loadcnt_dscnt 0x1
	v_mul_f32_e32 v145, v1, v10
	v_mul_f32_e32 v10, v2, v10
	s_delay_alu instid0(VALU_DEP_2) | instskip(NEXT) | instid1(VALU_DEP_2)
	v_dual_mul_f32 v146, v3, v12 :: v_dual_fmac_f32 v145, v2, v9
	v_fma_f32 v147, v1, v9, -v10
	v_mul_f32_e32 v1, v4, v12
	s_delay_alu instid0(VALU_DEP_3) | instskip(NEXT) | instid1(VALU_DEP_2)
	v_fmac_f32_e32 v146, v4, v11
	v_fma_f32 v148, v3, v11, -v1
	s_clause 0x1
	scratch_load_b128 v[1:4], off, off offset:248
	scratch_load_b128 v[9:12], off, off offset:264
	s_wait_loadcnt_dscnt 0x100
	v_mul_f32_e32 v149, v5, v2
	v_dual_mul_f32 v2, v6, v2 :: v_dual_mul_f32 v151, v7, v4
	s_delay_alu instid0(VALU_DEP_2) | instskip(NEXT) | instid1(VALU_DEP_2)
	v_fmac_f32_e32 v149, v6, v1
	v_fma_f32 v150, v5, v1, -v2
	v_mul_f32_e32 v1, v8, v4
	s_delay_alu instid0(VALU_DEP_4) | instskip(NEXT) | instid1(VALU_DEP_2)
	v_fmac_f32_e32 v151, v8, v3
	v_fma_f32 v152, v7, v3, -v1
	ds_load_2addr_b64 v[1:4], v21 offset0:85 offset1:86
	ds_load_2addr_b64 v[5:8], v21 offset0:87 offset1:88
	s_wait_loadcnt_dscnt 0x1
	v_mul_f32_e32 v153, v1, v10
	v_mul_f32_e32 v155, v3, v12
	s_delay_alu instid0(VALU_DEP_2) | instskip(NEXT) | instid1(VALU_DEP_2)
	v_fmac_f32_e32 v153, v2, v9
	v_dual_mul_f32 v2, v2, v10 :: v_dual_fmac_f32 v155, v4, v11
	s_delay_alu instid0(VALU_DEP_1) | instskip(SKIP_1) | instid1(VALU_DEP_1)
	v_fma_f32 v154, v1, v9, -v2
	v_mul_f32_e32 v1, v4, v12
	v_fma_f32 v156, v3, v11, -v1
	s_clause 0x1
	scratch_load_b128 v[1:4], off, off offset:280
	scratch_load_b128 v[9:12], off, off offset:296
	s_wait_loadcnt_dscnt 0x100
	v_mul_f32_e32 v157, v5, v2
	v_dual_mul_f32 v2, v6, v2 :: v_dual_mul_f32 v159, v7, v4
	s_delay_alu instid0(VALU_DEP_2) | instskip(NEXT) | instid1(VALU_DEP_2)
	v_fmac_f32_e32 v157, v6, v1
	v_fma_f32 v158, v5, v1, -v2
	v_mul_f32_e32 v1, v8, v4
	s_delay_alu instid0(VALU_DEP_4) | instskip(NEXT) | instid1(VALU_DEP_2)
	v_fmac_f32_e32 v159, v8, v3
	v_fma_f32 v160, v7, v3, -v1
	ds_load_2addr_b64 v[1:4], v21 offset0:89 offset1:90
	ds_load_2addr_b64 v[5:8], v21 offset0:91 offset1:92
	s_wait_loadcnt_dscnt 0x1
	v_mul_f32_e32 v161, v1, v10
	v_mul_f32_e32 v163, v3, v12
	s_delay_alu instid0(VALU_DEP_2) | instskip(NEXT) | instid1(VALU_DEP_2)
	v_fmac_f32_e32 v161, v2, v9
	v_dual_mul_f32 v2, v2, v10 :: v_dual_fmac_f32 v163, v4, v11
	s_delay_alu instid0(VALU_DEP_1) | instskip(SKIP_1) | instid1(VALU_DEP_1)
	v_fma_f32 v162, v1, v9, -v2
	v_mul_f32_e32 v1, v4, v12
	v_fma_f32 v164, v3, v11, -v1
	s_clause 0x1
	scratch_load_b128 v[1:4], off, off offset:312
	scratch_load_b128 v[9:12], off, off offset:328
	s_wait_loadcnt_dscnt 0x100
	v_mul_f32_e32 v165, v5, v2
	v_dual_mul_f32 v2, v6, v2 :: v_dual_mul_f32 v167, v7, v4
	s_delay_alu instid0(VALU_DEP_1) | instskip(SKIP_1) | instid1(VALU_DEP_1)
	v_fma_f32 v166, v5, v1, -v2
	v_add_f32_e32 v2, 0, v142
	v_add_f32_e32 v2, v2, v143
	s_delay_alu instid0(VALU_DEP_4) | instskip(SKIP_1) | instid1(VALU_DEP_3)
	v_fmac_f32_e32 v167, v8, v3
	v_fmac_f32_e32 v165, v6, v1
	v_add_f32_e32 v2, v2, v24
	s_delay_alu instid0(VALU_DEP_1) | instskip(NEXT) | instid1(VALU_DEP_1)
	v_dual_mul_f32 v1, v8, v4 :: v_dual_add_f32 v2, v2, v25
	v_fma_f32 v168, v7, v3, -v1
	s_delay_alu instid0(VALU_DEP_2) | instskip(NEXT) | instid1(VALU_DEP_1)
	v_add_f32_e32 v2, v2, v26
	v_dual_add_f32 v1, 0, v22 :: v_dual_add_f32 v2, v2, v144
	s_delay_alu instid0(VALU_DEP_1) | instskip(NEXT) | instid1(VALU_DEP_1)
	v_dual_add_f32 v1, v1, v23 :: v_dual_add_f32 v2, v2, v136
	v_dual_add_f32 v1, v1, v132 :: v_dual_add_f32 v2, v2, v137
	s_delay_alu instid0(VALU_DEP_1) | instskip(SKIP_2) | instid1(VALU_DEP_1)
	v_add_f32_e32 v1, v1, v133
	scratch_load_b64 v[132:133], off, off offset:408
	v_dual_add_f32 v2, v2, v15 :: v_dual_add_f32 v1, v1, v134
	v_add_f32_e32 v5, v2, v18
	s_delay_alu instid0(VALU_DEP_2) | instskip(NEXT) | instid1(VALU_DEP_1)
	v_add_f32_e32 v1, v1, v135
	v_add_f32_e32 v1, v1, v13
	s_delay_alu instid0(VALU_DEP_3) | instskip(NEXT) | instid1(VALU_DEP_1)
	v_add_f32_e32 v13, v5, v19
	v_add_f32_e32 v13, v13, v20
	s_delay_alu instid0(VALU_DEP_1) | instskip(NEXT) | instid1(VALU_DEP_1)
	v_add_f32_e32 v13, v13, v145
	v_add_f32_e32 v18, v13, v146
	s_delay_alu instid0(VALU_DEP_1) | instskip(NEXT) | instid1(VALU_DEP_1)
	v_dual_add_f32 v1, v1, v14 :: v_dual_add_f32 v18, v18, v149
	v_dual_add_f32 v1, v1, v16 :: v_dual_add_f32 v18, v18, v151
	s_delay_alu instid0(VALU_DEP_1) | instskip(NEXT) | instid1(VALU_DEP_2)
	v_add_f32_e32 v1, v1, v17
	v_add_f32_e32 v22, v18, v153
	s_delay_alu instid0(VALU_DEP_2)
	v_add_f32_e32 v6, v1, v138
	scratch_load_b128 v[1:4], off, off offset:344
	v_add_f32_e32 v22, v22, v155
	v_add_f32_e32 v14, v6, v139
	ds_load_2addr_b64 v[5:8], v21 offset0:93 offset1:94
	v_add_f32_e32 v22, v22, v157
	v_add_f32_e32 v14, v14, v147
	s_delay_alu instid0(VALU_DEP_2) | instskip(NEXT) | instid1(VALU_DEP_2)
	v_add_f32_e32 v22, v22, v159
	v_add_f32_e32 v17, v14, v148
	ds_load_2addr_b64 v[13:16], v21 offset0:95 offset1:96
	s_wait_loadcnt_dscnt 0x201
	v_mul_f32_e32 v26, v5, v10
	v_mul_f32_e32 v10, v6, v10
	;; [unrolled: 1-line block ×3, first 2 shown]
	v_dual_mul_f32 v12, v8, v12 :: v_dual_add_f32 v17, v17, v150
	s_delay_alu instid0(VALU_DEP_4) | instskip(NEXT) | instid1(VALU_DEP_4)
	v_fmac_f32_e32 v26, v6, v9
	v_fma_f32 v137, v5, v9, -v10
	s_delay_alu instid0(VALU_DEP_4) | instskip(NEXT) | instid1(VALU_DEP_4)
	v_fmac_f32_e32 v136, v8, v11
	v_fma_f32 v138, v7, v11, -v12
	scratch_load_b128 v[5:8], off, off offset:360
	v_add_f32_e32 v17, v17, v152
	scratch_load_b128 v[9:12], off, off offset:376
	v_add_f32_e32 v17, v17, v154
	s_delay_alu instid0(VALU_DEP_1)
	v_add_f32_e32 v23, v17, v156
	scratch_load_b128 v[17:20], off, off offset:392
	s_wait_loadcnt_dscnt 0x300
	v_dual_mul_f32 v139, v13, v2 :: v_dual_mul_f32 v142, v15, v4
	v_mul_f32_e32 v2, v14, v2
	v_dual_add_f32 v23, v23, v158 :: v_dual_mul_f32 v4, v16, v4
	s_delay_alu instid0(VALU_DEP_3) | instskip(NEXT) | instid1(VALU_DEP_3)
	v_dual_fmac_f32 v139, v14, v1 :: v_dual_fmac_f32 v142, v16, v3
	v_fma_f32 v143, v13, v1, -v2
	s_delay_alu instid0(VALU_DEP_3) | instskip(NEXT) | instid1(VALU_DEP_4)
	v_add_f32_e32 v23, v23, v160
	v_fma_f32 v144, v15, v3, -v4
	ds_load_2addr_b64 v[1:4], v21 offset0:97 offset1:98
	v_add_f32_e32 v23, v23, v162
	s_delay_alu instid0(VALU_DEP_1) | instskip(NEXT) | instid1(VALU_DEP_1)
	v_dual_add_f32 v13, v22, v161 :: v_dual_add_f32 v14, v23, v164
	v_add_f32_e32 v134, v14, v166
	s_delay_alu instid0(VALU_DEP_2)
	v_add_f32_e32 v22, v13, v163
	ds_load_2addr_b64 v[13:16], v21 offset0:99 offset1:100
	v_add_f32_e32 v145, v134, v168
	v_add_f32_e32 v135, v22, v165
	ds_load_2addr_b64 v[22:25], v21 offset0:101 offset1:102
	v_dual_add_f32 v137, v145, v137 :: v_dual_add_f32 v146, v135, v167
	s_wait_loadcnt_dscnt 0x202
	v_mul_f32_e32 v145, v1, v6
	ds_load_b64 v[134:135], v21 offset:824
	v_mul_f32_e32 v6, v2, v6
	v_add_f32_e32 v137, v137, v138
	v_add_f32_e32 v26, v146, v26
	v_fmac_f32_e32 v145, v2, v5
	s_delay_alu instid0(VALU_DEP_2)
	v_dual_add_f32 v137, v137, v143 :: v_dual_add_f32 v26, v26, v136
	v_mul_f32_e32 v136, v3, v8
	v_mul_f32_e32 v8, v4, v8
	s_wait_loadcnt_dscnt 0x102
	v_mul_f32_e32 v138, v13, v10
	v_dual_add_f32 v137, v137, v144 :: v_dual_add_f32 v26, v26, v139
	v_mul_f32_e32 v139, v15, v12
	v_fma_f32 v1, v1, v5, -v6
	s_wait_loadcnt_dscnt 0x1
	v_dual_mul_f32 v143, v22, v18 :: v_dual_mul_f32 v144, v24, v20
	v_add_f32_e32 v26, v26, v142
	v_fma_f32 v2, v3, v7, -v8
	v_mul_f32_e32 v3, v14, v10
	v_add_f32_e32 v1, v137, v1
	s_wait_dscnt 0x0
	v_dual_mul_f32 v142, v134, v133 :: v_dual_mul_f32 v5, v16, v12
	v_fmac_f32_e32 v136, v4, v7
	v_dual_add_f32 v4, v26, v145 :: v_dual_fmac_f32 v139, v16, v11
	v_fma_f32 v3, v13, v9, -v3
	v_dual_add_f32 v1, v1, v2 :: v_dual_fmac_f32 v138, v14, v9
	s_delay_alu instid0(VALU_DEP_3) | instskip(SKIP_2) | instid1(VALU_DEP_3)
	v_dual_add_f32 v2, v4, v136 :: v_dual_fmac_f32 v143, v23, v17
	v_mul_f32_e32 v4, v23, v18
	v_fma_f32 v5, v15, v11, -v5
	v_dual_add_f32 v1, v1, v3 :: v_dual_add_f32 v2, v2, v138
	v_mul_f32_e32 v3, v25, v20
	s_delay_alu instid0(VALU_DEP_4) | instskip(NEXT) | instid1(VALU_DEP_3)
	v_fma_f32 v4, v22, v17, -v4
	v_dual_add_f32 v1, v1, v5 :: v_dual_add_f32 v2, v2, v139
	v_mul_f32_e32 v5, v135, v133
	s_delay_alu instid0(VALU_DEP_4) | instskip(NEXT) | instid1(VALU_DEP_3)
	v_fma_f32 v3, v24, v19, -v3
	v_dual_add_f32 v1, v1, v4 :: v_dual_add_f32 v2, v2, v143
	v_fmac_f32_e32 v142, v135, v132
	s_delay_alu instid0(VALU_DEP_4) | instskip(NEXT) | instid1(VALU_DEP_3)
	v_fma_f32 v4, v134, v132, -v5
	v_add_f32_e32 v1, v1, v3
	s_delay_alu instid0(VALU_DEP_1) | instskip(NEXT) | instid1(VALU_DEP_1)
	v_add_f32_e32 v1, v1, v4
	v_dual_fmac_f32 v144, v25, v19 :: v_dual_sub_f32 v1, v140, v1
	s_delay_alu instid0(VALU_DEP_1) | instskip(NEXT) | instid1(VALU_DEP_1)
	v_add_f32_e32 v2, v2, v144
	v_add_f32_e32 v2, v2, v142
	s_delay_alu instid0(VALU_DEP_1)
	v_sub_f32_e32 v2, v141, v2
	scratch_store_b64 off, v[1:2], off offset:128
	v_cmpx_lt_u32_e32 15, v0
	s_cbranch_execz .LBB51_295
; %bb.294:
	scratch_load_b64 v[1:2], off, off offset:120
	v_mov_b32_e32 v22, v21
	scratch_store_b64 off, v[21:22], off offset:120
	s_wait_loadcnt 0x0
	ds_store_b64 v27, v[1:2]
.LBB51_295:
	s_wait_alu 0xfffe
	s_or_b32 exec_lo, exec_lo, s0
	s_wait_storecnt_dscnt 0x0
	s_barrier_signal -1
	s_barrier_wait -1
	global_inv scope:SCOPE_SE
	s_clause 0x4
	scratch_load_b128 v[5:8], off, off offset:128
	scratch_load_b128 v[1:4], off, off offset:144
	;; [unrolled: 1-line block ×5, first 2 shown]
	ds_load_b128 v[22:25], v21 offset:544
	ds_load_b128 v[132:135], v21 offset:560
	;; [unrolled: 1-line block ×3, first 2 shown]
	scratch_load_b64 v[140:141], off, off offset:120
	s_mov_b32 s0, exec_lo
	s_wait_loadcnt_dscnt 0x502
	v_dual_mul_f32 v26, v23, v6 :: v_dual_mul_f32 v143, v24, v8
	v_mul_f32_e32 v142, v22, v6
	v_mul_f32_e32 v6, v25, v8
	s_wait_loadcnt_dscnt 0x300
	v_mul_f32_e32 v144, v138, v12
	v_fma_f32 v22, v22, v5, -v26
	v_dual_fmac_f32 v143, v25, v7 :: v_dual_fmac_f32 v142, v23, v5
	v_mul_f32_e32 v25, v134, v4
	v_mul_f32_e32 v4, v135, v4
	;; [unrolled: 1-line block ×5, first 2 shown]
	v_fmac_f32_e32 v25, v135, v3
	v_fma_f32 v23, v24, v7, -v6
	ds_load_b128 v[5:8], v21 offset:592
	v_mul_f32_e32 v24, v132, v2
	v_mul_f32_e32 v2, v133, v2
	v_fmac_f32_e32 v26, v137, v9
	v_fmac_f32_e32 v144, v139, v11
	v_fma_f32 v135, v138, v11, -v12
	v_fmac_f32_e32 v24, v133, v1
	v_fma_f32 v133, v134, v3, -v4
	v_fma_f32 v134, v136, v9, -v10
	ds_load_b128 v[9:12], v21 offset:608
	s_wait_loadcnt_dscnt 0x201
	v_dual_mul_f32 v137, v7, v16 :: v_dual_mul_f32 v136, v5, v14
	v_mul_f32_e32 v14, v6, v14
	v_mul_f32_e32 v16, v8, v16
	s_delay_alu instid0(VALU_DEP_3)
	v_fmac_f32_e32 v137, v8, v15
	v_fma_f32 v132, v132, v1, -v2
	scratch_load_b128 v[1:4], off, off offset:208
	v_fmac_f32_e32 v136, v6, v13
	v_fma_f32 v13, v5, v13, -v14
	v_fma_f32 v14, v7, v15, -v16
	s_wait_loadcnt_dscnt 0x200
	v_mul_f32_e32 v15, v9, v18
	v_mul_f32_e32 v16, v10, v18
	;; [unrolled: 1-line block ×4, first 2 shown]
	ds_load_b128 v[5:8], v21 offset:624
	v_fmac_f32_e32 v15, v10, v17
	v_fma_f32 v16, v9, v17, -v16
	v_fmac_f32_e32 v18, v12, v19
	v_fma_f32 v17, v11, v19, -v20
	scratch_load_b128 v[9:12], off, off offset:224
	s_wait_loadcnt_dscnt 0x100
	v_mul_f32_e32 v19, v5, v2
	v_mul_f32_e32 v2, v6, v2
	;; [unrolled: 1-line block ×3, first 2 shown]
	s_delay_alu instid0(VALU_DEP_3) | instskip(NEXT) | instid1(VALU_DEP_3)
	v_dual_mul_f32 v4, v8, v4 :: v_dual_fmac_f32 v19, v6, v1
	v_fma_f32 v138, v5, v1, -v2
	s_delay_alu instid0(VALU_DEP_3) | instskip(NEXT) | instid1(VALU_DEP_3)
	v_fmac_f32_e32 v20, v8, v3
	v_fma_f32 v139, v7, v3, -v4
	ds_load_b128 v[1:4], v21 offset:640
	ds_load_b128 v[5:8], v21 offset:656
	s_wait_loadcnt_dscnt 0x1
	v_mul_f32_e32 v145, v1, v10
	v_mul_f32_e32 v10, v2, v10
	s_delay_alu instid0(VALU_DEP_2) | instskip(NEXT) | instid1(VALU_DEP_2)
	v_dual_mul_f32 v146, v3, v12 :: v_dual_fmac_f32 v145, v2, v9
	v_fma_f32 v147, v1, v9, -v10
	v_mul_f32_e32 v1, v4, v12
	s_delay_alu instid0(VALU_DEP_3) | instskip(NEXT) | instid1(VALU_DEP_2)
	v_fmac_f32_e32 v146, v4, v11
	v_fma_f32 v148, v3, v11, -v1
	s_clause 0x1
	scratch_load_b128 v[1:4], off, off offset:240
	scratch_load_b128 v[9:12], off, off offset:256
	s_wait_loadcnt_dscnt 0x100
	v_mul_f32_e32 v149, v5, v2
	v_dual_mul_f32 v2, v6, v2 :: v_dual_mul_f32 v151, v7, v4
	s_delay_alu instid0(VALU_DEP_2) | instskip(NEXT) | instid1(VALU_DEP_2)
	v_fmac_f32_e32 v149, v6, v1
	v_fma_f32 v150, v5, v1, -v2
	v_mul_f32_e32 v1, v8, v4
	s_delay_alu instid0(VALU_DEP_4) | instskip(NEXT) | instid1(VALU_DEP_2)
	v_fmac_f32_e32 v151, v8, v3
	v_fma_f32 v152, v7, v3, -v1
	ds_load_b128 v[1:4], v21 offset:672
	ds_load_b128 v[5:8], v21 offset:688
	s_wait_loadcnt_dscnt 0x1
	v_mul_f32_e32 v153, v1, v10
	v_mul_f32_e32 v155, v3, v12
	s_delay_alu instid0(VALU_DEP_2) | instskip(NEXT) | instid1(VALU_DEP_2)
	v_fmac_f32_e32 v153, v2, v9
	v_dual_mul_f32 v2, v2, v10 :: v_dual_fmac_f32 v155, v4, v11
	s_delay_alu instid0(VALU_DEP_1) | instskip(SKIP_1) | instid1(VALU_DEP_1)
	v_fma_f32 v154, v1, v9, -v2
	v_mul_f32_e32 v1, v4, v12
	v_fma_f32 v156, v3, v11, -v1
	s_clause 0x1
	scratch_load_b128 v[1:4], off, off offset:272
	scratch_load_b128 v[9:12], off, off offset:288
	s_wait_loadcnt_dscnt 0x100
	v_mul_f32_e32 v157, v5, v2
	v_dual_mul_f32 v2, v6, v2 :: v_dual_mul_f32 v159, v7, v4
	s_delay_alu instid0(VALU_DEP_2) | instskip(NEXT) | instid1(VALU_DEP_2)
	v_fmac_f32_e32 v157, v6, v1
	v_fma_f32 v158, v5, v1, -v2
	v_mul_f32_e32 v1, v8, v4
	s_delay_alu instid0(VALU_DEP_4) | instskip(NEXT) | instid1(VALU_DEP_2)
	v_fmac_f32_e32 v159, v8, v3
	v_fma_f32 v160, v7, v3, -v1
	ds_load_b128 v[1:4], v21 offset:704
	ds_load_b128 v[5:8], v21 offset:720
	s_wait_loadcnt_dscnt 0x1
	v_mul_f32_e32 v161, v1, v10
	v_mul_f32_e32 v163, v3, v12
	s_delay_alu instid0(VALU_DEP_2) | instskip(NEXT) | instid1(VALU_DEP_2)
	v_fmac_f32_e32 v161, v2, v9
	v_dual_mul_f32 v2, v2, v10 :: v_dual_fmac_f32 v163, v4, v11
	s_delay_alu instid0(VALU_DEP_1) | instskip(SKIP_1) | instid1(VALU_DEP_1)
	v_fma_f32 v162, v1, v9, -v2
	v_mul_f32_e32 v1, v4, v12
	;; [unrolled: 25-line block ×3, first 2 shown]
	v_fma_f32 v172, v3, v11, -v1
	s_clause 0x1
	scratch_load_b128 v[1:4], off, off offset:336
	scratch_load_b128 v[9:12], off, off offset:352
	s_wait_loadcnt_dscnt 0x100
	v_mul_f32_e32 v173, v5, v2
	v_mul_f32_e32 v2, v6, v2
	s_delay_alu instid0(VALU_DEP_1) | instskip(SKIP_1) | instid1(VALU_DEP_1)
	v_fma_f32 v174, v5, v1, -v2
	v_add_f32_e32 v2, 0, v142
	v_add_f32_e32 v2, v2, v143
	s_delay_alu instid0(VALU_DEP_1) | instskip(NEXT) | instid1(VALU_DEP_1)
	v_add_f32_e32 v2, v2, v24
	v_add_f32_e32 v2, v2, v25
	s_delay_alu instid0(VALU_DEP_1) | instskip(NEXT) | instid1(VALU_DEP_1)
	;; [unrolled: 3-line block ×3, first 2 shown]
	v_add_f32_e32 v2, v2, v136
	v_dual_add_f32 v2, v2, v137 :: v_dual_mul_f32 v175, v7, v4
	s_delay_alu instid0(VALU_DEP_1) | instskip(NEXT) | instid1(VALU_DEP_1)
	v_add_f32_e32 v2, v2, v15
	v_dual_fmac_f32 v175, v8, v3 :: v_dual_add_f32 v2, v2, v18
	s_delay_alu instid0(VALU_DEP_1) | instskip(NEXT) | instid1(VALU_DEP_1)
	v_add_f32_e32 v2, v2, v19
	v_add_f32_e32 v2, v2, v20
	s_delay_alu instid0(VALU_DEP_1) | instskip(NEXT) | instid1(VALU_DEP_1)
	v_add_f32_e32 v5, v2, v145
	v_add_f32_e32 v5, v5, v146
	s_delay_alu instid0(VALU_DEP_1) | instskip(SKIP_2) | instid1(VALU_DEP_1)
	v_add_f32_e32 v5, v5, v149
	v_fmac_f32_e32 v173, v6, v1
	v_mul_f32_e32 v1, v8, v4
	v_fma_f32 v176, v7, v3, -v1
	v_add_f32_e32 v1, 0, v22
	s_delay_alu instid0(VALU_DEP_1) | instskip(NEXT) | instid1(VALU_DEP_1)
	v_add_f32_e32 v1, v1, v23
	v_add_f32_e32 v1, v1, v132
	s_delay_alu instid0(VALU_DEP_1) | instskip(NEXT) | instid1(VALU_DEP_1)
	v_add_f32_e32 v1, v1, v133
	;; [unrolled: 3-line block ×6, first 2 shown]
	v_add_f32_e32 v1, v1, v147
	s_delay_alu instid0(VALU_DEP_1) | instskip(SKIP_2) | instid1(VALU_DEP_1)
	v_add_f32_e32 v6, v1, v148
	ds_load_b128 v[1:4], v21 offset:768
	v_add_f32_e32 v6, v6, v150
	v_add_f32_e32 v13, v6, v152
	s_delay_alu instid0(VALU_DEP_1) | instskip(NEXT) | instid1(VALU_DEP_1)
	v_add_f32_e32 v13, v13, v154
	v_add_f32_e32 v13, v13, v156
	s_delay_alu instid0(VALU_DEP_1) | instskip(NEXT) | instid1(VALU_DEP_1)
	;; [unrolled: 3-line block ×5, first 2 shown]
	v_add_f32_e32 v134, v134, v170
	v_add_f32_e32 v134, v134, v172
	;; [unrolled: 1-line block ×3, first 2 shown]
	ds_load_b128 v[5:8], v21 offset:784
	s_wait_loadcnt_dscnt 0x1
	v_dual_mul_f32 v25, v1, v10 :: v_dual_mul_f32 v26, v3, v12
	v_mul_f32_e32 v10, v2, v10
	v_add_f32_e32 v14, v14, v153
	v_mul_f32_e32 v12, v4, v12
	v_add_f32_e32 v134, v134, v174
	v_fmac_f32_e32 v26, v4, v11
	v_fma_f32 v132, v1, v9, -v10
	v_add_f32_e32 v14, v14, v155
	v_fma_f32 v133, v3, v11, -v12
	v_add_f32_e32 v134, v134, v176
	s_delay_alu instid0(VALU_DEP_3) | instskip(SKIP_2) | instid1(VALU_DEP_1)
	v_add_f32_e32 v17, v14, v157
	scratch_load_b128 v[13:16], off, off offset:400
	v_dual_add_f32 v132, v134, v132 :: v_dual_add_f32 v17, v17, v159
	v_add_f32_e32 v17, v17, v161
	s_delay_alu instid0(VALU_DEP_1) | instskip(NEXT) | instid1(VALU_DEP_1)
	v_add_f32_e32 v17, v17, v163
	v_add_f32_e32 v23, v17, v165
	ds_load_b128 v[17:20], v21 offset:800
	v_fmac_f32_e32 v25, v2, v9
	s_clause 0x1
	scratch_load_b128 v[1:4], off, off offset:368
	scratch_load_b128 v[9:12], off, off offset:384
	s_wait_loadcnt_dscnt 0x101
	v_mul_f32_e32 v136, v5, v2
	v_mul_f32_e32 v2, v6, v2
	s_wait_loadcnt_dscnt 0x0
	v_mul_f32_e32 v138, v17, v10
	s_delay_alu instid0(VALU_DEP_3)
	v_fmac_f32_e32 v136, v6, v1
	v_dual_mul_f32 v6, v18, v10 :: v_dual_add_f32 v135, v23, v167
	ds_load_b128 v[21:24], v21 offset:816
	v_fmac_f32_e32 v138, v18, v9
	v_fma_f32 v2, v5, v1, -v2
	s_wait_dscnt 0x0
	v_dual_add_f32 v135, v135, v169 :: v_dual_mul_f32 v142, v21, v14
	v_mul_f32_e32 v137, v7, v4
	v_mul_f32_e32 v4, v8, v4
	;; [unrolled: 1-line block ×3, first 2 shown]
	s_delay_alu instid0(VALU_DEP_3) | instskip(NEXT) | instid1(VALU_DEP_3)
	v_dual_fmac_f32 v142, v22, v13 :: v_dual_fmac_f32 v137, v8, v3
	v_fma_f32 v3, v7, v3, -v4
	v_dual_mul_f32 v4, v20, v12 :: v_dual_add_f32 v135, v135, v171
	s_delay_alu instid0(VALU_DEP_4) | instskip(SKIP_1) | instid1(VALU_DEP_3)
	v_fmac_f32_e32 v134, v24, v15
	v_add_f32_e32 v1, v132, v133
	v_fma_f32 v4, v19, v11, -v4
	s_delay_alu instid0(VALU_DEP_4) | instskip(NEXT) | instid1(VALU_DEP_3)
	v_add_f32_e32 v135, v135, v173
	v_add_f32_e32 v1, v1, v2
	s_delay_alu instid0(VALU_DEP_2) | instskip(NEXT) | instid1(VALU_DEP_2)
	v_add_f32_e32 v135, v135, v175
	v_add_f32_e32 v1, v1, v3
	v_mul_f32_e32 v3, v22, v14
	s_delay_alu instid0(VALU_DEP_3) | instskip(NEXT) | instid1(VALU_DEP_2)
	v_add_f32_e32 v25, v135, v25
	v_fma_f32 v3, v21, v13, -v3
	s_delay_alu instid0(VALU_DEP_2) | instskip(NEXT) | instid1(VALU_DEP_1)
	v_add_f32_e32 v5, v25, v26
	v_add_f32_e32 v2, v5, v136
	v_mul_f32_e32 v139, v19, v12
	v_fma_f32 v5, v17, v9, -v6
	s_delay_alu instid0(VALU_DEP_2) | instskip(NEXT) | instid1(VALU_DEP_2)
	v_dual_add_f32 v2, v2, v137 :: v_dual_fmac_f32 v139, v20, v11
	v_add_f32_e32 v1, v1, v5
	s_delay_alu instid0(VALU_DEP_2) | instskip(NEXT) | instid1(VALU_DEP_2)
	v_dual_mul_f32 v5, v24, v16 :: v_dual_add_f32 v2, v2, v138
	v_add_f32_e32 v1, v1, v4
	s_delay_alu instid0(VALU_DEP_2) | instskip(NEXT) | instid1(VALU_DEP_3)
	v_fma_f32 v4, v23, v15, -v5
	v_add_f32_e32 v2, v2, v139
	s_delay_alu instid0(VALU_DEP_1) | instskip(NEXT) | instid1(VALU_DEP_1)
	v_dual_add_f32 v1, v1, v3 :: v_dual_add_f32 v2, v2, v142
	v_dual_add_f32 v1, v1, v4 :: v_dual_add_f32 v2, v2, v134
	s_delay_alu instid0(VALU_DEP_1)
	v_dual_sub_f32 v1, v140, v1 :: v_dual_sub_f32 v2, v141, v2
	scratch_store_b64 off, v[1:2], off offset:120
	v_cmpx_lt_u32_e32 14, v0
	s_cbranch_execz .LBB51_297
; %bb.296:
	scratch_load_b64 v[1:2], off, off offset:112
	v_mov_b32_e32 v3, 0
	s_delay_alu instid0(VALU_DEP_1)
	v_mov_b32_e32 v4, v3
	scratch_store_b64 off, v[3:4], off offset:112
	s_wait_loadcnt 0x0
	ds_store_b64 v27, v[1:2]
.LBB51_297:
	s_wait_alu 0xfffe
	s_or_b32 exec_lo, exec_lo, s0
	s_wait_storecnt_dscnt 0x0
	s_barrier_signal -1
	s_barrier_wait -1
	global_inv scope:SCOPE_SE
	s_clause 0x4
	scratch_load_b128 v[5:8], off, off offset:120
	scratch_load_b128 v[1:4], off, off offset:136
	;; [unrolled: 1-line block ×5, first 2 shown]
	v_mov_b32_e32 v21, 0
	ds_load_2addr_b64 v[22:25], v21 offset0:67 offset1:68
	ds_load_2addr_b64 v[132:135], v21 offset0:69 offset1:70
	;; [unrolled: 1-line block ×3, first 2 shown]
	scratch_load_b64 v[140:141], off, off offset:112
	s_mov_b32 s0, exec_lo
	s_wait_loadcnt_dscnt 0x502
	v_dual_mul_f32 v142, v22, v6 :: v_dual_mul_f32 v143, v24, v8
	v_mul_f32_e32 v26, v23, v6
	v_mul_f32_e32 v6, v25, v8
	s_wait_loadcnt_dscnt 0x300
	v_mul_f32_e32 v144, v138, v12
	v_dual_fmac_f32 v142, v23, v5 :: v_dual_fmac_f32 v143, v25, v7
	v_mul_f32_e32 v25, v134, v4
	v_fma_f32 v22, v22, v5, -v26
	v_mul_f32_e32 v26, v136, v10
	v_mul_f32_e32 v4, v135, v4
	s_delay_alu instid0(VALU_DEP_4)
	v_dual_mul_f32 v10, v137, v10 :: v_dual_fmac_f32 v25, v135, v3
	v_fma_f32 v23, v24, v7, -v6
	ds_load_2addr_b64 v[5:8], v21 offset0:73 offset1:74
	v_mul_f32_e32 v24, v132, v2
	v_mul_f32_e32 v12, v139, v12
	;; [unrolled: 1-line block ×3, first 2 shown]
	v_fmac_f32_e32 v26, v137, v9
	v_fmac_f32_e32 v144, v139, v11
	v_fmac_f32_e32 v24, v133, v1
	v_fma_f32 v133, v134, v3, -v4
	v_fma_f32 v134, v136, v9, -v10
	;; [unrolled: 1-line block ×3, first 2 shown]
	ds_load_2addr_b64 v[9:12], v21 offset0:75 offset1:76
	s_wait_loadcnt_dscnt 0x201
	v_dual_mul_f32 v137, v7, v16 :: v_dual_mul_f32 v136, v5, v14
	v_mul_f32_e32 v14, v6, v14
	v_mul_f32_e32 v16, v8, v16
	s_delay_alu instid0(VALU_DEP_3)
	v_fmac_f32_e32 v137, v8, v15
	v_fma_f32 v132, v132, v1, -v2
	scratch_load_b128 v[1:4], off, off offset:200
	v_fmac_f32_e32 v136, v6, v13
	v_fma_f32 v13, v5, v13, -v14
	v_fma_f32 v14, v7, v15, -v16
	s_wait_loadcnt_dscnt 0x200
	v_mul_f32_e32 v15, v9, v18
	v_mul_f32_e32 v16, v10, v18
	;; [unrolled: 1-line block ×4, first 2 shown]
	ds_load_2addr_b64 v[5:8], v21 offset0:77 offset1:78
	v_fmac_f32_e32 v15, v10, v17
	v_fma_f32 v16, v9, v17, -v16
	v_fmac_f32_e32 v18, v12, v19
	v_fma_f32 v17, v11, v19, -v20
	scratch_load_b128 v[9:12], off, off offset:216
	s_wait_loadcnt_dscnt 0x100
	v_mul_f32_e32 v19, v5, v2
	v_mul_f32_e32 v2, v6, v2
	;; [unrolled: 1-line block ×3, first 2 shown]
	s_delay_alu instid0(VALU_DEP_3) | instskip(NEXT) | instid1(VALU_DEP_3)
	v_dual_mul_f32 v4, v8, v4 :: v_dual_fmac_f32 v19, v6, v1
	v_fma_f32 v138, v5, v1, -v2
	s_delay_alu instid0(VALU_DEP_3) | instskip(NEXT) | instid1(VALU_DEP_3)
	v_fmac_f32_e32 v20, v8, v3
	v_fma_f32 v139, v7, v3, -v4
	ds_load_2addr_b64 v[1:4], v21 offset0:79 offset1:80
	ds_load_2addr_b64 v[5:8], v21 offset0:81 offset1:82
	s_wait_loadcnt_dscnt 0x1
	v_mul_f32_e32 v145, v1, v10
	v_mul_f32_e32 v10, v2, v10
	s_delay_alu instid0(VALU_DEP_2) | instskip(NEXT) | instid1(VALU_DEP_2)
	v_dual_mul_f32 v146, v3, v12 :: v_dual_fmac_f32 v145, v2, v9
	v_fma_f32 v147, v1, v9, -v10
	v_mul_f32_e32 v1, v4, v12
	s_delay_alu instid0(VALU_DEP_3) | instskip(NEXT) | instid1(VALU_DEP_2)
	v_fmac_f32_e32 v146, v4, v11
	v_fma_f32 v148, v3, v11, -v1
	s_clause 0x1
	scratch_load_b128 v[1:4], off, off offset:232
	scratch_load_b128 v[9:12], off, off offset:248
	s_wait_loadcnt_dscnt 0x100
	v_mul_f32_e32 v149, v5, v2
	v_dual_mul_f32 v2, v6, v2 :: v_dual_mul_f32 v151, v7, v4
	s_delay_alu instid0(VALU_DEP_2) | instskip(NEXT) | instid1(VALU_DEP_2)
	v_fmac_f32_e32 v149, v6, v1
	v_fma_f32 v150, v5, v1, -v2
	v_mul_f32_e32 v1, v8, v4
	s_delay_alu instid0(VALU_DEP_4) | instskip(NEXT) | instid1(VALU_DEP_2)
	v_fmac_f32_e32 v151, v8, v3
	v_fma_f32 v152, v7, v3, -v1
	ds_load_2addr_b64 v[1:4], v21 offset0:83 offset1:84
	ds_load_2addr_b64 v[5:8], v21 offset0:85 offset1:86
	s_wait_loadcnt_dscnt 0x1
	v_mul_f32_e32 v153, v1, v10
	v_mul_f32_e32 v155, v3, v12
	s_delay_alu instid0(VALU_DEP_2) | instskip(NEXT) | instid1(VALU_DEP_2)
	v_fmac_f32_e32 v153, v2, v9
	v_dual_mul_f32 v2, v2, v10 :: v_dual_fmac_f32 v155, v4, v11
	s_delay_alu instid0(VALU_DEP_1) | instskip(SKIP_1) | instid1(VALU_DEP_1)
	v_fma_f32 v154, v1, v9, -v2
	v_mul_f32_e32 v1, v4, v12
	v_fma_f32 v156, v3, v11, -v1
	s_clause 0x1
	scratch_load_b128 v[1:4], off, off offset:264
	scratch_load_b128 v[9:12], off, off offset:280
	s_wait_loadcnt_dscnt 0x100
	v_mul_f32_e32 v157, v5, v2
	v_dual_mul_f32 v2, v6, v2 :: v_dual_mul_f32 v159, v7, v4
	s_delay_alu instid0(VALU_DEP_2) | instskip(NEXT) | instid1(VALU_DEP_2)
	v_fmac_f32_e32 v157, v6, v1
	v_fma_f32 v158, v5, v1, -v2
	v_mul_f32_e32 v1, v8, v4
	s_delay_alu instid0(VALU_DEP_4) | instskip(NEXT) | instid1(VALU_DEP_2)
	v_fmac_f32_e32 v159, v8, v3
	v_fma_f32 v160, v7, v3, -v1
	ds_load_2addr_b64 v[1:4], v21 offset0:87 offset1:88
	ds_load_2addr_b64 v[5:8], v21 offset0:89 offset1:90
	s_wait_loadcnt_dscnt 0x1
	v_mul_f32_e32 v161, v1, v10
	v_mul_f32_e32 v163, v3, v12
	s_delay_alu instid0(VALU_DEP_2) | instskip(NEXT) | instid1(VALU_DEP_2)
	v_fmac_f32_e32 v161, v2, v9
	v_dual_mul_f32 v2, v2, v10 :: v_dual_fmac_f32 v163, v4, v11
	s_delay_alu instid0(VALU_DEP_1) | instskip(SKIP_1) | instid1(VALU_DEP_1)
	v_fma_f32 v162, v1, v9, -v2
	v_mul_f32_e32 v1, v4, v12
	;; [unrolled: 25-line block ×3, first 2 shown]
	v_fma_f32 v172, v3, v11, -v1
	s_clause 0x1
	scratch_load_b128 v[1:4], off, off offset:328
	scratch_load_b128 v[9:12], off, off offset:344
	s_wait_loadcnt_dscnt 0x100
	v_mul_f32_e32 v173, v5, v2
	v_mul_f32_e32 v2, v6, v2
	s_delay_alu instid0(VALU_DEP_1) | instskip(SKIP_1) | instid1(VALU_DEP_1)
	v_fma_f32 v174, v5, v1, -v2
	v_add_f32_e32 v2, 0, v142
	v_add_f32_e32 v2, v2, v143
	s_delay_alu instid0(VALU_DEP_1) | instskip(NEXT) | instid1(VALU_DEP_1)
	v_add_f32_e32 v2, v2, v24
	v_add_f32_e32 v2, v2, v25
	s_delay_alu instid0(VALU_DEP_1) | instskip(NEXT) | instid1(VALU_DEP_1)
	v_add_f32_e32 v2, v2, v26
	v_add_f32_e32 v2, v2, v144
	v_fmac_f32_e32 v173, v6, v1
	s_delay_alu instid0(VALU_DEP_2) | instskip(NEXT) | instid1(VALU_DEP_1)
	v_add_f32_e32 v2, v2, v136
	v_dual_add_f32 v2, v2, v137 :: v_dual_mul_f32 v175, v7, v4
	s_delay_alu instid0(VALU_DEP_1) | instskip(NEXT) | instid1(VALU_DEP_1)
	v_add_f32_e32 v2, v2, v15
	v_dual_fmac_f32 v175, v8, v3 :: v_dual_add_f32 v2, v2, v18
	s_delay_alu instid0(VALU_DEP_1) | instskip(NEXT) | instid1(VALU_DEP_1)
	v_dual_mul_f32 v1, v8, v4 :: v_dual_add_f32 v2, v2, v19
	v_fma_f32 v176, v7, v3, -v1
	s_delay_alu instid0(VALU_DEP_2) | instskip(NEXT) | instid1(VALU_DEP_1)
	v_dual_add_f32 v1, 0, v22 :: v_dual_add_f32 v2, v2, v20
	v_add_f32_e32 v1, v1, v23
	s_delay_alu instid0(VALU_DEP_2) | instskip(NEXT) | instid1(VALU_DEP_2)
	v_add_f32_e32 v5, v2, v145
	v_add_f32_e32 v1, v1, v132
	s_delay_alu instid0(VALU_DEP_2) | instskip(NEXT) | instid1(VALU_DEP_2)
	v_add_f32_e32 v5, v5, v146
	v_add_f32_e32 v1, v1, v133
	scratch_load_b64 v[132:133], off, off offset:408
	v_add_f32_e32 v5, v5, v149
	v_add_f32_e32 v1, v1, v134
	s_delay_alu instid0(VALU_DEP_1) | instskip(NEXT) | instid1(VALU_DEP_1)
	v_add_f32_e32 v1, v1, v135
	v_add_f32_e32 v1, v1, v13
	s_delay_alu instid0(VALU_DEP_1) | instskip(SKIP_1) | instid1(VALU_DEP_1)
	v_add_f32_e32 v1, v1, v14
	v_add_f32_e32 v14, v5, v151
	v_dual_add_f32 v1, v1, v16 :: v_dual_add_f32 v14, v14, v153
	s_delay_alu instid0(VALU_DEP_1) | instskip(NEXT) | instid1(VALU_DEP_1)
	v_dual_add_f32 v1, v1, v17 :: v_dual_add_f32 v14, v14, v155
	v_add_f32_e32 v1, v1, v138
	s_delay_alu instid0(VALU_DEP_2) | instskip(NEXT) | instid1(VALU_DEP_2)
	v_add_f32_e32 v17, v14, v157
	v_add_f32_e32 v1, v1, v139
	s_delay_alu instid0(VALU_DEP_2) | instskip(NEXT) | instid1(VALU_DEP_2)
	v_add_f32_e32 v17, v17, v159
	;; [unrolled: 3-line block ×3, first 2 shown]
	v_add_f32_e32 v6, v1, v148
	ds_load_2addr_b64 v[1:4], v21 offset0:95 offset1:96
	v_dual_add_f32 v17, v17, v163 :: v_dual_add_f32 v6, v6, v150
	s_delay_alu instid0(VALU_DEP_1) | instskip(NEXT) | instid1(VALU_DEP_2)
	v_add_f32_e32 v17, v17, v165
	v_add_f32_e32 v13, v6, v152
	ds_load_2addr_b64 v[5:8], v21 offset0:97 offset1:98
	v_add_f32_e32 v22, v17, v167
	s_delay_alu instid0(VALU_DEP_1)
	v_add_f32_e32 v135, v22, v169
	v_add_f32_e32 v13, v13, v154
	ds_load_2addr_b64 v[22:25], v21 offset0:101 offset1:102
	s_wait_loadcnt_dscnt 0x102
	v_mul_f32_e32 v26, v1, v10
	v_mul_f32_e32 v10, v2, v10
	;; [unrolled: 1-line block ×4, first 2 shown]
	v_add_f32_e32 v142, v135, v171
	v_fmac_f32_e32 v26, v2, v9
	v_fma_f32 v137, v1, v9, -v10
	v_fmac_f32_e32 v136, v4, v11
	v_fma_f32 v138, v3, v11, -v12
	s_clause 0x1
	scratch_load_b128 v[1:4], off, off offset:360
	scratch_load_b128 v[9:12], off, off offset:376
	v_dual_add_f32 v13, v13, v156 :: v_dual_add_f32 v142, v142, v173
	s_delay_alu instid0(VALU_DEP_1) | instskip(NEXT) | instid1(VALU_DEP_1)
	v_dual_add_f32 v13, v13, v158 :: v_dual_add_f32 v142, v142, v175
	v_add_f32_e32 v18, v13, v160
	scratch_load_b128 v[13:16], off, off offset:392
	v_add_f32_e32 v26, v142, v26
	v_add_f32_e32 v18, v18, v162
	s_delay_alu instid0(VALU_DEP_2) | instskip(NEXT) | instid1(VALU_DEP_2)
	v_add_f32_e32 v26, v26, v136
	v_add_f32_e32 v18, v18, v164
	s_delay_alu instid0(VALU_DEP_1) | instskip(NEXT) | instid1(VALU_DEP_1)
	v_add_f32_e32 v18, v18, v166
	v_add_f32_e32 v18, v18, v168
	s_delay_alu instid0(VALU_DEP_1)
	v_add_f32_e32 v134, v18, v170
	ds_load_2addr_b64 v[17:20], v21 offset0:99 offset1:100
	s_wait_loadcnt_dscnt 0x202
	v_mul_f32_e32 v144, v7, v4
	v_add_f32_e32 v139, v134, v172
	ds_load_b64 v[134:135], v21 offset:824
	v_mul_f32_e32 v143, v5, v2
	v_mul_f32_e32 v2, v6, v2
	v_dual_fmac_f32 v144, v8, v3 :: v_dual_add_f32 v139, v139, v174
	v_mul_f32_e32 v4, v8, v4
	s_wait_loadcnt_dscnt 0x101
	v_mul_f32_e32 v142, v19, v12
	v_fma_f32 v2, v5, v1, -v2
	v_add_f32_e32 v139, v139, v176
	s_wait_loadcnt 0x0
	s_delay_alu instid0(VALU_DEP_3)
	v_dual_mul_f32 v145, v22, v14 :: v_dual_fmac_f32 v142, v20, v11
	s_wait_dscnt 0x0
	v_mul_f32_e32 v136, v134, v133
	v_fmac_f32_e32 v143, v6, v1
	v_add_f32_e32 v137, v139, v137
	v_fma_f32 v1, v7, v3, -v4
	s_delay_alu instid0(VALU_DEP_4) | instskip(NEXT) | instid1(VALU_DEP_3)
	v_fmac_f32_e32 v136, v135, v132
	v_dual_add_f32 v4, v26, v143 :: v_dual_add_f32 v137, v137, v138
	v_dual_mul_f32 v139, v17, v10 :: v_dual_mul_f32 v138, v24, v16
	v_mul_f32_e32 v3, v18, v10
	s_delay_alu instid0(VALU_DEP_3) | instskip(NEXT) | instid1(VALU_DEP_3)
	v_add_f32_e32 v2, v137, v2
	v_dual_fmac_f32 v138, v25, v15 :: v_dual_fmac_f32 v145, v23, v13
	s_delay_alu instid0(VALU_DEP_3) | instskip(NEXT) | instid1(VALU_DEP_3)
	v_fma_f32 v3, v17, v9, -v3
	v_dual_add_f32 v1, v2, v1 :: v_dual_add_f32 v2, v4, v144
	v_dual_fmac_f32 v139, v18, v9 :: v_dual_mul_f32 v4, v23, v14
	s_delay_alu instid0(VALU_DEP_1) | instskip(NEXT) | instid1(VALU_DEP_2)
	v_dual_add_f32 v2, v2, v139 :: v_dual_mul_f32 v5, v20, v12
	v_fma_f32 v4, v22, v13, -v4
	s_delay_alu instid0(VALU_DEP_2) | instskip(NEXT) | instid1(VALU_DEP_3)
	v_add_f32_e32 v2, v2, v142
	v_fma_f32 v5, v19, v11, -v5
	s_delay_alu instid0(VALU_DEP_2) | instskip(NEXT) | instid1(VALU_DEP_1)
	v_add_f32_e32 v2, v2, v145
	v_add_f32_e32 v2, v2, v138
	s_delay_alu instid0(VALU_DEP_1) | instskip(NEXT) | instid1(VALU_DEP_1)
	v_add_f32_e32 v2, v2, v136
	v_sub_f32_e32 v2, v141, v2
	v_add_f32_e32 v1, v1, v3
	v_mul_f32_e32 v3, v25, v16
	s_delay_alu instid0(VALU_DEP_2) | instskip(SKIP_1) | instid1(VALU_DEP_3)
	v_add_f32_e32 v1, v1, v5
	v_mul_f32_e32 v5, v135, v133
	v_fma_f32 v3, v24, v15, -v3
	s_delay_alu instid0(VALU_DEP_3) | instskip(NEXT) | instid1(VALU_DEP_3)
	v_add_f32_e32 v1, v1, v4
	v_fma_f32 v4, v134, v132, -v5
	s_delay_alu instid0(VALU_DEP_2) | instskip(NEXT) | instid1(VALU_DEP_1)
	v_add_f32_e32 v1, v1, v3
	v_add_f32_e32 v1, v1, v4
	s_delay_alu instid0(VALU_DEP_1)
	v_sub_f32_e32 v1, v140, v1
	scratch_store_b64 off, v[1:2], off offset:112
	v_cmpx_lt_u32_e32 13, v0
	s_cbranch_execz .LBB51_299
; %bb.298:
	scratch_load_b64 v[1:2], off, off offset:104
	v_mov_b32_e32 v22, v21
	scratch_store_b64 off, v[21:22], off offset:104
	s_wait_loadcnt 0x0
	ds_store_b64 v27, v[1:2]
.LBB51_299:
	s_wait_alu 0xfffe
	s_or_b32 exec_lo, exec_lo, s0
	s_wait_storecnt_dscnt 0x0
	s_barrier_signal -1
	s_barrier_wait -1
	global_inv scope:SCOPE_SE
	s_clause 0x4
	scratch_load_b128 v[5:8], off, off offset:112
	scratch_load_b128 v[1:4], off, off offset:128
	;; [unrolled: 1-line block ×5, first 2 shown]
	ds_load_b128 v[22:25], v21 offset:528
	ds_load_b128 v[132:135], v21 offset:544
	;; [unrolled: 1-line block ×3, first 2 shown]
	scratch_load_b64 v[140:141], off, off offset:104
	s_mov_b32 s0, exec_lo
	s_wait_loadcnt_dscnt 0x502
	v_dual_mul_f32 v26, v23, v6 :: v_dual_mul_f32 v143, v24, v8
	v_mul_f32_e32 v142, v22, v6
	v_mul_f32_e32 v6, v25, v8
	s_wait_loadcnt_dscnt 0x300
	v_mul_f32_e32 v144, v138, v12
	v_fma_f32 v22, v22, v5, -v26
	v_dual_fmac_f32 v143, v25, v7 :: v_dual_fmac_f32 v142, v23, v5
	v_mul_f32_e32 v25, v134, v4
	v_mul_f32_e32 v4, v135, v4
	;; [unrolled: 1-line block ×5, first 2 shown]
	v_fmac_f32_e32 v25, v135, v3
	v_fma_f32 v23, v24, v7, -v6
	ds_load_b128 v[5:8], v21 offset:576
	v_mul_f32_e32 v24, v132, v2
	v_mul_f32_e32 v2, v133, v2
	v_fmac_f32_e32 v26, v137, v9
	v_fmac_f32_e32 v144, v139, v11
	v_fma_f32 v135, v138, v11, -v12
	v_fmac_f32_e32 v24, v133, v1
	v_fma_f32 v133, v134, v3, -v4
	v_fma_f32 v134, v136, v9, -v10
	ds_load_b128 v[9:12], v21 offset:592
	s_wait_loadcnt_dscnt 0x201
	v_dual_mul_f32 v137, v7, v16 :: v_dual_mul_f32 v136, v5, v14
	v_mul_f32_e32 v14, v6, v14
	v_mul_f32_e32 v16, v8, v16
	s_delay_alu instid0(VALU_DEP_3)
	v_fmac_f32_e32 v137, v8, v15
	v_fma_f32 v132, v132, v1, -v2
	scratch_load_b128 v[1:4], off, off offset:192
	v_fmac_f32_e32 v136, v6, v13
	v_fma_f32 v13, v5, v13, -v14
	v_fma_f32 v14, v7, v15, -v16
	s_wait_loadcnt_dscnt 0x200
	v_mul_f32_e32 v15, v9, v18
	v_mul_f32_e32 v16, v10, v18
	;; [unrolled: 1-line block ×4, first 2 shown]
	ds_load_b128 v[5:8], v21 offset:608
	v_fmac_f32_e32 v15, v10, v17
	v_fma_f32 v16, v9, v17, -v16
	v_fmac_f32_e32 v18, v12, v19
	v_fma_f32 v17, v11, v19, -v20
	scratch_load_b128 v[9:12], off, off offset:208
	s_wait_loadcnt_dscnt 0x100
	v_mul_f32_e32 v19, v5, v2
	v_mul_f32_e32 v2, v6, v2
	;; [unrolled: 1-line block ×3, first 2 shown]
	s_delay_alu instid0(VALU_DEP_3) | instskip(NEXT) | instid1(VALU_DEP_3)
	v_dual_mul_f32 v4, v8, v4 :: v_dual_fmac_f32 v19, v6, v1
	v_fma_f32 v138, v5, v1, -v2
	s_delay_alu instid0(VALU_DEP_3) | instskip(NEXT) | instid1(VALU_DEP_3)
	v_fmac_f32_e32 v20, v8, v3
	v_fma_f32 v139, v7, v3, -v4
	ds_load_b128 v[1:4], v21 offset:624
	ds_load_b128 v[5:8], v21 offset:640
	s_wait_loadcnt_dscnt 0x1
	v_mul_f32_e32 v145, v1, v10
	v_mul_f32_e32 v10, v2, v10
	s_delay_alu instid0(VALU_DEP_2) | instskip(NEXT) | instid1(VALU_DEP_2)
	v_dual_mul_f32 v146, v3, v12 :: v_dual_fmac_f32 v145, v2, v9
	v_fma_f32 v147, v1, v9, -v10
	v_mul_f32_e32 v1, v4, v12
	s_delay_alu instid0(VALU_DEP_3) | instskip(NEXT) | instid1(VALU_DEP_2)
	v_fmac_f32_e32 v146, v4, v11
	v_fma_f32 v148, v3, v11, -v1
	s_clause 0x1
	scratch_load_b128 v[1:4], off, off offset:224
	scratch_load_b128 v[9:12], off, off offset:240
	s_wait_loadcnt_dscnt 0x100
	v_mul_f32_e32 v149, v5, v2
	v_dual_mul_f32 v2, v6, v2 :: v_dual_mul_f32 v151, v7, v4
	s_delay_alu instid0(VALU_DEP_2) | instskip(NEXT) | instid1(VALU_DEP_2)
	v_fmac_f32_e32 v149, v6, v1
	v_fma_f32 v150, v5, v1, -v2
	v_mul_f32_e32 v1, v8, v4
	s_delay_alu instid0(VALU_DEP_4) | instskip(NEXT) | instid1(VALU_DEP_2)
	v_fmac_f32_e32 v151, v8, v3
	v_fma_f32 v152, v7, v3, -v1
	ds_load_b128 v[1:4], v21 offset:656
	ds_load_b128 v[5:8], v21 offset:672
	s_wait_loadcnt_dscnt 0x1
	v_mul_f32_e32 v153, v1, v10
	v_mul_f32_e32 v155, v3, v12
	s_delay_alu instid0(VALU_DEP_2) | instskip(NEXT) | instid1(VALU_DEP_2)
	v_fmac_f32_e32 v153, v2, v9
	v_dual_mul_f32 v2, v2, v10 :: v_dual_fmac_f32 v155, v4, v11
	s_delay_alu instid0(VALU_DEP_1) | instskip(SKIP_1) | instid1(VALU_DEP_1)
	v_fma_f32 v154, v1, v9, -v2
	v_mul_f32_e32 v1, v4, v12
	v_fma_f32 v156, v3, v11, -v1
	s_clause 0x1
	scratch_load_b128 v[1:4], off, off offset:256
	scratch_load_b128 v[9:12], off, off offset:272
	s_wait_loadcnt_dscnt 0x100
	v_mul_f32_e32 v157, v5, v2
	v_dual_mul_f32 v2, v6, v2 :: v_dual_mul_f32 v159, v7, v4
	s_delay_alu instid0(VALU_DEP_2) | instskip(NEXT) | instid1(VALU_DEP_2)
	v_fmac_f32_e32 v157, v6, v1
	v_fma_f32 v158, v5, v1, -v2
	v_mul_f32_e32 v1, v8, v4
	s_delay_alu instid0(VALU_DEP_4) | instskip(NEXT) | instid1(VALU_DEP_2)
	v_fmac_f32_e32 v159, v8, v3
	v_fma_f32 v160, v7, v3, -v1
	ds_load_b128 v[1:4], v21 offset:688
	ds_load_b128 v[5:8], v21 offset:704
	s_wait_loadcnt_dscnt 0x1
	v_mul_f32_e32 v161, v1, v10
	v_mul_f32_e32 v163, v3, v12
	s_delay_alu instid0(VALU_DEP_2) | instskip(NEXT) | instid1(VALU_DEP_2)
	v_fmac_f32_e32 v161, v2, v9
	v_dual_mul_f32 v2, v2, v10 :: v_dual_fmac_f32 v163, v4, v11
	s_delay_alu instid0(VALU_DEP_1) | instskip(SKIP_1) | instid1(VALU_DEP_1)
	v_fma_f32 v162, v1, v9, -v2
	v_mul_f32_e32 v1, v4, v12
	;; [unrolled: 25-line block ×3, first 2 shown]
	v_fma_f32 v172, v3, v11, -v1
	s_clause 0x1
	scratch_load_b128 v[1:4], off, off offset:320
	scratch_load_b128 v[9:12], off, off offset:336
	s_wait_loadcnt_dscnt 0x100
	v_mul_f32_e32 v173, v5, v2
	v_mul_f32_e32 v2, v6, v2
	s_delay_alu instid0(VALU_DEP_1) | instskip(SKIP_1) | instid1(VALU_DEP_1)
	v_fma_f32 v174, v5, v1, -v2
	v_add_f32_e32 v2, 0, v142
	v_add_f32_e32 v2, v2, v143
	s_delay_alu instid0(VALU_DEP_1) | instskip(NEXT) | instid1(VALU_DEP_1)
	v_add_f32_e32 v2, v2, v24
	v_add_f32_e32 v2, v2, v25
	s_delay_alu instid0(VALU_DEP_1) | instskip(NEXT) | instid1(VALU_DEP_1)
	v_add_f32_e32 v2, v2, v26
	v_add_f32_e32 v2, v2, v144
	v_fmac_f32_e32 v173, v6, v1
	s_delay_alu instid0(VALU_DEP_2) | instskip(NEXT) | instid1(VALU_DEP_1)
	v_add_f32_e32 v2, v2, v136
	v_dual_add_f32 v2, v2, v137 :: v_dual_mul_f32 v175, v7, v4
	s_delay_alu instid0(VALU_DEP_1) | instskip(NEXT) | instid1(VALU_DEP_1)
	v_add_f32_e32 v2, v2, v15
	v_dual_fmac_f32 v175, v8, v3 :: v_dual_add_f32 v2, v2, v18
	s_delay_alu instid0(VALU_DEP_1) | instskip(NEXT) | instid1(VALU_DEP_1)
	v_dual_mul_f32 v1, v8, v4 :: v_dual_add_f32 v2, v2, v19
	v_fma_f32 v176, v7, v3, -v1
	s_delay_alu instid0(VALU_DEP_2) | instskip(NEXT) | instid1(VALU_DEP_1)
	v_dual_add_f32 v1, 0, v22 :: v_dual_add_f32 v2, v2, v20
	v_dual_add_f32 v1, v1, v23 :: v_dual_add_f32 v2, v2, v145
	s_delay_alu instid0(VALU_DEP_1) | instskip(NEXT) | instid1(VALU_DEP_2)
	v_add_f32_e32 v1, v1, v132
	v_add_f32_e32 v5, v2, v146
	s_delay_alu instid0(VALU_DEP_2) | instskip(NEXT) | instid1(VALU_DEP_1)
	v_add_f32_e32 v1, v1, v133
	v_add_f32_e32 v1, v1, v134
	s_delay_alu instid0(VALU_DEP_1) | instskip(NEXT) | instid1(VALU_DEP_1)
	v_add_f32_e32 v1, v1, v135
	v_add_f32_e32 v1, v1, v13
	;; [unrolled: 1-line block ×3, first 2 shown]
	s_delay_alu instid0(VALU_DEP_2) | instskip(NEXT) | instid1(VALU_DEP_2)
	v_add_f32_e32 v1, v1, v14
	v_add_f32_e32 v13, v13, v151
	s_delay_alu instid0(VALU_DEP_2) | instskip(NEXT) | instid1(VALU_DEP_2)
	v_add_f32_e32 v1, v1, v16
	v_add_f32_e32 v13, v13, v153
	;; [unrolled: 3-line block ×3, first 2 shown]
	s_delay_alu instid0(VALU_DEP_1) | instskip(NEXT) | instid1(VALU_DEP_1)
	v_dual_add_f32 v18, v18, v157 :: v_dual_add_f32 v1, v1, v138
	v_add_f32_e32 v18, v18, v159
	s_delay_alu instid0(VALU_DEP_1) | instskip(NEXT) | instid1(VALU_DEP_1)
	v_dual_add_f32 v1, v1, v139 :: v_dual_add_f32 v22, v18, v161
	v_add_f32_e32 v1, v1, v147
	;; [unrolled: 3-line block ×3, first 2 shown]
	s_delay_alu instid0(VALU_DEP_2) | instskip(SKIP_4) | instid1(VALU_DEP_1)
	v_add_f32_e32 v6, v1, v150
	ds_load_b128 v[1:4], v21 offset:752
	v_add_f32_e32 v14, v6, v152
	scratch_load_b128 v[5:8], off, off offset:352
	v_add_f32_e32 v14, v14, v154
	v_add_f32_e32 v17, v14, v156
	ds_load_b128 v[13:16], v21 offset:768
	s_wait_loadcnt_dscnt 0x101
	v_mul_f32_e32 v25, v1, v10
	v_mul_f32_e32 v10, v2, v10
	;; [unrolled: 1-line block ×3, first 2 shown]
	s_delay_alu instid0(VALU_DEP_3) | instskip(NEXT) | instid1(VALU_DEP_3)
	v_dual_mul_f32 v12, v4, v12 :: v_dual_fmac_f32 v25, v2, v9
	v_fma_f32 v132, v1, v9, -v10
	s_delay_alu instid0(VALU_DEP_3) | instskip(NEXT) | instid1(VALU_DEP_3)
	v_fmac_f32_e32 v26, v4, v11
	v_fma_f32 v133, v3, v11, -v12
	s_clause 0x1
	scratch_load_b128 v[1:4], off, off offset:368
	scratch_load_b128 v[9:12], off, off offset:384
	s_wait_loadcnt_dscnt 0x200
	v_mul_f32_e32 v134, v13, v6
	v_add_f32_e32 v17, v17, v158
	v_mul_f32_e32 v6, v14, v6
	s_delay_alu instid0(VALU_DEP_2) | instskip(NEXT) | instid1(VALU_DEP_2)
	v_dual_fmac_f32 v134, v14, v5 :: v_dual_add_f32 v17, v17, v160
	v_fma_f32 v136, v13, v5, -v6
	s_delay_alu instid0(VALU_DEP_2) | instskip(NEXT) | instid1(VALU_DEP_1)
	v_add_f32_e32 v17, v17, v162
	v_add_f32_e32 v23, v17, v164
	scratch_load_b128 v[17:20], off, off offset:400
	v_mul_f32_e32 v135, v15, v8
	v_mul_f32_e32 v8, v16, v8
	s_delay_alu instid0(VALU_DEP_2) | instskip(NEXT) | instid1(VALU_DEP_2)
	v_fmac_f32_e32 v135, v16, v7
	v_fma_f32 v137, v15, v7, -v8
	ds_load_b128 v[5:8], v21 offset:784
	v_add_f32_e32 v23, v23, v166
	v_add_f32_e32 v13, v22, v167
	s_delay_alu instid0(VALU_DEP_2) | instskip(NEXT) | instid1(VALU_DEP_1)
	v_add_f32_e32 v23, v23, v168
	v_add_f32_e32 v22, v23, v170
	s_delay_alu instid0(VALU_DEP_1) | instskip(NEXT) | instid1(VALU_DEP_1)
	v_add_f32_e32 v138, v22, v172
	v_add_f32_e32 v138, v138, v174
	s_delay_alu instid0(VALU_DEP_1) | instskip(NEXT) | instid1(VALU_DEP_1)
	v_add_f32_e32 v138, v138, v176
	v_add_f32_e32 v132, v138, v132
	s_delay_alu instid0(VALU_DEP_1)
	v_add_f32_e32 v132, v132, v133
	v_add_f32_e32 v23, v13, v169
	ds_load_b128 v[13:16], v21 offset:800
	s_wait_loadcnt_dscnt 0x201
	v_mul_f32_e32 v142, v5, v2
	v_mul_f32_e32 v138, v7, v4
	v_dual_add_f32 v132, v132, v136 :: v_dual_add_f32 v139, v23, v171
	v_mul_f32_e32 v2, v6, v2
	s_delay_alu instid0(VALU_DEP_4) | instskip(NEXT) | instid1(VALU_DEP_4)
	v_fmac_f32_e32 v142, v6, v1
	v_fmac_f32_e32 v138, v8, v3
	ds_load_b128 v[21:24], v21 offset:816
	v_mul_f32_e32 v4, v8, v4
	v_fma_f32 v2, v5, v1, -v2
	v_add_f32_e32 v1, v132, v137
	s_delay_alu instid0(VALU_DEP_3) | instskip(NEXT) | instid1(VALU_DEP_2)
	v_fma_f32 v3, v7, v3, -v4
	v_add_f32_e32 v1, v1, v2
	s_wait_loadcnt_dscnt 0x101
	v_dual_mul_f32 v6, v14, v10 :: v_dual_add_f32 v139, v139, v173
	s_delay_alu instid0(VALU_DEP_2) | instskip(NEXT) | instid1(VALU_DEP_2)
	v_dual_mul_f32 v4, v16, v12 :: v_dual_add_f32 v1, v1, v3
	v_add_f32_e32 v139, v139, v175
	s_delay_alu instid0(VALU_DEP_2) | instskip(NEXT) | instid1(VALU_DEP_2)
	v_fma_f32 v4, v15, v11, -v4
	v_add_f32_e32 v25, v139, v25
	s_delay_alu instid0(VALU_DEP_1) | instskip(NEXT) | instid1(VALU_DEP_1)
	v_add_f32_e32 v25, v25, v26
	v_add_f32_e32 v25, v25, v134
	s_delay_alu instid0(VALU_DEP_1) | instskip(NEXT) | instid1(VALU_DEP_1)
	v_add_f32_e32 v5, v25, v135
	v_dual_add_f32 v2, v5, v142 :: v_dual_mul_f32 v143, v15, v12
	v_fma_f32 v5, v13, v9, -v6
	s_delay_alu instid0(VALU_DEP_2) | instskip(NEXT) | instid1(VALU_DEP_2)
	v_dual_add_f32 v2, v2, v138 :: v_dual_fmac_f32 v143, v16, v11
	v_add_f32_e32 v1, v1, v5
	s_delay_alu instid0(VALU_DEP_1) | instskip(SKIP_4) | instid1(VALU_DEP_3)
	v_add_f32_e32 v1, v1, v4
	s_wait_loadcnt_dscnt 0x0
	v_mul_f32_e32 v26, v21, v18
	v_mul_f32_e32 v139, v13, v10
	;; [unrolled: 1-line block ×3, first 2 shown]
	v_dual_mul_f32 v5, v24, v20 :: v_dual_fmac_f32 v26, v22, v17
	s_delay_alu instid0(VALU_DEP_3) | instskip(NEXT) | instid1(VALU_DEP_3)
	v_fmac_f32_e32 v139, v14, v9
	v_fma_f32 v3, v21, v17, -v3
	s_delay_alu instid0(VALU_DEP_3) | instskip(NEXT) | instid1(VALU_DEP_3)
	v_fma_f32 v4, v23, v19, -v5
	v_add_f32_e32 v2, v2, v139
	s_delay_alu instid0(VALU_DEP_3) | instskip(NEXT) | instid1(VALU_DEP_2)
	v_add_f32_e32 v1, v1, v3
	v_dual_add_f32 v2, v2, v143 :: v_dual_mul_f32 v133, v23, v20
	s_delay_alu instid0(VALU_DEP_1) | instskip(NEXT) | instid1(VALU_DEP_2)
	v_dual_add_f32 v1, v1, v4 :: v_dual_add_f32 v2, v2, v26
	v_fmac_f32_e32 v133, v24, v19
	s_delay_alu instid0(VALU_DEP_2) | instskip(NEXT) | instid1(VALU_DEP_2)
	v_sub_f32_e32 v1, v140, v1
	v_add_f32_e32 v2, v2, v133
	s_delay_alu instid0(VALU_DEP_1)
	v_sub_f32_e32 v2, v141, v2
	scratch_store_b64 off, v[1:2], off offset:104
	v_cmpx_lt_u32_e32 12, v0
	s_cbranch_execz .LBB51_301
; %bb.300:
	scratch_load_b64 v[1:2], off, off offset:96
	v_mov_b32_e32 v3, 0
	s_delay_alu instid0(VALU_DEP_1)
	v_mov_b32_e32 v4, v3
	scratch_store_b64 off, v[3:4], off offset:96
	s_wait_loadcnt 0x0
	ds_store_b64 v27, v[1:2]
.LBB51_301:
	s_wait_alu 0xfffe
	s_or_b32 exec_lo, exec_lo, s0
	s_wait_storecnt_dscnt 0x0
	s_barrier_signal -1
	s_barrier_wait -1
	global_inv scope:SCOPE_SE
	s_clause 0x4
	scratch_load_b128 v[5:8], off, off offset:104
	scratch_load_b128 v[1:4], off, off offset:120
	;; [unrolled: 1-line block ×5, first 2 shown]
	v_mov_b32_e32 v21, 0
	ds_load_2addr_b64 v[22:25], v21 offset0:65 offset1:66
	ds_load_2addr_b64 v[132:135], v21 offset0:67 offset1:68
	;; [unrolled: 1-line block ×3, first 2 shown]
	scratch_load_b64 v[140:141], off, off offset:96
	s_mov_b32 s0, exec_lo
	s_wait_loadcnt_dscnt 0x502
	v_dual_mul_f32 v142, v22, v6 :: v_dual_mul_f32 v143, v24, v8
	v_mul_f32_e32 v26, v23, v6
	v_mul_f32_e32 v6, v25, v8
	s_wait_loadcnt_dscnt 0x300
	v_mul_f32_e32 v144, v138, v12
	v_dual_fmac_f32 v142, v23, v5 :: v_dual_fmac_f32 v143, v25, v7
	v_mul_f32_e32 v25, v134, v4
	v_fma_f32 v22, v22, v5, -v26
	v_mul_f32_e32 v26, v136, v10
	v_mul_f32_e32 v4, v135, v4
	s_delay_alu instid0(VALU_DEP_4)
	v_dual_mul_f32 v10, v137, v10 :: v_dual_fmac_f32 v25, v135, v3
	v_fma_f32 v23, v24, v7, -v6
	ds_load_2addr_b64 v[5:8], v21 offset0:71 offset1:72
	v_mul_f32_e32 v24, v132, v2
	v_mul_f32_e32 v12, v139, v12
	;; [unrolled: 1-line block ×3, first 2 shown]
	v_fmac_f32_e32 v26, v137, v9
	v_fmac_f32_e32 v144, v139, v11
	;; [unrolled: 1-line block ×3, first 2 shown]
	v_fma_f32 v133, v134, v3, -v4
	v_fma_f32 v134, v136, v9, -v10
	v_fma_f32 v135, v138, v11, -v12
	ds_load_2addr_b64 v[9:12], v21 offset0:73 offset1:74
	s_wait_loadcnt_dscnt 0x201
	v_dual_mul_f32 v137, v7, v16 :: v_dual_mul_f32 v136, v5, v14
	v_mul_f32_e32 v14, v6, v14
	v_mul_f32_e32 v16, v8, v16
	s_delay_alu instid0(VALU_DEP_3)
	v_fmac_f32_e32 v137, v8, v15
	v_fma_f32 v132, v132, v1, -v2
	scratch_load_b128 v[1:4], off, off offset:184
	v_fmac_f32_e32 v136, v6, v13
	v_fma_f32 v13, v5, v13, -v14
	v_fma_f32 v14, v7, v15, -v16
	s_wait_loadcnt_dscnt 0x200
	v_mul_f32_e32 v15, v9, v18
	v_mul_f32_e32 v16, v10, v18
	;; [unrolled: 1-line block ×4, first 2 shown]
	ds_load_2addr_b64 v[5:8], v21 offset0:75 offset1:76
	v_fmac_f32_e32 v15, v10, v17
	v_fma_f32 v16, v9, v17, -v16
	v_fmac_f32_e32 v18, v12, v19
	v_fma_f32 v17, v11, v19, -v20
	scratch_load_b128 v[9:12], off, off offset:200
	s_wait_loadcnt_dscnt 0x100
	v_mul_f32_e32 v19, v5, v2
	v_mul_f32_e32 v2, v6, v2
	;; [unrolled: 1-line block ×3, first 2 shown]
	s_delay_alu instid0(VALU_DEP_3) | instskip(NEXT) | instid1(VALU_DEP_3)
	v_dual_mul_f32 v4, v8, v4 :: v_dual_fmac_f32 v19, v6, v1
	v_fma_f32 v138, v5, v1, -v2
	s_delay_alu instid0(VALU_DEP_3) | instskip(NEXT) | instid1(VALU_DEP_3)
	v_fmac_f32_e32 v20, v8, v3
	v_fma_f32 v139, v7, v3, -v4
	ds_load_2addr_b64 v[1:4], v21 offset0:77 offset1:78
	ds_load_2addr_b64 v[5:8], v21 offset0:79 offset1:80
	s_wait_loadcnt_dscnt 0x1
	v_mul_f32_e32 v145, v1, v10
	v_mul_f32_e32 v10, v2, v10
	s_delay_alu instid0(VALU_DEP_2) | instskip(NEXT) | instid1(VALU_DEP_2)
	v_dual_mul_f32 v146, v3, v12 :: v_dual_fmac_f32 v145, v2, v9
	v_fma_f32 v147, v1, v9, -v10
	v_mul_f32_e32 v1, v4, v12
	s_delay_alu instid0(VALU_DEP_3) | instskip(NEXT) | instid1(VALU_DEP_2)
	v_fmac_f32_e32 v146, v4, v11
	v_fma_f32 v148, v3, v11, -v1
	s_clause 0x1
	scratch_load_b128 v[1:4], off, off offset:216
	scratch_load_b128 v[9:12], off, off offset:232
	s_wait_loadcnt_dscnt 0x100
	v_mul_f32_e32 v149, v5, v2
	v_dual_mul_f32 v2, v6, v2 :: v_dual_mul_f32 v151, v7, v4
	s_delay_alu instid0(VALU_DEP_2) | instskip(NEXT) | instid1(VALU_DEP_2)
	v_fmac_f32_e32 v149, v6, v1
	v_fma_f32 v150, v5, v1, -v2
	v_mul_f32_e32 v1, v8, v4
	s_delay_alu instid0(VALU_DEP_4) | instskip(NEXT) | instid1(VALU_DEP_2)
	v_fmac_f32_e32 v151, v8, v3
	v_fma_f32 v152, v7, v3, -v1
	ds_load_2addr_b64 v[1:4], v21 offset0:81 offset1:82
	ds_load_2addr_b64 v[5:8], v21 offset0:83 offset1:84
	s_wait_loadcnt_dscnt 0x1
	v_mul_f32_e32 v153, v1, v10
	v_mul_f32_e32 v155, v3, v12
	s_delay_alu instid0(VALU_DEP_2) | instskip(NEXT) | instid1(VALU_DEP_2)
	v_fmac_f32_e32 v153, v2, v9
	v_dual_mul_f32 v2, v2, v10 :: v_dual_fmac_f32 v155, v4, v11
	s_delay_alu instid0(VALU_DEP_1) | instskip(SKIP_1) | instid1(VALU_DEP_1)
	v_fma_f32 v154, v1, v9, -v2
	v_mul_f32_e32 v1, v4, v12
	v_fma_f32 v156, v3, v11, -v1
	s_clause 0x1
	scratch_load_b128 v[1:4], off, off offset:248
	scratch_load_b128 v[9:12], off, off offset:264
	s_wait_loadcnt_dscnt 0x100
	v_mul_f32_e32 v157, v5, v2
	v_dual_mul_f32 v2, v6, v2 :: v_dual_mul_f32 v159, v7, v4
	s_delay_alu instid0(VALU_DEP_2) | instskip(NEXT) | instid1(VALU_DEP_2)
	v_fmac_f32_e32 v157, v6, v1
	v_fma_f32 v158, v5, v1, -v2
	v_mul_f32_e32 v1, v8, v4
	s_delay_alu instid0(VALU_DEP_4) | instskip(NEXT) | instid1(VALU_DEP_2)
	v_fmac_f32_e32 v159, v8, v3
	v_fma_f32 v160, v7, v3, -v1
	ds_load_2addr_b64 v[1:4], v21 offset0:85 offset1:86
	ds_load_2addr_b64 v[5:8], v21 offset0:87 offset1:88
	s_wait_loadcnt_dscnt 0x1
	v_mul_f32_e32 v161, v1, v10
	v_mul_f32_e32 v163, v3, v12
	s_delay_alu instid0(VALU_DEP_2) | instskip(NEXT) | instid1(VALU_DEP_2)
	v_fmac_f32_e32 v161, v2, v9
	v_dual_mul_f32 v2, v2, v10 :: v_dual_fmac_f32 v163, v4, v11
	s_delay_alu instid0(VALU_DEP_1) | instskip(SKIP_1) | instid1(VALU_DEP_1)
	v_fma_f32 v162, v1, v9, -v2
	v_mul_f32_e32 v1, v4, v12
	;; [unrolled: 25-line block ×3, first 2 shown]
	v_fma_f32 v172, v3, v11, -v1
	s_clause 0x1
	scratch_load_b128 v[1:4], off, off offset:312
	scratch_load_b128 v[9:12], off, off offset:328
	s_wait_loadcnt_dscnt 0x100
	v_mul_f32_e32 v173, v5, v2
	v_mul_f32_e32 v2, v6, v2
	s_delay_alu instid0(VALU_DEP_1) | instskip(SKIP_1) | instid1(VALU_DEP_1)
	v_fma_f32 v174, v5, v1, -v2
	v_add_f32_e32 v2, 0, v142
	v_add_f32_e32 v2, v2, v143
	s_delay_alu instid0(VALU_DEP_1) | instskip(NEXT) | instid1(VALU_DEP_1)
	v_add_f32_e32 v2, v2, v24
	v_add_f32_e32 v2, v2, v25
	s_delay_alu instid0(VALU_DEP_1) | instskip(NEXT) | instid1(VALU_DEP_1)
	v_add_f32_e32 v2, v2, v26
	v_add_f32_e32 v2, v2, v144
	v_fmac_f32_e32 v173, v6, v1
	s_delay_alu instid0(VALU_DEP_2) | instskip(NEXT) | instid1(VALU_DEP_1)
	v_add_f32_e32 v2, v2, v136
	v_dual_add_f32 v2, v2, v137 :: v_dual_mul_f32 v175, v7, v4
	s_delay_alu instid0(VALU_DEP_1) | instskip(NEXT) | instid1(VALU_DEP_1)
	v_add_f32_e32 v2, v2, v15
	v_dual_fmac_f32 v175, v8, v3 :: v_dual_add_f32 v2, v2, v18
	s_delay_alu instid0(VALU_DEP_1) | instskip(NEXT) | instid1(VALU_DEP_1)
	v_dual_mul_f32 v1, v8, v4 :: v_dual_add_f32 v2, v2, v19
	v_fma_f32 v176, v7, v3, -v1
	s_delay_alu instid0(VALU_DEP_2) | instskip(NEXT) | instid1(VALU_DEP_1)
	v_dual_add_f32 v1, 0, v22 :: v_dual_add_f32 v2, v2, v20
	v_dual_add_f32 v1, v1, v23 :: v_dual_add_f32 v2, v2, v145
	s_delay_alu instid0(VALU_DEP_1) | instskip(NEXT) | instid1(VALU_DEP_2)
	v_add_f32_e32 v1, v1, v132
	v_add_f32_e32 v5, v2, v146
	s_delay_alu instid0(VALU_DEP_2) | instskip(SKIP_2) | instid1(VALU_DEP_1)
	v_add_f32_e32 v1, v1, v133
	scratch_load_b64 v[132:133], off, off offset:408
	v_add_f32_e32 v1, v1, v134
	v_add_f32_e32 v1, v1, v135
	s_delay_alu instid0(VALU_DEP_1) | instskip(SKIP_1) | instid1(VALU_DEP_2)
	v_add_f32_e32 v1, v1, v13
	v_add_f32_e32 v13, v5, v149
	;; [unrolled: 1-line block ×3, first 2 shown]
	s_delay_alu instid0(VALU_DEP_2) | instskip(NEXT) | instid1(VALU_DEP_2)
	v_add_f32_e32 v13, v13, v151
	v_add_f32_e32 v1, v1, v16
	s_delay_alu instid0(VALU_DEP_2) | instskip(NEXT) | instid1(VALU_DEP_2)
	v_add_f32_e32 v13, v13, v153
	v_add_f32_e32 v1, v1, v17
	s_delay_alu instid0(VALU_DEP_2) | instskip(NEXT) | instid1(VALU_DEP_1)
	v_add_f32_e32 v18, v13, v155
	v_dual_add_f32 v1, v1, v138 :: v_dual_add_f32 v18, v18, v157
	s_delay_alu instid0(VALU_DEP_1) | instskip(NEXT) | instid1(VALU_DEP_1)
	v_add_f32_e32 v18, v18, v159
	v_dual_add_f32 v1, v1, v139 :: v_dual_add_f32 v22, v18, v161
	s_delay_alu instid0(VALU_DEP_1) | instskip(NEXT) | instid1(VALU_DEP_2)
	v_add_f32_e32 v22, v22, v163
	v_add_f32_e32 v1, v1, v147
	s_delay_alu instid0(VALU_DEP_1) | instskip(NEXT) | instid1(VALU_DEP_1)
	v_add_f32_e32 v1, v1, v148
	v_add_f32_e32 v6, v1, v150
	scratch_load_b128 v[1:4], off, off offset:344
	v_add_f32_e32 v22, v22, v165
	v_add_f32_e32 v14, v6, v152
	ds_load_2addr_b64 v[5:8], v21 offset0:93 offset1:94
	v_add_f32_e32 v22, v22, v167
	v_add_f32_e32 v14, v14, v154
	s_delay_alu instid0(VALU_DEP_1)
	v_add_f32_e32 v17, v14, v156
	ds_load_2addr_b64 v[13:16], v21 offset0:95 offset1:96
	s_wait_loadcnt_dscnt 0x201
	v_mul_f32_e32 v26, v5, v10
	v_mul_f32_e32 v10, v6, v10
	;; [unrolled: 1-line block ×4, first 2 shown]
	s_delay_alu instid0(VALU_DEP_4) | instskip(NEXT) | instid1(VALU_DEP_4)
	v_fmac_f32_e32 v26, v6, v9
	v_fma_f32 v137, v5, v9, -v10
	s_delay_alu instid0(VALU_DEP_4) | instskip(NEXT) | instid1(VALU_DEP_4)
	v_fmac_f32_e32 v136, v8, v11
	v_fma_f32 v138, v7, v11, -v12
	s_clause 0x1
	scratch_load_b128 v[5:8], off, off offset:360
	scratch_load_b128 v[9:12], off, off offset:376
	s_wait_loadcnt_dscnt 0x200
	v_dual_mul_f32 v142, v15, v4 :: v_dual_mul_f32 v139, v13, v2
	v_mul_f32_e32 v2, v14, v2
	v_mul_f32_e32 v4, v16, v4
	s_delay_alu instid0(VALU_DEP_3) | instskip(NEXT) | instid1(VALU_DEP_3)
	v_dual_fmac_f32 v142, v16, v3 :: v_dual_add_f32 v17, v17, v158
	v_fma_f32 v143, v13, v1, -v2
	v_add_f32_e32 v13, v22, v169
	v_fmac_f32_e32 v139, v14, v1
	v_fma_f32 v144, v15, v3, -v4
	v_add_f32_e32 v17, v17, v160
	ds_load_2addr_b64 v[1:4], v21 offset0:97 offset1:98
	v_add_f32_e32 v22, v13, v171
	v_add_f32_e32 v17, v17, v162
	s_delay_alu instid0(VALU_DEP_2) | instskip(NEXT) | instid1(VALU_DEP_2)
	v_add_f32_e32 v135, v22, v173
	v_add_f32_e32 v23, v17, v164
	scratch_load_b128 v[17:20], off, off offset:392
	v_add_f32_e32 v146, v135, v175
	s_delay_alu instid0(VALU_DEP_1) | instskip(NEXT) | instid1(VALU_DEP_1)
	v_add_f32_e32 v26, v146, v26
	v_dual_add_f32 v23, v23, v166 :: v_dual_add_f32 v26, v26, v136
	s_delay_alu instid0(VALU_DEP_1) | instskip(NEXT) | instid1(VALU_DEP_1)
	v_dual_add_f32 v23, v23, v168 :: v_dual_add_f32 v26, v26, v139
	v_add_f32_e32 v23, v23, v170
	s_delay_alu instid0(VALU_DEP_2) | instskip(NEXT) | instid1(VALU_DEP_2)
	v_add_f32_e32 v26, v26, v142
	v_add_f32_e32 v14, v23, v172
	ds_load_2addr_b64 v[22:25], v21 offset0:101 offset1:102
	v_add_f32_e32 v134, v14, v174
	ds_load_2addr_b64 v[13:16], v21 offset0:99 offset1:100
	s_wait_loadcnt_dscnt 0x202
	v_mul_f32_e32 v136, v3, v8
	v_mul_f32_e32 v8, v4, v8
	v_add_f32_e32 v145, v134, v176
	ds_load_b64 v[134:135], v21 offset:824
	v_dual_fmac_f32 v136, v4, v7 :: v_dual_add_f32 v137, v145, v137
	v_mul_f32_e32 v145, v1, v6
	v_mul_f32_e32 v6, v2, v6
	s_delay_alu instid0(VALU_DEP_1)
	v_fma_f32 v1, v1, v5, -v6
	s_wait_loadcnt_dscnt 0x100
	v_dual_mul_f32 v139, v15, v12 :: v_dual_mul_f32 v142, v134, v133
	v_fmac_f32_e32 v145, v2, v5
	v_add_f32_e32 v137, v137, v138
	v_mul_f32_e32 v138, v13, v10
	v_fma_f32 v2, v3, v7, -v8
	v_dual_fmac_f32 v139, v16, v11 :: v_dual_fmac_f32 v142, v135, v132
	s_delay_alu instid0(VALU_DEP_4) | instskip(NEXT) | instid1(VALU_DEP_1)
	v_dual_add_f32 v4, v26, v145 :: v_dual_add_f32 v137, v137, v143
	v_dual_fmac_f32 v138, v14, v9 :: v_dual_add_f32 v137, v137, v144
	s_delay_alu instid0(VALU_DEP_1) | instskip(NEXT) | instid1(VALU_DEP_1)
	v_add_f32_e32 v1, v137, v1
	v_dual_add_f32 v1, v1, v2 :: v_dual_add_f32 v2, v4, v136
	s_delay_alu instid0(VALU_DEP_1) | instskip(NEXT) | instid1(VALU_DEP_1)
	v_dual_add_f32 v2, v2, v138 :: v_dual_mul_f32 v5, v16, v12
	v_add_f32_e32 v2, v2, v139
	s_delay_alu instid0(VALU_DEP_2) | instskip(SKIP_4) | instid1(VALU_DEP_3)
	v_fma_f32 v5, v15, v11, -v5
	s_wait_loadcnt 0x0
	v_dual_mul_f32 v143, v22, v18 :: v_dual_mul_f32 v144, v24, v20
	v_mul_f32_e32 v3, v14, v10
	v_mul_f32_e32 v4, v23, v18
	v_dual_fmac_f32 v143, v23, v17 :: v_dual_fmac_f32 v144, v25, v19
	s_delay_alu instid0(VALU_DEP_3) | instskip(NEXT) | instid1(VALU_DEP_3)
	v_fma_f32 v3, v13, v9, -v3
	v_fma_f32 v4, v22, v17, -v4
	s_delay_alu instid0(VALU_DEP_3) | instskip(NEXT) | instid1(VALU_DEP_1)
	v_add_f32_e32 v2, v2, v143
	v_dual_add_f32 v1, v1, v3 :: v_dual_add_f32 v2, v2, v144
	v_mul_f32_e32 v3, v25, v20
	s_delay_alu instid0(VALU_DEP_2) | instskip(NEXT) | instid1(VALU_DEP_3)
	v_add_f32_e32 v1, v1, v5
	v_dual_mul_f32 v5, v135, v133 :: v_dual_add_f32 v2, v2, v142
	s_delay_alu instid0(VALU_DEP_3) | instskip(NEXT) | instid1(VALU_DEP_3)
	v_fma_f32 v3, v24, v19, -v3
	v_add_f32_e32 v1, v1, v4
	s_delay_alu instid0(VALU_DEP_3) | instskip(NEXT) | instid1(VALU_DEP_4)
	v_fma_f32 v4, v134, v132, -v5
	v_sub_f32_e32 v2, v141, v2
	s_delay_alu instid0(VALU_DEP_3) | instskip(NEXT) | instid1(VALU_DEP_1)
	v_add_f32_e32 v1, v1, v3
	v_add_f32_e32 v1, v1, v4
	s_delay_alu instid0(VALU_DEP_1)
	v_sub_f32_e32 v1, v140, v1
	scratch_store_b64 off, v[1:2], off offset:96
	v_cmpx_lt_u32_e32 11, v0
	s_cbranch_execz .LBB51_303
; %bb.302:
	scratch_load_b64 v[1:2], off, off offset:88
	v_mov_b32_e32 v22, v21
	scratch_store_b64 off, v[21:22], off offset:88
	s_wait_loadcnt 0x0
	ds_store_b64 v27, v[1:2]
.LBB51_303:
	s_wait_alu 0xfffe
	s_or_b32 exec_lo, exec_lo, s0
	s_wait_storecnt_dscnt 0x0
	s_barrier_signal -1
	s_barrier_wait -1
	global_inv scope:SCOPE_SE
	s_clause 0x4
	scratch_load_b128 v[5:8], off, off offset:96
	scratch_load_b128 v[1:4], off, off offset:112
	;; [unrolled: 1-line block ×5, first 2 shown]
	ds_load_b128 v[22:25], v21 offset:512
	ds_load_b128 v[132:135], v21 offset:528
	ds_load_b128 v[136:139], v21 offset:544
	scratch_load_b64 v[140:141], off, off offset:88
	s_mov_b32 s0, exec_lo
	s_wait_loadcnt_dscnt 0x502
	v_dual_mul_f32 v26, v23, v6 :: v_dual_mul_f32 v143, v24, v8
	v_mul_f32_e32 v142, v22, v6
	v_mul_f32_e32 v6, v25, v8
	s_wait_loadcnt_dscnt 0x300
	v_mul_f32_e32 v144, v138, v12
	v_fma_f32 v22, v22, v5, -v26
	v_dual_fmac_f32 v143, v25, v7 :: v_dual_fmac_f32 v142, v23, v5
	v_mul_f32_e32 v25, v134, v4
	v_mul_f32_e32 v4, v135, v4
	;; [unrolled: 1-line block ×5, first 2 shown]
	v_fmac_f32_e32 v25, v135, v3
	v_fma_f32 v23, v24, v7, -v6
	ds_load_b128 v[5:8], v21 offset:560
	v_mul_f32_e32 v24, v132, v2
	v_mul_f32_e32 v2, v133, v2
	v_fmac_f32_e32 v26, v137, v9
	v_fmac_f32_e32 v144, v139, v11
	v_fma_f32 v135, v138, v11, -v12
	v_fmac_f32_e32 v24, v133, v1
	v_fma_f32 v133, v134, v3, -v4
	v_fma_f32 v134, v136, v9, -v10
	ds_load_b128 v[9:12], v21 offset:576
	s_wait_loadcnt_dscnt 0x201
	v_dual_mul_f32 v137, v7, v16 :: v_dual_mul_f32 v136, v5, v14
	v_mul_f32_e32 v14, v6, v14
	v_mul_f32_e32 v16, v8, v16
	s_delay_alu instid0(VALU_DEP_3)
	v_fmac_f32_e32 v137, v8, v15
	v_fma_f32 v132, v132, v1, -v2
	scratch_load_b128 v[1:4], off, off offset:176
	v_fmac_f32_e32 v136, v6, v13
	v_fma_f32 v13, v5, v13, -v14
	v_fma_f32 v14, v7, v15, -v16
	s_wait_loadcnt_dscnt 0x200
	v_mul_f32_e32 v15, v9, v18
	v_mul_f32_e32 v16, v10, v18
	;; [unrolled: 1-line block ×4, first 2 shown]
	ds_load_b128 v[5:8], v21 offset:592
	v_fmac_f32_e32 v15, v10, v17
	v_fma_f32 v16, v9, v17, -v16
	v_fmac_f32_e32 v18, v12, v19
	v_fma_f32 v17, v11, v19, -v20
	scratch_load_b128 v[9:12], off, off offset:192
	s_wait_loadcnt_dscnt 0x100
	v_mul_f32_e32 v19, v5, v2
	v_mul_f32_e32 v2, v6, v2
	;; [unrolled: 1-line block ×3, first 2 shown]
	s_delay_alu instid0(VALU_DEP_3) | instskip(NEXT) | instid1(VALU_DEP_3)
	v_dual_mul_f32 v4, v8, v4 :: v_dual_fmac_f32 v19, v6, v1
	v_fma_f32 v138, v5, v1, -v2
	s_delay_alu instid0(VALU_DEP_3) | instskip(NEXT) | instid1(VALU_DEP_3)
	v_fmac_f32_e32 v20, v8, v3
	v_fma_f32 v139, v7, v3, -v4
	ds_load_b128 v[1:4], v21 offset:608
	ds_load_b128 v[5:8], v21 offset:624
	s_wait_loadcnt_dscnt 0x1
	v_mul_f32_e32 v145, v1, v10
	v_mul_f32_e32 v10, v2, v10
	s_delay_alu instid0(VALU_DEP_2) | instskip(NEXT) | instid1(VALU_DEP_2)
	v_dual_mul_f32 v146, v3, v12 :: v_dual_fmac_f32 v145, v2, v9
	v_fma_f32 v147, v1, v9, -v10
	v_mul_f32_e32 v1, v4, v12
	s_delay_alu instid0(VALU_DEP_3) | instskip(NEXT) | instid1(VALU_DEP_2)
	v_fmac_f32_e32 v146, v4, v11
	v_fma_f32 v148, v3, v11, -v1
	s_clause 0x1
	scratch_load_b128 v[1:4], off, off offset:208
	scratch_load_b128 v[9:12], off, off offset:224
	s_wait_loadcnt_dscnt 0x100
	v_mul_f32_e32 v149, v5, v2
	v_dual_mul_f32 v2, v6, v2 :: v_dual_mul_f32 v151, v7, v4
	s_delay_alu instid0(VALU_DEP_2) | instskip(NEXT) | instid1(VALU_DEP_2)
	v_fmac_f32_e32 v149, v6, v1
	v_fma_f32 v150, v5, v1, -v2
	v_mul_f32_e32 v1, v8, v4
	s_delay_alu instid0(VALU_DEP_4) | instskip(NEXT) | instid1(VALU_DEP_2)
	v_fmac_f32_e32 v151, v8, v3
	v_fma_f32 v152, v7, v3, -v1
	ds_load_b128 v[1:4], v21 offset:640
	ds_load_b128 v[5:8], v21 offset:656
	s_wait_loadcnt_dscnt 0x1
	v_mul_f32_e32 v153, v1, v10
	v_mul_f32_e32 v155, v3, v12
	s_delay_alu instid0(VALU_DEP_2) | instskip(NEXT) | instid1(VALU_DEP_2)
	v_fmac_f32_e32 v153, v2, v9
	v_dual_mul_f32 v2, v2, v10 :: v_dual_fmac_f32 v155, v4, v11
	s_delay_alu instid0(VALU_DEP_1) | instskip(SKIP_1) | instid1(VALU_DEP_1)
	v_fma_f32 v154, v1, v9, -v2
	v_mul_f32_e32 v1, v4, v12
	v_fma_f32 v156, v3, v11, -v1
	s_clause 0x1
	scratch_load_b128 v[1:4], off, off offset:240
	scratch_load_b128 v[9:12], off, off offset:256
	s_wait_loadcnt_dscnt 0x100
	v_mul_f32_e32 v157, v5, v2
	v_dual_mul_f32 v2, v6, v2 :: v_dual_mul_f32 v159, v7, v4
	s_delay_alu instid0(VALU_DEP_2) | instskip(NEXT) | instid1(VALU_DEP_2)
	v_fmac_f32_e32 v157, v6, v1
	v_fma_f32 v158, v5, v1, -v2
	v_mul_f32_e32 v1, v8, v4
	s_delay_alu instid0(VALU_DEP_4) | instskip(NEXT) | instid1(VALU_DEP_2)
	v_fmac_f32_e32 v159, v8, v3
	v_fma_f32 v160, v7, v3, -v1
	ds_load_b128 v[1:4], v21 offset:672
	ds_load_b128 v[5:8], v21 offset:688
	s_wait_loadcnt_dscnt 0x1
	v_mul_f32_e32 v161, v1, v10
	v_mul_f32_e32 v163, v3, v12
	s_delay_alu instid0(VALU_DEP_2) | instskip(NEXT) | instid1(VALU_DEP_2)
	v_fmac_f32_e32 v161, v2, v9
	v_dual_mul_f32 v2, v2, v10 :: v_dual_fmac_f32 v163, v4, v11
	s_delay_alu instid0(VALU_DEP_1) | instskip(SKIP_1) | instid1(VALU_DEP_1)
	v_fma_f32 v162, v1, v9, -v2
	v_mul_f32_e32 v1, v4, v12
	;; [unrolled: 25-line block ×4, first 2 shown]
	v_fma_f32 v180, v3, v11, -v1
	s_clause 0x1
	scratch_load_b128 v[1:4], off, off offset:336
	scratch_load_b128 v[9:12], off, off offset:352
	s_wait_loadcnt_dscnt 0x100
	v_mul_f32_e32 v181, v5, v2
	v_mul_f32_e32 v2, v6, v2
	s_delay_alu instid0(VALU_DEP_1) | instskip(SKIP_1) | instid1(VALU_DEP_1)
	v_fma_f32 v182, v5, v1, -v2
	v_add_f32_e32 v2, 0, v142
	v_add_f32_e32 v2, v2, v143
	s_delay_alu instid0(VALU_DEP_1) | instskip(NEXT) | instid1(VALU_DEP_1)
	v_add_f32_e32 v2, v2, v24
	v_add_f32_e32 v2, v2, v25
	s_delay_alu instid0(VALU_DEP_1) | instskip(NEXT) | instid1(VALU_DEP_1)
	;; [unrolled: 3-line block ×5, first 2 shown]
	v_add_f32_e32 v2, v2, v19
	v_add_f32_e32 v2, v2, v20
	s_delay_alu instid0(VALU_DEP_1) | instskip(SKIP_1) | instid1(VALU_DEP_2)
	v_dual_add_f32 v2, v2, v145 :: v_dual_mul_f32 v183, v7, v4
	v_fmac_f32_e32 v181, v6, v1
	v_dual_add_f32 v2, v2, v146 :: v_dual_fmac_f32 v183, v8, v3
	s_delay_alu instid0(VALU_DEP_1) | instskip(NEXT) | instid1(VALU_DEP_1)
	v_dual_add_f32 v2, v2, v149 :: v_dual_mul_f32 v1, v8, v4
	v_add_f32_e32 v2, v2, v151
	s_delay_alu instid0(VALU_DEP_2) | instskip(SKIP_1) | instid1(VALU_DEP_1)
	v_fma_f32 v184, v7, v3, -v1
	v_add_f32_e32 v1, 0, v22
	v_add_f32_e32 v1, v1, v23
	s_delay_alu instid0(VALU_DEP_1) | instskip(NEXT) | instid1(VALU_DEP_1)
	v_add_f32_e32 v1, v1, v132
	v_add_f32_e32 v1, v1, v133
	s_delay_alu instid0(VALU_DEP_1) | instskip(NEXT) | instid1(VALU_DEP_1)
	;; [unrolled: 3-line block ×10, first 2 shown]
	v_add_f32_e32 v13, v13, v162
	v_add_f32_e32 v13, v13, v164
	s_delay_alu instid0(VALU_DEP_1) | instskip(SKIP_3) | instid1(VALU_DEP_1)
	v_add_f32_e32 v13, v13, v166
	v_add_f32_e32 v5, v2, v153
	ds_load_b128 v[1:4], v21 offset:768
	v_add_f32_e32 v18, v13, v168
	v_dual_add_f32 v5, v5, v155 :: v_dual_add_f32 v18, v18, v170
	s_delay_alu instid0(VALU_DEP_1) | instskip(NEXT) | instid1(VALU_DEP_1)
	v_dual_add_f32 v5, v5, v157 :: v_dual_add_f32 v18, v18, v172
	v_add_f32_e32 v14, v5, v159
	ds_load_b128 v[5:8], v21 offset:784
	v_add_f32_e32 v22, v18, v174
	v_add_f32_e32 v14, v14, v161
	s_wait_loadcnt_dscnt 0x1
	v_mul_f32_e32 v26, v3, v12
	v_mul_f32_e32 v12, v4, v12
	v_add_f32_e32 v134, v22, v176
	v_add_f32_e32 v14, v14, v163
	s_delay_alu instid0(VALU_DEP_4) | instskip(NEXT) | instid1(VALU_DEP_4)
	v_fmac_f32_e32 v26, v4, v11
	v_fma_f32 v133, v3, v11, -v12
	s_delay_alu instid0(VALU_DEP_4) | instskip(NEXT) | instid1(VALU_DEP_4)
	v_add_f32_e32 v134, v134, v178
	v_add_f32_e32 v17, v14, v165
	scratch_load_b128 v[13:16], off, off offset:400
	v_dual_add_f32 v134, v134, v180 :: v_dual_add_f32 v17, v17, v167
	s_delay_alu instid0(VALU_DEP_1) | instskip(NEXT) | instid1(VALU_DEP_1)
	v_dual_add_f32 v134, v134, v182 :: v_dual_add_f32 v17, v17, v169
	v_dual_add_f32 v134, v134, v184 :: v_dual_add_f32 v17, v17, v171
	s_delay_alu instid0(VALU_DEP_1) | instskip(SKIP_3) | instid1(VALU_DEP_2)
	v_add_f32_e32 v23, v17, v173
	ds_load_b128 v[17:20], v21 offset:800
	v_mul_f32_e32 v25, v1, v10
	v_mul_f32_e32 v10, v2, v10
	v_fmac_f32_e32 v25, v2, v9
	s_delay_alu instid0(VALU_DEP_2)
	v_fma_f32 v132, v1, v9, -v10
	s_clause 0x1
	scratch_load_b128 v[1:4], off, off offset:368
	scratch_load_b128 v[9:12], off, off offset:384
	v_add_f32_e32 v132, v134, v132
	s_wait_loadcnt_dscnt 0x101
	v_mul_f32_e32 v136, v5, v2
	s_wait_loadcnt_dscnt 0x0
	v_mul_f32_e32 v138, v17, v10
	v_dual_mul_f32 v2, v6, v2 :: v_dual_mul_f32 v137, v7, v4
	v_mul_f32_e32 v4, v8, v4
	v_dual_fmac_f32 v136, v6, v1 :: v_dual_add_f32 v135, v23, v175
	ds_load_b128 v[21:24], v21 offset:816
	v_fma_f32 v2, v5, v1, -v2
	v_dual_add_f32 v1, v132, v133 :: v_dual_mul_f32 v6, v18, v10
	v_fmac_f32_e32 v137, v8, v3
	v_fma_f32 v3, v7, v3, -v4
	v_mul_f32_e32 v139, v19, v12
	s_delay_alu instid0(VALU_DEP_4) | instskip(NEXT) | instid1(VALU_DEP_2)
	v_dual_add_f32 v1, v1, v2 :: v_dual_mul_f32 v4, v20, v12
	v_dual_fmac_f32 v138, v18, v9 :: v_dual_fmac_f32 v139, v20, v11
	s_delay_alu instid0(VALU_DEP_2) | instskip(NEXT) | instid1(VALU_DEP_3)
	v_add_f32_e32 v1, v1, v3
	v_fma_f32 v4, v19, v11, -v4
	s_wait_dscnt 0x0
	v_mul_f32_e32 v134, v23, v16
	v_mul_f32_e32 v142, v21, v14
	s_delay_alu instid0(VALU_DEP_2) | instskip(SKIP_1) | instid1(VALU_DEP_3)
	v_dual_mul_f32 v3, v22, v14 :: v_dual_fmac_f32 v134, v24, v15
	v_add_f32_e32 v135, v135, v177
	v_fmac_f32_e32 v142, v22, v13
	s_delay_alu instid0(VALU_DEP_3) | instskip(NEXT) | instid1(VALU_DEP_3)
	v_fma_f32 v3, v21, v13, -v3
	v_add_f32_e32 v135, v135, v179
	s_delay_alu instid0(VALU_DEP_1) | instskip(NEXT) | instid1(VALU_DEP_1)
	v_add_f32_e32 v135, v135, v181
	v_add_f32_e32 v135, v135, v183
	s_delay_alu instid0(VALU_DEP_1) | instskip(NEXT) | instid1(VALU_DEP_1)
	v_add_f32_e32 v25, v135, v25
	v_add_f32_e32 v5, v25, v26
	s_delay_alu instid0(VALU_DEP_1) | instskip(SKIP_1) | instid1(VALU_DEP_2)
	v_add_f32_e32 v2, v5, v136
	v_fma_f32 v5, v17, v9, -v6
	v_add_f32_e32 v2, v2, v137
	s_delay_alu instid0(VALU_DEP_2) | instskip(NEXT) | instid1(VALU_DEP_2)
	v_add_f32_e32 v1, v1, v5
	v_dual_mul_f32 v5, v24, v16 :: v_dual_add_f32 v2, v2, v138
	s_delay_alu instid0(VALU_DEP_2) | instskip(NEXT) | instid1(VALU_DEP_2)
	v_add_f32_e32 v1, v1, v4
	v_fma_f32 v4, v23, v15, -v5
	s_delay_alu instid0(VALU_DEP_3) | instskip(NEXT) | instid1(VALU_DEP_1)
	v_add_f32_e32 v2, v2, v139
	v_dual_add_f32 v1, v1, v3 :: v_dual_add_f32 v2, v2, v142
	s_delay_alu instid0(VALU_DEP_1) | instskip(NEXT) | instid1(VALU_DEP_1)
	v_dual_add_f32 v1, v1, v4 :: v_dual_add_f32 v2, v2, v134
	v_dual_sub_f32 v1, v140, v1 :: v_dual_sub_f32 v2, v141, v2
	scratch_store_b64 off, v[1:2], off offset:88
	v_cmpx_lt_u32_e32 10, v0
	s_cbranch_execz .LBB51_305
; %bb.304:
	scratch_load_b64 v[1:2], off, off offset:80
	v_mov_b32_e32 v3, 0
	s_delay_alu instid0(VALU_DEP_1)
	v_mov_b32_e32 v4, v3
	scratch_store_b64 off, v[3:4], off offset:80
	s_wait_loadcnt 0x0
	ds_store_b64 v27, v[1:2]
.LBB51_305:
	s_wait_alu 0xfffe
	s_or_b32 exec_lo, exec_lo, s0
	s_wait_storecnt_dscnt 0x0
	s_barrier_signal -1
	s_barrier_wait -1
	global_inv scope:SCOPE_SE
	s_clause 0x4
	scratch_load_b128 v[5:8], off, off offset:88
	scratch_load_b128 v[1:4], off, off offset:104
	;; [unrolled: 1-line block ×5, first 2 shown]
	v_mov_b32_e32 v21, 0
	ds_load_2addr_b64 v[22:25], v21 offset0:63 offset1:64
	ds_load_2addr_b64 v[132:135], v21 offset0:65 offset1:66
	;; [unrolled: 1-line block ×3, first 2 shown]
	scratch_load_b64 v[140:141], off, off offset:80
	s_mov_b32 s0, exec_lo
	s_wait_loadcnt_dscnt 0x502
	v_dual_mul_f32 v142, v22, v6 :: v_dual_mul_f32 v143, v24, v8
	v_mul_f32_e32 v26, v23, v6
	v_mul_f32_e32 v6, v25, v8
	s_wait_loadcnt_dscnt 0x300
	v_mul_f32_e32 v144, v138, v12
	v_dual_fmac_f32 v142, v23, v5 :: v_dual_fmac_f32 v143, v25, v7
	v_mul_f32_e32 v25, v134, v4
	v_fma_f32 v22, v22, v5, -v26
	v_mul_f32_e32 v26, v136, v10
	v_mul_f32_e32 v4, v135, v4
	s_delay_alu instid0(VALU_DEP_4)
	v_dual_mul_f32 v10, v137, v10 :: v_dual_fmac_f32 v25, v135, v3
	v_fma_f32 v23, v24, v7, -v6
	ds_load_2addr_b64 v[5:8], v21 offset0:69 offset1:70
	v_mul_f32_e32 v24, v132, v2
	v_mul_f32_e32 v12, v139, v12
	;; [unrolled: 1-line block ×3, first 2 shown]
	v_fmac_f32_e32 v26, v137, v9
	v_fmac_f32_e32 v144, v139, v11
	;; [unrolled: 1-line block ×3, first 2 shown]
	v_fma_f32 v133, v134, v3, -v4
	v_fma_f32 v134, v136, v9, -v10
	;; [unrolled: 1-line block ×3, first 2 shown]
	ds_load_2addr_b64 v[9:12], v21 offset0:71 offset1:72
	s_wait_loadcnt_dscnt 0x201
	v_dual_mul_f32 v137, v7, v16 :: v_dual_mul_f32 v136, v5, v14
	v_mul_f32_e32 v14, v6, v14
	v_mul_f32_e32 v16, v8, v16
	s_delay_alu instid0(VALU_DEP_3)
	v_fmac_f32_e32 v137, v8, v15
	v_fma_f32 v132, v132, v1, -v2
	scratch_load_b128 v[1:4], off, off offset:168
	v_fmac_f32_e32 v136, v6, v13
	v_fma_f32 v13, v5, v13, -v14
	v_fma_f32 v14, v7, v15, -v16
	s_wait_loadcnt_dscnt 0x200
	v_mul_f32_e32 v15, v9, v18
	v_mul_f32_e32 v16, v10, v18
	;; [unrolled: 1-line block ×4, first 2 shown]
	ds_load_2addr_b64 v[5:8], v21 offset0:73 offset1:74
	v_fmac_f32_e32 v15, v10, v17
	v_fma_f32 v16, v9, v17, -v16
	v_fmac_f32_e32 v18, v12, v19
	v_fma_f32 v17, v11, v19, -v20
	scratch_load_b128 v[9:12], off, off offset:184
	s_wait_loadcnt_dscnt 0x100
	v_mul_f32_e32 v19, v5, v2
	v_mul_f32_e32 v2, v6, v2
	;; [unrolled: 1-line block ×3, first 2 shown]
	s_delay_alu instid0(VALU_DEP_3) | instskip(NEXT) | instid1(VALU_DEP_3)
	v_dual_mul_f32 v4, v8, v4 :: v_dual_fmac_f32 v19, v6, v1
	v_fma_f32 v138, v5, v1, -v2
	s_delay_alu instid0(VALU_DEP_3) | instskip(NEXT) | instid1(VALU_DEP_3)
	v_fmac_f32_e32 v20, v8, v3
	v_fma_f32 v139, v7, v3, -v4
	ds_load_2addr_b64 v[1:4], v21 offset0:75 offset1:76
	ds_load_2addr_b64 v[5:8], v21 offset0:77 offset1:78
	s_wait_loadcnt_dscnt 0x1
	v_mul_f32_e32 v145, v1, v10
	v_mul_f32_e32 v10, v2, v10
	s_delay_alu instid0(VALU_DEP_2) | instskip(NEXT) | instid1(VALU_DEP_2)
	v_dual_mul_f32 v146, v3, v12 :: v_dual_fmac_f32 v145, v2, v9
	v_fma_f32 v147, v1, v9, -v10
	v_mul_f32_e32 v1, v4, v12
	s_delay_alu instid0(VALU_DEP_3) | instskip(NEXT) | instid1(VALU_DEP_2)
	v_fmac_f32_e32 v146, v4, v11
	v_fma_f32 v148, v3, v11, -v1
	s_clause 0x1
	scratch_load_b128 v[1:4], off, off offset:200
	scratch_load_b128 v[9:12], off, off offset:216
	s_wait_loadcnt_dscnt 0x100
	v_mul_f32_e32 v149, v5, v2
	v_dual_mul_f32 v2, v6, v2 :: v_dual_mul_f32 v151, v7, v4
	s_delay_alu instid0(VALU_DEP_2) | instskip(NEXT) | instid1(VALU_DEP_2)
	v_fmac_f32_e32 v149, v6, v1
	v_fma_f32 v150, v5, v1, -v2
	v_mul_f32_e32 v1, v8, v4
	s_delay_alu instid0(VALU_DEP_4) | instskip(NEXT) | instid1(VALU_DEP_2)
	v_fmac_f32_e32 v151, v8, v3
	v_fma_f32 v152, v7, v3, -v1
	ds_load_2addr_b64 v[1:4], v21 offset0:79 offset1:80
	ds_load_2addr_b64 v[5:8], v21 offset0:81 offset1:82
	s_wait_loadcnt_dscnt 0x1
	v_mul_f32_e32 v153, v1, v10
	v_mul_f32_e32 v155, v3, v12
	s_delay_alu instid0(VALU_DEP_2) | instskip(NEXT) | instid1(VALU_DEP_2)
	v_fmac_f32_e32 v153, v2, v9
	v_dual_mul_f32 v2, v2, v10 :: v_dual_fmac_f32 v155, v4, v11
	s_delay_alu instid0(VALU_DEP_1) | instskip(SKIP_1) | instid1(VALU_DEP_1)
	v_fma_f32 v154, v1, v9, -v2
	v_mul_f32_e32 v1, v4, v12
	v_fma_f32 v156, v3, v11, -v1
	s_clause 0x1
	scratch_load_b128 v[1:4], off, off offset:232
	scratch_load_b128 v[9:12], off, off offset:248
	s_wait_loadcnt_dscnt 0x100
	v_mul_f32_e32 v157, v5, v2
	v_dual_mul_f32 v2, v6, v2 :: v_dual_mul_f32 v159, v7, v4
	s_delay_alu instid0(VALU_DEP_2) | instskip(NEXT) | instid1(VALU_DEP_2)
	v_fmac_f32_e32 v157, v6, v1
	v_fma_f32 v158, v5, v1, -v2
	v_mul_f32_e32 v1, v8, v4
	s_delay_alu instid0(VALU_DEP_4) | instskip(NEXT) | instid1(VALU_DEP_2)
	v_fmac_f32_e32 v159, v8, v3
	v_fma_f32 v160, v7, v3, -v1
	ds_load_2addr_b64 v[1:4], v21 offset0:83 offset1:84
	ds_load_2addr_b64 v[5:8], v21 offset0:85 offset1:86
	s_wait_loadcnt_dscnt 0x1
	v_mul_f32_e32 v161, v1, v10
	v_mul_f32_e32 v163, v3, v12
	s_delay_alu instid0(VALU_DEP_2) | instskip(NEXT) | instid1(VALU_DEP_2)
	v_fmac_f32_e32 v161, v2, v9
	v_dual_mul_f32 v2, v2, v10 :: v_dual_fmac_f32 v163, v4, v11
	s_delay_alu instid0(VALU_DEP_1) | instskip(SKIP_1) | instid1(VALU_DEP_1)
	v_fma_f32 v162, v1, v9, -v2
	v_mul_f32_e32 v1, v4, v12
	;; [unrolled: 25-line block ×4, first 2 shown]
	v_fma_f32 v180, v3, v11, -v1
	s_clause 0x1
	scratch_load_b128 v[1:4], off, off offset:328
	scratch_load_b128 v[9:12], off, off offset:344
	s_wait_loadcnt_dscnt 0x100
	v_mul_f32_e32 v181, v5, v2
	v_mul_f32_e32 v2, v6, v2
	s_delay_alu instid0(VALU_DEP_1) | instskip(SKIP_1) | instid1(VALU_DEP_1)
	v_fma_f32 v182, v5, v1, -v2
	v_add_f32_e32 v2, 0, v142
	v_add_f32_e32 v2, v2, v143
	s_delay_alu instid0(VALU_DEP_1) | instskip(NEXT) | instid1(VALU_DEP_1)
	v_add_f32_e32 v2, v2, v24
	v_add_f32_e32 v2, v2, v25
	s_delay_alu instid0(VALU_DEP_1) | instskip(NEXT) | instid1(VALU_DEP_1)
	;; [unrolled: 3-line block ×5, first 2 shown]
	v_add_f32_e32 v2, v2, v19
	v_add_f32_e32 v2, v2, v20
	s_delay_alu instid0(VALU_DEP_1) | instskip(SKIP_1) | instid1(VALU_DEP_2)
	v_dual_add_f32 v2, v2, v145 :: v_dual_mul_f32 v183, v7, v4
	v_fmac_f32_e32 v181, v6, v1
	v_dual_add_f32 v2, v2, v146 :: v_dual_fmac_f32 v183, v8, v3
	s_delay_alu instid0(VALU_DEP_1) | instskip(NEXT) | instid1(VALU_DEP_1)
	v_dual_add_f32 v2, v2, v149 :: v_dual_mul_f32 v1, v8, v4
	v_add_f32_e32 v2, v2, v151
	s_delay_alu instid0(VALU_DEP_2) | instskip(SKIP_1) | instid1(VALU_DEP_1)
	v_fma_f32 v184, v7, v3, -v1
	v_add_f32_e32 v1, 0, v22
	v_add_f32_e32 v1, v1, v23
	s_delay_alu instid0(VALU_DEP_1) | instskip(NEXT) | instid1(VALU_DEP_1)
	v_add_f32_e32 v1, v1, v132
	v_add_f32_e32 v1, v1, v133
	scratch_load_b64 v[132:133], off, off offset:408
	v_add_f32_e32 v1, v1, v134
	s_delay_alu instid0(VALU_DEP_1) | instskip(NEXT) | instid1(VALU_DEP_1)
	v_add_f32_e32 v1, v1, v135
	v_add_f32_e32 v1, v1, v13
	s_delay_alu instid0(VALU_DEP_1) | instskip(NEXT) | instid1(VALU_DEP_1)
	v_add_f32_e32 v1, v1, v14
	;; [unrolled: 3-line block ×9, first 2 shown]
	v_add_f32_e32 v13, v13, v166
	v_add_f32_e32 v5, v2, v153
	ds_load_2addr_b64 v[1:4], v21 offset0:95 offset1:96
	v_add_f32_e32 v18, v13, v168
	s_delay_alu instid0(VALU_DEP_1) | instskip(NEXT) | instid1(VALU_DEP_1)
	v_dual_add_f32 v5, v5, v155 :: v_dual_add_f32 v18, v18, v170
	v_dual_add_f32 v5, v5, v157 :: v_dual_add_f32 v18, v18, v172
	s_delay_alu instid0(VALU_DEP_1)
	v_add_f32_e32 v14, v5, v159
	ds_load_2addr_b64 v[5:8], v21 offset0:97 offset1:98
	v_add_f32_e32 v18, v18, v174
	v_add_f32_e32 v14, v14, v161
	s_wait_loadcnt_dscnt 0x101
	v_mul_f32_e32 v26, v1, v10
	v_mul_f32_e32 v10, v2, v10
	;; [unrolled: 1-line block ×4, first 2 shown]
	v_add_f32_e32 v14, v14, v163
	v_fmac_f32_e32 v26, v2, v9
	v_fma_f32 v137, v1, v9, -v10
	v_fmac_f32_e32 v136, v4, v11
	v_fma_f32 v138, v3, v11, -v12
	s_clause 0x1
	scratch_load_b128 v[1:4], off, off offset:360
	scratch_load_b128 v[9:12], off, off offset:376
	v_add_f32_e32 v18, v18, v176
	s_delay_alu instid0(VALU_DEP_1)
	v_add_f32_e32 v134, v18, v178
	s_wait_loadcnt_dscnt 0x100
	v_dual_mul_f32 v144, v7, v4 :: v_dual_add_f32 v17, v14, v165
	scratch_load_b128 v[13:16], off, off offset:392
	v_mul_f32_e32 v143, v5, v2
	v_dual_add_f32 v139, v134, v180 :: v_dual_fmac_f32 v144, v8, v3
	v_dual_add_f32 v17, v17, v167 :: v_dual_mul_f32 v2, v6, v2
	s_delay_alu instid0(VALU_DEP_3) | instskip(NEXT) | instid1(VALU_DEP_3)
	v_fmac_f32_e32 v143, v6, v1
	v_dual_add_f32 v139, v139, v182 :: v_dual_mul_f32 v4, v8, v4
	s_delay_alu instid0(VALU_DEP_3) | instskip(NEXT) | instid1(VALU_DEP_4)
	v_add_f32_e32 v17, v17, v169
	v_fma_f32 v2, v5, v1, -v2
	s_delay_alu instid0(VALU_DEP_3) | instskip(NEXT) | instid1(VALU_DEP_4)
	v_add_f32_e32 v139, v139, v184
	v_fma_f32 v1, v7, v3, -v4
	s_delay_alu instid0(VALU_DEP_4) | instskip(NEXT) | instid1(VALU_DEP_3)
	v_add_f32_e32 v17, v17, v171
	v_add_f32_e32 v137, v139, v137
	s_delay_alu instid0(VALU_DEP_2) | instskip(NEXT) | instid1(VALU_DEP_2)
	v_add_f32_e32 v17, v17, v173
	v_add_f32_e32 v137, v137, v138
	s_delay_alu instid0(VALU_DEP_2)
	v_add_f32_e32 v22, v17, v175
	ds_load_2addr_b64 v[17:20], v21 offset0:99 offset1:100
	v_dual_add_f32 v2, v137, v2 :: v_dual_add_f32 v135, v22, v177
	ds_load_2addr_b64 v[22:25], v21 offset0:101 offset1:102
	v_dual_add_f32 v1, v2, v1 :: v_dual_add_f32 v142, v135, v179
	ds_load_b64 v[134:135], v21 offset:824
	v_add_f32_e32 v142, v142, v181
	s_delay_alu instid0(VALU_DEP_1) | instskip(SKIP_2) | instid1(VALU_DEP_2)
	v_add_f32_e32 v142, v142, v183
	s_wait_loadcnt_dscnt 0x102
	v_mul_f32_e32 v3, v18, v10
	v_dual_mul_f32 v5, v20, v12 :: v_dual_add_f32 v26, v142, v26
	v_mul_f32_e32 v142, v19, v12
	s_delay_alu instid0(VALU_DEP_3) | instskip(NEXT) | instid1(VALU_DEP_3)
	v_fma_f32 v3, v17, v9, -v3
	v_fma_f32 v5, v19, v11, -v5
	s_delay_alu instid0(VALU_DEP_4) | instskip(NEXT) | instid1(VALU_DEP_4)
	v_add_f32_e32 v26, v26, v136
	v_fmac_f32_e32 v142, v20, v11
	s_wait_dscnt 0x0
	v_dual_add_f32 v1, v1, v3 :: v_dual_mul_f32 v136, v134, v133
	s_delay_alu instid0(VALU_DEP_3) | instskip(NEXT) | instid1(VALU_DEP_2)
	v_dual_mul_f32 v139, v17, v10 :: v_dual_add_f32 v4, v26, v143
	v_add_f32_e32 v1, v1, v5
	v_mul_f32_e32 v5, v135, v133
	s_delay_alu instid0(VALU_DEP_3) | instskip(NEXT) | instid1(VALU_DEP_4)
	v_dual_fmac_f32 v136, v135, v132 :: v_dual_fmac_f32 v139, v18, v9
	v_add_f32_e32 v2, v4, v144
	s_delay_alu instid0(VALU_DEP_1) | instskip(NEXT) | instid1(VALU_DEP_1)
	v_add_f32_e32 v2, v2, v139
	v_add_f32_e32 v2, v2, v142
	s_wait_loadcnt 0x0
	v_mul_f32_e32 v145, v22, v14
	v_mul_f32_e32 v4, v23, v14
	;; [unrolled: 1-line block ×4, first 2 shown]
	s_delay_alu instid0(VALU_DEP_4) | instskip(NEXT) | instid1(VALU_DEP_4)
	v_fmac_f32_e32 v145, v23, v13
	v_fma_f32 v4, v22, v13, -v4
	s_delay_alu instid0(VALU_DEP_4) | instskip(NEXT) | instid1(VALU_DEP_4)
	v_fmac_f32_e32 v138, v25, v15
	v_fma_f32 v3, v24, v15, -v3
	s_delay_alu instid0(VALU_DEP_3) | instskip(SKIP_1) | instid1(VALU_DEP_2)
	v_dual_add_f32 v2, v2, v145 :: v_dual_add_f32 v1, v1, v4
	v_fma_f32 v4, v134, v132, -v5
	v_dual_add_f32 v2, v2, v138 :: v_dual_add_f32 v1, v1, v3
	s_delay_alu instid0(VALU_DEP_1) | instskip(NEXT) | instid1(VALU_DEP_2)
	v_add_f32_e32 v2, v2, v136
	v_add_f32_e32 v1, v1, v4
	s_delay_alu instid0(VALU_DEP_1)
	v_dual_sub_f32 v2, v141, v2 :: v_dual_sub_f32 v1, v140, v1
	scratch_store_b64 off, v[1:2], off offset:80
	v_cmpx_lt_u32_e32 9, v0
	s_cbranch_execz .LBB51_307
; %bb.306:
	scratch_load_b64 v[1:2], off, off offset:72
	v_mov_b32_e32 v22, v21
	scratch_store_b64 off, v[21:22], off offset:72
	s_wait_loadcnt 0x0
	ds_store_b64 v27, v[1:2]
.LBB51_307:
	s_wait_alu 0xfffe
	s_or_b32 exec_lo, exec_lo, s0
	s_wait_storecnt_dscnt 0x0
	s_barrier_signal -1
	s_barrier_wait -1
	global_inv scope:SCOPE_SE
	s_clause 0x4
	scratch_load_b128 v[5:8], off, off offset:80
	scratch_load_b128 v[1:4], off, off offset:96
	scratch_load_b128 v[9:12], off, off offset:112
	scratch_load_b128 v[13:16], off, off offset:128
	scratch_load_b128 v[17:20], off, off offset:144
	ds_load_b128 v[22:25], v21 offset:496
	ds_load_b128 v[132:135], v21 offset:512
	;; [unrolled: 1-line block ×3, first 2 shown]
	scratch_load_b64 v[140:141], off, off offset:72
	s_mov_b32 s0, exec_lo
	s_wait_loadcnt_dscnt 0x502
	v_dual_mul_f32 v26, v23, v6 :: v_dual_mul_f32 v143, v24, v8
	v_mul_f32_e32 v142, v22, v6
	v_mul_f32_e32 v6, v25, v8
	s_wait_loadcnt_dscnt 0x300
	v_mul_f32_e32 v144, v138, v12
	v_fma_f32 v22, v22, v5, -v26
	v_dual_fmac_f32 v143, v25, v7 :: v_dual_fmac_f32 v142, v23, v5
	v_mul_f32_e32 v25, v134, v4
	v_mul_f32_e32 v4, v135, v4
	;; [unrolled: 1-line block ×5, first 2 shown]
	v_fmac_f32_e32 v25, v135, v3
	v_fma_f32 v23, v24, v7, -v6
	ds_load_b128 v[5:8], v21 offset:544
	v_mul_f32_e32 v24, v132, v2
	v_mul_f32_e32 v2, v133, v2
	v_fmac_f32_e32 v26, v137, v9
	v_fmac_f32_e32 v144, v139, v11
	v_fma_f32 v135, v138, v11, -v12
	v_fmac_f32_e32 v24, v133, v1
	v_fma_f32 v133, v134, v3, -v4
	v_fma_f32 v134, v136, v9, -v10
	ds_load_b128 v[9:12], v21 offset:560
	s_wait_loadcnt_dscnt 0x201
	v_dual_mul_f32 v137, v7, v16 :: v_dual_mul_f32 v136, v5, v14
	v_mul_f32_e32 v14, v6, v14
	v_mul_f32_e32 v16, v8, v16
	s_delay_alu instid0(VALU_DEP_3)
	v_fmac_f32_e32 v137, v8, v15
	v_fma_f32 v132, v132, v1, -v2
	scratch_load_b128 v[1:4], off, off offset:160
	v_fmac_f32_e32 v136, v6, v13
	v_fma_f32 v13, v5, v13, -v14
	v_fma_f32 v14, v7, v15, -v16
	s_wait_loadcnt_dscnt 0x200
	v_mul_f32_e32 v15, v9, v18
	v_mul_f32_e32 v16, v10, v18
	;; [unrolled: 1-line block ×4, first 2 shown]
	ds_load_b128 v[5:8], v21 offset:576
	v_fmac_f32_e32 v15, v10, v17
	v_fma_f32 v16, v9, v17, -v16
	v_fmac_f32_e32 v18, v12, v19
	v_fma_f32 v17, v11, v19, -v20
	scratch_load_b128 v[9:12], off, off offset:176
	s_wait_loadcnt_dscnt 0x100
	v_mul_f32_e32 v19, v5, v2
	v_mul_f32_e32 v2, v6, v2
	;; [unrolled: 1-line block ×3, first 2 shown]
	s_delay_alu instid0(VALU_DEP_3) | instskip(NEXT) | instid1(VALU_DEP_3)
	v_dual_mul_f32 v4, v8, v4 :: v_dual_fmac_f32 v19, v6, v1
	v_fma_f32 v138, v5, v1, -v2
	s_delay_alu instid0(VALU_DEP_3) | instskip(NEXT) | instid1(VALU_DEP_3)
	v_fmac_f32_e32 v20, v8, v3
	v_fma_f32 v139, v7, v3, -v4
	ds_load_b128 v[1:4], v21 offset:592
	ds_load_b128 v[5:8], v21 offset:608
	s_wait_loadcnt_dscnt 0x1
	v_mul_f32_e32 v145, v1, v10
	v_mul_f32_e32 v10, v2, v10
	s_delay_alu instid0(VALU_DEP_2) | instskip(NEXT) | instid1(VALU_DEP_2)
	v_dual_mul_f32 v146, v3, v12 :: v_dual_fmac_f32 v145, v2, v9
	v_fma_f32 v147, v1, v9, -v10
	v_mul_f32_e32 v1, v4, v12
	s_delay_alu instid0(VALU_DEP_3) | instskip(NEXT) | instid1(VALU_DEP_2)
	v_fmac_f32_e32 v146, v4, v11
	v_fma_f32 v148, v3, v11, -v1
	s_clause 0x1
	scratch_load_b128 v[1:4], off, off offset:192
	scratch_load_b128 v[9:12], off, off offset:208
	s_wait_loadcnt_dscnt 0x100
	v_mul_f32_e32 v149, v5, v2
	v_dual_mul_f32 v2, v6, v2 :: v_dual_mul_f32 v151, v7, v4
	s_delay_alu instid0(VALU_DEP_2) | instskip(NEXT) | instid1(VALU_DEP_2)
	v_fmac_f32_e32 v149, v6, v1
	v_fma_f32 v150, v5, v1, -v2
	v_mul_f32_e32 v1, v8, v4
	s_delay_alu instid0(VALU_DEP_4) | instskip(NEXT) | instid1(VALU_DEP_2)
	v_fmac_f32_e32 v151, v8, v3
	v_fma_f32 v152, v7, v3, -v1
	ds_load_b128 v[1:4], v21 offset:624
	ds_load_b128 v[5:8], v21 offset:640
	s_wait_loadcnt_dscnt 0x1
	v_mul_f32_e32 v153, v1, v10
	v_mul_f32_e32 v155, v3, v12
	s_delay_alu instid0(VALU_DEP_2) | instskip(NEXT) | instid1(VALU_DEP_2)
	v_fmac_f32_e32 v153, v2, v9
	v_dual_mul_f32 v2, v2, v10 :: v_dual_fmac_f32 v155, v4, v11
	s_delay_alu instid0(VALU_DEP_1) | instskip(SKIP_1) | instid1(VALU_DEP_1)
	v_fma_f32 v154, v1, v9, -v2
	v_mul_f32_e32 v1, v4, v12
	v_fma_f32 v156, v3, v11, -v1
	s_clause 0x1
	scratch_load_b128 v[1:4], off, off offset:224
	scratch_load_b128 v[9:12], off, off offset:240
	s_wait_loadcnt_dscnt 0x100
	v_mul_f32_e32 v157, v5, v2
	v_dual_mul_f32 v2, v6, v2 :: v_dual_mul_f32 v159, v7, v4
	s_delay_alu instid0(VALU_DEP_2) | instskip(NEXT) | instid1(VALU_DEP_2)
	v_fmac_f32_e32 v157, v6, v1
	v_fma_f32 v158, v5, v1, -v2
	v_mul_f32_e32 v1, v8, v4
	s_delay_alu instid0(VALU_DEP_4) | instskip(NEXT) | instid1(VALU_DEP_2)
	v_fmac_f32_e32 v159, v8, v3
	v_fma_f32 v160, v7, v3, -v1
	ds_load_b128 v[1:4], v21 offset:656
	ds_load_b128 v[5:8], v21 offset:672
	s_wait_loadcnt_dscnt 0x1
	v_mul_f32_e32 v161, v1, v10
	v_mul_f32_e32 v163, v3, v12
	s_delay_alu instid0(VALU_DEP_2) | instskip(NEXT) | instid1(VALU_DEP_2)
	v_fmac_f32_e32 v161, v2, v9
	v_dual_mul_f32 v2, v2, v10 :: v_dual_fmac_f32 v163, v4, v11
	s_delay_alu instid0(VALU_DEP_1) | instskip(SKIP_1) | instid1(VALU_DEP_1)
	v_fma_f32 v162, v1, v9, -v2
	v_mul_f32_e32 v1, v4, v12
	v_fma_f32 v164, v3, v11, -v1
	s_clause 0x1
	scratch_load_b128 v[1:4], off, off offset:256
	scratch_load_b128 v[9:12], off, off offset:272
	s_wait_loadcnt_dscnt 0x100
	v_mul_f32_e32 v165, v5, v2
	v_dual_mul_f32 v2, v6, v2 :: v_dual_mul_f32 v167, v7, v4
	s_delay_alu instid0(VALU_DEP_2) | instskip(NEXT) | instid1(VALU_DEP_2)
	v_fmac_f32_e32 v165, v6, v1
	v_fma_f32 v166, v5, v1, -v2
	v_mul_f32_e32 v1, v8, v4
	s_delay_alu instid0(VALU_DEP_4) | instskip(NEXT) | instid1(VALU_DEP_2)
	v_fmac_f32_e32 v167, v8, v3
	v_fma_f32 v168, v7, v3, -v1
	ds_load_b128 v[1:4], v21 offset:688
	ds_load_b128 v[5:8], v21 offset:704
	s_wait_loadcnt_dscnt 0x1
	v_mul_f32_e32 v169, v1, v10
	v_mul_f32_e32 v171, v3, v12
	s_delay_alu instid0(VALU_DEP_2) | instskip(NEXT) | instid1(VALU_DEP_2)
	v_fmac_f32_e32 v169, v2, v9
	v_dual_mul_f32 v2, v2, v10 :: v_dual_fmac_f32 v171, v4, v11
	s_delay_alu instid0(VALU_DEP_1) | instskip(SKIP_1) | instid1(VALU_DEP_1)
	v_fma_f32 v170, v1, v9, -v2
	v_mul_f32_e32 v1, v4, v12
	v_fma_f32 v172, v3, v11, -v1
	s_clause 0x1
	scratch_load_b128 v[1:4], off, off offset:288
	scratch_load_b128 v[9:12], off, off offset:304
	s_wait_loadcnt_dscnt 0x100
	v_mul_f32_e32 v173, v5, v2
	v_dual_mul_f32 v2, v6, v2 :: v_dual_mul_f32 v175, v7, v4
	s_delay_alu instid0(VALU_DEP_2) | instskip(NEXT) | instid1(VALU_DEP_2)
	v_fmac_f32_e32 v173, v6, v1
	v_fma_f32 v174, v5, v1, -v2
	v_mul_f32_e32 v1, v8, v4
	s_delay_alu instid0(VALU_DEP_4) | instskip(NEXT) | instid1(VALU_DEP_2)
	v_fmac_f32_e32 v175, v8, v3
	v_fma_f32 v176, v7, v3, -v1
	ds_load_b128 v[1:4], v21 offset:720
	ds_load_b128 v[5:8], v21 offset:736
	s_wait_loadcnt_dscnt 0x1
	v_mul_f32_e32 v177, v1, v10
	v_mul_f32_e32 v179, v3, v12
	s_delay_alu instid0(VALU_DEP_2) | instskip(NEXT) | instid1(VALU_DEP_2)
	v_fmac_f32_e32 v177, v2, v9
	v_dual_mul_f32 v2, v2, v10 :: v_dual_fmac_f32 v179, v4, v11
	s_delay_alu instid0(VALU_DEP_1) | instskip(SKIP_1) | instid1(VALU_DEP_1)
	v_fma_f32 v178, v1, v9, -v2
	v_mul_f32_e32 v1, v4, v12
	v_fma_f32 v180, v3, v11, -v1
	s_clause 0x1
	scratch_load_b128 v[1:4], off, off offset:320
	scratch_load_b128 v[9:12], off, off offset:336
	s_wait_loadcnt_dscnt 0x100
	v_mul_f32_e32 v181, v5, v2
	v_mul_f32_e32 v2, v6, v2
	s_delay_alu instid0(VALU_DEP_1) | instskip(SKIP_1) | instid1(VALU_DEP_1)
	v_fma_f32 v182, v5, v1, -v2
	v_add_f32_e32 v2, 0, v142
	v_add_f32_e32 v2, v2, v143
	s_delay_alu instid0(VALU_DEP_1) | instskip(NEXT) | instid1(VALU_DEP_1)
	v_add_f32_e32 v2, v2, v24
	v_add_f32_e32 v2, v2, v25
	s_delay_alu instid0(VALU_DEP_1) | instskip(NEXT) | instid1(VALU_DEP_1)
	;; [unrolled: 3-line block ×5, first 2 shown]
	v_add_f32_e32 v2, v2, v19
	v_add_f32_e32 v2, v2, v20
	s_delay_alu instid0(VALU_DEP_1) | instskip(SKIP_1) | instid1(VALU_DEP_2)
	v_dual_add_f32 v2, v2, v145 :: v_dual_mul_f32 v183, v7, v4
	v_fmac_f32_e32 v181, v6, v1
	v_dual_add_f32 v2, v2, v146 :: v_dual_fmac_f32 v183, v8, v3
	s_delay_alu instid0(VALU_DEP_1) | instskip(NEXT) | instid1(VALU_DEP_1)
	v_dual_add_f32 v2, v2, v149 :: v_dual_mul_f32 v1, v8, v4
	v_add_f32_e32 v2, v2, v151
	s_delay_alu instid0(VALU_DEP_2) | instskip(NEXT) | instid1(VALU_DEP_2)
	v_fma_f32 v184, v7, v3, -v1
	v_dual_add_f32 v1, 0, v22 :: v_dual_add_f32 v2, v2, v153
	s_delay_alu instid0(VALU_DEP_1) | instskip(NEXT) | instid1(VALU_DEP_2)
	v_add_f32_e32 v1, v1, v23
	v_add_f32_e32 v5, v2, v155
	s_delay_alu instid0(VALU_DEP_2) | instskip(NEXT) | instid1(VALU_DEP_1)
	v_add_f32_e32 v1, v1, v132
	v_add_f32_e32 v1, v1, v133
	s_delay_alu instid0(VALU_DEP_1) | instskip(NEXT) | instid1(VALU_DEP_1)
	v_add_f32_e32 v1, v1, v134
	v_add_f32_e32 v1, v1, v135
	s_delay_alu instid0(VALU_DEP_1) | instskip(SKIP_1) | instid1(VALU_DEP_1)
	v_add_f32_e32 v1, v1, v13
	v_add_f32_e32 v13, v5, v157
	;; [unrolled: 1-line block ×3, first 2 shown]
	s_delay_alu instid0(VALU_DEP_1) | instskip(NEXT) | instid1(VALU_DEP_1)
	v_add_f32_e32 v13, v13, v161
	v_add_f32_e32 v18, v13, v163
	s_delay_alu instid0(VALU_DEP_1) | instskip(NEXT) | instid1(VALU_DEP_1)
	v_dual_add_f32 v18, v18, v165 :: v_dual_add_f32 v1, v1, v14
	v_dual_add_f32 v18, v18, v167 :: v_dual_add_f32 v1, v1, v16
	s_delay_alu instid0(VALU_DEP_1) | instskip(NEXT) | instid1(VALU_DEP_1)
	v_add_f32_e32 v1, v1, v17
	v_add_f32_e32 v1, v1, v138
	s_delay_alu instid0(VALU_DEP_1) | instskip(NEXT) | instid1(VALU_DEP_1)
	v_add_f32_e32 v1, v1, v139
	v_add_f32_e32 v1, v1, v147
	;; [unrolled: 3-line block ×5, first 2 shown]
	ds_load_b128 v[1:4], v21 offset:752
	v_add_f32_e32 v22, v18, v169
	v_add_f32_e32 v14, v6, v160
	scratch_load_b128 v[5:8], off, off offset:352
	v_add_f32_e32 v22, v22, v171
	v_add_f32_e32 v14, v14, v162
	s_delay_alu instid0(VALU_DEP_2) | instskip(NEXT) | instid1(VALU_DEP_2)
	v_add_f32_e32 v22, v22, v173
	v_add_f32_e32 v17, v14, v164
	ds_load_b128 v[13:16], v21 offset:768
	s_wait_loadcnt_dscnt 0x101
	v_mul_f32_e32 v25, v1, v10
	v_mul_f32_e32 v10, v2, v10
	;; [unrolled: 1-line block ×3, first 2 shown]
	s_delay_alu instid0(VALU_DEP_3) | instskip(NEXT) | instid1(VALU_DEP_3)
	v_dual_mul_f32 v12, v4, v12 :: v_dual_fmac_f32 v25, v2, v9
	v_fma_f32 v132, v1, v9, -v10
	s_delay_alu instid0(VALU_DEP_3) | instskip(NEXT) | instid1(VALU_DEP_3)
	v_fmac_f32_e32 v26, v4, v11
	v_fma_f32 v133, v3, v11, -v12
	s_clause 0x1
	scratch_load_b128 v[1:4], off, off offset:368
	scratch_load_b128 v[9:12], off, off offset:384
	s_wait_loadcnt_dscnt 0x200
	v_mul_f32_e32 v134, v13, v6
	v_dual_mul_f32 v6, v14, v6 :: v_dual_mul_f32 v135, v15, v8
	v_mul_f32_e32 v8, v16, v8
	s_delay_alu instid0(VALU_DEP_3) | instskip(NEXT) | instid1(VALU_DEP_3)
	v_fmac_f32_e32 v134, v14, v5
	v_fma_f32 v136, v13, v5, -v6
	s_delay_alu instid0(VALU_DEP_4) | instskip(NEXT) | instid1(VALU_DEP_4)
	v_fmac_f32_e32 v135, v16, v7
	v_fma_f32 v137, v15, v7, -v8
	ds_load_b128 v[5:8], v21 offset:784
	v_add_f32_e32 v17, v17, v166
	v_add_f32_e32 v13, v22, v175
	s_delay_alu instid0(VALU_DEP_2) | instskip(NEXT) | instid1(VALU_DEP_1)
	v_add_f32_e32 v17, v17, v168
	v_add_f32_e32 v17, v17, v170
	s_delay_alu instid0(VALU_DEP_1) | instskip(SKIP_2) | instid1(VALU_DEP_1)
	v_add_f32_e32 v23, v17, v172
	scratch_load_b128 v[17:20], off, off offset:400
	v_add_f32_e32 v23, v23, v174
	v_add_f32_e32 v23, v23, v176
	s_delay_alu instid0(VALU_DEP_1)
	v_dual_add_f32 v22, v23, v178 :: v_dual_add_f32 v23, v13, v177
	ds_load_b128 v[13:16], v21 offset:800
	s_wait_loadcnt_dscnt 0x201
	v_mul_f32_e32 v142, v5, v2
	v_mul_f32_e32 v2, v6, v2
	v_dual_add_f32 v138, v22, v180 :: v_dual_add_f32 v139, v23, v179
	ds_load_b128 v[21:24], v21 offset:816
	v_fmac_f32_e32 v142, v6, v1
	v_fma_f32 v2, v5, v1, -v2
	v_add_f32_e32 v138, v138, v182
	s_delay_alu instid0(VALU_DEP_1) | instskip(NEXT) | instid1(VALU_DEP_1)
	v_add_f32_e32 v138, v138, v184
	v_add_f32_e32 v132, v138, v132
	v_mul_f32_e32 v138, v7, v4
	s_wait_loadcnt_dscnt 0x101
	v_mul_f32_e32 v143, v15, v12
	v_mul_f32_e32 v4, v8, v4
	;; [unrolled: 1-line block ×3, first 2 shown]
	v_add_f32_e32 v132, v132, v133
	v_fmac_f32_e32 v138, v8, v3
	v_fmac_f32_e32 v143, v16, v11
	v_add_f32_e32 v139, v139, v181
	v_fma_f32 v3, v7, v3, -v4
	v_add_f32_e32 v132, v132, v136
	v_mul_f32_e32 v4, v16, v12
	s_delay_alu instid0(VALU_DEP_2) | instskip(NEXT) | instid1(VALU_DEP_2)
	v_add_f32_e32 v1, v132, v137
	v_fma_f32 v4, v15, v11, -v4
	s_delay_alu instid0(VALU_DEP_2) | instskip(NEXT) | instid1(VALU_DEP_1)
	v_add_f32_e32 v1, v1, v2
	v_add_f32_e32 v1, v1, v3
	s_wait_loadcnt_dscnt 0x0
	v_mul_f32_e32 v133, v23, v20
	v_mul_f32_e32 v3, v22, v18
	s_delay_alu instid0(VALU_DEP_2) | instskip(SKIP_1) | instid1(VALU_DEP_3)
	v_fmac_f32_e32 v133, v24, v19
	v_add_f32_e32 v139, v139, v183
	v_fma_f32 v3, v21, v17, -v3
	s_delay_alu instid0(VALU_DEP_2) | instskip(SKIP_1) | instid1(VALU_DEP_2)
	v_add_f32_e32 v25, v139, v25
	v_mul_f32_e32 v139, v13, v10
	v_add_f32_e32 v25, v25, v26
	s_delay_alu instid0(VALU_DEP_2) | instskip(NEXT) | instid1(VALU_DEP_1)
	v_dual_mul_f32 v26, v21, v18 :: v_dual_fmac_f32 v139, v14, v9
	v_dual_add_f32 v25, v25, v134 :: v_dual_fmac_f32 v26, v22, v17
	s_delay_alu instid0(VALU_DEP_1) | instskip(NEXT) | instid1(VALU_DEP_1)
	v_add_f32_e32 v5, v25, v135
	v_add_f32_e32 v2, v5, v142
	v_fma_f32 v5, v13, v9, -v6
	s_delay_alu instid0(VALU_DEP_1) | instskip(NEXT) | instid1(VALU_DEP_1)
	v_dual_add_f32 v2, v2, v138 :: v_dual_add_f32 v1, v1, v5
	v_dual_mul_f32 v5, v24, v20 :: v_dual_add_f32 v2, v2, v139
	s_delay_alu instid0(VALU_DEP_2) | instskip(NEXT) | instid1(VALU_DEP_2)
	v_add_f32_e32 v1, v1, v4
	v_fma_f32 v4, v23, v19, -v5
	s_delay_alu instid0(VALU_DEP_3) | instskip(NEXT) | instid1(VALU_DEP_1)
	v_add_f32_e32 v2, v2, v143
	v_dual_add_f32 v1, v1, v3 :: v_dual_add_f32 v2, v2, v26
	s_delay_alu instid0(VALU_DEP_1) | instskip(NEXT) | instid1(VALU_DEP_1)
	v_dual_add_f32 v1, v1, v4 :: v_dual_add_f32 v2, v2, v133
	v_dual_sub_f32 v1, v140, v1 :: v_dual_sub_f32 v2, v141, v2
	scratch_store_b64 off, v[1:2], off offset:72
	v_cmpx_lt_u32_e32 8, v0
	s_cbranch_execz .LBB51_309
; %bb.308:
	scratch_load_b64 v[1:2], off, off offset:64
	v_mov_b32_e32 v3, 0
	s_delay_alu instid0(VALU_DEP_1)
	v_mov_b32_e32 v4, v3
	scratch_store_b64 off, v[3:4], off offset:64
	s_wait_loadcnt 0x0
	ds_store_b64 v27, v[1:2]
.LBB51_309:
	s_wait_alu 0xfffe
	s_or_b32 exec_lo, exec_lo, s0
	s_wait_storecnt_dscnt 0x0
	s_barrier_signal -1
	s_barrier_wait -1
	global_inv scope:SCOPE_SE
	s_clause 0x4
	scratch_load_b128 v[5:8], off, off offset:72
	scratch_load_b128 v[1:4], off, off offset:88
	;; [unrolled: 1-line block ×5, first 2 shown]
	v_mov_b32_e32 v21, 0
	ds_load_2addr_b64 v[22:25], v21 offset0:61 offset1:62
	ds_load_2addr_b64 v[132:135], v21 offset0:63 offset1:64
	;; [unrolled: 1-line block ×3, first 2 shown]
	scratch_load_b64 v[140:141], off, off offset:64
	s_mov_b32 s0, exec_lo
	s_wait_loadcnt_dscnt 0x502
	v_dual_mul_f32 v142, v22, v6 :: v_dual_mul_f32 v143, v24, v8
	v_mul_f32_e32 v26, v23, v6
	v_mul_f32_e32 v6, v25, v8
	s_wait_loadcnt_dscnt 0x300
	v_mul_f32_e32 v144, v138, v12
	v_dual_fmac_f32 v142, v23, v5 :: v_dual_fmac_f32 v143, v25, v7
	v_mul_f32_e32 v25, v134, v4
	v_fma_f32 v22, v22, v5, -v26
	v_mul_f32_e32 v26, v136, v10
	v_mul_f32_e32 v4, v135, v4
	s_delay_alu instid0(VALU_DEP_4)
	v_dual_mul_f32 v10, v137, v10 :: v_dual_fmac_f32 v25, v135, v3
	v_fma_f32 v23, v24, v7, -v6
	ds_load_2addr_b64 v[5:8], v21 offset0:67 offset1:68
	v_mul_f32_e32 v24, v132, v2
	v_mul_f32_e32 v12, v139, v12
	;; [unrolled: 1-line block ×3, first 2 shown]
	v_fmac_f32_e32 v26, v137, v9
	v_fmac_f32_e32 v144, v139, v11
	;; [unrolled: 1-line block ×3, first 2 shown]
	v_fma_f32 v133, v134, v3, -v4
	v_fma_f32 v134, v136, v9, -v10
	;; [unrolled: 1-line block ×3, first 2 shown]
	ds_load_2addr_b64 v[9:12], v21 offset0:69 offset1:70
	s_wait_loadcnt_dscnt 0x201
	v_dual_mul_f32 v137, v7, v16 :: v_dual_mul_f32 v136, v5, v14
	v_mul_f32_e32 v14, v6, v14
	v_mul_f32_e32 v16, v8, v16
	s_delay_alu instid0(VALU_DEP_3)
	v_fmac_f32_e32 v137, v8, v15
	v_fma_f32 v132, v132, v1, -v2
	scratch_load_b128 v[1:4], off, off offset:152
	v_fmac_f32_e32 v136, v6, v13
	v_fma_f32 v13, v5, v13, -v14
	v_fma_f32 v14, v7, v15, -v16
	s_wait_loadcnt_dscnt 0x200
	v_mul_f32_e32 v15, v9, v18
	v_mul_f32_e32 v16, v10, v18
	;; [unrolled: 1-line block ×4, first 2 shown]
	ds_load_2addr_b64 v[5:8], v21 offset0:71 offset1:72
	v_fmac_f32_e32 v15, v10, v17
	v_fma_f32 v16, v9, v17, -v16
	v_fmac_f32_e32 v18, v12, v19
	v_fma_f32 v17, v11, v19, -v20
	scratch_load_b128 v[9:12], off, off offset:168
	s_wait_loadcnt_dscnt 0x100
	v_mul_f32_e32 v19, v5, v2
	v_mul_f32_e32 v2, v6, v2
	;; [unrolled: 1-line block ×3, first 2 shown]
	s_delay_alu instid0(VALU_DEP_3) | instskip(NEXT) | instid1(VALU_DEP_3)
	v_dual_mul_f32 v4, v8, v4 :: v_dual_fmac_f32 v19, v6, v1
	v_fma_f32 v138, v5, v1, -v2
	s_delay_alu instid0(VALU_DEP_3) | instskip(NEXT) | instid1(VALU_DEP_3)
	v_fmac_f32_e32 v20, v8, v3
	v_fma_f32 v139, v7, v3, -v4
	ds_load_2addr_b64 v[1:4], v21 offset0:73 offset1:74
	ds_load_2addr_b64 v[5:8], v21 offset0:75 offset1:76
	s_wait_loadcnt_dscnt 0x1
	v_mul_f32_e32 v145, v1, v10
	v_mul_f32_e32 v10, v2, v10
	s_delay_alu instid0(VALU_DEP_2) | instskip(NEXT) | instid1(VALU_DEP_2)
	v_dual_mul_f32 v146, v3, v12 :: v_dual_fmac_f32 v145, v2, v9
	v_fma_f32 v147, v1, v9, -v10
	v_mul_f32_e32 v1, v4, v12
	s_delay_alu instid0(VALU_DEP_3) | instskip(NEXT) | instid1(VALU_DEP_2)
	v_fmac_f32_e32 v146, v4, v11
	v_fma_f32 v148, v3, v11, -v1
	s_clause 0x1
	scratch_load_b128 v[1:4], off, off offset:184
	scratch_load_b128 v[9:12], off, off offset:200
	s_wait_loadcnt_dscnt 0x100
	v_mul_f32_e32 v149, v5, v2
	v_dual_mul_f32 v2, v6, v2 :: v_dual_mul_f32 v151, v7, v4
	s_delay_alu instid0(VALU_DEP_2) | instskip(NEXT) | instid1(VALU_DEP_2)
	v_fmac_f32_e32 v149, v6, v1
	v_fma_f32 v150, v5, v1, -v2
	v_mul_f32_e32 v1, v8, v4
	s_delay_alu instid0(VALU_DEP_4) | instskip(NEXT) | instid1(VALU_DEP_2)
	v_fmac_f32_e32 v151, v8, v3
	v_fma_f32 v152, v7, v3, -v1
	ds_load_2addr_b64 v[1:4], v21 offset0:77 offset1:78
	ds_load_2addr_b64 v[5:8], v21 offset0:79 offset1:80
	s_wait_loadcnt_dscnt 0x1
	v_mul_f32_e32 v153, v1, v10
	v_mul_f32_e32 v155, v3, v12
	s_delay_alu instid0(VALU_DEP_2) | instskip(NEXT) | instid1(VALU_DEP_2)
	v_fmac_f32_e32 v153, v2, v9
	v_dual_mul_f32 v2, v2, v10 :: v_dual_fmac_f32 v155, v4, v11
	s_delay_alu instid0(VALU_DEP_1) | instskip(SKIP_1) | instid1(VALU_DEP_1)
	v_fma_f32 v154, v1, v9, -v2
	v_mul_f32_e32 v1, v4, v12
	v_fma_f32 v156, v3, v11, -v1
	s_clause 0x1
	scratch_load_b128 v[1:4], off, off offset:216
	scratch_load_b128 v[9:12], off, off offset:232
	s_wait_loadcnt_dscnt 0x100
	v_mul_f32_e32 v157, v5, v2
	v_dual_mul_f32 v2, v6, v2 :: v_dual_mul_f32 v159, v7, v4
	s_delay_alu instid0(VALU_DEP_2) | instskip(NEXT) | instid1(VALU_DEP_2)
	v_fmac_f32_e32 v157, v6, v1
	v_fma_f32 v158, v5, v1, -v2
	v_mul_f32_e32 v1, v8, v4
	s_delay_alu instid0(VALU_DEP_4) | instskip(NEXT) | instid1(VALU_DEP_2)
	v_fmac_f32_e32 v159, v8, v3
	v_fma_f32 v160, v7, v3, -v1
	ds_load_2addr_b64 v[1:4], v21 offset0:81 offset1:82
	ds_load_2addr_b64 v[5:8], v21 offset0:83 offset1:84
	s_wait_loadcnt_dscnt 0x1
	v_mul_f32_e32 v161, v1, v10
	v_mul_f32_e32 v163, v3, v12
	s_delay_alu instid0(VALU_DEP_2) | instskip(NEXT) | instid1(VALU_DEP_2)
	v_fmac_f32_e32 v161, v2, v9
	v_dual_mul_f32 v2, v2, v10 :: v_dual_fmac_f32 v163, v4, v11
	s_delay_alu instid0(VALU_DEP_1) | instskip(SKIP_1) | instid1(VALU_DEP_1)
	v_fma_f32 v162, v1, v9, -v2
	v_mul_f32_e32 v1, v4, v12
	;; [unrolled: 25-line block ×4, first 2 shown]
	v_fma_f32 v180, v3, v11, -v1
	s_clause 0x1
	scratch_load_b128 v[1:4], off, off offset:312
	scratch_load_b128 v[9:12], off, off offset:328
	s_wait_loadcnt_dscnt 0x100
	v_mul_f32_e32 v181, v5, v2
	v_mul_f32_e32 v2, v6, v2
	s_delay_alu instid0(VALU_DEP_1) | instskip(SKIP_1) | instid1(VALU_DEP_1)
	v_fma_f32 v182, v5, v1, -v2
	v_add_f32_e32 v2, 0, v142
	v_add_f32_e32 v2, v2, v143
	s_delay_alu instid0(VALU_DEP_1) | instskip(NEXT) | instid1(VALU_DEP_1)
	v_add_f32_e32 v2, v2, v24
	v_add_f32_e32 v2, v2, v25
	s_delay_alu instid0(VALU_DEP_1) | instskip(NEXT) | instid1(VALU_DEP_1)
	;; [unrolled: 3-line block ×5, first 2 shown]
	v_add_f32_e32 v2, v2, v19
	v_add_f32_e32 v2, v2, v20
	s_delay_alu instid0(VALU_DEP_1) | instskip(SKIP_1) | instid1(VALU_DEP_2)
	v_dual_add_f32 v2, v2, v145 :: v_dual_mul_f32 v183, v7, v4
	v_fmac_f32_e32 v181, v6, v1
	v_dual_add_f32 v2, v2, v146 :: v_dual_fmac_f32 v183, v8, v3
	s_delay_alu instid0(VALU_DEP_1) | instskip(NEXT) | instid1(VALU_DEP_1)
	v_dual_add_f32 v2, v2, v149 :: v_dual_mul_f32 v1, v8, v4
	v_add_f32_e32 v2, v2, v151
	s_delay_alu instid0(VALU_DEP_2) | instskip(NEXT) | instid1(VALU_DEP_2)
	v_fma_f32 v184, v7, v3, -v1
	v_dual_add_f32 v1, 0, v22 :: v_dual_add_f32 v2, v2, v153
	s_delay_alu instid0(VALU_DEP_1) | instskip(NEXT) | instid1(VALU_DEP_2)
	v_add_f32_e32 v1, v1, v23
	v_add_f32_e32 v5, v2, v155
	s_delay_alu instid0(VALU_DEP_2) | instskip(NEXT) | instid1(VALU_DEP_1)
	v_add_f32_e32 v1, v1, v132
	v_add_f32_e32 v1, v1, v133
	scratch_load_b64 v[132:133], off, off offset:408
	v_add_f32_e32 v1, v1, v134
	s_delay_alu instid0(VALU_DEP_1) | instskip(NEXT) | instid1(VALU_DEP_1)
	v_add_f32_e32 v1, v1, v135
	v_add_f32_e32 v1, v1, v13
	;; [unrolled: 1-line block ×3, first 2 shown]
	s_delay_alu instid0(VALU_DEP_2) | instskip(NEXT) | instid1(VALU_DEP_2)
	v_add_f32_e32 v1, v1, v14
	v_add_f32_e32 v13, v13, v159
	s_delay_alu instid0(VALU_DEP_1) | instskip(NEXT) | instid1(VALU_DEP_1)
	v_add_f32_e32 v13, v13, v161
	v_add_f32_e32 v18, v13, v163
	s_delay_alu instid0(VALU_DEP_4) | instskip(NEXT) | instid1(VALU_DEP_1)
	v_add_f32_e32 v1, v1, v16
	v_add_f32_e32 v1, v1, v17
	s_delay_alu instid0(VALU_DEP_1) | instskip(NEXT) | instid1(VALU_DEP_1)
	v_add_f32_e32 v1, v1, v138
	v_add_f32_e32 v1, v1, v139
	s_delay_alu instid0(VALU_DEP_1) | instskip(NEXT) | instid1(VALU_DEP_1)
	;; [unrolled: 3-line block ×4, first 2 shown]
	v_add_f32_e32 v1, v1, v154
	v_add_f32_e32 v1, v1, v156
	s_delay_alu instid0(VALU_DEP_1)
	v_add_f32_e32 v6, v1, v158
	scratch_load_b128 v[1:4], off, off offset:344
	v_add_f32_e32 v18, v18, v165
	v_add_f32_e32 v14, v6, v160
	ds_load_2addr_b64 v[5:8], v21 offset0:93 offset1:94
	v_add_f32_e32 v18, v18, v167
	v_add_f32_e32 v14, v14, v162
	s_delay_alu instid0(VALU_DEP_2) | instskip(NEXT) | instid1(VALU_DEP_2)
	v_add_f32_e32 v22, v18, v169
	v_add_f32_e32 v17, v14, v164
	ds_load_2addr_b64 v[13:16], v21 offset0:95 offset1:96
	v_add_f32_e32 v22, v22, v171
	s_wait_loadcnt_dscnt 0x201
	v_mul_f32_e32 v26, v5, v10
	v_mul_f32_e32 v10, v6, v10
	v_mul_f32_e32 v136, v7, v12
	v_mul_f32_e32 v12, v8, v12
	v_add_f32_e32 v22, v22, v173
	v_fmac_f32_e32 v26, v6, v9
	v_fma_f32 v137, v5, v9, -v10
	v_fmac_f32_e32 v136, v8, v11
	v_fma_f32 v138, v7, v11, -v12
	scratch_load_b128 v[5:8], off, off offset:360
	v_add_f32_e32 v22, v22, v175
	scratch_load_b128 v[9:12], off, off offset:376
	s_wait_loadcnt_dscnt 0x200
	v_mul_f32_e32 v139, v13, v2
	v_mul_f32_e32 v2, v14, v2
	;; [unrolled: 1-line block ×3, first 2 shown]
	s_delay_alu instid0(VALU_DEP_3) | instskip(NEXT) | instid1(VALU_DEP_3)
	v_dual_mul_f32 v4, v16, v4 :: v_dual_fmac_f32 v139, v14, v1
	v_fma_f32 v143, v13, v1, -v2
	s_delay_alu instid0(VALU_DEP_3) | instskip(NEXT) | instid1(VALU_DEP_3)
	v_dual_add_f32 v13, v22, v177 :: v_dual_fmac_f32 v142, v16, v3
	v_fma_f32 v144, v15, v3, -v4
	ds_load_2addr_b64 v[1:4], v21 offset0:97 offset1:98
	v_add_f32_e32 v22, v13, v179
	s_delay_alu instid0(VALU_DEP_1) | instskip(NEXT) | instid1(VALU_DEP_1)
	v_add_f32_e32 v135, v22, v181
	v_add_f32_e32 v146, v135, v183
	s_delay_alu instid0(VALU_DEP_1) | instskip(NEXT) | instid1(VALU_DEP_1)
	v_add_f32_e32 v26, v146, v26
	v_dual_add_f32 v17, v17, v166 :: v_dual_add_f32 v26, v26, v136
	s_delay_alu instid0(VALU_DEP_1) | instskip(NEXT) | instid1(VALU_DEP_1)
	v_dual_add_f32 v17, v17, v168 :: v_dual_add_f32 v26, v26, v139
	v_add_f32_e32 v17, v17, v170
	s_delay_alu instid0(VALU_DEP_1) | instskip(SKIP_2) | instid1(VALU_DEP_1)
	v_dual_add_f32 v26, v26, v142 :: v_dual_add_f32 v23, v17, v172
	scratch_load_b128 v[17:20], off, off offset:392
	v_add_f32_e32 v23, v23, v174
	v_add_f32_e32 v23, v23, v176
	s_delay_alu instid0(VALU_DEP_1) | instskip(NEXT) | instid1(VALU_DEP_1)
	v_add_f32_e32 v23, v23, v178
	v_add_f32_e32 v14, v23, v180
	ds_load_2addr_b64 v[22:25], v21 offset0:101 offset1:102
	v_add_f32_e32 v134, v14, v182
	ds_load_2addr_b64 v[13:16], v21 offset0:99 offset1:100
	s_wait_loadcnt_dscnt 0x202
	v_mul_f32_e32 v136, v3, v8
	v_mul_f32_e32 v8, v4, v8
	v_add_f32_e32 v145, v134, v184
	ds_load_b64 v[134:135], v21 offset:824
	v_dual_fmac_f32 v136, v4, v7 :: v_dual_add_f32 v137, v145, v137
	s_delay_alu instid0(VALU_DEP_1) | instskip(SKIP_4) | instid1(VALU_DEP_3)
	v_add_f32_e32 v137, v137, v138
	s_wait_loadcnt_dscnt 0x101
	v_mul_f32_e32 v138, v13, v10
	v_mul_f32_e32 v145, v1, v6
	;; [unrolled: 1-line block ×3, first 2 shown]
	v_fmac_f32_e32 v138, v14, v9
	s_delay_alu instid0(VALU_DEP_3)
	v_fmac_f32_e32 v145, v2, v5
	s_wait_dscnt 0x0
	v_mul_f32_e32 v142, v134, v133
	v_fma_f32 v1, v1, v5, -v6
	v_fma_f32 v2, v3, v7, -v8
	v_mul_f32_e32 v3, v14, v10
	v_dual_add_f32 v4, v26, v145 :: v_dual_add_f32 v137, v137, v143
	v_fmac_f32_e32 v142, v135, v132
	s_delay_alu instid0(VALU_DEP_3) | instskip(SKIP_2) | instid1(VALU_DEP_1)
	v_fma_f32 v3, v13, v9, -v3
	s_wait_loadcnt 0x0
	v_mul_f32_e32 v143, v22, v18
	v_fmac_f32_e32 v143, v23, v17
	v_mul_f32_e32 v139, v15, v12
	s_delay_alu instid0(VALU_DEP_1) | instskip(SKIP_2) | instid1(VALU_DEP_1)
	v_fmac_f32_e32 v139, v16, v11
	v_add_f32_e32 v137, v137, v144
	v_mul_f32_e32 v144, v24, v20
	v_fmac_f32_e32 v144, v25, v19
	s_delay_alu instid0(VALU_DEP_3) | instskip(NEXT) | instid1(VALU_DEP_1)
	v_add_f32_e32 v1, v137, v1
	v_dual_add_f32 v1, v1, v2 :: v_dual_add_f32 v2, v4, v136
	s_delay_alu instid0(VALU_DEP_1) | instskip(NEXT) | instid1(VALU_DEP_2)
	v_dual_mul_f32 v4, v23, v18 :: v_dual_add_f32 v1, v1, v3
	v_dual_add_f32 v2, v2, v138 :: v_dual_mul_f32 v3, v25, v20
	s_delay_alu instid0(VALU_DEP_2) | instskip(NEXT) | instid1(VALU_DEP_2)
	v_fma_f32 v4, v22, v17, -v4
	v_add_f32_e32 v2, v2, v139
	s_delay_alu instid0(VALU_DEP_3) | instskip(NEXT) | instid1(VALU_DEP_2)
	v_fma_f32 v3, v24, v19, -v3
	v_add_f32_e32 v2, v2, v143
	s_delay_alu instid0(VALU_DEP_1) | instskip(NEXT) | instid1(VALU_DEP_1)
	v_add_f32_e32 v2, v2, v144
	v_dual_mul_f32 v5, v16, v12 :: v_dual_add_f32 v2, v2, v142
	s_delay_alu instid0(VALU_DEP_1) | instskip(NEXT) | instid1(VALU_DEP_2)
	v_fma_f32 v5, v15, v11, -v5
	v_sub_f32_e32 v2, v141, v2
	s_delay_alu instid0(VALU_DEP_2) | instskip(SKIP_1) | instid1(VALU_DEP_2)
	v_add_f32_e32 v1, v1, v5
	v_mul_f32_e32 v5, v135, v133
	v_add_f32_e32 v1, v1, v4
	s_delay_alu instid0(VALU_DEP_2) | instskip(NEXT) | instid1(VALU_DEP_2)
	v_fma_f32 v4, v134, v132, -v5
	v_add_f32_e32 v1, v1, v3
	s_delay_alu instid0(VALU_DEP_1) | instskip(NEXT) | instid1(VALU_DEP_1)
	v_add_f32_e32 v1, v1, v4
	v_sub_f32_e32 v1, v140, v1
	scratch_store_b64 off, v[1:2], off offset:64
	v_cmpx_lt_u32_e32 7, v0
	s_cbranch_execz .LBB51_311
; %bb.310:
	scratch_load_b64 v[1:2], off, off offset:56
	v_mov_b32_e32 v22, v21
	scratch_store_b64 off, v[21:22], off offset:56
	s_wait_loadcnt 0x0
	ds_store_b64 v27, v[1:2]
.LBB51_311:
	s_wait_alu 0xfffe
	s_or_b32 exec_lo, exec_lo, s0
	s_wait_storecnt_dscnt 0x0
	s_barrier_signal -1
	s_barrier_wait -1
	global_inv scope:SCOPE_SE
	s_clause 0x4
	scratch_load_b128 v[5:8], off, off offset:64
	scratch_load_b128 v[1:4], off, off offset:80
	;; [unrolled: 1-line block ×5, first 2 shown]
	ds_load_b128 v[22:25], v21 offset:480
	ds_load_b128 v[132:135], v21 offset:496
	;; [unrolled: 1-line block ×3, first 2 shown]
	scratch_load_b64 v[140:141], off, off offset:56
	s_mov_b32 s0, exec_lo
	s_wait_loadcnt_dscnt 0x502
	v_dual_mul_f32 v26, v23, v6 :: v_dual_mul_f32 v143, v24, v8
	v_mul_f32_e32 v142, v22, v6
	v_mul_f32_e32 v6, v25, v8
	s_wait_loadcnt_dscnt 0x300
	v_mul_f32_e32 v144, v138, v12
	v_fma_f32 v22, v22, v5, -v26
	v_dual_fmac_f32 v143, v25, v7 :: v_dual_fmac_f32 v142, v23, v5
	v_mul_f32_e32 v25, v134, v4
	v_mul_f32_e32 v4, v135, v4
	;; [unrolled: 1-line block ×5, first 2 shown]
	v_fmac_f32_e32 v25, v135, v3
	v_fma_f32 v23, v24, v7, -v6
	ds_load_b128 v[5:8], v21 offset:528
	v_mul_f32_e32 v24, v132, v2
	v_mul_f32_e32 v2, v133, v2
	v_fmac_f32_e32 v26, v137, v9
	v_fmac_f32_e32 v144, v139, v11
	v_fma_f32 v135, v138, v11, -v12
	v_fmac_f32_e32 v24, v133, v1
	v_fma_f32 v133, v134, v3, -v4
	v_fma_f32 v134, v136, v9, -v10
	ds_load_b128 v[9:12], v21 offset:544
	s_wait_loadcnt_dscnt 0x201
	v_dual_mul_f32 v137, v7, v16 :: v_dual_mul_f32 v136, v5, v14
	v_mul_f32_e32 v14, v6, v14
	v_mul_f32_e32 v16, v8, v16
	s_delay_alu instid0(VALU_DEP_3)
	v_fmac_f32_e32 v137, v8, v15
	v_fma_f32 v132, v132, v1, -v2
	scratch_load_b128 v[1:4], off, off offset:144
	v_fmac_f32_e32 v136, v6, v13
	v_fma_f32 v13, v5, v13, -v14
	v_fma_f32 v14, v7, v15, -v16
	s_wait_loadcnt_dscnt 0x200
	v_mul_f32_e32 v15, v9, v18
	v_mul_f32_e32 v16, v10, v18
	;; [unrolled: 1-line block ×4, first 2 shown]
	ds_load_b128 v[5:8], v21 offset:560
	v_fmac_f32_e32 v15, v10, v17
	v_fma_f32 v16, v9, v17, -v16
	v_fmac_f32_e32 v18, v12, v19
	v_fma_f32 v17, v11, v19, -v20
	scratch_load_b128 v[9:12], off, off offset:160
	s_wait_loadcnt_dscnt 0x100
	v_mul_f32_e32 v19, v5, v2
	v_mul_f32_e32 v2, v6, v2
	;; [unrolled: 1-line block ×3, first 2 shown]
	s_delay_alu instid0(VALU_DEP_3) | instskip(NEXT) | instid1(VALU_DEP_3)
	v_dual_mul_f32 v4, v8, v4 :: v_dual_fmac_f32 v19, v6, v1
	v_fma_f32 v138, v5, v1, -v2
	s_delay_alu instid0(VALU_DEP_3) | instskip(NEXT) | instid1(VALU_DEP_3)
	v_fmac_f32_e32 v20, v8, v3
	v_fma_f32 v139, v7, v3, -v4
	ds_load_b128 v[1:4], v21 offset:576
	ds_load_b128 v[5:8], v21 offset:592
	s_wait_loadcnt_dscnt 0x1
	v_mul_f32_e32 v145, v1, v10
	v_mul_f32_e32 v10, v2, v10
	s_delay_alu instid0(VALU_DEP_2) | instskip(NEXT) | instid1(VALU_DEP_2)
	v_dual_mul_f32 v146, v3, v12 :: v_dual_fmac_f32 v145, v2, v9
	v_fma_f32 v147, v1, v9, -v10
	v_mul_f32_e32 v1, v4, v12
	s_delay_alu instid0(VALU_DEP_3) | instskip(NEXT) | instid1(VALU_DEP_2)
	v_fmac_f32_e32 v146, v4, v11
	v_fma_f32 v148, v3, v11, -v1
	s_clause 0x1
	scratch_load_b128 v[1:4], off, off offset:176
	scratch_load_b128 v[9:12], off, off offset:192
	s_wait_loadcnt_dscnt 0x100
	v_mul_f32_e32 v149, v5, v2
	v_dual_mul_f32 v2, v6, v2 :: v_dual_mul_f32 v151, v7, v4
	s_delay_alu instid0(VALU_DEP_2) | instskip(NEXT) | instid1(VALU_DEP_2)
	v_fmac_f32_e32 v149, v6, v1
	v_fma_f32 v150, v5, v1, -v2
	v_mul_f32_e32 v1, v8, v4
	s_delay_alu instid0(VALU_DEP_4) | instskip(NEXT) | instid1(VALU_DEP_2)
	v_fmac_f32_e32 v151, v8, v3
	v_fma_f32 v152, v7, v3, -v1
	ds_load_b128 v[1:4], v21 offset:608
	ds_load_b128 v[5:8], v21 offset:624
	s_wait_loadcnt_dscnt 0x1
	v_mul_f32_e32 v153, v1, v10
	v_mul_f32_e32 v155, v3, v12
	s_delay_alu instid0(VALU_DEP_2) | instskip(NEXT) | instid1(VALU_DEP_2)
	v_fmac_f32_e32 v153, v2, v9
	v_dual_mul_f32 v2, v2, v10 :: v_dual_fmac_f32 v155, v4, v11
	s_delay_alu instid0(VALU_DEP_1) | instskip(SKIP_1) | instid1(VALU_DEP_1)
	v_fma_f32 v154, v1, v9, -v2
	v_mul_f32_e32 v1, v4, v12
	v_fma_f32 v156, v3, v11, -v1
	s_clause 0x1
	scratch_load_b128 v[1:4], off, off offset:208
	scratch_load_b128 v[9:12], off, off offset:224
	s_wait_loadcnt_dscnt 0x100
	v_mul_f32_e32 v157, v5, v2
	v_dual_mul_f32 v2, v6, v2 :: v_dual_mul_f32 v159, v7, v4
	s_delay_alu instid0(VALU_DEP_2) | instskip(NEXT) | instid1(VALU_DEP_2)
	v_fmac_f32_e32 v157, v6, v1
	v_fma_f32 v158, v5, v1, -v2
	v_mul_f32_e32 v1, v8, v4
	s_delay_alu instid0(VALU_DEP_4) | instskip(NEXT) | instid1(VALU_DEP_2)
	v_fmac_f32_e32 v159, v8, v3
	v_fma_f32 v160, v7, v3, -v1
	ds_load_b128 v[1:4], v21 offset:640
	ds_load_b128 v[5:8], v21 offset:656
	s_wait_loadcnt_dscnt 0x1
	v_mul_f32_e32 v161, v1, v10
	v_mul_f32_e32 v163, v3, v12
	s_delay_alu instid0(VALU_DEP_2) | instskip(NEXT) | instid1(VALU_DEP_2)
	v_fmac_f32_e32 v161, v2, v9
	v_dual_mul_f32 v2, v2, v10 :: v_dual_fmac_f32 v163, v4, v11
	s_delay_alu instid0(VALU_DEP_1) | instskip(SKIP_1) | instid1(VALU_DEP_1)
	v_fma_f32 v162, v1, v9, -v2
	v_mul_f32_e32 v1, v4, v12
	;; [unrolled: 25-line block ×5, first 2 shown]
	v_fma_f32 v188, v3, v11, -v1
	s_clause 0x1
	scratch_load_b128 v[1:4], off, off offset:336
	scratch_load_b128 v[9:12], off, off offset:352
	s_wait_loadcnt_dscnt 0x100
	v_mul_f32_e32 v189, v5, v2
	v_mul_f32_e32 v2, v6, v2
	s_delay_alu instid0(VALU_DEP_1) | instskip(SKIP_1) | instid1(VALU_DEP_1)
	v_fma_f32 v190, v5, v1, -v2
	v_add_f32_e32 v2, 0, v142
	v_add_f32_e32 v2, v2, v143
	s_delay_alu instid0(VALU_DEP_1) | instskip(NEXT) | instid1(VALU_DEP_1)
	v_add_f32_e32 v2, v2, v24
	v_add_f32_e32 v2, v2, v25
	s_delay_alu instid0(VALU_DEP_1) | instskip(NEXT) | instid1(VALU_DEP_1)
	;; [unrolled: 3-line block ×8, first 2 shown]
	v_add_f32_e32 v2, v2, v153
	v_add_f32_e32 v2, v2, v155
	s_delay_alu instid0(VALU_DEP_1) | instskip(SKIP_2) | instid1(VALU_DEP_3)
	v_add_f32_e32 v2, v2, v157
	v_fmac_f32_e32 v189, v6, v1
	v_mul_f32_e32 v1, v8, v4
	v_dual_mul_f32 v191, v7, v4 :: v_dual_add_f32 v2, v2, v159
	s_delay_alu instid0(VALU_DEP_2) | instskip(SKIP_1) | instid1(VALU_DEP_3)
	v_fma_f32 v192, v7, v3, -v1
	v_add_f32_e32 v1, 0, v22
	v_add_f32_e32 v5, v2, v161
	s_delay_alu instid0(VALU_DEP_2) | instskip(NEXT) | instid1(VALU_DEP_2)
	v_add_f32_e32 v1, v1, v23
	v_add_f32_e32 v5, v5, v163
	s_delay_alu instid0(VALU_DEP_2) | instskip(NEXT) | instid1(VALU_DEP_2)
	v_add_f32_e32 v1, v1, v132
	v_add_f32_e32 v5, v5, v165
	s_delay_alu instid0(VALU_DEP_2) | instskip(NEXT) | instid1(VALU_DEP_1)
	v_add_f32_e32 v1, v1, v133
	v_add_f32_e32 v1, v1, v134
	s_delay_alu instid0(VALU_DEP_1) | instskip(NEXT) | instid1(VALU_DEP_1)
	v_add_f32_e32 v1, v1, v135
	v_add_f32_e32 v1, v1, v13
	s_delay_alu instid0(VALU_DEP_1) | instskip(SKIP_1) | instid1(VALU_DEP_2)
	v_add_f32_e32 v1, v1, v14
	v_add_f32_e32 v14, v5, v167
	;; [unrolled: 1-line block ×3, first 2 shown]
	s_delay_alu instid0(VALU_DEP_1) | instskip(NEXT) | instid1(VALU_DEP_1)
	v_add_f32_e32 v1, v1, v17
	v_add_f32_e32 v1, v1, v138
	s_delay_alu instid0(VALU_DEP_1) | instskip(NEXT) | instid1(VALU_DEP_1)
	v_add_f32_e32 v1, v1, v139
	v_add_f32_e32 v1, v1, v147
	;; [unrolled: 3-line block ×6, first 2 shown]
	s_delay_alu instid0(VALU_DEP_1) | instskip(SKIP_3) | instid1(VALU_DEP_2)
	v_dual_add_f32 v6, v1, v164 :: v_dual_fmac_f32 v191, v8, v3
	ds_load_b128 v[1:4], v21 offset:768
	v_add_f32_e32 v14, v14, v169
	v_add_f32_e32 v6, v6, v166
	;; [unrolled: 1-line block ×3, first 2 shown]
	s_delay_alu instid0(VALU_DEP_2) | instskip(SKIP_4) | instid1(VALU_DEP_2)
	v_add_f32_e32 v13, v6, v168
	ds_load_b128 v[5:8], v21 offset:784
	s_wait_loadcnt_dscnt 0x1
	v_dual_mul_f32 v25, v1, v10 :: v_dual_mul_f32 v26, v3, v12
	v_mul_f32_e32 v10, v2, v10
	v_dual_mul_f32 v12, v4, v12 :: v_dual_fmac_f32 v25, v2, v9
	s_delay_alu instid0(VALU_DEP_3) | instskip(NEXT) | instid1(VALU_DEP_3)
	v_fmac_f32_e32 v26, v4, v11
	v_fma_f32 v132, v1, v9, -v10
	s_delay_alu instid0(VALU_DEP_3)
	v_fma_f32 v133, v3, v11, -v12
	s_clause 0x1
	scratch_load_b128 v[1:4], off, off offset:368
	scratch_load_b128 v[9:12], off, off offset:384
	s_wait_loadcnt_dscnt 0x100
	v_mul_f32_e32 v136, v5, v2
	v_add_f32_e32 v13, v13, v170
	v_dual_mul_f32 v2, v6, v2 :: v_dual_mul_f32 v137, v7, v4
	v_mul_f32_e32 v4, v8, v4
	s_delay_alu instid0(VALU_DEP_3) | instskip(SKIP_1) | instid1(VALU_DEP_4)
	v_dual_fmac_f32 v136, v6, v1 :: v_dual_add_f32 v13, v13, v172
	v_add_f32_e32 v17, v14, v173
	v_fma_f32 v2, v5, v1, -v2
	v_fmac_f32_e32 v137, v8, v3
	v_fma_f32 v3, v7, v3, -v4
	v_add_f32_e32 v13, v13, v174
	v_add_f32_e32 v17, v17, v175
	s_delay_alu instid0(VALU_DEP_2) | instskip(SKIP_2) | instid1(VALU_DEP_1)
	v_add_f32_e32 v18, v13, v176
	scratch_load_b128 v[13:16], off, off offset:400
	v_dual_add_f32 v17, v17, v177 :: v_dual_add_f32 v18, v18, v178
	v_dual_add_f32 v17, v17, v179 :: v_dual_add_f32 v18, v18, v180
	s_delay_alu instid0(VALU_DEP_1) | instskip(SKIP_4) | instid1(VALU_DEP_1)
	v_dual_add_f32 v23, v17, v181 :: v_dual_add_f32 v22, v18, v182
	ds_load_b128 v[17:20], v21 offset:800
	v_dual_add_f32 v135, v23, v183 :: v_dual_add_f32 v134, v22, v184
	ds_load_b128 v[21:24], v21 offset:816
	v_dual_add_f32 v135, v135, v185 :: v_dual_add_f32 v134, v134, v186
	v_dual_add_f32 v135, v135, v187 :: v_dual_add_f32 v134, v134, v188
	s_delay_alu instid0(VALU_DEP_1) | instskip(SKIP_1) | instid1(VALU_DEP_1)
	v_dual_add_f32 v135, v135, v189 :: v_dual_add_f32 v134, v134, v190
	s_wait_loadcnt_dscnt 0x101
	v_dual_mul_f32 v138, v17, v10 :: v_dual_add_f32 v135, v135, v191
	v_dual_mul_f32 v6, v18, v10 :: v_dual_mul_f32 v139, v19, v12
	s_delay_alu instid0(VALU_DEP_3) | instskip(SKIP_1) | instid1(VALU_DEP_3)
	v_add_f32_e32 v134, v134, v192
	v_mul_f32_e32 v4, v20, v12
	v_dual_fmac_f32 v138, v18, v9 :: v_dual_fmac_f32 v139, v20, v11
	s_delay_alu instid0(VALU_DEP_3) | instskip(NEXT) | instid1(VALU_DEP_3)
	v_add_f32_e32 v132, v134, v132
	v_fma_f32 v4, v19, v11, -v4
	s_delay_alu instid0(VALU_DEP_2) | instskip(NEXT) | instid1(VALU_DEP_1)
	v_add_f32_e32 v1, v132, v133
	v_add_f32_e32 v1, v1, v2
	s_delay_alu instid0(VALU_DEP_1) | instskip(SKIP_3) | instid1(VALU_DEP_2)
	v_add_f32_e32 v1, v1, v3
	s_wait_loadcnt_dscnt 0x0
	v_dual_mul_f32 v142, v21, v14 :: v_dual_add_f32 v25, v135, v25
	v_dual_mul_f32 v3, v22, v14 :: v_dual_mul_f32 v134, v23, v16
	v_dual_fmac_f32 v142, v22, v13 :: v_dual_add_f32 v5, v25, v26
	s_delay_alu instid0(VALU_DEP_2) | instskip(NEXT) | instid1(VALU_DEP_3)
	v_fma_f32 v3, v21, v13, -v3
	v_fmac_f32_e32 v134, v24, v15
	s_delay_alu instid0(VALU_DEP_3) | instskip(SKIP_1) | instid1(VALU_DEP_2)
	v_add_f32_e32 v2, v5, v136
	v_fma_f32 v5, v17, v9, -v6
	v_add_f32_e32 v2, v2, v137
	s_delay_alu instid0(VALU_DEP_2) | instskip(NEXT) | instid1(VALU_DEP_2)
	v_add_f32_e32 v1, v1, v5
	v_dual_mul_f32 v5, v24, v16 :: v_dual_add_f32 v2, v2, v138
	s_delay_alu instid0(VALU_DEP_2) | instskip(NEXT) | instid1(VALU_DEP_2)
	v_add_f32_e32 v1, v1, v4
	v_fma_f32 v4, v23, v15, -v5
	s_delay_alu instid0(VALU_DEP_3) | instskip(NEXT) | instid1(VALU_DEP_1)
	v_add_f32_e32 v2, v2, v139
	v_dual_add_f32 v1, v1, v3 :: v_dual_add_f32 v2, v2, v142
	s_delay_alu instid0(VALU_DEP_1) | instskip(NEXT) | instid1(VALU_DEP_1)
	v_dual_add_f32 v1, v1, v4 :: v_dual_add_f32 v2, v2, v134
	v_dual_sub_f32 v1, v140, v1 :: v_dual_sub_f32 v2, v141, v2
	scratch_store_b64 off, v[1:2], off offset:56
	v_cmpx_lt_u32_e32 6, v0
	s_cbranch_execz .LBB51_313
; %bb.312:
	scratch_load_b64 v[1:2], off, off offset:48
	v_mov_b32_e32 v3, 0
	s_delay_alu instid0(VALU_DEP_1)
	v_mov_b32_e32 v4, v3
	scratch_store_b64 off, v[3:4], off offset:48
	s_wait_loadcnt 0x0
	ds_store_b64 v27, v[1:2]
.LBB51_313:
	s_wait_alu 0xfffe
	s_or_b32 exec_lo, exec_lo, s0
	s_wait_storecnt_dscnt 0x0
	s_barrier_signal -1
	s_barrier_wait -1
	global_inv scope:SCOPE_SE
	s_clause 0x4
	scratch_load_b128 v[5:8], off, off offset:56
	scratch_load_b128 v[1:4], off, off offset:72
	;; [unrolled: 1-line block ×5, first 2 shown]
	v_mov_b32_e32 v21, 0
	ds_load_2addr_b64 v[22:25], v21 offset0:59 offset1:60
	ds_load_2addr_b64 v[132:135], v21 offset0:61 offset1:62
	;; [unrolled: 1-line block ×3, first 2 shown]
	scratch_load_b64 v[140:141], off, off offset:48
	s_mov_b32 s0, exec_lo
	s_wait_loadcnt_dscnt 0x502
	v_dual_mul_f32 v142, v22, v6 :: v_dual_mul_f32 v143, v24, v8
	v_mul_f32_e32 v26, v23, v6
	v_mul_f32_e32 v6, v25, v8
	s_wait_loadcnt_dscnt 0x300
	v_mul_f32_e32 v144, v138, v12
	v_dual_fmac_f32 v142, v23, v5 :: v_dual_fmac_f32 v143, v25, v7
	v_mul_f32_e32 v25, v134, v4
	v_fma_f32 v22, v22, v5, -v26
	v_mul_f32_e32 v26, v136, v10
	v_mul_f32_e32 v4, v135, v4
	s_delay_alu instid0(VALU_DEP_4)
	v_dual_mul_f32 v10, v137, v10 :: v_dual_fmac_f32 v25, v135, v3
	v_fma_f32 v23, v24, v7, -v6
	ds_load_2addr_b64 v[5:8], v21 offset0:65 offset1:66
	v_mul_f32_e32 v24, v132, v2
	v_mul_f32_e32 v12, v139, v12
	;; [unrolled: 1-line block ×3, first 2 shown]
	v_fmac_f32_e32 v26, v137, v9
	v_fmac_f32_e32 v144, v139, v11
	;; [unrolled: 1-line block ×3, first 2 shown]
	v_fma_f32 v133, v134, v3, -v4
	v_fma_f32 v134, v136, v9, -v10
	;; [unrolled: 1-line block ×3, first 2 shown]
	ds_load_2addr_b64 v[9:12], v21 offset0:67 offset1:68
	s_wait_loadcnt_dscnt 0x201
	v_dual_mul_f32 v137, v7, v16 :: v_dual_mul_f32 v136, v5, v14
	v_mul_f32_e32 v14, v6, v14
	v_mul_f32_e32 v16, v8, v16
	s_delay_alu instid0(VALU_DEP_3)
	v_fmac_f32_e32 v137, v8, v15
	v_fma_f32 v132, v132, v1, -v2
	scratch_load_b128 v[1:4], off, off offset:136
	v_fmac_f32_e32 v136, v6, v13
	v_fma_f32 v13, v5, v13, -v14
	v_fma_f32 v14, v7, v15, -v16
	s_wait_loadcnt_dscnt 0x200
	v_mul_f32_e32 v15, v9, v18
	v_mul_f32_e32 v16, v10, v18
	;; [unrolled: 1-line block ×4, first 2 shown]
	ds_load_2addr_b64 v[5:8], v21 offset0:69 offset1:70
	v_fmac_f32_e32 v15, v10, v17
	v_fma_f32 v16, v9, v17, -v16
	v_fmac_f32_e32 v18, v12, v19
	v_fma_f32 v17, v11, v19, -v20
	scratch_load_b128 v[9:12], off, off offset:152
	s_wait_loadcnt_dscnt 0x100
	v_mul_f32_e32 v19, v5, v2
	v_mul_f32_e32 v2, v6, v2
	;; [unrolled: 1-line block ×3, first 2 shown]
	s_delay_alu instid0(VALU_DEP_3) | instskip(NEXT) | instid1(VALU_DEP_3)
	v_dual_mul_f32 v4, v8, v4 :: v_dual_fmac_f32 v19, v6, v1
	v_fma_f32 v138, v5, v1, -v2
	s_delay_alu instid0(VALU_DEP_3) | instskip(NEXT) | instid1(VALU_DEP_3)
	v_fmac_f32_e32 v20, v8, v3
	v_fma_f32 v139, v7, v3, -v4
	ds_load_2addr_b64 v[1:4], v21 offset0:71 offset1:72
	ds_load_2addr_b64 v[5:8], v21 offset0:73 offset1:74
	s_wait_loadcnt_dscnt 0x1
	v_mul_f32_e32 v145, v1, v10
	v_mul_f32_e32 v10, v2, v10
	s_delay_alu instid0(VALU_DEP_2) | instskip(NEXT) | instid1(VALU_DEP_2)
	v_dual_mul_f32 v146, v3, v12 :: v_dual_fmac_f32 v145, v2, v9
	v_fma_f32 v147, v1, v9, -v10
	v_mul_f32_e32 v1, v4, v12
	s_delay_alu instid0(VALU_DEP_3) | instskip(NEXT) | instid1(VALU_DEP_2)
	v_fmac_f32_e32 v146, v4, v11
	v_fma_f32 v148, v3, v11, -v1
	s_clause 0x1
	scratch_load_b128 v[1:4], off, off offset:168
	scratch_load_b128 v[9:12], off, off offset:184
	s_wait_loadcnt_dscnt 0x100
	v_mul_f32_e32 v149, v5, v2
	v_dual_mul_f32 v2, v6, v2 :: v_dual_mul_f32 v151, v7, v4
	s_delay_alu instid0(VALU_DEP_2) | instskip(NEXT) | instid1(VALU_DEP_2)
	v_fmac_f32_e32 v149, v6, v1
	v_fma_f32 v150, v5, v1, -v2
	v_mul_f32_e32 v1, v8, v4
	s_delay_alu instid0(VALU_DEP_4) | instskip(NEXT) | instid1(VALU_DEP_2)
	v_fmac_f32_e32 v151, v8, v3
	v_fma_f32 v152, v7, v3, -v1
	ds_load_2addr_b64 v[1:4], v21 offset0:75 offset1:76
	ds_load_2addr_b64 v[5:8], v21 offset0:77 offset1:78
	s_wait_loadcnt_dscnt 0x1
	v_mul_f32_e32 v153, v1, v10
	v_mul_f32_e32 v155, v3, v12
	s_delay_alu instid0(VALU_DEP_2) | instskip(NEXT) | instid1(VALU_DEP_2)
	v_fmac_f32_e32 v153, v2, v9
	v_dual_mul_f32 v2, v2, v10 :: v_dual_fmac_f32 v155, v4, v11
	s_delay_alu instid0(VALU_DEP_1) | instskip(SKIP_1) | instid1(VALU_DEP_1)
	v_fma_f32 v154, v1, v9, -v2
	v_mul_f32_e32 v1, v4, v12
	v_fma_f32 v156, v3, v11, -v1
	s_clause 0x1
	scratch_load_b128 v[1:4], off, off offset:200
	scratch_load_b128 v[9:12], off, off offset:216
	s_wait_loadcnt_dscnt 0x100
	v_mul_f32_e32 v157, v5, v2
	v_dual_mul_f32 v2, v6, v2 :: v_dual_mul_f32 v159, v7, v4
	s_delay_alu instid0(VALU_DEP_2) | instskip(NEXT) | instid1(VALU_DEP_2)
	v_fmac_f32_e32 v157, v6, v1
	v_fma_f32 v158, v5, v1, -v2
	v_mul_f32_e32 v1, v8, v4
	s_delay_alu instid0(VALU_DEP_4) | instskip(NEXT) | instid1(VALU_DEP_2)
	v_fmac_f32_e32 v159, v8, v3
	v_fma_f32 v160, v7, v3, -v1
	ds_load_2addr_b64 v[1:4], v21 offset0:79 offset1:80
	ds_load_2addr_b64 v[5:8], v21 offset0:81 offset1:82
	s_wait_loadcnt_dscnt 0x1
	v_mul_f32_e32 v161, v1, v10
	v_mul_f32_e32 v163, v3, v12
	s_delay_alu instid0(VALU_DEP_2) | instskip(NEXT) | instid1(VALU_DEP_2)
	v_fmac_f32_e32 v161, v2, v9
	v_dual_mul_f32 v2, v2, v10 :: v_dual_fmac_f32 v163, v4, v11
	s_delay_alu instid0(VALU_DEP_1) | instskip(SKIP_1) | instid1(VALU_DEP_1)
	v_fma_f32 v162, v1, v9, -v2
	v_mul_f32_e32 v1, v4, v12
	v_fma_f32 v164, v3, v11, -v1
	s_clause 0x1
	scratch_load_b128 v[1:4], off, off offset:232
	scratch_load_b128 v[9:12], off, off offset:248
	s_wait_loadcnt_dscnt 0x100
	v_mul_f32_e32 v165, v5, v2
	v_dual_mul_f32 v2, v6, v2 :: v_dual_mul_f32 v167, v7, v4
	s_delay_alu instid0(VALU_DEP_2) | instskip(NEXT) | instid1(VALU_DEP_2)
	v_fmac_f32_e32 v165, v6, v1
	v_fma_f32 v166, v5, v1, -v2
	v_mul_f32_e32 v1, v8, v4
	s_delay_alu instid0(VALU_DEP_4) | instskip(NEXT) | instid1(VALU_DEP_2)
	v_fmac_f32_e32 v167, v8, v3
	v_fma_f32 v168, v7, v3, -v1
	ds_load_2addr_b64 v[1:4], v21 offset0:83 offset1:84
	ds_load_2addr_b64 v[5:8], v21 offset0:85 offset1:86
	s_wait_loadcnt_dscnt 0x1
	v_mul_f32_e32 v169, v1, v10
	v_mul_f32_e32 v171, v3, v12
	s_delay_alu instid0(VALU_DEP_2) | instskip(NEXT) | instid1(VALU_DEP_2)
	v_fmac_f32_e32 v169, v2, v9
	v_dual_mul_f32 v2, v2, v10 :: v_dual_fmac_f32 v171, v4, v11
	s_delay_alu instid0(VALU_DEP_1) | instskip(SKIP_1) | instid1(VALU_DEP_1)
	v_fma_f32 v170, v1, v9, -v2
	v_mul_f32_e32 v1, v4, v12
	v_fma_f32 v172, v3, v11, -v1
	s_clause 0x1
	scratch_load_b128 v[1:4], off, off offset:264
	scratch_load_b128 v[9:12], off, off offset:280
	s_wait_loadcnt_dscnt 0x100
	v_mul_f32_e32 v173, v5, v2
	v_dual_mul_f32 v2, v6, v2 :: v_dual_mul_f32 v175, v7, v4
	s_delay_alu instid0(VALU_DEP_2) | instskip(NEXT) | instid1(VALU_DEP_2)
	v_fmac_f32_e32 v173, v6, v1
	v_fma_f32 v174, v5, v1, -v2
	v_mul_f32_e32 v1, v8, v4
	s_delay_alu instid0(VALU_DEP_4) | instskip(NEXT) | instid1(VALU_DEP_2)
	v_fmac_f32_e32 v175, v8, v3
	v_fma_f32 v176, v7, v3, -v1
	ds_load_2addr_b64 v[1:4], v21 offset0:87 offset1:88
	ds_load_2addr_b64 v[5:8], v21 offset0:89 offset1:90
	s_wait_loadcnt_dscnt 0x1
	v_mul_f32_e32 v177, v1, v10
	v_mul_f32_e32 v179, v3, v12
	s_delay_alu instid0(VALU_DEP_2) | instskip(NEXT) | instid1(VALU_DEP_2)
	v_fmac_f32_e32 v177, v2, v9
	v_dual_mul_f32 v2, v2, v10 :: v_dual_fmac_f32 v179, v4, v11
	s_delay_alu instid0(VALU_DEP_1) | instskip(SKIP_1) | instid1(VALU_DEP_1)
	v_fma_f32 v178, v1, v9, -v2
	v_mul_f32_e32 v1, v4, v12
	v_fma_f32 v180, v3, v11, -v1
	s_clause 0x1
	scratch_load_b128 v[1:4], off, off offset:296
	scratch_load_b128 v[9:12], off, off offset:312
	s_wait_loadcnt_dscnt 0x100
	v_mul_f32_e32 v181, v5, v2
	v_dual_mul_f32 v2, v6, v2 :: v_dual_mul_f32 v183, v7, v4
	s_delay_alu instid0(VALU_DEP_2) | instskip(NEXT) | instid1(VALU_DEP_2)
	v_fmac_f32_e32 v181, v6, v1
	v_fma_f32 v182, v5, v1, -v2
	v_mul_f32_e32 v1, v8, v4
	s_delay_alu instid0(VALU_DEP_4) | instskip(NEXT) | instid1(VALU_DEP_2)
	v_fmac_f32_e32 v183, v8, v3
	v_fma_f32 v184, v7, v3, -v1
	ds_load_2addr_b64 v[1:4], v21 offset0:91 offset1:92
	ds_load_2addr_b64 v[5:8], v21 offset0:93 offset1:94
	s_wait_loadcnt_dscnt 0x1
	v_mul_f32_e32 v185, v1, v10
	v_mul_f32_e32 v187, v3, v12
	s_delay_alu instid0(VALU_DEP_2) | instskip(NEXT) | instid1(VALU_DEP_2)
	v_fmac_f32_e32 v185, v2, v9
	v_dual_mul_f32 v2, v2, v10 :: v_dual_fmac_f32 v187, v4, v11
	s_delay_alu instid0(VALU_DEP_1) | instskip(SKIP_1) | instid1(VALU_DEP_1)
	v_fma_f32 v186, v1, v9, -v2
	v_mul_f32_e32 v1, v4, v12
	v_fma_f32 v188, v3, v11, -v1
	s_clause 0x1
	scratch_load_b128 v[1:4], off, off offset:328
	scratch_load_b128 v[9:12], off, off offset:344
	s_wait_loadcnt_dscnt 0x100
	v_mul_f32_e32 v189, v5, v2
	v_mul_f32_e32 v2, v6, v2
	s_delay_alu instid0(VALU_DEP_1) | instskip(SKIP_1) | instid1(VALU_DEP_1)
	v_fma_f32 v190, v5, v1, -v2
	v_add_f32_e32 v2, 0, v142
	v_add_f32_e32 v2, v2, v143
	s_delay_alu instid0(VALU_DEP_1) | instskip(NEXT) | instid1(VALU_DEP_1)
	v_add_f32_e32 v2, v2, v24
	v_add_f32_e32 v2, v2, v25
	s_delay_alu instid0(VALU_DEP_1) | instskip(NEXT) | instid1(VALU_DEP_1)
	;; [unrolled: 3-line block ×8, first 2 shown]
	v_add_f32_e32 v2, v2, v153
	v_add_f32_e32 v2, v2, v155
	s_delay_alu instid0(VALU_DEP_1) | instskip(SKIP_2) | instid1(VALU_DEP_3)
	v_add_f32_e32 v2, v2, v157
	v_fmac_f32_e32 v189, v6, v1
	v_mul_f32_e32 v1, v8, v4
	v_dual_mul_f32 v191, v7, v4 :: v_dual_add_f32 v2, v2, v159
	s_delay_alu instid0(VALU_DEP_2) | instskip(SKIP_1) | instid1(VALU_DEP_3)
	v_fma_f32 v192, v7, v3, -v1
	v_add_f32_e32 v1, 0, v22
	v_add_f32_e32 v5, v2, v161
	s_delay_alu instid0(VALU_DEP_2) | instskip(NEXT) | instid1(VALU_DEP_2)
	v_add_f32_e32 v1, v1, v23
	v_add_f32_e32 v5, v5, v163
	s_delay_alu instid0(VALU_DEP_2) | instskip(NEXT) | instid1(VALU_DEP_1)
	v_add_f32_e32 v1, v1, v132
	v_add_f32_e32 v1, v1, v133
	scratch_load_b64 v[132:133], off, off offset:408
	v_add_f32_e32 v1, v1, v134
	s_delay_alu instid0(VALU_DEP_1) | instskip(NEXT) | instid1(VALU_DEP_1)
	v_add_f32_e32 v1, v1, v135
	v_add_f32_e32 v1, v1, v13
	s_delay_alu instid0(VALU_DEP_1) | instskip(NEXT) | instid1(VALU_DEP_1)
	v_add_f32_e32 v1, v1, v14
	;; [unrolled: 3-line block ×8, first 2 shown]
	v_add_f32_e32 v1, v1, v162
	s_delay_alu instid0(VALU_DEP_1) | instskip(SKIP_2) | instid1(VALU_DEP_1)
	v_dual_add_f32 v6, v1, v164 :: v_dual_fmac_f32 v191, v8, v3
	ds_load_2addr_b64 v[1:4], v21 offset0:95 offset1:96
	v_dual_add_f32 v5, v5, v165 :: v_dual_add_f32 v6, v6, v166
	v_dual_add_f32 v14, v5, v167 :: v_dual_add_f32 v13, v6, v168
	ds_load_2addr_b64 v[5:8], v21 offset0:97 offset1:98
	v_add_f32_e32 v14, v14, v169
	s_delay_alu instid0(VALU_DEP_1)
	v_add_f32_e32 v14, v14, v171
	s_wait_loadcnt_dscnt 0x101
	v_mul_f32_e32 v26, v1, v10
	v_mul_f32_e32 v10, v2, v10
	v_mul_f32_e32 v136, v3, v12
	v_dual_mul_f32 v12, v4, v12 :: v_dual_add_f32 v17, v14, v173
	s_delay_alu instid0(VALU_DEP_4) | instskip(NEXT) | instid1(VALU_DEP_4)
	v_fmac_f32_e32 v26, v2, v9
	v_fma_f32 v137, v1, v9, -v10
	s_delay_alu instid0(VALU_DEP_4) | instskip(NEXT) | instid1(VALU_DEP_4)
	v_fmac_f32_e32 v136, v4, v11
	v_fma_f32 v138, v3, v11, -v12
	s_clause 0x1
	scratch_load_b128 v[1:4], off, off offset:360
	scratch_load_b128 v[9:12], off, off offset:376
	v_add_f32_e32 v13, v13, v170
	v_add_f32_e32 v17, v17, v175
	s_delay_alu instid0(VALU_DEP_2) | instskip(NEXT) | instid1(VALU_DEP_2)
	v_add_f32_e32 v13, v13, v172
	v_add_f32_e32 v17, v17, v177
	s_delay_alu instid0(VALU_DEP_2) | instskip(NEXT) | instid1(VALU_DEP_2)
	v_add_f32_e32 v13, v13, v174
	v_add_f32_e32 v17, v17, v179
	s_delay_alu instid0(VALU_DEP_2) | instskip(SKIP_2) | instid1(VALU_DEP_1)
	v_add_f32_e32 v18, v13, v176
	scratch_load_b128 v[13:16], off, off offset:392
	v_dual_add_f32 v17, v17, v181 :: v_dual_add_f32 v18, v18, v178
	v_add_f32_e32 v22, v17, v183
	s_delay_alu instid0(VALU_DEP_2) | instskip(NEXT) | instid1(VALU_DEP_2)
	v_add_f32_e32 v18, v18, v180
	v_add_f32_e32 v135, v22, v185
	ds_load_2addr_b64 v[22:25], v21 offset0:101 offset1:102
	v_add_f32_e32 v18, v18, v182
	v_add_f32_e32 v142, v135, v187
	s_delay_alu instid0(VALU_DEP_2) | instskip(NEXT) | instid1(VALU_DEP_2)
	v_add_f32_e32 v18, v18, v184
	v_add_f32_e32 v142, v142, v189
	s_delay_alu instid0(VALU_DEP_2)
	v_add_f32_e32 v134, v18, v186
	ds_load_2addr_b64 v[17:20], v21 offset0:99 offset1:100
	v_add_f32_e32 v142, v142, v191
	v_add_f32_e32 v139, v134, v188
	ds_load_b64 v[134:135], v21 offset:824
	v_add_f32_e32 v26, v142, v26
	s_delay_alu instid0(VALU_DEP_1) | instskip(NEXT) | instid1(VALU_DEP_1)
	v_dual_add_f32 v139, v139, v190 :: v_dual_add_f32 v26, v26, v136
	v_add_f32_e32 v139, v139, v192
	s_delay_alu instid0(VALU_DEP_1) | instskip(SKIP_1) | instid1(VALU_DEP_1)
	v_add_f32_e32 v137, v139, v137
	s_wait_loadcnt_dscnt 0x300
	v_dual_add_f32 v137, v137, v138 :: v_dual_mul_f32 v136, v134, v133
	s_wait_loadcnt 0x2
	s_delay_alu instid0(VALU_DEP_1)
	v_dual_fmac_f32 v136, v135, v132 :: v_dual_mul_f32 v143, v5, v2
	v_mul_f32_e32 v2, v6, v2
	v_mul_f32_e32 v144, v7, v4
	s_wait_loadcnt 0x1
	v_dual_mul_f32 v4, v8, v4 :: v_dual_mul_f32 v139, v17, v10
	v_fmac_f32_e32 v143, v6, v1
	v_fma_f32 v2, v5, v1, -v2
	v_fmac_f32_e32 v144, v8, v3
	s_delay_alu instid0(VALU_DEP_4)
	v_fma_f32 v1, v7, v3, -v4
	v_mul_f32_e32 v3, v18, v10
	v_add_f32_e32 v4, v26, v143
	v_add_f32_e32 v2, v137, v2
	v_mul_f32_e32 v142, v19, v12
	v_mul_f32_e32 v5, v20, v12
	v_fmac_f32_e32 v139, v18, v9
	v_fma_f32 v3, v17, v9, -v3
	v_dual_add_f32 v1, v2, v1 :: v_dual_add_f32 v2, v4, v144
	s_wait_loadcnt 0x0
	v_mul_f32_e32 v145, v22, v14
	v_mul_f32_e32 v4, v23, v14
	v_fmac_f32_e32 v142, v20, v11
	v_fma_f32 v5, v19, v11, -v5
	v_add_f32_e32 v1, v1, v3
	v_add_f32_e32 v2, v2, v139
	v_mul_f32_e32 v138, v24, v16
	v_mul_f32_e32 v3, v25, v16
	v_fmac_f32_e32 v145, v23, v13
	v_fma_f32 v4, v22, v13, -v4
	v_dual_add_f32 v1, v1, v5 :: v_dual_add_f32 v2, v2, v142
	v_dual_mul_f32 v5, v135, v133 :: v_dual_fmac_f32 v138, v25, v15
	v_fma_f32 v3, v24, v15, -v3
	s_delay_alu instid0(VALU_DEP_3) | instskip(NEXT) | instid1(VALU_DEP_3)
	v_dual_add_f32 v1, v1, v4 :: v_dual_add_f32 v2, v2, v145
	v_fma_f32 v4, v134, v132, -v5
	s_delay_alu instid0(VALU_DEP_2) | instskip(NEXT) | instid1(VALU_DEP_1)
	v_dual_add_f32 v1, v1, v3 :: v_dual_add_f32 v2, v2, v138
	v_add_f32_e32 v1, v1, v4
	s_delay_alu instid0(VALU_DEP_1) | instskip(NEXT) | instid1(VALU_DEP_1)
	v_dual_add_f32 v2, v2, v136 :: v_dual_sub_f32 v1, v140, v1
	v_sub_f32_e32 v2, v141, v2
	scratch_store_b64 off, v[1:2], off offset:48
	v_cmpx_lt_u32_e32 5, v0
	s_cbranch_execz .LBB51_315
; %bb.314:
	scratch_load_b64 v[1:2], off, off offset:40
	v_mov_b32_e32 v22, v21
	scratch_store_b64 off, v[21:22], off offset:40
	s_wait_loadcnt 0x0
	ds_store_b64 v27, v[1:2]
.LBB51_315:
	s_wait_alu 0xfffe
	s_or_b32 exec_lo, exec_lo, s0
	s_wait_storecnt_dscnt 0x0
	s_barrier_signal -1
	s_barrier_wait -1
	global_inv scope:SCOPE_SE
	s_clause 0x4
	scratch_load_b128 v[5:8], off, off offset:48
	scratch_load_b128 v[1:4], off, off offset:64
	;; [unrolled: 1-line block ×5, first 2 shown]
	ds_load_b128 v[22:25], v21 offset:464
	ds_load_b128 v[132:135], v21 offset:480
	;; [unrolled: 1-line block ×3, first 2 shown]
	scratch_load_b64 v[140:141], off, off offset:40
	s_mov_b32 s0, exec_lo
	s_wait_loadcnt_dscnt 0x502
	v_dual_mul_f32 v26, v23, v6 :: v_dual_mul_f32 v143, v24, v8
	v_mul_f32_e32 v142, v22, v6
	v_mul_f32_e32 v6, v25, v8
	s_wait_loadcnt_dscnt 0x300
	v_mul_f32_e32 v144, v138, v12
	v_fma_f32 v22, v22, v5, -v26
	v_dual_fmac_f32 v143, v25, v7 :: v_dual_fmac_f32 v142, v23, v5
	v_mul_f32_e32 v25, v134, v4
	v_mul_f32_e32 v4, v135, v4
	;; [unrolled: 1-line block ×5, first 2 shown]
	v_fmac_f32_e32 v25, v135, v3
	v_fma_f32 v23, v24, v7, -v6
	ds_load_b128 v[5:8], v21 offset:512
	v_mul_f32_e32 v24, v132, v2
	v_mul_f32_e32 v2, v133, v2
	v_fmac_f32_e32 v26, v137, v9
	v_fmac_f32_e32 v144, v139, v11
	v_fma_f32 v135, v138, v11, -v12
	v_fmac_f32_e32 v24, v133, v1
	v_fma_f32 v133, v134, v3, -v4
	v_fma_f32 v134, v136, v9, -v10
	ds_load_b128 v[9:12], v21 offset:528
	s_wait_loadcnt_dscnt 0x201
	v_dual_mul_f32 v137, v7, v16 :: v_dual_mul_f32 v136, v5, v14
	v_mul_f32_e32 v14, v6, v14
	v_mul_f32_e32 v16, v8, v16
	s_delay_alu instid0(VALU_DEP_3)
	v_fmac_f32_e32 v137, v8, v15
	v_fma_f32 v132, v132, v1, -v2
	scratch_load_b128 v[1:4], off, off offset:128
	v_fmac_f32_e32 v136, v6, v13
	v_fma_f32 v13, v5, v13, -v14
	v_fma_f32 v14, v7, v15, -v16
	s_wait_loadcnt_dscnt 0x200
	v_mul_f32_e32 v15, v9, v18
	v_mul_f32_e32 v16, v10, v18
	;; [unrolled: 1-line block ×4, first 2 shown]
	ds_load_b128 v[5:8], v21 offset:544
	v_fmac_f32_e32 v15, v10, v17
	v_fma_f32 v16, v9, v17, -v16
	v_fmac_f32_e32 v18, v12, v19
	v_fma_f32 v17, v11, v19, -v20
	scratch_load_b128 v[9:12], off, off offset:144
	s_wait_loadcnt_dscnt 0x100
	v_mul_f32_e32 v19, v5, v2
	v_mul_f32_e32 v2, v6, v2
	;; [unrolled: 1-line block ×3, first 2 shown]
	s_delay_alu instid0(VALU_DEP_3) | instskip(NEXT) | instid1(VALU_DEP_3)
	v_dual_mul_f32 v4, v8, v4 :: v_dual_fmac_f32 v19, v6, v1
	v_fma_f32 v138, v5, v1, -v2
	s_delay_alu instid0(VALU_DEP_3) | instskip(NEXT) | instid1(VALU_DEP_3)
	v_fmac_f32_e32 v20, v8, v3
	v_fma_f32 v139, v7, v3, -v4
	ds_load_b128 v[1:4], v21 offset:560
	ds_load_b128 v[5:8], v21 offset:576
	s_wait_loadcnt_dscnt 0x1
	v_mul_f32_e32 v145, v1, v10
	v_mul_f32_e32 v10, v2, v10
	s_delay_alu instid0(VALU_DEP_2) | instskip(NEXT) | instid1(VALU_DEP_2)
	v_dual_mul_f32 v146, v3, v12 :: v_dual_fmac_f32 v145, v2, v9
	v_fma_f32 v147, v1, v9, -v10
	v_mul_f32_e32 v1, v4, v12
	s_delay_alu instid0(VALU_DEP_3) | instskip(NEXT) | instid1(VALU_DEP_2)
	v_fmac_f32_e32 v146, v4, v11
	v_fma_f32 v148, v3, v11, -v1
	s_clause 0x1
	scratch_load_b128 v[1:4], off, off offset:160
	scratch_load_b128 v[9:12], off, off offset:176
	s_wait_loadcnt_dscnt 0x100
	v_mul_f32_e32 v149, v5, v2
	v_dual_mul_f32 v2, v6, v2 :: v_dual_mul_f32 v151, v7, v4
	s_delay_alu instid0(VALU_DEP_2) | instskip(NEXT) | instid1(VALU_DEP_2)
	v_fmac_f32_e32 v149, v6, v1
	v_fma_f32 v150, v5, v1, -v2
	v_mul_f32_e32 v1, v8, v4
	s_delay_alu instid0(VALU_DEP_4) | instskip(NEXT) | instid1(VALU_DEP_2)
	v_fmac_f32_e32 v151, v8, v3
	v_fma_f32 v152, v7, v3, -v1
	ds_load_b128 v[1:4], v21 offset:592
	ds_load_b128 v[5:8], v21 offset:608
	s_wait_loadcnt_dscnt 0x1
	v_mul_f32_e32 v153, v1, v10
	v_mul_f32_e32 v155, v3, v12
	s_delay_alu instid0(VALU_DEP_2) | instskip(NEXT) | instid1(VALU_DEP_2)
	v_fmac_f32_e32 v153, v2, v9
	v_dual_mul_f32 v2, v2, v10 :: v_dual_fmac_f32 v155, v4, v11
	s_delay_alu instid0(VALU_DEP_1) | instskip(SKIP_1) | instid1(VALU_DEP_1)
	v_fma_f32 v154, v1, v9, -v2
	v_mul_f32_e32 v1, v4, v12
	v_fma_f32 v156, v3, v11, -v1
	s_clause 0x1
	scratch_load_b128 v[1:4], off, off offset:192
	scratch_load_b128 v[9:12], off, off offset:208
	s_wait_loadcnt_dscnt 0x100
	v_mul_f32_e32 v157, v5, v2
	v_dual_mul_f32 v2, v6, v2 :: v_dual_mul_f32 v159, v7, v4
	s_delay_alu instid0(VALU_DEP_2) | instskip(NEXT) | instid1(VALU_DEP_2)
	v_fmac_f32_e32 v157, v6, v1
	v_fma_f32 v158, v5, v1, -v2
	v_mul_f32_e32 v1, v8, v4
	s_delay_alu instid0(VALU_DEP_4) | instskip(NEXT) | instid1(VALU_DEP_2)
	v_fmac_f32_e32 v159, v8, v3
	v_fma_f32 v160, v7, v3, -v1
	ds_load_b128 v[1:4], v21 offset:624
	ds_load_b128 v[5:8], v21 offset:640
	s_wait_loadcnt_dscnt 0x1
	v_mul_f32_e32 v161, v1, v10
	v_mul_f32_e32 v163, v3, v12
	s_delay_alu instid0(VALU_DEP_2) | instskip(NEXT) | instid1(VALU_DEP_2)
	v_fmac_f32_e32 v161, v2, v9
	v_dual_mul_f32 v2, v2, v10 :: v_dual_fmac_f32 v163, v4, v11
	s_delay_alu instid0(VALU_DEP_1) | instskip(SKIP_1) | instid1(VALU_DEP_1)
	v_fma_f32 v162, v1, v9, -v2
	v_mul_f32_e32 v1, v4, v12
	;; [unrolled: 25-line block ×5, first 2 shown]
	v_fma_f32 v188, v3, v11, -v1
	s_clause 0x1
	scratch_load_b128 v[1:4], off, off offset:320
	scratch_load_b128 v[9:12], off, off offset:336
	s_wait_loadcnt_dscnt 0x100
	v_mul_f32_e32 v189, v5, v2
	v_mul_f32_e32 v2, v6, v2
	s_delay_alu instid0(VALU_DEP_1) | instskip(SKIP_1) | instid1(VALU_DEP_1)
	v_fma_f32 v190, v5, v1, -v2
	v_add_f32_e32 v2, 0, v142
	v_add_f32_e32 v2, v2, v143
	s_delay_alu instid0(VALU_DEP_1) | instskip(NEXT) | instid1(VALU_DEP_1)
	v_add_f32_e32 v2, v2, v24
	v_add_f32_e32 v2, v2, v25
	s_delay_alu instid0(VALU_DEP_1) | instskip(NEXT) | instid1(VALU_DEP_1)
	;; [unrolled: 3-line block ×8, first 2 shown]
	v_add_f32_e32 v2, v2, v153
	v_add_f32_e32 v2, v2, v155
	s_delay_alu instid0(VALU_DEP_1) | instskip(SKIP_2) | instid1(VALU_DEP_3)
	v_add_f32_e32 v2, v2, v157
	v_fmac_f32_e32 v189, v6, v1
	v_mul_f32_e32 v1, v8, v4
	v_dual_mul_f32 v191, v7, v4 :: v_dual_add_f32 v2, v2, v159
	s_delay_alu instid0(VALU_DEP_2) | instskip(SKIP_1) | instid1(VALU_DEP_3)
	v_fma_f32 v192, v7, v3, -v1
	v_add_f32_e32 v1, 0, v22
	v_dual_fmac_f32 v191, v8, v3 :: v_dual_add_f32 v2, v2, v161
	s_delay_alu instid0(VALU_DEP_2) | instskip(NEXT) | instid1(VALU_DEP_2)
	v_add_f32_e32 v1, v1, v23
	v_add_f32_e32 v5, v2, v163
	s_delay_alu instid0(VALU_DEP_2) | instskip(NEXT) | instid1(VALU_DEP_1)
	v_add_f32_e32 v1, v1, v132
	v_add_f32_e32 v1, v1, v133
	s_delay_alu instid0(VALU_DEP_1) | instskip(NEXT) | instid1(VALU_DEP_1)
	v_add_f32_e32 v1, v1, v134
	v_add_f32_e32 v1, v1, v135
	s_delay_alu instid0(VALU_DEP_1) | instskip(SKIP_1) | instid1(VALU_DEP_2)
	v_add_f32_e32 v1, v1, v13
	v_add_f32_e32 v13, v5, v165
	;; [unrolled: 1-line block ×3, first 2 shown]
	s_delay_alu instid0(VALU_DEP_2) | instskip(NEXT) | instid1(VALU_DEP_2)
	v_add_f32_e32 v13, v13, v167
	v_add_f32_e32 v1, v1, v16
	s_delay_alu instid0(VALU_DEP_1) | instskip(NEXT) | instid1(VALU_DEP_1)
	v_add_f32_e32 v1, v1, v17
	v_add_f32_e32 v1, v1, v138
	s_delay_alu instid0(VALU_DEP_1) | instskip(NEXT) | instid1(VALU_DEP_1)
	;; [unrolled: 3-line block ×7, first 2 shown]
	v_add_f32_e32 v1, v1, v164
	v_add_f32_e32 v6, v1, v166
	ds_load_b128 v[1:4], v21 offset:752
	v_dual_add_f32 v13, v13, v169 :: v_dual_add_f32 v14, v6, v168
	scratch_load_b128 v[5:8], off, off offset:352
	v_add_f32_e32 v18, v13, v171
	v_add_f32_e32 v14, v14, v170
	s_delay_alu instid0(VALU_DEP_2) | instskip(NEXT) | instid1(VALU_DEP_2)
	v_add_f32_e32 v18, v18, v173
	v_add_f32_e32 v17, v14, v172
	ds_load_b128 v[13:16], v21 offset:768
	v_dual_add_f32 v18, v18, v175 :: v_dual_add_f32 v17, v17, v174
	s_wait_loadcnt_dscnt 0x101
	v_mul_f32_e32 v25, v1, v10
	v_mul_f32_e32 v10, v2, v10
	;; [unrolled: 1-line block ×4, first 2 shown]
	v_add_f32_e32 v17, v17, v176
	v_fmac_f32_e32 v25, v2, v9
	v_fma_f32 v132, v1, v9, -v10
	v_fmac_f32_e32 v26, v4, v11
	v_fma_f32 v133, v3, v11, -v12
	s_clause 0x1
	scratch_load_b128 v[1:4], off, off offset:368
	scratch_load_b128 v[9:12], off, off offset:384
	v_dual_add_f32 v17, v17, v178 :: v_dual_add_f32 v22, v18, v177
	s_delay_alu instid0(VALU_DEP_1) | instskip(SKIP_2) | instid1(VALU_DEP_1)
	v_add_f32_e32 v23, v17, v180
	scratch_load_b128 v[17:20], off, off offset:400
	v_dual_add_f32 v22, v22, v179 :: v_dual_add_f32 v23, v23, v182
	v_dual_add_f32 v22, v22, v181 :: v_dual_add_f32 v23, v23, v184
	s_wait_loadcnt_dscnt 0x300
	v_mul_f32_e32 v134, v13, v6
	v_dual_mul_f32 v6, v14, v6 :: v_dual_mul_f32 v135, v15, v8
	v_mul_f32_e32 v8, v16, v8
	s_delay_alu instid0(VALU_DEP_3) | instskip(NEXT) | instid1(VALU_DEP_3)
	v_fmac_f32_e32 v134, v14, v5
	v_fma_f32 v136, v13, v5, -v6
	v_dual_add_f32 v13, v22, v183 :: v_dual_add_f32 v22, v23, v186
	v_fmac_f32_e32 v135, v16, v7
	v_fma_f32 v137, v15, v7, -v8
	ds_load_b128 v[5:8], v21 offset:784
	v_dual_add_f32 v23, v13, v185 :: v_dual_add_f32 v138, v22, v188
	ds_load_b128 v[13:16], v21 offset:800
	v_dual_add_f32 v139, v23, v187 :: v_dual_add_f32 v138, v138, v190
	;; [unrolled: 2-line block ×3, first 2 shown]
	s_delay_alu instid0(VALU_DEP_1) | instskip(SKIP_1) | instid1(VALU_DEP_1)
	v_dual_add_f32 v139, v139, v191 :: v_dual_add_f32 v132, v138, v132
	s_wait_loadcnt_dscnt 0x202
	v_dual_mul_f32 v142, v5, v2 :: v_dual_add_f32 v25, v139, v25
	s_delay_alu instid0(VALU_DEP_2) | instskip(SKIP_2) | instid1(VALU_DEP_4)
	v_add_f32_e32 v132, v132, v133
	v_mul_f32_e32 v2, v6, v2
	v_mul_f32_e32 v138, v7, v4
	v_dual_mul_f32 v4, v8, v4 :: v_dual_add_f32 v25, v25, v26
	s_delay_alu instid0(VALU_DEP_4) | instskip(NEXT) | instid1(VALU_DEP_4)
	v_add_f32_e32 v132, v132, v136
	v_fma_f32 v2, v5, v1, -v2
	s_wait_loadcnt_dscnt 0x101
	v_dual_fmac_f32 v142, v6, v1 :: v_dual_mul_f32 v139, v13, v10
	v_add_f32_e32 v25, v25, v134
	v_dual_add_f32 v1, v132, v137 :: v_dual_mul_f32 v6, v14, v10
	v_fmac_f32_e32 v138, v8, v3
	v_fma_f32 v3, v7, v3, -v4
	s_delay_alu instid0(VALU_DEP_4) | instskip(NEXT) | instid1(VALU_DEP_4)
	v_add_f32_e32 v5, v25, v135
	v_add_f32_e32 v1, v1, v2
	v_mul_f32_e32 v143, v15, v12
	v_dual_mul_f32 v4, v16, v12 :: v_dual_fmac_f32 v139, v14, v9
	s_delay_alu instid0(VALU_DEP_4)
	v_add_f32_e32 v2, v5, v142
	v_fma_f32 v5, v13, v9, -v6
	v_add_f32_e32 v1, v1, v3
	s_wait_loadcnt_dscnt 0x0
	v_mul_f32_e32 v26, v21, v18
	v_mul_f32_e32 v3, v22, v18
	v_dual_add_f32 v2, v2, v138 :: v_dual_fmac_f32 v143, v16, v11
	v_fma_f32 v4, v15, v11, -v4
	v_add_f32_e32 v1, v1, v5
	s_delay_alu instid0(VALU_DEP_3) | instskip(SKIP_2) | instid1(VALU_DEP_3)
	v_dual_mul_f32 v133, v23, v20 :: v_dual_add_f32 v2, v2, v139
	v_dual_mul_f32 v5, v24, v20 :: v_dual_fmac_f32 v26, v22, v17
	v_fma_f32 v3, v21, v17, -v3
	v_dual_add_f32 v1, v1, v4 :: v_dual_add_f32 v2, v2, v143
	s_delay_alu instid0(VALU_DEP_4) | instskip(NEXT) | instid1(VALU_DEP_4)
	v_fmac_f32_e32 v133, v24, v19
	v_fma_f32 v4, v23, v19, -v5
	s_delay_alu instid0(VALU_DEP_3) | instskip(NEXT) | instid1(VALU_DEP_1)
	v_dual_add_f32 v1, v1, v3 :: v_dual_add_f32 v2, v2, v26
	v_dual_add_f32 v1, v1, v4 :: v_dual_add_f32 v2, v2, v133
	s_delay_alu instid0(VALU_DEP_1)
	v_dual_sub_f32 v1, v140, v1 :: v_dual_sub_f32 v2, v141, v2
	scratch_store_b64 off, v[1:2], off offset:40
	v_cmpx_lt_u32_e32 4, v0
	s_cbranch_execz .LBB51_317
; %bb.316:
	scratch_load_b64 v[1:2], off, off offset:32
	v_mov_b32_e32 v3, 0
	s_delay_alu instid0(VALU_DEP_1)
	v_mov_b32_e32 v4, v3
	scratch_store_b64 off, v[3:4], off offset:32
	s_wait_loadcnt 0x0
	ds_store_b64 v27, v[1:2]
.LBB51_317:
	s_wait_alu 0xfffe
	s_or_b32 exec_lo, exec_lo, s0
	s_wait_storecnt_dscnt 0x0
	s_barrier_signal -1
	s_barrier_wait -1
	global_inv scope:SCOPE_SE
	s_clause 0x4
	scratch_load_b128 v[5:8], off, off offset:40
	scratch_load_b128 v[1:4], off, off offset:56
	;; [unrolled: 1-line block ×5, first 2 shown]
	v_mov_b32_e32 v21, 0
	ds_load_2addr_b64 v[22:25], v21 offset0:57 offset1:58
	ds_load_2addr_b64 v[132:135], v21 offset0:59 offset1:60
	;; [unrolled: 1-line block ×3, first 2 shown]
	scratch_load_b64 v[140:141], off, off offset:32
	s_mov_b32 s0, exec_lo
	s_wait_loadcnt_dscnt 0x502
	v_dual_mul_f32 v142, v22, v6 :: v_dual_mul_f32 v143, v24, v8
	v_mul_f32_e32 v26, v23, v6
	v_mul_f32_e32 v6, v25, v8
	s_wait_loadcnt_dscnt 0x300
	v_mul_f32_e32 v144, v138, v12
	v_dual_fmac_f32 v142, v23, v5 :: v_dual_fmac_f32 v143, v25, v7
	v_mul_f32_e32 v25, v134, v4
	v_fma_f32 v22, v22, v5, -v26
	v_mul_f32_e32 v26, v136, v10
	v_mul_f32_e32 v4, v135, v4
	s_delay_alu instid0(VALU_DEP_4)
	v_dual_mul_f32 v10, v137, v10 :: v_dual_fmac_f32 v25, v135, v3
	v_fma_f32 v23, v24, v7, -v6
	ds_load_2addr_b64 v[5:8], v21 offset0:63 offset1:64
	v_mul_f32_e32 v24, v132, v2
	v_mul_f32_e32 v12, v139, v12
	;; [unrolled: 1-line block ×3, first 2 shown]
	v_fmac_f32_e32 v26, v137, v9
	v_fmac_f32_e32 v144, v139, v11
	;; [unrolled: 1-line block ×3, first 2 shown]
	v_fma_f32 v133, v134, v3, -v4
	v_fma_f32 v134, v136, v9, -v10
	;; [unrolled: 1-line block ×3, first 2 shown]
	ds_load_2addr_b64 v[9:12], v21 offset0:65 offset1:66
	s_wait_loadcnt_dscnt 0x201
	v_dual_mul_f32 v137, v7, v16 :: v_dual_mul_f32 v136, v5, v14
	v_mul_f32_e32 v14, v6, v14
	v_mul_f32_e32 v16, v8, v16
	s_delay_alu instid0(VALU_DEP_3)
	v_fmac_f32_e32 v137, v8, v15
	v_fma_f32 v132, v132, v1, -v2
	scratch_load_b128 v[1:4], off, off offset:120
	v_fmac_f32_e32 v136, v6, v13
	v_fma_f32 v13, v5, v13, -v14
	v_fma_f32 v14, v7, v15, -v16
	s_wait_loadcnt_dscnt 0x200
	v_mul_f32_e32 v15, v9, v18
	v_mul_f32_e32 v16, v10, v18
	v_mul_f32_e32 v18, v11, v20
	v_mul_f32_e32 v20, v12, v20
	ds_load_2addr_b64 v[5:8], v21 offset0:67 offset1:68
	v_fmac_f32_e32 v15, v10, v17
	v_fma_f32 v16, v9, v17, -v16
	v_fmac_f32_e32 v18, v12, v19
	v_fma_f32 v17, v11, v19, -v20
	scratch_load_b128 v[9:12], off, off offset:136
	s_wait_loadcnt_dscnt 0x100
	v_mul_f32_e32 v19, v5, v2
	v_mul_f32_e32 v2, v6, v2
	;; [unrolled: 1-line block ×3, first 2 shown]
	s_delay_alu instid0(VALU_DEP_3) | instskip(NEXT) | instid1(VALU_DEP_3)
	v_dual_mul_f32 v4, v8, v4 :: v_dual_fmac_f32 v19, v6, v1
	v_fma_f32 v138, v5, v1, -v2
	s_delay_alu instid0(VALU_DEP_3) | instskip(NEXT) | instid1(VALU_DEP_3)
	v_fmac_f32_e32 v20, v8, v3
	v_fma_f32 v139, v7, v3, -v4
	ds_load_2addr_b64 v[1:4], v21 offset0:69 offset1:70
	ds_load_2addr_b64 v[5:8], v21 offset0:71 offset1:72
	s_wait_loadcnt_dscnt 0x1
	v_mul_f32_e32 v145, v1, v10
	v_mul_f32_e32 v10, v2, v10
	s_delay_alu instid0(VALU_DEP_2) | instskip(NEXT) | instid1(VALU_DEP_2)
	v_dual_mul_f32 v146, v3, v12 :: v_dual_fmac_f32 v145, v2, v9
	v_fma_f32 v147, v1, v9, -v10
	v_mul_f32_e32 v1, v4, v12
	s_delay_alu instid0(VALU_DEP_3) | instskip(NEXT) | instid1(VALU_DEP_2)
	v_fmac_f32_e32 v146, v4, v11
	v_fma_f32 v148, v3, v11, -v1
	s_clause 0x1
	scratch_load_b128 v[1:4], off, off offset:152
	scratch_load_b128 v[9:12], off, off offset:168
	s_wait_loadcnt_dscnt 0x100
	v_mul_f32_e32 v149, v5, v2
	v_dual_mul_f32 v2, v6, v2 :: v_dual_mul_f32 v151, v7, v4
	s_delay_alu instid0(VALU_DEP_2) | instskip(NEXT) | instid1(VALU_DEP_2)
	v_fmac_f32_e32 v149, v6, v1
	v_fma_f32 v150, v5, v1, -v2
	v_mul_f32_e32 v1, v8, v4
	s_delay_alu instid0(VALU_DEP_4) | instskip(NEXT) | instid1(VALU_DEP_2)
	v_fmac_f32_e32 v151, v8, v3
	v_fma_f32 v152, v7, v3, -v1
	ds_load_2addr_b64 v[1:4], v21 offset0:73 offset1:74
	ds_load_2addr_b64 v[5:8], v21 offset0:75 offset1:76
	s_wait_loadcnt_dscnt 0x1
	v_mul_f32_e32 v153, v1, v10
	v_mul_f32_e32 v155, v3, v12
	s_delay_alu instid0(VALU_DEP_2) | instskip(NEXT) | instid1(VALU_DEP_2)
	v_fmac_f32_e32 v153, v2, v9
	v_dual_mul_f32 v2, v2, v10 :: v_dual_fmac_f32 v155, v4, v11
	s_delay_alu instid0(VALU_DEP_1) | instskip(SKIP_1) | instid1(VALU_DEP_1)
	v_fma_f32 v154, v1, v9, -v2
	v_mul_f32_e32 v1, v4, v12
	v_fma_f32 v156, v3, v11, -v1
	s_clause 0x1
	scratch_load_b128 v[1:4], off, off offset:184
	scratch_load_b128 v[9:12], off, off offset:200
	s_wait_loadcnt_dscnt 0x100
	v_mul_f32_e32 v157, v5, v2
	v_dual_mul_f32 v2, v6, v2 :: v_dual_mul_f32 v159, v7, v4
	s_delay_alu instid0(VALU_DEP_2) | instskip(NEXT) | instid1(VALU_DEP_2)
	v_fmac_f32_e32 v157, v6, v1
	v_fma_f32 v158, v5, v1, -v2
	v_mul_f32_e32 v1, v8, v4
	s_delay_alu instid0(VALU_DEP_4) | instskip(NEXT) | instid1(VALU_DEP_2)
	v_fmac_f32_e32 v159, v8, v3
	v_fma_f32 v160, v7, v3, -v1
	ds_load_2addr_b64 v[1:4], v21 offset0:77 offset1:78
	ds_load_2addr_b64 v[5:8], v21 offset0:79 offset1:80
	s_wait_loadcnt_dscnt 0x1
	v_mul_f32_e32 v161, v1, v10
	v_mul_f32_e32 v163, v3, v12
	s_delay_alu instid0(VALU_DEP_2) | instskip(NEXT) | instid1(VALU_DEP_2)
	v_fmac_f32_e32 v161, v2, v9
	v_dual_mul_f32 v2, v2, v10 :: v_dual_fmac_f32 v163, v4, v11
	s_delay_alu instid0(VALU_DEP_1) | instskip(SKIP_1) | instid1(VALU_DEP_1)
	v_fma_f32 v162, v1, v9, -v2
	v_mul_f32_e32 v1, v4, v12
	v_fma_f32 v164, v3, v11, -v1
	s_clause 0x1
	scratch_load_b128 v[1:4], off, off offset:216
	scratch_load_b128 v[9:12], off, off offset:232
	s_wait_loadcnt_dscnt 0x100
	v_mul_f32_e32 v165, v5, v2
	v_dual_mul_f32 v2, v6, v2 :: v_dual_mul_f32 v167, v7, v4
	s_delay_alu instid0(VALU_DEP_1) | instskip(NEXT) | instid1(VALU_DEP_3)
	v_fma_f32 v166, v5, v1, -v2
	v_fmac_f32_e32 v165, v6, v1
	v_mul_f32_e32 v1, v8, v4
	s_delay_alu instid0(VALU_DEP_4) | instskip(NEXT) | instid1(VALU_DEP_2)
	v_fmac_f32_e32 v167, v8, v3
	v_fma_f32 v168, v7, v3, -v1
	ds_load_2addr_b64 v[1:4], v21 offset0:81 offset1:82
	ds_load_2addr_b64 v[5:8], v21 offset0:83 offset1:84
	s_wait_loadcnt_dscnt 0x1
	v_mul_f32_e32 v169, v1, v10
	v_mul_f32_e32 v171, v3, v12
	s_delay_alu instid0(VALU_DEP_1) | instskip(NEXT) | instid1(VALU_DEP_3)
	v_fmac_f32_e32 v171, v4, v11
	v_fmac_f32_e32 v169, v2, v9
	v_mul_f32_e32 v2, v2, v10
	s_delay_alu instid0(VALU_DEP_1) | instskip(SKIP_1) | instid1(VALU_DEP_1)
	v_fma_f32 v170, v1, v9, -v2
	v_mul_f32_e32 v1, v4, v12
	v_fma_f32 v172, v3, v11, -v1
	s_clause 0x1
	scratch_load_b128 v[1:4], off, off offset:248
	scratch_load_b128 v[9:12], off, off offset:264
	s_wait_loadcnt_dscnt 0x100
	v_mul_f32_e32 v173, v5, v2
	v_dual_mul_f32 v2, v6, v2 :: v_dual_mul_f32 v175, v7, v4
	s_delay_alu instid0(VALU_DEP_2) | instskip(NEXT) | instid1(VALU_DEP_2)
	v_fmac_f32_e32 v173, v6, v1
	v_fma_f32 v174, v5, v1, -v2
	v_mul_f32_e32 v1, v8, v4
	s_delay_alu instid0(VALU_DEP_4) | instskip(NEXT) | instid1(VALU_DEP_2)
	v_fmac_f32_e32 v175, v8, v3
	v_fma_f32 v176, v7, v3, -v1
	ds_load_2addr_b64 v[1:4], v21 offset0:85 offset1:86
	ds_load_2addr_b64 v[5:8], v21 offset0:87 offset1:88
	s_wait_loadcnt_dscnt 0x1
	v_mul_f32_e32 v177, v1, v10
	v_mul_f32_e32 v179, v3, v12
	s_delay_alu instid0(VALU_DEP_2) | instskip(NEXT) | instid1(VALU_DEP_2)
	v_fmac_f32_e32 v177, v2, v9
	v_dual_mul_f32 v2, v2, v10 :: v_dual_fmac_f32 v179, v4, v11
	s_delay_alu instid0(VALU_DEP_1) | instskip(SKIP_1) | instid1(VALU_DEP_1)
	v_fma_f32 v178, v1, v9, -v2
	v_mul_f32_e32 v1, v4, v12
	v_fma_f32 v180, v3, v11, -v1
	s_clause 0x1
	scratch_load_b128 v[1:4], off, off offset:280
	scratch_load_b128 v[9:12], off, off offset:296
	s_wait_loadcnt_dscnt 0x100
	v_mul_f32_e32 v181, v5, v2
	v_dual_mul_f32 v2, v6, v2 :: v_dual_mul_f32 v183, v7, v4
	s_delay_alu instid0(VALU_DEP_2) | instskip(NEXT) | instid1(VALU_DEP_2)
	v_fmac_f32_e32 v181, v6, v1
	v_fma_f32 v182, v5, v1, -v2
	v_mul_f32_e32 v1, v8, v4
	s_delay_alu instid0(VALU_DEP_4) | instskip(NEXT) | instid1(VALU_DEP_2)
	v_fmac_f32_e32 v183, v8, v3
	v_fma_f32 v184, v7, v3, -v1
	ds_load_2addr_b64 v[1:4], v21 offset0:89 offset1:90
	ds_load_2addr_b64 v[5:8], v21 offset0:91 offset1:92
	s_wait_loadcnt_dscnt 0x1
	v_mul_f32_e32 v185, v1, v10
	v_mul_f32_e32 v187, v3, v12
	s_delay_alu instid0(VALU_DEP_2) | instskip(NEXT) | instid1(VALU_DEP_2)
	v_fmac_f32_e32 v185, v2, v9
	v_dual_mul_f32 v2, v2, v10 :: v_dual_fmac_f32 v187, v4, v11
	s_delay_alu instid0(VALU_DEP_1) | instskip(SKIP_1) | instid1(VALU_DEP_1)
	v_fma_f32 v186, v1, v9, -v2
	v_mul_f32_e32 v1, v4, v12
	v_fma_f32 v188, v3, v11, -v1
	s_clause 0x1
	scratch_load_b128 v[1:4], off, off offset:312
	scratch_load_b128 v[9:12], off, off offset:328
	s_wait_loadcnt_dscnt 0x100
	v_mul_f32_e32 v189, v5, v2
	v_mul_f32_e32 v2, v6, v2
	s_delay_alu instid0(VALU_DEP_1) | instskip(SKIP_1) | instid1(VALU_DEP_1)
	v_fma_f32 v190, v5, v1, -v2
	v_add_f32_e32 v2, 0, v142
	v_add_f32_e32 v2, v2, v143
	s_delay_alu instid0(VALU_DEP_1) | instskip(NEXT) | instid1(VALU_DEP_1)
	v_add_f32_e32 v2, v2, v24
	v_add_f32_e32 v2, v2, v25
	s_delay_alu instid0(VALU_DEP_1) | instskip(NEXT) | instid1(VALU_DEP_1)
	;; [unrolled: 3-line block ×8, first 2 shown]
	v_add_f32_e32 v2, v2, v153
	v_add_f32_e32 v2, v2, v155
	s_delay_alu instid0(VALU_DEP_1) | instskip(SKIP_2) | instid1(VALU_DEP_3)
	v_add_f32_e32 v2, v2, v157
	v_fmac_f32_e32 v189, v6, v1
	v_mul_f32_e32 v1, v8, v4
	v_dual_mul_f32 v191, v7, v4 :: v_dual_add_f32 v2, v2, v159
	s_delay_alu instid0(VALU_DEP_2) | instskip(SKIP_1) | instid1(VALU_DEP_3)
	v_fma_f32 v192, v7, v3, -v1
	v_add_f32_e32 v1, 0, v22
	v_dual_fmac_f32 v191, v8, v3 :: v_dual_add_f32 v2, v2, v161
	s_delay_alu instid0(VALU_DEP_2) | instskip(NEXT) | instid1(VALU_DEP_2)
	v_add_f32_e32 v1, v1, v23
	v_add_f32_e32 v5, v2, v163
	s_delay_alu instid0(VALU_DEP_2) | instskip(NEXT) | instid1(VALU_DEP_1)
	v_add_f32_e32 v1, v1, v132
	v_add_f32_e32 v1, v1, v133
	scratch_load_b64 v[132:133], off, off offset:408
	v_add_f32_e32 v1, v1, v134
	s_delay_alu instid0(VALU_DEP_1) | instskip(NEXT) | instid1(VALU_DEP_1)
	v_add_f32_e32 v1, v1, v135
	v_add_f32_e32 v1, v1, v13
	s_delay_alu instid0(VALU_DEP_1) | instskip(NEXT) | instid1(VALU_DEP_1)
	v_add_f32_e32 v1, v1, v14
	;; [unrolled: 3-line block ×9, first 2 shown]
	v_add_f32_e32 v6, v1, v166
	scratch_load_b128 v[1:4], off, off offset:344
	v_dual_add_f32 v13, v5, v165 :: v_dual_add_f32 v14, v6, v168
	ds_load_2addr_b64 v[5:8], v21 offset0:93 offset1:94
	v_dual_add_f32 v13, v13, v167 :: v_dual_add_f32 v14, v14, v170
	s_delay_alu instid0(VALU_DEP_1) | instskip(NEXT) | instid1(VALU_DEP_1)
	v_add_f32_e32 v13, v13, v169
	v_dual_add_f32 v17, v14, v172 :: v_dual_add_f32 v18, v13, v171
	ds_load_2addr_b64 v[13:16], v21 offset0:95 offset1:96
	s_wait_loadcnt_dscnt 0x201
	v_mul_f32_e32 v26, v5, v10
	v_add_f32_e32 v18, v18, v173
	v_mul_f32_e32 v136, v7, v12
	v_mul_f32_e32 v10, v6, v10
	;; [unrolled: 1-line block ×3, first 2 shown]
	v_fmac_f32_e32 v26, v6, v9
	v_add_f32_e32 v18, v18, v175
	v_fmac_f32_e32 v136, v8, v11
	v_fma_f32 v137, v5, v9, -v10
	v_fma_f32 v138, v7, v11, -v12
	scratch_load_b128 v[5:8], off, off offset:360
	v_add_f32_e32 v22, v18, v177
	scratch_load_b128 v[9:12], off, off offset:376
	v_add_f32_e32 v22, v22, v179
	s_delay_alu instid0(VALU_DEP_1) | instskip(SKIP_1) | instid1(VALU_DEP_1)
	v_add_f32_e32 v22, v22, v181
	s_wait_loadcnt_dscnt 0x200
	v_dual_add_f32 v22, v22, v183 :: v_dual_mul_f32 v139, v13, v2
	v_mul_f32_e32 v2, v14, v2
	v_mul_f32_e32 v142, v15, v4
	s_delay_alu instid0(VALU_DEP_3) | instskip(NEXT) | instid1(VALU_DEP_3)
	v_dual_mul_f32 v4, v16, v4 :: v_dual_fmac_f32 v139, v14, v1
	v_fma_f32 v143, v13, v1, -v2
	s_delay_alu instid0(VALU_DEP_3) | instskip(NEXT) | instid1(VALU_DEP_3)
	v_dual_add_f32 v13, v22, v185 :: v_dual_fmac_f32 v142, v16, v3
	v_fma_f32 v144, v15, v3, -v4
	ds_load_2addr_b64 v[1:4], v21 offset0:97 offset1:98
	v_add_f32_e32 v22, v13, v187
	s_delay_alu instid0(VALU_DEP_1) | instskip(NEXT) | instid1(VALU_DEP_1)
	v_add_f32_e32 v135, v22, v189
	v_add_f32_e32 v146, v135, v191
	s_delay_alu instid0(VALU_DEP_1) | instskip(NEXT) | instid1(VALU_DEP_1)
	v_add_f32_e32 v26, v146, v26
	;; [unrolled: 3-line block ×3, first 2 shown]
	v_add_f32_e32 v26, v26, v142
	v_add_f32_e32 v17, v17, v174
	s_delay_alu instid0(VALU_DEP_1) | instskip(NEXT) | instid1(VALU_DEP_1)
	v_add_f32_e32 v17, v17, v176
	v_add_f32_e32 v17, v17, v178
	s_delay_alu instid0(VALU_DEP_1) | instskip(SKIP_2) | instid1(VALU_DEP_1)
	v_add_f32_e32 v23, v17, v180
	scratch_load_b128 v[17:20], off, off offset:392
	v_add_f32_e32 v23, v23, v182
	v_add_f32_e32 v23, v23, v184
	s_delay_alu instid0(VALU_DEP_1) | instskip(NEXT) | instid1(VALU_DEP_1)
	v_add_f32_e32 v23, v23, v186
	v_add_f32_e32 v14, v23, v188
	ds_load_2addr_b64 v[22:25], v21 offset0:101 offset1:102
	v_add_f32_e32 v134, v14, v190
	ds_load_2addr_b64 v[13:16], v21 offset0:99 offset1:100
	s_wait_loadcnt_dscnt 0x202
	v_mul_f32_e32 v136, v3, v8
	v_mul_f32_e32 v8, v4, v8
	v_add_f32_e32 v145, v134, v192
	ds_load_b64 v[134:135], v21 offset:824
	s_wait_loadcnt_dscnt 0x101
	v_dual_fmac_f32 v136, v4, v7 :: v_dual_mul_f32 v139, v15, v12
	s_wait_dscnt 0x0
	s_delay_alu instid0(VALU_DEP_1) | instskip(NEXT) | instid1(VALU_DEP_1)
	v_dual_mul_f32 v142, v134, v133 :: v_dual_fmac_f32 v139, v16, v11
	v_dual_fmac_f32 v142, v135, v132 :: v_dual_add_f32 v137, v145, v137
	v_mul_f32_e32 v145, v1, v6
	v_mul_f32_e32 v6, v2, v6
	s_delay_alu instid0(VALU_DEP_3) | instskip(NEXT) | instid1(VALU_DEP_3)
	v_add_f32_e32 v137, v137, v138
	v_fmac_f32_e32 v145, v2, v5
	s_delay_alu instid0(VALU_DEP_3)
	v_fma_f32 v1, v1, v5, -v6
	v_mul_f32_e32 v138, v13, v10
	v_fma_f32 v2, v3, v7, -v8
	v_add_f32_e32 v137, v137, v143
	v_mul_f32_e32 v3, v14, v10
	v_dual_add_f32 v4, v26, v145 :: v_dual_mul_f32 v5, v16, v12
	s_delay_alu instid0(VALU_DEP_3) | instskip(NEXT) | instid1(VALU_DEP_3)
	v_dual_fmac_f32 v138, v14, v9 :: v_dual_add_f32 v137, v137, v144
	v_fma_f32 v3, v13, v9, -v3
	s_delay_alu instid0(VALU_DEP_3) | instskip(NEXT) | instid1(VALU_DEP_3)
	v_fma_f32 v5, v15, v11, -v5
	v_add_f32_e32 v1, v137, v1
	s_delay_alu instid0(VALU_DEP_1) | instskip(NEXT) | instid1(VALU_DEP_1)
	v_dual_add_f32 v1, v1, v2 :: v_dual_add_f32 v2, v4, v136
	v_dual_add_f32 v1, v1, v3 :: v_dual_add_f32 v2, v2, v138
	s_delay_alu instid0(VALU_DEP_1)
	v_dual_add_f32 v1, v1, v5 :: v_dual_add_f32 v2, v2, v139
	v_mul_f32_e32 v5, v135, v133
	s_wait_loadcnt 0x0
	v_mul_f32_e32 v143, v22, v18
	v_mul_f32_e32 v4, v23, v18
	;; [unrolled: 1-line block ×4, first 2 shown]
	s_delay_alu instid0(VALU_DEP_4) | instskip(NEXT) | instid1(VALU_DEP_4)
	v_fmac_f32_e32 v143, v23, v17
	v_fma_f32 v4, v22, v17, -v4
	s_delay_alu instid0(VALU_DEP_4) | instskip(NEXT) | instid1(VALU_DEP_4)
	v_fmac_f32_e32 v144, v25, v19
	v_fma_f32 v3, v24, v19, -v3
	s_delay_alu instid0(VALU_DEP_3) | instskip(SKIP_1) | instid1(VALU_DEP_2)
	v_dual_add_f32 v2, v2, v143 :: v_dual_add_f32 v1, v1, v4
	v_fma_f32 v4, v134, v132, -v5
	v_dual_add_f32 v2, v2, v144 :: v_dual_add_f32 v1, v1, v3
	s_delay_alu instid0(VALU_DEP_1) | instskip(NEXT) | instid1(VALU_DEP_1)
	v_dual_add_f32 v2, v2, v142 :: v_dual_add_f32 v1, v1, v4
	v_dual_sub_f32 v2, v141, v2 :: v_dual_sub_f32 v1, v140, v1
	scratch_store_b64 off, v[1:2], off offset:32
	v_cmpx_lt_u32_e32 3, v0
	s_cbranch_execz .LBB51_319
; %bb.318:
	scratch_load_b64 v[1:2], off, off offset:24
	v_mov_b32_e32 v22, v21
	scratch_store_b64 off, v[21:22], off offset:24
	s_wait_loadcnt 0x0
	ds_store_b64 v27, v[1:2]
.LBB51_319:
	s_wait_alu 0xfffe
	s_or_b32 exec_lo, exec_lo, s0
	s_wait_storecnt_dscnt 0x0
	s_barrier_signal -1
	s_barrier_wait -1
	global_inv scope:SCOPE_SE
	s_clause 0x4
	scratch_load_b128 v[5:8], off, off offset:32
	scratch_load_b128 v[1:4], off, off offset:48
	;; [unrolled: 1-line block ×5, first 2 shown]
	ds_load_b128 v[22:25], v21 offset:448
	ds_load_b128 v[132:135], v21 offset:464
	;; [unrolled: 1-line block ×3, first 2 shown]
	scratch_load_b64 v[140:141], off, off offset:24
	s_mov_b32 s0, exec_lo
	s_wait_loadcnt_dscnt 0x502
	v_dual_mul_f32 v26, v23, v6 :: v_dual_mul_f32 v143, v24, v8
	v_mul_f32_e32 v142, v22, v6
	v_mul_f32_e32 v6, v25, v8
	s_wait_loadcnt_dscnt 0x300
	v_mul_f32_e32 v144, v138, v12
	v_fma_f32 v22, v22, v5, -v26
	v_dual_fmac_f32 v143, v25, v7 :: v_dual_fmac_f32 v142, v23, v5
	v_mul_f32_e32 v25, v134, v4
	v_mul_f32_e32 v4, v135, v4
	;; [unrolled: 1-line block ×5, first 2 shown]
	v_fmac_f32_e32 v25, v135, v3
	v_fma_f32 v23, v24, v7, -v6
	ds_load_b128 v[5:8], v21 offset:496
	v_mul_f32_e32 v24, v132, v2
	v_mul_f32_e32 v2, v133, v2
	v_fmac_f32_e32 v26, v137, v9
	v_fmac_f32_e32 v144, v139, v11
	v_fma_f32 v135, v138, v11, -v12
	v_fmac_f32_e32 v24, v133, v1
	v_fma_f32 v133, v134, v3, -v4
	v_fma_f32 v134, v136, v9, -v10
	ds_load_b128 v[9:12], v21 offset:512
	s_wait_loadcnt_dscnt 0x201
	v_dual_mul_f32 v137, v7, v16 :: v_dual_mul_f32 v136, v5, v14
	v_mul_f32_e32 v14, v6, v14
	v_mul_f32_e32 v16, v8, v16
	s_delay_alu instid0(VALU_DEP_3)
	v_fmac_f32_e32 v137, v8, v15
	v_fma_f32 v132, v132, v1, -v2
	scratch_load_b128 v[1:4], off, off offset:112
	v_fmac_f32_e32 v136, v6, v13
	v_fma_f32 v13, v5, v13, -v14
	v_fma_f32 v14, v7, v15, -v16
	s_wait_loadcnt_dscnt 0x200
	v_mul_f32_e32 v15, v9, v18
	v_mul_f32_e32 v16, v10, v18
	;; [unrolled: 1-line block ×4, first 2 shown]
	ds_load_b128 v[5:8], v21 offset:528
	v_fmac_f32_e32 v15, v10, v17
	v_fma_f32 v16, v9, v17, -v16
	v_fmac_f32_e32 v18, v12, v19
	v_fma_f32 v17, v11, v19, -v20
	scratch_load_b128 v[9:12], off, off offset:128
	s_wait_loadcnt_dscnt 0x100
	v_mul_f32_e32 v19, v5, v2
	v_mul_f32_e32 v2, v6, v2
	;; [unrolled: 1-line block ×3, first 2 shown]
	s_delay_alu instid0(VALU_DEP_3) | instskip(NEXT) | instid1(VALU_DEP_3)
	v_dual_mul_f32 v4, v8, v4 :: v_dual_fmac_f32 v19, v6, v1
	v_fma_f32 v138, v5, v1, -v2
	s_delay_alu instid0(VALU_DEP_3) | instskip(NEXT) | instid1(VALU_DEP_3)
	v_fmac_f32_e32 v20, v8, v3
	v_fma_f32 v139, v7, v3, -v4
	ds_load_b128 v[1:4], v21 offset:544
	ds_load_b128 v[5:8], v21 offset:560
	s_wait_loadcnt_dscnt 0x1
	v_mul_f32_e32 v145, v1, v10
	v_mul_f32_e32 v10, v2, v10
	s_delay_alu instid0(VALU_DEP_2) | instskip(NEXT) | instid1(VALU_DEP_2)
	v_dual_mul_f32 v146, v3, v12 :: v_dual_fmac_f32 v145, v2, v9
	v_fma_f32 v147, v1, v9, -v10
	v_mul_f32_e32 v1, v4, v12
	s_delay_alu instid0(VALU_DEP_3) | instskip(NEXT) | instid1(VALU_DEP_2)
	v_fmac_f32_e32 v146, v4, v11
	v_fma_f32 v148, v3, v11, -v1
	s_clause 0x1
	scratch_load_b128 v[1:4], off, off offset:144
	scratch_load_b128 v[9:12], off, off offset:160
	s_wait_loadcnt_dscnt 0x100
	v_mul_f32_e32 v149, v5, v2
	v_dual_mul_f32 v2, v6, v2 :: v_dual_mul_f32 v151, v7, v4
	s_delay_alu instid0(VALU_DEP_2) | instskip(NEXT) | instid1(VALU_DEP_2)
	v_fmac_f32_e32 v149, v6, v1
	v_fma_f32 v150, v5, v1, -v2
	v_mul_f32_e32 v1, v8, v4
	s_delay_alu instid0(VALU_DEP_4) | instskip(NEXT) | instid1(VALU_DEP_2)
	v_fmac_f32_e32 v151, v8, v3
	v_fma_f32 v152, v7, v3, -v1
	ds_load_b128 v[1:4], v21 offset:576
	ds_load_b128 v[5:8], v21 offset:592
	s_wait_loadcnt_dscnt 0x1
	v_mul_f32_e32 v153, v1, v10
	v_mul_f32_e32 v155, v3, v12
	s_delay_alu instid0(VALU_DEP_2) | instskip(NEXT) | instid1(VALU_DEP_2)
	v_fmac_f32_e32 v153, v2, v9
	v_dual_mul_f32 v2, v2, v10 :: v_dual_fmac_f32 v155, v4, v11
	s_delay_alu instid0(VALU_DEP_1) | instskip(SKIP_1) | instid1(VALU_DEP_1)
	v_fma_f32 v154, v1, v9, -v2
	v_mul_f32_e32 v1, v4, v12
	v_fma_f32 v156, v3, v11, -v1
	s_clause 0x1
	scratch_load_b128 v[1:4], off, off offset:176
	scratch_load_b128 v[9:12], off, off offset:192
	s_wait_loadcnt_dscnt 0x100
	v_mul_f32_e32 v157, v5, v2
	v_dual_mul_f32 v2, v6, v2 :: v_dual_mul_f32 v159, v7, v4
	s_delay_alu instid0(VALU_DEP_2) | instskip(NEXT) | instid1(VALU_DEP_2)
	v_fmac_f32_e32 v157, v6, v1
	v_fma_f32 v158, v5, v1, -v2
	v_mul_f32_e32 v1, v8, v4
	s_delay_alu instid0(VALU_DEP_4) | instskip(NEXT) | instid1(VALU_DEP_2)
	v_fmac_f32_e32 v159, v8, v3
	v_fma_f32 v160, v7, v3, -v1
	ds_load_b128 v[1:4], v21 offset:608
	ds_load_b128 v[5:8], v21 offset:624
	s_wait_loadcnt_dscnt 0x1
	v_mul_f32_e32 v161, v1, v10
	v_mul_f32_e32 v163, v3, v12
	s_delay_alu instid0(VALU_DEP_2) | instskip(NEXT) | instid1(VALU_DEP_2)
	v_fmac_f32_e32 v161, v2, v9
	v_dual_mul_f32 v2, v2, v10 :: v_dual_fmac_f32 v163, v4, v11
	s_delay_alu instid0(VALU_DEP_1) | instskip(SKIP_1) | instid1(VALU_DEP_1)
	v_fma_f32 v162, v1, v9, -v2
	v_mul_f32_e32 v1, v4, v12
	;; [unrolled: 25-line block ×3, first 2 shown]
	v_fma_f32 v172, v3, v11, -v1
	s_clause 0x1
	scratch_load_b128 v[1:4], off, off offset:240
	scratch_load_b128 v[9:12], off, off offset:256
	s_wait_loadcnt_dscnt 0x100
	v_mul_f32_e32 v173, v5, v2
	v_dual_mul_f32 v2, v6, v2 :: v_dual_mul_f32 v175, v7, v4
	s_delay_alu instid0(VALU_DEP_1) | instskip(NEXT) | instid1(VALU_DEP_2)
	v_fma_f32 v174, v5, v1, -v2
	v_fmac_f32_e32 v175, v8, v3
	s_delay_alu instid0(VALU_DEP_4) | instskip(SKIP_1) | instid1(VALU_DEP_1)
	v_fmac_f32_e32 v173, v6, v1
	v_mul_f32_e32 v1, v8, v4
	v_fma_f32 v176, v7, v3, -v1
	ds_load_b128 v[1:4], v21 offset:672
	ds_load_b128 v[5:8], v21 offset:688
	s_wait_loadcnt_dscnt 0x1
	v_mul_f32_e32 v177, v1, v10
	v_mul_f32_e32 v179, v3, v12
	s_delay_alu instid0(VALU_DEP_2) | instskip(NEXT) | instid1(VALU_DEP_2)
	v_fmac_f32_e32 v177, v2, v9
	v_dual_mul_f32 v2, v2, v10 :: v_dual_fmac_f32 v179, v4, v11
	s_delay_alu instid0(VALU_DEP_1) | instskip(SKIP_1) | instid1(VALU_DEP_1)
	v_fma_f32 v178, v1, v9, -v2
	v_mul_f32_e32 v1, v4, v12
	v_fma_f32 v180, v3, v11, -v1
	s_clause 0x1
	scratch_load_b128 v[1:4], off, off offset:272
	scratch_load_b128 v[9:12], off, off offset:288
	s_wait_loadcnt_dscnt 0x100
	v_mul_f32_e32 v181, v5, v2
	v_dual_mul_f32 v2, v6, v2 :: v_dual_mul_f32 v183, v7, v4
	s_delay_alu instid0(VALU_DEP_2) | instskip(NEXT) | instid1(VALU_DEP_2)
	v_fmac_f32_e32 v181, v6, v1
	v_fma_f32 v182, v5, v1, -v2
	v_mul_f32_e32 v1, v8, v4
	s_delay_alu instid0(VALU_DEP_4) | instskip(NEXT) | instid1(VALU_DEP_2)
	v_fmac_f32_e32 v183, v8, v3
	v_fma_f32 v184, v7, v3, -v1
	ds_load_b128 v[1:4], v21 offset:704
	ds_load_b128 v[5:8], v21 offset:720
	s_wait_loadcnt_dscnt 0x1
	v_mul_f32_e32 v185, v1, v10
	v_mul_f32_e32 v187, v3, v12
	s_delay_alu instid0(VALU_DEP_2) | instskip(NEXT) | instid1(VALU_DEP_2)
	v_fmac_f32_e32 v185, v2, v9
	v_dual_mul_f32 v2, v2, v10 :: v_dual_fmac_f32 v187, v4, v11
	s_delay_alu instid0(VALU_DEP_1) | instskip(SKIP_1) | instid1(VALU_DEP_1)
	v_fma_f32 v186, v1, v9, -v2
	v_mul_f32_e32 v1, v4, v12
	v_fma_f32 v188, v3, v11, -v1
	s_clause 0x1
	scratch_load_b128 v[1:4], off, off offset:304
	scratch_load_b128 v[9:12], off, off offset:320
	s_wait_loadcnt_dscnt 0x100
	v_mul_f32_e32 v189, v5, v2
	v_dual_mul_f32 v2, v6, v2 :: v_dual_mul_f32 v191, v7, v4
	s_delay_alu instid0(VALU_DEP_2) | instskip(NEXT) | instid1(VALU_DEP_2)
	v_fmac_f32_e32 v189, v6, v1
	v_fma_f32 v190, v5, v1, -v2
	v_mul_f32_e32 v1, v8, v4
	s_delay_alu instid0(VALU_DEP_4) | instskip(NEXT) | instid1(VALU_DEP_2)
	v_fmac_f32_e32 v191, v8, v3
	v_fma_f32 v192, v7, v3, -v1
	ds_load_b128 v[1:4], v21 offset:736
	ds_load_b128 v[5:8], v21 offset:752
	s_wait_loadcnt_dscnt 0x1
	v_mul_f32_e32 v193, v1, v10
	v_mul_f32_e32 v195, v3, v12
	s_delay_alu instid0(VALU_DEP_2) | instskip(NEXT) | instid1(VALU_DEP_2)
	v_fmac_f32_e32 v193, v2, v9
	v_dual_mul_f32 v2, v2, v10 :: v_dual_fmac_f32 v195, v4, v11
	s_delay_alu instid0(VALU_DEP_1) | instskip(SKIP_1) | instid1(VALU_DEP_1)
	v_fma_f32 v194, v1, v9, -v2
	v_mul_f32_e32 v1, v4, v12
	v_fma_f32 v196, v3, v11, -v1
	s_clause 0x1
	scratch_load_b128 v[1:4], off, off offset:336
	scratch_load_b128 v[9:12], off, off offset:352
	s_wait_loadcnt_dscnt 0x100
	v_mul_f32_e32 v197, v5, v2
	v_mul_f32_e32 v2, v6, v2
	s_delay_alu instid0(VALU_DEP_2) | instskip(NEXT) | instid1(VALU_DEP_2)
	v_fmac_f32_e32 v197, v6, v1
	v_fma_f32 v198, v5, v1, -v2
	v_add_f32_e32 v2, 0, v142
	s_delay_alu instid0(VALU_DEP_1) | instskip(NEXT) | instid1(VALU_DEP_1)
	v_add_f32_e32 v2, v2, v143
	v_add_f32_e32 v2, v2, v24
	s_delay_alu instid0(VALU_DEP_1) | instskip(NEXT) | instid1(VALU_DEP_1)
	v_add_f32_e32 v2, v2, v25
	;; [unrolled: 3-line block ×3, first 2 shown]
	v_add_f32_e32 v2, v2, v136
	s_delay_alu instid0(VALU_DEP_1) | instskip(NEXT) | instid1(VALU_DEP_1)
	v_dual_mul_f32 v1, v8, v4 :: v_dual_add_f32 v2, v2, v137
	v_fma_f32 v200, v7, v3, -v1
	s_delay_alu instid0(VALU_DEP_2) | instskip(NEXT) | instid1(VALU_DEP_1)
	v_dual_add_f32 v1, 0, v22 :: v_dual_add_f32 v2, v2, v15
	v_dual_add_f32 v1, v1, v23 :: v_dual_add_f32 v2, v2, v18
	s_delay_alu instid0(VALU_DEP_1) | instskip(NEXT) | instid1(VALU_DEP_1)
	v_dual_add_f32 v1, v1, v132 :: v_dual_add_f32 v2, v2, v19
	v_dual_add_f32 v1, v1, v133 :: v_dual_add_f32 v2, v2, v20
	s_delay_alu instid0(VALU_DEP_1) | instskip(NEXT) | instid1(VALU_DEP_1)
	;; [unrolled: 3-line block ×3, first 2 shown]
	v_add_f32_e32 v1, v1, v13
	v_dual_add_f32 v2, v2, v149 :: v_dual_add_f32 v1, v1, v14
	s_delay_alu instid0(VALU_DEP_1) | instskip(NEXT) | instid1(VALU_DEP_1)
	v_dual_add_f32 v2, v2, v151 :: v_dual_add_f32 v1, v1, v16
	v_add_f32_e32 v2, v2, v153
	s_delay_alu instid0(VALU_DEP_1) | instskip(NEXT) | instid1(VALU_DEP_1)
	v_dual_add_f32 v1, v1, v17 :: v_dual_add_f32 v2, v2, v155
	v_dual_add_f32 v1, v1, v138 :: v_dual_add_f32 v2, v2, v157
	s_delay_alu instid0(VALU_DEP_1) | instskip(NEXT) | instid1(VALU_DEP_2)
	v_add_f32_e32 v1, v1, v139
	v_add_f32_e32 v2, v2, v159
	s_delay_alu instid0(VALU_DEP_1) | instskip(NEXT) | instid1(VALU_DEP_1)
	v_dual_add_f32 v1, v1, v147 :: v_dual_add_f32 v2, v2, v161
	v_dual_add_f32 v1, v1, v148 :: v_dual_add_f32 v2, v2, v163
	s_delay_alu instid0(VALU_DEP_1) | instskip(NEXT) | instid1(VALU_DEP_1)
	v_dual_add_f32 v1, v1, v150 :: v_dual_add_f32 v2, v2, v165
	v_dual_add_f32 v1, v1, v152 :: v_dual_add_f32 v2, v2, v167
	s_delay_alu instid0(VALU_DEP_1) | instskip(NEXT) | instid1(VALU_DEP_1)
	v_add_f32_e32 v1, v1, v154
	v_add_f32_e32 v1, v1, v156
	s_delay_alu instid0(VALU_DEP_1) | instskip(NEXT) | instid1(VALU_DEP_1)
	v_add_f32_e32 v1, v1, v158
	v_add_f32_e32 v1, v1, v160
	;; [unrolled: 3-line block ×5, first 2 shown]
	v_mul_f32_e32 v199, v7, v4
	v_add_f32_e32 v5, v2, v169
	s_delay_alu instid0(VALU_DEP_2) | instskip(SKIP_3) | instid1(VALU_DEP_2)
	v_dual_add_f32 v6, v6, v174 :: v_dual_fmac_f32 v199, v8, v3
	ds_load_b128 v[1:4], v21 offset:768
	v_add_f32_e32 v5, v5, v171
	v_add_f32_e32 v13, v6, v176
	;; [unrolled: 1-line block ×3, first 2 shown]
	s_delay_alu instid0(VALU_DEP_2) | instskip(NEXT) | instid1(VALU_DEP_2)
	v_add_f32_e32 v13, v13, v178
	v_add_f32_e32 v14, v5, v175
	ds_load_b128 v[5:8], v21 offset:784
	v_add_f32_e32 v13, v13, v180
	s_delay_alu instid0(VALU_DEP_1)
	v_add_f32_e32 v13, v13, v182
	s_wait_loadcnt_dscnt 0x1
	v_dual_mul_f32 v25, v1, v10 :: v_dual_mul_f32 v26, v3, v12
	v_mul_f32_e32 v10, v2, v10
	v_mul_f32_e32 v12, v4, v12
	v_add_f32_e32 v14, v14, v177
	s_delay_alu instid0(VALU_DEP_4) | instskip(NEXT) | instid1(VALU_DEP_4)
	v_dual_fmac_f32 v25, v2, v9 :: v_dual_fmac_f32 v26, v4, v11
	v_fma_f32 v132, v1, v9, -v10
	s_delay_alu instid0(VALU_DEP_4) | instskip(SKIP_4) | instid1(VALU_DEP_1)
	v_fma_f32 v133, v3, v11, -v12
	s_clause 0x1
	scratch_load_b128 v[1:4], off, off offset:368
	scratch_load_b128 v[9:12], off, off offset:384
	v_add_f32_e32 v14, v14, v179
	v_dual_add_f32 v18, v13, v184 :: v_dual_add_f32 v17, v14, v181
	scratch_load_b128 v[13:16], off, off offset:400
	v_dual_add_f32 v18, v18, v186 :: v_dual_add_f32 v17, v17, v183
	s_delay_alu instid0(VALU_DEP_1) | instskip(NEXT) | instid1(VALU_DEP_1)
	v_dual_add_f32 v18, v18, v188 :: v_dual_add_f32 v17, v17, v185
	v_dual_add_f32 v22, v18, v190 :: v_dual_add_f32 v17, v17, v187
	s_delay_alu instid0(VALU_DEP_1) | instskip(SKIP_4) | instid1(VALU_DEP_1)
	v_dual_add_f32 v134, v22, v192 :: v_dual_add_f32 v23, v17, v189
	ds_load_b128 v[17:20], v21 offset:800
	v_dual_add_f32 v134, v134, v194 :: v_dual_add_f32 v135, v23, v191
	ds_load_b128 v[21:24], v21 offset:816
	v_add_f32_e32 v134, v134, v196
	v_add_f32_e32 v134, v134, v198
	s_delay_alu instid0(VALU_DEP_1) | instskip(NEXT) | instid1(VALU_DEP_1)
	v_add_f32_e32 v134, v134, v200
	v_add_f32_e32 v132, v134, v132
	s_wait_loadcnt_dscnt 0x202
	v_dual_mul_f32 v136, v5, v2 :: v_dual_add_f32 v135, v135, v193
	s_wait_loadcnt_dscnt 0x101
	v_mul_f32_e32 v138, v17, v10
	v_dual_mul_f32 v2, v6, v2 :: v_dual_mul_f32 v137, v7, v4
	s_delay_alu instid0(VALU_DEP_3) | instskip(SKIP_1) | instid1(VALU_DEP_3)
	v_dual_mul_f32 v4, v8, v4 :: v_dual_add_f32 v135, v135, v195
	v_fmac_f32_e32 v136, v6, v1
	v_fma_f32 v2, v5, v1, -v2
	v_dual_add_f32 v1, v132, v133 :: v_dual_mul_f32 v6, v18, v10
	s_delay_alu instid0(VALU_DEP_4) | instskip(SKIP_2) | instid1(VALU_DEP_4)
	v_add_f32_e32 v135, v135, v197
	v_fmac_f32_e32 v137, v8, v3
	v_fma_f32 v3, v7, v3, -v4
	v_add_f32_e32 v1, v1, v2
	v_mul_f32_e32 v139, v19, v12
	v_dual_add_f32 v135, v135, v199 :: v_dual_mul_f32 v4, v20, v12
	s_delay_alu instid0(VALU_DEP_3) | instskip(SKIP_1) | instid1(VALU_DEP_2)
	v_dual_fmac_f32 v138, v18, v9 :: v_dual_add_f32 v1, v1, v3
	s_wait_loadcnt_dscnt 0x0
	v_dual_mul_f32 v142, v21, v14 :: v_dual_add_f32 v25, v135, v25
	v_mul_f32_e32 v3, v22, v14
	v_fmac_f32_e32 v139, v20, v11
	v_fma_f32 v4, v19, v11, -v4
	s_delay_alu instid0(VALU_DEP_4) | instskip(SKIP_2) | instid1(VALU_DEP_3)
	v_dual_mul_f32 v134, v23, v16 :: v_dual_add_f32 v5, v25, v26
	v_fmac_f32_e32 v142, v22, v13
	v_fma_f32 v3, v21, v13, -v3
	v_fmac_f32_e32 v134, v24, v15
	s_delay_alu instid0(VALU_DEP_4) | instskip(SKIP_1) | instid1(VALU_DEP_2)
	v_add_f32_e32 v2, v5, v136
	v_fma_f32 v5, v17, v9, -v6
	v_add_f32_e32 v2, v2, v137
	s_delay_alu instid0(VALU_DEP_2) | instskip(NEXT) | instid1(VALU_DEP_2)
	v_add_f32_e32 v1, v1, v5
	v_dual_mul_f32 v5, v24, v16 :: v_dual_add_f32 v2, v2, v138
	s_delay_alu instid0(VALU_DEP_2) | instskip(NEXT) | instid1(VALU_DEP_2)
	v_add_f32_e32 v1, v1, v4
	v_fma_f32 v4, v23, v15, -v5
	s_delay_alu instid0(VALU_DEP_3) | instskip(NEXT) | instid1(VALU_DEP_1)
	v_add_f32_e32 v2, v2, v139
	v_dual_add_f32 v1, v1, v3 :: v_dual_add_f32 v2, v2, v142
	s_delay_alu instid0(VALU_DEP_1) | instskip(NEXT) | instid1(VALU_DEP_1)
	v_dual_add_f32 v1, v1, v4 :: v_dual_add_f32 v2, v2, v134
	v_dual_sub_f32 v1, v140, v1 :: v_dual_sub_f32 v2, v141, v2
	scratch_store_b64 off, v[1:2], off offset:24
	v_cmpx_lt_u32_e32 2, v0
	s_cbranch_execz .LBB51_321
; %bb.320:
	scratch_load_b64 v[1:2], off, off offset:16
	v_mov_b32_e32 v3, 0
	s_delay_alu instid0(VALU_DEP_1)
	v_mov_b32_e32 v4, v3
	scratch_store_b64 off, v[3:4], off offset:16
	s_wait_loadcnt 0x0
	ds_store_b64 v27, v[1:2]
.LBB51_321:
	s_wait_alu 0xfffe
	s_or_b32 exec_lo, exec_lo, s0
	s_wait_storecnt_dscnt 0x0
	s_barrier_signal -1
	s_barrier_wait -1
	global_inv scope:SCOPE_SE
	s_clause 0x4
	scratch_load_b128 v[5:8], off, off offset:24
	scratch_load_b128 v[1:4], off, off offset:40
	;; [unrolled: 1-line block ×5, first 2 shown]
	v_mov_b32_e32 v25, 0
	ds_load_2addr_b64 v[21:24], v25 offset0:55 offset1:56
	ds_load_2addr_b64 v[132:135], v25 offset0:57 offset1:58
	;; [unrolled: 1-line block ×3, first 2 shown]
	scratch_load_b64 v[140:141], off, off offset:16
	s_mov_b32 s0, exec_lo
	s_wait_loadcnt_dscnt 0x502
	v_mul_f32_e32 v26, v22, v6
	v_dual_mul_f32 v142, v21, v6 :: v_dual_mul_f32 v143, v23, v8
	v_mul_f32_e32 v6, v24, v8
	s_wait_loadcnt_dscnt 0x300
	v_mul_f32_e32 v144, v138, v12
	v_fma_f32 v21, v21, v5, -v26
	v_dual_fmac_f32 v142, v22, v5 :: v_dual_fmac_f32 v143, v24, v7
	v_fma_f32 v22, v23, v7, -v6
	ds_load_2addr_b64 v[5:8], v25 offset0:61 offset1:62
	v_dual_mul_f32 v23, v132, v2 :: v_dual_mul_f32 v24, v134, v4
	v_mul_f32_e32 v4, v135, v4
	v_mul_f32_e32 v26, v136, v10
	;; [unrolled: 1-line block ×5, first 2 shown]
	v_dual_fmac_f32 v23, v133, v1 :: v_dual_fmac_f32 v24, v135, v3
	v_fma_f32 v133, v134, v3, -v4
	v_fmac_f32_e32 v26, v137, v9
	v_fma_f32 v134, v136, v9, -v10
	v_fmac_f32_e32 v144, v139, v11
	v_fma_f32 v135, v138, v11, -v12
	ds_load_2addr_b64 v[9:12], v25 offset0:63 offset1:64
	s_wait_loadcnt_dscnt 0x201
	v_mul_f32_e32 v137, v7, v16
	v_fma_f32 v132, v132, v1, -v2
	scratch_load_b128 v[1:4], off, off offset:104
	v_mul_f32_e32 v136, v5, v14
	v_mul_f32_e32 v14, v6, v14
	;; [unrolled: 1-line block ×3, first 2 shown]
	s_delay_alu instid0(VALU_DEP_3) | instskip(NEXT) | instid1(VALU_DEP_3)
	v_dual_fmac_f32 v137, v8, v15 :: v_dual_fmac_f32 v136, v6, v13
	v_fma_f32 v13, v5, v13, -v14
	s_delay_alu instid0(VALU_DEP_3)
	v_fma_f32 v14, v7, v15, -v16
	ds_load_2addr_b64 v[5:8], v25 offset0:65 offset1:66
	s_wait_loadcnt_dscnt 0x201
	v_mul_f32_e32 v15, v9, v18
	v_mul_f32_e32 v16, v10, v18
	;; [unrolled: 1-line block ×3, first 2 shown]
	s_delay_alu instid0(VALU_DEP_3) | instskip(NEXT) | instid1(VALU_DEP_3)
	v_dual_mul_f32 v20, v12, v20 :: v_dual_fmac_f32 v15, v10, v17
	v_fma_f32 v16, v9, v17, -v16
	s_delay_alu instid0(VALU_DEP_3) | instskip(NEXT) | instid1(VALU_DEP_3)
	v_fmac_f32_e32 v18, v12, v19
	v_fma_f32 v17, v11, v19, -v20
	scratch_load_b128 v[9:12], off, off offset:120
	s_wait_loadcnt_dscnt 0x100
	v_mul_f32_e32 v19, v5, v2
	v_mul_f32_e32 v2, v6, v2
	;; [unrolled: 1-line block ×3, first 2 shown]
	s_delay_alu instid0(VALU_DEP_3) | instskip(NEXT) | instid1(VALU_DEP_3)
	v_dual_mul_f32 v4, v8, v4 :: v_dual_fmac_f32 v19, v6, v1
	v_fma_f32 v138, v5, v1, -v2
	s_delay_alu instid0(VALU_DEP_3) | instskip(NEXT) | instid1(VALU_DEP_3)
	v_fmac_f32_e32 v20, v8, v3
	v_fma_f32 v139, v7, v3, -v4
	ds_load_2addr_b64 v[1:4], v25 offset0:67 offset1:68
	ds_load_2addr_b64 v[5:8], v25 offset0:69 offset1:70
	s_wait_loadcnt_dscnt 0x1
	v_mul_f32_e32 v145, v1, v10
	v_mul_f32_e32 v10, v2, v10
	s_delay_alu instid0(VALU_DEP_2) | instskip(NEXT) | instid1(VALU_DEP_2)
	v_dual_mul_f32 v146, v3, v12 :: v_dual_fmac_f32 v145, v2, v9
	v_fma_f32 v147, v1, v9, -v10
	v_mul_f32_e32 v1, v4, v12
	s_delay_alu instid0(VALU_DEP_3) | instskip(NEXT) | instid1(VALU_DEP_2)
	v_fmac_f32_e32 v146, v4, v11
	v_fma_f32 v148, v3, v11, -v1
	s_clause 0x1
	scratch_load_b128 v[1:4], off, off offset:136
	scratch_load_b128 v[9:12], off, off offset:152
	s_wait_loadcnt_dscnt 0x100
	v_mul_f32_e32 v149, v5, v2
	v_dual_mul_f32 v2, v6, v2 :: v_dual_mul_f32 v151, v7, v4
	s_delay_alu instid0(VALU_DEP_2) | instskip(NEXT) | instid1(VALU_DEP_2)
	v_fmac_f32_e32 v149, v6, v1
	v_fma_f32 v150, v5, v1, -v2
	v_mul_f32_e32 v1, v8, v4
	s_delay_alu instid0(VALU_DEP_4) | instskip(NEXT) | instid1(VALU_DEP_2)
	v_fmac_f32_e32 v151, v8, v3
	v_fma_f32 v152, v7, v3, -v1
	ds_load_2addr_b64 v[1:4], v25 offset0:71 offset1:72
	ds_load_2addr_b64 v[5:8], v25 offset0:73 offset1:74
	s_wait_loadcnt_dscnt 0x1
	v_mul_f32_e32 v153, v1, v10
	v_mul_f32_e32 v155, v3, v12
	s_delay_alu instid0(VALU_DEP_2) | instskip(NEXT) | instid1(VALU_DEP_2)
	v_fmac_f32_e32 v153, v2, v9
	v_dual_mul_f32 v2, v2, v10 :: v_dual_fmac_f32 v155, v4, v11
	s_delay_alu instid0(VALU_DEP_1) | instskip(SKIP_1) | instid1(VALU_DEP_1)
	v_fma_f32 v154, v1, v9, -v2
	v_mul_f32_e32 v1, v4, v12
	v_fma_f32 v156, v3, v11, -v1
	s_clause 0x1
	scratch_load_b128 v[1:4], off, off offset:168
	scratch_load_b128 v[9:12], off, off offset:184
	s_wait_loadcnt_dscnt 0x100
	v_mul_f32_e32 v157, v5, v2
	v_dual_mul_f32 v2, v6, v2 :: v_dual_mul_f32 v159, v7, v4
	s_delay_alu instid0(VALU_DEP_2) | instskip(NEXT) | instid1(VALU_DEP_2)
	v_fmac_f32_e32 v157, v6, v1
	v_fma_f32 v158, v5, v1, -v2
	v_mul_f32_e32 v1, v8, v4
	s_delay_alu instid0(VALU_DEP_4) | instskip(NEXT) | instid1(VALU_DEP_2)
	v_fmac_f32_e32 v159, v8, v3
	v_fma_f32 v160, v7, v3, -v1
	ds_load_2addr_b64 v[1:4], v25 offset0:75 offset1:76
	ds_load_2addr_b64 v[5:8], v25 offset0:77 offset1:78
	s_wait_loadcnt_dscnt 0x1
	v_mul_f32_e32 v161, v1, v10
	v_mul_f32_e32 v163, v3, v12
	s_delay_alu instid0(VALU_DEP_2) | instskip(NEXT) | instid1(VALU_DEP_2)
	v_fmac_f32_e32 v161, v2, v9
	v_dual_mul_f32 v2, v2, v10 :: v_dual_fmac_f32 v163, v4, v11
	s_delay_alu instid0(VALU_DEP_1) | instskip(SKIP_1) | instid1(VALU_DEP_1)
	v_fma_f32 v162, v1, v9, -v2
	v_mul_f32_e32 v1, v4, v12
	;; [unrolled: 25-line block ×5, first 2 shown]
	v_fma_f32 v188, v3, v11, -v1
	s_clause 0x1
	scratch_load_b128 v[1:4], off, off offset:296
	scratch_load_b128 v[9:12], off, off offset:312
	s_wait_loadcnt_dscnt 0x100
	v_mul_f32_e32 v189, v5, v2
	v_dual_mul_f32 v2, v6, v2 :: v_dual_mul_f32 v191, v7, v4
	s_delay_alu instid0(VALU_DEP_2) | instskip(NEXT) | instid1(VALU_DEP_2)
	v_fmac_f32_e32 v189, v6, v1
	v_fma_f32 v190, v5, v1, -v2
	v_mul_f32_e32 v1, v8, v4
	s_delay_alu instid0(VALU_DEP_4) | instskip(NEXT) | instid1(VALU_DEP_2)
	v_fmac_f32_e32 v191, v8, v3
	v_fma_f32 v192, v7, v3, -v1
	ds_load_2addr_b64 v[1:4], v25 offset0:91 offset1:92
	ds_load_2addr_b64 v[5:8], v25 offset0:93 offset1:94
	s_wait_loadcnt_dscnt 0x1
	v_mul_f32_e32 v193, v1, v10
	v_mul_f32_e32 v195, v3, v12
	s_delay_alu instid0(VALU_DEP_1) | instskip(NEXT) | instid1(VALU_DEP_3)
	v_fmac_f32_e32 v195, v4, v11
	v_fmac_f32_e32 v193, v2, v9
	v_mul_f32_e32 v2, v2, v10
	s_delay_alu instid0(VALU_DEP_1) | instskip(SKIP_1) | instid1(VALU_DEP_1)
	v_fma_f32 v194, v1, v9, -v2
	v_mul_f32_e32 v1, v4, v12
	v_fma_f32 v196, v3, v11, -v1
	s_clause 0x1
	scratch_load_b128 v[1:4], off, off offset:328
	scratch_load_b128 v[9:12], off, off offset:344
	s_wait_loadcnt_dscnt 0x100
	v_mul_f32_e32 v197, v5, v2
	v_mul_f32_e32 v2, v6, v2
	s_delay_alu instid0(VALU_DEP_2) | instskip(NEXT) | instid1(VALU_DEP_2)
	v_fmac_f32_e32 v197, v6, v1
	v_fma_f32 v198, v5, v1, -v2
	v_dual_add_f32 v2, 0, v142 :: v_dual_mul_f32 v1, v8, v4
	s_delay_alu instid0(VALU_DEP_1) | instskip(NEXT) | instid1(VALU_DEP_2)
	v_add_f32_e32 v2, v2, v143
	v_fma_f32 v200, v7, v3, -v1
	s_delay_alu instid0(VALU_DEP_2) | instskip(NEXT) | instid1(VALU_DEP_1)
	v_add_f32_e32 v2, v2, v23
	v_add_f32_e32 v2, v2, v24
	s_delay_alu instid0(VALU_DEP_1) | instskip(NEXT) | instid1(VALU_DEP_1)
	v_add_f32_e32 v2, v2, v26
	v_add_f32_e32 v2, v2, v144
	s_delay_alu instid0(VALU_DEP_1) | instskip(NEXT) | instid1(VALU_DEP_1)
	v_dual_add_f32 v2, v2, v136 :: v_dual_add_f32 v1, 0, v21
	v_dual_add_f32 v2, v2, v137 :: v_dual_add_f32 v1, v1, v22
	s_delay_alu instid0(VALU_DEP_1) | instskip(NEXT) | instid1(VALU_DEP_1)
	v_dual_add_f32 v2, v2, v15 :: v_dual_add_f32 v1, v1, v132
	v_dual_add_f32 v2, v2, v18 :: v_dual_add_f32 v1, v1, v133
	scratch_load_b64 v[132:133], off, off offset:408
	v_dual_add_f32 v2, v2, v19 :: v_dual_add_f32 v1, v1, v134
	s_delay_alu instid0(VALU_DEP_1) | instskip(NEXT) | instid1(VALU_DEP_1)
	v_dual_add_f32 v2, v2, v20 :: v_dual_add_f32 v1, v1, v135
	v_add_f32_e32 v2, v2, v145
	s_delay_alu instid0(VALU_DEP_1) | instskip(NEXT) | instid1(VALU_DEP_1)
	v_dual_add_f32 v1, v1, v13 :: v_dual_add_f32 v2, v2, v146
	v_dual_add_f32 v1, v1, v14 :: v_dual_add_f32 v2, v2, v149
	s_delay_alu instid0(VALU_DEP_1) | instskip(NEXT) | instid1(VALU_DEP_1)
	v_dual_add_f32 v1, v1, v16 :: v_dual_add_f32 v2, v2, v151
	v_add_f32_e32 v1, v1, v17
	s_delay_alu instid0(VALU_DEP_1) | instskip(NEXT) | instid1(VALU_DEP_1)
	v_dual_add_f32 v2, v2, v153 :: v_dual_add_f32 v1, v1, v138
	v_add_f32_e32 v2, v2, v155
	;; [unrolled: 3-line block ×3, first 2 shown]
	s_delay_alu instid0(VALU_DEP_1) | instskip(NEXT) | instid1(VALU_DEP_1)
	v_dual_add_f32 v2, v2, v159 :: v_dual_add_f32 v1, v1, v148
	v_dual_add_f32 v2, v2, v161 :: v_dual_add_f32 v1, v1, v150
	s_delay_alu instid0(VALU_DEP_1) | instskip(NEXT) | instid1(VALU_DEP_1)
	v_dual_add_f32 v2, v2, v163 :: v_dual_add_f32 v1, v1, v152
	v_add_f32_e32 v1, v1, v154
	s_delay_alu instid0(VALU_DEP_1) | instskip(NEXT) | instid1(VALU_DEP_1)
	v_add_f32_e32 v1, v1, v156
	v_add_f32_e32 v1, v1, v158
	s_delay_alu instid0(VALU_DEP_1) | instskip(NEXT) | instid1(VALU_DEP_1)
	v_add_f32_e32 v1, v1, v160
	;; [unrolled: 3-line block ×4, first 2 shown]
	v_add_f32_e32 v1, v1, v170
	s_delay_alu instid0(VALU_DEP_1) | instskip(SKIP_1) | instid1(VALU_DEP_2)
	v_add_f32_e32 v6, v1, v172
	v_dual_add_f32 v2, v2, v165 :: v_dual_mul_f32 v199, v7, v4
	v_add_f32_e32 v6, v6, v174
	s_delay_alu instid0(VALU_DEP_2) | instskip(NEXT) | instid1(VALU_DEP_3)
	v_add_f32_e32 v2, v2, v167
	v_fmac_f32_e32 v199, v8, v3
	s_delay_alu instid0(VALU_DEP_3) | instskip(NEXT) | instid1(VALU_DEP_3)
	v_add_f32_e32 v13, v6, v176
	v_add_f32_e32 v5, v2, v169
	ds_load_2addr_b64 v[1:4], v25 offset0:95 offset1:96
	v_add_f32_e32 v13, v13, v178
	v_add_f32_e32 v5, v5, v171
	s_delay_alu instid0(VALU_DEP_2) | instskip(NEXT) | instid1(VALU_DEP_2)
	v_add_f32_e32 v13, v13, v180
	v_add_f32_e32 v5, v5, v173
	s_delay_alu instid0(VALU_DEP_2) | instskip(NEXT) | instid1(VALU_DEP_2)
	v_add_f32_e32 v13, v13, v182
	v_add_f32_e32 v14, v5, v175
	ds_load_2addr_b64 v[5:8], v25 offset0:97 offset1:98
	v_add_f32_e32 v18, v13, v184
	s_wait_loadcnt_dscnt 0x101
	v_mul_f32_e32 v26, v1, v10
	v_mul_f32_e32 v10, v2, v10
	v_mul_f32_e32 v136, v3, v12
	v_mul_f32_e32 v12, v4, v12
	v_add_f32_e32 v14, v14, v177
	v_fmac_f32_e32 v26, v2, v9
	v_fma_f32 v137, v1, v9, -v10
	v_fmac_f32_e32 v136, v4, v11
	v_fma_f32 v138, v3, v11, -v12
	s_clause 0x1
	scratch_load_b128 v[1:4], off, off offset:360
	scratch_load_b128 v[9:12], off, off offset:376
	v_add_f32_e32 v14, v14, v179
	v_add_f32_e32 v18, v18, v186
	s_delay_alu instid0(VALU_DEP_2) | instskip(SKIP_2) | instid1(VALU_DEP_1)
	v_add_f32_e32 v17, v14, v181
	scratch_load_b128 v[13:16], off, off offset:392
	v_dual_add_f32 v18, v18, v188 :: v_dual_add_f32 v17, v17, v183
	v_dual_add_f32 v18, v18, v190 :: v_dual_add_f32 v17, v17, v185
	s_delay_alu instid0(VALU_DEP_1) | instskip(NEXT) | instid1(VALU_DEP_1)
	v_dual_add_f32 v18, v18, v192 :: v_dual_add_f32 v17, v17, v187
	v_dual_add_f32 v134, v18, v194 :: v_dual_add_f32 v17, v17, v189
	s_delay_alu instid0(VALU_DEP_1) | instskip(NEXT) | instid1(VALU_DEP_2)
	v_add_f32_e32 v139, v134, v196
	v_add_f32_e32 v21, v17, v191
	ds_load_2addr_b64 v[17:20], v25 offset0:99 offset1:100
	v_add_f32_e32 v139, v139, v198
	v_add_f32_e32 v135, v21, v193
	ds_load_2addr_b64 v[21:24], v25 offset0:101 offset1:102
	v_add_f32_e32 v139, v139, v200
	v_add_f32_e32 v142, v135, v195
	ds_load_b64 v[134:135], v25 offset:824
	v_add_f32_e32 v137, v139, v137
	s_wait_loadcnt_dscnt 0x203
	s_delay_alu instid0(VALU_DEP_1) | instskip(SKIP_4) | instid1(VALU_DEP_3)
	v_dual_add_f32 v137, v137, v138 :: v_dual_mul_f32 v144, v7, v4
	v_dual_add_f32 v142, v142, v197 :: v_dual_mul_f32 v143, v5, v2
	v_mul_f32_e32 v2, v6, v2
	s_wait_loadcnt_dscnt 0x102
	v_dual_mul_f32 v4, v8, v4 :: v_dual_mul_f32 v139, v17, v10
	v_add_f32_e32 v142, v142, v199
	v_fmac_f32_e32 v143, v6, v1
	v_fma_f32 v2, v5, v1, -v2
	v_fmac_f32_e32 v144, v8, v3
	v_fma_f32 v1, v7, v3, -v4
	v_add_f32_e32 v26, v142, v26
	v_mul_f32_e32 v3, v18, v10
	v_add_f32_e32 v2, v137, v2
	v_mul_f32_e32 v142, v19, v12
	v_mul_f32_e32 v5, v20, v12
	v_add_f32_e32 v26, v26, v136
	v_fmac_f32_e32 v139, v18, v9
	v_fma_f32 v3, v17, v9, -v3
	v_add_f32_e32 v1, v2, v1
	s_wait_loadcnt_dscnt 0x1
	v_dual_mul_f32 v145, v21, v14 :: v_dual_add_f32 v4, v26, v143
	v_fmac_f32_e32 v142, v20, v11
	v_fma_f32 v5, v19, v11, -v5
	v_dual_add_f32 v1, v1, v3 :: v_dual_mul_f32 v138, v23, v16
	s_delay_alu instid0(VALU_DEP_4) | instskip(SKIP_2) | instid1(VALU_DEP_3)
	v_add_f32_e32 v2, v4, v144
	v_dual_mul_f32 v4, v22, v14 :: v_dual_mul_f32 v3, v24, v16
	v_fmac_f32_e32 v145, v22, v13
	v_dual_add_f32 v1, v1, v5 :: v_dual_add_f32 v2, v2, v139
	s_delay_alu instid0(VALU_DEP_3)
	v_fma_f32 v4, v21, v13, -v4
	s_wait_dscnt 0x0
	v_mul_f32_e32 v136, v134, v133
	v_dual_mul_f32 v5, v135, v133 :: v_dual_fmac_f32 v138, v24, v15
	v_add_f32_e32 v2, v2, v142
	v_fma_f32 v3, v23, v15, -v3
	v_add_f32_e32 v1, v1, v4
	v_fmac_f32_e32 v136, v135, v132
	v_fma_f32 v4, v134, v132, -v5
	s_delay_alu instid0(VALU_DEP_3) | instskip(NEXT) | instid1(VALU_DEP_1)
	v_dual_add_f32 v2, v2, v145 :: v_dual_add_f32 v1, v1, v3
	v_dual_add_f32 v2, v2, v138 :: v_dual_add_f32 v1, v1, v4
	s_delay_alu instid0(VALU_DEP_1) | instskip(NEXT) | instid1(VALU_DEP_1)
	v_dual_add_f32 v2, v2, v136 :: v_dual_sub_f32 v1, v140, v1
	v_sub_f32_e32 v2, v141, v2
	scratch_store_b64 off, v[1:2], off offset:16
	v_cmpx_lt_u32_e32 1, v0
	s_cbranch_execz .LBB51_323
; %bb.322:
	scratch_load_b64 v[1:2], off, off offset:8
	v_mov_b32_e32 v26, v25
	scratch_store_b64 off, v[25:26], off offset:8
	s_wait_loadcnt 0x0
	ds_store_b64 v27, v[1:2]
.LBB51_323:
	s_wait_alu 0xfffe
	s_or_b32 exec_lo, exec_lo, s0
	s_wait_storecnt_dscnt 0x0
	s_barrier_signal -1
	s_barrier_wait -1
	global_inv scope:SCOPE_SE
	s_clause 0x4
	scratch_load_b128 v[5:8], off, off offset:16
	scratch_load_b128 v[1:4], off, off offset:32
	;; [unrolled: 1-line block ×5, first 2 shown]
	ds_load_b128 v[21:24], v25 offset:432
	ds_load_b128 v[132:135], v25 offset:448
	;; [unrolled: 1-line block ×3, first 2 shown]
	scratch_load_b64 v[140:141], off, off offset:8
	s_mov_b32 s0, exec_lo
	s_wait_loadcnt_dscnt 0x502
	v_mul_f32_e32 v26, v21, v6
	s_wait_loadcnt_dscnt 0x300
	v_dual_mul_f32 v142, v23, v8 :: v_dual_mul_f32 v143, v136, v10
	v_mul_f32_e32 v8, v24, v8
	v_mul_f32_e32 v6, v22, v6
	v_fmac_f32_e32 v26, v22, v5
	v_mul_f32_e32 v10, v137, v10
	v_fmac_f32_e32 v143, v137, v9
	v_fma_f32 v22, v23, v7, -v8
	v_mul_f32_e32 v23, v132, v2
	v_fmac_f32_e32 v142, v24, v7
	v_mul_f32_e32 v24, v134, v4
	v_mul_f32_e32 v4, v135, v4
	s_delay_alu instid0(VALU_DEP_4)
	v_dual_mul_f32 v144, v138, v12 :: v_dual_fmac_f32 v23, v133, v1
	v_fma_f32 v21, v21, v5, -v6
	ds_load_b128 v[5:8], v25 offset:480
	v_mul_f32_e32 v12, v139, v12
	v_mul_f32_e32 v2, v133, v2
	v_fmac_f32_e32 v24, v135, v3
	v_fma_f32 v133, v134, v3, -v4
	v_fma_f32 v134, v136, v9, -v10
	v_fmac_f32_e32 v144, v139, v11
	v_fma_f32 v135, v138, v11, -v12
	ds_load_b128 v[9:12], v25 offset:496
	s_wait_loadcnt_dscnt 0x201
	v_dual_mul_f32 v137, v7, v16 :: v_dual_mul_f32 v136, v5, v14
	v_mul_f32_e32 v14, v6, v14
	v_mul_f32_e32 v16, v8, v16
	s_delay_alu instid0(VALU_DEP_3)
	v_fmac_f32_e32 v137, v8, v15
	v_fma_f32 v132, v132, v1, -v2
	scratch_load_b128 v[1:4], off, off offset:96
	v_fmac_f32_e32 v136, v6, v13
	v_fma_f32 v13, v5, v13, -v14
	v_fma_f32 v14, v7, v15, -v16
	s_wait_loadcnt_dscnt 0x200
	v_mul_f32_e32 v15, v9, v18
	v_mul_f32_e32 v16, v10, v18
	;; [unrolled: 1-line block ×4, first 2 shown]
	ds_load_b128 v[5:8], v25 offset:512
	v_fmac_f32_e32 v15, v10, v17
	v_fma_f32 v16, v9, v17, -v16
	v_fmac_f32_e32 v18, v12, v19
	v_fma_f32 v17, v11, v19, -v20
	scratch_load_b128 v[9:12], off, off offset:112
	s_wait_loadcnt_dscnt 0x100
	v_mul_f32_e32 v19, v5, v2
	v_mul_f32_e32 v2, v6, v2
	v_mul_f32_e32 v20, v7, v4
	s_delay_alu instid0(VALU_DEP_3) | instskip(NEXT) | instid1(VALU_DEP_3)
	v_dual_mul_f32 v4, v8, v4 :: v_dual_fmac_f32 v19, v6, v1
	v_fma_f32 v138, v5, v1, -v2
	s_delay_alu instid0(VALU_DEP_3) | instskip(NEXT) | instid1(VALU_DEP_3)
	v_fmac_f32_e32 v20, v8, v3
	v_fma_f32 v139, v7, v3, -v4
	ds_load_b128 v[1:4], v25 offset:528
	ds_load_b128 v[5:8], v25 offset:544
	s_wait_loadcnt_dscnt 0x1
	v_mul_f32_e32 v145, v1, v10
	v_mul_f32_e32 v10, v2, v10
	s_delay_alu instid0(VALU_DEP_2) | instskip(NEXT) | instid1(VALU_DEP_2)
	v_dual_mul_f32 v146, v3, v12 :: v_dual_fmac_f32 v145, v2, v9
	v_fma_f32 v147, v1, v9, -v10
	v_mul_f32_e32 v1, v4, v12
	s_delay_alu instid0(VALU_DEP_3) | instskip(NEXT) | instid1(VALU_DEP_2)
	v_fmac_f32_e32 v146, v4, v11
	v_fma_f32 v148, v3, v11, -v1
	s_clause 0x1
	scratch_load_b128 v[1:4], off, off offset:128
	scratch_load_b128 v[9:12], off, off offset:144
	s_wait_loadcnt_dscnt 0x100
	v_mul_f32_e32 v149, v5, v2
	v_dual_mul_f32 v2, v6, v2 :: v_dual_mul_f32 v151, v7, v4
	s_delay_alu instid0(VALU_DEP_2) | instskip(NEXT) | instid1(VALU_DEP_2)
	v_fmac_f32_e32 v149, v6, v1
	v_fma_f32 v150, v5, v1, -v2
	v_mul_f32_e32 v1, v8, v4
	s_delay_alu instid0(VALU_DEP_4) | instskip(NEXT) | instid1(VALU_DEP_2)
	v_fmac_f32_e32 v151, v8, v3
	v_fma_f32 v152, v7, v3, -v1
	ds_load_b128 v[1:4], v25 offset:560
	ds_load_b128 v[5:8], v25 offset:576
	s_wait_loadcnt_dscnt 0x1
	v_mul_f32_e32 v153, v1, v10
	v_mul_f32_e32 v155, v3, v12
	s_delay_alu instid0(VALU_DEP_2) | instskip(NEXT) | instid1(VALU_DEP_2)
	v_fmac_f32_e32 v153, v2, v9
	v_dual_mul_f32 v2, v2, v10 :: v_dual_fmac_f32 v155, v4, v11
	s_delay_alu instid0(VALU_DEP_1) | instskip(SKIP_1) | instid1(VALU_DEP_1)
	v_fma_f32 v154, v1, v9, -v2
	v_mul_f32_e32 v1, v4, v12
	v_fma_f32 v156, v3, v11, -v1
	s_clause 0x1
	scratch_load_b128 v[1:4], off, off offset:160
	scratch_load_b128 v[9:12], off, off offset:176
	s_wait_loadcnt_dscnt 0x100
	v_mul_f32_e32 v157, v5, v2
	v_dual_mul_f32 v2, v6, v2 :: v_dual_mul_f32 v159, v7, v4
	s_delay_alu instid0(VALU_DEP_2) | instskip(NEXT) | instid1(VALU_DEP_2)
	v_fmac_f32_e32 v157, v6, v1
	v_fma_f32 v158, v5, v1, -v2
	v_mul_f32_e32 v1, v8, v4
	s_delay_alu instid0(VALU_DEP_4) | instskip(NEXT) | instid1(VALU_DEP_2)
	v_fmac_f32_e32 v159, v8, v3
	v_fma_f32 v160, v7, v3, -v1
	ds_load_b128 v[1:4], v25 offset:592
	ds_load_b128 v[5:8], v25 offset:608
	s_wait_loadcnt_dscnt 0x1
	v_mul_f32_e32 v161, v1, v10
	v_mul_f32_e32 v163, v3, v12
	s_delay_alu instid0(VALU_DEP_2) | instskip(NEXT) | instid1(VALU_DEP_2)
	v_fmac_f32_e32 v161, v2, v9
	v_dual_mul_f32 v2, v2, v10 :: v_dual_fmac_f32 v163, v4, v11
	s_delay_alu instid0(VALU_DEP_1) | instskip(SKIP_1) | instid1(VALU_DEP_1)
	v_fma_f32 v162, v1, v9, -v2
	v_mul_f32_e32 v1, v4, v12
	;; [unrolled: 25-line block ×6, first 2 shown]
	v_fma_f32 v196, v3, v11, -v1
	s_clause 0x1
	scratch_load_b128 v[1:4], off, off offset:320
	scratch_load_b128 v[9:12], off, off offset:336
	s_wait_loadcnt_dscnt 0x100
	v_mul_f32_e32 v197, v5, v2
	v_mul_f32_e32 v2, v6, v2
	s_delay_alu instid0(VALU_DEP_2) | instskip(NEXT) | instid1(VALU_DEP_2)
	v_fmac_f32_e32 v197, v6, v1
	v_fma_f32 v198, v5, v1, -v2
	v_dual_add_f32 v2, 0, v26 :: v_dual_mul_f32 v1, v8, v4
	s_delay_alu instid0(VALU_DEP_1) | instskip(NEXT) | instid1(VALU_DEP_2)
	v_add_f32_e32 v2, v2, v142
	v_fma_f32 v200, v7, v3, -v1
	s_delay_alu instid0(VALU_DEP_2) | instskip(NEXT) | instid1(VALU_DEP_1)
	v_dual_add_f32 v1, 0, v21 :: v_dual_add_f32 v2, v2, v23
	v_dual_add_f32 v1, v1, v22 :: v_dual_add_f32 v2, v2, v24
	s_delay_alu instid0(VALU_DEP_1) | instskip(NEXT) | instid1(VALU_DEP_1)
	v_add_f32_e32 v2, v2, v143
	v_add_f32_e32 v2, v2, v144
	s_delay_alu instid0(VALU_DEP_1) | instskip(NEXT) | instid1(VALU_DEP_1)
	v_add_f32_e32 v2, v2, v136
	v_add_f32_e32 v2, v2, v137
	;; [unrolled: 3-line block ×4, first 2 shown]
	s_delay_alu instid0(VALU_DEP_1) | instskip(NEXT) | instid1(VALU_DEP_1)
	v_dual_add_f32 v1, v1, v132 :: v_dual_add_f32 v2, v2, v145
	v_dual_add_f32 v1, v1, v133 :: v_dual_add_f32 v2, v2, v146
	s_delay_alu instid0(VALU_DEP_1) | instskip(NEXT) | instid1(VALU_DEP_1)
	v_dual_add_f32 v1, v1, v134 :: v_dual_add_f32 v2, v2, v149
	v_add_f32_e32 v1, v1, v135
	s_delay_alu instid0(VALU_DEP_1) | instskip(NEXT) | instid1(VALU_DEP_1)
	v_dual_add_f32 v2, v2, v151 :: v_dual_add_f32 v1, v1, v13
	v_dual_add_f32 v2, v2, v153 :: v_dual_add_f32 v1, v1, v14
	s_delay_alu instid0(VALU_DEP_1) | instskip(NEXT) | instid1(VALU_DEP_1)
	v_add_f32_e32 v2, v2, v155
	v_add_f32_e32 v2, v2, v157
	s_delay_alu instid0(VALU_DEP_1) | instskip(NEXT) | instid1(VALU_DEP_1)
	v_add_f32_e32 v2, v2, v159
	v_add_f32_e32 v2, v2, v161
	s_delay_alu instid0(VALU_DEP_1) | instskip(NEXT) | instid1(VALU_DEP_1)
	v_add_f32_e32 v2, v2, v163
	v_dual_add_f32 v2, v2, v165 :: v_dual_add_f32 v1, v1, v16
	s_delay_alu instid0(VALU_DEP_1) | instskip(NEXT) | instid1(VALU_DEP_1)
	v_dual_add_f32 v2, v2, v167 :: v_dual_add_f32 v1, v1, v17
	v_add_f32_e32 v1, v1, v138
	s_delay_alu instid0(VALU_DEP_1) | instskip(NEXT) | instid1(VALU_DEP_1)
	v_add_f32_e32 v1, v1, v139
	v_add_f32_e32 v1, v1, v147
	s_delay_alu instid0(VALU_DEP_1) | instskip(NEXT) | instid1(VALU_DEP_1)
	v_add_f32_e32 v1, v1, v148
	;; [unrolled: 3-line block ×8, first 2 shown]
	v_add_f32_e32 v6, v1, v174
	v_add_f32_e32 v2, v2, v169
	s_delay_alu instid0(VALU_DEP_2) | instskip(NEXT) | instid1(VALU_DEP_1)
	v_add_f32_e32 v14, v6, v176
	v_dual_mul_f32 v199, v7, v4 :: v_dual_add_f32 v14, v14, v178
	s_delay_alu instid0(VALU_DEP_1) | instskip(NEXT) | instid1(VALU_DEP_2)
	v_fmac_f32_e32 v199, v8, v3
	v_add_f32_e32 v17, v14, v180
	s_delay_alu instid0(VALU_DEP_1) | instskip(NEXT) | instid1(VALU_DEP_1)
	v_add_f32_e32 v17, v17, v182
	v_add_f32_e32 v17, v17, v184
	s_delay_alu instid0(VALU_DEP_1) | instskip(NEXT) | instid1(VALU_DEP_1)
	v_add_f32_e32 v17, v17, v186
	v_dual_add_f32 v22, v17, v188 :: v_dual_add_f32 v5, v2, v171
	ds_load_b128 v[1:4], v25 offset:752
	v_dual_add_f32 v22, v22, v190 :: v_dual_add_f32 v13, v5, v173
	scratch_load_b128 v[5:8], off, off offset:352
	v_dual_add_f32 v22, v22, v192 :: v_dual_add_f32 v13, v13, v175
	s_delay_alu instid0(VALU_DEP_1) | instskip(NEXT) | instid1(VALU_DEP_1)
	v_add_f32_e32 v13, v13, v177
	v_add_f32_e32 v18, v13, v179
	ds_load_b128 v[13:16], v25 offset:768
	s_wait_loadcnt_dscnt 0x101
	v_mul_f32_e32 v132, v3, v12
	v_mul_f32_e32 v26, v1, v10
	;; [unrolled: 1-line block ×3, first 2 shown]
	v_add_f32_e32 v18, v18, v181
	v_mul_f32_e32 v12, v4, v12
	v_fmac_f32_e32 v132, v4, v11
	v_fmac_f32_e32 v26, v2, v9
	v_fma_f32 v133, v1, v9, -v10
	v_add_f32_e32 v18, v18, v183
	v_fma_f32 v134, v3, v11, -v12
	s_clause 0x1
	scratch_load_b128 v[1:4], off, off offset:368
	scratch_load_b128 v[9:12], off, off offset:384
	v_add_f32_e32 v21, v18, v185
	scratch_load_b128 v[17:20], off, off offset:400
	v_add_f32_e32 v21, v21, v187
	s_delay_alu instid0(VALU_DEP_1)
	v_add_f32_e32 v21, v21, v189
	s_wait_loadcnt_dscnt 0x300
	v_mul_f32_e32 v135, v13, v6
	v_mul_f32_e32 v6, v14, v6
	;; [unrolled: 1-line block ×4, first 2 shown]
	s_delay_alu instid0(VALU_DEP_3) | instskip(SKIP_1) | instid1(VALU_DEP_4)
	v_fma_f32 v137, v13, v5, -v6
	v_add_f32_e32 v13, v21, v191
	v_dual_add_f32 v21, v22, v194 :: v_dual_fmac_f32 v136, v16, v7
	s_delay_alu instid0(VALU_DEP_4) | instskip(NEXT) | instid1(VALU_DEP_3)
	v_fma_f32 v138, v15, v7, -v8
	v_add_f32_e32 v22, v13, v193
	s_delay_alu instid0(VALU_DEP_1)
	v_dual_add_f32 v139, v21, v196 :: v_dual_add_f32 v142, v22, v195
	ds_load_b128 v[21:24], v25 offset:816
	v_fmac_f32_e32 v135, v14, v5
	ds_load_b128 v[5:8], v25 offset:784
	ds_load_b128 v[13:16], v25 offset:800
	v_add_f32_e32 v25, v139, v198
	v_add_f32_e32 v139, v142, v197
	s_delay_alu instid0(VALU_DEP_2) | instskip(NEXT) | instid1(VALU_DEP_2)
	v_add_f32_e32 v25, v25, v200
	v_add_f32_e32 v139, v139, v199
	s_delay_alu instid0(VALU_DEP_1) | instskip(NEXT) | instid1(VALU_DEP_1)
	v_dual_add_f32 v25, v25, v133 :: v_dual_add_f32 v26, v139, v26
	v_dual_add_f32 v25, v25, v134 :: v_dual_add_f32 v26, v26, v132
	s_wait_loadcnt_dscnt 0x2
	v_mul_f32_e32 v132, v21, v18
	s_wait_dscnt 0x1
	v_mul_f32_e32 v142, v5, v2
	v_dual_mul_f32 v2, v6, v2 :: v_dual_add_f32 v25, v25, v137
	v_dual_add_f32 v26, v26, v135 :: v_dual_mul_f32 v133, v7, v4
	v_mul_f32_e32 v4, v8, v4
	s_delay_alu instid0(VALU_DEP_3) | instskip(NEXT) | instid1(VALU_DEP_4)
	v_fma_f32 v2, v5, v1, -v2
	v_dual_fmac_f32 v142, v6, v1 :: v_dual_add_f32 v1, v25, v138
	s_delay_alu instid0(VALU_DEP_4)
	v_add_f32_e32 v5, v26, v136
	s_wait_dscnt 0x0
	v_mul_f32_e32 v139, v13, v10
	v_dual_mul_f32 v6, v14, v10 :: v_dual_fmac_f32 v133, v8, v3
	v_fma_f32 v3, v7, v3, -v4
	v_add_f32_e32 v1, v1, v2
	v_dual_add_f32 v2, v5, v142 :: v_dual_mul_f32 v143, v15, v12
	v_dual_mul_f32 v4, v16, v12 :: v_dual_fmac_f32 v139, v14, v9
	v_fma_f32 v5, v13, v9, -v6
	s_delay_alu instid0(VALU_DEP_3) | instskip(SKIP_3) | instid1(VALU_DEP_4)
	v_dual_add_f32 v1, v1, v3 :: v_dual_add_f32 v2, v2, v133
	v_mul_f32_e32 v3, v22, v18
	v_fmac_f32_e32 v143, v16, v11
	v_fma_f32 v4, v15, v11, -v4
	v_dual_add_f32 v1, v1, v5 :: v_dual_add_f32 v2, v2, v139
	v_mul_f32_e32 v134, v23, v20
	v_dual_mul_f32 v5, v24, v20 :: v_dual_fmac_f32 v132, v22, v17
	v_fma_f32 v3, v21, v17, -v3
	s_delay_alu instid0(VALU_DEP_4) | instskip(NEXT) | instid1(VALU_DEP_4)
	v_dual_add_f32 v1, v1, v4 :: v_dual_add_f32 v2, v2, v143
	v_fmac_f32_e32 v134, v24, v19
	s_delay_alu instid0(VALU_DEP_4) | instskip(NEXT) | instid1(VALU_DEP_3)
	v_fma_f32 v4, v23, v19, -v5
	v_dual_add_f32 v1, v1, v3 :: v_dual_add_f32 v2, v2, v132
	s_delay_alu instid0(VALU_DEP_1) | instskip(NEXT) | instid1(VALU_DEP_1)
	v_dual_add_f32 v1, v1, v4 :: v_dual_add_f32 v2, v2, v134
	v_dual_sub_f32 v1, v140, v1 :: v_dual_sub_f32 v2, v141, v2
	scratch_store_b64 off, v[1:2], off offset:8
	v_cmpx_ne_u32_e32 0, v0
	s_cbranch_execz .LBB51_325
; %bb.324:
	scratch_load_b64 v[0:1], off, off
	v_mov_b32_e32 v2, 0
	s_delay_alu instid0(VALU_DEP_1)
	v_mov_b32_e32 v3, v2
	scratch_store_b64 off, v[2:3], off
	s_wait_loadcnt 0x0
	ds_store_b64 v27, v[0:1]
.LBB51_325:
	s_wait_alu 0xfffe
	s_or_b32 exec_lo, exec_lo, s0
	s_wait_storecnt_dscnt 0x0
	s_barrier_signal -1
	s_barrier_wait -1
	global_inv scope:SCOPE_SE
	s_clause 0x6
	scratch_load_b128 v[0:3], off, off offset:8
	scratch_load_b128 v[4:7], off, off offset:24
	;; [unrolled: 1-line block ×7, first 2 shown]
	v_mov_b32_e32 v132, 0
	scratch_load_b64 v[141:142], off, off
	s_and_b32 vcc_lo, exec_lo, s18
	ds_load_2addr_b64 v[133:136], v132 offset0:53 offset1:54
	ds_load_2addr_b64 v[137:140], v132 offset0:55 offset1:56
	s_wait_loadcnt_dscnt 0x701
	v_dual_mul_f32 v143, v133, v1 :: v_dual_mul_f32 v144, v135, v3
	v_mul_f32_e32 v1, v134, v1
	v_mul_f32_e32 v3, v136, v3
	s_delay_alu instid0(VALU_DEP_3) | instskip(NEXT) | instid1(VALU_DEP_3)
	v_dual_fmac_f32 v143, v134, v0 :: v_dual_fmac_f32 v144, v136, v2
	v_fma_f32 v133, v133, v0, -v1
	s_wait_loadcnt_dscnt 0x600
	v_mul_f32_e32 v136, v137, v5
	v_fma_f32 v134, v135, v2, -v3
	ds_load_2addr_b64 v[0:3], v132 offset0:57 offset1:58
	v_mul_f32_e32 v135, v138, v5
	v_dual_mul_f32 v145, v139, v7 :: v_dual_fmac_f32 v136, v138, v4
	v_mul_f32_e32 v5, v140, v7
	s_delay_alu instid0(VALU_DEP_3) | instskip(NEXT) | instid1(VALU_DEP_3)
	v_fma_f32 v135, v137, v4, -v135
	v_fmac_f32_e32 v145, v140, v6
	s_delay_alu instid0(VALU_DEP_3) | instskip(SKIP_4) | instid1(VALU_DEP_2)
	v_fma_f32 v137, v139, v6, -v5
	ds_load_2addr_b64 v[4:7], v132 offset0:59 offset1:60
	s_wait_loadcnt_dscnt 0x501
	v_dual_mul_f32 v138, v0, v9 :: v_dual_mul_f32 v139, v2, v11
	v_mul_f32_e32 v9, v1, v9
	v_dual_mul_f32 v11, v3, v11 :: v_dual_fmac_f32 v138, v1, v8
	s_delay_alu instid0(VALU_DEP_3) | instskip(NEXT) | instid1(VALU_DEP_3)
	v_fmac_f32_e32 v139, v3, v10
	v_fma_f32 v140, v0, v8, -v9
	s_delay_alu instid0(VALU_DEP_3)
	v_fma_f32 v146, v2, v10, -v11
	ds_load_2addr_b64 v[0:3], v132 offset0:61 offset1:62
	s_wait_loadcnt_dscnt 0x401
	v_mul_f32_e32 v147, v4, v13
	v_dual_mul_f32 v8, v5, v13 :: v_dual_mul_f32 v13, v6, v15
	v_mul_f32_e32 v9, v7, v15
	s_delay_alu instid0(VALU_DEP_3) | instskip(NEXT) | instid1(VALU_DEP_3)
	v_fmac_f32_e32 v147, v5, v12
	v_fma_f32 v12, v4, v12, -v8
	s_delay_alu instid0(VALU_DEP_4) | instskip(NEXT) | instid1(VALU_DEP_4)
	v_fmac_f32_e32 v13, v7, v14
	v_fma_f32 v14, v6, v14, -v9
	ds_load_2addr_b64 v[4:7], v132 offset0:63 offset1:64
	s_wait_loadcnt_dscnt 0x301
	v_mul_f32_e32 v15, v0, v17
	v_dual_mul_f32 v8, v1, v17 :: v_dual_mul_f32 v17, v2, v19
	v_mul_f32_e32 v9, v3, v19
	s_delay_alu instid0(VALU_DEP_3) | instskip(NEXT) | instid1(VALU_DEP_3)
	v_fmac_f32_e32 v15, v1, v16
	v_fma_f32 v16, v0, v16, -v8
	s_delay_alu instid0(VALU_DEP_4) | instskip(NEXT) | instid1(VALU_DEP_4)
	v_fmac_f32_e32 v17, v3, v18
	v_fma_f32 v18, v2, v18, -v9
	ds_load_2addr_b64 v[0:3], v132 offset0:65 offset1:66
	s_wait_loadcnt_dscnt 0x201
	v_mul_f32_e32 v19, v4, v21
	v_dual_mul_f32 v8, v5, v21 :: v_dual_mul_f32 v21, v6, v23
	v_mul_f32_e32 v9, v7, v23
	s_delay_alu instid0(VALU_DEP_3) | instskip(NEXT) | instid1(VALU_DEP_3)
	v_fmac_f32_e32 v19, v5, v20
	v_fma_f32 v20, v4, v20, -v8
	s_delay_alu instid0(VALU_DEP_4) | instskip(NEXT) | instid1(VALU_DEP_4)
	v_fmac_f32_e32 v21, v7, v22
	v_fma_f32 v22, v6, v22, -v9
	ds_load_2addr_b64 v[4:7], v132 offset0:67 offset1:68
	s_wait_loadcnt_dscnt 0x101
	v_mul_f32_e32 v23, v0, v25
	v_dual_mul_f32 v8, v1, v25 :: v_dual_mul_f32 v25, v2, v27
	v_mul_f32_e32 v9, v3, v27
	s_delay_alu instid0(VALU_DEP_3) | instskip(NEXT) | instid1(VALU_DEP_3)
	v_fmac_f32_e32 v23, v1, v24
	v_fma_f32 v24, v0, v24, -v8
	s_delay_alu instid0(VALU_DEP_4) | instskip(NEXT) | instid1(VALU_DEP_4)
	v_fmac_f32_e32 v25, v3, v26
	v_fma_f32 v26, v2, v26, -v9
	s_clause 0x1
	scratch_load_b128 v[0:3], off, off offset:120
	scratch_load_b128 v[8:11], off, off offset:136
	s_wait_loadcnt_dscnt 0x100
	v_mul_f32_e32 v27, v4, v1
	v_mul_f32_e32 v1, v5, v1
	;; [unrolled: 1-line block ×3, first 2 shown]
	s_delay_alu instid0(VALU_DEP_3) | instskip(NEXT) | instid1(VALU_DEP_3)
	v_fmac_f32_e32 v27, v5, v0
	v_fma_f32 v148, v4, v0, -v1
	v_mul_f32_e32 v0, v7, v3
	s_delay_alu instid0(VALU_DEP_4) | instskip(NEXT) | instid1(VALU_DEP_2)
	v_fmac_f32_e32 v149, v7, v2
	v_fma_f32 v150, v6, v2, -v0
	ds_load_2addr_b64 v[0:3], v132 offset0:69 offset1:70
	ds_load_2addr_b64 v[4:7], v132 offset0:71 offset1:72
	s_wait_loadcnt_dscnt 0x1
	v_mul_f32_e32 v151, v0, v9
	s_delay_alu instid0(VALU_DEP_1) | instskip(SKIP_1) | instid1(VALU_DEP_1)
	v_fmac_f32_e32 v151, v1, v8
	v_mul_f32_e32 v1, v1, v9
	v_fma_f32 v152, v0, v8, -v1
	v_mul_f32_e32 v153, v2, v11
	v_mul_f32_e32 v0, v3, v11
	s_delay_alu instid0(VALU_DEP_2) | instskip(NEXT) | instid1(VALU_DEP_2)
	v_fmac_f32_e32 v153, v3, v10
	v_fma_f32 v154, v2, v10, -v0
	s_clause 0x1
	scratch_load_b128 v[0:3], off, off offset:152
	scratch_load_b128 v[8:11], off, off offset:168
	s_wait_loadcnt_dscnt 0x100
	v_mul_f32_e32 v155, v4, v1
	v_mul_f32_e32 v1, v5, v1
	v_mul_f32_e32 v157, v6, v3
	s_delay_alu instid0(VALU_DEP_3) | instskip(NEXT) | instid1(VALU_DEP_3)
	v_fmac_f32_e32 v155, v5, v0
	v_fma_f32 v156, v4, v0, -v1
	v_mul_f32_e32 v0, v7, v3
	s_delay_alu instid0(VALU_DEP_4) | instskip(NEXT) | instid1(VALU_DEP_2)
	v_fmac_f32_e32 v157, v7, v2
	v_fma_f32 v158, v6, v2, -v0
	ds_load_2addr_b64 v[0:3], v132 offset0:73 offset1:74
	ds_load_2addr_b64 v[4:7], v132 offset0:75 offset1:76
	s_wait_loadcnt_dscnt 0x1
	v_mul_f32_e32 v159, v0, v9
	v_mul_f32_e32 v161, v2, v11
	s_delay_alu instid0(VALU_DEP_2) | instskip(SKIP_1) | instid1(VALU_DEP_3)
	v_fmac_f32_e32 v159, v1, v8
	v_mul_f32_e32 v1, v1, v9
	v_fmac_f32_e32 v161, v3, v10
	s_delay_alu instid0(VALU_DEP_2) | instskip(SKIP_1) | instid1(VALU_DEP_1)
	v_fma_f32 v160, v0, v8, -v1
	v_mul_f32_e32 v0, v3, v11
	v_fma_f32 v162, v2, v10, -v0
	s_clause 0x1
	scratch_load_b128 v[0:3], off, off offset:184
	scratch_load_b128 v[8:11], off, off offset:200
	s_wait_loadcnt_dscnt 0x100
	v_mul_f32_e32 v163, v4, v1
	v_mul_f32_e32 v1, v5, v1
	v_mul_f32_e32 v165, v6, v3
	s_delay_alu instid0(VALU_DEP_3) | instskip(NEXT) | instid1(VALU_DEP_3)
	v_fmac_f32_e32 v163, v5, v0
	v_fma_f32 v164, v4, v0, -v1
	v_mul_f32_e32 v0, v7, v3
	s_delay_alu instid0(VALU_DEP_4) | instskip(NEXT) | instid1(VALU_DEP_2)
	v_fmac_f32_e32 v165, v7, v2
	v_fma_f32 v166, v6, v2, -v0
	ds_load_2addr_b64 v[0:3], v132 offset0:77 offset1:78
	ds_load_2addr_b64 v[4:7], v132 offset0:79 offset1:80
	s_wait_loadcnt_dscnt 0x1
	v_mul_f32_e32 v167, v0, v9
	v_mul_f32_e32 v169, v2, v11
	s_delay_alu instid0(VALU_DEP_2) | instskip(SKIP_1) | instid1(VALU_DEP_3)
	v_fmac_f32_e32 v167, v1, v8
	v_mul_f32_e32 v1, v1, v9
	v_fmac_f32_e32 v169, v3, v10
	s_delay_alu instid0(VALU_DEP_2) | instskip(SKIP_1) | instid1(VALU_DEP_1)
	v_fma_f32 v168, v0, v8, -v1
	v_mul_f32_e32 v0, v3, v11
	;; [unrolled: 27-line block ×5, first 2 shown]
	v_fma_f32 v194, v2, v10, -v0
	s_clause 0x1
	scratch_load_b128 v[0:3], off, off offset:312
	scratch_load_b128 v[8:11], off, off offset:328
	s_wait_loadcnt_dscnt 0x100
	v_mul_f32_e32 v195, v4, v1
	v_mul_f32_e32 v1, v5, v1
	;; [unrolled: 1-line block ×3, first 2 shown]
	s_delay_alu instid0(VALU_DEP_3) | instskip(NEXT) | instid1(VALU_DEP_3)
	v_fmac_f32_e32 v195, v5, v0
	v_fma_f32 v196, v4, v0, -v1
	v_mul_f32_e32 v0, v7, v3
	v_add_f32_e32 v1, 0, v143
	v_fmac_f32_e32 v197, v7, v2
	s_delay_alu instid0(VALU_DEP_3) | instskip(NEXT) | instid1(VALU_DEP_3)
	v_fma_f32 v198, v6, v2, -v0
	v_dual_add_f32 v0, 0, v133 :: v_dual_add_f32 v1, v1, v144
	s_delay_alu instid0(VALU_DEP_1) | instskip(NEXT) | instid1(VALU_DEP_1)
	v_dual_add_f32 v0, v0, v134 :: v_dual_add_f32 v1, v1, v136
	v_dual_add_f32 v0, v0, v135 :: v_dual_add_f32 v1, v1, v145
	s_delay_alu instid0(VALU_DEP_1) | instskip(NEXT) | instid1(VALU_DEP_1)
	v_dual_add_f32 v0, v0, v137 :: v_dual_add_f32 v1, v1, v138
	;; [unrolled: 3-line block ×6, first 2 shown]
	v_dual_add_f32 v0, v0, v24 :: v_dual_add_f32 v1, v1, v25
	scratch_load_b64 v[24:25], off, off offset:408
	v_dual_add_f32 v0, v0, v26 :: v_dual_add_f32 v1, v1, v27
	s_delay_alu instid0(VALU_DEP_1) | instskip(NEXT) | instid1(VALU_DEP_1)
	v_dual_add_f32 v0, v0, v148 :: v_dual_add_f32 v1, v1, v149
	v_dual_add_f32 v0, v0, v150 :: v_dual_add_f32 v1, v1, v151
	s_delay_alu instid0(VALU_DEP_1) | instskip(NEXT) | instid1(VALU_DEP_1)
	v_add_f32_e32 v0, v0, v152
	v_add_f32_e32 v0, v0, v154
	s_delay_alu instid0(VALU_DEP_1) | instskip(NEXT) | instid1(VALU_DEP_1)
	v_dual_add_f32 v0, v0, v156 :: v_dual_add_f32 v1, v1, v153
	v_dual_add_f32 v0, v0, v158 :: v_dual_add_f32 v1, v1, v155
	s_delay_alu instid0(VALU_DEP_1) | instskip(NEXT) | instid1(VALU_DEP_1)
	v_add_f32_e32 v0, v0, v160
	v_add_f32_e32 v0, v0, v162
	s_delay_alu instid0(VALU_DEP_1) | instskip(NEXT) | instid1(VALU_DEP_1)
	v_dual_add_f32 v0, v0, v164 :: v_dual_add_f32 v1, v1, v157
	v_dual_add_f32 v0, v0, v166 :: v_dual_add_f32 v1, v1, v159
	s_delay_alu instid0(VALU_DEP_1) | instskip(NEXT) | instid1(VALU_DEP_1)
	v_dual_add_f32 v0, v0, v168 :: v_dual_add_f32 v1, v1, v161
	v_add_f32_e32 v5, v0, v170
	s_delay_alu instid0(VALU_DEP_2) | instskip(NEXT) | instid1(VALU_DEP_2)
	v_add_f32_e32 v1, v1, v163
	v_add_f32_e32 v13, v5, v172
	s_delay_alu instid0(VALU_DEP_1) | instskip(NEXT) | instid1(VALU_DEP_1)
	v_add_f32_e32 v13, v13, v174
	v_add_f32_e32 v16, v13, v176
	s_delay_alu instid0(VALU_DEP_1) | instskip(NEXT) | instid1(VALU_DEP_1)
	v_add_f32_e32 v16, v16, v178
	v_dual_add_f32 v16, v16, v180 :: v_dual_add_f32 v1, v1, v165
	s_delay_alu instid0(VALU_DEP_1) | instskip(NEXT) | instid1(VALU_DEP_2)
	v_add_f32_e32 v16, v16, v182
	v_add_f32_e32 v4, v1, v167
	scratch_load_b128 v[0:3], off, off offset:344
	v_add_f32_e32 v21, v16, v184
	v_add_f32_e32 v12, v4, v169
	ds_load_2addr_b64 v[4:7], v132 offset0:93 offset1:94
	v_dual_add_f32 v21, v21, v186 :: v_dual_add_f32 v12, v12, v171
	s_delay_alu instid0(VALU_DEP_1) | instskip(NEXT) | instid1(VALU_DEP_1)
	v_dual_add_f32 v21, v21, v188 :: v_dual_add_f32 v12, v12, v173
	v_add_f32_e32 v21, v21, v190
	s_delay_alu instid0(VALU_DEP_2)
	v_add_f32_e32 v17, v12, v175
	ds_load_2addr_b64 v[12:15], v132 offset0:95 offset1:96
	v_add_f32_e32 v17, v17, v177
	s_wait_loadcnt_dscnt 0x201
	v_mul_f32_e32 v133, v4, v9
	v_dual_mul_f32 v9, v5, v9 :: v_dual_mul_f32 v134, v6, v11
	v_mul_f32_e32 v11, v7, v11
	v_add_f32_e32 v17, v17, v179
	s_delay_alu instid0(VALU_DEP_4) | instskip(NEXT) | instid1(VALU_DEP_4)
	v_fmac_f32_e32 v133, v5, v8
	v_fma_f32 v135, v4, v8, -v9
	v_fmac_f32_e32 v134, v7, v10
	v_fma_f32 v136, v6, v10, -v11
	s_clause 0x1
	scratch_load_b128 v[4:7], off, off offset:360
	scratch_load_b128 v[8:11], off, off offset:376
	v_add_f32_e32 v20, v17, v181
	scratch_load_b128 v[16:19], off, off offset:392
	v_add_f32_e32 v20, v20, v183
	s_delay_alu instid0(VALU_DEP_1) | instskip(NEXT) | instid1(VALU_DEP_1)
	v_add_f32_e32 v20, v20, v185
	v_add_f32_e32 v20, v20, v187
	s_wait_loadcnt_dscnt 0x300
	v_mul_f32_e32 v137, v12, v1
	v_dual_mul_f32 v1, v13, v1 :: v_dual_mul_f32 v138, v14, v3
	v_mul_f32_e32 v3, v15, v3
	s_delay_alu instid0(VALU_DEP_3) | instskip(NEXT) | instid1(VALU_DEP_3)
	v_fmac_f32_e32 v137, v13, v0
	v_fma_f32 v139, v12, v0, -v1
	v_dual_add_f32 v12, v20, v189 :: v_dual_add_f32 v13, v21, v192
	v_fmac_f32_e32 v138, v15, v2
	v_fma_f32 v140, v14, v2, -v3
	ds_load_2addr_b64 v[0:3], v132 offset0:97 offset1:98
	v_add_f32_e32 v20, v12, v191
	v_add_f32_e32 v26, v13, v194
	ds_load_2addr_b64 v[12:15], v132 offset0:99 offset1:100
	v_add_f32_e32 v27, v20, v193
	v_add_f32_e32 v143, v26, v196
	;; [unrolled: 3-line block ×3, first 2 shown]
	ds_load_b64 v[26:27], v132 offset:824
	v_dual_add_f32 v144, v144, v197 :: v_dual_add_f32 v135, v143, v135
	s_delay_alu instid0(VALU_DEP_1) | instskip(NEXT) | instid1(VALU_DEP_2)
	v_add_f32_e32 v133, v144, v133
	v_add_f32_e32 v135, v135, v136
	s_wait_loadcnt_dscnt 0x203
	v_mul_f32_e32 v145, v0, v5
	v_mul_f32_e32 v5, v1, v5
	;; [unrolled: 1-line block ×3, first 2 shown]
	v_add_f32_e32 v133, v133, v134
	v_add_f32_e32 v135, v135, v139
	v_mul_f32_e32 v7, v3, v7
	v_fmac_f32_e32 v145, v1, v4
	v_fma_f32 v0, v0, v4, -v5
	v_add_f32_e32 v133, v133, v137
	s_wait_loadcnt_dscnt 0x102
	v_dual_add_f32 v1, v135, v140 :: v_dual_mul_f32 v136, v12, v9
	v_mul_f32_e32 v5, v13, v9
	v_fmac_f32_e32 v143, v3, v6
	v_add_f32_e32 v4, v133, v138
	v_fma_f32 v2, v2, v6, -v7
	v_add_f32_e32 v0, v1, v0
	v_mul_f32_e32 v134, v14, v11
	v_mul_f32_e32 v3, v15, v11
	v_dual_add_f32 v1, v4, v145 :: v_dual_fmac_f32 v136, v13, v8
	v_fma_f32 v4, v12, v8, -v5
	v_add_f32_e32 v0, v0, v2
	s_wait_loadcnt_dscnt 0x1
	s_delay_alu instid0(VALU_DEP_3)
	v_dual_mul_f32 v144, v20, v17 :: v_dual_add_f32 v1, v1, v143
	v_mul_f32_e32 v2, v21, v17
	v_fmac_f32_e32 v134, v15, v10
	v_fma_f32 v3, v14, v10, -v3
	v_add_f32_e32 v0, v0, v4
	v_add_f32_e32 v1, v1, v136
	v_mul_f32_e32 v139, v22, v19
	v_mul_f32_e32 v4, v23, v19
	v_fmac_f32_e32 v144, v21, v16
	v_fma_f32 v2, v20, v16, -v2
	v_dual_add_f32 v0, v0, v3 :: v_dual_add_f32 v1, v1, v134
	s_wait_dscnt 0x0
	v_mul_f32_e32 v137, v26, v25
	v_mul_f32_e32 v3, v27, v25
	v_fmac_f32_e32 v139, v23, v18
	v_fma_f32 v4, v22, v18, -v4
	v_dual_add_f32 v0, v0, v2 :: v_dual_add_f32 v1, v1, v144
	v_fmac_f32_e32 v137, v27, v24
	v_fma_f32 v2, v26, v24, -v3
	s_delay_alu instid0(VALU_DEP_3) | instskip(NEXT) | instid1(VALU_DEP_1)
	v_dual_add_f32 v0, v0, v4 :: v_dual_add_f32 v1, v1, v139
	v_dual_add_f32 v0, v0, v2 :: v_dual_add_f32 v1, v1, v137
	s_delay_alu instid0(VALU_DEP_1)
	v_dual_sub_f32 v0, v141, v0 :: v_dual_sub_f32 v1, v142, v1
	scratch_store_b64 off, v[0:1], off
	s_wait_alu 0xfffe
	s_cbranch_vccz .LBB51_428
; %bb.326:
	global_load_b32 v0, v132, s[2:3] offset:200
	s_wait_loadcnt 0x0
	v_cmp_ne_u32_e32 vcc_lo, 51, v0
	s_cbranch_vccz .LBB51_328
; %bb.327:
	v_lshlrev_b32_e32 v0, 3, v0
	s_delay_alu instid0(VALU_DEP_1)
	v_mov_b32_e32 v4, v0
	scratch_load_b64 v[0:1], v4, off offset:-8
	scratch_load_b64 v[2:3], off, off offset:400
	s_wait_loadcnt 0x1
	scratch_store_b64 off, v[0:1], off offset:400
	s_wait_loadcnt 0x0
	scratch_store_b64 v4, v[2:3], off offset:-8
.LBB51_328:
	v_mov_b32_e32 v0, 0
	global_load_b32 v1, v0, s[2:3] offset:196
	s_wait_loadcnt 0x0
	v_cmp_eq_u32_e32 vcc_lo, 50, v1
	s_cbranch_vccnz .LBB51_330
; %bb.329:
	v_lshlrev_b32_e32 v1, 3, v1
	s_delay_alu instid0(VALU_DEP_1)
	v_mov_b32_e32 v5, v1
	scratch_load_b64 v[1:2], v5, off offset:-8
	scratch_load_b64 v[3:4], off, off offset:392
	s_wait_loadcnt 0x1
	scratch_store_b64 off, v[1:2], off offset:392
	s_wait_loadcnt 0x0
	scratch_store_b64 v5, v[3:4], off offset:-8
.LBB51_330:
	global_load_b32 v0, v0, s[2:3] offset:192
	s_wait_loadcnt 0x0
	v_cmp_eq_u32_e32 vcc_lo, 49, v0
	s_cbranch_vccnz .LBB51_332
; %bb.331:
	v_lshlrev_b32_e32 v0, 3, v0
	s_delay_alu instid0(VALU_DEP_1)
	v_mov_b32_e32 v4, v0
	scratch_load_b64 v[0:1], v4, off offset:-8
	scratch_load_b64 v[2:3], off, off offset:384
	s_wait_loadcnt 0x1
	scratch_store_b64 off, v[0:1], off offset:384
	s_wait_loadcnt 0x0
	scratch_store_b64 v4, v[2:3], off offset:-8
.LBB51_332:
	v_mov_b32_e32 v0, 0
	global_load_b32 v1, v0, s[2:3] offset:188
	s_wait_loadcnt 0x0
	v_cmp_eq_u32_e32 vcc_lo, 48, v1
	s_cbranch_vccnz .LBB51_334
; %bb.333:
	v_lshlrev_b32_e32 v1, 3, v1
	s_delay_alu instid0(VALU_DEP_1)
	v_mov_b32_e32 v5, v1
	scratch_load_b64 v[1:2], v5, off offset:-8
	scratch_load_b64 v[3:4], off, off offset:376
	s_wait_loadcnt 0x1
	scratch_store_b64 off, v[1:2], off offset:376
	s_wait_loadcnt 0x0
	scratch_store_b64 v5, v[3:4], off offset:-8
.LBB51_334:
	global_load_b32 v0, v0, s[2:3] offset:184
	s_wait_loadcnt 0x0
	v_cmp_eq_u32_e32 vcc_lo, 47, v0
	s_cbranch_vccnz .LBB51_336
; %bb.335:
	v_lshlrev_b32_e32 v0, 3, v0
	s_delay_alu instid0(VALU_DEP_1)
	v_mov_b32_e32 v4, v0
	scratch_load_b64 v[0:1], v4, off offset:-8
	scratch_load_b64 v[2:3], off, off offset:368
	s_wait_loadcnt 0x1
	scratch_store_b64 off, v[0:1], off offset:368
	s_wait_loadcnt 0x0
	scratch_store_b64 v4, v[2:3], off offset:-8
.LBB51_336:
	;; [unrolled: 31-line block ×24, first 2 shown]
	v_mov_b32_e32 v0, 0
	global_load_b32 v1, v0, s[2:3] offset:4
	s_wait_loadcnt 0x0
	v_cmp_eq_u32_e32 vcc_lo, 2, v1
	s_cbranch_vccnz .LBB51_426
; %bb.425:
	v_lshlrev_b32_e32 v1, 3, v1
	s_delay_alu instid0(VALU_DEP_1)
	v_mov_b32_e32 v5, v1
	scratch_load_b64 v[1:2], v5, off offset:-8
	scratch_load_b64 v[3:4], off, off offset:8
	s_wait_loadcnt 0x1
	scratch_store_b64 off, v[1:2], off offset:8
	s_wait_loadcnt 0x0
	scratch_store_b64 v5, v[3:4], off offset:-8
.LBB51_426:
	global_load_b32 v0, v0, s[2:3]
	s_wait_loadcnt 0x0
	v_cmp_eq_u32_e32 vcc_lo, 1, v0
	s_cbranch_vccnz .LBB51_428
; %bb.427:
	v_lshlrev_b32_e32 v0, 3, v0
	s_delay_alu instid0(VALU_DEP_1)
	v_mov_b32_e32 v4, v0
	scratch_load_b64 v[0:1], v4, off offset:-8
	scratch_load_b64 v[2:3], off, off
	s_wait_loadcnt 0x1
	scratch_store_b64 off, v[0:1], off
	s_wait_loadcnt 0x0
	scratch_store_b64 v4, v[2:3], off offset:-8
.LBB51_428:
	s_clause 0x19
	scratch_load_b128 v[0:3], off, off
	scratch_load_b128 v[4:7], off, off offset:16
	scratch_load_b128 v[8:11], off, off offset:32
	;; [unrolled: 1-line block ×25, first 2 shown]
	s_wait_loadcnt 0x19
	s_clause 0x1
	global_store_b64 v[28:29], v[0:1], off
	global_store_b64 v[30:31], v[2:3], off
	s_wait_loadcnt 0x18
	s_clause 0x1
	global_store_b64 v[32:33], v[4:5], off
	global_store_b64 v[34:35], v[6:7], off
	;; [unrolled: 4-line block ×26, first 2 shown]
	s_nop 0
	s_sendmsg sendmsg(MSG_DEALLOC_VGPRS)
	s_endpgm
	.section	.rodata,"a",@progbits
	.p2align	6, 0x0
	.amdhsa_kernel _ZN9rocsolver6v33100L18getri_kernel_smallILi52E19rocblas_complex_numIfEPS3_EEvT1_iilPiilS6_bb
		.amdhsa_group_segment_fixed_size 836
		.amdhsa_private_segment_fixed_size 432
		.amdhsa_kernarg_size 60
		.amdhsa_user_sgpr_count 2
		.amdhsa_user_sgpr_dispatch_ptr 0
		.amdhsa_user_sgpr_queue_ptr 0
		.amdhsa_user_sgpr_kernarg_segment_ptr 1
		.amdhsa_user_sgpr_dispatch_id 0
		.amdhsa_user_sgpr_private_segment_size 0
		.amdhsa_wavefront_size32 1
		.amdhsa_uses_dynamic_stack 0
		.amdhsa_enable_private_segment 1
		.amdhsa_system_sgpr_workgroup_id_x 1
		.amdhsa_system_sgpr_workgroup_id_y 0
		.amdhsa_system_sgpr_workgroup_id_z 0
		.amdhsa_system_sgpr_workgroup_info 0
		.amdhsa_system_vgpr_workitem_id 0
		.amdhsa_next_free_vgpr 254
		.amdhsa_next_free_sgpr 19
		.amdhsa_reserve_vcc 1
		.amdhsa_float_round_mode_32 0
		.amdhsa_float_round_mode_16_64 0
		.amdhsa_float_denorm_mode_32 3
		.amdhsa_float_denorm_mode_16_64 3
		.amdhsa_fp16_overflow 0
		.amdhsa_workgroup_processor_mode 1
		.amdhsa_memory_ordered 1
		.amdhsa_forward_progress 1
		.amdhsa_inst_pref_size 255
		.amdhsa_round_robin_scheduling 0
		.amdhsa_exception_fp_ieee_invalid_op 0
		.amdhsa_exception_fp_denorm_src 0
		.amdhsa_exception_fp_ieee_div_zero 0
		.amdhsa_exception_fp_ieee_overflow 0
		.amdhsa_exception_fp_ieee_underflow 0
		.amdhsa_exception_fp_ieee_inexact 0
		.amdhsa_exception_int_div_zero 0
	.end_amdhsa_kernel
	.section	.text._ZN9rocsolver6v33100L18getri_kernel_smallILi52E19rocblas_complex_numIfEPS3_EEvT1_iilPiilS6_bb,"axG",@progbits,_ZN9rocsolver6v33100L18getri_kernel_smallILi52E19rocblas_complex_numIfEPS3_EEvT1_iilPiilS6_bb,comdat
.Lfunc_end51:
	.size	_ZN9rocsolver6v33100L18getri_kernel_smallILi52E19rocblas_complex_numIfEPS3_EEvT1_iilPiilS6_bb, .Lfunc_end51-_ZN9rocsolver6v33100L18getri_kernel_smallILi52E19rocblas_complex_numIfEPS3_EEvT1_iilPiilS6_bb
                                        ; -- End function
	.set _ZN9rocsolver6v33100L18getri_kernel_smallILi52E19rocblas_complex_numIfEPS3_EEvT1_iilPiilS6_bb.num_vgpr, 254
	.set _ZN9rocsolver6v33100L18getri_kernel_smallILi52E19rocblas_complex_numIfEPS3_EEvT1_iilPiilS6_bb.num_agpr, 0
	.set _ZN9rocsolver6v33100L18getri_kernel_smallILi52E19rocblas_complex_numIfEPS3_EEvT1_iilPiilS6_bb.numbered_sgpr, 19
	.set _ZN9rocsolver6v33100L18getri_kernel_smallILi52E19rocblas_complex_numIfEPS3_EEvT1_iilPiilS6_bb.num_named_barrier, 0
	.set _ZN9rocsolver6v33100L18getri_kernel_smallILi52E19rocblas_complex_numIfEPS3_EEvT1_iilPiilS6_bb.private_seg_size, 432
	.set _ZN9rocsolver6v33100L18getri_kernel_smallILi52E19rocblas_complex_numIfEPS3_EEvT1_iilPiilS6_bb.uses_vcc, 1
	.set _ZN9rocsolver6v33100L18getri_kernel_smallILi52E19rocblas_complex_numIfEPS3_EEvT1_iilPiilS6_bb.uses_flat_scratch, 1
	.set _ZN9rocsolver6v33100L18getri_kernel_smallILi52E19rocblas_complex_numIfEPS3_EEvT1_iilPiilS6_bb.has_dyn_sized_stack, 0
	.set _ZN9rocsolver6v33100L18getri_kernel_smallILi52E19rocblas_complex_numIfEPS3_EEvT1_iilPiilS6_bb.has_recursion, 0
	.set _ZN9rocsolver6v33100L18getri_kernel_smallILi52E19rocblas_complex_numIfEPS3_EEvT1_iilPiilS6_bb.has_indirect_call, 0
	.section	.AMDGPU.csdata,"",@progbits
; Kernel info:
; codeLenInByte = 90360
; TotalNumSgprs: 21
; NumVgprs: 254
; ScratchSize: 432
; MemoryBound: 0
; FloatMode: 240
; IeeeMode: 1
; LDSByteSize: 836 bytes/workgroup (compile time only)
; SGPRBlocks: 0
; VGPRBlocks: 31
; NumSGPRsForWavesPerEU: 21
; NumVGPRsForWavesPerEU: 254
; Occupancy: 5
; WaveLimiterHint : 1
; COMPUTE_PGM_RSRC2:SCRATCH_EN: 1
; COMPUTE_PGM_RSRC2:USER_SGPR: 2
; COMPUTE_PGM_RSRC2:TRAP_HANDLER: 0
; COMPUTE_PGM_RSRC2:TGID_X_EN: 1
; COMPUTE_PGM_RSRC2:TGID_Y_EN: 0
; COMPUTE_PGM_RSRC2:TGID_Z_EN: 0
; COMPUTE_PGM_RSRC2:TIDIG_COMP_CNT: 0
	.section	.text._ZN9rocsolver6v33100L18getri_kernel_smallILi53E19rocblas_complex_numIfEPS3_EEvT1_iilPiilS6_bb,"axG",@progbits,_ZN9rocsolver6v33100L18getri_kernel_smallILi53E19rocblas_complex_numIfEPS3_EEvT1_iilPiilS6_bb,comdat
	.globl	_ZN9rocsolver6v33100L18getri_kernel_smallILi53E19rocblas_complex_numIfEPS3_EEvT1_iilPiilS6_bb ; -- Begin function _ZN9rocsolver6v33100L18getri_kernel_smallILi53E19rocblas_complex_numIfEPS3_EEvT1_iilPiilS6_bb
	.p2align	8
	.type	_ZN9rocsolver6v33100L18getri_kernel_smallILi53E19rocblas_complex_numIfEPS3_EEvT1_iilPiilS6_bb,@function
_ZN9rocsolver6v33100L18getri_kernel_smallILi53E19rocblas_complex_numIfEPS3_EEvT1_iilPiilS6_bb: ; @_ZN9rocsolver6v33100L18getri_kernel_smallILi53E19rocblas_complex_numIfEPS3_EEvT1_iilPiilS6_bb
; %bb.0:
	s_mov_b32 s2, exec_lo
	v_cmpx_gt_u32_e32 53, v0
	s_cbranch_execz .LBB52_226
; %bb.1:
	s_clause 0x2
	s_load_b32 s2, s[0:1], 0x38
	s_load_b128 s[12:15], s[0:1], 0x10
	s_load_b128 s[4:7], s[0:1], 0x28
	s_mov_b32 s16, ttmp9
	s_wait_kmcnt 0x0
	s_bitcmp1_b32 s2, 8
	s_cselect_b32 s18, -1, 0
	s_bfe_u32 s2, s2, 0x10008
	s_ashr_i32 s17, ttmp9, 31
	s_cmp_eq_u32 s2, 0
                                        ; implicit-def: $sgpr2_sgpr3
	s_cbranch_scc1 .LBB52_3
; %bb.2:
	s_load_b32 s2, s[0:1], 0x20
	s_mul_u64 s[4:5], s[4:5], s[16:17]
	s_delay_alu instid0(SALU_CYCLE_1) | instskip(NEXT) | instid1(SALU_CYCLE_1)
	s_lshl_b64 s[4:5], s[4:5], 2
	s_add_nc_u64 s[4:5], s[14:15], s[4:5]
	s_wait_kmcnt 0x0
	s_ashr_i32 s3, s2, 31
	s_delay_alu instid0(SALU_CYCLE_1) | instskip(NEXT) | instid1(SALU_CYCLE_1)
	s_lshl_b64 s[2:3], s[2:3], 2
	s_add_nc_u64 s[2:3], s[4:5], s[2:3]
.LBB52_3:
	s_clause 0x1
	s_load_b128 s[8:11], s[0:1], 0x0
	s_load_b32 s4, s[0:1], 0x38
	s_mul_u64 s[0:1], s[12:13], s[16:17]
	v_lshlrev_b32_e32 v13, 3, v0
	s_lshl_b64 s[0:1], s[0:1], 3
	s_wait_kmcnt 0x0
	v_add3_u32 v3, s11, s11, v0
	s_ashr_i32 s13, s10, 31
	s_mov_b32 s12, s10
	s_add_nc_u64 s[0:1], s[8:9], s[0:1]
	s_lshl_b64 s[12:13], s[12:13], 3
	v_add_nc_u32_e32 v5, s11, v3
	v_ashrrev_i32_e32 v4, 31, v3
	s_add_nc_u64 s[0:1], s[0:1], s[12:13]
	s_ashr_i32 s9, s11, 31
	v_add_co_u32 v25, s5, s0, v13
	v_add_nc_u32_e32 v7, s11, v5
	s_mov_b32 s8, s11
	v_lshlrev_b64_e32 v[3:4], 3, v[3:4]
	v_add_co_ci_u32_e64 v26, null, s1, 0, s5
	s_delay_alu instid0(VALU_DEP_3) | instskip(SKIP_3) | instid1(VALU_DEP_1)
	v_add_nc_u32_e32 v9, s11, v7
	s_lshl_b64 s[8:9], s[8:9], 3
	v_ashrrev_i32_e32 v6, 31, v5
	v_add_co_u32 v27, vcc_lo, v25, s8
	v_add_co_ci_u32_e64 v28, null, s9, v26, vcc_lo
	v_add_co_u32 v29, vcc_lo, s0, v3
	v_add_nc_u32_e32 v3, s11, v9
	v_lshlrev_b64_e32 v[5:6], 3, v[5:6]
	v_ashrrev_i32_e32 v8, 31, v7
	v_ashrrev_i32_e32 v10, 31, v9
	s_wait_alu 0xfffd
	v_add_co_ci_u32_e64 v30, null, s1, v4, vcc_lo
	v_add_nc_u32_e32 v11, s11, v3
	v_ashrrev_i32_e32 v4, 31, v3
	v_lshlrev_b64_e32 v[7:8], 3, v[7:8]
	v_add_co_u32 v31, vcc_lo, s0, v5
	s_wait_alu 0xfffd
	v_add_co_ci_u32_e64 v32, null, s1, v6, vcc_lo
	v_lshlrev_b64_e32 v[5:6], 3, v[9:10]
	v_add_nc_u32_e32 v16, s11, v11
	v_lshlrev_b64_e32 v[14:15], 3, v[3:4]
	v_ashrrev_i32_e32 v12, 31, v11
	v_add_co_u32 v33, vcc_lo, s0, v7
	s_delay_alu instid0(VALU_DEP_4)
	v_ashrrev_i32_e32 v17, 31, v16
	v_add_nc_u32_e32 v18, s11, v16
	s_wait_alu 0xfffd
	v_add_co_ci_u32_e64 v34, null, s1, v8, vcc_lo
	v_add_co_u32 v35, vcc_lo, s0, v5
	v_lshlrev_b64_e32 v[11:12], 3, v[11:12]
	s_wait_alu 0xfffd
	v_add_co_ci_u32_e64 v36, null, s1, v6, vcc_lo
	v_add_co_u32 v37, vcc_lo, s0, v14
	s_wait_alu 0xfffd
	v_add_co_ci_u32_e64 v38, null, s1, v15, vcc_lo
	v_lshlrev_b64_e32 v[14:15], 3, v[16:17]
	v_ashrrev_i32_e32 v19, 31, v18
	v_add_nc_u32_e32 v16, s11, v18
	v_add_co_u32 v39, vcc_lo, s0, v11
	s_wait_alu 0xfffd
	v_add_co_ci_u32_e64 v40, null, s1, v12, vcc_lo
	v_lshlrev_b64_e32 v[11:12], 3, v[18:19]
	v_ashrrev_i32_e32 v17, 31, v16
	v_add_nc_u32_e32 v18, s11, v16
	;; [unrolled: 6-line block ×24, first 2 shown]
	v_add_co_u32 v85, vcc_lo, s0, v14
	s_wait_alu 0xfffd
	v_add_co_ci_u32_e64 v86, null, s1, v15, vcc_lo
	v_lshlrev_b64_e32 v[14:15], 3, v[16:17]
	v_add_nc_u32_e32 v16, s11, v18
	v_ashrrev_i32_e32 v19, 31, v18
	v_add_co_u32 v87, vcc_lo, s0, v11
	s_wait_alu 0xfffd
	v_add_co_ci_u32_e64 v88, null, s1, v12, vcc_lo
	v_add_nc_u32_e32 v22, s11, v16
	v_lshlrev_b64_e32 v[11:12], 3, v[18:19]
	v_add_co_u32 v89, vcc_lo, s0, v14
	s_wait_alu 0xfffd
	v_add_co_ci_u32_e64 v90, null, s1, v15, vcc_lo
	v_ashrrev_i32_e32 v23, 31, v22
	s_delay_alu instid0(VALU_DEP_4) | instskip(SKIP_2) | instid1(VALU_DEP_3)
	v_add_co_u32 v91, vcc_lo, s0, v11
	s_wait_alu 0xfffd
	v_add_co_ci_u32_e64 v92, null, s1, v12, vcc_lo
	v_lshlrev_b64_e32 v[11:12], 3, v[22:23]
	v_add_nc_u32_e32 v22, s11, v22
	v_ashrrev_i32_e32 v17, 31, v16
	s_clause 0x4
	global_load_b64 v[1:2], v13, s[0:1]
	global_load_b64 v[3:4], v[27:28], off
	global_load_b64 v[5:6], v[29:30], off
	;; [unrolled: 1-line block ×4, first 2 shown]
	s_bitcmp0_b32 s4, 0
	v_add_nc_u32_e32 v99, s11, v22
	v_ashrrev_i32_e32 v23, 31, v22
	v_lshlrev_b64_e32 v[14:15], 3, v[16:17]
	s_delay_alu instid0(VALU_DEP_3) | instskip(NEXT) | instid1(VALU_DEP_3)
	v_add_nc_u32_e32 v101, s11, v99
	v_lshlrev_b64_e32 v[22:23], 3, v[22:23]
	v_ashrrev_i32_e32 v100, 31, v99
	s_delay_alu instid0(VALU_DEP_4)
	v_add_co_u32 v93, vcc_lo, s0, v14
	s_wait_alu 0xfffd
	v_add_co_ci_u32_e64 v94, null, s1, v15, vcc_lo
	v_add_co_u32 v95, vcc_lo, s0, v11
	v_add_nc_u32_e32 v103, s11, v101
	s_wait_alu 0xfffd
	v_add_co_ci_u32_e64 v96, null, s1, v12, vcc_lo
	v_add_co_u32 v97, vcc_lo, s0, v22
	s_wait_alu 0xfffd
	v_add_co_ci_u32_e64 v98, null, s1, v23, vcc_lo
	v_lshlrev_b64_e32 v[22:23], 3, v[99:100]
	v_ashrrev_i32_e32 v102, 31, v101
	v_add_nc_u32_e32 v105, s11, v103
	v_ashrrev_i32_e32 v104, 31, v103
	s_clause 0x13
	global_load_b64 v[11:12], v[35:36], off
	global_load_b64 v[14:15], v[37:38], off
	;; [unrolled: 1-line block ×20, first 2 shown]
	v_lshlrev_b64_e32 v[101:102], 3, v[101:102]
	v_add_co_u32 v99, vcc_lo, s0, v22
	v_ashrrev_i32_e32 v106, 31, v105
	s_wait_alu 0xfffd
	v_add_co_ci_u32_e64 v100, null, s1, v23, vcc_lo
	v_lshlrev_b64_e32 v[22:23], 3, v[103:104]
	v_add_nc_u32_e32 v108, s11, v105
	v_lshlrev_b64_e32 v[106:107], 3, v[105:106]
	v_add_co_u32 v101, vcc_lo, s0, v101
	s_wait_alu 0xfffd
	v_add_co_ci_u32_e64 v102, null, s1, v102, vcc_lo
	v_add_co_u32 v103, vcc_lo, s0, v22
	v_ashrrev_i32_e32 v109, 31, v108
	v_add_nc_u32_e32 v22, s11, v108
	s_wait_alu 0xfffd
	v_add_co_ci_u32_e64 v104, null, s1, v23, vcc_lo
	v_add_co_u32 v105, vcc_lo, s0, v106
	s_wait_alu 0xfffd
	v_add_co_ci_u32_e64 v106, null, s1, v107, vcc_lo
	v_lshlrev_b64_e32 v[107:108], 3, v[108:109]
	v_add_nc_u32_e32 v109, s11, v22
	v_ashrrev_i32_e32 v23, 31, v22
	s_clause 0xb
	global_load_b64 v[161:162], v[75:76], off
	global_load_b64 v[163:164], v[77:78], off
	;; [unrolled: 1-line block ×12, first 2 shown]
	v_add_nc_u32_e32 v111, s11, v109
	v_lshlrev_b64_e32 v[22:23], 3, v[22:23]
	v_ashrrev_i32_e32 v110, 31, v109
	v_add_co_u32 v107, vcc_lo, s0, v107
	s_delay_alu instid0(VALU_DEP_4)
	v_add_nc_u32_e32 v115, s11, v111
	v_ashrrev_i32_e32 v112, 31, v111
	s_wait_alu 0xfffd
	v_add_co_ci_u32_e64 v108, null, s1, v108, vcc_lo
	v_lshlrev_b64_e32 v[113:114], 3, v[109:110]
	v_add_co_u32 v109, vcc_lo, s0, v22
	v_add_nc_u32_e32 v117, s11, v115
	s_wait_alu 0xfffd
	v_add_co_ci_u32_e64 v110, null, s1, v23, vcc_lo
	v_lshlrev_b64_e32 v[22:23], 3, v[111:112]
	v_ashrrev_i32_e32 v116, 31, v115
	v_add_co_u32 v111, vcc_lo, s0, v113
	v_add_nc_u32_e32 v119, s11, v117
	s_wait_alu 0xfffd
	v_add_co_ci_u32_e64 v112, null, s1, v114, vcc_lo
	v_add_co_u32 v113, vcc_lo, s0, v22
	s_wait_alu 0xfffd
	v_add_co_ci_u32_e64 v114, null, s1, v23, vcc_lo
	v_lshlrev_b64_e32 v[22:23], 3, v[115:116]
	v_ashrrev_i32_e32 v118, 31, v117
	v_add_nc_u32_e32 v121, s11, v119
	v_ashrrev_i32_e32 v120, 31, v119
	s_clause 0x7
	global_load_b64 v[185:186], v[99:100], off
	global_load_b64 v[187:188], v[101:102], off
	;; [unrolled: 1-line block ×8, first 2 shown]
	v_lshlrev_b64_e32 v[117:118], 3, v[117:118]
	v_add_co_u32 v115, vcc_lo, s0, v22
	v_ashrrev_i32_e32 v122, 31, v121
	s_wait_alu 0xfffd
	v_add_co_ci_u32_e64 v116, null, s1, v23, vcc_lo
	v_lshlrev_b64_e32 v[22:23], 3, v[119:120]
	v_add_nc_u32_e32 v124, s11, v121
	v_lshlrev_b64_e32 v[122:123], 3, v[121:122]
	v_add_co_u32 v117, vcc_lo, s0, v117
	s_wait_alu 0xfffd
	v_add_co_ci_u32_e64 v118, null, s1, v118, vcc_lo
	v_add_co_u32 v119, vcc_lo, s0, v22
	v_ashrrev_i32_e32 v125, 31, v124
	v_add_nc_u32_e32 v22, s11, v124
	s_wait_alu 0xfffd
	v_add_co_ci_u32_e64 v120, null, s1, v23, vcc_lo
	v_add_co_u32 v121, vcc_lo, s0, v122
	s_wait_alu 0xfffd
	v_add_co_ci_u32_e64 v122, null, s1, v123, vcc_lo
	v_lshlrev_b64_e32 v[123:124], 3, v[124:125]
	v_add_nc_u32_e32 v125, s11, v22
	v_ashrrev_i32_e32 v23, 31, v22
	s_clause 0x3
	global_load_b64 v[201:202], v[115:116], off
	global_load_b64 v[203:204], v[117:118], off
	;; [unrolled: 1-line block ×4, first 2 shown]
	v_add_nc_u32_e32 v127, s11, v125
	v_lshlrev_b64_e32 v[22:23], 3, v[22:23]
	v_ashrrev_i32_e32 v126, 31, v125
	v_add_co_u32 v123, vcc_lo, s0, v123
	s_delay_alu instid0(VALU_DEP_4)
	v_ashrrev_i32_e32 v128, 31, v127
	s_wait_alu 0xfffd
	v_add_co_ci_u32_e64 v124, null, s1, v124, vcc_lo
	v_lshlrev_b64_e32 v[129:130], 3, v[125:126]
	v_add_co_u32 v125, vcc_lo, s0, v22
	s_wait_alu 0xfffd
	v_add_co_ci_u32_e64 v126, null, s1, v23, vcc_lo
	v_lshlrev_b64_e32 v[22:23], 3, v[127:128]
	s_delay_alu instid0(VALU_DEP_4) | instskip(SKIP_2) | instid1(VALU_DEP_3)
	v_add_co_u32 v127, vcc_lo, s0, v129
	s_wait_alu 0xfffd
	v_add_co_ci_u32_e64 v128, null, s1, v130, vcc_lo
	v_add_co_u32 v129, vcc_lo, s0, v22
	s_wait_alu 0xfffd
	v_add_co_ci_u32_e64 v130, null, s1, v23, vcc_lo
	s_clause 0x3
	global_load_b64 v[209:210], v[123:124], off
	global_load_b64 v[211:212], v[125:126], off
	;; [unrolled: 1-line block ×4, first 2 shown]
	s_mov_b32 s1, -1
	s_wait_loadcnt 0x33
	scratch_store_b128 off, v[1:4], off
	s_wait_loadcnt 0x31
	scratch_store_b128 off, v[5:8], off offset:16
	s_wait_loadcnt 0x2f
	scratch_store_b128 off, v[9:12], off offset:32
	;; [unrolled: 2-line block ×25, first 2 shown]
	s_wait_loadcnt 0x0
	scratch_store_b64 off, v[22:23], off offset:416
	s_cbranch_scc1 .LBB52_224
; %bb.4:
	v_cmp_eq_u32_e64 s0, 0, v0
	s_and_saveexec_b32 s1, s0
; %bb.5:
	v_mov_b32_e32 v1, 0
	ds_store_b32 v1, v1 offset:424
; %bb.6:
	s_wait_alu 0xfffe
	s_or_b32 exec_lo, exec_lo, s1
	s_wait_storecnt_dscnt 0x0
	s_barrier_signal -1
	s_barrier_wait -1
	global_inv scope:SCOPE_SE
	scratch_load_b64 v[1:2], v13, off
	s_wait_loadcnt 0x0
	v_cmp_eq_f32_e32 vcc_lo, 0, v1
	v_cmp_eq_f32_e64 s1, 0, v2
	s_and_b32 s1, vcc_lo, s1
	s_wait_alu 0xfffe
	s_and_saveexec_b32 s4, s1
	s_cbranch_execz .LBB52_10
; %bb.7:
	v_mov_b32_e32 v1, 0
	s_mov_b32 s5, 0
	ds_load_b32 v2, v1 offset:424
	s_wait_dscnt 0x0
	v_readfirstlane_b32 s1, v2
	v_add_nc_u32_e32 v2, 1, v0
	s_cmp_eq_u32 s1, 0
	s_delay_alu instid0(VALU_DEP_1)
	v_cmp_gt_i32_e32 vcc_lo, s1, v2
	s_cselect_b32 s8, -1, 0
	s_wait_alu 0xfffe
	s_or_b32 s8, s8, vcc_lo
	s_wait_alu 0xfffe
	s_and_b32 exec_lo, exec_lo, s8
	s_cbranch_execz .LBB52_10
; %bb.8:
	v_mov_b32_e32 v3, s1
.LBB52_9:                               ; =>This Inner Loop Header: Depth=1
	ds_cmpstore_rtn_b32 v3, v1, v2, v3 offset:424
	s_wait_dscnt 0x0
	v_cmp_ne_u32_e32 vcc_lo, 0, v3
	v_cmp_le_i32_e64 s1, v3, v2
	s_and_b32 s1, vcc_lo, s1
	s_wait_alu 0xfffe
	s_and_b32 s1, exec_lo, s1
	s_wait_alu 0xfffe
	s_or_b32 s5, s1, s5
	s_wait_alu 0xfffe
	s_and_not1_b32 exec_lo, exec_lo, s5
	s_cbranch_execnz .LBB52_9
.LBB52_10:
	s_wait_alu 0xfffe
	s_or_b32 exec_lo, exec_lo, s4
	v_mov_b32_e32 v1, 0
	s_barrier_signal -1
	s_barrier_wait -1
	global_inv scope:SCOPE_SE
	ds_load_b32 v2, v1 offset:424
	s_and_saveexec_b32 s1, s0
	s_cbranch_execz .LBB52_12
; %bb.11:
	s_lshl_b64 s[4:5], s[16:17], 2
	s_wait_alu 0xfffe
	s_add_nc_u64 s[4:5], s[6:7], s[4:5]
	s_wait_dscnt 0x0
	global_store_b32 v1, v2, s[4:5]
.LBB52_12:
	s_wait_alu 0xfffe
	s_or_b32 exec_lo, exec_lo, s1
	s_wait_dscnt 0x0
	v_cmp_ne_u32_e32 vcc_lo, 0, v2
	s_mov_b32 s1, 0
	s_cbranch_vccnz .LBB52_224
; %bb.13:
	v_mov_b32_e32 v7, v13
                                        ; implicit-def: $vgpr3
                                        ; implicit-def: $vgpr5
	scratch_load_b64 v[1:2], v7, off
	s_wait_loadcnt 0x0
	v_cmp_ngt_f32_e64 s1, |v1|, |v2|
	s_wait_alu 0xfffe
	s_and_saveexec_b32 s4, s1
	s_wait_alu 0xfffe
	s_xor_b32 s1, exec_lo, s4
	s_cbranch_execz .LBB52_15
; %bb.14:
	v_div_scale_f32 v3, null, v2, v2, v1
	v_div_scale_f32 v6, vcc_lo, v1, v2, v1
	s_delay_alu instid0(VALU_DEP_2) | instskip(NEXT) | instid1(TRANS32_DEP_1)
	v_rcp_f32_e32 v4, v3
	v_fma_f32 v5, -v3, v4, 1.0
	s_delay_alu instid0(VALU_DEP_1) | instskip(NEXT) | instid1(VALU_DEP_1)
	v_fmac_f32_e32 v4, v5, v4
	v_mul_f32_e32 v5, v6, v4
	s_delay_alu instid0(VALU_DEP_1) | instskip(NEXT) | instid1(VALU_DEP_1)
	v_fma_f32 v8, -v3, v5, v6
	v_fmac_f32_e32 v5, v8, v4
	s_delay_alu instid0(VALU_DEP_1) | instskip(SKIP_1) | instid1(VALU_DEP_1)
	v_fma_f32 v3, -v3, v5, v6
	s_wait_alu 0xfffd
	v_div_fmas_f32 v3, v3, v4, v5
	s_delay_alu instid0(VALU_DEP_1) | instskip(NEXT) | instid1(VALU_DEP_1)
	v_div_fixup_f32 v3, v3, v2, v1
	v_fmac_f32_e32 v2, v1, v3
	s_delay_alu instid0(VALU_DEP_1) | instskip(NEXT) | instid1(VALU_DEP_1)
	v_div_scale_f32 v1, null, v2, v2, 1.0
	v_rcp_f32_e32 v4, v1
	s_delay_alu instid0(TRANS32_DEP_1) | instskip(NEXT) | instid1(VALU_DEP_1)
	v_fma_f32 v5, -v1, v4, 1.0
	v_fmac_f32_e32 v4, v5, v4
	v_div_scale_f32 v5, vcc_lo, 1.0, v2, 1.0
	s_delay_alu instid0(VALU_DEP_1) | instskip(NEXT) | instid1(VALU_DEP_1)
	v_mul_f32_e32 v6, v5, v4
	v_fma_f32 v8, -v1, v6, v5
	s_delay_alu instid0(VALU_DEP_1) | instskip(NEXT) | instid1(VALU_DEP_1)
	v_fmac_f32_e32 v6, v8, v4
	v_fma_f32 v1, -v1, v6, v5
	s_wait_alu 0xfffd
	s_delay_alu instid0(VALU_DEP_1) | instskip(NEXT) | instid1(VALU_DEP_1)
	v_div_fmas_f32 v1, v1, v4, v6
	v_div_fixup_f32 v1, v1, v2, 1.0
	s_delay_alu instid0(VALU_DEP_1) | instskip(SKIP_1) | instid1(VALU_DEP_2)
	v_mul_f32_e32 v3, v3, v1
	v_xor_b32_e32 v4, 0x80000000, v1
                                        ; implicit-def: $vgpr1_vgpr2
	v_xor_b32_e32 v5, 0x80000000, v3
.LBB52_15:
	s_wait_alu 0xfffe
	s_and_not1_saveexec_b32 s1, s1
	s_cbranch_execz .LBB52_17
; %bb.16:
	v_div_scale_f32 v3, null, v1, v1, v2
	v_div_scale_f32 v6, vcc_lo, v2, v1, v2
	s_delay_alu instid0(VALU_DEP_2) | instskip(NEXT) | instid1(TRANS32_DEP_1)
	v_rcp_f32_e32 v4, v3
	v_fma_f32 v5, -v3, v4, 1.0
	s_delay_alu instid0(VALU_DEP_1) | instskip(NEXT) | instid1(VALU_DEP_1)
	v_fmac_f32_e32 v4, v5, v4
	v_mul_f32_e32 v5, v6, v4
	s_delay_alu instid0(VALU_DEP_1) | instskip(NEXT) | instid1(VALU_DEP_1)
	v_fma_f32 v8, -v3, v5, v6
	v_fmac_f32_e32 v5, v8, v4
	s_delay_alu instid0(VALU_DEP_1) | instskip(SKIP_1) | instid1(VALU_DEP_1)
	v_fma_f32 v3, -v3, v5, v6
	s_wait_alu 0xfffd
	v_div_fmas_f32 v3, v3, v4, v5
	s_delay_alu instid0(VALU_DEP_1) | instskip(NEXT) | instid1(VALU_DEP_1)
	v_div_fixup_f32 v4, v3, v1, v2
	v_fmac_f32_e32 v1, v2, v4
	s_delay_alu instid0(VALU_DEP_1) | instskip(SKIP_1) | instid1(VALU_DEP_2)
	v_div_scale_f32 v2, null, v1, v1, 1.0
	v_div_scale_f32 v6, vcc_lo, 1.0, v1, 1.0
	v_rcp_f32_e32 v3, v2
	s_delay_alu instid0(TRANS32_DEP_1) | instskip(NEXT) | instid1(VALU_DEP_1)
	v_fma_f32 v5, -v2, v3, 1.0
	v_fmac_f32_e32 v3, v5, v3
	s_delay_alu instid0(VALU_DEP_1) | instskip(NEXT) | instid1(VALU_DEP_1)
	v_mul_f32_e32 v5, v6, v3
	v_fma_f32 v8, -v2, v5, v6
	s_delay_alu instid0(VALU_DEP_1) | instskip(NEXT) | instid1(VALU_DEP_1)
	v_fmac_f32_e32 v5, v8, v3
	v_fma_f32 v2, -v2, v5, v6
	s_wait_alu 0xfffd
	s_delay_alu instid0(VALU_DEP_1) | instskip(NEXT) | instid1(VALU_DEP_1)
	v_div_fmas_f32 v2, v2, v3, v5
	v_div_fixup_f32 v3, v2, v1, 1.0
	s_delay_alu instid0(VALU_DEP_1)
	v_xor_b32_e32 v5, 0x80000000, v3
	v_mul_f32_e64 v4, v4, -v3
.LBB52_17:
	s_wait_alu 0xfffe
	s_or_b32 exec_lo, exec_lo, s1
	scratch_store_b64 v7, v[3:4], off
	scratch_load_b64 v[2:3], off, off offset:8
	v_xor_b32_e32 v6, 0x80000000, v4
	v_add_nc_u32_e32 v1, 0x1b0, v13
	s_wait_loadcnt 0x0
	ds_store_2addr_b64 v13, v[5:6], v[2:3] offset1:54
	s_wait_storecnt_dscnt 0x0
	s_barrier_signal -1
	s_barrier_wait -1
	global_inv scope:SCOPE_SE
	s_and_saveexec_b32 s1, s0
	s_cbranch_execz .LBB52_19
; %bb.18:
	scratch_load_b64 v[2:3], v7, off
	ds_load_b64 v[4:5], v1
	v_mov_b32_e32 v6, 0
	ds_load_b64 v[8:9], v6 offset:8
	s_wait_loadcnt_dscnt 0x1
	v_mul_f32_e32 v6, v4, v3
	v_mul_f32_e32 v3, v5, v3
	s_delay_alu instid0(VALU_DEP_2) | instskip(NEXT) | instid1(VALU_DEP_2)
	v_fmac_f32_e32 v6, v5, v2
	v_fma_f32 v2, v4, v2, -v3
	s_delay_alu instid0(VALU_DEP_2) | instskip(SKIP_1) | instid1(VALU_DEP_1)
	v_add_f32_e32 v4, 0, v6
	s_wait_dscnt 0x0
	v_dual_add_f32 v2, 0, v2 :: v_dual_mul_f32 v5, v4, v9
	s_delay_alu instid0(VALU_DEP_1) | instskip(NEXT) | instid1(VALU_DEP_1)
	v_mul_f32_e32 v3, v2, v9
	v_fmac_f32_e32 v3, v4, v8
	s_delay_alu instid0(VALU_DEP_3)
	v_fma_f32 v2, v2, v8, -v5
	scratch_store_b64 off, v[2:3], off offset:8
.LBB52_19:
	s_wait_alu 0xfffe
	s_or_b32 exec_lo, exec_lo, s1
	s_wait_loadcnt 0x0
	s_wait_storecnt 0x0
	s_barrier_signal -1
	s_barrier_wait -1
	global_inv scope:SCOPE_SE
	scratch_load_b64 v[2:3], off, off offset:16
	s_mov_b32 s1, exec_lo
	s_wait_loadcnt 0x0
	ds_store_b64 v1, v[2:3]
	s_wait_dscnt 0x0
	s_barrier_signal -1
	s_barrier_wait -1
	global_inv scope:SCOPE_SE
	v_cmpx_gt_u32_e32 2, v0
	s_cbranch_execz .LBB52_23
; %bb.20:
	scratch_load_b64 v[2:3], v7, off
	ds_load_b64 v[4:5], v1
	s_wait_loadcnt_dscnt 0x0
	v_mul_f32_e32 v6, v5, v3
	v_mul_f32_e32 v8, v4, v3
	s_delay_alu instid0(VALU_DEP_2) | instskip(NEXT) | instid1(VALU_DEP_1)
	v_fma_f32 v3, v4, v2, -v6
	v_dual_fmac_f32 v8, v5, v2 :: v_dual_add_f32 v3, 0, v3
	s_delay_alu instid0(VALU_DEP_1)
	v_add_f32_e32 v2, 0, v8
	s_and_saveexec_b32 s4, s0
	s_cbranch_execz .LBB52_22
; %bb.21:
	scratch_load_b64 v[4:5], off, off offset:8
	v_mov_b32_e32 v6, 0
	ds_load_b64 v[8:9], v6 offset:440
	s_wait_loadcnt_dscnt 0x0
	v_mul_f32_e32 v6, v8, v5
	v_mul_f32_e32 v5, v9, v5
	s_delay_alu instid0(VALU_DEP_2) | instskip(NEXT) | instid1(VALU_DEP_2)
	v_fmac_f32_e32 v6, v9, v4
	v_fma_f32 v4, v8, v4, -v5
	s_delay_alu instid0(VALU_DEP_1)
	v_dual_add_f32 v2, v2, v6 :: v_dual_add_f32 v3, v3, v4
.LBB52_22:
	s_wait_alu 0xfffe
	s_or_b32 exec_lo, exec_lo, s4
	v_mov_b32_e32 v4, 0
	ds_load_b64 v[4:5], v4 offset:16
	s_wait_dscnt 0x0
	v_mul_f32_e32 v8, v2, v5
	v_mul_f32_e32 v6, v3, v5
	s_delay_alu instid0(VALU_DEP_2) | instskip(NEXT) | instid1(VALU_DEP_2)
	v_fma_f32 v5, v3, v4, -v8
	v_fmac_f32_e32 v6, v2, v4
	scratch_store_b64 off, v[5:6], off offset:16
.LBB52_23:
	s_wait_alu 0xfffe
	s_or_b32 exec_lo, exec_lo, s1
	s_wait_loadcnt 0x0
	s_wait_storecnt 0x0
	s_barrier_signal -1
	s_barrier_wait -1
	global_inv scope:SCOPE_SE
	scratch_load_b64 v[3:4], off, off offset:24
	v_add_nc_u32_e32 v2, -1, v0
	s_mov_b32 s0, exec_lo
	s_wait_loadcnt 0x0
	ds_store_b64 v1, v[3:4]
	s_wait_dscnt 0x0
	s_barrier_signal -1
	s_barrier_wait -1
	global_inv scope:SCOPE_SE
	v_cmpx_gt_u32_e32 3, v0
	s_cbranch_execz .LBB52_27
; %bb.24:
	v_dual_mov_b32 v3, 0 :: v_dual_add_nc_u32 v4, -1, v0
	v_dual_mov_b32 v6, v13 :: v_dual_add_nc_u32 v5, 0x1b0, v13
	v_mov_b32_e32 v8, 0
	s_mov_b32 s1, 0
.LBB52_25:                              ; =>This Inner Loop Header: Depth=1
	scratch_load_b64 v[9:10], v6, off
	ds_load_b64 v[11:12], v5
	v_add_nc_u32_e32 v6, 8, v6
	s_wait_loadcnt_dscnt 0x0
	v_dual_mul_f32 v14, v12, v10 :: v_dual_add_nc_u32 v5, 8, v5
	v_mul_f32_e32 v10, v11, v10
	s_delay_alu instid0(VALU_DEP_2) | instskip(NEXT) | instid1(VALU_DEP_2)
	v_fma_f32 v11, v11, v9, -v14
	v_fmac_f32_e32 v10, v12, v9
	v_add_nc_u32_e32 v4, 1, v4
	s_delay_alu instid0(VALU_DEP_2) | instskip(NEXT) | instid1(VALU_DEP_2)
	v_dual_add_f32 v8, v8, v11 :: v_dual_add_f32 v3, v3, v10
	v_cmp_lt_u32_e32 vcc_lo, 1, v4
	s_wait_alu 0xfffe
	s_or_b32 s1, vcc_lo, s1
	s_wait_alu 0xfffe
	s_and_not1_b32 exec_lo, exec_lo, s1
	s_cbranch_execnz .LBB52_25
; %bb.26:
	s_or_b32 exec_lo, exec_lo, s1
	v_mov_b32_e32 v4, 0
	ds_load_b64 v[4:5], v4 offset:24
	s_wait_dscnt 0x0
	v_mul_f32_e32 v9, v3, v5
	v_mul_f32_e32 v6, v8, v5
	s_delay_alu instid0(VALU_DEP_2) | instskip(NEXT) | instid1(VALU_DEP_2)
	v_fma_f32 v5, v8, v4, -v9
	v_fmac_f32_e32 v6, v3, v4
	scratch_store_b64 off, v[5:6], off offset:24
.LBB52_27:
	s_wait_alu 0xfffe
	s_or_b32 exec_lo, exec_lo, s0
	s_wait_loadcnt 0x0
	s_wait_storecnt 0x0
	s_barrier_signal -1
	s_barrier_wait -1
	global_inv scope:SCOPE_SE
	scratch_load_b64 v[3:4], off, off offset:32
	s_mov_b32 s0, exec_lo
	s_wait_loadcnt 0x0
	ds_store_b64 v1, v[3:4]
	s_wait_dscnt 0x0
	s_barrier_signal -1
	s_barrier_wait -1
	global_inv scope:SCOPE_SE
	v_cmpx_gt_u32_e32 4, v0
	s_cbranch_execz .LBB52_31
; %bb.28:
	v_dual_mov_b32 v3, 0 :: v_dual_add_nc_u32 v4, -1, v0
	v_dual_mov_b32 v6, v13 :: v_dual_add_nc_u32 v5, 0x1b0, v13
	v_mov_b32_e32 v8, 0
	s_mov_b32 s1, 0
.LBB52_29:                              ; =>This Inner Loop Header: Depth=1
	scratch_load_b64 v[9:10], v6, off
	ds_load_b64 v[11:12], v5
	v_add_nc_u32_e32 v6, 8, v6
	s_wait_loadcnt_dscnt 0x0
	v_dual_mul_f32 v14, v12, v10 :: v_dual_add_nc_u32 v5, 8, v5
	v_mul_f32_e32 v10, v11, v10
	s_delay_alu instid0(VALU_DEP_2) | instskip(NEXT) | instid1(VALU_DEP_2)
	v_fma_f32 v11, v11, v9, -v14
	v_fmac_f32_e32 v10, v12, v9
	v_add_nc_u32_e32 v4, 1, v4
	s_delay_alu instid0(VALU_DEP_2) | instskip(NEXT) | instid1(VALU_DEP_2)
	v_dual_add_f32 v8, v8, v11 :: v_dual_add_f32 v3, v3, v10
	v_cmp_lt_u32_e32 vcc_lo, 2, v4
	s_wait_alu 0xfffe
	s_or_b32 s1, vcc_lo, s1
	s_wait_alu 0xfffe
	s_and_not1_b32 exec_lo, exec_lo, s1
	s_cbranch_execnz .LBB52_29
; %bb.30:
	s_or_b32 exec_lo, exec_lo, s1
	v_mov_b32_e32 v4, 0
	ds_load_b64 v[4:5], v4 offset:32
	s_wait_dscnt 0x0
	v_mul_f32_e32 v9, v3, v5
	v_mul_f32_e32 v6, v8, v5
	s_delay_alu instid0(VALU_DEP_2) | instskip(NEXT) | instid1(VALU_DEP_2)
	v_fma_f32 v5, v8, v4, -v9
	v_fmac_f32_e32 v6, v3, v4
	scratch_store_b64 off, v[5:6], off offset:32
.LBB52_31:
	s_wait_alu 0xfffe
	s_or_b32 exec_lo, exec_lo, s0
	s_wait_loadcnt 0x0
	s_wait_storecnt 0x0
	s_barrier_signal -1
	s_barrier_wait -1
	global_inv scope:SCOPE_SE
	scratch_load_b64 v[3:4], off, off offset:40
	;; [unrolled: 53-line block ×19, first 2 shown]
	s_mov_b32 s0, exec_lo
	s_wait_loadcnt 0x0
	ds_store_b64 v1, v[3:4]
	s_wait_dscnt 0x0
	s_barrier_signal -1
	s_barrier_wait -1
	global_inv scope:SCOPE_SE
	v_cmpx_gt_u32_e32 22, v0
	s_cbranch_execz .LBB52_103
; %bb.100:
	v_dual_mov_b32 v3, 0 :: v_dual_add_nc_u32 v4, -1, v0
	v_dual_mov_b32 v6, v13 :: v_dual_add_nc_u32 v5, 0x1b0, v13
	v_mov_b32_e32 v8, 0
	s_mov_b32 s1, 0
.LBB52_101:                             ; =>This Inner Loop Header: Depth=1
	scratch_load_b64 v[9:10], v6, off
	ds_load_b64 v[11:12], v5
	v_add_nc_u32_e32 v6, 8, v6
	s_wait_loadcnt_dscnt 0x0
	v_dual_mul_f32 v14, v12, v10 :: v_dual_add_nc_u32 v5, 8, v5
	v_mul_f32_e32 v10, v11, v10
	s_delay_alu instid0(VALU_DEP_2) | instskip(NEXT) | instid1(VALU_DEP_2)
	v_fma_f32 v11, v11, v9, -v14
	v_fmac_f32_e32 v10, v12, v9
	v_add_nc_u32_e32 v4, 1, v4
	s_delay_alu instid0(VALU_DEP_2) | instskip(NEXT) | instid1(VALU_DEP_2)
	v_dual_add_f32 v8, v8, v11 :: v_dual_add_f32 v3, v3, v10
	v_cmp_lt_u32_e32 vcc_lo, 20, v4
	s_wait_alu 0xfffe
	s_or_b32 s1, vcc_lo, s1
	s_wait_alu 0xfffe
	s_and_not1_b32 exec_lo, exec_lo, s1
	s_cbranch_execnz .LBB52_101
; %bb.102:
	s_or_b32 exec_lo, exec_lo, s1
	v_mov_b32_e32 v4, 0
	ds_load_b64 v[4:5], v4 offset:176
	s_wait_dscnt 0x0
	v_mul_f32_e32 v9, v3, v5
	v_mul_f32_e32 v6, v8, v5
	s_delay_alu instid0(VALU_DEP_2) | instskip(NEXT) | instid1(VALU_DEP_2)
	v_fma_f32 v5, v8, v4, -v9
	v_fmac_f32_e32 v6, v3, v4
	scratch_store_b64 off, v[5:6], off offset:176
.LBB52_103:
	s_wait_alu 0xfffe
	s_or_b32 exec_lo, exec_lo, s0
	s_wait_loadcnt 0x0
	s_wait_storecnt 0x0
	s_barrier_signal -1
	s_barrier_wait -1
	global_inv scope:SCOPE_SE
	scratch_load_b64 v[3:4], off, off offset:184
	s_mov_b32 s0, exec_lo
	s_wait_loadcnt 0x0
	ds_store_b64 v1, v[3:4]
	s_wait_dscnt 0x0
	s_barrier_signal -1
	s_barrier_wait -1
	global_inv scope:SCOPE_SE
	v_cmpx_gt_u32_e32 23, v0
	s_cbranch_execz .LBB52_107
; %bb.104:
	v_dual_mov_b32 v3, 0 :: v_dual_add_nc_u32 v4, -1, v0
	v_dual_mov_b32 v6, v13 :: v_dual_add_nc_u32 v5, 0x1b0, v13
	v_mov_b32_e32 v8, 0
	s_mov_b32 s1, 0
.LBB52_105:                             ; =>This Inner Loop Header: Depth=1
	scratch_load_b64 v[9:10], v6, off
	ds_load_b64 v[11:12], v5
	v_add_nc_u32_e32 v6, 8, v6
	s_wait_loadcnt_dscnt 0x0
	v_dual_mul_f32 v14, v12, v10 :: v_dual_add_nc_u32 v5, 8, v5
	v_mul_f32_e32 v10, v11, v10
	s_delay_alu instid0(VALU_DEP_2) | instskip(NEXT) | instid1(VALU_DEP_2)
	v_fma_f32 v11, v11, v9, -v14
	v_fmac_f32_e32 v10, v12, v9
	v_add_nc_u32_e32 v4, 1, v4
	s_delay_alu instid0(VALU_DEP_2) | instskip(NEXT) | instid1(VALU_DEP_2)
	v_dual_add_f32 v8, v8, v11 :: v_dual_add_f32 v3, v3, v10
	v_cmp_lt_u32_e32 vcc_lo, 21, v4
	s_wait_alu 0xfffe
	s_or_b32 s1, vcc_lo, s1
	s_wait_alu 0xfffe
	s_and_not1_b32 exec_lo, exec_lo, s1
	s_cbranch_execnz .LBB52_105
; %bb.106:
	s_or_b32 exec_lo, exec_lo, s1
	v_mov_b32_e32 v4, 0
	ds_load_b64 v[4:5], v4 offset:184
	s_wait_dscnt 0x0
	v_mul_f32_e32 v9, v3, v5
	v_mul_f32_e32 v6, v8, v5
	s_delay_alu instid0(VALU_DEP_2) | instskip(NEXT) | instid1(VALU_DEP_2)
	v_fma_f32 v5, v8, v4, -v9
	v_fmac_f32_e32 v6, v3, v4
	scratch_store_b64 off, v[5:6], off offset:184
.LBB52_107:
	s_wait_alu 0xfffe
	s_or_b32 exec_lo, exec_lo, s0
	s_wait_loadcnt 0x0
	s_wait_storecnt 0x0
	s_barrier_signal -1
	s_barrier_wait -1
	global_inv scope:SCOPE_SE
	scratch_load_b64 v[3:4], off, off offset:192
	;; [unrolled: 53-line block ×29, first 2 shown]
	s_mov_b32 s0, exec_lo
	s_wait_loadcnt 0x0
	ds_store_b64 v1, v[3:4]
	s_wait_dscnt 0x0
	s_barrier_signal -1
	s_barrier_wait -1
	global_inv scope:SCOPE_SE
	v_cmpx_gt_u32_e32 51, v0
	s_cbranch_execz .LBB52_219
; %bb.216:
	v_dual_mov_b32 v3, 0 :: v_dual_add_nc_u32 v4, -1, v0
	v_dual_mov_b32 v6, v13 :: v_dual_add_nc_u32 v5, 0x1b0, v13
	v_mov_b32_e32 v8, 0
	s_mov_b32 s1, 0
.LBB52_217:                             ; =>This Inner Loop Header: Depth=1
	scratch_load_b64 v[9:10], v6, off
	ds_load_b64 v[11:12], v5
	v_add_nc_u32_e32 v6, 8, v6
	v_add_nc_u32_e32 v4, 1, v4
	;; [unrolled: 1-line block ×3, first 2 shown]
	s_delay_alu instid0(VALU_DEP_2)
	v_cmp_lt_u32_e32 vcc_lo, 49, v4
	s_wait_alu 0xfffe
	s_or_b32 s1, vcc_lo, s1
	s_wait_loadcnt_dscnt 0x0
	v_mul_f32_e32 v13, v12, v10
	v_mul_f32_e32 v10, v11, v10
	s_delay_alu instid0(VALU_DEP_2) | instskip(NEXT) | instid1(VALU_DEP_2)
	v_fma_f32 v11, v11, v9, -v13
	v_fmac_f32_e32 v10, v12, v9
	s_delay_alu instid0(VALU_DEP_1)
	v_dual_add_f32 v8, v8, v11 :: v_dual_add_f32 v3, v3, v10
	s_wait_alu 0xfffe
	s_and_not1_b32 exec_lo, exec_lo, s1
	s_cbranch_execnz .LBB52_217
; %bb.218:
	s_or_b32 exec_lo, exec_lo, s1
	v_mov_b32_e32 v4, 0
	ds_load_b64 v[4:5], v4 offset:408
	s_wait_dscnt 0x0
	v_mul_f32_e32 v9, v3, v5
	v_mul_f32_e32 v6, v8, v5
	s_delay_alu instid0(VALU_DEP_2) | instskip(NEXT) | instid1(VALU_DEP_2)
	v_fma_f32 v5, v8, v4, -v9
	v_fmac_f32_e32 v6, v3, v4
	scratch_store_b64 off, v[5:6], off offset:408
.LBB52_219:
	s_wait_alu 0xfffe
	s_or_b32 exec_lo, exec_lo, s0
	s_wait_loadcnt 0x0
	s_wait_storecnt 0x0
	s_barrier_signal -1
	s_barrier_wait -1
	global_inv scope:SCOPE_SE
	scratch_load_b64 v[3:4], off, off offset:416
	s_mov_b32 s0, exec_lo
	s_wait_loadcnt 0x0
	ds_store_b64 v1, v[3:4]
	s_wait_dscnt 0x0
	s_barrier_signal -1
	s_barrier_wait -1
	global_inv scope:SCOPE_SE
	v_cmpx_ne_u32_e32 52, v0
	s_cbranch_execz .LBB52_223
; %bb.220:
	v_dual_mov_b32 v3, 0 :: v_dual_mov_b32 v4, 0
	s_mov_b32 s1, 0
.LBB52_221:                             ; =>This Inner Loop Header: Depth=1
	scratch_load_b64 v[5:6], v7, off
	ds_load_b64 v[8:9], v1
	v_add_nc_u32_e32 v2, 1, v2
	v_add_nc_u32_e32 v1, 8, v1
	;; [unrolled: 1-line block ×3, first 2 shown]
	s_delay_alu instid0(VALU_DEP_3)
	v_cmp_lt_u32_e32 vcc_lo, 50, v2
	s_wait_alu 0xfffe
	s_or_b32 s1, vcc_lo, s1
	s_wait_loadcnt_dscnt 0x0
	v_mul_f32_e32 v10, v9, v6
	v_mul_f32_e32 v6, v8, v6
	s_delay_alu instid0(VALU_DEP_2) | instskip(NEXT) | instid1(VALU_DEP_2)
	v_fma_f32 v8, v8, v5, -v10
	v_fmac_f32_e32 v6, v9, v5
	s_delay_alu instid0(VALU_DEP_1)
	v_dual_add_f32 v4, v4, v8 :: v_dual_add_f32 v3, v3, v6
	s_wait_alu 0xfffe
	s_and_not1_b32 exec_lo, exec_lo, s1
	s_cbranch_execnz .LBB52_221
; %bb.222:
	s_or_b32 exec_lo, exec_lo, s1
	v_mov_b32_e32 v1, 0
	ds_load_b64 v[1:2], v1 offset:416
	s_wait_dscnt 0x0
	v_mul_f32_e32 v6, v3, v2
	v_mul_f32_e32 v5, v4, v2
	s_delay_alu instid0(VALU_DEP_2) | instskip(NEXT) | instid1(VALU_DEP_2)
	v_fma_f32 v4, v4, v1, -v6
	v_fmac_f32_e32 v5, v3, v1
	scratch_store_b64 off, v[4:5], off offset:416
.LBB52_223:
	s_wait_alu 0xfffe
	s_or_b32 exec_lo, exec_lo, s0
	s_mov_b32 s1, -1
	s_wait_loadcnt 0x0
	s_wait_storecnt 0x0
	s_barrier_signal -1
	s_barrier_wait -1
	global_inv scope:SCOPE_SE
.LBB52_224:
	s_wait_alu 0xfffe
	s_and_b32 vcc_lo, exec_lo, s1
	s_wait_alu 0xfffe
	s_cbranch_vccz .LBB52_226
; %bb.225:
	v_mov_b32_e32 v1, 0
	s_lshl_b64 s[0:1], s[16:17], 2
	s_wait_alu 0xfffe
	s_add_nc_u64 s[0:1], s[6:7], s[0:1]
	global_load_b32 v1, v1, s[0:1]
	s_wait_loadcnt 0x0
	v_cmp_ne_u32_e32 vcc_lo, 0, v1
	s_cbranch_vccz .LBB52_227
.LBB52_226:
	s_nop 0
	s_sendmsg sendmsg(MSG_DEALLOC_VGPRS)
	s_endpgm
.LBB52_227:
	v_lshl_add_u32 v133, v0, 3, 0x1b0
	s_mov_b32 s0, exec_lo
	v_cmpx_eq_u32_e32 52, v0
	s_cbranch_execz .LBB52_229
; %bb.228:
	scratch_load_b64 v[1:2], off, off offset:408
	v_mov_b32_e32 v3, 0
	s_delay_alu instid0(VALU_DEP_1)
	v_mov_b32_e32 v4, v3
	scratch_store_b64 off, v[3:4], off offset:408
	s_wait_loadcnt 0x0
	ds_store_b64 v133, v[1:2]
.LBB52_229:
	s_wait_alu 0xfffe
	s_or_b32 exec_lo, exec_lo, s0
	s_wait_storecnt_dscnt 0x0
	s_barrier_signal -1
	s_barrier_wait -1
	global_inv scope:SCOPE_SE
	s_clause 0x1
	scratch_load_b64 v[2:3], off, off offset:416
	scratch_load_b64 v[4:5], off, off offset:408
	v_mov_b32_e32 v1, 0
	s_mov_b32 s0, exec_lo
	ds_load_b64 v[6:7], v1 offset:848
	s_wait_loadcnt_dscnt 0x100
	v_mul_f32_e32 v8, v7, v3
	v_mul_f32_e32 v3, v6, v3
	s_delay_alu instid0(VALU_DEP_2) | instskip(NEXT) | instid1(VALU_DEP_2)
	v_fma_f32 v6, v6, v2, -v8
	v_fmac_f32_e32 v3, v7, v2
	s_delay_alu instid0(VALU_DEP_1) | instskip(SKIP_1) | instid1(VALU_DEP_1)
	v_dual_add_f32 v2, 0, v6 :: v_dual_add_f32 v3, 0, v3
	s_wait_loadcnt 0x0
	v_dual_sub_f32 v2, v4, v2 :: v_dual_sub_f32 v3, v5, v3
	scratch_store_b64 off, v[2:3], off offset:408
	v_cmpx_lt_u32_e32 50, v0
	s_cbranch_execz .LBB52_231
; %bb.230:
	scratch_load_b64 v[3:4], off, off offset:400
	v_mov_b32_e32 v2, v1
	scratch_store_b64 off, v[1:2], off offset:400
	s_wait_loadcnt 0x0
	ds_store_b64 v133, v[3:4]
.LBB52_231:
	s_wait_alu 0xfffe
	s_or_b32 exec_lo, exec_lo, s0
	s_wait_storecnt_dscnt 0x0
	s_barrier_signal -1
	s_barrier_wait -1
	global_inv scope:SCOPE_SE
	s_clause 0x1
	scratch_load_b128 v[2:5], off, off offset:408
	scratch_load_b64 v[10:11], off, off offset:400
	ds_load_2addr_b64 v[6:9], v1 offset0:105 offset1:106
	s_mov_b32 s0, exec_lo
	s_wait_loadcnt_dscnt 0x100
	v_dual_mul_f32 v1, v7, v3 :: v_dual_mul_f32 v12, v8, v5
	v_mul_f32_e32 v3, v6, v3
	s_delay_alu instid0(VALU_DEP_2) | instskip(NEXT) | instid1(VALU_DEP_2)
	v_fma_f32 v1, v6, v2, -v1
	v_dual_fmac_f32 v12, v9, v4 :: v_dual_fmac_f32 v3, v7, v2
	s_delay_alu instid0(VALU_DEP_2) | instskip(NEXT) | instid1(VALU_DEP_2)
	v_add_f32_e32 v1, 0, v1
	v_add_f32_e32 v3, 0, v3
	v_mul_f32_e32 v5, v9, v5
	s_delay_alu instid0(VALU_DEP_1) | instskip(NEXT) | instid1(VALU_DEP_1)
	v_fma_f32 v2, v8, v4, -v5
	v_dual_add_f32 v1, v1, v2 :: v_dual_add_f32 v2, v3, v12
	s_wait_loadcnt 0x0
	s_delay_alu instid0(VALU_DEP_1)
	v_dual_sub_f32 v1, v10, v1 :: v_dual_sub_f32 v2, v11, v2
	scratch_store_b64 off, v[1:2], off offset:400
	v_cmpx_lt_u32_e32 49, v0
	s_cbranch_execz .LBB52_233
; %bb.232:
	scratch_load_b64 v[1:2], off, off offset:392
	v_mov_b32_e32 v3, 0
	s_delay_alu instid0(VALU_DEP_1)
	v_mov_b32_e32 v4, v3
	scratch_store_b64 off, v[3:4], off offset:392
	s_wait_loadcnt 0x0
	ds_store_b64 v133, v[1:2]
.LBB52_233:
	s_wait_alu 0xfffe
	s_or_b32 exec_lo, exec_lo, s0
	s_wait_storecnt_dscnt 0x0
	s_barrier_signal -1
	s_barrier_wait -1
	global_inv scope:SCOPE_SE
	s_clause 0x2
	scratch_load_b128 v[2:5], off, off offset:400
	scratch_load_b64 v[10:11], off, off offset:416
	scratch_load_b64 v[12:13], off, off offset:392
	v_mov_b32_e32 v1, 0
	ds_load_b128 v[6:9], v1 offset:832
	ds_load_b64 v[14:15], v1 offset:848
	s_mov_b32 s0, exec_lo
	s_wait_loadcnt_dscnt 0x201
	v_dual_mul_f32 v16, v7, v3 :: v_dual_mul_f32 v17, v8, v5
	s_wait_loadcnt_dscnt 0x100
	v_mul_f32_e32 v18, v14, v11
	v_mul_f32_e32 v3, v6, v3
	;; [unrolled: 1-line block ×3, first 2 shown]
	v_fma_f32 v6, v6, v2, -v16
	s_delay_alu instid0(VALU_DEP_4) | instskip(NEXT) | instid1(VALU_DEP_4)
	v_fmac_f32_e32 v18, v15, v10
	v_fmac_f32_e32 v3, v7, v2
	v_mul_f32_e32 v2, v15, v11
	s_delay_alu instid0(VALU_DEP_1) | instskip(SKIP_3) | instid1(VALU_DEP_1)
	v_fma_f32 v2, v14, v10, -v2
	v_fmac_f32_e32 v17, v9, v4
	v_fma_f32 v4, v8, v4, -v5
	v_add_f32_e32 v5, 0, v6
	v_add_f32_e32 v4, v5, v4
	s_delay_alu instid0(VALU_DEP_1) | instskip(SKIP_1) | instid1(VALU_DEP_1)
	v_dual_add_f32 v2, v4, v2 :: v_dual_add_f32 v3, 0, v3
	s_wait_loadcnt 0x0
	v_dual_sub_f32 v2, v12, v2 :: v_dual_add_f32 v3, v3, v17
	s_delay_alu instid0(VALU_DEP_1) | instskip(NEXT) | instid1(VALU_DEP_1)
	v_add_f32_e32 v3, v3, v18
	v_sub_f32_e32 v3, v13, v3
	scratch_store_b64 off, v[2:3], off offset:392
	v_cmpx_lt_u32_e32 48, v0
	s_cbranch_execz .LBB52_235
; %bb.234:
	scratch_load_b64 v[3:4], off, off offset:384
	v_mov_b32_e32 v2, v1
	scratch_store_b64 off, v[1:2], off offset:384
	s_wait_loadcnt 0x0
	ds_store_b64 v133, v[3:4]
.LBB52_235:
	s_wait_alu 0xfffe
	s_or_b32 exec_lo, exec_lo, s0
	s_wait_storecnt_dscnt 0x0
	s_barrier_signal -1
	s_barrier_wait -1
	global_inv scope:SCOPE_SE
	s_clause 0x2
	scratch_load_b128 v[2:5], off, off offset:392
	scratch_load_b128 v[6:9], off, off offset:408
	scratch_load_b64 v[18:19], off, off offset:384
	ds_load_2addr_b64 v[10:13], v1 offset0:103 offset1:104
	ds_load_2addr_b64 v[14:17], v1 offset0:105 offset1:106
	s_mov_b32 s0, exec_lo
	s_wait_loadcnt_dscnt 0x201
	v_dual_mul_f32 v1, v10, v3 :: v_dual_mul_f32 v20, v12, v5
	s_wait_loadcnt_dscnt 0x100
	v_dual_mul_f32 v3, v11, v3 :: v_dual_mul_f32 v22, v16, v9
	v_mul_f32_e32 v5, v13, v5
	s_delay_alu instid0(VALU_DEP_3) | instskip(NEXT) | instid1(VALU_DEP_3)
	v_dual_mul_f32 v21, v14, v7 :: v_dual_fmac_f32 v20, v13, v4
	v_fma_f32 v3, v10, v2, -v3
	s_delay_alu instid0(VALU_DEP_4) | instskip(SKIP_2) | instid1(VALU_DEP_4)
	v_dual_fmac_f32 v1, v11, v2 :: v_dual_fmac_f32 v22, v17, v8
	v_mul_f32_e32 v2, v15, v7
	v_fma_f32 v4, v12, v4, -v5
	v_add_f32_e32 v3, 0, v3
	v_fmac_f32_e32 v21, v15, v6
	s_delay_alu instid0(VALU_DEP_4) | instskip(NEXT) | instid1(VALU_DEP_3)
	v_fma_f32 v2, v14, v6, -v2
	v_add_f32_e32 v3, v3, v4
	s_delay_alu instid0(VALU_DEP_1) | instskip(NEXT) | instid1(VALU_DEP_1)
	v_dual_add_f32 v1, 0, v1 :: v_dual_add_f32 v2, v3, v2
	v_add_f32_e32 v1, v1, v20
	s_delay_alu instid0(VALU_DEP_1) | instskip(NEXT) | instid1(VALU_DEP_1)
	v_add_f32_e32 v1, v1, v21
	v_add_f32_e32 v3, v1, v22
	v_mul_f32_e32 v5, v17, v9
	s_delay_alu instid0(VALU_DEP_1) | instskip(NEXT) | instid1(VALU_DEP_1)
	v_fma_f32 v4, v16, v8, -v5
	v_add_f32_e32 v2, v2, v4
	s_wait_loadcnt 0x0
	s_delay_alu instid0(VALU_DEP_1)
	v_dual_sub_f32 v1, v18, v2 :: v_dual_sub_f32 v2, v19, v3
	scratch_store_b64 off, v[1:2], off offset:384
	v_cmpx_lt_u32_e32 47, v0
	s_cbranch_execz .LBB52_237
; %bb.236:
	scratch_load_b64 v[1:2], off, off offset:376
	v_mov_b32_e32 v3, 0
	s_delay_alu instid0(VALU_DEP_1)
	v_mov_b32_e32 v4, v3
	scratch_store_b64 off, v[3:4], off offset:376
	s_wait_loadcnt 0x0
	ds_store_b64 v133, v[1:2]
.LBB52_237:
	s_wait_alu 0xfffe
	s_or_b32 exec_lo, exec_lo, s0
	s_wait_storecnt_dscnt 0x0
	s_barrier_signal -1
	s_barrier_wait -1
	global_inv scope:SCOPE_SE
	s_clause 0x3
	scratch_load_b128 v[2:5], off, off offset:384
	scratch_load_b128 v[6:9], off, off offset:400
	scratch_load_b64 v[18:19], off, off offset:416
	scratch_load_b64 v[20:21], off, off offset:376
	v_mov_b32_e32 v1, 0
	ds_load_b128 v[10:13], v1 offset:816
	ds_load_b128 v[14:17], v1 offset:832
	ds_load_b64 v[22:23], v1 offset:848
	s_mov_b32 s0, exec_lo
	s_wait_loadcnt_dscnt 0x302
	v_mul_f32_e32 v24, v10, v3
	s_wait_loadcnt_dscnt 0x201
	v_dual_mul_f32 v3, v11, v3 :: v_dual_mul_f32 v134, v16, v9
	v_dual_mul_f32 v131, v12, v5 :: v_dual_mul_f32 v132, v14, v7
	v_mul_f32_e32 v5, v13, v5
	s_delay_alu instid0(VALU_DEP_3)
	v_fma_f32 v3, v10, v2, -v3
	s_wait_loadcnt_dscnt 0x100
	v_dual_mul_f32 v135, v22, v19 :: v_dual_fmac_f32 v24, v11, v2
	v_dual_mul_f32 v2, v15, v7 :: v_dual_fmac_f32 v131, v13, v4
	v_fmac_f32_e32 v132, v15, v6
	v_fma_f32 v4, v12, v4, -v5
	v_dual_add_f32 v3, 0, v3 :: v_dual_fmac_f32 v134, v17, v8
	s_delay_alu instid0(VALU_DEP_4) | instskip(SKIP_1) | instid1(VALU_DEP_3)
	v_fma_f32 v2, v14, v6, -v2
	v_fmac_f32_e32 v135, v23, v18
	v_add_f32_e32 v3, v3, v4
	s_delay_alu instid0(VALU_DEP_1) | instskip(SKIP_1) | instid1(VALU_DEP_2)
	v_dual_add_f32 v5, 0, v24 :: v_dual_add_f32 v2, v3, v2
	v_mul_f32_e32 v7, v17, v9
	v_add_f32_e32 v4, v5, v131
	s_delay_alu instid0(VALU_DEP_2) | instskip(NEXT) | instid1(VALU_DEP_1)
	v_fma_f32 v6, v16, v8, -v7
	v_dual_add_f32 v3, v4, v132 :: v_dual_add_f32 v2, v2, v6
	v_mul_f32_e32 v5, v23, v19
	s_delay_alu instid0(VALU_DEP_2) | instskip(NEXT) | instid1(VALU_DEP_2)
	v_add_f32_e32 v3, v3, v134
	v_fma_f32 v4, v22, v18, -v5
	s_delay_alu instid0(VALU_DEP_1) | instskip(SKIP_1) | instid1(VALU_DEP_1)
	v_dual_add_f32 v2, v2, v4 :: v_dual_add_f32 v3, v3, v135
	s_wait_loadcnt 0x0
	v_dual_sub_f32 v2, v20, v2 :: v_dual_sub_f32 v3, v21, v3
	scratch_store_b64 off, v[2:3], off offset:376
	v_cmpx_lt_u32_e32 46, v0
	s_cbranch_execz .LBB52_239
; %bb.238:
	scratch_load_b64 v[3:4], off, off offset:368
	v_mov_b32_e32 v2, v1
	scratch_store_b64 off, v[1:2], off offset:368
	s_wait_loadcnt 0x0
	ds_store_b64 v133, v[3:4]
.LBB52_239:
	s_wait_alu 0xfffe
	s_or_b32 exec_lo, exec_lo, s0
	s_wait_storecnt_dscnt 0x0
	s_barrier_signal -1
	s_barrier_wait -1
	global_inv scope:SCOPE_SE
	s_clause 0x3
	scratch_load_b128 v[2:5], off, off offset:376
	scratch_load_b128 v[6:9], off, off offset:392
	scratch_load_b128 v[10:13], off, off offset:408
	scratch_load_b64 v[22:23], off, off offset:368
	ds_load_2addr_b64 v[14:17], v1 offset0:101 offset1:102
	ds_load_2addr_b64 v[18:21], v1 offset0:103 offset1:104
	;; [unrolled: 1-line block ×3, first 2 shown]
	s_mov_b32 s0, exec_lo
	s_wait_loadcnt_dscnt 0x302
	v_dual_mul_f32 v1, v14, v3 :: v_dual_mul_f32 v24, v16, v5
	v_mul_f32_e32 v3, v15, v3
	v_mul_f32_e32 v5, v17, v5
	s_wait_loadcnt_dscnt 0x201
	v_dual_mul_f32 v131, v18, v7 :: v_dual_mul_f32 v132, v20, v9
	v_fmac_f32_e32 v24, v17, v4
	v_fma_f32 v3, v14, v2, -v3
	s_wait_loadcnt_dscnt 0x100
	v_dual_mul_f32 v138, v134, v11 :: v_dual_mul_f32 v139, v136, v13
	v_dual_fmac_f32 v1, v15, v2 :: v_dual_fmac_f32 v132, v21, v8
	v_mul_f32_e32 v2, v19, v7
	v_fma_f32 v4, v16, v4, -v5
	s_delay_alu instid0(VALU_DEP_4) | instskip(NEXT) | instid1(VALU_DEP_4)
	v_dual_add_f32 v3, 0, v3 :: v_dual_fmac_f32 v138, v135, v10
	v_add_f32_e32 v1, 0, v1
	s_delay_alu instid0(VALU_DEP_4) | instskip(SKIP_1) | instid1(VALU_DEP_4)
	v_fma_f32 v2, v18, v6, -v2
	v_fmac_f32_e32 v139, v137, v12
	v_add_f32_e32 v3, v3, v4
	v_dual_mul_f32 v5, v21, v9 :: v_dual_mul_f32 v4, v135, v11
	s_delay_alu instid0(VALU_DEP_2) | instskip(NEXT) | instid1(VALU_DEP_2)
	v_add_f32_e32 v2, v3, v2
	v_fma_f32 v5, v20, v8, -v5
	v_fmac_f32_e32 v131, v19, v6
	s_delay_alu instid0(VALU_DEP_4) | instskip(NEXT) | instid1(VALU_DEP_3)
	v_fma_f32 v4, v134, v10, -v4
	v_add_f32_e32 v2, v2, v5
	s_delay_alu instid0(VALU_DEP_1) | instskip(NEXT) | instid1(VALU_DEP_1)
	v_dual_mul_f32 v3, v137, v13 :: v_dual_add_f32 v2, v2, v4
	v_fma_f32 v3, v136, v12, -v3
	s_delay_alu instid0(VALU_DEP_1) | instskip(NEXT) | instid1(VALU_DEP_1)
	v_dual_add_f32 v1, v1, v24 :: v_dual_add_f32 v2, v2, v3
	v_add_f32_e32 v1, v1, v131
	s_delay_alu instid0(VALU_DEP_1) | instskip(NEXT) | instid1(VALU_DEP_1)
	v_add_f32_e32 v1, v1, v132
	v_add_f32_e32 v1, v1, v138
	s_delay_alu instid0(VALU_DEP_1) | instskip(SKIP_1) | instid1(VALU_DEP_1)
	v_add_f32_e32 v3, v1, v139
	s_wait_loadcnt 0x0
	v_dual_sub_f32 v1, v22, v2 :: v_dual_sub_f32 v2, v23, v3
	scratch_store_b64 off, v[1:2], off offset:368
	v_cmpx_lt_u32_e32 45, v0
	s_cbranch_execz .LBB52_241
; %bb.240:
	scratch_load_b64 v[1:2], off, off offset:360
	v_mov_b32_e32 v3, 0
	s_delay_alu instid0(VALU_DEP_1)
	v_mov_b32_e32 v4, v3
	scratch_store_b64 off, v[3:4], off offset:360
	s_wait_loadcnt 0x0
	ds_store_b64 v133, v[1:2]
.LBB52_241:
	s_wait_alu 0xfffe
	s_or_b32 exec_lo, exec_lo, s0
	s_wait_storecnt_dscnt 0x0
	s_barrier_signal -1
	s_barrier_wait -1
	global_inv scope:SCOPE_SE
	s_clause 0x4
	scratch_load_b128 v[2:5], off, off offset:368
	scratch_load_b128 v[6:9], off, off offset:384
	;; [unrolled: 1-line block ×3, first 2 shown]
	scratch_load_b64 v[22:23], off, off offset:416
	scratch_load_b64 v[131:132], off, off offset:360
	v_mov_b32_e32 v1, 0
	ds_load_b128 v[14:17], v1 offset:800
	ds_load_b128 v[18:21], v1 offset:816
	;; [unrolled: 1-line block ×3, first 2 shown]
	ds_load_b64 v[138:139], v1 offset:848
	s_mov_b32 s0, exec_lo
	s_wait_loadcnt_dscnt 0x403
	v_mul_f32_e32 v24, v14, v3
	s_wait_loadcnt_dscnt 0x302
	v_dual_mul_f32 v142, v20, v9 :: v_dual_mul_f32 v3, v15, v3
	v_dual_mul_f32 v140, v16, v5 :: v_dual_mul_f32 v141, v18, v7
	v_mul_f32_e32 v5, v17, v5
	s_wait_loadcnt_dscnt 0x100
	v_dual_mul_f32 v145, v138, v23 :: v_dual_fmac_f32 v24, v15, v2
	v_fma_f32 v3, v14, v2, -v3
	v_mul_f32_e32 v2, v19, v7
	v_fmac_f32_e32 v140, v17, v4
	v_fma_f32 v4, v16, v4, -v5
	v_dual_mul_f32 v143, v134, v11 :: v_dual_mul_f32 v144, v136, v13
	v_add_f32_e32 v3, 0, v3
	v_fma_f32 v2, v18, v6, -v2
	s_delay_alu instid0(VALU_DEP_3) | instskip(NEXT) | instid1(VALU_DEP_4)
	v_dual_fmac_f32 v142, v21, v8 :: v_dual_fmac_f32 v143, v135, v10
	v_fmac_f32_e32 v144, v137, v12
	s_delay_alu instid0(VALU_DEP_4) | instskip(NEXT) | instid1(VALU_DEP_1)
	v_add_f32_e32 v3, v3, v4
	v_dual_add_f32 v5, 0, v24 :: v_dual_add_f32 v2, v3, v2
	v_mul_f32_e32 v7, v21, v9
	s_delay_alu instid0(VALU_DEP_2) | instskip(SKIP_1) | instid1(VALU_DEP_3)
	v_dual_fmac_f32 v141, v19, v6 :: v_dual_add_f32 v4, v5, v140
	v_mul_f32_e32 v5, v135, v11
	v_fma_f32 v6, v20, v8, -v7
	s_delay_alu instid0(VALU_DEP_3) | instskip(SKIP_1) | instid1(VALU_DEP_4)
	v_add_f32_e32 v3, v4, v141
	v_mul_f32_e32 v4, v137, v13
	v_fma_f32 v5, v134, v10, -v5
	s_delay_alu instid0(VALU_DEP_4) | instskip(SKIP_3) | instid1(VALU_DEP_4)
	v_add_f32_e32 v2, v2, v6
	v_mul_f32_e32 v6, v139, v23
	v_add_f32_e32 v3, v3, v142
	v_fma_f32 v4, v136, v12, -v4
	v_add_f32_e32 v2, v2, v5
	s_delay_alu instid0(VALU_DEP_4) | instskip(NEXT) | instid1(VALU_DEP_2)
	v_fma_f32 v5, v138, v22, -v6
	v_dual_add_f32 v3, v3, v143 :: v_dual_add_f32 v2, v2, v4
	v_fmac_f32_e32 v145, v139, v22
	s_delay_alu instid0(VALU_DEP_2) | instskip(NEXT) | instid1(VALU_DEP_1)
	v_dual_add_f32 v3, v3, v144 :: v_dual_add_f32 v2, v2, v5
	v_add_f32_e32 v3, v3, v145
	s_wait_loadcnt 0x0
	s_delay_alu instid0(VALU_DEP_1)
	v_dual_sub_f32 v2, v131, v2 :: v_dual_sub_f32 v3, v132, v3
	scratch_store_b64 off, v[2:3], off offset:360
	v_cmpx_lt_u32_e32 44, v0
	s_cbranch_execz .LBB52_243
; %bb.242:
	scratch_load_b64 v[3:4], off, off offset:352
	v_mov_b32_e32 v2, v1
	scratch_store_b64 off, v[1:2], off offset:352
	s_wait_loadcnt 0x0
	ds_store_b64 v133, v[3:4]
.LBB52_243:
	s_wait_alu 0xfffe
	s_or_b32 exec_lo, exec_lo, s0
	s_wait_storecnt_dscnt 0x0
	s_barrier_signal -1
	s_barrier_wait -1
	global_inv scope:SCOPE_SE
	s_clause 0x4
	scratch_load_b128 v[2:5], off, off offset:360
	scratch_load_b128 v[6:9], off, off offset:376
	;; [unrolled: 1-line block ×4, first 2 shown]
	scratch_load_b64 v[22:23], off, off offset:352
	ds_load_2addr_b64 v[18:21], v1 offset0:99 offset1:100
	ds_load_2addr_b64 v[134:137], v1 offset0:101 offset1:102
	;; [unrolled: 1-line block ×4, first 2 shown]
	s_mov_b32 s0, exec_lo
	s_wait_loadcnt_dscnt 0x403
	v_dual_mul_f32 v1, v18, v3 :: v_dual_mul_f32 v24, v20, v5
	v_mul_f32_e32 v3, v19, v3
	v_mul_f32_e32 v5, v21, v5
	s_wait_loadcnt_dscnt 0x302
	v_dual_mul_f32 v131, v134, v7 :: v_dual_mul_f32 v132, v136, v9
	v_fmac_f32_e32 v24, v21, v4
	v_fma_f32 v3, v18, v2, -v3
	s_wait_loadcnt_dscnt 0x201
	v_dual_mul_f32 v146, v138, v11 :: v_dual_mul_f32 v147, v140, v13
	v_dual_fmac_f32 v1, v19, v2 :: v_dual_fmac_f32 v132, v137, v8
	v_mul_f32_e32 v2, v135, v7
	v_fma_f32 v4, v20, v4, -v5
	s_delay_alu instid0(VALU_DEP_4) | instskip(NEXT) | instid1(VALU_DEP_4)
	v_dual_add_f32 v3, 0, v3 :: v_dual_fmac_f32 v146, v139, v10
	v_add_f32_e32 v1, 0, v1
	s_delay_alu instid0(VALU_DEP_4) | instskip(SKIP_4) | instid1(VALU_DEP_3)
	v_fma_f32 v2, v134, v6, -v2
	s_wait_loadcnt_dscnt 0x100
	v_dual_mul_f32 v148, v142, v15 :: v_dual_mul_f32 v149, v144, v17
	v_add_f32_e32 v3, v3, v4
	v_dual_mul_f32 v5, v137, v9 :: v_dual_mul_f32 v4, v139, v11
	v_dual_add_f32 v1, v1, v24 :: v_dual_fmac_f32 v148, v143, v14
	s_delay_alu instid0(VALU_DEP_3) | instskip(NEXT) | instid1(VALU_DEP_3)
	v_add_f32_e32 v2, v3, v2
	v_fma_f32 v5, v136, v8, -v5
	v_fmac_f32_e32 v131, v135, v6
	v_mul_f32_e32 v3, v141, v13
	v_fma_f32 v4, v138, v10, -v4
	s_delay_alu instid0(VALU_DEP_4) | instskip(NEXT) | instid1(VALU_DEP_4)
	v_dual_fmac_f32 v149, v145, v16 :: v_dual_add_f32 v2, v2, v5
	v_add_f32_e32 v1, v1, v131
	v_mul_f32_e32 v5, v143, v15
	v_fma_f32 v3, v140, v12, -v3
	s_delay_alu instid0(VALU_DEP_4) | instskip(NEXT) | instid1(VALU_DEP_4)
	v_add_f32_e32 v2, v2, v4
	v_add_f32_e32 v1, v1, v132
	v_mul_f32_e32 v4, v145, v17
	v_fma_f32 v5, v142, v14, -v5
	s_delay_alu instid0(VALU_DEP_4) | instskip(NEXT) | instid1(VALU_DEP_3)
	v_dual_add_f32 v2, v2, v3 :: v_dual_fmac_f32 v147, v141, v12
	v_fma_f32 v3, v144, v16, -v4
	s_delay_alu instid0(VALU_DEP_2) | instskip(NEXT) | instid1(VALU_DEP_1)
	v_dual_add_f32 v2, v2, v5 :: v_dual_add_f32 v1, v1, v146
	v_add_f32_e32 v2, v2, v3
	s_delay_alu instid0(VALU_DEP_2) | instskip(NEXT) | instid1(VALU_DEP_1)
	v_add_f32_e32 v1, v1, v147
	v_add_f32_e32 v1, v1, v148
	s_delay_alu instid0(VALU_DEP_1) | instskip(SKIP_1) | instid1(VALU_DEP_1)
	v_add_f32_e32 v3, v1, v149
	s_wait_loadcnt 0x0
	v_dual_sub_f32 v1, v22, v2 :: v_dual_sub_f32 v2, v23, v3
	scratch_store_b64 off, v[1:2], off offset:352
	v_cmpx_lt_u32_e32 43, v0
	s_cbranch_execz .LBB52_245
; %bb.244:
	scratch_load_b64 v[1:2], off, off offset:344
	v_mov_b32_e32 v3, 0
	s_delay_alu instid0(VALU_DEP_1)
	v_mov_b32_e32 v4, v3
	scratch_store_b64 off, v[3:4], off offset:344
	s_wait_loadcnt 0x0
	ds_store_b64 v133, v[1:2]
.LBB52_245:
	s_wait_alu 0xfffe
	s_or_b32 exec_lo, exec_lo, s0
	s_wait_storecnt_dscnt 0x0
	s_barrier_signal -1
	s_barrier_wait -1
	global_inv scope:SCOPE_SE
	s_clause 0x5
	scratch_load_b128 v[2:5], off, off offset:352
	scratch_load_b128 v[6:9], off, off offset:368
	;; [unrolled: 1-line block ×4, first 2 shown]
	scratch_load_b64 v[22:23], off, off offset:416
	scratch_load_b64 v[131:132], off, off offset:344
	v_mov_b32_e32 v1, 0
	ds_load_b128 v[18:21], v1 offset:784
	ds_load_b128 v[134:137], v1 offset:800
	;; [unrolled: 1-line block ×4, first 2 shown]
	ds_load_b64 v[146:147], v1 offset:848
	s_mov_b32 s0, exec_lo
	s_wait_loadcnt_dscnt 0x504
	v_mul_f32_e32 v24, v18, v3
	s_wait_loadcnt_dscnt 0x302
	v_dual_mul_f32 v3, v19, v3 :: v_dual_mul_f32 v152, v140, v13
	v_dual_mul_f32 v148, v20, v5 :: v_dual_mul_f32 v149, v134, v7
	v_mul_f32_e32 v5, v21, v5
	s_delay_alu instid0(VALU_DEP_3) | instskip(SKIP_3) | instid1(VALU_DEP_3)
	v_fma_f32 v3, v18, v2, -v3
	s_wait_loadcnt_dscnt 0x100
	v_dual_mul_f32 v155, v146, v23 :: v_dual_fmac_f32 v24, v19, v2
	v_mul_f32_e32 v2, v135, v7
	v_dual_fmac_f32 v148, v21, v4 :: v_dual_add_f32 v3, 0, v3
	v_fma_f32 v4, v20, v4, -v5
	v_dual_mul_f32 v150, v136, v9 :: v_dual_mul_f32 v151, v138, v11
	s_delay_alu instid0(VALU_DEP_4) | instskip(SKIP_1) | instid1(VALU_DEP_4)
	v_fma_f32 v2, v134, v6, -v2
	v_dual_mul_f32 v153, v142, v15 :: v_dual_mul_f32 v154, v144, v17
	v_add_f32_e32 v3, v3, v4
	v_add_f32_e32 v5, 0, v24
	v_dual_fmac_f32 v150, v137, v8 :: v_dual_fmac_f32 v151, v139, v10
	v_fmac_f32_e32 v152, v141, v12
	s_delay_alu instid0(VALU_DEP_4) | instskip(NEXT) | instid1(VALU_DEP_4)
	v_dual_add_f32 v2, v3, v2 :: v_dual_mul_f32 v7, v137, v9
	v_dual_fmac_f32 v149, v135, v6 :: v_dual_add_f32 v4, v5, v148
	v_mul_f32_e32 v5, v139, v11
	v_dual_fmac_f32 v153, v143, v14 :: v_dual_fmac_f32 v154, v145, v16
	s_delay_alu instid0(VALU_DEP_4) | instskip(NEXT) | instid1(VALU_DEP_4)
	v_fma_f32 v6, v136, v8, -v7
	v_add_f32_e32 v3, v4, v149
	v_mul_f32_e32 v4, v141, v13
	v_fma_f32 v5, v138, v10, -v5
	s_delay_alu instid0(VALU_DEP_4) | instskip(SKIP_3) | instid1(VALU_DEP_4)
	v_add_f32_e32 v2, v2, v6
	v_mul_f32_e32 v6, v143, v15
	v_add_f32_e32 v3, v3, v150
	v_fma_f32 v4, v140, v12, -v4
	v_add_f32_e32 v2, v2, v5
	v_mul_f32_e32 v5, v145, v17
	s_delay_alu instid0(VALU_DEP_4) | instskip(SKIP_1) | instid1(VALU_DEP_4)
	v_add_f32_e32 v3, v3, v151
	v_fma_f32 v6, v142, v14, -v6
	v_add_f32_e32 v2, v2, v4
	v_mul_f32_e32 v4, v147, v23
	s_delay_alu instid0(VALU_DEP_4) | instskip(SKIP_1) | instid1(VALU_DEP_4)
	v_add_f32_e32 v3, v3, v152
	v_fma_f32 v5, v144, v16, -v5
	v_add_f32_e32 v2, v2, v6
	v_fmac_f32_e32 v155, v147, v22
	v_fma_f32 v4, v146, v22, -v4
	s_delay_alu instid0(VALU_DEP_3) | instskip(NEXT) | instid1(VALU_DEP_1)
	v_add_f32_e32 v2, v2, v5
	v_dual_add_f32 v3, v3, v153 :: v_dual_add_f32 v2, v2, v4
	s_delay_alu instid0(VALU_DEP_1) | instskip(NEXT) | instid1(VALU_DEP_1)
	v_add_f32_e32 v3, v3, v154
	v_add_f32_e32 v3, v3, v155
	s_wait_loadcnt 0x0
	s_delay_alu instid0(VALU_DEP_1)
	v_dual_sub_f32 v2, v131, v2 :: v_dual_sub_f32 v3, v132, v3
	scratch_store_b64 off, v[2:3], off offset:344
	v_cmpx_lt_u32_e32 42, v0
	s_cbranch_execz .LBB52_247
; %bb.246:
	scratch_load_b64 v[3:4], off, off offset:336
	v_mov_b32_e32 v2, v1
	scratch_store_b64 off, v[1:2], off offset:336
	s_wait_loadcnt 0x0
	ds_store_b64 v133, v[3:4]
.LBB52_247:
	s_wait_alu 0xfffe
	s_or_b32 exec_lo, exec_lo, s0
	s_wait_storecnt_dscnt 0x0
	s_barrier_signal -1
	s_barrier_wait -1
	global_inv scope:SCOPE_SE
	s_clause 0x5
	scratch_load_b128 v[2:5], off, off offset:344
	scratch_load_b128 v[6:9], off, off offset:360
	;; [unrolled: 1-line block ×5, first 2 shown]
	scratch_load_b64 v[22:23], off, off offset:336
	ds_load_2addr_b64 v[134:137], v1 offset0:97 offset1:98
	ds_load_2addr_b64 v[138:141], v1 offset0:99 offset1:100
	ds_load_2addr_b64 v[142:145], v1 offset0:101 offset1:102
	ds_load_2addr_b64 v[146:149], v1 offset0:103 offset1:104
	ds_load_2addr_b64 v[150:153], v1 offset0:105 offset1:106
	s_mov_b32 s0, exec_lo
	s_wait_loadcnt_dscnt 0x504
	v_dual_mul_f32 v1, v134, v3 :: v_dual_mul_f32 v24, v136, v5
	v_mul_f32_e32 v3, v135, v3
	v_mul_f32_e32 v5, v137, v5
	s_wait_loadcnt_dscnt 0x403
	v_dual_mul_f32 v131, v138, v7 :: v_dual_mul_f32 v132, v140, v9
	v_fmac_f32_e32 v24, v137, v4
	v_fma_f32 v3, v134, v2, -v3
	s_wait_loadcnt_dscnt 0x302
	v_dual_mul_f32 v154, v142, v11 :: v_dual_mul_f32 v155, v144, v13
	v_dual_fmac_f32 v1, v135, v2 :: v_dual_fmac_f32 v132, v141, v8
	v_mul_f32_e32 v2, v139, v7
	v_fma_f32 v4, v136, v4, -v5
	s_delay_alu instid0(VALU_DEP_4) | instskip(NEXT) | instid1(VALU_DEP_4)
	v_dual_add_f32 v3, 0, v3 :: v_dual_fmac_f32 v154, v143, v10
	v_add_f32_e32 v1, 0, v1
	s_delay_alu instid0(VALU_DEP_4) | instskip(SKIP_4) | instid1(VALU_DEP_3)
	v_fma_f32 v2, v138, v6, -v2
	s_wait_loadcnt_dscnt 0x201
	v_dual_mul_f32 v156, v146, v15 :: v_dual_mul_f32 v157, v148, v17
	v_add_f32_e32 v3, v3, v4
	v_dual_mul_f32 v5, v141, v9 :: v_dual_mul_f32 v4, v143, v11
	v_dual_add_f32 v1, v1, v24 :: v_dual_fmac_f32 v156, v147, v14
	s_delay_alu instid0(VALU_DEP_3) | instskip(NEXT) | instid1(VALU_DEP_3)
	v_add_f32_e32 v2, v3, v2
	v_fma_f32 v5, v140, v8, -v5
	v_fmac_f32_e32 v131, v139, v6
	v_fma_f32 v4, v142, v10, -v4
	s_wait_loadcnt_dscnt 0x100
	v_dual_mul_f32 v158, v150, v19 :: v_dual_mul_f32 v159, v152, v21
	s_delay_alu instid0(VALU_DEP_3) | instskip(NEXT) | instid1(VALU_DEP_2)
	v_dual_add_f32 v2, v2, v5 :: v_dual_add_f32 v1, v1, v131
	v_dual_mul_f32 v3, v145, v13 :: v_dual_fmac_f32 v158, v151, v18
	v_fmac_f32_e32 v157, v149, v16
	s_delay_alu instid0(VALU_DEP_3) | instskip(SKIP_1) | instid1(VALU_DEP_4)
	v_add_f32_e32 v2, v2, v4
	v_mul_f32_e32 v4, v149, v17
	v_fma_f32 v3, v144, v12, -v3
	v_add_f32_e32 v1, v1, v132
	v_fmac_f32_e32 v159, v153, v20
	s_delay_alu instid0(VALU_DEP_4) | instskip(SKIP_3) | instid1(VALU_DEP_3)
	v_fma_f32 v4, v148, v16, -v4
	v_mul_f32_e32 v5, v147, v15
	v_add_f32_e32 v2, v2, v3
	v_mul_f32_e32 v3, v151, v19
	v_fma_f32 v5, v146, v14, -v5
	v_fmac_f32_e32 v155, v145, v12
	s_delay_alu instid0(VALU_DEP_3) | instskip(NEXT) | instid1(VALU_DEP_3)
	v_fma_f32 v3, v150, v18, -v3
	v_add_f32_e32 v2, v2, v5
	s_delay_alu instid0(VALU_DEP_1) | instskip(SKIP_1) | instid1(VALU_DEP_2)
	v_dual_mul_f32 v5, v153, v21 :: v_dual_add_f32 v2, v2, v4
	v_add_f32_e32 v1, v1, v154
	v_fma_f32 v4, v152, v20, -v5
	s_delay_alu instid0(VALU_DEP_3) | instskip(NEXT) | instid1(VALU_DEP_1)
	v_add_f32_e32 v2, v2, v3
	v_dual_add_f32 v1, v1, v155 :: v_dual_add_f32 v2, v2, v4
	s_delay_alu instid0(VALU_DEP_1) | instskip(NEXT) | instid1(VALU_DEP_1)
	v_add_f32_e32 v1, v1, v156
	v_add_f32_e32 v1, v1, v157
	s_delay_alu instid0(VALU_DEP_1) | instskip(NEXT) | instid1(VALU_DEP_1)
	v_add_f32_e32 v1, v1, v158
	v_add_f32_e32 v3, v1, v159
	s_wait_loadcnt 0x0
	s_delay_alu instid0(VALU_DEP_1)
	v_dual_sub_f32 v1, v22, v2 :: v_dual_sub_f32 v2, v23, v3
	scratch_store_b64 off, v[1:2], off offset:336
	v_cmpx_lt_u32_e32 41, v0
	s_cbranch_execz .LBB52_249
; %bb.248:
	scratch_load_b64 v[1:2], off, off offset:328
	v_mov_b32_e32 v3, 0
	s_delay_alu instid0(VALU_DEP_1)
	v_mov_b32_e32 v4, v3
	scratch_store_b64 off, v[3:4], off offset:328
	s_wait_loadcnt 0x0
	ds_store_b64 v133, v[1:2]
.LBB52_249:
	s_wait_alu 0xfffe
	s_or_b32 exec_lo, exec_lo, s0
	s_wait_storecnt_dscnt 0x0
	s_barrier_signal -1
	s_barrier_wait -1
	global_inv scope:SCOPE_SE
	s_clause 0x6
	scratch_load_b128 v[2:5], off, off offset:336
	scratch_load_b128 v[6:9], off, off offset:352
	;; [unrolled: 1-line block ×5, first 2 shown]
	scratch_load_b64 v[22:23], off, off offset:416
	scratch_load_b64 v[131:132], off, off offset:328
	v_mov_b32_e32 v1, 0
	ds_load_b128 v[134:137], v1 offset:768
	ds_load_b128 v[138:141], v1 offset:784
	;; [unrolled: 1-line block ×5, first 2 shown]
	ds_load_b64 v[154:155], v1 offset:848
	s_mov_b32 s0, exec_lo
	s_wait_loadcnt_dscnt 0x605
	v_mul_f32_e32 v24, v134, v3
	v_dual_mul_f32 v3, v135, v3 :: v_dual_mul_f32 v156, v136, v5
	s_wait_loadcnt_dscnt 0x302
	v_dual_mul_f32 v157, v138, v7 :: v_dual_mul_f32 v162, v148, v17
	v_mul_f32_e32 v5, v137, v5
	s_delay_alu instid0(VALU_DEP_3) | instskip(SKIP_3) | instid1(VALU_DEP_3)
	v_fma_f32 v3, v134, v2, -v3
	s_wait_loadcnt_dscnt 0x100
	v_dual_mul_f32 v165, v154, v23 :: v_dual_fmac_f32 v24, v135, v2
	v_mul_f32_e32 v2, v139, v7
	v_dual_fmac_f32 v156, v137, v4 :: v_dual_add_f32 v3, 0, v3
	v_fma_f32 v4, v136, v4, -v5
	v_dual_mul_f32 v158, v140, v9 :: v_dual_mul_f32 v159, v142, v11
	s_delay_alu instid0(VALU_DEP_4) | instskip(SKIP_1) | instid1(VALU_DEP_4)
	v_fma_f32 v2, v138, v6, -v2
	v_dual_mul_f32 v160, v144, v13 :: v_dual_mul_f32 v161, v146, v15
	v_add_f32_e32 v3, v3, v4
	v_add_f32_e32 v5, 0, v24
	v_dual_fmac_f32 v158, v141, v8 :: v_dual_fmac_f32 v159, v143, v10
	s_delay_alu instid0(VALU_DEP_4) | instskip(NEXT) | instid1(VALU_DEP_4)
	v_fmac_f32_e32 v160, v145, v12
	v_dual_add_f32 v2, v3, v2 :: v_dual_mul_f32 v7, v141, v9
	s_delay_alu instid0(VALU_DEP_4) | instskip(SKIP_2) | instid1(VALU_DEP_4)
	v_dual_fmac_f32 v157, v139, v6 :: v_dual_add_f32 v4, v5, v156
	v_mul_f32_e32 v5, v143, v11
	v_dual_fmac_f32 v161, v147, v14 :: v_dual_fmac_f32 v162, v149, v16
	v_fma_f32 v6, v140, v8, -v7
	s_delay_alu instid0(VALU_DEP_4)
	v_add_f32_e32 v3, v4, v157
	v_mul_f32_e32 v4, v145, v13
	v_fma_f32 v5, v142, v10, -v5
	v_dual_mul_f32 v163, v150, v19 :: v_dual_mul_f32 v164, v152, v21
	v_add_f32_e32 v2, v2, v6
	v_mul_f32_e32 v6, v147, v15
	v_add_f32_e32 v3, v3, v158
	v_fma_f32 v4, v144, v12, -v4
	s_delay_alu instid0(VALU_DEP_4) | instskip(SKIP_1) | instid1(VALU_DEP_4)
	v_dual_fmac_f32 v163, v151, v18 :: v_dual_add_f32 v2, v2, v5
	v_mul_f32_e32 v5, v149, v17
	v_add_f32_e32 v3, v3, v159
	v_fma_f32 v6, v146, v14, -v6
	v_fmac_f32_e32 v164, v153, v20
	v_add_f32_e32 v2, v2, v4
	v_mul_f32_e32 v4, v151, v19
	v_add_f32_e32 v3, v3, v160
	v_fma_f32 v5, v148, v16, -v5
	s_delay_alu instid0(VALU_DEP_4) | instskip(SKIP_1) | instid1(VALU_DEP_4)
	v_add_f32_e32 v2, v2, v6
	v_mul_f32_e32 v6, v153, v21
	v_add_f32_e32 v3, v3, v161
	v_fma_f32 v4, v150, v18, -v4
	s_delay_alu instid0(VALU_DEP_4) | instskip(NEXT) | instid1(VALU_DEP_4)
	v_add_f32_e32 v2, v2, v5
	v_fma_f32 v6, v152, v20, -v6
	s_delay_alu instid0(VALU_DEP_4) | instskip(NEXT) | instid1(VALU_DEP_3)
	v_add_f32_e32 v3, v3, v162
	v_dual_mul_f32 v5, v155, v23 :: v_dual_add_f32 v2, v2, v4
	s_delay_alu instid0(VALU_DEP_2) | instskip(NEXT) | instid1(VALU_DEP_2)
	v_add_f32_e32 v3, v3, v163
	v_fma_f32 v4, v154, v22, -v5
	s_delay_alu instid0(VALU_DEP_3) | instskip(SKIP_1) | instid1(VALU_DEP_4)
	v_add_f32_e32 v2, v2, v6
	v_fmac_f32_e32 v165, v155, v22
	v_add_f32_e32 v3, v3, v164
	s_delay_alu instid0(VALU_DEP_1) | instskip(SKIP_1) | instid1(VALU_DEP_1)
	v_dual_add_f32 v2, v2, v4 :: v_dual_add_f32 v3, v3, v165
	s_wait_loadcnt 0x0
	v_dual_sub_f32 v2, v131, v2 :: v_dual_sub_f32 v3, v132, v3
	scratch_store_b64 off, v[2:3], off offset:328
	v_cmpx_lt_u32_e32 40, v0
	s_cbranch_execz .LBB52_251
; %bb.250:
	scratch_load_b64 v[3:4], off, off offset:320
	v_mov_b32_e32 v2, v1
	scratch_store_b64 off, v[1:2], off offset:320
	s_wait_loadcnt 0x0
	ds_store_b64 v133, v[3:4]
.LBB52_251:
	s_wait_alu 0xfffe
	s_or_b32 exec_lo, exec_lo, s0
	s_wait_storecnt_dscnt 0x0
	s_barrier_signal -1
	s_barrier_wait -1
	global_inv scope:SCOPE_SE
	s_clause 0x6
	scratch_load_b128 v[2:5], off, off offset:328
	scratch_load_b128 v[6:9], off, off offset:344
	;; [unrolled: 1-line block ×6, first 2 shown]
	scratch_load_b64 v[22:23], off, off offset:320
	ds_load_2addr_b64 v[138:141], v1 offset0:95 offset1:96
	ds_load_2addr_b64 v[142:145], v1 offset0:97 offset1:98
	;; [unrolled: 1-line block ×6, first 2 shown]
	s_mov_b32 s0, exec_lo
	s_wait_loadcnt_dscnt 0x605
	v_dual_mul_f32 v1, v138, v3 :: v_dual_mul_f32 v24, v140, v5
	v_mul_f32_e32 v3, v139, v3
	v_mul_f32_e32 v5, v141, v5
	s_wait_loadcnt_dscnt 0x504
	v_dual_mul_f32 v131, v142, v7 :: v_dual_mul_f32 v132, v144, v9
	v_fmac_f32_e32 v24, v141, v4
	v_fma_f32 v3, v138, v2, -v3
	s_wait_loadcnt_dscnt 0x403
	v_dual_mul_f32 v162, v146, v11 :: v_dual_mul_f32 v163, v148, v13
	v_dual_fmac_f32 v1, v139, v2 :: v_dual_fmac_f32 v132, v145, v8
	v_mul_f32_e32 v2, v143, v7
	v_fma_f32 v4, v140, v4, -v5
	s_delay_alu instid0(VALU_DEP_4) | instskip(NEXT) | instid1(VALU_DEP_4)
	v_dual_add_f32 v3, 0, v3 :: v_dual_fmac_f32 v162, v147, v10
	v_add_f32_e32 v1, 0, v1
	s_delay_alu instid0(VALU_DEP_4) | instskip(SKIP_4) | instid1(VALU_DEP_3)
	v_fma_f32 v2, v142, v6, -v2
	s_wait_loadcnt_dscnt 0x302
	v_dual_mul_f32 v164, v150, v15 :: v_dual_mul_f32 v165, v152, v17
	v_add_f32_e32 v3, v3, v4
	v_dual_mul_f32 v5, v145, v9 :: v_dual_mul_f32 v4, v147, v11
	v_dual_add_f32 v1, v1, v24 :: v_dual_fmac_f32 v164, v151, v14
	s_delay_alu instid0(VALU_DEP_3) | instskip(NEXT) | instid1(VALU_DEP_3)
	v_add_f32_e32 v2, v3, v2
	v_fma_f32 v5, v144, v8, -v5
	v_fmac_f32_e32 v131, v143, v6
	v_fma_f32 v4, v146, v10, -v4
	s_wait_loadcnt_dscnt 0x201
	v_dual_mul_f32 v166, v154, v19 :: v_dual_mul_f32 v167, v156, v21
	s_delay_alu instid0(VALU_DEP_3) | instskip(NEXT) | instid1(VALU_DEP_2)
	v_dual_add_f32 v2, v2, v5 :: v_dual_add_f32 v1, v1, v131
	v_dual_mul_f32 v3, v149, v13 :: v_dual_fmac_f32 v166, v155, v18
	s_wait_loadcnt_dscnt 0x100
	v_dual_mul_f32 v168, v158, v135 :: v_dual_mul_f32 v169, v160, v137
	s_delay_alu instid0(VALU_DEP_3)
	v_add_f32_e32 v2, v2, v4
	v_mul_f32_e32 v4, v153, v17
	v_fma_f32 v3, v148, v12, -v3
	v_add_f32_e32 v1, v1, v132
	v_fmac_f32_e32 v167, v157, v20
	v_fmac_f32_e32 v169, v161, v136
	v_fma_f32 v4, v152, v16, -v4
	v_mul_f32_e32 v5, v151, v15
	v_dual_add_f32 v2, v2, v3 :: v_dual_add_f32 v1, v1, v162
	v_fmac_f32_e32 v168, v159, v134
	s_delay_alu instid0(VALU_DEP_3) | instskip(NEXT) | instid1(VALU_DEP_1)
	v_fma_f32 v5, v150, v14, -v5
	v_dual_fmac_f32 v163, v149, v12 :: v_dual_add_f32 v2, v2, v5
	s_delay_alu instid0(VALU_DEP_1) | instskip(SKIP_1) | instid1(VALU_DEP_3)
	v_add_f32_e32 v2, v2, v4
	v_mul_f32_e32 v4, v159, v135
	v_add_f32_e32 v1, v1, v163
	s_delay_alu instid0(VALU_DEP_2) | instskip(SKIP_1) | instid1(VALU_DEP_1)
	v_fma_f32 v4, v158, v134, -v4
	v_mul_f32_e32 v5, v157, v21
	v_fma_f32 v5, v156, v20, -v5
	v_mul_f32_e32 v3, v155, v19
	s_delay_alu instid0(VALU_DEP_1) | instskip(NEXT) | instid1(VALU_DEP_1)
	v_fma_f32 v3, v154, v18, -v3
	v_dual_fmac_f32 v165, v153, v16 :: v_dual_add_f32 v2, v2, v3
	v_mul_f32_e32 v3, v161, v137
	s_delay_alu instid0(VALU_DEP_2) | instskip(NEXT) | instid1(VALU_DEP_2)
	v_add_f32_e32 v2, v2, v5
	v_fma_f32 v3, v160, v136, -v3
	s_delay_alu instid0(VALU_DEP_2) | instskip(NEXT) | instid1(VALU_DEP_1)
	v_add_f32_e32 v2, v2, v4
	v_dual_add_f32 v1, v1, v164 :: v_dual_add_f32 v2, v2, v3
	s_delay_alu instid0(VALU_DEP_1) | instskip(NEXT) | instid1(VALU_DEP_1)
	v_add_f32_e32 v1, v1, v165
	v_add_f32_e32 v1, v1, v166
	s_delay_alu instid0(VALU_DEP_1) | instskip(NEXT) | instid1(VALU_DEP_1)
	v_add_f32_e32 v1, v1, v167
	v_add_f32_e32 v1, v1, v168
	s_delay_alu instid0(VALU_DEP_1) | instskip(SKIP_1) | instid1(VALU_DEP_1)
	v_add_f32_e32 v3, v1, v169
	s_wait_loadcnt 0x0
	v_dual_sub_f32 v1, v22, v2 :: v_dual_sub_f32 v2, v23, v3
	scratch_store_b64 off, v[1:2], off offset:320
	v_cmpx_lt_u32_e32 39, v0
	s_cbranch_execz .LBB52_253
; %bb.252:
	scratch_load_b64 v[1:2], off, off offset:312
	v_mov_b32_e32 v3, 0
	s_delay_alu instid0(VALU_DEP_1)
	v_mov_b32_e32 v4, v3
	scratch_store_b64 off, v[3:4], off offset:312
	s_wait_loadcnt 0x0
	ds_store_b64 v133, v[1:2]
.LBB52_253:
	s_wait_alu 0xfffe
	s_or_b32 exec_lo, exec_lo, s0
	s_wait_storecnt_dscnt 0x0
	s_barrier_signal -1
	s_barrier_wait -1
	global_inv scope:SCOPE_SE
	s_clause 0x7
	scratch_load_b128 v[2:5], off, off offset:320
	scratch_load_b128 v[6:9], off, off offset:336
	;; [unrolled: 1-line block ×6, first 2 shown]
	scratch_load_b64 v[22:23], off, off offset:416
	scratch_load_b64 v[131:132], off, off offset:312
	v_mov_b32_e32 v1, 0
	ds_load_b128 v[138:141], v1 offset:752
	ds_load_b128 v[142:145], v1 offset:768
	;; [unrolled: 1-line block ×6, first 2 shown]
	ds_load_b64 v[162:163], v1 offset:848
	s_mov_b32 s0, exec_lo
	s_wait_loadcnt_dscnt 0x706
	v_mul_f32_e32 v24, v138, v3
	v_dual_mul_f32 v3, v139, v3 :: v_dual_mul_f32 v164, v140, v5
	s_wait_loadcnt_dscnt 0x302
	v_dual_mul_f32 v165, v142, v7 :: v_dual_mul_f32 v172, v156, v21
	v_mul_f32_e32 v5, v141, v5
	s_delay_alu instid0(VALU_DEP_3) | instskip(SKIP_3) | instid1(VALU_DEP_3)
	v_fma_f32 v3, v138, v2, -v3
	s_wait_loadcnt_dscnt 0x100
	v_dual_mul_f32 v175, v162, v23 :: v_dual_fmac_f32 v24, v139, v2
	v_mul_f32_e32 v2, v143, v7
	v_dual_fmac_f32 v164, v141, v4 :: v_dual_add_f32 v3, 0, v3
	v_fma_f32 v4, v140, v4, -v5
	v_dual_mul_f32 v166, v144, v9 :: v_dual_mul_f32 v167, v146, v11
	s_delay_alu instid0(VALU_DEP_4) | instskip(SKIP_1) | instid1(VALU_DEP_4)
	v_fma_f32 v2, v142, v6, -v2
	v_dual_mul_f32 v168, v148, v13 :: v_dual_mul_f32 v169, v150, v15
	v_add_f32_e32 v3, v3, v4
	v_add_f32_e32 v5, 0, v24
	v_dual_fmac_f32 v166, v145, v8 :: v_dual_fmac_f32 v167, v147, v10
	s_delay_alu instid0(VALU_DEP_4) | instskip(NEXT) | instid1(VALU_DEP_4)
	v_fmac_f32_e32 v168, v149, v12
	v_dual_add_f32 v2, v3, v2 :: v_dual_mul_f32 v7, v145, v9
	s_delay_alu instid0(VALU_DEP_4) | instskip(SKIP_2) | instid1(VALU_DEP_4)
	v_dual_fmac_f32 v165, v143, v6 :: v_dual_add_f32 v4, v5, v164
	v_dual_mul_f32 v5, v147, v11 :: v_dual_mul_f32 v170, v152, v17
	v_mul_f32_e32 v171, v154, v19
	v_fma_f32 v6, v144, v8, -v7
	s_delay_alu instid0(VALU_DEP_4)
	v_add_f32_e32 v3, v4, v165
	v_mul_f32_e32 v4, v149, v13
	v_fma_f32 v5, v146, v10, -v5
	v_dual_fmac_f32 v169, v151, v14 :: v_dual_fmac_f32 v170, v153, v16
	v_add_f32_e32 v2, v2, v6
	v_mul_f32_e32 v6, v151, v15
	v_add_f32_e32 v3, v3, v166
	v_fma_f32 v4, v148, v12, -v4
	v_dual_mul_f32 v173, v158, v135 :: v_dual_mul_f32 v174, v160, v137
	s_delay_alu instid0(VALU_DEP_3) | instskip(SKIP_2) | instid1(VALU_DEP_3)
	v_dual_add_f32 v2, v2, v5 :: v_dual_add_f32 v3, v3, v167
	v_mul_f32_e32 v5, v153, v17
	v_fma_f32 v6, v150, v14, -v6
	v_dual_fmac_f32 v171, v155, v18 :: v_dual_add_f32 v2, v2, v4
	s_delay_alu instid0(VALU_DEP_4) | instskip(SKIP_3) | instid1(VALU_DEP_4)
	v_add_f32_e32 v3, v3, v168
	v_mul_f32_e32 v4, v155, v19
	v_fma_f32 v5, v152, v16, -v5
	v_fmac_f32_e32 v172, v157, v20
	v_dual_add_f32 v2, v2, v6 :: v_dual_add_f32 v3, v3, v169
	v_mul_f32_e32 v6, v157, v21
	v_fma_f32 v4, v154, v18, -v4
	v_dual_fmac_f32 v173, v159, v134 :: v_dual_fmac_f32 v174, v161, v136
	s_delay_alu instid0(VALU_DEP_4) | instskip(SKIP_2) | instid1(VALU_DEP_3)
	v_dual_add_f32 v2, v2, v5 :: v_dual_add_f32 v3, v3, v170
	v_mul_f32_e32 v5, v159, v135
	v_fma_f32 v6, v156, v20, -v6
	v_dual_fmac_f32 v175, v163, v22 :: v_dual_add_f32 v2, v2, v4
	s_delay_alu instid0(VALU_DEP_4) | instskip(NEXT) | instid1(VALU_DEP_4)
	v_dual_add_f32 v3, v3, v171 :: v_dual_mul_f32 v4, v161, v137
	v_fma_f32 v5, v158, v134, -v5
	s_delay_alu instid0(VALU_DEP_2) | instskip(SKIP_1) | instid1(VALU_DEP_4)
	v_dual_add_f32 v2, v2, v6 :: v_dual_add_f32 v3, v3, v172
	v_mul_f32_e32 v6, v163, v23
	v_fma_f32 v4, v160, v136, -v4
	s_delay_alu instid0(VALU_DEP_3) | instskip(NEXT) | instid1(VALU_DEP_4)
	v_add_f32_e32 v2, v2, v5
	v_add_f32_e32 v3, v3, v173
	s_delay_alu instid0(VALU_DEP_4) | instskip(NEXT) | instid1(VALU_DEP_2)
	v_fma_f32 v5, v162, v22, -v6
	v_dual_add_f32 v2, v2, v4 :: v_dual_add_f32 v3, v3, v174
	s_delay_alu instid0(VALU_DEP_1) | instskip(SKIP_1) | instid1(VALU_DEP_1)
	v_dual_add_f32 v2, v2, v5 :: v_dual_add_f32 v3, v3, v175
	s_wait_loadcnt 0x0
	v_dual_sub_f32 v2, v131, v2 :: v_dual_sub_f32 v3, v132, v3
	scratch_store_b64 off, v[2:3], off offset:312
	v_cmpx_lt_u32_e32 38, v0
	s_cbranch_execz .LBB52_255
; %bb.254:
	scratch_load_b64 v[3:4], off, off offset:304
	v_mov_b32_e32 v2, v1
	scratch_store_b64 off, v[1:2], off offset:304
	s_wait_loadcnt 0x0
	ds_store_b64 v133, v[3:4]
.LBB52_255:
	s_wait_alu 0xfffe
	s_or_b32 exec_lo, exec_lo, s0
	s_wait_storecnt_dscnt 0x0
	s_barrier_signal -1
	s_barrier_wait -1
	global_inv scope:SCOPE_SE
	s_clause 0x7
	scratch_load_b128 v[2:5], off, off offset:312
	scratch_load_b128 v[6:9], off, off offset:328
	;; [unrolled: 1-line block ×7, first 2 shown]
	scratch_load_b64 v[22:23], off, off offset:304
	ds_load_2addr_b64 v[142:145], v1 offset0:93 offset1:94
	ds_load_2addr_b64 v[146:149], v1 offset0:95 offset1:96
	;; [unrolled: 1-line block ×7, first 2 shown]
	s_mov_b32 s0, exec_lo
	s_wait_loadcnt_dscnt 0x706
	v_dual_mul_f32 v1, v142, v3 :: v_dual_mul_f32 v24, v144, v5
	v_mul_f32_e32 v3, v143, v3
	v_mul_f32_e32 v5, v145, v5
	s_wait_loadcnt_dscnt 0x605
	v_dual_mul_f32 v131, v146, v7 :: v_dual_mul_f32 v132, v148, v9
	v_fmac_f32_e32 v24, v145, v4
	v_fma_f32 v3, v142, v2, -v3
	s_wait_loadcnt_dscnt 0x504
	v_dual_mul_f32 v170, v150, v11 :: v_dual_mul_f32 v171, v152, v13
	v_dual_fmac_f32 v1, v143, v2 :: v_dual_fmac_f32 v132, v149, v8
	v_mul_f32_e32 v2, v147, v7
	v_fma_f32 v4, v144, v4, -v5
	s_delay_alu instid0(VALU_DEP_4) | instskip(NEXT) | instid1(VALU_DEP_4)
	v_dual_add_f32 v3, 0, v3 :: v_dual_fmac_f32 v170, v151, v10
	v_add_f32_e32 v1, 0, v1
	s_delay_alu instid0(VALU_DEP_4) | instskip(SKIP_4) | instid1(VALU_DEP_3)
	v_fma_f32 v2, v146, v6, -v2
	s_wait_loadcnt_dscnt 0x403
	v_dual_mul_f32 v172, v154, v15 :: v_dual_mul_f32 v173, v156, v17
	v_add_f32_e32 v3, v3, v4
	v_dual_mul_f32 v5, v149, v9 :: v_dual_mul_f32 v4, v151, v11
	v_dual_add_f32 v1, v1, v24 :: v_dual_fmac_f32 v172, v155, v14
	s_delay_alu instid0(VALU_DEP_3) | instskip(NEXT) | instid1(VALU_DEP_3)
	v_add_f32_e32 v2, v3, v2
	v_fma_f32 v5, v148, v8, -v5
	v_fmac_f32_e32 v131, v147, v6
	v_fma_f32 v4, v150, v10, -v4
	s_wait_loadcnt_dscnt 0x302
	v_dual_mul_f32 v174, v158, v19 :: v_dual_mul_f32 v175, v160, v21
	s_delay_alu instid0(VALU_DEP_3) | instskip(NEXT) | instid1(VALU_DEP_2)
	v_dual_add_f32 v2, v2, v5 :: v_dual_add_f32 v1, v1, v131
	v_dual_mul_f32 v3, v153, v13 :: v_dual_fmac_f32 v174, v159, v18
	s_wait_loadcnt_dscnt 0x201
	v_dual_mul_f32 v176, v162, v135 :: v_dual_mul_f32 v177, v164, v137
	s_delay_alu instid0(VALU_DEP_3)
	v_add_f32_e32 v2, v2, v4
	v_mul_f32_e32 v4, v157, v17
	v_fma_f32 v3, v152, v12, -v3
	s_wait_loadcnt_dscnt 0x100
	v_dual_add_f32 v1, v1, v132 :: v_dual_mul_f32 v178, v166, v139
	v_mul_f32_e32 v179, v168, v141
	v_fma_f32 v4, v156, v16, -v4
	v_mul_f32_e32 v5, v155, v15
	s_delay_alu instid0(VALU_DEP_4) | instskip(SKIP_1) | instid1(VALU_DEP_3)
	v_dual_add_f32 v2, v2, v3 :: v_dual_add_f32 v1, v1, v170
	v_dual_fmac_f32 v176, v163, v134 :: v_dual_fmac_f32 v177, v165, v136
	v_fma_f32 v5, v154, v14, -v5
	v_dual_fmac_f32 v171, v153, v12 :: v_dual_fmac_f32 v178, v167, v138
	s_delay_alu instid0(VALU_DEP_2) | instskip(NEXT) | instid1(VALU_DEP_1)
	v_dual_fmac_f32 v179, v169, v140 :: v_dual_add_f32 v2, v2, v5
	v_add_f32_e32 v2, v2, v4
	v_mul_f32_e32 v4, v163, v135
	s_delay_alu instid0(VALU_DEP_4) | instskip(NEXT) | instid1(VALU_DEP_2)
	v_add_f32_e32 v1, v1, v171
	v_fma_f32 v4, v162, v134, -v4
	v_mul_f32_e32 v5, v161, v21
	s_delay_alu instid0(VALU_DEP_3) | instskip(NEXT) | instid1(VALU_DEP_2)
	v_add_f32_e32 v1, v1, v172
	v_fma_f32 v5, v160, v20, -v5
	v_mul_f32_e32 v3, v159, v19
	s_delay_alu instid0(VALU_DEP_1) | instskip(NEXT) | instid1(VALU_DEP_1)
	v_fma_f32 v3, v158, v18, -v3
	v_dual_fmac_f32 v173, v157, v16 :: v_dual_add_f32 v2, v2, v3
	v_mul_f32_e32 v3, v165, v137
	s_delay_alu instid0(VALU_DEP_2) | instskip(NEXT) | instid1(VALU_DEP_2)
	v_dual_add_f32 v2, v2, v5 :: v_dual_mul_f32 v5, v167, v139
	v_fma_f32 v3, v164, v136, -v3
	s_delay_alu instid0(VALU_DEP_2) | instskip(SKIP_1) | instid1(VALU_DEP_4)
	v_dual_add_f32 v2, v2, v4 :: v_dual_add_f32 v1, v1, v173
	v_mul_f32_e32 v4, v169, v141
	v_fma_f32 v5, v166, v138, -v5
	s_delay_alu instid0(VALU_DEP_3) | instskip(NEXT) | instid1(VALU_DEP_3)
	v_dual_add_f32 v2, v2, v3 :: v_dual_fmac_f32 v175, v161, v20
	v_fma_f32 v3, v168, v140, -v4
	s_delay_alu instid0(VALU_DEP_2) | instskip(NEXT) | instid1(VALU_DEP_1)
	v_dual_add_f32 v2, v2, v5 :: v_dual_add_f32 v1, v1, v174
	v_add_f32_e32 v2, v2, v3
	s_delay_alu instid0(VALU_DEP_2) | instskip(NEXT) | instid1(VALU_DEP_1)
	v_add_f32_e32 v1, v1, v175
	v_add_f32_e32 v1, v1, v176
	s_delay_alu instid0(VALU_DEP_1) | instskip(NEXT) | instid1(VALU_DEP_1)
	v_add_f32_e32 v1, v1, v177
	v_add_f32_e32 v1, v1, v178
	s_delay_alu instid0(VALU_DEP_1) | instskip(SKIP_1) | instid1(VALU_DEP_1)
	v_add_f32_e32 v3, v1, v179
	s_wait_loadcnt 0x0
	v_dual_sub_f32 v1, v22, v2 :: v_dual_sub_f32 v2, v23, v3
	scratch_store_b64 off, v[1:2], off offset:304
	v_cmpx_lt_u32_e32 37, v0
	s_cbranch_execz .LBB52_257
; %bb.256:
	scratch_load_b64 v[1:2], off, off offset:296
	v_mov_b32_e32 v3, 0
	s_delay_alu instid0(VALU_DEP_1)
	v_mov_b32_e32 v4, v3
	scratch_store_b64 off, v[3:4], off offset:296
	s_wait_loadcnt 0x0
	ds_store_b64 v133, v[1:2]
.LBB52_257:
	s_wait_alu 0xfffe
	s_or_b32 exec_lo, exec_lo, s0
	s_wait_storecnt_dscnt 0x0
	s_barrier_signal -1
	s_barrier_wait -1
	global_inv scope:SCOPE_SE
	s_clause 0x8
	scratch_load_b128 v[2:5], off, off offset:304
	scratch_load_b128 v[6:9], off, off offset:320
	;; [unrolled: 1-line block ×7, first 2 shown]
	scratch_load_b64 v[22:23], off, off offset:416
	scratch_load_b64 v[131:132], off, off offset:296
	v_mov_b32_e32 v1, 0
	ds_load_b128 v[142:145], v1 offset:736
	ds_load_b128 v[146:149], v1 offset:752
	;; [unrolled: 1-line block ×7, first 2 shown]
	ds_load_b64 v[170:171], v1 offset:848
	s_mov_b32 s0, exec_lo
	s_wait_loadcnt_dscnt 0x807
	v_mul_f32_e32 v24, v142, v3
	v_dual_mul_f32 v3, v143, v3 :: v_dual_mul_f32 v172, v144, v5
	s_wait_loadcnt_dscnt 0x706
	v_mul_f32_e32 v173, v146, v7
	v_mul_f32_e32 v5, v145, v5
	s_wait_loadcnt_dscnt 0x302
	v_mul_f32_e32 v182, v164, v137
	v_fma_f32 v3, v142, v2, -v3
	s_wait_loadcnt_dscnt 0x100
	v_dual_mul_f32 v185, v170, v23 :: v_dual_fmac_f32 v24, v143, v2
	v_mul_f32_e32 v2, v147, v7
	s_delay_alu instid0(VALU_DEP_3) | instskip(SKIP_2) | instid1(VALU_DEP_4)
	v_dual_fmac_f32 v172, v145, v4 :: v_dual_add_f32 v3, 0, v3
	v_fma_f32 v4, v144, v4, -v5
	v_dual_mul_f32 v174, v148, v9 :: v_dual_mul_f32 v175, v150, v11
	v_fma_f32 v2, v146, v6, -v2
	v_dual_mul_f32 v176, v152, v13 :: v_dual_mul_f32 v177, v154, v15
	s_delay_alu instid0(VALU_DEP_4) | instskip(SKIP_1) | instid1(VALU_DEP_3)
	v_add_f32_e32 v3, v3, v4
	v_add_f32_e32 v5, 0, v24
	v_dual_fmac_f32 v175, v151, v10 :: v_dual_fmac_f32 v176, v153, v12
	v_fmac_f32_e32 v174, v149, v8
	s_delay_alu instid0(VALU_DEP_4) | instskip(NEXT) | instid1(VALU_DEP_4)
	v_dual_add_f32 v2, v3, v2 :: v_dual_mul_f32 v7, v149, v9
	v_dual_fmac_f32 v173, v147, v6 :: v_dual_add_f32 v4, v5, v172
	v_dual_mul_f32 v5, v151, v11 :: v_dual_mul_f32 v178, v156, v17
	v_mul_f32_e32 v179, v158, v19
	s_delay_alu instid0(VALU_DEP_4) | instskip(NEXT) | instid1(VALU_DEP_4)
	v_fma_f32 v6, v148, v8, -v7
	v_add_f32_e32 v3, v4, v173
	v_mul_f32_e32 v4, v153, v13
	v_fma_f32 v5, v150, v10, -v5
	v_dual_fmac_f32 v177, v155, v14 :: v_dual_fmac_f32 v178, v157, v16
	v_add_f32_e32 v2, v2, v6
	v_mul_f32_e32 v6, v155, v15
	v_add_f32_e32 v3, v3, v174
	v_fma_f32 v4, v152, v12, -v4
	v_dual_mul_f32 v180, v160, v21 :: v_dual_mul_f32 v181, v162, v135
	s_delay_alu instid0(VALU_DEP_3) | instskip(SKIP_2) | instid1(VALU_DEP_3)
	v_dual_add_f32 v2, v2, v5 :: v_dual_add_f32 v3, v3, v175
	v_mul_f32_e32 v5, v157, v17
	v_fma_f32 v6, v154, v14, -v6
	v_dual_fmac_f32 v179, v159, v18 :: v_dual_add_f32 v2, v2, v4
	s_delay_alu instid0(VALU_DEP_4) | instskip(SKIP_3) | instid1(VALU_DEP_4)
	v_add_f32_e32 v3, v3, v176
	v_mul_f32_e32 v4, v159, v19
	v_fma_f32 v5, v156, v16, -v5
	v_fmac_f32_e32 v180, v161, v20
	v_dual_add_f32 v2, v2, v6 :: v_dual_add_f32 v3, v3, v177
	v_mul_f32_e32 v6, v161, v21
	v_fma_f32 v4, v158, v18, -v4
	v_dual_mul_f32 v183, v166, v139 :: v_dual_mul_f32 v184, v168, v141
	s_delay_alu instid0(VALU_DEP_4) | instskip(SKIP_3) | instid1(VALU_DEP_4)
	v_dual_add_f32 v2, v2, v5 :: v_dual_add_f32 v3, v3, v178
	v_mul_f32_e32 v5, v163, v135
	v_fma_f32 v6, v160, v20, -v6
	v_dual_fmac_f32 v181, v163, v134 :: v_dual_fmac_f32 v182, v165, v136
	v_dual_add_f32 v2, v2, v4 :: v_dual_add_f32 v3, v3, v179
	v_mul_f32_e32 v4, v165, v137
	v_fma_f32 v5, v162, v134, -v5
	v_fmac_f32_e32 v183, v167, v138
	s_delay_alu instid0(VALU_DEP_4) | instskip(SKIP_3) | instid1(VALU_DEP_4)
	v_dual_add_f32 v2, v2, v6 :: v_dual_add_f32 v3, v3, v180
	v_mul_f32_e32 v6, v167, v139
	v_fma_f32 v4, v164, v136, -v4
	v_fmac_f32_e32 v184, v169, v140
	v_add_f32_e32 v2, v2, v5
	v_add_f32_e32 v3, v3, v181
	v_mul_f32_e32 v5, v169, v141
	v_fma_f32 v6, v166, v138, -v6
	s_delay_alu instid0(VALU_DEP_3) | instskip(SKIP_1) | instid1(VALU_DEP_4)
	v_dual_add_f32 v2, v2, v4 :: v_dual_add_f32 v3, v3, v182
	v_mul_f32_e32 v4, v171, v23
	v_fma_f32 v5, v168, v140, -v5
	s_delay_alu instid0(VALU_DEP_3) | instskip(SKIP_1) | instid1(VALU_DEP_4)
	v_dual_add_f32 v2, v2, v6 :: v_dual_add_f32 v3, v3, v183
	v_fmac_f32_e32 v185, v171, v22
	v_fma_f32 v4, v170, v22, -v4
	s_delay_alu instid0(VALU_DEP_3) | instskip(NEXT) | instid1(VALU_DEP_1)
	v_dual_add_f32 v2, v2, v5 :: v_dual_add_f32 v3, v3, v184
	v_dual_add_f32 v2, v2, v4 :: v_dual_add_f32 v3, v3, v185
	s_wait_loadcnt 0x0
	s_delay_alu instid0(VALU_DEP_1)
	v_dual_sub_f32 v2, v131, v2 :: v_dual_sub_f32 v3, v132, v3
	scratch_store_b64 off, v[2:3], off offset:296
	v_cmpx_lt_u32_e32 36, v0
	s_cbranch_execz .LBB52_259
; %bb.258:
	scratch_load_b64 v[3:4], off, off offset:288
	v_mov_b32_e32 v2, v1
	scratch_store_b64 off, v[1:2], off offset:288
	s_wait_loadcnt 0x0
	ds_store_b64 v133, v[3:4]
.LBB52_259:
	s_wait_alu 0xfffe
	s_or_b32 exec_lo, exec_lo, s0
	s_wait_storecnt_dscnt 0x0
	s_barrier_signal -1
	s_barrier_wait -1
	global_inv scope:SCOPE_SE
	s_clause 0x8
	scratch_load_b128 v[2:5], off, off offset:296
	scratch_load_b128 v[6:9], off, off offset:312
	;; [unrolled: 1-line block ×8, first 2 shown]
	scratch_load_b64 v[22:23], off, off offset:288
	ds_load_2addr_b64 v[146:149], v1 offset0:91 offset1:92
	ds_load_2addr_b64 v[150:153], v1 offset0:93 offset1:94
	;; [unrolled: 1-line block ×8, first 2 shown]
	s_mov_b32 s0, exec_lo
	s_wait_loadcnt_dscnt 0x807
	v_dual_mul_f32 v1, v146, v3 :: v_dual_mul_f32 v24, v148, v5
	v_mul_f32_e32 v3, v147, v3
	v_mul_f32_e32 v5, v149, v5
	s_wait_loadcnt_dscnt 0x706
	v_dual_mul_f32 v131, v150, v7 :: v_dual_mul_f32 v132, v152, v9
	v_fmac_f32_e32 v24, v149, v4
	v_fma_f32 v3, v146, v2, -v3
	s_wait_loadcnt_dscnt 0x605
	v_dual_mul_f32 v178, v154, v11 :: v_dual_mul_f32 v179, v156, v13
	v_dual_fmac_f32 v1, v147, v2 :: v_dual_fmac_f32 v132, v153, v8
	v_mul_f32_e32 v2, v151, v7
	v_fma_f32 v4, v148, v4, -v5
	s_delay_alu instid0(VALU_DEP_4) | instskip(NEXT) | instid1(VALU_DEP_4)
	v_dual_add_f32 v3, 0, v3 :: v_dual_fmac_f32 v178, v155, v10
	v_add_f32_e32 v1, 0, v1
	s_delay_alu instid0(VALU_DEP_4) | instskip(SKIP_4) | instid1(VALU_DEP_3)
	v_fma_f32 v2, v150, v6, -v2
	s_wait_loadcnt_dscnt 0x504
	v_dual_mul_f32 v180, v158, v15 :: v_dual_mul_f32 v181, v160, v17
	v_add_f32_e32 v3, v3, v4
	v_dual_mul_f32 v5, v153, v9 :: v_dual_mul_f32 v4, v155, v11
	v_dual_add_f32 v1, v1, v24 :: v_dual_fmac_f32 v180, v159, v14
	s_delay_alu instid0(VALU_DEP_3) | instskip(NEXT) | instid1(VALU_DEP_3)
	v_add_f32_e32 v2, v3, v2
	v_fma_f32 v5, v152, v8, -v5
	v_fmac_f32_e32 v131, v151, v6
	v_fma_f32 v4, v154, v10, -v4
	s_wait_loadcnt_dscnt 0x403
	v_dual_mul_f32 v182, v162, v19 :: v_dual_mul_f32 v183, v164, v21
	s_delay_alu instid0(VALU_DEP_3) | instskip(NEXT) | instid1(VALU_DEP_2)
	v_dual_add_f32 v2, v2, v5 :: v_dual_add_f32 v1, v1, v131
	v_dual_mul_f32 v3, v157, v13 :: v_dual_fmac_f32 v182, v163, v18
	s_wait_loadcnt_dscnt 0x302
	v_dual_mul_f32 v184, v166, v135 :: v_dual_mul_f32 v185, v168, v137
	s_delay_alu instid0(VALU_DEP_3)
	v_add_f32_e32 v2, v2, v4
	v_mul_f32_e32 v4, v161, v17
	v_fma_f32 v3, v156, v12, -v3
	s_wait_loadcnt_dscnt 0x100
	v_dual_add_f32 v1, v1, v132 :: v_dual_mul_f32 v188, v174, v143
	v_mul_f32_e32 v189, v176, v145
	v_fma_f32 v4, v160, v16, -v4
	v_mul_f32_e32 v5, v159, v15
	s_delay_alu instid0(VALU_DEP_4) | instskip(SKIP_1) | instid1(VALU_DEP_3)
	v_dual_add_f32 v2, v2, v3 :: v_dual_add_f32 v1, v1, v178
	v_dual_mul_f32 v186, v170, v139 :: v_dual_mul_f32 v187, v172, v141
	v_fma_f32 v5, v158, v14, -v5
	v_dual_fmac_f32 v179, v157, v12 :: v_dual_fmac_f32 v184, v167, v134
	s_delay_alu instid0(VALU_DEP_3) | instskip(NEXT) | instid1(VALU_DEP_3)
	v_dual_fmac_f32 v186, v171, v138 :: v_dual_fmac_f32 v187, v173, v140
	v_dual_add_f32 v2, v2, v5 :: v_dual_fmac_f32 v189, v177, v144
	v_fmac_f32_e32 v188, v175, v142
	s_delay_alu instid0(VALU_DEP_2) | instskip(SKIP_2) | instid1(VALU_DEP_2)
	v_add_f32_e32 v2, v2, v4
	v_mul_f32_e32 v4, v167, v135
	v_add_f32_e32 v1, v1, v179
	v_fma_f32 v4, v166, v134, -v4
	v_mul_f32_e32 v5, v165, v21
	s_delay_alu instid0(VALU_DEP_3) | instskip(NEXT) | instid1(VALU_DEP_2)
	v_add_f32_e32 v1, v1, v180
	v_fma_f32 v5, v164, v20, -v5
	v_mul_f32_e32 v3, v163, v19
	s_delay_alu instid0(VALU_DEP_1) | instskip(NEXT) | instid1(VALU_DEP_1)
	v_fma_f32 v3, v162, v18, -v3
	v_dual_fmac_f32 v181, v161, v16 :: v_dual_add_f32 v2, v2, v3
	v_mul_f32_e32 v3, v169, v137
	s_delay_alu instid0(VALU_DEP_2) | instskip(NEXT) | instid1(VALU_DEP_2)
	v_dual_add_f32 v2, v2, v5 :: v_dual_mul_f32 v5, v171, v139
	v_fma_f32 v3, v168, v136, -v3
	s_delay_alu instid0(VALU_DEP_2) | instskip(SKIP_1) | instid1(VALU_DEP_4)
	v_dual_add_f32 v2, v2, v4 :: v_dual_add_f32 v1, v1, v181
	v_mul_f32_e32 v4, v173, v141
	v_fma_f32 v5, v170, v138, -v5
	s_delay_alu instid0(VALU_DEP_3) | instskip(SKIP_1) | instid1(VALU_DEP_4)
	v_dual_add_f32 v2, v2, v3 :: v_dual_fmac_f32 v183, v165, v20
	v_mul_f32_e32 v3, v175, v143
	v_fma_f32 v4, v172, v140, -v4
	s_delay_alu instid0(VALU_DEP_3) | instskip(SKIP_1) | instid1(VALU_DEP_4)
	v_dual_add_f32 v2, v2, v5 :: v_dual_add_f32 v1, v1, v182
	v_mul_f32_e32 v5, v177, v145
	v_fma_f32 v3, v174, v142, -v3
	s_delay_alu instid0(VALU_DEP_3) | instskip(SKIP_1) | instid1(VALU_DEP_4)
	v_add_f32_e32 v2, v2, v4
	v_fmac_f32_e32 v185, v169, v136
	v_fma_f32 v4, v176, v144, -v5
	s_delay_alu instid0(VALU_DEP_3) | instskip(NEXT) | instid1(VALU_DEP_1)
	v_add_f32_e32 v2, v2, v3
	v_dual_add_f32 v1, v1, v183 :: v_dual_add_f32 v2, v2, v4
	s_delay_alu instid0(VALU_DEP_1) | instskip(NEXT) | instid1(VALU_DEP_1)
	v_add_f32_e32 v1, v1, v184
	v_add_f32_e32 v1, v1, v185
	s_delay_alu instid0(VALU_DEP_1) | instskip(NEXT) | instid1(VALU_DEP_1)
	v_add_f32_e32 v1, v1, v186
	v_add_f32_e32 v1, v1, v187
	;; [unrolled: 3-line block ×3, first 2 shown]
	s_wait_loadcnt 0x0
	s_delay_alu instid0(VALU_DEP_1)
	v_dual_sub_f32 v1, v22, v2 :: v_dual_sub_f32 v2, v23, v3
	scratch_store_b64 off, v[1:2], off offset:288
	v_cmpx_lt_u32_e32 35, v0
	s_cbranch_execz .LBB52_261
; %bb.260:
	scratch_load_b64 v[1:2], off, off offset:280
	v_mov_b32_e32 v3, 0
	s_delay_alu instid0(VALU_DEP_1)
	v_mov_b32_e32 v4, v3
	scratch_store_b64 off, v[3:4], off offset:280
	s_wait_loadcnt 0x0
	ds_store_b64 v133, v[1:2]
.LBB52_261:
	s_wait_alu 0xfffe
	s_or_b32 exec_lo, exec_lo, s0
	s_wait_storecnt_dscnt 0x0
	s_barrier_signal -1
	s_barrier_wait -1
	global_inv scope:SCOPE_SE
	s_clause 0x9
	scratch_load_b128 v[2:5], off, off offset:288
	scratch_load_b128 v[6:9], off, off offset:304
	;; [unrolled: 1-line block ×8, first 2 shown]
	scratch_load_b64 v[22:23], off, off offset:416
	scratch_load_b64 v[131:132], off, off offset:280
	v_mov_b32_e32 v1, 0
	ds_load_b128 v[146:149], v1 offset:720
	ds_load_b128 v[150:153], v1 offset:736
	;; [unrolled: 1-line block ×8, first 2 shown]
	ds_load_b64 v[178:179], v1 offset:848
	s_mov_b32 s0, exec_lo
	s_wait_loadcnt_dscnt 0x908
	v_mul_f32_e32 v24, v146, v3
	s_wait_loadcnt_dscnt 0x807
	v_dual_mul_f32 v180, v148, v5 :: v_dual_mul_f32 v181, v150, v7
	v_mul_f32_e32 v3, v147, v3
	s_delay_alu instid0(VALU_DEP_3)
	v_dual_mul_f32 v5, v149, v5 :: v_dual_fmac_f32 v24, v147, v2
	s_wait_loadcnt_dscnt 0x302
	v_mul_f32_e32 v192, v172, v141
	v_dual_mul_f32 v182, v152, v9 :: v_dual_mul_f32 v183, v154, v11
	v_fma_f32 v3, v146, v2, -v3
	s_wait_loadcnt_dscnt 0x100
	v_mul_f32_e32 v195, v178, v23
	v_mul_f32_e32 v2, v151, v7
	v_fmac_f32_e32 v180, v149, v4
	v_fma_f32 v4, v148, v4, -v5
	v_dual_add_f32 v3, 0, v3 :: v_dual_mul_f32 v184, v156, v13
	v_mul_f32_e32 v185, v158, v15
	v_fma_f32 v2, v150, v6, -v2
	v_fmac_f32_e32 v183, v155, v10
	s_delay_alu instid0(VALU_DEP_4)
	v_add_f32_e32 v3, v3, v4
	v_add_f32_e32 v5, 0, v24
	v_fmac_f32_e32 v184, v157, v12
	v_fmac_f32_e32 v182, v153, v8
	v_dual_mul_f32 v186, v160, v17 :: v_dual_mul_f32 v187, v162, v19
	v_dual_add_f32 v2, v3, v2 :: v_dual_mul_f32 v7, v153, v9
	v_dual_fmac_f32 v181, v151, v6 :: v_dual_add_f32 v4, v5, v180
	v_mul_f32_e32 v5, v155, v11
	s_delay_alu instid0(VALU_DEP_4) | instskip(NEXT) | instid1(VALU_DEP_4)
	v_dual_fmac_f32 v185, v159, v14 :: v_dual_fmac_f32 v186, v161, v16
	v_fma_f32 v6, v152, v8, -v7
	s_delay_alu instid0(VALU_DEP_4)
	v_add_f32_e32 v3, v4, v181
	v_mul_f32_e32 v4, v157, v13
	v_fma_f32 v5, v154, v10, -v5
	v_dual_mul_f32 v188, v164, v21 :: v_dual_mul_f32 v189, v166, v135
	v_add_f32_e32 v2, v2, v6
	v_mul_f32_e32 v6, v159, v15
	v_add_f32_e32 v3, v3, v182
	v_fma_f32 v4, v156, v12, -v4
	v_dual_mul_f32 v190, v168, v137 :: v_dual_mul_f32 v191, v170, v139
	s_delay_alu instid0(VALU_DEP_3) | instskip(SKIP_2) | instid1(VALU_DEP_3)
	v_dual_add_f32 v2, v2, v5 :: v_dual_add_f32 v3, v3, v183
	v_mul_f32_e32 v5, v161, v17
	v_fma_f32 v6, v158, v14, -v6
	v_dual_fmac_f32 v187, v163, v18 :: v_dual_add_f32 v2, v2, v4
	s_delay_alu instid0(VALU_DEP_4) | instskip(SKIP_3) | instid1(VALU_DEP_4)
	v_add_f32_e32 v3, v3, v184
	v_mul_f32_e32 v4, v163, v19
	v_fma_f32 v5, v160, v16, -v5
	v_fmac_f32_e32 v188, v165, v20
	v_dual_add_f32 v2, v2, v6 :: v_dual_add_f32 v3, v3, v185
	v_mul_f32_e32 v6, v165, v21
	v_fma_f32 v4, v162, v18, -v4
	v_dual_fmac_f32 v189, v167, v134 :: v_dual_fmac_f32 v190, v169, v136
	s_delay_alu instid0(VALU_DEP_4) | instskip(SKIP_3) | instid1(VALU_DEP_4)
	v_dual_add_f32 v2, v2, v5 :: v_dual_add_f32 v3, v3, v186
	v_mul_f32_e32 v5, v167, v135
	v_fma_f32 v6, v164, v20, -v6
	v_dual_mul_f32 v193, v174, v143 :: v_dual_mul_f32 v194, v176, v145
	v_dual_add_f32 v2, v2, v4 :: v_dual_add_f32 v3, v3, v187
	v_mul_f32_e32 v4, v169, v137
	v_fma_f32 v5, v166, v134, -v5
	v_fmac_f32_e32 v191, v171, v138
	s_delay_alu instid0(VALU_DEP_4) | instskip(SKIP_3) | instid1(VALU_DEP_4)
	v_dual_add_f32 v2, v2, v6 :: v_dual_add_f32 v3, v3, v188
	v_mul_f32_e32 v6, v171, v139
	v_fma_f32 v4, v168, v136, -v4
	v_fmac_f32_e32 v192, v173, v140
	v_add_f32_e32 v2, v2, v5
	v_add_f32_e32 v3, v3, v189
	v_mul_f32_e32 v5, v173, v141
	v_fma_f32 v6, v170, v138, -v6
	s_delay_alu instid0(VALU_DEP_4) | instskip(NEXT) | instid1(VALU_DEP_4)
	v_dual_fmac_f32 v193, v175, v142 :: v_dual_add_f32 v2, v2, v4
	v_add_f32_e32 v3, v3, v190
	v_mul_f32_e32 v4, v175, v143
	v_fma_f32 v5, v172, v140, -v5
	v_fmac_f32_e32 v194, v177, v144
	s_delay_alu instid0(VALU_DEP_4) | instskip(SKIP_2) | instid1(VALU_DEP_3)
	v_dual_add_f32 v2, v2, v6 :: v_dual_add_f32 v3, v3, v191
	v_mul_f32_e32 v6, v177, v145
	v_fma_f32 v4, v174, v142, -v4
	v_dual_add_f32 v2, v2, v5 :: v_dual_add_f32 v3, v3, v192
	v_mul_f32_e32 v5, v179, v23
	s_delay_alu instid0(VALU_DEP_4) | instskip(NEXT) | instid1(VALU_DEP_3)
	v_fma_f32 v6, v176, v144, -v6
	v_dual_add_f32 v2, v2, v4 :: v_dual_add_f32 v3, v3, v193
	s_delay_alu instid0(VALU_DEP_3) | instskip(NEXT) | instid1(VALU_DEP_2)
	v_fma_f32 v4, v178, v22, -v5
	v_add_f32_e32 v3, v3, v194
	s_delay_alu instid0(VALU_DEP_3) | instskip(NEXT) | instid1(VALU_DEP_1)
	v_add_f32_e32 v2, v2, v6
	v_dual_fmac_f32 v195, v179, v22 :: v_dual_add_f32 v2, v2, v4
	s_delay_alu instid0(VALU_DEP_1) | instskip(SKIP_1) | instid1(VALU_DEP_1)
	v_add_f32_e32 v3, v3, v195
	s_wait_loadcnt 0x0
	v_dual_sub_f32 v2, v131, v2 :: v_dual_sub_f32 v3, v132, v3
	scratch_store_b64 off, v[2:3], off offset:280
	v_cmpx_lt_u32_e32 34, v0
	s_cbranch_execz .LBB52_263
; %bb.262:
	scratch_load_b64 v[3:4], off, off offset:272
	v_mov_b32_e32 v2, v1
	scratch_store_b64 off, v[1:2], off offset:272
	s_wait_loadcnt 0x0
	ds_store_b64 v133, v[3:4]
.LBB52_263:
	s_wait_alu 0xfffe
	s_or_b32 exec_lo, exec_lo, s0
	s_wait_storecnt_dscnt 0x0
	s_barrier_signal -1
	s_barrier_wait -1
	global_inv scope:SCOPE_SE
	s_clause 0x9
	scratch_load_b128 v[2:5], off, off offset:280
	scratch_load_b128 v[6:9], off, off offset:296
	;; [unrolled: 1-line block ×9, first 2 shown]
	scratch_load_b64 v[22:23], off, off offset:272
	ds_load_2addr_b64 v[150:153], v1 offset0:89 offset1:90
	ds_load_2addr_b64 v[154:157], v1 offset0:91 offset1:92
	;; [unrolled: 1-line block ×9, first 2 shown]
	s_mov_b32 s0, exec_lo
	s_wait_loadcnt_dscnt 0x908
	v_dual_mul_f32 v1, v150, v3 :: v_dual_mul_f32 v24, v152, v5
	v_mul_f32_e32 v3, v151, v3
	v_mul_f32_e32 v5, v153, v5
	s_wait_loadcnt_dscnt 0x807
	v_dual_mul_f32 v131, v154, v7 :: v_dual_mul_f32 v132, v156, v9
	v_fmac_f32_e32 v24, v153, v4
	v_fma_f32 v3, v150, v2, -v3
	s_wait_loadcnt_dscnt 0x706
	v_dual_mul_f32 v186, v158, v11 :: v_dual_mul_f32 v187, v160, v13
	v_dual_fmac_f32 v1, v151, v2 :: v_dual_fmac_f32 v132, v157, v8
	v_mul_f32_e32 v2, v155, v7
	v_fma_f32 v4, v152, v4, -v5
	s_delay_alu instid0(VALU_DEP_4) | instskip(NEXT) | instid1(VALU_DEP_4)
	v_dual_add_f32 v3, 0, v3 :: v_dual_fmac_f32 v186, v159, v10
	v_add_f32_e32 v1, 0, v1
	s_delay_alu instid0(VALU_DEP_4) | instskip(SKIP_4) | instid1(VALU_DEP_3)
	v_fma_f32 v2, v154, v6, -v2
	s_wait_loadcnt_dscnt 0x605
	v_dual_mul_f32 v188, v162, v15 :: v_dual_mul_f32 v189, v164, v17
	v_add_f32_e32 v3, v3, v4
	v_dual_mul_f32 v5, v157, v9 :: v_dual_mul_f32 v4, v159, v11
	v_dual_add_f32 v1, v1, v24 :: v_dual_fmac_f32 v188, v163, v14
	s_delay_alu instid0(VALU_DEP_3) | instskip(NEXT) | instid1(VALU_DEP_3)
	v_add_f32_e32 v2, v3, v2
	v_fma_f32 v5, v156, v8, -v5
	v_fmac_f32_e32 v131, v155, v6
	v_fma_f32 v4, v158, v10, -v4
	s_wait_loadcnt_dscnt 0x504
	v_dual_mul_f32 v190, v166, v19 :: v_dual_mul_f32 v191, v168, v21
	s_delay_alu instid0(VALU_DEP_3) | instskip(NEXT) | instid1(VALU_DEP_2)
	v_dual_add_f32 v2, v2, v5 :: v_dual_add_f32 v1, v1, v131
	v_dual_mul_f32 v3, v161, v13 :: v_dual_fmac_f32 v190, v167, v18
	s_wait_loadcnt_dscnt 0x403
	v_dual_mul_f32 v192, v170, v135 :: v_dual_mul_f32 v193, v172, v137
	s_delay_alu instid0(VALU_DEP_3)
	v_add_f32_e32 v2, v2, v4
	v_mul_f32_e32 v4, v165, v17
	v_fma_f32 v3, v160, v12, -v3
	s_wait_loadcnt_dscnt 0x201
	v_dual_add_f32 v1, v1, v132 :: v_dual_mul_f32 v196, v178, v143
	v_mul_f32_e32 v197, v180, v145
	v_fma_f32 v4, v164, v16, -v4
	v_mul_f32_e32 v5, v163, v15
	s_delay_alu instid0(VALU_DEP_4) | instskip(SKIP_1) | instid1(VALU_DEP_3)
	v_dual_add_f32 v2, v2, v3 :: v_dual_add_f32 v1, v1, v186
	v_dual_mul_f32 v194, v174, v139 :: v_dual_mul_f32 v195, v176, v141
	v_fma_f32 v5, v162, v14, -v5
	v_dual_fmac_f32 v187, v161, v12 :: v_dual_fmac_f32 v192, v171, v134
	s_delay_alu instid0(VALU_DEP_3) | instskip(SKIP_4) | instid1(VALU_DEP_3)
	v_fmac_f32_e32 v194, v175, v138
	s_wait_loadcnt_dscnt 0x100
	v_dual_mul_f32 v198, v182, v147 :: v_dual_mul_f32 v199, v184, v149
	v_dual_add_f32 v2, v2, v5 :: v_dual_fmac_f32 v193, v173, v136
	v_dual_fmac_f32 v197, v181, v144 :: v_dual_fmac_f32 v196, v179, v142
	v_fmac_f32_e32 v199, v185, v148
	s_delay_alu instid0(VALU_DEP_3) | instskip(SKIP_2) | instid1(VALU_DEP_2)
	v_add_f32_e32 v2, v2, v4
	v_mul_f32_e32 v4, v171, v135
	v_dual_add_f32 v1, v1, v187 :: v_dual_fmac_f32 v198, v183, v146
	v_fma_f32 v4, v170, v134, -v4
	v_mul_f32_e32 v5, v169, v21
	s_delay_alu instid0(VALU_DEP_3) | instskip(NEXT) | instid1(VALU_DEP_2)
	v_add_f32_e32 v1, v1, v188
	v_fma_f32 v5, v168, v20, -v5
	v_mul_f32_e32 v3, v167, v19
	s_delay_alu instid0(VALU_DEP_1) | instskip(NEXT) | instid1(VALU_DEP_1)
	v_fma_f32 v3, v166, v18, -v3
	v_dual_fmac_f32 v189, v165, v16 :: v_dual_add_f32 v2, v2, v3
	v_mul_f32_e32 v3, v173, v137
	s_delay_alu instid0(VALU_DEP_2) | instskip(NEXT) | instid1(VALU_DEP_2)
	v_dual_add_f32 v2, v2, v5 :: v_dual_mul_f32 v5, v175, v139
	v_fma_f32 v3, v172, v136, -v3
	s_delay_alu instid0(VALU_DEP_2) | instskip(SKIP_1) | instid1(VALU_DEP_4)
	v_dual_add_f32 v2, v2, v4 :: v_dual_add_f32 v1, v1, v189
	v_mul_f32_e32 v4, v177, v141
	v_fma_f32 v5, v174, v138, -v5
	s_delay_alu instid0(VALU_DEP_3) | instskip(NEXT) | instid1(VALU_DEP_3)
	v_dual_add_f32 v2, v2, v3 :: v_dual_fmac_f32 v191, v169, v20
	v_fma_f32 v4, v176, v140, -v4
	s_delay_alu instid0(VALU_DEP_2) | instskip(SKIP_1) | instid1(VALU_DEP_2)
	v_add_f32_e32 v2, v2, v5
	v_mul_f32_e32 v5, v181, v145
	v_dual_add_f32 v1, v1, v190 :: v_dual_add_f32 v2, v2, v4
	s_delay_alu instid0(VALU_DEP_2) | instskip(SKIP_1) | instid1(VALU_DEP_3)
	v_fma_f32 v5, v180, v144, -v5
	v_mul_f32_e32 v3, v179, v143
	v_add_f32_e32 v1, v1, v191
	v_mul_f32_e32 v4, v183, v147
	s_delay_alu instid0(VALU_DEP_3) | instskip(NEXT) | instid1(VALU_DEP_3)
	v_fma_f32 v3, v178, v142, -v3
	v_add_f32_e32 v1, v1, v192
	s_delay_alu instid0(VALU_DEP_3) | instskip(NEXT) | instid1(VALU_DEP_3)
	v_fma_f32 v4, v182, v146, -v4
	v_dual_add_f32 v2, v2, v3 :: v_dual_mul_f32 v3, v185, v149
	s_delay_alu instid0(VALU_DEP_1) | instskip(NEXT) | instid1(VALU_DEP_4)
	v_add_f32_e32 v2, v2, v5
	v_add_f32_e32 v1, v1, v193
	s_delay_alu instid0(VALU_DEP_3) | instskip(NEXT) | instid1(VALU_DEP_3)
	v_fma_f32 v3, v184, v148, -v3
	v_add_f32_e32 v2, v2, v4
	v_fmac_f32_e32 v195, v177, v140
	s_delay_alu instid0(VALU_DEP_2) | instskip(NEXT) | instid1(VALU_DEP_1)
	v_dual_add_f32 v1, v1, v194 :: v_dual_add_f32 v2, v2, v3
	v_add_f32_e32 v1, v1, v195
	s_delay_alu instid0(VALU_DEP_1) | instskip(NEXT) | instid1(VALU_DEP_1)
	v_add_f32_e32 v1, v1, v196
	v_add_f32_e32 v1, v1, v197
	s_delay_alu instid0(VALU_DEP_1) | instskip(NEXT) | instid1(VALU_DEP_1)
	v_add_f32_e32 v1, v1, v198
	v_add_f32_e32 v3, v1, v199
	s_wait_loadcnt 0x0
	s_delay_alu instid0(VALU_DEP_1)
	v_dual_sub_f32 v1, v22, v2 :: v_dual_sub_f32 v2, v23, v3
	scratch_store_b64 off, v[1:2], off offset:272
	v_cmpx_lt_u32_e32 33, v0
	s_cbranch_execz .LBB52_265
; %bb.264:
	scratch_load_b64 v[1:2], off, off offset:264
	v_mov_b32_e32 v3, 0
	s_delay_alu instid0(VALU_DEP_1)
	v_mov_b32_e32 v4, v3
	scratch_store_b64 off, v[3:4], off offset:264
	s_wait_loadcnt 0x0
	ds_store_b64 v133, v[1:2]
.LBB52_265:
	s_wait_alu 0xfffe
	s_or_b32 exec_lo, exec_lo, s0
	s_wait_storecnt_dscnt 0x0
	s_barrier_signal -1
	s_barrier_wait -1
	global_inv scope:SCOPE_SE
	s_clause 0xa
	scratch_load_b128 v[2:5], off, off offset:272
	scratch_load_b128 v[6:9], off, off offset:288
	;; [unrolled: 1-line block ×9, first 2 shown]
	scratch_load_b64 v[22:23], off, off offset:416
	scratch_load_b64 v[131:132], off, off offset:264
	v_mov_b32_e32 v1, 0
	ds_load_b128 v[150:153], v1 offset:704
	ds_load_b128 v[154:157], v1 offset:720
	;; [unrolled: 1-line block ×9, first 2 shown]
	ds_load_b64 v[186:187], v1 offset:848
	s_mov_b32 s0, exec_lo
	s_wait_loadcnt_dscnt 0xa09
	v_mul_f32_e32 v24, v150, v3
	s_wait_loadcnt_dscnt 0x908
	v_dual_mul_f32 v188, v152, v5 :: v_dual_mul_f32 v189, v154, v7
	v_mul_f32_e32 v3, v151, v3
	s_delay_alu instid0(VALU_DEP_3)
	v_dual_mul_f32 v5, v153, v5 :: v_dual_fmac_f32 v24, v151, v2
	s_wait_loadcnt_dscnt 0x807
	v_dual_mul_f32 v190, v156, v9 :: v_dual_mul_f32 v191, v158, v11
	s_wait_loadcnt_dscnt 0x302
	v_mul_f32_e32 v202, v180, v145
	v_fma_f32 v3, v150, v2, -v3
	s_wait_loadcnt_dscnt 0x100
	v_mul_f32_e32 v205, v186, v23
	v_mul_f32_e32 v2, v155, v7
	v_fmac_f32_e32 v188, v153, v4
	v_fma_f32 v4, v152, v4, -v5
	v_dual_add_f32 v3, 0, v3 :: v_dual_mul_f32 v192, v160, v13
	v_mul_f32_e32 v193, v162, v15
	v_fma_f32 v2, v154, v6, -v2
	v_fmac_f32_e32 v191, v159, v10
	s_delay_alu instid0(VALU_DEP_4) | instskip(SKIP_3) | instid1(VALU_DEP_4)
	v_add_f32_e32 v3, v3, v4
	v_add_f32_e32 v5, 0, v24
	v_fmac_f32_e32 v192, v161, v12
	v_dual_mul_f32 v194, v164, v17 :: v_dual_mul_f32 v195, v166, v19
	v_dual_add_f32 v2, v3, v2 :: v_dual_mul_f32 v7, v157, v9
	s_delay_alu instid0(VALU_DEP_4) | instskip(SKIP_1) | instid1(VALU_DEP_3)
	v_dual_fmac_f32 v189, v155, v6 :: v_dual_add_f32 v4, v5, v188
	v_dual_mul_f32 v5, v159, v11 :: v_dual_fmac_f32 v190, v157, v8
	v_fma_f32 v6, v156, v8, -v7
	v_dual_fmac_f32 v193, v163, v14 :: v_dual_fmac_f32 v194, v165, v16
	s_delay_alu instid0(VALU_DEP_4)
	v_add_f32_e32 v3, v4, v189
	v_mul_f32_e32 v4, v161, v13
	v_fma_f32 v5, v158, v10, -v5
	v_add_f32_e32 v2, v2, v6
	v_mul_f32_e32 v6, v163, v15
	v_add_f32_e32 v3, v3, v190
	v_fma_f32 v4, v160, v12, -v4
	v_dual_mul_f32 v196, v168, v21 :: v_dual_mul_f32 v197, v170, v135
	s_delay_alu instid0(VALU_DEP_3) | instskip(SKIP_3) | instid1(VALU_DEP_4)
	v_dual_add_f32 v2, v2, v5 :: v_dual_add_f32 v3, v3, v191
	v_mul_f32_e32 v5, v165, v17
	v_fma_f32 v6, v162, v14, -v6
	v_dual_mul_f32 v198, v172, v137 :: v_dual_mul_f32 v199, v174, v139
	v_add_f32_e32 v2, v2, v4
	v_add_f32_e32 v3, v3, v192
	v_mul_f32_e32 v4, v167, v19
	v_fma_f32 v5, v164, v16, -v5
	v_fmac_f32_e32 v195, v167, v18
	s_delay_alu instid0(VALU_DEP_4) | instskip(SKIP_3) | instid1(VALU_DEP_4)
	v_dual_add_f32 v2, v2, v6 :: v_dual_add_f32 v3, v3, v193
	v_fmac_f32_e32 v196, v169, v20
	v_mul_f32_e32 v6, v169, v21
	v_fma_f32 v4, v166, v18, -v4
	v_dual_add_f32 v2, v2, v5 :: v_dual_add_f32 v3, v3, v194
	v_mul_f32_e32 v5, v171, v135
	s_delay_alu instid0(VALU_DEP_4) | instskip(SKIP_1) | instid1(VALU_DEP_4)
	v_fma_f32 v6, v168, v20, -v6
	v_dual_fmac_f32 v197, v171, v134 :: v_dual_fmac_f32 v198, v173, v136
	v_dual_add_f32 v2, v2, v4 :: v_dual_add_f32 v3, v3, v195
	v_mul_f32_e32 v4, v173, v137
	v_fma_f32 v5, v170, v134, -v5
	v_fmac_f32_e32 v199, v175, v138
	s_delay_alu instid0(VALU_DEP_4) | instskip(SKIP_3) | instid1(VALU_DEP_4)
	v_dual_add_f32 v2, v2, v6 :: v_dual_add_f32 v3, v3, v196
	v_mul_f32_e32 v6, v175, v139
	v_fma_f32 v4, v172, v136, -v4
	v_dual_mul_f32 v200, v176, v141 :: v_dual_mul_f32 v201, v178, v143
	v_add_f32_e32 v2, v2, v5
	v_add_f32_e32 v3, v3, v197
	v_mul_f32_e32 v5, v177, v141
	v_fma_f32 v6, v174, v138, -v6
	v_fmac_f32_e32 v200, v177, v140
	s_delay_alu instid0(VALU_DEP_4) | instskip(SKIP_3) | instid1(VALU_DEP_4)
	v_dual_add_f32 v2, v2, v4 :: v_dual_add_f32 v3, v3, v198
	v_mul_f32_e32 v4, v179, v143
	v_fma_f32 v5, v176, v140, -v5
	v_fmac_f32_e32 v201, v179, v142
	v_dual_add_f32 v2, v2, v6 :: v_dual_add_f32 v3, v3, v199
	v_mul_f32_e32 v6, v181, v145
	v_fma_f32 v4, v178, v142, -v4
	v_dual_mul_f32 v203, v182, v147 :: v_dual_mul_f32 v204, v184, v149
	s_delay_alu instid0(VALU_DEP_4) | instskip(SKIP_2) | instid1(VALU_DEP_3)
	v_dual_add_f32 v2, v2, v5 :: v_dual_add_f32 v3, v3, v200
	v_dual_mul_f32 v5, v183, v147 :: v_dual_fmac_f32 v202, v181, v144
	v_fma_f32 v6, v180, v144, -v6
	v_dual_add_f32 v2, v2, v4 :: v_dual_add_f32 v3, v3, v201
	v_dual_mul_f32 v4, v185, v149 :: v_dual_fmac_f32 v203, v183, v146
	s_delay_alu instid0(VALU_DEP_4) | instskip(NEXT) | instid1(VALU_DEP_3)
	v_fma_f32 v5, v182, v146, -v5
	v_dual_fmac_f32 v204, v185, v148 :: v_dual_add_f32 v3, v3, v202
	s_delay_alu instid0(VALU_DEP_4) | instskip(SKIP_3) | instid1(VALU_DEP_4)
	v_add_f32_e32 v2, v2, v6
	v_mul_f32_e32 v6, v187, v23
	v_fma_f32 v4, v184, v148, -v4
	v_fmac_f32_e32 v205, v187, v22
	v_dual_add_f32 v3, v3, v203 :: v_dual_add_f32 v2, v2, v5
	s_delay_alu instid0(VALU_DEP_4) | instskip(NEXT) | instid1(VALU_DEP_2)
	v_fma_f32 v5, v186, v22, -v6
	v_add_f32_e32 v3, v3, v204
	s_delay_alu instid0(VALU_DEP_1) | instskip(SKIP_1) | instid1(VALU_DEP_1)
	v_dual_add_f32 v2, v2, v4 :: v_dual_add_f32 v3, v3, v205
	s_wait_loadcnt 0x0
	v_dual_add_f32 v2, v2, v5 :: v_dual_sub_f32 v3, v132, v3
	s_delay_alu instid0(VALU_DEP_1)
	v_sub_f32_e32 v2, v131, v2
	scratch_store_b64 off, v[2:3], off offset:264
	v_cmpx_lt_u32_e32 32, v0
	s_cbranch_execz .LBB52_267
; %bb.266:
	scratch_load_b64 v[3:4], off, off offset:256
	v_mov_b32_e32 v2, v1
	scratch_store_b64 off, v[1:2], off offset:256
	s_wait_loadcnt 0x0
	ds_store_b64 v133, v[3:4]
.LBB52_267:
	s_wait_alu 0xfffe
	s_or_b32 exec_lo, exec_lo, s0
	s_wait_storecnt_dscnt 0x0
	s_barrier_signal -1
	s_barrier_wait -1
	global_inv scope:SCOPE_SE
	s_clause 0xa
	scratch_load_b128 v[2:5], off, off offset:264
	scratch_load_b128 v[6:9], off, off offset:280
	;; [unrolled: 1-line block ×10, first 2 shown]
	scratch_load_b64 v[22:23], off, off offset:256
	ds_load_2addr_b64 v[154:157], v1 offset0:87 offset1:88
	ds_load_2addr_b64 v[158:161], v1 offset0:89 offset1:90
	;; [unrolled: 1-line block ×10, first 2 shown]
	s_mov_b32 s0, exec_lo
	s_wait_loadcnt_dscnt 0xa09
	v_dual_mul_f32 v1, v154, v3 :: v_dual_mul_f32 v24, v156, v5
	v_mul_f32_e32 v3, v155, v3
	v_mul_f32_e32 v5, v157, v5
	s_wait_loadcnt_dscnt 0x908
	v_dual_mul_f32 v131, v158, v7 :: v_dual_mul_f32 v132, v160, v9
	v_fmac_f32_e32 v24, v157, v4
	v_fma_f32 v3, v154, v2, -v3
	s_wait_loadcnt_dscnt 0x807
	v_dual_mul_f32 v194, v162, v11 :: v_dual_mul_f32 v195, v164, v13
	v_dual_fmac_f32 v1, v155, v2 :: v_dual_fmac_f32 v132, v161, v8
	v_mul_f32_e32 v2, v159, v7
	v_fma_f32 v4, v156, v4, -v5
	s_delay_alu instid0(VALU_DEP_4) | instskip(NEXT) | instid1(VALU_DEP_4)
	v_dual_add_f32 v3, 0, v3 :: v_dual_fmac_f32 v194, v163, v10
	v_add_f32_e32 v1, 0, v1
	s_delay_alu instid0(VALU_DEP_4) | instskip(SKIP_4) | instid1(VALU_DEP_3)
	v_fma_f32 v2, v158, v6, -v2
	s_wait_loadcnt_dscnt 0x706
	v_dual_mul_f32 v196, v166, v15 :: v_dual_mul_f32 v197, v168, v17
	v_add_f32_e32 v3, v3, v4
	v_dual_mul_f32 v5, v161, v9 :: v_dual_mul_f32 v4, v163, v11
	v_dual_add_f32 v1, v1, v24 :: v_dual_fmac_f32 v196, v167, v14
	s_delay_alu instid0(VALU_DEP_3) | instskip(NEXT) | instid1(VALU_DEP_3)
	v_add_f32_e32 v2, v3, v2
	v_fma_f32 v5, v160, v8, -v5
	v_fmac_f32_e32 v131, v159, v6
	v_fma_f32 v4, v162, v10, -v4
	s_wait_loadcnt_dscnt 0x605
	v_dual_mul_f32 v198, v170, v19 :: v_dual_mul_f32 v199, v172, v21
	s_delay_alu instid0(VALU_DEP_3) | instskip(NEXT) | instid1(VALU_DEP_2)
	v_dual_add_f32 v2, v2, v5 :: v_dual_add_f32 v1, v1, v131
	v_dual_mul_f32 v3, v165, v13 :: v_dual_fmac_f32 v198, v171, v18
	s_wait_loadcnt_dscnt 0x504
	v_dual_mul_f32 v200, v174, v135 :: v_dual_mul_f32 v201, v176, v137
	s_delay_alu instid0(VALU_DEP_3)
	v_add_f32_e32 v2, v2, v4
	v_mul_f32_e32 v4, v169, v17
	v_fma_f32 v3, v164, v12, -v3
	s_wait_loadcnt_dscnt 0x302
	v_dual_add_f32 v1, v1, v132 :: v_dual_mul_f32 v204, v182, v143
	v_mul_f32_e32 v205, v184, v145
	v_fma_f32 v4, v168, v16, -v4
	v_mul_f32_e32 v5, v167, v15
	s_delay_alu instid0(VALU_DEP_4) | instskip(SKIP_1) | instid1(VALU_DEP_3)
	v_dual_add_f32 v2, v2, v3 :: v_dual_add_f32 v1, v1, v194
	v_dual_mul_f32 v202, v178, v139 :: v_dual_mul_f32 v203, v180, v141
	v_fma_f32 v5, v166, v14, -v5
	v_dual_fmac_f32 v195, v165, v12 :: v_dual_fmac_f32 v200, v175, v134
	s_delay_alu instid0(VALU_DEP_3)
	v_fmac_f32_e32 v202, v179, v138
	s_wait_loadcnt_dscnt 0x201
	v_dual_mul_f32 v206, v186, v147 :: v_dual_mul_f32 v207, v188, v149
	v_dual_add_f32 v2, v2, v5 :: v_dual_fmac_f32 v201, v177, v136
	s_wait_loadcnt_dscnt 0x100
	v_dual_mul_f32 v208, v190, v151 :: v_dual_mul_f32 v209, v192, v153
	v_fmac_f32_e32 v203, v181, v140
	s_delay_alu instid0(VALU_DEP_3) | instskip(SKIP_1) | instid1(VALU_DEP_4)
	v_add_f32_e32 v2, v2, v4
	v_mul_f32_e32 v4, v175, v135
	v_dual_add_f32 v1, v1, v195 :: v_dual_fmac_f32 v208, v191, v150
	v_fmac_f32_e32 v205, v185, v144
	v_fmac_f32_e32 v207, v189, v148
	s_delay_alu instid0(VALU_DEP_4) | instskip(SKIP_3) | instid1(VALU_DEP_3)
	v_fma_f32 v4, v174, v134, -v4
	v_mul_f32_e32 v5, v173, v21
	v_dual_add_f32 v1, v1, v196 :: v_dual_fmac_f32 v204, v183, v142
	v_dual_fmac_f32 v209, v193, v152 :: v_dual_fmac_f32 v206, v187, v146
	v_fma_f32 v5, v172, v20, -v5
	v_mul_f32_e32 v3, v171, v19
	s_delay_alu instid0(VALU_DEP_1) | instskip(NEXT) | instid1(VALU_DEP_1)
	v_fma_f32 v3, v170, v18, -v3
	v_dual_fmac_f32 v197, v169, v16 :: v_dual_add_f32 v2, v2, v3
	v_mul_f32_e32 v3, v177, v137
	s_delay_alu instid0(VALU_DEP_2) | instskip(NEXT) | instid1(VALU_DEP_2)
	v_dual_add_f32 v2, v2, v5 :: v_dual_mul_f32 v5, v179, v139
	v_fma_f32 v3, v176, v136, -v3
	s_delay_alu instid0(VALU_DEP_2) | instskip(SKIP_1) | instid1(VALU_DEP_4)
	v_dual_add_f32 v2, v2, v4 :: v_dual_add_f32 v1, v1, v197
	v_mul_f32_e32 v4, v181, v141
	v_fma_f32 v5, v178, v138, -v5
	s_delay_alu instid0(VALU_DEP_3) | instskip(NEXT) | instid1(VALU_DEP_3)
	v_dual_add_f32 v2, v2, v3 :: v_dual_fmac_f32 v199, v173, v20
	v_fma_f32 v4, v180, v140, -v4
	s_delay_alu instid0(VALU_DEP_2) | instskip(SKIP_1) | instid1(VALU_DEP_2)
	v_add_f32_e32 v2, v2, v5
	v_mul_f32_e32 v5, v185, v145
	v_dual_add_f32 v1, v1, v198 :: v_dual_add_f32 v2, v2, v4
	s_delay_alu instid0(VALU_DEP_2) | instskip(SKIP_1) | instid1(VALU_DEP_3)
	v_fma_f32 v5, v184, v144, -v5
	v_mul_f32_e32 v3, v183, v143
	v_add_f32_e32 v1, v1, v199
	v_mul_f32_e32 v4, v187, v147
	s_delay_alu instid0(VALU_DEP_3) | instskip(NEXT) | instid1(VALU_DEP_3)
	v_fma_f32 v3, v182, v142, -v3
	v_add_f32_e32 v1, v1, v200
	s_delay_alu instid0(VALU_DEP_3) | instskip(NEXT) | instid1(VALU_DEP_3)
	v_fma_f32 v4, v186, v146, -v4
	v_dual_add_f32 v2, v2, v3 :: v_dual_mul_f32 v3, v189, v149
	s_delay_alu instid0(VALU_DEP_1) | instskip(NEXT) | instid1(VALU_DEP_4)
	v_add_f32_e32 v2, v2, v5
	v_add_f32_e32 v1, v1, v201
	v_mul_f32_e32 v5, v191, v151
	s_delay_alu instid0(VALU_DEP_4) | instskip(NEXT) | instid1(VALU_DEP_3)
	v_fma_f32 v3, v188, v148, -v3
	v_dual_add_f32 v2, v2, v4 :: v_dual_add_f32 v1, v1, v202
	v_mul_f32_e32 v4, v193, v153
	s_delay_alu instid0(VALU_DEP_4) | instskip(NEXT) | instid1(VALU_DEP_3)
	v_fma_f32 v5, v190, v150, -v5
	v_add_f32_e32 v2, v2, v3
	s_delay_alu instid0(VALU_DEP_4) | instskip(NEXT) | instid1(VALU_DEP_4)
	v_add_f32_e32 v1, v1, v203
	v_fma_f32 v3, v192, v152, -v4
	s_delay_alu instid0(VALU_DEP_2) | instskip(NEXT) | instid1(VALU_DEP_1)
	v_dual_add_f32 v2, v2, v5 :: v_dual_add_f32 v1, v1, v204
	v_dual_add_f32 v2, v2, v3 :: v_dual_add_f32 v1, v1, v205
	s_delay_alu instid0(VALU_DEP_1) | instskip(NEXT) | instid1(VALU_DEP_1)
	v_add_f32_e32 v1, v1, v206
	v_add_f32_e32 v1, v1, v207
	s_delay_alu instid0(VALU_DEP_1) | instskip(NEXT) | instid1(VALU_DEP_1)
	v_add_f32_e32 v1, v1, v208
	v_add_f32_e32 v3, v1, v209
	s_wait_loadcnt 0x0
	s_delay_alu instid0(VALU_DEP_1)
	v_dual_sub_f32 v1, v22, v2 :: v_dual_sub_f32 v2, v23, v3
	scratch_store_b64 off, v[1:2], off offset:256
	v_cmpx_lt_u32_e32 31, v0
	s_cbranch_execz .LBB52_269
; %bb.268:
	scratch_load_b64 v[1:2], off, off offset:248
	v_mov_b32_e32 v3, 0
	s_delay_alu instid0(VALU_DEP_1)
	v_mov_b32_e32 v4, v3
	scratch_store_b64 off, v[3:4], off offset:248
	s_wait_loadcnt 0x0
	ds_store_b64 v133, v[1:2]
.LBB52_269:
	s_wait_alu 0xfffe
	s_or_b32 exec_lo, exec_lo, s0
	s_wait_storecnt_dscnt 0x0
	s_barrier_signal -1
	s_barrier_wait -1
	global_inv scope:SCOPE_SE
	s_clause 0xb
	scratch_load_b128 v[2:5], off, off offset:256
	scratch_load_b128 v[6:9], off, off offset:272
	;; [unrolled: 1-line block ×10, first 2 shown]
	scratch_load_b64 v[22:23], off, off offset:416
	scratch_load_b64 v[131:132], off, off offset:248
	v_mov_b32_e32 v1, 0
	ds_load_b128 v[154:157], v1 offset:688
	ds_load_b128 v[158:161], v1 offset:704
	;; [unrolled: 1-line block ×10, first 2 shown]
	ds_load_b64 v[194:195], v1 offset:848
	s_mov_b32 s0, exec_lo
	s_wait_loadcnt_dscnt 0xb0a
	v_mul_f32_e32 v24, v154, v3
	s_wait_loadcnt_dscnt 0xa09
	v_dual_mul_f32 v196, v156, v5 :: v_dual_mul_f32 v197, v158, v7
	v_mul_f32_e32 v5, v157, v5
	v_dual_mul_f32 v3, v155, v3 :: v_dual_mul_f32 v198, v160, v9
	s_wait_loadcnt_dscnt 0x908
	v_dual_mul_f32 v199, v162, v11 :: v_dual_fmac_f32 v24, v155, v2
	s_wait_loadcnt_dscnt 0x302
	v_mul_f32_e32 v212, v188, v149
	v_fma_f32 v3, v154, v2, -v3
	s_wait_loadcnt_dscnt 0x100
	v_mul_f32_e32 v215, v194, v23
	v_mul_f32_e32 v2, v159, v7
	v_fmac_f32_e32 v196, v157, v4
	v_fma_f32 v4, v156, v4, -v5
	v_dual_add_f32 v3, 0, v3 :: v_dual_mul_f32 v200, v164, v13
	v_mul_f32_e32 v201, v166, v15
	v_fma_f32 v2, v158, v6, -v2
	v_fmac_f32_e32 v199, v163, v10
	s_delay_alu instid0(VALU_DEP_4) | instskip(SKIP_3) | instid1(VALU_DEP_4)
	v_add_f32_e32 v3, v3, v4
	v_add_f32_e32 v5, 0, v24
	v_fmac_f32_e32 v200, v165, v12
	v_dual_mul_f32 v202, v168, v17 :: v_dual_mul_f32 v203, v170, v19
	v_dual_add_f32 v2, v3, v2 :: v_dual_mul_f32 v7, v161, v9
	s_delay_alu instid0(VALU_DEP_4) | instskip(SKIP_1) | instid1(VALU_DEP_3)
	v_dual_fmac_f32 v197, v159, v6 :: v_dual_add_f32 v4, v5, v196
	v_dual_mul_f32 v5, v163, v11 :: v_dual_fmac_f32 v198, v161, v8
	v_fma_f32 v6, v160, v8, -v7
	v_dual_fmac_f32 v201, v167, v14 :: v_dual_fmac_f32 v202, v169, v16
	s_delay_alu instid0(VALU_DEP_4)
	v_add_f32_e32 v3, v4, v197
	v_mul_f32_e32 v4, v165, v13
	v_fma_f32 v5, v162, v10, -v5
	v_add_f32_e32 v2, v2, v6
	v_mul_f32_e32 v6, v167, v15
	v_add_f32_e32 v3, v3, v198
	v_fma_f32 v4, v164, v12, -v4
	v_dual_mul_f32 v204, v172, v21 :: v_dual_mul_f32 v205, v174, v135
	s_delay_alu instid0(VALU_DEP_3) | instskip(SKIP_3) | instid1(VALU_DEP_4)
	v_dual_add_f32 v2, v2, v5 :: v_dual_add_f32 v3, v3, v199
	v_mul_f32_e32 v5, v169, v17
	v_fma_f32 v6, v166, v14, -v6
	v_dual_mul_f32 v206, v176, v137 :: v_dual_mul_f32 v207, v178, v139
	v_add_f32_e32 v2, v2, v4
	v_add_f32_e32 v3, v3, v200
	v_mul_f32_e32 v4, v171, v19
	v_fma_f32 v5, v168, v16, -v5
	v_fmac_f32_e32 v203, v171, v18
	s_delay_alu instid0(VALU_DEP_4) | instskip(SKIP_3) | instid1(VALU_DEP_4)
	v_dual_add_f32 v2, v2, v6 :: v_dual_add_f32 v3, v3, v201
	v_fmac_f32_e32 v204, v173, v20
	v_mul_f32_e32 v6, v173, v21
	v_fma_f32 v4, v170, v18, -v4
	v_dual_add_f32 v2, v2, v5 :: v_dual_add_f32 v3, v3, v202
	v_mul_f32_e32 v5, v175, v135
	s_delay_alu instid0(VALU_DEP_4) | instskip(SKIP_1) | instid1(VALU_DEP_4)
	v_fma_f32 v6, v172, v20, -v6
	v_dual_fmac_f32 v205, v175, v134 :: v_dual_fmac_f32 v206, v177, v136
	v_dual_add_f32 v2, v2, v4 :: v_dual_add_f32 v3, v3, v203
	v_mul_f32_e32 v4, v177, v137
	v_fma_f32 v5, v174, v134, -v5
	v_dual_mul_f32 v208, v180, v141 :: v_dual_mul_f32 v209, v182, v143
	s_delay_alu instid0(VALU_DEP_4) | instskip(SKIP_2) | instid1(VALU_DEP_3)
	v_dual_add_f32 v2, v2, v6 :: v_dual_add_f32 v3, v3, v204
	v_mul_f32_e32 v6, v179, v139
	v_fma_f32 v4, v176, v136, -v4
	v_dual_fmac_f32 v207, v179, v138 :: v_dual_add_f32 v2, v2, v5
	s_delay_alu instid0(VALU_DEP_4) | instskip(SKIP_3) | instid1(VALU_DEP_4)
	v_add_f32_e32 v3, v3, v205
	v_mul_f32_e32 v5, v181, v141
	v_fma_f32 v6, v178, v138, -v6
	v_fmac_f32_e32 v208, v181, v140
	v_dual_add_f32 v2, v2, v4 :: v_dual_add_f32 v3, v3, v206
	v_mul_f32_e32 v4, v183, v143
	v_fma_f32 v5, v180, v140, -v5
	v_dual_mul_f32 v210, v184, v145 :: v_dual_mul_f32 v211, v186, v147
	s_delay_alu instid0(VALU_DEP_4) | instskip(SKIP_2) | instid1(VALU_DEP_3)
	v_dual_add_f32 v2, v2, v6 :: v_dual_add_f32 v3, v3, v207
	v_dual_mul_f32 v6, v185, v145 :: v_dual_fmac_f32 v209, v183, v142
	v_fma_f32 v4, v182, v142, -v4
	v_dual_add_f32 v2, v2, v5 :: v_dual_add_f32 v3, v3, v208
	v_dual_mul_f32 v5, v187, v147 :: v_dual_fmac_f32 v210, v185, v144
	s_delay_alu instid0(VALU_DEP_4) | instskip(NEXT) | instid1(VALU_DEP_3)
	v_fma_f32 v6, v184, v144, -v6
	v_dual_add_f32 v2, v2, v4 :: v_dual_add_f32 v3, v3, v209
	v_dual_mul_f32 v4, v189, v149 :: v_dual_fmac_f32 v211, v187, v146
	s_delay_alu instid0(VALU_DEP_4) | instskip(NEXT) | instid1(VALU_DEP_3)
	v_fma_f32 v5, v186, v146, -v5
	v_dual_fmac_f32 v212, v189, v148 :: v_dual_add_f32 v3, v3, v210
	s_delay_alu instid0(VALU_DEP_4) | instskip(SKIP_3) | instid1(VALU_DEP_4)
	v_add_f32_e32 v2, v2, v6
	v_dual_mul_f32 v213, v190, v151 :: v_dual_mul_f32 v214, v192, v153
	v_mul_f32_e32 v6, v191, v151
	v_fma_f32 v4, v188, v148, -v4
	v_dual_add_f32 v3, v3, v211 :: v_dual_add_f32 v2, v2, v5
	s_delay_alu instid0(VALU_DEP_4) | instskip(SKIP_2) | instid1(VALU_DEP_4)
	v_fmac_f32_e32 v213, v191, v150
	v_mul_f32_e32 v5, v193, v153
	v_fma_f32 v6, v190, v150, -v6
	v_add_f32_e32 v3, v3, v212
	v_add_f32_e32 v2, v2, v4
	v_mul_f32_e32 v4, v195, v23
	v_dual_fmac_f32 v214, v193, v152 :: v_dual_fmac_f32 v215, v195, v22
	v_fma_f32 v5, v192, v152, -v5
	s_delay_alu instid0(VALU_DEP_4) | instskip(NEXT) | instid1(VALU_DEP_4)
	v_dual_add_f32 v3, v3, v213 :: v_dual_add_f32 v2, v2, v6
	v_fma_f32 v4, v194, v22, -v4
	s_delay_alu instid0(VALU_DEP_2) | instskip(NEXT) | instid1(VALU_DEP_1)
	v_dual_add_f32 v3, v3, v214 :: v_dual_add_f32 v2, v2, v5
	v_dual_add_f32 v3, v3, v215 :: v_dual_add_f32 v2, v2, v4
	s_wait_loadcnt 0x0
	s_delay_alu instid0(VALU_DEP_1)
	v_dual_sub_f32 v3, v132, v3 :: v_dual_sub_f32 v2, v131, v2
	scratch_store_b64 off, v[2:3], off offset:248
	v_cmpx_lt_u32_e32 30, v0
	s_cbranch_execz .LBB52_271
; %bb.270:
	scratch_load_b64 v[3:4], off, off offset:240
	v_mov_b32_e32 v2, v1
	scratch_store_b64 off, v[1:2], off offset:240
	s_wait_loadcnt 0x0
	ds_store_b64 v133, v[3:4]
.LBB52_271:
	s_wait_alu 0xfffe
	s_or_b32 exec_lo, exec_lo, s0
	s_wait_storecnt_dscnt 0x0
	s_barrier_signal -1
	s_barrier_wait -1
	global_inv scope:SCOPE_SE
	s_clause 0xb
	scratch_load_b128 v[2:5], off, off offset:248
	scratch_load_b128 v[6:9], off, off offset:264
	;; [unrolled: 1-line block ×11, first 2 shown]
	scratch_load_b64 v[22:23], off, off offset:240
	ds_load_2addr_b64 v[158:161], v1 offset0:85 offset1:86
	ds_load_2addr_b64 v[162:165], v1 offset0:87 offset1:88
	;; [unrolled: 1-line block ×11, first 2 shown]
	s_mov_b32 s0, exec_lo
	s_wait_loadcnt_dscnt 0xb0a
	v_dual_mul_f32 v1, v158, v3 :: v_dual_mul_f32 v24, v160, v5
	v_mul_f32_e32 v3, v159, v3
	v_mul_f32_e32 v5, v161, v5
	s_wait_loadcnt_dscnt 0xa09
	v_dual_mul_f32 v131, v162, v7 :: v_dual_mul_f32 v132, v164, v9
	v_fmac_f32_e32 v24, v161, v4
	v_fma_f32 v3, v158, v2, -v3
	s_wait_loadcnt_dscnt 0x908
	v_dual_mul_f32 v202, v166, v11 :: v_dual_mul_f32 v203, v168, v13
	v_dual_fmac_f32 v1, v159, v2 :: v_dual_fmac_f32 v132, v165, v8
	v_mul_f32_e32 v2, v163, v7
	v_fma_f32 v4, v160, v4, -v5
	s_delay_alu instid0(VALU_DEP_4) | instskip(NEXT) | instid1(VALU_DEP_4)
	v_dual_add_f32 v3, 0, v3 :: v_dual_fmac_f32 v202, v167, v10
	v_add_f32_e32 v1, 0, v1
	s_delay_alu instid0(VALU_DEP_4) | instskip(SKIP_4) | instid1(VALU_DEP_3)
	v_fma_f32 v2, v162, v6, -v2
	s_wait_loadcnt_dscnt 0x807
	v_dual_mul_f32 v204, v170, v15 :: v_dual_mul_f32 v205, v172, v17
	v_add_f32_e32 v3, v3, v4
	v_dual_mul_f32 v5, v165, v9 :: v_dual_mul_f32 v4, v167, v11
	v_dual_add_f32 v1, v1, v24 :: v_dual_fmac_f32 v204, v171, v14
	s_delay_alu instid0(VALU_DEP_3) | instskip(NEXT) | instid1(VALU_DEP_3)
	v_add_f32_e32 v2, v3, v2
	v_fma_f32 v5, v164, v8, -v5
	v_fmac_f32_e32 v131, v163, v6
	v_fma_f32 v4, v166, v10, -v4
	s_wait_loadcnt_dscnt 0x706
	v_dual_mul_f32 v206, v174, v19 :: v_dual_mul_f32 v207, v176, v21
	s_delay_alu instid0(VALU_DEP_3) | instskip(NEXT) | instid1(VALU_DEP_2)
	v_dual_add_f32 v2, v2, v5 :: v_dual_add_f32 v1, v1, v131
	v_dual_mul_f32 v3, v169, v13 :: v_dual_fmac_f32 v206, v175, v18
	s_wait_loadcnt_dscnt 0x605
	v_dual_mul_f32 v208, v178, v135 :: v_dual_mul_f32 v209, v180, v137
	s_delay_alu instid0(VALU_DEP_3)
	v_add_f32_e32 v2, v2, v4
	v_mul_f32_e32 v4, v173, v17
	v_fma_f32 v3, v168, v12, -v3
	s_wait_loadcnt_dscnt 0x403
	v_dual_add_f32 v1, v1, v132 :: v_dual_mul_f32 v212, v186, v143
	v_mul_f32_e32 v213, v188, v145
	v_fma_f32 v4, v172, v16, -v4
	v_mul_f32_e32 v5, v171, v15
	s_delay_alu instid0(VALU_DEP_4) | instskip(SKIP_1) | instid1(VALU_DEP_3)
	v_dual_add_f32 v2, v2, v3 :: v_dual_add_f32 v1, v1, v202
	v_dual_mul_f32 v210, v182, v139 :: v_dual_mul_f32 v211, v184, v141
	v_fma_f32 v5, v170, v14, -v5
	v_dual_fmac_f32 v203, v169, v12 :: v_dual_fmac_f32 v208, v179, v134
	s_delay_alu instid0(VALU_DEP_3)
	v_fmac_f32_e32 v210, v183, v138
	s_wait_loadcnt_dscnt 0x100
	v_dual_mul_f32 v218, v198, v155 :: v_dual_mul_f32 v219, v200, v157
	v_add_f32_e32 v2, v2, v5
	v_dual_mul_f32 v214, v190, v147 :: v_dual_mul_f32 v215, v192, v149
	v_dual_fmac_f32 v209, v181, v136 :: v_dual_mul_f32 v216, v194, v151
	s_delay_alu instid0(VALU_DEP_3) | instskip(SKIP_2) | instid1(VALU_DEP_4)
	v_dual_mul_f32 v217, v196, v153 :: v_dual_add_f32 v2, v2, v4
	v_mul_f32_e32 v4, v179, v135
	v_add_f32_e32 v1, v1, v203
	v_dual_fmac_f32 v211, v185, v140 :: v_dual_fmac_f32 v216, v195, v150
	v_fmac_f32_e32 v212, v187, v142
	s_delay_alu instid0(VALU_DEP_4)
	v_fma_f32 v4, v178, v134, -v4
	v_mul_f32_e32 v5, v177, v21
	v_add_f32_e32 v1, v1, v204
	v_fmac_f32_e32 v215, v193, v148
	v_fmac_f32_e32 v217, v197, v152
	;; [unrolled: 1-line block ×3, first 2 shown]
	v_fma_f32 v5, v176, v20, -v5
	v_mul_f32_e32 v3, v175, v19
	v_fmac_f32_e32 v218, v199, v154
	v_fmac_f32_e32 v214, v191, v146
	s_delay_alu instid0(VALU_DEP_3) | instskip(NEXT) | instid1(VALU_DEP_1)
	v_fma_f32 v3, v174, v18, -v3
	v_dual_fmac_f32 v205, v173, v16 :: v_dual_add_f32 v2, v2, v3
	v_mul_f32_e32 v3, v181, v137
	s_delay_alu instid0(VALU_DEP_2) | instskip(NEXT) | instid1(VALU_DEP_2)
	v_dual_add_f32 v2, v2, v5 :: v_dual_mul_f32 v5, v183, v139
	v_fma_f32 v3, v180, v136, -v3
	s_delay_alu instid0(VALU_DEP_2) | instskip(SKIP_1) | instid1(VALU_DEP_4)
	v_dual_add_f32 v2, v2, v4 :: v_dual_add_f32 v1, v1, v205
	v_mul_f32_e32 v4, v185, v141
	v_fma_f32 v5, v182, v138, -v5
	s_delay_alu instid0(VALU_DEP_3) | instskip(NEXT) | instid1(VALU_DEP_3)
	v_dual_add_f32 v2, v2, v3 :: v_dual_fmac_f32 v207, v177, v20
	v_fma_f32 v4, v184, v140, -v4
	s_delay_alu instid0(VALU_DEP_2) | instskip(SKIP_1) | instid1(VALU_DEP_2)
	v_add_f32_e32 v2, v2, v5
	v_mul_f32_e32 v5, v189, v145
	v_dual_add_f32 v1, v1, v206 :: v_dual_add_f32 v2, v2, v4
	s_delay_alu instid0(VALU_DEP_2) | instskip(SKIP_1) | instid1(VALU_DEP_3)
	v_fma_f32 v5, v188, v144, -v5
	v_mul_f32_e32 v3, v187, v143
	v_add_f32_e32 v1, v1, v207
	v_mul_f32_e32 v4, v191, v147
	s_delay_alu instid0(VALU_DEP_3) | instskip(NEXT) | instid1(VALU_DEP_3)
	v_fma_f32 v3, v186, v142, -v3
	v_add_f32_e32 v1, v1, v208
	s_delay_alu instid0(VALU_DEP_3) | instskip(NEXT) | instid1(VALU_DEP_3)
	v_fma_f32 v4, v190, v146, -v4
	v_add_f32_e32 v2, v2, v3
	s_delay_alu instid0(VALU_DEP_1) | instskip(NEXT) | instid1(VALU_DEP_4)
	v_add_f32_e32 v2, v2, v5
	v_add_f32_e32 v1, v1, v209
	s_delay_alu instid0(VALU_DEP_2) | instskip(SKIP_1) | instid1(VALU_DEP_2)
	v_dual_mul_f32 v5, v195, v151 :: v_dual_add_f32 v2, v2, v4
	v_mul_f32_e32 v4, v197, v153
	v_fma_f32 v5, v194, v150, -v5
	s_delay_alu instid0(VALU_DEP_2) | instskip(SKIP_1) | instid1(VALU_DEP_1)
	v_fma_f32 v4, v196, v152, -v4
	v_mul_f32_e32 v3, v193, v149
	v_fma_f32 v3, v192, v148, -v3
	s_delay_alu instid0(VALU_DEP_1) | instskip(NEXT) | instid1(VALU_DEP_1)
	v_dual_add_f32 v1, v1, v210 :: v_dual_add_f32 v2, v2, v3
	v_add_f32_e32 v1, v1, v211
	s_delay_alu instid0(VALU_DEP_2) | instskip(NEXT) | instid1(VALU_DEP_2)
	v_dual_mul_f32 v3, v199, v155 :: v_dual_add_f32 v2, v2, v5
	v_add_f32_e32 v1, v1, v212
	v_mul_f32_e32 v5, v201, v157
	s_delay_alu instid0(VALU_DEP_3) | instskip(NEXT) | instid1(VALU_DEP_4)
	v_fma_f32 v3, v198, v154, -v3
	v_add_f32_e32 v2, v2, v4
	v_fmac_f32_e32 v213, v189, v144
	s_delay_alu instid0(VALU_DEP_4) | instskip(NEXT) | instid1(VALU_DEP_2)
	v_fma_f32 v4, v200, v156, -v5
	v_dual_add_f32 v2, v2, v3 :: v_dual_add_f32 v1, v1, v213
	s_delay_alu instid0(VALU_DEP_1) | instskip(NEXT) | instid1(VALU_DEP_1)
	v_dual_add_f32 v2, v2, v4 :: v_dual_add_f32 v1, v1, v214
	v_add_f32_e32 v1, v1, v215
	s_delay_alu instid0(VALU_DEP_1) | instskip(NEXT) | instid1(VALU_DEP_1)
	v_add_f32_e32 v1, v1, v216
	v_add_f32_e32 v1, v1, v217
	s_delay_alu instid0(VALU_DEP_1) | instskip(NEXT) | instid1(VALU_DEP_1)
	v_add_f32_e32 v1, v1, v218
	v_add_f32_e32 v3, v1, v219
	s_wait_loadcnt 0x0
	s_delay_alu instid0(VALU_DEP_1)
	v_dual_sub_f32 v1, v22, v2 :: v_dual_sub_f32 v2, v23, v3
	scratch_store_b64 off, v[1:2], off offset:240
	v_cmpx_lt_u32_e32 29, v0
	s_cbranch_execz .LBB52_273
; %bb.272:
	scratch_load_b64 v[1:2], off, off offset:232
	v_mov_b32_e32 v3, 0
	s_delay_alu instid0(VALU_DEP_1)
	v_mov_b32_e32 v4, v3
	scratch_store_b64 off, v[3:4], off offset:232
	s_wait_loadcnt 0x0
	ds_store_b64 v133, v[1:2]
.LBB52_273:
	s_wait_alu 0xfffe
	s_or_b32 exec_lo, exec_lo, s0
	s_wait_storecnt_dscnt 0x0
	s_barrier_signal -1
	s_barrier_wait -1
	global_inv scope:SCOPE_SE
	s_clause 0xc
	scratch_load_b128 v[2:5], off, off offset:240
	scratch_load_b128 v[6:9], off, off offset:256
	;; [unrolled: 1-line block ×11, first 2 shown]
	scratch_load_b64 v[22:23], off, off offset:416
	scratch_load_b64 v[131:132], off, off offset:232
	v_mov_b32_e32 v1, 0
	ds_load_b128 v[158:161], v1 offset:672
	ds_load_b128 v[162:165], v1 offset:688
	;; [unrolled: 1-line block ×11, first 2 shown]
	ds_load_b64 v[202:203], v1 offset:848
	s_mov_b32 s0, exec_lo
	s_wait_loadcnt_dscnt 0xc0b
	v_mul_f32_e32 v24, v158, v3
	s_wait_loadcnt_dscnt 0xb0a
	v_dual_mul_f32 v204, v160, v5 :: v_dual_mul_f32 v205, v162, v7
	v_mul_f32_e32 v5, v161, v5
	s_wait_loadcnt_dscnt 0xa09
	v_dual_mul_f32 v206, v164, v9 :: v_dual_mul_f32 v207, v166, v11
	v_mul_f32_e32 v3, v159, v3
	v_fmac_f32_e32 v24, v159, v2
	s_wait_loadcnt_dscnt 0x908
	v_dual_mul_f32 v208, v168, v13 :: v_dual_mul_f32 v209, v170, v15
	s_wait_loadcnt_dscnt 0x302
	v_mul_f32_e32 v222, v196, v153
	v_fma_f32 v3, v158, v2, -v3
	s_wait_loadcnt_dscnt 0x100
	v_mul_f32_e32 v225, v202, v23
	v_mul_f32_e32 v2, v163, v7
	v_fmac_f32_e32 v204, v161, v4
	v_fma_f32 v4, v160, v4, -v5
	v_add_f32_e32 v3, 0, v3
	v_dual_fmac_f32 v207, v167, v10 :: v_dual_fmac_f32 v208, v169, v12
	v_fma_f32 v2, v162, v6, -v2
	v_dual_mul_f32 v210, v172, v17 :: v_dual_mul_f32 v211, v174, v19
	s_delay_alu instid0(VALU_DEP_4) | instskip(SKIP_1) | instid1(VALU_DEP_3)
	v_add_f32_e32 v3, v3, v4
	v_add_f32_e32 v5, 0, v24
	v_dual_fmac_f32 v209, v171, v14 :: v_dual_fmac_f32 v210, v173, v16
	v_fmac_f32_e32 v206, v165, v8
	s_delay_alu instid0(VALU_DEP_4) | instskip(NEXT) | instid1(VALU_DEP_4)
	v_dual_add_f32 v2, v3, v2 :: v_dual_mul_f32 v7, v165, v9
	v_dual_fmac_f32 v205, v163, v6 :: v_dual_add_f32 v4, v5, v204
	v_dual_mul_f32 v5, v167, v11 :: v_dual_mul_f32 v212, v176, v21
	v_mul_f32_e32 v213, v178, v135
	s_delay_alu instid0(VALU_DEP_4) | instskip(NEXT) | instid1(VALU_DEP_4)
	v_fma_f32 v6, v164, v8, -v7
	v_add_f32_e32 v3, v4, v205
	v_mul_f32_e32 v4, v169, v13
	v_fma_f32 v5, v166, v10, -v5
	v_dual_mul_f32 v214, v180, v137 :: v_dual_mul_f32 v215, v182, v139
	v_add_f32_e32 v2, v2, v6
	v_mul_f32_e32 v6, v171, v15
	v_add_f32_e32 v3, v3, v206
	v_fma_f32 v4, v168, v12, -v4
	v_dual_fmac_f32 v213, v179, v134 :: v_dual_fmac_f32 v214, v181, v136
	s_delay_alu instid0(VALU_DEP_3) | instskip(SKIP_2) | instid1(VALU_DEP_3)
	v_dual_add_f32 v2, v2, v5 :: v_dual_add_f32 v3, v3, v207
	v_mul_f32_e32 v5, v173, v17
	v_fma_f32 v6, v170, v14, -v6
	v_dual_fmac_f32 v211, v175, v18 :: v_dual_add_f32 v2, v2, v4
	s_delay_alu instid0(VALU_DEP_4) | instskip(SKIP_3) | instid1(VALU_DEP_4)
	v_add_f32_e32 v3, v3, v208
	v_mul_f32_e32 v4, v175, v19
	v_fma_f32 v5, v172, v16, -v5
	v_fmac_f32_e32 v212, v177, v20
	v_dual_add_f32 v2, v2, v6 :: v_dual_add_f32 v3, v3, v209
	v_mul_f32_e32 v6, v177, v21
	v_fma_f32 v4, v174, v18, -v4
	v_dual_mul_f32 v216, v184, v141 :: v_dual_mul_f32 v217, v186, v143
	s_delay_alu instid0(VALU_DEP_4) | instskip(SKIP_3) | instid1(VALU_DEP_4)
	v_dual_add_f32 v2, v2, v5 :: v_dual_add_f32 v3, v3, v210
	v_mul_f32_e32 v5, v179, v135
	v_fma_f32 v6, v176, v20, -v6
	v_dual_mul_f32 v218, v188, v145 :: v_dual_mul_f32 v219, v190, v147
	v_dual_add_f32 v2, v2, v4 :: v_dual_add_f32 v3, v3, v211
	v_mul_f32_e32 v4, v181, v137
	v_fma_f32 v5, v178, v134, -v5
	v_fmac_f32_e32 v215, v183, v138
	s_delay_alu instid0(VALU_DEP_4) | instskip(SKIP_3) | instid1(VALU_DEP_4)
	v_dual_add_f32 v2, v2, v6 :: v_dual_add_f32 v3, v3, v212
	v_mul_f32_e32 v6, v183, v139
	v_fma_f32 v4, v180, v136, -v4
	v_fmac_f32_e32 v216, v185, v140
	v_add_f32_e32 v2, v2, v5
	v_add_f32_e32 v3, v3, v213
	v_mul_f32_e32 v5, v185, v141
	v_fma_f32 v6, v182, v138, -v6
	s_delay_alu instid0(VALU_DEP_4) | instskip(NEXT) | instid1(VALU_DEP_4)
	v_dual_fmac_f32 v217, v187, v142 :: v_dual_add_f32 v2, v2, v4
	v_add_f32_e32 v3, v3, v214
	v_mul_f32_e32 v4, v187, v143
	v_fma_f32 v5, v184, v140, -v5
	v_dual_mul_f32 v220, v192, v149 :: v_dual_mul_f32 v221, v194, v151
	s_delay_alu instid0(VALU_DEP_4) | instskip(SKIP_3) | instid1(VALU_DEP_4)
	v_dual_add_f32 v2, v2, v6 :: v_dual_add_f32 v3, v3, v215
	v_mul_f32_e32 v6, v189, v145
	v_fma_f32 v4, v186, v142, -v4
	v_fmac_f32_e32 v218, v189, v144
	v_dual_add_f32 v2, v2, v5 :: v_dual_add_f32 v3, v3, v216
	v_mul_f32_e32 v5, v191, v147
	v_fma_f32 v6, v188, v144, -v6
	s_delay_alu instid0(VALU_DEP_3) | instskip(NEXT) | instid1(VALU_DEP_4)
	v_dual_fmac_f32 v219, v191, v146 :: v_dual_add_f32 v2, v2, v4
	v_add_f32_e32 v3, v3, v217
	v_mul_f32_e32 v4, v193, v149
	v_fma_f32 v5, v190, v146, -v5
	v_dual_fmac_f32 v220, v193, v148 :: v_dual_fmac_f32 v221, v195, v150
	s_delay_alu instid0(VALU_DEP_4) | instskip(SKIP_4) | instid1(VALU_DEP_4)
	v_add_f32_e32 v3, v3, v218
	v_add_f32_e32 v2, v2, v6
	v_mul_f32_e32 v6, v195, v151
	v_fma_f32 v4, v192, v148, -v4
	v_dual_mul_f32 v223, v198, v155 :: v_dual_mul_f32 v224, v200, v157
	v_dual_add_f32 v3, v3, v219 :: v_dual_add_f32 v2, v2, v5
	v_mul_f32_e32 v5, v197, v153
	v_fma_f32 v6, v194, v150, -v6
	s_delay_alu instid0(VALU_DEP_4) | instskip(NEXT) | instid1(VALU_DEP_4)
	v_dual_fmac_f32 v222, v197, v152 :: v_dual_fmac_f32 v223, v199, v154
	v_add_f32_e32 v3, v3, v220
	v_add_f32_e32 v2, v2, v4
	v_mul_f32_e32 v4, v199, v155
	v_fma_f32 v5, v196, v152, -v5
	v_fmac_f32_e32 v225, v203, v22
	s_delay_alu instid0(VALU_DEP_4) | instskip(SKIP_2) | instid1(VALU_DEP_3)
	v_dual_add_f32 v3, v3, v221 :: v_dual_add_f32 v2, v2, v6
	v_mul_f32_e32 v6, v201, v157
	v_fma_f32 v4, v198, v154, -v4
	v_dual_add_f32 v3, v3, v222 :: v_dual_add_f32 v2, v2, v5
	v_dual_mul_f32 v5, v203, v23 :: v_dual_fmac_f32 v224, v201, v156
	s_delay_alu instid0(VALU_DEP_4) | instskip(NEXT) | instid1(VALU_DEP_3)
	v_fma_f32 v6, v200, v156, -v6
	v_dual_add_f32 v3, v3, v223 :: v_dual_add_f32 v2, v2, v4
	s_delay_alu instid0(VALU_DEP_3) | instskip(NEXT) | instid1(VALU_DEP_2)
	v_fma_f32 v4, v202, v22, -v5
	v_dual_add_f32 v3, v3, v224 :: v_dual_add_f32 v2, v2, v6
	s_delay_alu instid0(VALU_DEP_1) | instskip(SKIP_1) | instid1(VALU_DEP_1)
	v_dual_add_f32 v3, v3, v225 :: v_dual_add_f32 v2, v2, v4
	s_wait_loadcnt 0x0
	v_dual_sub_f32 v3, v132, v3 :: v_dual_sub_f32 v2, v131, v2
	scratch_store_b64 off, v[2:3], off offset:232
	v_cmpx_lt_u32_e32 28, v0
	s_cbranch_execz .LBB52_275
; %bb.274:
	scratch_load_b64 v[3:4], off, off offset:224
	v_mov_b32_e32 v2, v1
	scratch_store_b64 off, v[1:2], off offset:224
	s_wait_loadcnt 0x0
	ds_store_b64 v133, v[3:4]
.LBB52_275:
	s_wait_alu 0xfffe
	s_or_b32 exec_lo, exec_lo, s0
	s_wait_storecnt_dscnt 0x0
	s_barrier_signal -1
	s_barrier_wait -1
	global_inv scope:SCOPE_SE
	s_clause 0xc
	scratch_load_b128 v[2:5], off, off offset:232
	scratch_load_b128 v[6:9], off, off offset:248
	;; [unrolled: 1-line block ×12, first 2 shown]
	scratch_load_b64 v[22:23], off, off offset:224
	ds_load_2addr_b64 v[162:165], v1 offset0:83 offset1:84
	ds_load_2addr_b64 v[166:169], v1 offset0:85 offset1:86
	;; [unrolled: 1-line block ×12, first 2 shown]
	s_mov_b32 s0, exec_lo
	s_wait_loadcnt_dscnt 0xc0b
	v_dual_mul_f32 v1, v162, v3 :: v_dual_mul_f32 v24, v164, v5
	v_mul_f32_e32 v3, v163, v3
	v_mul_f32_e32 v5, v165, v5
	s_wait_loadcnt_dscnt 0xb0a
	v_dual_mul_f32 v131, v166, v7 :: v_dual_mul_f32 v132, v168, v9
	v_fmac_f32_e32 v24, v165, v4
	v_fma_f32 v3, v162, v2, -v3
	s_wait_loadcnt_dscnt 0xa09
	v_dual_mul_f32 v210, v170, v11 :: v_dual_mul_f32 v211, v172, v13
	v_dual_fmac_f32 v1, v163, v2 :: v_dual_fmac_f32 v132, v169, v8
	v_mul_f32_e32 v2, v167, v7
	v_fma_f32 v4, v164, v4, -v5
	s_delay_alu instid0(VALU_DEP_4) | instskip(NEXT) | instid1(VALU_DEP_4)
	v_dual_add_f32 v3, 0, v3 :: v_dual_fmac_f32 v210, v171, v10
	v_add_f32_e32 v1, 0, v1
	s_delay_alu instid0(VALU_DEP_4) | instskip(SKIP_4) | instid1(VALU_DEP_3)
	v_fma_f32 v2, v166, v6, -v2
	s_wait_loadcnt_dscnt 0x908
	v_dual_mul_f32 v212, v174, v15 :: v_dual_mul_f32 v213, v176, v17
	v_add_f32_e32 v3, v3, v4
	v_dual_mul_f32 v5, v169, v9 :: v_dual_mul_f32 v4, v171, v11
	v_dual_add_f32 v1, v1, v24 :: v_dual_fmac_f32 v212, v175, v14
	s_delay_alu instid0(VALU_DEP_3) | instskip(NEXT) | instid1(VALU_DEP_3)
	v_add_f32_e32 v2, v3, v2
	v_fma_f32 v5, v168, v8, -v5
	v_fmac_f32_e32 v131, v167, v6
	v_fma_f32 v4, v170, v10, -v4
	s_wait_loadcnt_dscnt 0x807
	v_dual_mul_f32 v214, v178, v19 :: v_dual_mul_f32 v215, v180, v21
	s_delay_alu instid0(VALU_DEP_3) | instskip(NEXT) | instid1(VALU_DEP_2)
	v_dual_add_f32 v2, v2, v5 :: v_dual_add_f32 v1, v1, v131
	v_dual_mul_f32 v3, v173, v13 :: v_dual_fmac_f32 v214, v179, v18
	s_wait_loadcnt_dscnt 0x706
	v_dual_mul_f32 v216, v182, v135 :: v_dual_mul_f32 v217, v184, v137
	s_delay_alu instid0(VALU_DEP_3)
	v_add_f32_e32 v2, v2, v4
	v_mul_f32_e32 v4, v177, v17
	v_fma_f32 v3, v172, v12, -v3
	s_wait_loadcnt_dscnt 0x504
	v_dual_add_f32 v1, v1, v132 :: v_dual_mul_f32 v220, v190, v143
	v_mul_f32_e32 v221, v192, v145
	v_fma_f32 v4, v176, v16, -v4
	v_mul_f32_e32 v5, v175, v15
	s_delay_alu instid0(VALU_DEP_4) | instskip(SKIP_1) | instid1(VALU_DEP_3)
	v_dual_add_f32 v2, v2, v3 :: v_dual_add_f32 v1, v1, v210
	v_dual_mul_f32 v218, v186, v139 :: v_dual_mul_f32 v219, v188, v141
	v_fma_f32 v5, v174, v14, -v5
	v_dual_fmac_f32 v211, v173, v12 :: v_dual_fmac_f32 v216, v183, v134
	s_delay_alu instid0(VALU_DEP_3)
	v_fmac_f32_e32 v218, v187, v138
	s_wait_loadcnt_dscnt 0x201
	v_dual_mul_f32 v226, v202, v155 :: v_dual_mul_f32 v227, v204, v157
	v_add_f32_e32 v2, v2, v5
	v_dual_mul_f32 v222, v194, v147 :: v_dual_mul_f32 v223, v196, v149
	v_dual_fmac_f32 v217, v185, v136 :: v_dual_mul_f32 v224, v198, v151
	s_delay_alu instid0(VALU_DEP_3) | instskip(SKIP_2) | instid1(VALU_DEP_4)
	v_dual_mul_f32 v225, v200, v153 :: v_dual_add_f32 v2, v2, v4
	v_mul_f32_e32 v4, v183, v135
	v_add_f32_e32 v1, v1, v211
	v_dual_fmac_f32 v219, v189, v140 :: v_dual_fmac_f32 v224, v199, v150
	v_fmac_f32_e32 v220, v191, v142
	s_delay_alu instid0(VALU_DEP_4)
	v_fma_f32 v4, v182, v134, -v4
	v_mul_f32_e32 v5, v181, v21
	v_add_f32_e32 v1, v1, v212
	s_wait_loadcnt_dscnt 0x100
	v_dual_fmac_f32 v221, v193, v144 :: v_dual_mul_f32 v228, v206, v159
	v_mul_f32_e32 v229, v208, v161
	v_fma_f32 v5, v180, v20, -v5
	v_mul_f32_e32 v3, v179, v19
	v_dual_fmac_f32 v227, v205, v156 :: v_dual_fmac_f32 v226, v203, v154
	s_delay_alu instid0(VALU_DEP_4) | instskip(NEXT) | instid1(VALU_DEP_3)
	v_dual_fmac_f32 v229, v209, v160 :: v_dual_fmac_f32 v222, v195, v146
	v_fma_f32 v3, v178, v18, -v3
	v_dual_fmac_f32 v213, v177, v16 :: v_dual_fmac_f32 v228, v207, v158
	s_delay_alu instid0(VALU_DEP_2) | instskip(NEXT) | instid1(VALU_DEP_1)
	v_dual_add_f32 v2, v2, v3 :: v_dual_mul_f32 v3, v185, v137
	v_dual_add_f32 v2, v2, v5 :: v_dual_mul_f32 v5, v187, v139
	s_delay_alu instid0(VALU_DEP_2) | instskip(NEXT) | instid1(VALU_DEP_2)
	v_fma_f32 v3, v184, v136, -v3
	v_dual_add_f32 v2, v2, v4 :: v_dual_add_f32 v1, v1, v213
	v_mul_f32_e32 v4, v189, v141
	s_delay_alu instid0(VALU_DEP_4) | instskip(NEXT) | instid1(VALU_DEP_3)
	v_fma_f32 v5, v186, v138, -v5
	v_dual_add_f32 v2, v2, v3 :: v_dual_fmac_f32 v215, v181, v20
	s_delay_alu instid0(VALU_DEP_3) | instskip(NEXT) | instid1(VALU_DEP_2)
	v_fma_f32 v4, v188, v140, -v4
	v_add_f32_e32 v2, v2, v5
	v_mul_f32_e32 v5, v193, v145
	s_delay_alu instid0(VALU_DEP_2) | instskip(NEXT) | instid1(VALU_DEP_2)
	v_dual_add_f32 v1, v1, v214 :: v_dual_add_f32 v2, v2, v4
	v_fma_f32 v5, v192, v144, -v5
	v_mul_f32_e32 v3, v191, v143
	s_delay_alu instid0(VALU_DEP_3) | instskip(SKIP_1) | instid1(VALU_DEP_3)
	v_add_f32_e32 v1, v1, v215
	v_mul_f32_e32 v4, v195, v147
	v_fma_f32 v3, v190, v142, -v3
	s_delay_alu instid0(VALU_DEP_3) | instskip(NEXT) | instid1(VALU_DEP_3)
	v_add_f32_e32 v1, v1, v216
	v_fma_f32 v4, v194, v146, -v4
	s_delay_alu instid0(VALU_DEP_3) | instskip(NEXT) | instid1(VALU_DEP_1)
	v_add_f32_e32 v2, v2, v3
	v_add_f32_e32 v2, v2, v5
	s_delay_alu instid0(VALU_DEP_4) | instskip(NEXT) | instid1(VALU_DEP_2)
	v_add_f32_e32 v1, v1, v217
	v_dual_mul_f32 v5, v199, v151 :: v_dual_add_f32 v2, v2, v4
	v_mul_f32_e32 v4, v201, v153
	s_delay_alu instid0(VALU_DEP_2) | instskip(NEXT) | instid1(VALU_DEP_2)
	v_fma_f32 v5, v198, v150, -v5
	v_fma_f32 v4, v200, v152, -v4
	v_mul_f32_e32 v3, v197, v149
	s_delay_alu instid0(VALU_DEP_1) | instskip(NEXT) | instid1(VALU_DEP_1)
	v_fma_f32 v3, v196, v148, -v3
	v_dual_add_f32 v1, v1, v218 :: v_dual_add_f32 v2, v2, v3
	s_delay_alu instid0(VALU_DEP_1) | instskip(NEXT) | instid1(VALU_DEP_2)
	v_add_f32_e32 v1, v1, v219
	v_dual_mul_f32 v3, v203, v155 :: v_dual_add_f32 v2, v2, v5
	v_mul_f32_e32 v5, v205, v157
	s_delay_alu instid0(VALU_DEP_2) | instskip(NEXT) | instid1(VALU_DEP_3)
	v_fma_f32 v3, v202, v154, -v3
	v_add_f32_e32 v2, v2, v4
	v_dual_add_f32 v1, v1, v220 :: v_dual_mul_f32 v4, v207, v159
	s_delay_alu instid0(VALU_DEP_4) | instskip(NEXT) | instid1(VALU_DEP_2)
	v_fma_f32 v5, v204, v156, -v5
	v_dual_add_f32 v2, v2, v3 :: v_dual_add_f32 v1, v1, v221
	v_fmac_f32_e32 v223, v197, v148
	s_delay_alu instid0(VALU_DEP_4) | instskip(SKIP_1) | instid1(VALU_DEP_4)
	v_fma_f32 v4, v206, v158, -v4
	v_mul_f32_e32 v3, v209, v161
	v_dual_add_f32 v2, v2, v5 :: v_dual_add_f32 v1, v1, v222
	s_delay_alu instid0(VALU_DEP_2) | instskip(NEXT) | instid1(VALU_DEP_2)
	v_fma_f32 v3, v208, v160, -v3
	v_dual_add_f32 v2, v2, v4 :: v_dual_add_f32 v1, v1, v223
	s_delay_alu instid0(VALU_DEP_1) | instskip(NEXT) | instid1(VALU_DEP_2)
	v_dual_fmac_f32 v225, v201, v152 :: v_dual_add_f32 v2, v2, v3
	v_add_f32_e32 v1, v1, v224
	s_delay_alu instid0(VALU_DEP_1) | instskip(NEXT) | instid1(VALU_DEP_1)
	v_add_f32_e32 v1, v1, v225
	v_add_f32_e32 v1, v1, v226
	s_delay_alu instid0(VALU_DEP_1) | instskip(NEXT) | instid1(VALU_DEP_1)
	v_add_f32_e32 v1, v1, v227
	v_add_f32_e32 v1, v1, v228
	s_delay_alu instid0(VALU_DEP_1) | instskip(SKIP_1) | instid1(VALU_DEP_1)
	v_add_f32_e32 v3, v1, v229
	s_wait_loadcnt 0x0
	v_dual_sub_f32 v1, v22, v2 :: v_dual_sub_f32 v2, v23, v3
	scratch_store_b64 off, v[1:2], off offset:224
	v_cmpx_lt_u32_e32 27, v0
	s_cbranch_execz .LBB52_277
; %bb.276:
	scratch_load_b64 v[1:2], off, off offset:216
	v_mov_b32_e32 v3, 0
	s_delay_alu instid0(VALU_DEP_1)
	v_mov_b32_e32 v4, v3
	scratch_store_b64 off, v[3:4], off offset:216
	s_wait_loadcnt 0x0
	ds_store_b64 v133, v[1:2]
.LBB52_277:
	s_wait_alu 0xfffe
	s_or_b32 exec_lo, exec_lo, s0
	s_wait_storecnt_dscnt 0x0
	s_barrier_signal -1
	s_barrier_wait -1
	global_inv scope:SCOPE_SE
	s_clause 0xd
	scratch_load_b128 v[2:5], off, off offset:224
	scratch_load_b128 v[6:9], off, off offset:240
	;; [unrolled: 1-line block ×12, first 2 shown]
	scratch_load_b64 v[22:23], off, off offset:416
	scratch_load_b64 v[131:132], off, off offset:216
	v_mov_b32_e32 v1, 0
	ds_load_b128 v[162:165], v1 offset:656
	ds_load_b128 v[166:169], v1 offset:672
	;; [unrolled: 1-line block ×12, first 2 shown]
	ds_load_b64 v[210:211], v1 offset:848
	s_mov_b32 s0, exec_lo
	s_wait_loadcnt_dscnt 0xd0c
	v_mul_f32_e32 v24, v162, v3
	s_wait_loadcnt_dscnt 0xc0b
	v_dual_mul_f32 v212, v164, v5 :: v_dual_mul_f32 v213, v166, v7
	v_mul_f32_e32 v5, v165, v5
	s_wait_loadcnt_dscnt 0xb0a
	v_dual_mul_f32 v214, v168, v9 :: v_dual_mul_f32 v215, v170, v11
	v_dual_mul_f32 v3, v163, v3 :: v_dual_mul_f32 v216, v172, v13
	s_wait_loadcnt_dscnt 0xa09
	v_dual_mul_f32 v217, v174, v15 :: v_dual_fmac_f32 v24, v163, v2
	s_wait_loadcnt_dscnt 0x302
	v_mul_f32_e32 v232, v204, v157
	v_fma_f32 v3, v162, v2, -v3
	s_wait_loadcnt_dscnt 0x100
	v_mul_f32_e32 v235, v210, v23
	v_mul_f32_e32 v2, v167, v7
	v_fmac_f32_e32 v212, v165, v4
	v_fma_f32 v4, v164, v4, -v5
	v_add_f32_e32 v3, 0, v3
	v_dual_fmac_f32 v215, v171, v10 :: v_dual_fmac_f32 v216, v173, v12
	v_fma_f32 v2, v166, v6, -v2
	v_dual_mul_f32 v218, v176, v17 :: v_dual_mul_f32 v219, v178, v19
	s_delay_alu instid0(VALU_DEP_4) | instskip(SKIP_1) | instid1(VALU_DEP_3)
	v_add_f32_e32 v3, v3, v4
	v_add_f32_e32 v5, 0, v24
	v_dual_fmac_f32 v217, v175, v14 :: v_dual_fmac_f32 v218, v177, v16
	v_fmac_f32_e32 v214, v169, v8
	s_delay_alu instid0(VALU_DEP_4) | instskip(NEXT) | instid1(VALU_DEP_4)
	v_dual_add_f32 v2, v3, v2 :: v_dual_mul_f32 v7, v169, v9
	v_dual_fmac_f32 v213, v167, v6 :: v_dual_add_f32 v4, v5, v212
	v_dual_mul_f32 v5, v171, v11 :: v_dual_mul_f32 v220, v180, v21
	v_mul_f32_e32 v221, v182, v135
	s_delay_alu instid0(VALU_DEP_4) | instskip(NEXT) | instid1(VALU_DEP_4)
	v_fma_f32 v6, v168, v8, -v7
	v_add_f32_e32 v3, v4, v213
	v_mul_f32_e32 v4, v173, v13
	v_fma_f32 v5, v170, v10, -v5
	v_dual_mul_f32 v222, v184, v137 :: v_dual_mul_f32 v223, v186, v139
	v_add_f32_e32 v2, v2, v6
	v_mul_f32_e32 v6, v175, v15
	v_add_f32_e32 v3, v3, v214
	v_fma_f32 v4, v172, v12, -v4
	v_dual_fmac_f32 v221, v183, v134 :: v_dual_fmac_f32 v222, v185, v136
	s_delay_alu instid0(VALU_DEP_3) | instskip(SKIP_3) | instid1(VALU_DEP_4)
	v_dual_add_f32 v2, v2, v5 :: v_dual_add_f32 v3, v3, v215
	v_mul_f32_e32 v5, v177, v17
	v_fma_f32 v6, v174, v14, -v6
	v_dual_mul_f32 v224, v188, v141 :: v_dual_mul_f32 v225, v190, v143
	v_add_f32_e32 v2, v2, v4
	v_add_f32_e32 v3, v3, v216
	v_mul_f32_e32 v4, v179, v19
	v_fma_f32 v5, v176, v16, -v5
	v_fmac_f32_e32 v219, v179, v18
	s_delay_alu instid0(VALU_DEP_4) | instskip(SKIP_3) | instid1(VALU_DEP_4)
	v_dual_add_f32 v2, v2, v6 :: v_dual_add_f32 v3, v3, v217
	v_fmac_f32_e32 v220, v181, v20
	v_mul_f32_e32 v6, v181, v21
	v_fma_f32 v4, v178, v18, -v4
	v_dual_add_f32 v2, v2, v5 :: v_dual_add_f32 v3, v3, v218
	v_mul_f32_e32 v5, v183, v135
	s_delay_alu instid0(VALU_DEP_4) | instskip(SKIP_1) | instid1(VALU_DEP_4)
	v_fma_f32 v6, v180, v20, -v6
	v_dual_mul_f32 v226, v192, v145 :: v_dual_mul_f32 v227, v194, v147
	v_dual_add_f32 v2, v2, v4 :: v_dual_add_f32 v3, v3, v219
	v_mul_f32_e32 v4, v185, v137
	v_fma_f32 v5, v182, v134, -v5
	v_fmac_f32_e32 v223, v187, v138
	s_delay_alu instid0(VALU_DEP_4) | instskip(SKIP_3) | instid1(VALU_DEP_4)
	v_dual_add_f32 v2, v2, v6 :: v_dual_add_f32 v3, v3, v220
	v_mul_f32_e32 v6, v187, v139
	v_fma_f32 v4, v184, v136, -v4
	v_fmac_f32_e32 v224, v189, v140
	v_add_f32_e32 v2, v2, v5
	v_add_f32_e32 v3, v3, v221
	v_mul_f32_e32 v5, v189, v141
	v_fma_f32 v6, v186, v138, -v6
	s_delay_alu instid0(VALU_DEP_4) | instskip(NEXT) | instid1(VALU_DEP_4)
	v_dual_fmac_f32 v225, v191, v142 :: v_dual_add_f32 v2, v2, v4
	v_add_f32_e32 v3, v3, v222
	v_mul_f32_e32 v4, v191, v143
	v_fma_f32 v5, v188, v140, -v5
	v_dual_mul_f32 v228, v196, v149 :: v_dual_mul_f32 v229, v198, v151
	s_delay_alu instid0(VALU_DEP_4) | instskip(SKIP_3) | instid1(VALU_DEP_4)
	v_dual_add_f32 v2, v2, v6 :: v_dual_add_f32 v3, v3, v223
	v_mul_f32_e32 v6, v193, v145
	v_fma_f32 v4, v190, v142, -v4
	v_fmac_f32_e32 v226, v193, v144
	v_dual_add_f32 v2, v2, v5 :: v_dual_add_f32 v3, v3, v224
	v_mul_f32_e32 v5, v195, v147
	v_fma_f32 v6, v192, v144, -v6
	s_delay_alu instid0(VALU_DEP_3) | instskip(NEXT) | instid1(VALU_DEP_4)
	v_dual_fmac_f32 v227, v195, v146 :: v_dual_add_f32 v2, v2, v4
	v_add_f32_e32 v3, v3, v225
	v_mul_f32_e32 v4, v197, v149
	v_fma_f32 v5, v194, v146, -v5
	v_fmac_f32_e32 v228, v197, v148
	v_dual_mul_f32 v230, v200, v153 :: v_dual_mul_f32 v231, v202, v155
	v_add_f32_e32 v3, v3, v226
	v_add_f32_e32 v2, v2, v6
	v_mul_f32_e32 v6, v199, v151
	v_fma_f32 v4, v196, v148, -v4
	v_fmac_f32_e32 v229, v199, v150
	s_delay_alu instid0(VALU_DEP_4) | instskip(SKIP_3) | instid1(VALU_DEP_4)
	v_dual_add_f32 v3, v3, v227 :: v_dual_add_f32 v2, v2, v5
	v_mul_f32_e32 v5, v201, v153
	v_fma_f32 v6, v198, v150, -v6
	v_dual_fmac_f32 v230, v201, v152 :: v_dual_fmac_f32 v231, v203, v154
	v_add_f32_e32 v3, v3, v228
	v_add_f32_e32 v2, v2, v4
	v_mul_f32_e32 v4, v203, v155
	v_fma_f32 v5, v200, v152, -v5
	v_dual_mul_f32 v233, v206, v159 :: v_dual_mul_f32 v234, v208, v161
	s_delay_alu instid0(VALU_DEP_4) | instskip(SKIP_2) | instid1(VALU_DEP_4)
	v_dual_add_f32 v3, v3, v229 :: v_dual_add_f32 v2, v2, v6
	v_mul_f32_e32 v6, v205, v157
	v_fma_f32 v4, v202, v154, -v4
	v_fmac_f32_e32 v233, v207, v158
	s_delay_alu instid0(VALU_DEP_4) | instskip(SKIP_2) | instid1(VALU_DEP_3)
	v_dual_add_f32 v3, v3, v230 :: v_dual_add_f32 v2, v2, v5
	v_dual_mul_f32 v5, v207, v159 :: v_dual_fmac_f32 v232, v205, v156
	v_fma_f32 v6, v204, v156, -v6
	v_dual_add_f32 v3, v3, v231 :: v_dual_add_f32 v2, v2, v4
	v_mul_f32_e32 v4, v209, v161
	s_delay_alu instid0(VALU_DEP_4) | instskip(SKIP_1) | instid1(VALU_DEP_4)
	v_fma_f32 v5, v206, v158, -v5
	v_dual_fmac_f32 v234, v209, v160 :: v_dual_fmac_f32 v235, v211, v22
	v_dual_add_f32 v3, v3, v232 :: v_dual_add_f32 v2, v2, v6
	v_mul_f32_e32 v6, v211, v23
	v_fma_f32 v4, v208, v160, -v4
	s_delay_alu instid0(VALU_DEP_3) | instskip(NEXT) | instid1(VALU_DEP_4)
	v_add_f32_e32 v3, v3, v233
	v_add_f32_e32 v2, v2, v5
	s_delay_alu instid0(VALU_DEP_4) | instskip(NEXT) | instid1(VALU_DEP_2)
	v_fma_f32 v5, v210, v22, -v6
	v_dual_add_f32 v3, v3, v234 :: v_dual_add_f32 v2, v2, v4
	s_delay_alu instid0(VALU_DEP_1) | instskip(SKIP_1) | instid1(VALU_DEP_1)
	v_dual_add_f32 v3, v3, v235 :: v_dual_add_f32 v2, v2, v5
	s_wait_loadcnt 0x0
	v_dual_sub_f32 v3, v132, v3 :: v_dual_sub_f32 v2, v131, v2
	scratch_store_b64 off, v[2:3], off offset:216
	v_cmpx_lt_u32_e32 26, v0
	s_cbranch_execz .LBB52_279
; %bb.278:
	scratch_load_b64 v[3:4], off, off offset:208
	v_mov_b32_e32 v2, v1
	scratch_store_b64 off, v[1:2], off offset:208
	s_wait_loadcnt 0x0
	ds_store_b64 v133, v[3:4]
.LBB52_279:
	s_wait_alu 0xfffe
	s_or_b32 exec_lo, exec_lo, s0
	s_wait_storecnt_dscnt 0x0
	s_barrier_signal -1
	s_barrier_wait -1
	global_inv scope:SCOPE_SE
	s_clause 0xd
	scratch_load_b128 v[2:5], off, off offset:216
	scratch_load_b128 v[6:9], off, off offset:232
	;; [unrolled: 1-line block ×13, first 2 shown]
	scratch_load_b64 v[22:23], off, off offset:208
	ds_load_2addr_b64 v[166:169], v1 offset0:81 offset1:82
	ds_load_2addr_b64 v[170:173], v1 offset0:83 offset1:84
	;; [unrolled: 1-line block ×13, first 2 shown]
	s_mov_b32 s0, exec_lo
	s_wait_loadcnt_dscnt 0xd0c
	v_dual_mul_f32 v1, v166, v3 :: v_dual_mul_f32 v24, v168, v5
	v_mul_f32_e32 v3, v167, v3
	v_mul_f32_e32 v5, v169, v5
	s_wait_loadcnt_dscnt 0xc0b
	v_dual_mul_f32 v131, v170, v7 :: v_dual_mul_f32 v132, v172, v9
	v_fmac_f32_e32 v24, v169, v4
	v_fma_f32 v3, v166, v2, -v3
	s_wait_loadcnt_dscnt 0xb0a
	v_dual_mul_f32 v218, v174, v11 :: v_dual_mul_f32 v219, v176, v13
	v_dual_fmac_f32 v1, v167, v2 :: v_dual_fmac_f32 v132, v173, v8
	v_mul_f32_e32 v2, v171, v7
	v_fma_f32 v4, v168, v4, -v5
	s_delay_alu instid0(VALU_DEP_4) | instskip(NEXT) | instid1(VALU_DEP_4)
	v_dual_add_f32 v3, 0, v3 :: v_dual_fmac_f32 v218, v175, v10
	v_add_f32_e32 v1, 0, v1
	s_delay_alu instid0(VALU_DEP_4) | instskip(SKIP_4) | instid1(VALU_DEP_3)
	v_fma_f32 v2, v170, v6, -v2
	s_wait_loadcnt_dscnt 0xa09
	v_dual_mul_f32 v220, v178, v15 :: v_dual_mul_f32 v221, v180, v17
	v_add_f32_e32 v3, v3, v4
	v_dual_mul_f32 v5, v173, v9 :: v_dual_mul_f32 v4, v175, v11
	v_dual_add_f32 v1, v1, v24 :: v_dual_fmac_f32 v220, v179, v14
	s_delay_alu instid0(VALU_DEP_3) | instskip(NEXT) | instid1(VALU_DEP_3)
	v_add_f32_e32 v2, v3, v2
	v_fma_f32 v5, v172, v8, -v5
	v_fmac_f32_e32 v131, v171, v6
	v_fma_f32 v4, v174, v10, -v4
	s_wait_loadcnt_dscnt 0x908
	v_dual_mul_f32 v222, v182, v19 :: v_dual_mul_f32 v223, v184, v21
	s_delay_alu instid0(VALU_DEP_3) | instskip(NEXT) | instid1(VALU_DEP_2)
	v_dual_add_f32 v2, v2, v5 :: v_dual_add_f32 v1, v1, v131
	v_dual_mul_f32 v3, v177, v13 :: v_dual_fmac_f32 v222, v183, v18
	s_wait_loadcnt_dscnt 0x807
	v_dual_mul_f32 v224, v186, v135 :: v_dual_mul_f32 v225, v188, v137
	s_delay_alu instid0(VALU_DEP_3)
	v_add_f32_e32 v2, v2, v4
	v_mul_f32_e32 v4, v181, v17
	v_fma_f32 v3, v176, v12, -v3
	s_wait_loadcnt_dscnt 0x605
	v_dual_add_f32 v1, v1, v132 :: v_dual_mul_f32 v228, v194, v143
	v_mul_f32_e32 v229, v196, v145
	v_fma_f32 v4, v180, v16, -v4
	v_mul_f32_e32 v5, v179, v15
	s_delay_alu instid0(VALU_DEP_4) | instskip(SKIP_1) | instid1(VALU_DEP_3)
	v_dual_add_f32 v2, v2, v3 :: v_dual_add_f32 v1, v1, v218
	v_dual_mul_f32 v226, v190, v139 :: v_dual_mul_f32 v227, v192, v141
	v_fma_f32 v5, v178, v14, -v5
	v_dual_fmac_f32 v219, v177, v12 :: v_dual_fmac_f32 v224, v187, v134
	s_delay_alu instid0(VALU_DEP_3)
	v_fmac_f32_e32 v226, v191, v138
	s_wait_loadcnt_dscnt 0x302
	v_dual_mul_f32 v234, v206, v155 :: v_dual_mul_f32 v235, v208, v157
	v_add_f32_e32 v2, v2, v5
	v_dual_mul_f32 v230, v198, v147 :: v_dual_mul_f32 v231, v200, v149
	v_dual_fmac_f32 v225, v189, v136 :: v_dual_mul_f32 v232, v202, v151
	s_delay_alu instid0(VALU_DEP_3) | instskip(SKIP_2) | instid1(VALU_DEP_4)
	v_dual_mul_f32 v233, v204, v153 :: v_dual_add_f32 v2, v2, v4
	v_mul_f32_e32 v4, v187, v135
	v_add_f32_e32 v1, v1, v219
	v_dual_fmac_f32 v227, v193, v140 :: v_dual_fmac_f32 v232, v203, v150
	v_fmac_f32_e32 v228, v195, v142
	s_delay_alu instid0(VALU_DEP_4)
	v_fma_f32 v4, v186, v134, -v4
	v_mul_f32_e32 v5, v185, v21
	v_add_f32_e32 v1, v1, v220
	s_wait_loadcnt_dscnt 0x201
	v_dual_fmac_f32 v229, v197, v144 :: v_dual_mul_f32 v236, v210, v159
	v_mul_f32_e32 v237, v212, v161
	v_fma_f32 v5, v184, v20, -v5
	v_mul_f32_e32 v3, v183, v19
	s_wait_loadcnt_dscnt 0x100
	v_dual_mul_f32 v238, v214, v163 :: v_dual_mul_f32 v239, v216, v165
	v_fmac_f32_e32 v235, v209, v156
	v_fmac_f32_e32 v237, v213, v160
	v_fma_f32 v3, v182, v18, -v3
	v_fmac_f32_e32 v221, v181, v16
	v_dual_fmac_f32 v239, v217, v164 :: v_dual_fmac_f32 v234, v207, v154
	v_fmac_f32_e32 v230, v199, v146
	s_delay_alu instid0(VALU_DEP_4) | instskip(SKIP_2) | instid1(VALU_DEP_3)
	v_dual_add_f32 v2, v2, v3 :: v_dual_mul_f32 v3, v189, v137
	v_fmac_f32_e32 v236, v211, v158
	v_fmac_f32_e32 v238, v215, v162
	v_dual_add_f32 v2, v2, v5 :: v_dual_mul_f32 v5, v191, v139
	s_delay_alu instid0(VALU_DEP_4) | instskip(NEXT) | instid1(VALU_DEP_2)
	v_fma_f32 v3, v188, v136, -v3
	v_dual_add_f32 v2, v2, v4 :: v_dual_add_f32 v1, v1, v221
	v_mul_f32_e32 v4, v193, v141
	s_delay_alu instid0(VALU_DEP_4) | instskip(NEXT) | instid1(VALU_DEP_3)
	v_fma_f32 v5, v190, v138, -v5
	v_dual_add_f32 v2, v2, v3 :: v_dual_fmac_f32 v223, v185, v20
	s_delay_alu instid0(VALU_DEP_3) | instskip(NEXT) | instid1(VALU_DEP_2)
	v_fma_f32 v4, v192, v140, -v4
	v_add_f32_e32 v2, v2, v5
	v_mul_f32_e32 v5, v197, v145
	s_delay_alu instid0(VALU_DEP_2) | instskip(NEXT) | instid1(VALU_DEP_2)
	v_dual_add_f32 v1, v1, v222 :: v_dual_add_f32 v2, v2, v4
	v_fma_f32 v5, v196, v144, -v5
	v_mul_f32_e32 v3, v195, v143
	s_delay_alu instid0(VALU_DEP_3) | instskip(SKIP_1) | instid1(VALU_DEP_3)
	v_add_f32_e32 v1, v1, v223
	v_mul_f32_e32 v4, v199, v147
	v_fma_f32 v3, v194, v142, -v3
	s_delay_alu instid0(VALU_DEP_3) | instskip(NEXT) | instid1(VALU_DEP_3)
	v_add_f32_e32 v1, v1, v224
	v_fma_f32 v4, v198, v146, -v4
	s_delay_alu instid0(VALU_DEP_3) | instskip(NEXT) | instid1(VALU_DEP_1)
	v_add_f32_e32 v2, v2, v3
	v_add_f32_e32 v2, v2, v5
	s_delay_alu instid0(VALU_DEP_4) | instskip(NEXT) | instid1(VALU_DEP_2)
	v_add_f32_e32 v1, v1, v225
	v_dual_mul_f32 v5, v203, v151 :: v_dual_add_f32 v2, v2, v4
	v_mul_f32_e32 v4, v205, v153
	s_delay_alu instid0(VALU_DEP_2) | instskip(NEXT) | instid1(VALU_DEP_2)
	v_fma_f32 v5, v202, v150, -v5
	v_fma_f32 v4, v204, v152, -v4
	v_mul_f32_e32 v3, v201, v149
	s_delay_alu instid0(VALU_DEP_1) | instskip(NEXT) | instid1(VALU_DEP_1)
	v_fma_f32 v3, v200, v148, -v3
	v_dual_add_f32 v1, v1, v226 :: v_dual_add_f32 v2, v2, v3
	s_delay_alu instid0(VALU_DEP_1) | instskip(NEXT) | instid1(VALU_DEP_2)
	v_add_f32_e32 v1, v1, v227
	v_dual_mul_f32 v3, v207, v155 :: v_dual_add_f32 v2, v2, v5
	v_mul_f32_e32 v5, v209, v157
	s_delay_alu instid0(VALU_DEP_2) | instskip(NEXT) | instid1(VALU_DEP_3)
	v_fma_f32 v3, v206, v154, -v3
	v_add_f32_e32 v2, v2, v4
	v_dual_add_f32 v1, v1, v228 :: v_dual_mul_f32 v4, v211, v159
	s_delay_alu instid0(VALU_DEP_4) | instskip(NEXT) | instid1(VALU_DEP_2)
	v_fma_f32 v5, v208, v156, -v5
	v_dual_add_f32 v2, v2, v3 :: v_dual_add_f32 v1, v1, v229
	v_fmac_f32_e32 v231, v201, v148
	v_mul_f32_e32 v3, v213, v161
	v_fma_f32 v4, v210, v158, -v4
	s_delay_alu instid0(VALU_DEP_4) | instskip(SKIP_1) | instid1(VALU_DEP_4)
	v_dual_add_f32 v2, v2, v5 :: v_dual_add_f32 v1, v1, v230
	v_mul_f32_e32 v5, v215, v163
	v_fma_f32 v3, v212, v160, -v3
	s_delay_alu instid0(VALU_DEP_3) | instskip(SKIP_1) | instid1(VALU_DEP_4)
	v_dual_add_f32 v2, v2, v4 :: v_dual_add_f32 v1, v1, v231
	v_fmac_f32_e32 v233, v205, v152
	v_fma_f32 v5, v214, v162, -v5
	v_mul_f32_e32 v4, v217, v165
	s_delay_alu instid0(VALU_DEP_4) | instskip(NEXT) | instid1(VALU_DEP_2)
	v_dual_add_f32 v2, v2, v3 :: v_dual_add_f32 v1, v1, v232
	v_fma_f32 v3, v216, v164, -v4
	s_delay_alu instid0(VALU_DEP_2) | instskip(NEXT) | instid1(VALU_DEP_1)
	v_add_f32_e32 v2, v2, v5
	v_dual_add_f32 v1, v1, v233 :: v_dual_add_f32 v2, v2, v3
	s_delay_alu instid0(VALU_DEP_1) | instskip(NEXT) | instid1(VALU_DEP_1)
	v_add_f32_e32 v1, v1, v234
	v_add_f32_e32 v1, v1, v235
	s_delay_alu instid0(VALU_DEP_1) | instskip(NEXT) | instid1(VALU_DEP_1)
	v_add_f32_e32 v1, v1, v236
	v_add_f32_e32 v1, v1, v237
	;; [unrolled: 3-line block ×3, first 2 shown]
	s_wait_loadcnt 0x0
	s_delay_alu instid0(VALU_DEP_1)
	v_dual_sub_f32 v1, v22, v2 :: v_dual_sub_f32 v2, v23, v3
	scratch_store_b64 off, v[1:2], off offset:208
	v_cmpx_lt_u32_e32 25, v0
	s_cbranch_execz .LBB52_281
; %bb.280:
	scratch_load_b64 v[1:2], off, off offset:200
	v_mov_b32_e32 v3, 0
	s_delay_alu instid0(VALU_DEP_1)
	v_mov_b32_e32 v4, v3
	scratch_store_b64 off, v[3:4], off offset:200
	s_wait_loadcnt 0x0
	ds_store_b64 v133, v[1:2]
.LBB52_281:
	s_wait_alu 0xfffe
	s_or_b32 exec_lo, exec_lo, s0
	s_wait_storecnt_dscnt 0x0
	s_barrier_signal -1
	s_barrier_wait -1
	global_inv scope:SCOPE_SE
	s_clause 0xe
	scratch_load_b128 v[2:5], off, off offset:208
	scratch_load_b128 v[6:9], off, off offset:224
	;; [unrolled: 1-line block ×13, first 2 shown]
	scratch_load_b64 v[22:23], off, off offset:416
	scratch_load_b64 v[131:132], off, off offset:200
	v_mov_b32_e32 v1, 0
	ds_load_b128 v[166:169], v1 offset:640
	ds_load_b128 v[170:173], v1 offset:656
	;; [unrolled: 1-line block ×13, first 2 shown]
	ds_load_b64 v[218:219], v1 offset:848
	s_mov_b32 s0, exec_lo
	s_wait_loadcnt_dscnt 0xe0d
	v_mul_f32_e32 v24, v166, v3
	s_wait_loadcnt_dscnt 0xd0c
	v_dual_mul_f32 v220, v168, v5 :: v_dual_mul_f32 v221, v170, v7
	v_mul_f32_e32 v5, v169, v5
	s_wait_loadcnt_dscnt 0xc0b
	v_dual_mul_f32 v222, v172, v9 :: v_dual_mul_f32 v223, v174, v11
	s_wait_loadcnt_dscnt 0xb0a
	v_dual_mul_f32 v224, v176, v13 :: v_dual_mul_f32 v225, v178, v15
	v_mul_f32_e32 v3, v167, v3
	v_fmac_f32_e32 v24, v167, v2
	s_delay_alu instid0(VALU_DEP_3)
	v_dual_fmac_f32 v223, v175, v10 :: v_dual_fmac_f32 v224, v177, v12
	s_wait_loadcnt_dscnt 0x302
	v_mul_f32_e32 v242, v212, v161
	v_fma_f32 v3, v166, v2, -v3
	s_wait_loadcnt_dscnt 0x100
	v_mul_f32_e32 v245, v218, v23
	v_mul_f32_e32 v2, v171, v7
	v_fmac_f32_e32 v220, v169, v4
	v_fma_f32 v4, v168, v4, -v5
	v_dual_add_f32 v3, 0, v3 :: v_dual_mul_f32 v226, v180, v17
	v_mul_f32_e32 v227, v182, v19
	v_fma_f32 v2, v170, v6, -v2
	v_fmac_f32_e32 v225, v179, v14
	s_delay_alu instid0(VALU_DEP_4) | instskip(SKIP_2) | instid1(VALU_DEP_3)
	v_add_f32_e32 v3, v3, v4
	v_dual_add_f32 v5, 0, v24 :: v_dual_mul_f32 v228, v184, v21
	v_dual_mul_f32 v229, v186, v135 :: v_dual_fmac_f32 v222, v173, v8
	v_dual_add_f32 v2, v3, v2 :: v_dual_mul_f32 v7, v173, v9
	s_delay_alu instid0(VALU_DEP_3) | instskip(SKIP_1) | instid1(VALU_DEP_3)
	v_dual_fmac_f32 v221, v171, v6 :: v_dual_add_f32 v4, v5, v220
	v_dual_mul_f32 v5, v175, v11 :: v_dual_fmac_f32 v226, v181, v16
	v_fma_f32 v6, v172, v8, -v7
	v_dual_mul_f32 v230, v188, v137 :: v_dual_mul_f32 v231, v190, v139
	s_delay_alu instid0(VALU_DEP_4)
	v_add_f32_e32 v3, v4, v221
	v_mul_f32_e32 v4, v177, v13
	v_fma_f32 v5, v174, v10, -v5
	v_add_f32_e32 v2, v2, v6
	v_mul_f32_e32 v6, v179, v15
	v_add_f32_e32 v3, v3, v222
	v_fma_f32 v4, v176, v12, -v4
	v_dual_fmac_f32 v229, v187, v134 :: v_dual_fmac_f32 v230, v189, v136
	s_delay_alu instid0(VALU_DEP_3) | instskip(SKIP_3) | instid1(VALU_DEP_4)
	v_dual_add_f32 v2, v2, v5 :: v_dual_add_f32 v3, v3, v223
	v_mul_f32_e32 v5, v181, v17
	v_fma_f32 v6, v178, v14, -v6
	v_dual_mul_f32 v232, v192, v141 :: v_dual_mul_f32 v233, v194, v143
	v_add_f32_e32 v2, v2, v4
	v_add_f32_e32 v3, v3, v224
	v_mul_f32_e32 v4, v183, v19
	v_fma_f32 v5, v180, v16, -v5
	v_fmac_f32_e32 v227, v183, v18
	s_delay_alu instid0(VALU_DEP_4) | instskip(SKIP_3) | instid1(VALU_DEP_4)
	v_dual_add_f32 v2, v2, v6 :: v_dual_add_f32 v3, v3, v225
	v_fmac_f32_e32 v228, v185, v20
	v_mul_f32_e32 v6, v185, v21
	v_fma_f32 v4, v182, v18, -v4
	v_dual_add_f32 v2, v2, v5 :: v_dual_add_f32 v3, v3, v226
	v_mul_f32_e32 v5, v187, v135
	s_delay_alu instid0(VALU_DEP_4) | instskip(SKIP_1) | instid1(VALU_DEP_4)
	v_fma_f32 v6, v184, v20, -v6
	v_dual_mul_f32 v234, v196, v145 :: v_dual_mul_f32 v235, v198, v147
	v_dual_add_f32 v2, v2, v4 :: v_dual_add_f32 v3, v3, v227
	v_mul_f32_e32 v4, v189, v137
	v_fma_f32 v5, v186, v134, -v5
	v_fmac_f32_e32 v231, v191, v138
	s_delay_alu instid0(VALU_DEP_4) | instskip(SKIP_3) | instid1(VALU_DEP_4)
	v_dual_add_f32 v2, v2, v6 :: v_dual_add_f32 v3, v3, v228
	v_mul_f32_e32 v6, v191, v139
	v_fma_f32 v4, v188, v136, -v4
	v_fmac_f32_e32 v232, v193, v140
	v_add_f32_e32 v2, v2, v5
	v_add_f32_e32 v3, v3, v229
	v_mul_f32_e32 v5, v193, v141
	v_fma_f32 v6, v190, v138, -v6
	s_delay_alu instid0(VALU_DEP_4) | instskip(NEXT) | instid1(VALU_DEP_4)
	v_dual_fmac_f32 v233, v195, v142 :: v_dual_add_f32 v2, v2, v4
	v_add_f32_e32 v3, v3, v230
	v_mul_f32_e32 v4, v195, v143
	v_fma_f32 v5, v192, v140, -v5
	v_fmac_f32_e32 v234, v197, v144
	s_delay_alu instid0(VALU_DEP_4) | instskip(SKIP_3) | instid1(VALU_DEP_4)
	v_dual_add_f32 v2, v2, v6 :: v_dual_add_f32 v3, v3, v231
	v_mul_f32_e32 v6, v197, v145
	v_fma_f32 v4, v194, v142, -v4
	v_dual_mul_f32 v236, v200, v149 :: v_dual_mul_f32 v237, v202, v151
	v_dual_add_f32 v2, v2, v5 :: v_dual_add_f32 v3, v3, v232
	v_mul_f32_e32 v5, v199, v147
	v_fma_f32 v6, v196, v144, -v6
	s_delay_alu instid0(VALU_DEP_3) | instskip(NEXT) | instid1(VALU_DEP_4)
	v_dual_fmac_f32 v235, v199, v146 :: v_dual_add_f32 v2, v2, v4
	v_add_f32_e32 v3, v3, v233
	v_mul_f32_e32 v4, v201, v149
	v_fma_f32 v5, v198, v146, -v5
	v_fmac_f32_e32 v236, v201, v148
	v_dual_mul_f32 v238, v204, v153 :: v_dual_mul_f32 v239, v206, v155
	v_add_f32_e32 v3, v3, v234
	v_add_f32_e32 v2, v2, v6
	v_mul_f32_e32 v6, v203, v151
	v_fma_f32 v4, v200, v148, -v4
	v_fmac_f32_e32 v237, v203, v150
	s_delay_alu instid0(VALU_DEP_4) | instskip(NEXT) | instid1(VALU_DEP_4)
	v_dual_add_f32 v3, v3, v235 :: v_dual_add_f32 v2, v2, v5
	v_fma_f32 v6, v202, v150, -v6
	v_mul_f32_e32 v5, v205, v153
	v_dual_fmac_f32 v238, v205, v152 :: v_dual_fmac_f32 v239, v207, v154
	s_delay_alu instid0(VALU_DEP_4) | instskip(SKIP_3) | instid1(VALU_DEP_4)
	v_add_f32_e32 v3, v3, v236
	v_add_f32_e32 v2, v2, v4
	v_dual_mul_f32 v240, v208, v157 :: v_dual_mul_f32 v241, v210, v159
	v_mul_f32_e32 v4, v207, v155
	v_add_f32_e32 v3, v3, v237
	v_fma_f32 v5, v204, v152, -v5
	v_add_f32_e32 v2, v2, v6
	v_mul_f32_e32 v6, v209, v157
	v_fma_f32 v4, v206, v154, -v4
	v_dual_add_f32 v3, v3, v238 :: v_dual_fmac_f32 v240, v209, v156
	s_delay_alu instid0(VALU_DEP_4) | instskip(NEXT) | instid1(VALU_DEP_4)
	v_dual_add_f32 v2, v2, v5 :: v_dual_mul_f32 v5, v211, v159
	v_fma_f32 v6, v208, v156, -v6
	s_delay_alu instid0(VALU_DEP_3) | instskip(NEXT) | instid1(VALU_DEP_3)
	v_add_f32_e32 v3, v3, v239
	v_dual_fmac_f32 v241, v211, v158 :: v_dual_add_f32 v2, v2, v4
	v_dual_mul_f32 v4, v213, v161 :: v_dual_mul_f32 v243, v214, v163
	s_delay_alu instid0(VALU_DEP_3) | instskip(SKIP_1) | instid1(VALU_DEP_4)
	v_dual_mul_f32 v244, v216, v165 :: v_dual_add_f32 v3, v3, v240
	v_fma_f32 v5, v210, v158, -v5
	v_add_f32_e32 v2, v2, v6
	s_delay_alu instid0(VALU_DEP_4) | instskip(NEXT) | instid1(VALU_DEP_4)
	v_dual_fmac_f32 v242, v213, v160 :: v_dual_fmac_f32 v243, v215, v162
	v_add_f32_e32 v3, v3, v241
	v_mul_f32_e32 v6, v215, v163
	v_fma_f32 v4, v212, v160, -v4
	v_add_f32_e32 v2, v2, v5
	v_mul_f32_e32 v5, v217, v165
	v_add_f32_e32 v3, v3, v242
	v_fma_f32 v6, v214, v162, -v6
	v_dual_fmac_f32 v244, v217, v164 :: v_dual_fmac_f32 v245, v219, v22
	s_delay_alu instid0(VALU_DEP_3) | instskip(SKIP_2) | instid1(VALU_DEP_3)
	v_dual_add_f32 v2, v2, v4 :: v_dual_add_f32 v3, v3, v243
	v_mul_f32_e32 v4, v219, v23
	v_fma_f32 v5, v216, v164, -v5
	v_dual_add_f32 v2, v2, v6 :: v_dual_add_f32 v3, v3, v244
	s_delay_alu instid0(VALU_DEP_3) | instskip(NEXT) | instid1(VALU_DEP_2)
	v_fma_f32 v4, v218, v22, -v4
	v_add_f32_e32 v3, v3, v245
	s_wait_loadcnt 0x0
	s_delay_alu instid0(VALU_DEP_1) | instskip(NEXT) | instid1(VALU_DEP_1)
	v_dual_add_f32 v2, v2, v5 :: v_dual_sub_f32 v3, v132, v3
	v_add_f32_e32 v2, v2, v4
	s_delay_alu instid0(VALU_DEP_1)
	v_sub_f32_e32 v2, v131, v2
	scratch_store_b64 off, v[2:3], off offset:200
	v_cmpx_lt_u32_e32 24, v0
	s_cbranch_execz .LBB52_283
; %bb.282:
	scratch_load_b64 v[3:4], off, off offset:192
	v_mov_b32_e32 v2, v1
	scratch_store_b64 off, v[1:2], off offset:192
	s_wait_loadcnt 0x0
	ds_store_b64 v133, v[3:4]
.LBB52_283:
	s_wait_alu 0xfffe
	s_or_b32 exec_lo, exec_lo, s0
	s_wait_storecnt_dscnt 0x0
	s_barrier_signal -1
	s_barrier_wait -1
	global_inv scope:SCOPE_SE
	s_clause 0xe
	scratch_load_b128 v[2:5], off, off offset:200
	scratch_load_b128 v[6:9], off, off offset:216
	;; [unrolled: 1-line block ×14, first 2 shown]
	scratch_load_b64 v[22:23], off, off offset:192
	ds_load_2addr_b64 v[170:173], v1 offset0:79 offset1:80
	ds_load_2addr_b64 v[174:177], v1 offset0:81 offset1:82
	;; [unrolled: 1-line block ×14, first 2 shown]
	s_mov_b32 s0, exec_lo
	s_wait_loadcnt_dscnt 0xe0d
	v_dual_mul_f32 v1, v170, v3 :: v_dual_mul_f32 v24, v172, v5
	v_mul_f32_e32 v3, v171, v3
	v_mul_f32_e32 v5, v173, v5
	s_wait_loadcnt_dscnt 0xd0c
	v_dual_mul_f32 v131, v174, v7 :: v_dual_mul_f32 v132, v176, v9
	v_fmac_f32_e32 v24, v173, v4
	v_fma_f32 v3, v170, v2, -v3
	s_wait_loadcnt_dscnt 0xc0b
	v_dual_mul_f32 v226, v178, v11 :: v_dual_mul_f32 v227, v180, v13
	v_dual_fmac_f32 v1, v171, v2 :: v_dual_fmac_f32 v132, v177, v8
	v_mul_f32_e32 v2, v175, v7
	v_fma_f32 v4, v172, v4, -v5
	s_delay_alu instid0(VALU_DEP_4) | instskip(NEXT) | instid1(VALU_DEP_4)
	v_dual_add_f32 v3, 0, v3 :: v_dual_fmac_f32 v226, v179, v10
	v_add_f32_e32 v1, 0, v1
	s_delay_alu instid0(VALU_DEP_4) | instskip(SKIP_4) | instid1(VALU_DEP_3)
	v_fma_f32 v2, v174, v6, -v2
	s_wait_loadcnt_dscnt 0xb0a
	v_dual_mul_f32 v228, v182, v15 :: v_dual_mul_f32 v229, v184, v17
	v_add_f32_e32 v3, v3, v4
	v_dual_mul_f32 v5, v177, v9 :: v_dual_mul_f32 v4, v179, v11
	v_dual_add_f32 v1, v1, v24 :: v_dual_fmac_f32 v228, v183, v14
	s_delay_alu instid0(VALU_DEP_3) | instskip(NEXT) | instid1(VALU_DEP_3)
	v_add_f32_e32 v2, v3, v2
	v_fma_f32 v5, v176, v8, -v5
	v_fmac_f32_e32 v131, v175, v6
	v_fma_f32 v4, v178, v10, -v4
	s_wait_loadcnt_dscnt 0xa09
	v_dual_mul_f32 v230, v186, v19 :: v_dual_mul_f32 v231, v188, v21
	s_delay_alu instid0(VALU_DEP_3) | instskip(NEXT) | instid1(VALU_DEP_2)
	v_dual_add_f32 v2, v2, v5 :: v_dual_add_f32 v1, v1, v131
	v_dual_mul_f32 v3, v181, v13 :: v_dual_fmac_f32 v230, v187, v18
	s_wait_loadcnt_dscnt 0x908
	v_dual_mul_f32 v232, v190, v135 :: v_dual_mul_f32 v233, v192, v137
	s_delay_alu instid0(VALU_DEP_3)
	v_add_f32_e32 v2, v2, v4
	v_mul_f32_e32 v4, v185, v17
	v_fma_f32 v3, v180, v12, -v3
	s_wait_loadcnt_dscnt 0x706
	v_dual_add_f32 v1, v1, v132 :: v_dual_mul_f32 v236, v198, v143
	v_mul_f32_e32 v237, v200, v145
	v_fma_f32 v4, v184, v16, -v4
	v_mul_f32_e32 v5, v183, v15
	s_delay_alu instid0(VALU_DEP_4) | instskip(SKIP_1) | instid1(VALU_DEP_3)
	v_dual_add_f32 v2, v2, v3 :: v_dual_add_f32 v1, v1, v226
	v_dual_mul_f32 v234, v194, v139 :: v_dual_mul_f32 v235, v196, v141
	v_fma_f32 v5, v182, v14, -v5
	v_dual_fmac_f32 v227, v181, v12 :: v_dual_fmac_f32 v232, v191, v134
	s_delay_alu instid0(VALU_DEP_3)
	v_fmac_f32_e32 v234, v195, v138
	s_wait_loadcnt_dscnt 0x403
	v_dual_mul_f32 v242, v210, v155 :: v_dual_mul_f32 v243, v212, v157
	v_add_f32_e32 v2, v2, v5
	v_dual_mul_f32 v238, v202, v147 :: v_dual_mul_f32 v239, v204, v149
	v_dual_fmac_f32 v233, v193, v136 :: v_dual_mul_f32 v240, v206, v151
	s_delay_alu instid0(VALU_DEP_3) | instskip(SKIP_2) | instid1(VALU_DEP_4)
	v_dual_mul_f32 v241, v208, v153 :: v_dual_add_f32 v2, v2, v4
	v_mul_f32_e32 v4, v191, v135
	v_add_f32_e32 v1, v1, v227
	v_dual_fmac_f32 v235, v197, v140 :: v_dual_fmac_f32 v240, v207, v150
	v_fmac_f32_e32 v236, v199, v142
	s_delay_alu instid0(VALU_DEP_4)
	v_fma_f32 v4, v190, v134, -v4
	v_mul_f32_e32 v5, v189, v21
	s_wait_loadcnt_dscnt 0x100
	v_dual_add_f32 v1, v1, v228 :: v_dual_mul_f32 v248, v222, v167
	v_mul_f32_e32 v249, v224, v169
	v_fmac_f32_e32 v237, v201, v144
	v_fma_f32 v5, v188, v20, -v5
	v_mul_f32_e32 v3, v187, v19
	v_dual_mul_f32 v244, v214, v159 :: v_dual_mul_f32 v245, v216, v161
	v_dual_mul_f32 v246, v218, v163 :: v_dual_mul_f32 v247, v220, v165
	s_delay_alu instid0(VALU_DEP_3) | instskip(SKIP_1) | instid1(VALU_DEP_4)
	v_fma_f32 v3, v186, v18, -v3
	v_fmac_f32_e32 v229, v185, v16
	v_fmac_f32_e32 v245, v217, v160
	;; [unrolled: 1-line block ×3, first 2 shown]
	s_delay_alu instid0(VALU_DEP_4) | instskip(SKIP_3) | instid1(VALU_DEP_4)
	v_dual_fmac_f32 v247, v221, v164 :: v_dual_add_f32 v2, v2, v3
	v_dual_mul_f32 v3, v193, v137 :: v_dual_fmac_f32 v242, v211, v154
	v_fmac_f32_e32 v238, v203, v146
	v_fmac_f32_e32 v248, v223, v166
	v_dual_add_f32 v2, v2, v5 :: v_dual_mul_f32 v5, v195, v139
	s_delay_alu instid0(VALU_DEP_4) | instskip(SKIP_2) | instid1(VALU_DEP_4)
	v_fma_f32 v3, v192, v136, -v3
	v_fmac_f32_e32 v244, v215, v158
	v_fmac_f32_e32 v246, v219, v162
	v_dual_add_f32 v2, v2, v4 :: v_dual_add_f32 v1, v1, v229
	v_mul_f32_e32 v4, v197, v141
	v_fma_f32 v5, v194, v138, -v5
	s_delay_alu instid0(VALU_DEP_3) | instskip(NEXT) | instid1(VALU_DEP_3)
	v_dual_add_f32 v2, v2, v3 :: v_dual_fmac_f32 v231, v189, v20
	v_fma_f32 v4, v196, v140, -v4
	s_delay_alu instid0(VALU_DEP_2) | instskip(SKIP_1) | instid1(VALU_DEP_2)
	v_add_f32_e32 v2, v2, v5
	v_mul_f32_e32 v5, v201, v145
	v_dual_add_f32 v1, v1, v230 :: v_dual_add_f32 v2, v2, v4
	s_delay_alu instid0(VALU_DEP_2) | instskip(SKIP_1) | instid1(VALU_DEP_3)
	v_fma_f32 v5, v200, v144, -v5
	v_mul_f32_e32 v3, v199, v143
	v_add_f32_e32 v1, v1, v231
	v_mul_f32_e32 v4, v203, v147
	s_delay_alu instid0(VALU_DEP_3) | instskip(NEXT) | instid1(VALU_DEP_3)
	v_fma_f32 v3, v198, v142, -v3
	v_add_f32_e32 v1, v1, v232
	s_delay_alu instid0(VALU_DEP_3) | instskip(NEXT) | instid1(VALU_DEP_3)
	v_fma_f32 v4, v202, v146, -v4
	v_add_f32_e32 v2, v2, v3
	s_delay_alu instid0(VALU_DEP_1) | instskip(NEXT) | instid1(VALU_DEP_4)
	v_add_f32_e32 v2, v2, v5
	v_add_f32_e32 v1, v1, v233
	s_delay_alu instid0(VALU_DEP_2) | instskip(SKIP_1) | instid1(VALU_DEP_2)
	v_dual_mul_f32 v5, v207, v151 :: v_dual_add_f32 v2, v2, v4
	v_mul_f32_e32 v4, v209, v153
	v_fma_f32 v5, v206, v150, -v5
	s_delay_alu instid0(VALU_DEP_2) | instskip(SKIP_1) | instid1(VALU_DEP_1)
	v_fma_f32 v4, v208, v152, -v4
	v_mul_f32_e32 v3, v205, v149
	v_fma_f32 v3, v204, v148, -v3
	s_delay_alu instid0(VALU_DEP_1) | instskip(NEXT) | instid1(VALU_DEP_1)
	v_dual_add_f32 v1, v1, v234 :: v_dual_add_f32 v2, v2, v3
	v_add_f32_e32 v1, v1, v235
	s_delay_alu instid0(VALU_DEP_2) | instskip(SKIP_1) | instid1(VALU_DEP_2)
	v_dual_mul_f32 v3, v211, v155 :: v_dual_add_f32 v2, v2, v5
	v_mul_f32_e32 v5, v213, v157
	v_fma_f32 v3, v210, v154, -v3
	s_delay_alu instid0(VALU_DEP_3) | instskip(SKIP_1) | instid1(VALU_DEP_4)
	v_add_f32_e32 v2, v2, v4
	v_dual_add_f32 v1, v1, v236 :: v_dual_mul_f32 v4, v215, v159
	v_fma_f32 v5, v212, v156, -v5
	s_delay_alu instid0(VALU_DEP_2) | instskip(SKIP_3) | instid1(VALU_DEP_4)
	v_dual_add_f32 v2, v2, v3 :: v_dual_add_f32 v1, v1, v237
	v_fmac_f32_e32 v239, v205, v148
	v_mul_f32_e32 v3, v217, v161
	v_fma_f32 v4, v214, v158, -v4
	v_dual_add_f32 v2, v2, v5 :: v_dual_add_f32 v1, v1, v238
	v_mul_f32_e32 v5, v219, v163
	s_delay_alu instid0(VALU_DEP_4) | instskip(NEXT) | instid1(VALU_DEP_3)
	v_fma_f32 v3, v216, v160, -v3
	v_dual_add_f32 v2, v2, v4 :: v_dual_add_f32 v1, v1, v239
	v_fmac_f32_e32 v241, v209, v152
	v_mul_f32_e32 v4, v221, v165
	v_fma_f32 v5, v218, v162, -v5
	s_delay_alu instid0(VALU_DEP_4) | instskip(SKIP_1) | instid1(VALU_DEP_4)
	v_dual_add_f32 v2, v2, v3 :: v_dual_add_f32 v1, v1, v240
	v_mul_f32_e32 v3, v223, v167
	v_fma_f32 v4, v220, v164, -v4
	s_delay_alu instid0(VALU_DEP_3) | instskip(NEXT) | instid1(VALU_DEP_4)
	v_add_f32_e32 v2, v2, v5
	v_add_f32_e32 v1, v1, v241
	v_mul_f32_e32 v5, v225, v169
	v_fma_f32 v3, v222, v166, -v3
	s_delay_alu instid0(VALU_DEP_4) | instskip(SKIP_1) | instid1(VALU_DEP_4)
	v_add_f32_e32 v2, v2, v4
	v_fmac_f32_e32 v243, v213, v156
	v_fma_f32 v4, v224, v168, -v5
	s_delay_alu instid0(VALU_DEP_3) | instskip(NEXT) | instid1(VALU_DEP_1)
	v_dual_add_f32 v2, v2, v3 :: v_dual_add_f32 v1, v1, v242
	v_dual_add_f32 v2, v2, v4 :: v_dual_add_f32 v1, v1, v243
	s_delay_alu instid0(VALU_DEP_1) | instskip(NEXT) | instid1(VALU_DEP_1)
	v_add_f32_e32 v1, v1, v244
	v_add_f32_e32 v1, v1, v245
	s_delay_alu instid0(VALU_DEP_1) | instskip(NEXT) | instid1(VALU_DEP_1)
	v_add_f32_e32 v1, v1, v246
	v_add_f32_e32 v1, v1, v247
	;; [unrolled: 3-line block ×3, first 2 shown]
	s_wait_loadcnt 0x0
	s_delay_alu instid0(VALU_DEP_1)
	v_dual_sub_f32 v1, v22, v2 :: v_dual_sub_f32 v2, v23, v3
	scratch_store_b64 off, v[1:2], off offset:192
	v_cmpx_lt_u32_e32 23, v0
	s_cbranch_execz .LBB52_285
; %bb.284:
	scratch_load_b64 v[1:2], off, off offset:184
	v_mov_b32_e32 v3, 0
	s_delay_alu instid0(VALU_DEP_1)
	v_mov_b32_e32 v4, v3
	scratch_store_b64 off, v[3:4], off offset:184
	s_wait_loadcnt 0x0
	ds_store_b64 v133, v[1:2]
.LBB52_285:
	s_wait_alu 0xfffe
	s_or_b32 exec_lo, exec_lo, s0
	s_wait_storecnt_dscnt 0x0
	s_barrier_signal -1
	s_barrier_wait -1
	global_inv scope:SCOPE_SE
	s_clause 0x4
	scratch_load_b128 v[2:5], off, off offset:192
	scratch_load_b128 v[6:9], off, off offset:208
	;; [unrolled: 1-line block ×5, first 2 shown]
	v_mov_b32_e32 v1, 0
	ds_load_b128 v[134:137], v1 offset:624
	ds_load_b128 v[138:141], v1 offset:640
	ds_load_b128 v[142:145], v1 offset:656
	scratch_load_b64 v[22:23], off, off offset:184
	s_mov_b32 s0, exec_lo
	s_wait_loadcnt_dscnt 0x502
	v_mul_f32_e32 v24, v135, v3
	v_dual_mul_f32 v131, v134, v3 :: v_dual_mul_f32 v132, v136, v5
	v_mul_f32_e32 v3, v137, v5
	s_wait_loadcnt_dscnt 0x300
	v_mul_f32_e32 v146, v144, v13
	v_fma_f32 v24, v134, v2, -v24
	v_dual_fmac_f32 v131, v135, v2 :: v_dual_fmac_f32 v132, v137, v4
	v_fma_f32 v134, v136, v4, -v3
	ds_load_b128 v[2:5], v1 offset:672
	v_dual_mul_f32 v135, v138, v7 :: v_dual_mul_f32 v136, v140, v9
	v_mul_f32_e32 v7, v139, v7
	v_mul_f32_e32 v9, v141, v9
	;; [unrolled: 1-line block ×3, first 2 shown]
	v_dual_mul_f32 v11, v143, v11 :: v_dual_fmac_f32 v146, v145, v12
	v_mul_f32_e32 v13, v145, v13
	v_fmac_f32_e32 v135, v139, v6
	v_fma_f32 v138, v138, v6, -v7
	v_fmac_f32_e32 v136, v141, v8
	v_fma_f32 v139, v140, v8, -v9
	scratch_load_b128 v[6:9], off, off offset:272
	v_fmac_f32_e32 v137, v143, v10
	v_fma_f32 v140, v142, v10, -v11
	v_fma_f32 v141, v144, v12, -v13
	ds_load_b128 v[10:13], v1 offset:688
	s_wait_loadcnt_dscnt 0x301
	v_mul_f32_e32 v142, v2, v15
	v_mul_f32_e32 v15, v3, v15
	;; [unrolled: 1-line block ×3, first 2 shown]
	s_delay_alu instid0(VALU_DEP_3) | instskip(NEXT) | instid1(VALU_DEP_3)
	v_dual_mul_f32 v17, v5, v17 :: v_dual_fmac_f32 v142, v3, v14
	v_fma_f32 v14, v2, v14, -v15
	s_delay_alu instid0(VALU_DEP_3) | instskip(NEXT) | instid1(VALU_DEP_3)
	v_fmac_f32_e32 v143, v5, v16
	v_fma_f32 v15, v4, v16, -v17
	ds_load_b128 v[2:5], v1 offset:704
	s_wait_loadcnt_dscnt 0x201
	v_mul_f32_e32 v16, v10, v19
	v_mul_f32_e32 v17, v11, v19
	;; [unrolled: 1-line block ×3, first 2 shown]
	s_delay_alu instid0(VALU_DEP_3) | instskip(NEXT) | instid1(VALU_DEP_3)
	v_dual_mul_f32 v21, v13, v21 :: v_dual_fmac_f32 v16, v11, v18
	v_fma_f32 v17, v10, v18, -v17
	s_delay_alu instid0(VALU_DEP_3) | instskip(NEXT) | instid1(VALU_DEP_3)
	v_fmac_f32_e32 v19, v13, v20
	v_fma_f32 v18, v12, v20, -v21
	scratch_load_b128 v[10:13], off, off offset:288
	s_wait_loadcnt_dscnt 0x100
	v_mul_f32_e32 v20, v2, v7
	v_mul_f32_e32 v7, v3, v7
	;; [unrolled: 1-line block ×3, first 2 shown]
	s_delay_alu instid0(VALU_DEP_3) | instskip(NEXT) | instid1(VALU_DEP_3)
	v_dual_mul_f32 v9, v5, v9 :: v_dual_fmac_f32 v20, v3, v6
	v_fma_f32 v144, v2, v6, -v7
	s_delay_alu instid0(VALU_DEP_3) | instskip(NEXT) | instid1(VALU_DEP_3)
	v_fmac_f32_e32 v21, v5, v8
	v_fma_f32 v145, v4, v8, -v9
	ds_load_b128 v[2:5], v1 offset:720
	ds_load_b128 v[6:9], v1 offset:736
	s_wait_loadcnt_dscnt 0x1
	v_mul_f32_e32 v147, v2, v11
	v_dual_mul_f32 v11, v3, v11 :: v_dual_mul_f32 v148, v4, v13
	s_delay_alu instid0(VALU_DEP_2) | instskip(NEXT) | instid1(VALU_DEP_2)
	v_fmac_f32_e32 v147, v3, v10
	v_fma_f32 v149, v2, v10, -v11
	v_mul_f32_e32 v2, v5, v13
	s_delay_alu instid0(VALU_DEP_4) | instskip(NEXT) | instid1(VALU_DEP_2)
	v_fmac_f32_e32 v148, v5, v12
	v_fma_f32 v150, v4, v12, -v2
	s_clause 0x1
	scratch_load_b128 v[2:5], off, off offset:304
	scratch_load_b128 v[10:13], off, off offset:320
	s_wait_loadcnt_dscnt 0x100
	v_mul_f32_e32 v151, v6, v3
	v_mul_f32_e32 v3, v7, v3
	v_mul_f32_e32 v153, v8, v5
	s_delay_alu instid0(VALU_DEP_3) | instskip(NEXT) | instid1(VALU_DEP_3)
	v_fmac_f32_e32 v151, v7, v2
	v_fma_f32 v152, v6, v2, -v3
	v_mul_f32_e32 v2, v9, v5
	s_delay_alu instid0(VALU_DEP_4) | instskip(NEXT) | instid1(VALU_DEP_2)
	v_fmac_f32_e32 v153, v9, v4
	v_fma_f32 v154, v8, v4, -v2
	ds_load_b128 v[2:5], v1 offset:752
	ds_load_b128 v[6:9], v1 offset:768
	s_wait_loadcnt_dscnt 0x1
	v_mul_f32_e32 v155, v2, v11
	v_mul_f32_e32 v157, v4, v13
	s_delay_alu instid0(VALU_DEP_2) | instskip(SKIP_1) | instid1(VALU_DEP_3)
	v_fmac_f32_e32 v155, v3, v10
	v_mul_f32_e32 v3, v3, v11
	v_fmac_f32_e32 v157, v5, v12
	s_delay_alu instid0(VALU_DEP_2) | instskip(SKIP_1) | instid1(VALU_DEP_1)
	v_fma_f32 v156, v2, v10, -v3
	v_mul_f32_e32 v2, v5, v13
	v_fma_f32 v158, v4, v12, -v2
	s_clause 0x1
	scratch_load_b128 v[2:5], off, off offset:336
	scratch_load_b128 v[10:13], off, off offset:352
	s_wait_loadcnt_dscnt 0x100
	v_mul_f32_e32 v159, v6, v3
	v_mul_f32_e32 v3, v7, v3
	s_delay_alu instid0(VALU_DEP_2) | instskip(NEXT) | instid1(VALU_DEP_2)
	v_fmac_f32_e32 v159, v7, v2
	v_fma_f32 v160, v6, v2, -v3
	v_dual_mul_f32 v2, v9, v5 :: v_dual_add_f32 v3, 0, v131
	s_delay_alu instid0(VALU_DEP_1) | instskip(SKIP_1) | instid1(VALU_DEP_3)
	v_fma_f32 v162, v8, v4, -v2
	v_add_f32_e32 v2, 0, v24
	v_add_f32_e32 v3, v3, v132
	scratch_load_b64 v[131:132], off, off offset:416
	v_dual_add_f32 v2, v2, v134 :: v_dual_add_f32 v3, v3, v135
	s_delay_alu instid0(VALU_DEP_1) | instskip(NEXT) | instid1(VALU_DEP_1)
	v_dual_add_f32 v2, v2, v138 :: v_dual_add_f32 v3, v3, v136
	v_add_f32_e32 v2, v2, v139
	s_delay_alu instid0(VALU_DEP_2) | instskip(NEXT) | instid1(VALU_DEP_2)
	v_add_f32_e32 v6, v3, v137
	v_add_f32_e32 v2, v2, v140
	s_delay_alu instid0(VALU_DEP_2) | instskip(NEXT) | instid1(VALU_DEP_2)
	v_add_f32_e32 v6, v6, v146
	v_add_f32_e32 v7, v2, v141
	s_delay_alu instid0(VALU_DEP_2) | instskip(NEXT) | instid1(VALU_DEP_2)
	v_add_f32_e32 v6, v6, v142
	v_add_f32_e32 v7, v7, v14
	s_delay_alu instid0(VALU_DEP_1) | instskip(NEXT) | instid1(VALU_DEP_3)
	v_add_f32_e32 v14, v7, v15
	v_add_f32_e32 v15, v6, v143
	s_delay_alu instid0(VALU_DEP_1) | instskip(NEXT) | instid1(VALU_DEP_1)
	v_dual_add_f32 v14, v14, v17 :: v_dual_add_f32 v15, v15, v16
	v_dual_add_f32 v14, v14, v18 :: v_dual_add_f32 v15, v15, v19
	s_delay_alu instid0(VALU_DEP_1) | instskip(NEXT) | instid1(VALU_DEP_1)
	v_add_f32_e32 v14, v14, v144
	v_dual_add_f32 v18, v15, v20 :: v_dual_add_f32 v19, v14, v145
	scratch_load_b128 v[14:17], off, off offset:400
	v_add_f32_e32 v18, v18, v21
	s_delay_alu instid0(VALU_DEP_1) | instskip(NEXT) | instid1(VALU_DEP_1)
	v_dual_add_f32 v19, v19, v149 :: v_dual_add_f32 v18, v18, v147
	v_dual_add_f32 v19, v19, v150 :: v_dual_add_f32 v18, v18, v148
	v_mul_f32_e32 v161, v8, v5
	s_delay_alu instid0(VALU_DEP_2) | instskip(NEXT) | instid1(VALU_DEP_2)
	v_dual_add_f32 v19, v19, v152 :: v_dual_add_f32 v18, v18, v151
	v_fmac_f32_e32 v161, v9, v4
	ds_load_b128 v[2:5], v1 offset:784
	ds_load_b128 v[6:9], v1 offset:800
	v_add_f32_e32 v19, v19, v154
	s_delay_alu instid0(VALU_DEP_1)
	v_add_f32_e32 v138, v19, v156
	s_wait_loadcnt_dscnt 0x201
	v_mul_f32_e32 v24, v2, v11
	v_mul_f32_e32 v140, v4, v13
	v_add_f32_e32 v134, v18, v153
	ds_load_b128 v[18:21], v1 offset:816
	v_fmac_f32_e32 v24, v3, v10
	v_dual_fmac_f32 v140, v5, v12 :: v_dual_add_f32 v139, v134, v155
	ds_load_b128 v[134:137], v1 offset:832
	v_dual_add_f32 v143, v138, v158 :: v_dual_add_f32 v144, v139, v157
	ds_load_b64 v[138:139], v1 offset:848
	v_dual_mul_f32 v13, v5, v13 :: v_dual_add_f32 v144, v144, v159
	s_delay_alu instid0(VALU_DEP_1) | instskip(NEXT) | instid1(VALU_DEP_1)
	v_add_f32_e32 v144, v144, v161
	v_dual_add_f32 v24, v144, v24 :: v_dual_mul_f32 v11, v3, v11
	s_delay_alu instid0(VALU_DEP_1) | instskip(NEXT) | instid1(VALU_DEP_2)
	v_add_f32_e32 v24, v24, v140
	v_fma_f32 v141, v2, v10, -v11
	s_wait_loadcnt_dscnt 0x100
	v_mul_f32_e32 v140, v138, v132
	v_fma_f32 v142, v4, v12, -v13
	s_clause 0x1
	scratch_load_b128 v[2:5], off, off offset:368
	scratch_load_b128 v[10:13], off, off offset:384
	v_fmac_f32_e32 v140, v139, v131
	s_wait_loadcnt 0x2
	v_mul_f32_e32 v147, v134, v15
	s_delay_alu instid0(VALU_DEP_1)
	v_fmac_f32_e32 v147, v135, v14
	s_wait_loadcnt 0x1
	v_mul_f32_e32 v145, v6, v3
	v_dual_mul_f32 v3, v7, v3 :: v_dual_mul_f32 v146, v8, v5
	v_mul_f32_e32 v5, v9, v5
	s_wait_loadcnt 0x0
	s_delay_alu instid0(VALU_DEP_3) | instskip(NEXT) | instid1(VALU_DEP_3)
	v_dual_mul_f32 v144, v20, v13 :: v_dual_fmac_f32 v145, v7, v2
	v_fma_f32 v3, v6, v2, -v3
	v_mul_f32_e32 v6, v21, v13
	v_fmac_f32_e32 v146, v9, v4
	v_fma_f32 v2, v8, v4, -v5
	v_mul_f32_e32 v4, v19, v11
	v_fmac_f32_e32 v144, v21, v12
	v_fma_f32 v6, v20, v12, -v6
	v_add_f32_e32 v143, v143, v160
	v_add_f32_e32 v5, v24, v145
	v_fma_f32 v4, v18, v10, -v4
	s_delay_alu instid0(VALU_DEP_3) | instskip(NEXT) | instid1(VALU_DEP_1)
	v_add_f32_e32 v143, v143, v162
	v_add_f32_e32 v141, v143, v141
	v_mul_f32_e32 v143, v18, v11
	s_delay_alu instid0(VALU_DEP_2) | instskip(NEXT) | instid1(VALU_DEP_2)
	v_add_f32_e32 v141, v141, v142
	v_dual_fmac_f32 v143, v19, v10 :: v_dual_mul_f32 v142, v136, v17
	s_delay_alu instid0(VALU_DEP_2) | instskip(NEXT) | instid1(VALU_DEP_2)
	v_add_f32_e32 v3, v141, v3
	v_fmac_f32_e32 v142, v137, v16
	s_delay_alu instid0(VALU_DEP_2) | instskip(SKIP_1) | instid1(VALU_DEP_2)
	v_add_f32_e32 v2, v3, v2
	v_add_f32_e32 v3, v5, v146
	v_dual_mul_f32 v5, v135, v15 :: v_dual_add_f32 v2, v2, v4
	s_delay_alu instid0(VALU_DEP_2) | instskip(NEXT) | instid1(VALU_DEP_2)
	v_dual_add_f32 v3, v3, v143 :: v_dual_mul_f32 v4, v137, v17
	v_fma_f32 v5, v134, v14, -v5
	s_delay_alu instid0(VALU_DEP_2) | instskip(SKIP_1) | instid1(VALU_DEP_4)
	v_dual_add_f32 v2, v2, v6 :: v_dual_add_f32 v3, v3, v144
	v_mul_f32_e32 v6, v139, v132
	v_fma_f32 v4, v136, v16, -v4
	s_delay_alu instid0(VALU_DEP_3) | instskip(NEXT) | instid1(VALU_DEP_3)
	v_dual_add_f32 v2, v2, v5 :: v_dual_add_f32 v3, v3, v147
	v_fma_f32 v5, v138, v131, -v6
	s_delay_alu instid0(VALU_DEP_2) | instskip(NEXT) | instid1(VALU_DEP_1)
	v_dual_add_f32 v2, v2, v4 :: v_dual_add_f32 v3, v3, v142
	v_dual_add_f32 v2, v2, v5 :: v_dual_add_f32 v3, v3, v140
	s_delay_alu instid0(VALU_DEP_1)
	v_dual_sub_f32 v2, v22, v2 :: v_dual_sub_f32 v3, v23, v3
	scratch_store_b64 off, v[2:3], off offset:184
	v_cmpx_lt_u32_e32 22, v0
	s_cbranch_execz .LBB52_287
; %bb.286:
	scratch_load_b64 v[3:4], off, off offset:176
	v_mov_b32_e32 v2, v1
	scratch_store_b64 off, v[1:2], off offset:176
	s_wait_loadcnt 0x0
	ds_store_b64 v133, v[3:4]
.LBB52_287:
	s_wait_alu 0xfffe
	s_or_b32 exec_lo, exec_lo, s0
	s_wait_storecnt_dscnt 0x0
	s_barrier_signal -1
	s_barrier_wait -1
	global_inv scope:SCOPE_SE
	s_clause 0x4
	scratch_load_b128 v[2:5], off, off offset:184
	scratch_load_b128 v[6:9], off, off offset:200
	;; [unrolled: 1-line block ×5, first 2 shown]
	ds_load_2addr_b64 v[134:137], v1 offset0:77 offset1:78
	ds_load_2addr_b64 v[138:141], v1 offset0:79 offset1:80
	;; [unrolled: 1-line block ×3, first 2 shown]
	scratch_load_b64 v[22:23], off, off offset:176
	s_mov_b32 s0, exec_lo
	s_wait_loadcnt_dscnt 0x502
	v_mul_f32_e32 v24, v135, v3
	v_dual_mul_f32 v131, v134, v3 :: v_dual_mul_f32 v132, v136, v5
	v_mul_f32_e32 v3, v137, v5
	s_wait_loadcnt_dscnt 0x300
	v_mul_f32_e32 v146, v144, v13
	v_fma_f32 v24, v134, v2, -v24
	v_dual_fmac_f32 v131, v135, v2 :: v_dual_fmac_f32 v132, v137, v4
	v_fma_f32 v134, v136, v4, -v3
	ds_load_2addr_b64 v[2:5], v1 offset0:83 offset1:84
	v_dual_mul_f32 v135, v138, v7 :: v_dual_mul_f32 v136, v140, v9
	v_mul_f32_e32 v7, v139, v7
	v_mul_f32_e32 v9, v141, v9
	v_mul_f32_e32 v137, v142, v11
	v_dual_mul_f32 v11, v143, v11 :: v_dual_fmac_f32 v146, v145, v12
	v_mul_f32_e32 v13, v145, v13
	v_fmac_f32_e32 v135, v139, v6
	v_fma_f32 v138, v138, v6, -v7
	v_fmac_f32_e32 v136, v141, v8
	v_fma_f32 v139, v140, v8, -v9
	scratch_load_b128 v[6:9], off, off offset:264
	v_fmac_f32_e32 v137, v143, v10
	v_fma_f32 v140, v142, v10, -v11
	v_fma_f32 v141, v144, v12, -v13
	ds_load_2addr_b64 v[10:13], v1 offset0:85 offset1:86
	s_wait_loadcnt_dscnt 0x301
	v_mul_f32_e32 v142, v2, v15
	v_mul_f32_e32 v15, v3, v15
	;; [unrolled: 1-line block ×3, first 2 shown]
	s_delay_alu instid0(VALU_DEP_3) | instskip(NEXT) | instid1(VALU_DEP_3)
	v_dual_mul_f32 v17, v5, v17 :: v_dual_fmac_f32 v142, v3, v14
	v_fma_f32 v14, v2, v14, -v15
	s_delay_alu instid0(VALU_DEP_3) | instskip(NEXT) | instid1(VALU_DEP_3)
	v_fmac_f32_e32 v143, v5, v16
	v_fma_f32 v15, v4, v16, -v17
	ds_load_2addr_b64 v[2:5], v1 offset0:87 offset1:88
	s_wait_loadcnt_dscnt 0x201
	v_mul_f32_e32 v16, v10, v19
	v_mul_f32_e32 v17, v11, v19
	;; [unrolled: 1-line block ×3, first 2 shown]
	s_delay_alu instid0(VALU_DEP_3) | instskip(NEXT) | instid1(VALU_DEP_3)
	v_dual_mul_f32 v21, v13, v21 :: v_dual_fmac_f32 v16, v11, v18
	v_fma_f32 v17, v10, v18, -v17
	s_delay_alu instid0(VALU_DEP_3) | instskip(NEXT) | instid1(VALU_DEP_3)
	v_fmac_f32_e32 v19, v13, v20
	v_fma_f32 v18, v12, v20, -v21
	scratch_load_b128 v[10:13], off, off offset:280
	s_wait_loadcnt_dscnt 0x100
	v_mul_f32_e32 v20, v2, v7
	v_mul_f32_e32 v7, v3, v7
	;; [unrolled: 1-line block ×3, first 2 shown]
	s_delay_alu instid0(VALU_DEP_3) | instskip(NEXT) | instid1(VALU_DEP_3)
	v_dual_mul_f32 v9, v5, v9 :: v_dual_fmac_f32 v20, v3, v6
	v_fma_f32 v144, v2, v6, -v7
	s_delay_alu instid0(VALU_DEP_3) | instskip(NEXT) | instid1(VALU_DEP_3)
	v_fmac_f32_e32 v21, v5, v8
	v_fma_f32 v145, v4, v8, -v9
	ds_load_2addr_b64 v[2:5], v1 offset0:89 offset1:90
	ds_load_2addr_b64 v[6:9], v1 offset0:91 offset1:92
	s_wait_loadcnt_dscnt 0x1
	v_mul_f32_e32 v147, v2, v11
	v_dual_mul_f32 v11, v3, v11 :: v_dual_mul_f32 v148, v4, v13
	s_delay_alu instid0(VALU_DEP_2) | instskip(NEXT) | instid1(VALU_DEP_2)
	v_fmac_f32_e32 v147, v3, v10
	v_fma_f32 v149, v2, v10, -v11
	v_mul_f32_e32 v2, v5, v13
	s_delay_alu instid0(VALU_DEP_4) | instskip(NEXT) | instid1(VALU_DEP_2)
	v_fmac_f32_e32 v148, v5, v12
	v_fma_f32 v150, v4, v12, -v2
	s_clause 0x1
	scratch_load_b128 v[2:5], off, off offset:296
	scratch_load_b128 v[10:13], off, off offset:312
	s_wait_loadcnt_dscnt 0x100
	v_mul_f32_e32 v151, v6, v3
	v_mul_f32_e32 v3, v7, v3
	;; [unrolled: 1-line block ×3, first 2 shown]
	s_delay_alu instid0(VALU_DEP_3) | instskip(NEXT) | instid1(VALU_DEP_3)
	v_fmac_f32_e32 v151, v7, v2
	v_fma_f32 v152, v6, v2, -v3
	v_mul_f32_e32 v2, v9, v5
	s_delay_alu instid0(VALU_DEP_4) | instskip(NEXT) | instid1(VALU_DEP_2)
	v_fmac_f32_e32 v153, v9, v4
	v_fma_f32 v154, v8, v4, -v2
	ds_load_2addr_b64 v[2:5], v1 offset0:93 offset1:94
	ds_load_2addr_b64 v[6:9], v1 offset0:95 offset1:96
	s_wait_loadcnt_dscnt 0x1
	v_mul_f32_e32 v155, v2, v11
	v_mul_f32_e32 v157, v4, v13
	s_delay_alu instid0(VALU_DEP_2) | instskip(SKIP_1) | instid1(VALU_DEP_3)
	v_fmac_f32_e32 v155, v3, v10
	v_mul_f32_e32 v3, v3, v11
	v_fmac_f32_e32 v157, v5, v12
	s_delay_alu instid0(VALU_DEP_2) | instskip(SKIP_1) | instid1(VALU_DEP_1)
	v_fma_f32 v156, v2, v10, -v3
	v_mul_f32_e32 v2, v5, v13
	v_fma_f32 v158, v4, v12, -v2
	s_clause 0x1
	scratch_load_b128 v[2:5], off, off offset:328
	scratch_load_b128 v[10:13], off, off offset:344
	s_wait_loadcnt_dscnt 0x100
	v_mul_f32_e32 v159, v6, v3
	v_mul_f32_e32 v3, v7, v3
	s_delay_alu instid0(VALU_DEP_2) | instskip(NEXT) | instid1(VALU_DEP_2)
	v_fmac_f32_e32 v159, v7, v2
	v_fma_f32 v160, v6, v2, -v3
	v_dual_mul_f32 v2, v9, v5 :: v_dual_add_f32 v3, 0, v131
	s_delay_alu instid0(VALU_DEP_1) | instskip(SKIP_1) | instid1(VALU_DEP_1)
	v_fma_f32 v162, v8, v4, -v2
	v_add_f32_e32 v2, 0, v24
	v_dual_add_f32 v3, v3, v132 :: v_dual_add_f32 v2, v2, v134
	s_delay_alu instid0(VALU_DEP_1) | instskip(NEXT) | instid1(VALU_DEP_1)
	v_dual_add_f32 v3, v3, v135 :: v_dual_add_f32 v2, v2, v138
	v_dual_add_f32 v3, v3, v136 :: v_dual_add_f32 v2, v2, v139
	s_delay_alu instid0(VALU_DEP_1) | instskip(NEXT) | instid1(VALU_DEP_1)
	v_dual_add_f32 v3, v3, v137 :: v_dual_add_f32 v2, v2, v140
	v_add_f32_e32 v6, v3, v146
	s_delay_alu instid0(VALU_DEP_2) | instskip(NEXT) | instid1(VALU_DEP_1)
	v_add_f32_e32 v2, v2, v141
	v_add_f32_e32 v7, v2, v14
	s_delay_alu instid0(VALU_DEP_1) | instskip(NEXT) | instid1(VALU_DEP_1)
	v_dual_add_f32 v14, v6, v142 :: v_dual_add_f32 v15, v7, v15
	v_dual_add_f32 v14, v14, v143 :: v_dual_add_f32 v15, v15, v17
	s_delay_alu instid0(VALU_DEP_1) | instskip(NEXT) | instid1(VALU_DEP_1)
	v_add_f32_e32 v14, v14, v16
	v_dual_add_f32 v18, v15, v18 :: v_dual_add_f32 v19, v14, v19
	ds_load_2addr_b64 v[14:17], v1 offset0:99 offset1:100
	v_add_f32_e32 v18, v18, v144
	s_delay_alu instid0(VALU_DEP_1) | instskip(NEXT) | instid1(VALU_DEP_1)
	v_dual_add_f32 v19, v19, v20 :: v_dual_add_f32 v18, v18, v145
	v_add_f32_e32 v19, v19, v21
	s_delay_alu instid0(VALU_DEP_2) | instskip(NEXT) | instid1(VALU_DEP_1)
	v_add_f32_e32 v18, v18, v149
	v_dual_add_f32 v134, v19, v147 :: v_dual_add_f32 v135, v18, v150
	s_delay_alu instid0(VALU_DEP_1)
	v_dual_add_f32 v134, v134, v148 :: v_dual_mul_f32 v161, v8, v5
	scratch_load_b128 v[18:21], off, off offset:408
	v_dual_add_f32 v135, v135, v152 :: v_dual_add_f32 v134, v134, v151
	v_fmac_f32_e32 v161, v9, v4
	scratch_load_b128 v[6:9], off, off offset:360
	ds_load_2addr_b64 v[2:5], v1 offset0:97 offset1:98
	s_wait_loadcnt_dscnt 0x200
	v_dual_add_f32 v135, v135, v154 :: v_dual_mul_f32 v24, v2, v11
	v_mul_f32_e32 v11, v3, v11
	v_mul_f32_e32 v131, v4, v13
	s_delay_alu instid0(VALU_DEP_3) | instskip(NEXT) | instid1(VALU_DEP_3)
	v_dual_mul_f32 v13, v5, v13 :: v_dual_fmac_f32 v24, v3, v10
	v_fma_f32 v132, v2, v10, -v11
	s_delay_alu instid0(VALU_DEP_3) | instskip(NEXT) | instid1(VALU_DEP_3)
	v_fmac_f32_e32 v131, v5, v12
	v_fma_f32 v138, v4, v12, -v13
	s_clause 0x1
	scratch_load_b128 v[2:5], off, off offset:376
	scratch_load_b128 v[10:13], off, off offset:392
	s_wait_loadcnt 0x2
	v_mul_f32_e32 v139, v14, v7
	v_dual_mul_f32 v7, v15, v7 :: v_dual_mul_f32 v140, v16, v9
	v_mul_f32_e32 v9, v17, v9
	s_delay_alu instid0(VALU_DEP_3) | instskip(NEXT) | instid1(VALU_DEP_3)
	v_fmac_f32_e32 v139, v15, v6
	v_fma_f32 v141, v14, v6, -v7
	v_add_f32_e32 v14, v134, v153
	v_add_f32_e32 v134, v135, v156
	v_fmac_f32_e32 v140, v17, v8
	v_fma_f32 v142, v16, v8, -v9
	ds_load_2addr_b64 v[6:9], v1 offset0:101 offset1:102
	v_add_f32_e32 v135, v14, v155
	v_add_f32_e32 v143, v134, v158
	ds_load_2addr_b64 v[14:17], v1 offset0:103 offset1:104
	v_add_f32_e32 v144, v135, v157
	ds_load_2addr_b64 v[134:137], v1 offset0:105 offset1:106
	v_add_f32_e32 v1, v143, v160
	v_add_f32_e32 v143, v144, v159
	s_delay_alu instid0(VALU_DEP_2) | instskip(NEXT) | instid1(VALU_DEP_2)
	v_add_f32_e32 v1, v1, v162
	v_add_f32_e32 v143, v143, v161
	s_wait_loadcnt_dscnt 0x102
	s_delay_alu instid0(VALU_DEP_2) | instskip(SKIP_1) | instid1(VALU_DEP_2)
	v_dual_add_f32 v1, v1, v132 :: v_dual_mul_f32 v144, v6, v3
	v_dual_mul_f32 v3, v7, v3 :: v_dual_mul_f32 v132, v8, v5
	v_add_f32_e32 v1, v1, v138
	v_dual_mul_f32 v5, v9, v5 :: v_dual_add_f32 v24, v143, v24
	s_delay_alu instid0(VALU_DEP_3) | instskip(NEXT) | instid1(VALU_DEP_4)
	v_fma_f32 v3, v6, v2, -v3
	v_fmac_f32_e32 v132, v9, v4
	s_delay_alu instid0(VALU_DEP_4) | instskip(NEXT) | instid1(VALU_DEP_4)
	v_add_f32_e32 v1, v1, v141
	v_fma_f32 v4, v8, v4, -v5
	s_wait_loadcnt_dscnt 0x1
	v_dual_fmac_f32 v144, v7, v2 :: v_dual_mul_f32 v143, v14, v11
	s_delay_alu instid0(VALU_DEP_3) | instskip(SKIP_2) | instid1(VALU_DEP_3)
	v_dual_mul_f32 v6, v15, v11 :: v_dual_add_f32 v1, v1, v142
	v_mul_f32_e32 v145, v16, v13
	s_wait_dscnt 0x0
	v_dual_mul_f32 v138, v136, v21 :: v_dual_fmac_f32 v143, v15, v10
	s_delay_alu instid0(VALU_DEP_3) | instskip(SKIP_4) | instid1(VALU_DEP_4)
	v_fma_f32 v5, v14, v10, -v6
	v_add_f32_e32 v1, v1, v3
	v_mul_f32_e32 v3, v17, v13
	v_fmac_f32_e32 v145, v17, v12
	v_fmac_f32_e32 v138, v137, v20
	v_dual_add_f32 v1, v1, v4 :: v_dual_mul_f32 v4, v135, v19
	v_add_f32_e32 v24, v24, v131
	v_mul_f32_e32 v131, v134, v19
	v_fma_f32 v3, v16, v12, -v3
	s_delay_alu instid0(VALU_DEP_4) | instskip(NEXT) | instid1(VALU_DEP_4)
	v_add_f32_e32 v1, v1, v5
	v_dual_mul_f32 v5, v137, v21 :: v_dual_add_f32 v24, v24, v139
	s_delay_alu instid0(VALU_DEP_4) | instskip(SKIP_1) | instid1(VALU_DEP_4)
	v_fmac_f32_e32 v131, v135, v18
	v_fma_f32 v4, v134, v18, -v4
	v_add_f32_e32 v1, v1, v3
	s_delay_alu instid0(VALU_DEP_4) | instskip(SKIP_1) | instid1(VALU_DEP_3)
	v_fma_f32 v3, v136, v20, -v5
	v_add_f32_e32 v2, v24, v140
	v_add_f32_e32 v1, v1, v4
	s_delay_alu instid0(VALU_DEP_1) | instskip(NEXT) | instid1(VALU_DEP_1)
	v_dual_add_f32 v2, v2, v144 :: v_dual_add_f32 v1, v1, v3
	v_add_f32_e32 v2, v2, v132
	s_delay_alu instid0(VALU_DEP_2) | instskip(NEXT) | instid1(VALU_DEP_2)
	v_sub_f32_e32 v1, v22, v1
	v_add_f32_e32 v2, v2, v143
	s_delay_alu instid0(VALU_DEP_1) | instskip(NEXT) | instid1(VALU_DEP_1)
	v_add_f32_e32 v2, v2, v145
	v_add_f32_e32 v2, v2, v131
	s_delay_alu instid0(VALU_DEP_1) | instskip(NEXT) | instid1(VALU_DEP_1)
	v_add_f32_e32 v2, v2, v138
	v_sub_f32_e32 v2, v23, v2
	scratch_store_b64 off, v[1:2], off offset:176
	v_cmpx_lt_u32_e32 21, v0
	s_cbranch_execz .LBB52_289
; %bb.288:
	scratch_load_b64 v[1:2], off, off offset:168
	v_mov_b32_e32 v3, 0
	s_delay_alu instid0(VALU_DEP_1)
	v_mov_b32_e32 v4, v3
	scratch_store_b64 off, v[3:4], off offset:168
	s_wait_loadcnt 0x0
	ds_store_b64 v133, v[1:2]
.LBB52_289:
	s_wait_alu 0xfffe
	s_or_b32 exec_lo, exec_lo, s0
	s_wait_storecnt_dscnt 0x0
	s_barrier_signal -1
	s_barrier_wait -1
	global_inv scope:SCOPE_SE
	s_clause 0x4
	scratch_load_b128 v[5:8], off, off offset:176
	scratch_load_b128 v[1:4], off, off offset:192
	;; [unrolled: 1-line block ×5, first 2 shown]
	v_mov_b32_e32 v21, 0
	ds_load_b128 v[134:137], v21 offset:608
	ds_load_b128 v[138:141], v21 offset:624
	;; [unrolled: 1-line block ×3, first 2 shown]
	scratch_load_b64 v[22:23], off, off offset:168
	s_mov_b32 s0, exec_lo
	s_wait_loadcnt_dscnt 0x502
	v_mul_f32_e32 v24, v135, v6
	v_dual_mul_f32 v131, v134, v6 :: v_dual_mul_f32 v132, v136, v8
	v_mul_f32_e32 v6, v137, v8
	s_delay_alu instid0(VALU_DEP_3) | instskip(NEXT) | instid1(VALU_DEP_3)
	v_fma_f32 v24, v134, v5, -v24
	v_dual_fmac_f32 v131, v135, v5 :: v_dual_fmac_f32 v132, v137, v7
	s_wait_loadcnt_dscnt 0x401
	v_mul_f32_e32 v135, v138, v2
	v_fma_f32 v134, v136, v7, -v6
	ds_load_b128 v[5:8], v21 offset:656
	s_wait_loadcnt_dscnt 0x301
	v_dual_mul_f32 v136, v140, v4 :: v_dual_mul_f32 v137, v142, v10
	v_dual_mul_f32 v4, v141, v4 :: v_dual_fmac_f32 v135, v139, v1
	v_mul_f32_e32 v10, v143, v10
	s_delay_alu instid0(VALU_DEP_3)
	v_dual_mul_f32 v146, v144, v12 :: v_dual_fmac_f32 v137, v143, v9
	v_mul_f32_e32 v12, v145, v12
	v_mul_f32_e32 v2, v139, v2
	v_fmac_f32_e32 v136, v141, v3
	v_fma_f32 v139, v140, v3, -v4
	v_fma_f32 v140, v142, v9, -v10
	v_fmac_f32_e32 v146, v145, v11
	v_fma_f32 v141, v144, v11, -v12
	ds_load_b128 v[9:12], v21 offset:672
	s_wait_loadcnt_dscnt 0x201
	v_dual_mul_f32 v143, v7, v16 :: v_dual_mul_f32 v142, v5, v14
	v_mul_f32_e32 v14, v6, v14
	v_mul_f32_e32 v16, v8, v16
	s_delay_alu instid0(VALU_DEP_3)
	v_fmac_f32_e32 v143, v8, v15
	v_fma_f32 v138, v138, v1, -v2
	scratch_load_b128 v[1:4], off, off offset:256
	v_fmac_f32_e32 v142, v6, v13
	v_fma_f32 v13, v5, v13, -v14
	v_fma_f32 v14, v7, v15, -v16
	ds_load_b128 v[5:8], v21 offset:688
	s_wait_loadcnt_dscnt 0x201
	v_mul_f32_e32 v15, v9, v18
	v_mul_f32_e32 v16, v10, v18
	v_mul_f32_e32 v18, v11, v20
	s_delay_alu instid0(VALU_DEP_3) | instskip(NEXT) | instid1(VALU_DEP_3)
	v_dual_mul_f32 v20, v12, v20 :: v_dual_fmac_f32 v15, v10, v17
	v_fma_f32 v16, v9, v17, -v16
	s_delay_alu instid0(VALU_DEP_3) | instskip(NEXT) | instid1(VALU_DEP_3)
	v_fmac_f32_e32 v18, v12, v19
	v_fma_f32 v17, v11, v19, -v20
	scratch_load_b128 v[9:12], off, off offset:272
	s_wait_loadcnt_dscnt 0x100
	v_mul_f32_e32 v19, v5, v2
	v_mul_f32_e32 v2, v6, v2
	;; [unrolled: 1-line block ×3, first 2 shown]
	s_delay_alu instid0(VALU_DEP_3) | instskip(NEXT) | instid1(VALU_DEP_3)
	v_dual_mul_f32 v4, v8, v4 :: v_dual_fmac_f32 v19, v6, v1
	v_fma_f32 v144, v5, v1, -v2
	s_delay_alu instid0(VALU_DEP_3) | instskip(NEXT) | instid1(VALU_DEP_3)
	v_fmac_f32_e32 v20, v8, v3
	v_fma_f32 v145, v7, v3, -v4
	ds_load_b128 v[1:4], v21 offset:704
	ds_load_b128 v[5:8], v21 offset:720
	s_wait_loadcnt_dscnt 0x1
	v_mul_f32_e32 v147, v1, v10
	v_mul_f32_e32 v10, v2, v10
	s_delay_alu instid0(VALU_DEP_2) | instskip(NEXT) | instid1(VALU_DEP_2)
	v_dual_mul_f32 v148, v3, v12 :: v_dual_fmac_f32 v147, v2, v9
	v_fma_f32 v149, v1, v9, -v10
	v_mul_f32_e32 v1, v4, v12
	s_delay_alu instid0(VALU_DEP_3) | instskip(NEXT) | instid1(VALU_DEP_2)
	v_fmac_f32_e32 v148, v4, v11
	v_fma_f32 v150, v3, v11, -v1
	s_clause 0x1
	scratch_load_b128 v[1:4], off, off offset:288
	scratch_load_b128 v[9:12], off, off offset:304
	s_wait_loadcnt_dscnt 0x100
	v_mul_f32_e32 v151, v5, v2
	v_dual_mul_f32 v2, v6, v2 :: v_dual_mul_f32 v153, v7, v4
	s_delay_alu instid0(VALU_DEP_2) | instskip(NEXT) | instid1(VALU_DEP_2)
	v_fmac_f32_e32 v151, v6, v1
	v_fma_f32 v152, v5, v1, -v2
	v_mul_f32_e32 v1, v8, v4
	s_delay_alu instid0(VALU_DEP_4) | instskip(NEXT) | instid1(VALU_DEP_2)
	v_fmac_f32_e32 v153, v8, v3
	v_fma_f32 v154, v7, v3, -v1
	ds_load_b128 v[1:4], v21 offset:736
	ds_load_b128 v[5:8], v21 offset:752
	s_wait_loadcnt_dscnt 0x1
	v_mul_f32_e32 v155, v1, v10
	v_mul_f32_e32 v157, v3, v12
	s_delay_alu instid0(VALU_DEP_2) | instskip(NEXT) | instid1(VALU_DEP_2)
	v_fmac_f32_e32 v155, v2, v9
	v_dual_mul_f32 v2, v2, v10 :: v_dual_fmac_f32 v157, v4, v11
	s_delay_alu instid0(VALU_DEP_1) | instskip(SKIP_1) | instid1(VALU_DEP_1)
	v_fma_f32 v156, v1, v9, -v2
	v_mul_f32_e32 v1, v4, v12
	v_fma_f32 v158, v3, v11, -v1
	s_clause 0x1
	scratch_load_b128 v[1:4], off, off offset:320
	scratch_load_b128 v[9:12], off, off offset:336
	s_wait_loadcnt_dscnt 0x100
	v_mul_f32_e32 v159, v5, v2
	v_dual_mul_f32 v161, v7, v4 :: v_dual_mul_f32 v2, v6, v2
	s_delay_alu instid0(VALU_DEP_2) | instskip(NEXT) | instid1(VALU_DEP_2)
	v_fmac_f32_e32 v159, v6, v1
	v_fmac_f32_e32 v161, v8, v3
	s_delay_alu instid0(VALU_DEP_3) | instskip(SKIP_1) | instid1(VALU_DEP_1)
	v_fma_f32 v160, v5, v1, -v2
	v_dual_mul_f32 v1, v8, v4 :: v_dual_add_f32 v2, 0, v131
	v_fma_f32 v162, v7, v3, -v1
	s_delay_alu instid0(VALU_DEP_2) | instskip(NEXT) | instid1(VALU_DEP_1)
	v_add_f32_e32 v2, v2, v132
	v_dual_add_f32 v1, 0, v24 :: v_dual_add_f32 v2, v2, v135
	s_delay_alu instid0(VALU_DEP_1) | instskip(NEXT) | instid1(VALU_DEP_1)
	v_dual_add_f32 v1, v1, v134 :: v_dual_add_f32 v2, v2, v136
	v_dual_add_f32 v1, v1, v138 :: v_dual_add_f32 v2, v2, v137
	s_delay_alu instid0(VALU_DEP_1) | instskip(NEXT) | instid1(VALU_DEP_1)
	v_add_f32_e32 v1, v1, v139
	v_add_f32_e32 v1, v1, v140
	s_delay_alu instid0(VALU_DEP_1) | instskip(NEXT) | instid1(VALU_DEP_1)
	v_add_f32_e32 v1, v1, v141
	v_dual_add_f32 v5, v2, v146 :: v_dual_add_f32 v6, v1, v13
	scratch_load_b128 v[1:4], off, off offset:352
	v_add_f32_e32 v13, v5, v142
	v_add_f32_e32 v14, v6, v14
	ds_load_b128 v[5:8], v21 offset:768
	v_dual_add_f32 v13, v13, v143 :: v_dual_add_f32 v14, v14, v16
	s_delay_alu instid0(VALU_DEP_1) | instskip(NEXT) | instid1(VALU_DEP_1)
	v_add_f32_e32 v13, v13, v15
	v_dual_add_f32 v17, v14, v17 :: v_dual_add_f32 v18, v13, v18
	ds_load_b128 v[13:16], v21 offset:784
	v_add_f32_e32 v18, v18, v19
	s_wait_loadcnt_dscnt 0x101
	v_mul_f32_e32 v140, v7, v12
	s_delay_alu instid0(VALU_DEP_2) | instskip(SKIP_2) | instid1(VALU_DEP_3)
	v_add_f32_e32 v18, v18, v20
	v_mul_f32_e32 v24, v5, v10
	v_mul_f32_e32 v10, v6, v10
	v_dual_mul_f32 v12, v8, v12 :: v_dual_add_f32 v131, v18, v147
	s_delay_alu instid0(VALU_DEP_3) | instskip(NEXT) | instid1(VALU_DEP_3)
	v_dual_add_f32 v17, v17, v144 :: v_dual_fmac_f32 v24, v6, v9
	v_fma_f32 v141, v5, v9, -v10
	s_delay_alu instid0(VALU_DEP_3) | instskip(NEXT) | instid1(VALU_DEP_3)
	v_fma_f32 v142, v7, v11, -v12
	v_dual_add_f32 v17, v17, v145 :: v_dual_fmac_f32 v140, v8, v11
	s_clause 0x1
	scratch_load_b128 v[5:8], off, off offset:368
	scratch_load_b128 v[9:12], off, off offset:384
	v_dual_add_f32 v134, v131, v148 :: v_dual_add_f32 v17, v17, v149
	s_delay_alu instid0(VALU_DEP_1)
	v_add_f32_e32 v132, v17, v150
	scratch_load_b128 v[17:20], off, off offset:400
	s_wait_loadcnt_dscnt 0x300
	v_mul_f32_e32 v143, v13, v2
	v_dual_add_f32 v135, v132, v152 :: v_dual_add_f32 v134, v134, v151
	scratch_load_b64 v[131:132], off, off offset:416
	v_mul_f32_e32 v2, v14, v2
	v_dual_mul_f32 v144, v15, v4 :: v_dual_fmac_f32 v143, v14, v1
	v_dual_add_f32 v135, v135, v154 :: v_dual_mul_f32 v4, v16, v4
	s_delay_alu instid0(VALU_DEP_1) | instskip(NEXT) | instid1(VALU_DEP_2)
	v_add_f32_e32 v135, v135, v156
	v_fma_f32 v146, v15, v3, -v4
	s_delay_alu instid0(VALU_DEP_2) | instskip(NEXT) | instid1(VALU_DEP_1)
	v_add_f32_e32 v14, v135, v158
	v_add_f32_e32 v138, v14, v160
	s_delay_alu instid0(VALU_DEP_1) | instskip(NEXT) | instid1(VALU_DEP_1)
	v_dual_fmac_f32 v144, v16, v3 :: v_dual_add_f32 v147, v138, v162
	v_add_f32_e32 v141, v147, v141
	v_fma_f32 v145, v13, v1, -v2
	ds_load_b128 v[1:4], v21 offset:800
	v_dual_add_f32 v134, v134, v153 :: v_dual_add_f32 v141, v141, v142
	s_delay_alu instid0(VALU_DEP_1) | instskip(NEXT) | instid1(VALU_DEP_2)
	v_add_f32_e32 v13, v134, v155
	v_add_f32_e32 v141, v141, v145
	s_delay_alu instid0(VALU_DEP_2)
	v_add_f32_e32 v134, v13, v157
	ds_load_b128 v[13:16], v21 offset:816
	v_add_f32_e32 v141, v141, v146
	v_add_f32_e32 v139, v134, v159
	ds_load_b128 v[134:137], v21 offset:832
	s_wait_loadcnt_dscnt 0x302
	v_dual_mul_f32 v147, v1, v6 :: v_dual_add_f32 v148, v139, v161
	ds_load_b64 v[138:139], v21 offset:848
	v_mul_f32_e32 v6, v2, v6
	v_fmac_f32_e32 v147, v2, v5
	s_delay_alu instid0(VALU_DEP_2) | instskip(SKIP_2) | instid1(VALU_DEP_2)
	v_fma_f32 v1, v1, v5, -v6
	s_wait_loadcnt_dscnt 0x202
	v_dual_mul_f32 v142, v13, v10 :: v_dual_mul_f32 v5, v16, v12
	v_add_f32_e32 v1, v141, v1
	s_wait_loadcnt_dscnt 0x101
	v_dual_mul_f32 v145, v134, v18 :: v_dual_add_f32 v24, v148, v24
	s_delay_alu instid0(VALU_DEP_3) | instskip(SKIP_1) | instid1(VALU_DEP_3)
	v_fma_f32 v5, v15, v11, -v5
	v_fmac_f32_e32 v142, v14, v9
	v_dual_fmac_f32 v145, v135, v17 :: v_dual_add_f32 v24, v24, v140
	v_mul_f32_e32 v140, v3, v8
	v_mul_f32_e32 v8, v4, v8
	s_delay_alu instid0(VALU_DEP_1) | instskip(NEXT) | instid1(VALU_DEP_4)
	v_fma_f32 v2, v3, v7, -v8
	v_dual_add_f32 v24, v24, v143 :: v_dual_mul_f32 v3, v14, v10
	s_delay_alu instid0(VALU_DEP_4) | instskip(NEXT) | instid1(VALU_DEP_2)
	v_dual_fmac_f32 v140, v4, v7 :: v_dual_mul_f32 v143, v15, v12
	v_dual_add_f32 v1, v1, v2 :: v_dual_add_f32 v24, v24, v144
	s_delay_alu instid0(VALU_DEP_3) | instskip(SKIP_1) | instid1(VALU_DEP_4)
	v_fma_f32 v3, v13, v9, -v3
	v_mul_f32_e32 v146, v136, v20
	v_fmac_f32_e32 v143, v16, v11
	s_delay_alu instid0(VALU_DEP_3) | instskip(SKIP_1) | instid1(VALU_DEP_4)
	v_add_f32_e32 v1, v1, v3
	v_dual_add_f32 v4, v24, v147 :: v_dual_mul_f32 v3, v137, v20
	v_fmac_f32_e32 v146, v137, v19
	s_delay_alu instid0(VALU_DEP_3) | instskip(NEXT) | instid1(VALU_DEP_3)
	v_add_f32_e32 v1, v1, v5
	v_fma_f32 v3, v136, v19, -v3
	s_delay_alu instid0(VALU_DEP_4) | instskip(SKIP_1) | instid1(VALU_DEP_1)
	v_add_f32_e32 v2, v4, v140
	v_mul_f32_e32 v4, v135, v18
	v_fma_f32 v4, v134, v17, -v4
	s_delay_alu instid0(VALU_DEP_1) | instskip(NEXT) | instid1(VALU_DEP_1)
	v_add_f32_e32 v1, v1, v4
	v_add_f32_e32 v1, v1, v3
	s_wait_loadcnt_dscnt 0x0
	v_mul_f32_e32 v5, v139, v132
	v_mul_f32_e32 v144, v138, v132
	s_delay_alu instid0(VALU_DEP_2) | instskip(SKIP_1) | instid1(VALU_DEP_2)
	v_fma_f32 v4, v138, v131, -v5
	v_add_f32_e32 v2, v2, v142
	v_dual_fmac_f32 v144, v139, v131 :: v_dual_add_f32 v1, v1, v4
	s_delay_alu instid0(VALU_DEP_2) | instskip(NEXT) | instid1(VALU_DEP_2)
	v_add_f32_e32 v2, v2, v143
	v_sub_f32_e32 v1, v22, v1
	s_delay_alu instid0(VALU_DEP_2) | instskip(NEXT) | instid1(VALU_DEP_1)
	v_add_f32_e32 v2, v2, v145
	v_add_f32_e32 v2, v2, v146
	s_delay_alu instid0(VALU_DEP_1) | instskip(NEXT) | instid1(VALU_DEP_1)
	v_add_f32_e32 v2, v2, v144
	v_sub_f32_e32 v2, v23, v2
	scratch_store_b64 off, v[1:2], off offset:168
	v_cmpx_lt_u32_e32 20, v0
	s_cbranch_execz .LBB52_291
; %bb.290:
	scratch_load_b64 v[1:2], off, off offset:160
	v_mov_b32_e32 v22, v21
	scratch_store_b64 off, v[21:22], off offset:160
	s_wait_loadcnt 0x0
	ds_store_b64 v133, v[1:2]
.LBB52_291:
	s_wait_alu 0xfffe
	s_or_b32 exec_lo, exec_lo, s0
	s_wait_storecnt_dscnt 0x0
	s_barrier_signal -1
	s_barrier_wait -1
	global_inv scope:SCOPE_SE
	s_clause 0x4
	scratch_load_b128 v[5:8], off, off offset:168
	scratch_load_b128 v[1:4], off, off offset:184
	scratch_load_b128 v[9:12], off, off offset:200
	scratch_load_b128 v[13:16], off, off offset:216
	scratch_load_b128 v[17:20], off, off offset:232
	ds_load_2addr_b64 v[134:137], v21 offset0:75 offset1:76
	ds_load_2addr_b64 v[138:141], v21 offset0:77 offset1:78
	;; [unrolled: 1-line block ×3, first 2 shown]
	scratch_load_b64 v[131:132], off, off offset:160
	s_mov_b32 s0, exec_lo
	s_wait_loadcnt_dscnt 0x502
	v_mul_f32_e32 v22, v135, v6
	v_dual_mul_f32 v23, v134, v6 :: v_dual_mul_f32 v24, v136, v8
	v_mul_f32_e32 v6, v137, v8
	s_delay_alu instid0(VALU_DEP_3) | instskip(NEXT) | instid1(VALU_DEP_3)
	v_fma_f32 v22, v134, v5, -v22
	v_dual_fmac_f32 v23, v135, v5 :: v_dual_fmac_f32 v24, v137, v7
	s_wait_loadcnt_dscnt 0x401
	v_mul_f32_e32 v135, v138, v2
	v_fma_f32 v134, v136, v7, -v6
	ds_load_2addr_b64 v[5:8], v21 offset0:81 offset1:82
	s_wait_loadcnt_dscnt 0x301
	v_dual_mul_f32 v136, v140, v4 :: v_dual_mul_f32 v137, v142, v10
	v_dual_mul_f32 v4, v141, v4 :: v_dual_fmac_f32 v135, v139, v1
	v_mul_f32_e32 v10, v143, v10
	s_delay_alu instid0(VALU_DEP_3)
	v_dual_mul_f32 v146, v144, v12 :: v_dual_fmac_f32 v137, v143, v9
	v_mul_f32_e32 v12, v145, v12
	v_mul_f32_e32 v2, v139, v2
	v_fmac_f32_e32 v136, v141, v3
	v_fma_f32 v139, v140, v3, -v4
	v_fma_f32 v140, v142, v9, -v10
	v_fmac_f32_e32 v146, v145, v11
	v_fma_f32 v141, v144, v11, -v12
	ds_load_2addr_b64 v[9:12], v21 offset0:83 offset1:84
	s_wait_loadcnt_dscnt 0x201
	v_mul_f32_e32 v142, v5, v14
	v_dual_mul_f32 v14, v6, v14 :: v_dual_mul_f32 v143, v7, v16
	v_mul_f32_e32 v16, v8, v16
	s_delay_alu instid0(VALU_DEP_3) | instskip(NEXT) | instid1(VALU_DEP_3)
	v_fmac_f32_e32 v142, v6, v13
	v_fma_f32 v13, v5, v13, -v14
	s_delay_alu instid0(VALU_DEP_4) | instskip(NEXT) | instid1(VALU_DEP_4)
	v_fmac_f32_e32 v143, v8, v15
	v_fma_f32 v14, v7, v15, -v16
	ds_load_2addr_b64 v[5:8], v21 offset0:85 offset1:86
	s_wait_loadcnt_dscnt 0x101
	v_mul_f32_e32 v15, v9, v18
	v_mul_f32_e32 v16, v10, v18
	;; [unrolled: 1-line block ×3, first 2 shown]
	s_delay_alu instid0(VALU_DEP_3)
	v_dual_mul_f32 v20, v12, v20 :: v_dual_fmac_f32 v15, v10, v17
	v_fma_f32 v138, v138, v1, -v2
	scratch_load_b128 v[1:4], off, off offset:248
	v_fma_f32 v16, v9, v17, -v16
	v_fmac_f32_e32 v18, v12, v19
	v_fma_f32 v17, v11, v19, -v20
	scratch_load_b128 v[9:12], off, off offset:264
	s_wait_loadcnt_dscnt 0x100
	v_mul_f32_e32 v19, v5, v2
	v_mul_f32_e32 v2, v6, v2
	;; [unrolled: 1-line block ×3, first 2 shown]
	s_delay_alu instid0(VALU_DEP_3) | instskip(NEXT) | instid1(VALU_DEP_3)
	v_dual_mul_f32 v4, v8, v4 :: v_dual_fmac_f32 v19, v6, v1
	v_fma_f32 v144, v5, v1, -v2
	s_delay_alu instid0(VALU_DEP_3) | instskip(NEXT) | instid1(VALU_DEP_3)
	v_fmac_f32_e32 v20, v8, v3
	v_fma_f32 v145, v7, v3, -v4
	ds_load_2addr_b64 v[1:4], v21 offset0:87 offset1:88
	ds_load_2addr_b64 v[5:8], v21 offset0:89 offset1:90
	s_wait_loadcnt_dscnt 0x1
	v_mul_f32_e32 v147, v1, v10
	v_mul_f32_e32 v10, v2, v10
	s_delay_alu instid0(VALU_DEP_2) | instskip(NEXT) | instid1(VALU_DEP_2)
	v_dual_mul_f32 v148, v3, v12 :: v_dual_fmac_f32 v147, v2, v9
	v_fma_f32 v149, v1, v9, -v10
	v_mul_f32_e32 v1, v4, v12
	s_delay_alu instid0(VALU_DEP_3) | instskip(NEXT) | instid1(VALU_DEP_2)
	v_fmac_f32_e32 v148, v4, v11
	v_fma_f32 v150, v3, v11, -v1
	s_clause 0x1
	scratch_load_b128 v[1:4], off, off offset:280
	scratch_load_b128 v[9:12], off, off offset:296
	s_wait_loadcnt_dscnt 0x100
	v_mul_f32_e32 v151, v5, v2
	v_dual_mul_f32 v2, v6, v2 :: v_dual_mul_f32 v153, v7, v4
	s_delay_alu instid0(VALU_DEP_2) | instskip(NEXT) | instid1(VALU_DEP_2)
	v_fmac_f32_e32 v151, v6, v1
	v_fma_f32 v152, v5, v1, -v2
	v_mul_f32_e32 v1, v8, v4
	s_delay_alu instid0(VALU_DEP_4) | instskip(NEXT) | instid1(VALU_DEP_2)
	v_fmac_f32_e32 v153, v8, v3
	v_fma_f32 v154, v7, v3, -v1
	ds_load_2addr_b64 v[1:4], v21 offset0:91 offset1:92
	ds_load_2addr_b64 v[5:8], v21 offset0:93 offset1:94
	s_wait_loadcnt_dscnt 0x1
	v_mul_f32_e32 v155, v1, v10
	v_mul_f32_e32 v157, v3, v12
	s_delay_alu instid0(VALU_DEP_2) | instskip(NEXT) | instid1(VALU_DEP_2)
	v_fmac_f32_e32 v155, v2, v9
	v_dual_mul_f32 v2, v2, v10 :: v_dual_fmac_f32 v157, v4, v11
	s_delay_alu instid0(VALU_DEP_1) | instskip(SKIP_1) | instid1(VALU_DEP_1)
	v_fma_f32 v156, v1, v9, -v2
	v_mul_f32_e32 v1, v4, v12
	v_fma_f32 v158, v3, v11, -v1
	s_clause 0x1
	scratch_load_b128 v[1:4], off, off offset:312
	scratch_load_b128 v[9:12], off, off offset:328
	s_wait_loadcnt_dscnt 0x100
	v_mul_f32_e32 v159, v5, v2
	v_dual_mul_f32 v2, v6, v2 :: v_dual_mul_f32 v161, v7, v4
	s_delay_alu instid0(VALU_DEP_2) | instskip(NEXT) | instid1(VALU_DEP_2)
	v_fmac_f32_e32 v159, v6, v1
	v_fma_f32 v160, v5, v1, -v2
	v_mul_f32_e32 v1, v8, v4
	s_delay_alu instid0(VALU_DEP_4) | instskip(NEXT) | instid1(VALU_DEP_2)
	v_fmac_f32_e32 v161, v8, v3
	v_fma_f32 v162, v7, v3, -v1
	ds_load_2addr_b64 v[1:4], v21 offset0:95 offset1:96
	ds_load_2addr_b64 v[5:8], v21 offset0:97 offset1:98
	s_wait_loadcnt_dscnt 0x1
	v_mul_f32_e32 v163, v1, v10
	v_mul_f32_e32 v165, v3, v12
	s_delay_alu instid0(VALU_DEP_2) | instskip(NEXT) | instid1(VALU_DEP_2)
	v_fmac_f32_e32 v163, v2, v9
	v_dual_mul_f32 v2, v2, v10 :: v_dual_fmac_f32 v165, v4, v11
	s_delay_alu instid0(VALU_DEP_1) | instskip(SKIP_1) | instid1(VALU_DEP_1)
	v_fma_f32 v164, v1, v9, -v2
	v_mul_f32_e32 v1, v4, v12
	v_fma_f32 v166, v3, v11, -v1
	s_clause 0x1
	scratch_load_b128 v[1:4], off, off offset:344
	scratch_load_b128 v[9:12], off, off offset:360
	s_wait_loadcnt_dscnt 0x100
	v_mul_f32_e32 v167, v5, v2
	v_mul_f32_e32 v2, v6, v2
	s_delay_alu instid0(VALU_DEP_1) | instskip(SKIP_1) | instid1(VALU_DEP_1)
	v_fma_f32 v168, v5, v1, -v2
	v_add_f32_e32 v2, 0, v23
	v_add_f32_e32 v2, v2, v24
	v_fmac_f32_e32 v167, v6, v1
	s_delay_alu instid0(VALU_DEP_2) | instskip(NEXT) | instid1(VALU_DEP_1)
	v_add_f32_e32 v2, v2, v135
	v_add_f32_e32 v2, v2, v136
	s_delay_alu instid0(VALU_DEP_1) | instskip(NEXT) | instid1(VALU_DEP_1)
	v_dual_mul_f32 v169, v7, v4 :: v_dual_add_f32 v2, v2, v137
	v_dual_fmac_f32 v169, v8, v3 :: v_dual_add_f32 v2, v2, v146
	s_delay_alu instid0(VALU_DEP_1) | instskip(NEXT) | instid1(VALU_DEP_1)
	v_dual_mul_f32 v1, v8, v4 :: v_dual_add_f32 v2, v2, v142
	v_fma_f32 v170, v7, v3, -v1
	s_delay_alu instid0(VALU_DEP_2) | instskip(NEXT) | instid1(VALU_DEP_1)
	v_dual_add_f32 v1, 0, v22 :: v_dual_add_f32 v2, v2, v143
	v_add_f32_e32 v1, v1, v134
	s_delay_alu instid0(VALU_DEP_2) | instskip(NEXT) | instid1(VALU_DEP_2)
	v_add_f32_e32 v5, v2, v15
	v_add_f32_e32 v1, v1, v138
	s_delay_alu instid0(VALU_DEP_2) | instskip(NEXT) | instid1(VALU_DEP_2)
	v_add_f32_e32 v5, v5, v18
	;; [unrolled: 3-line block ×3, first 2 shown]
	v_add_f32_e32 v1, v1, v140
	s_delay_alu instid0(VALU_DEP_1) | instskip(NEXT) | instid1(VALU_DEP_1)
	v_add_f32_e32 v1, v1, v141
	v_add_f32_e32 v1, v1, v13
	s_delay_alu instid0(VALU_DEP_1) | instskip(SKIP_1) | instid1(VALU_DEP_1)
	v_add_f32_e32 v1, v1, v14
	v_add_f32_e32 v14, v5, v20
	;; [unrolled: 1-line block ×3, first 2 shown]
	s_delay_alu instid0(VALU_DEP_1) | instskip(NEXT) | instid1(VALU_DEP_4)
	v_add_f32_e32 v14, v14, v148
	v_add_f32_e32 v1, v1, v16
	s_delay_alu instid0(VALU_DEP_1) | instskip(SKIP_3) | instid1(VALU_DEP_1)
	v_add_f32_e32 v6, v1, v17
	ds_load_2addr_b64 v[1:4], v21 offset0:99 offset1:100
	v_add_f32_e32 v17, v14, v151
	v_add_f32_e32 v6, v6, v144
	;; [unrolled: 1-line block ×3, first 2 shown]
	ds_load_2addr_b64 v[5:8], v21 offset0:101 offset1:102
	s_wait_loadcnt_dscnt 0x1
	v_dual_mul_f32 v134, v1, v10 :: v_dual_mul_f32 v135, v3, v12
	v_mul_f32_e32 v10, v2, v10
	v_mul_f32_e32 v12, v4, v12
	s_delay_alu instid0(VALU_DEP_3) | instskip(NEXT) | instid1(VALU_DEP_3)
	v_dual_fmac_f32 v134, v2, v9 :: v_dual_fmac_f32 v135, v4, v11
	v_fma_f32 v136, v1, v9, -v10
	s_delay_alu instid0(VALU_DEP_3)
	v_fma_f32 v137, v3, v11, -v12
	s_clause 0x1
	scratch_load_b128 v[1:4], off, off offset:376
	scratch_load_b128 v[9:12], off, off offset:392
	s_wait_loadcnt_dscnt 0x100
	v_mul_f32_e32 v140, v5, v2
	v_dual_add_f32 v13, v13, v149 :: v_dual_mul_f32 v2, v6, v2
	v_mul_f32_e32 v141, v7, v4
	v_mul_f32_e32 v4, v8, v4
	s_delay_alu instid0(VALU_DEP_3) | instskip(NEXT) | instid1(VALU_DEP_4)
	v_dual_fmac_f32 v140, v6, v1 :: v_dual_add_f32 v13, v13, v150
	v_fma_f32 v2, v5, v1, -v2
	s_delay_alu instid0(VALU_DEP_2) | instskip(NEXT) | instid1(VALU_DEP_1)
	v_add_f32_e32 v13, v13, v152
	v_add_f32_e32 v18, v13, v154
	scratch_load_b128 v[13:16], off, off offset:408
	v_add_f32_e32 v18, v18, v156
	s_delay_alu instid0(VALU_DEP_1) | instskip(NEXT) | instid1(VALU_DEP_1)
	v_add_f32_e32 v18, v18, v158
	v_add_f32_e32 v22, v18, v160
	s_delay_alu instid0(VALU_DEP_1) | instskip(NEXT) | instid1(VALU_DEP_1)
	v_add_f32_e32 v138, v22, v162
	v_add_f32_e32 v138, v138, v164
	s_delay_alu instid0(VALU_DEP_1) | instskip(NEXT) | instid1(VALU_DEP_1)
	v_dual_add_f32 v138, v138, v166 :: v_dual_add_f32 v17, v17, v153
	v_dual_add_f32 v138, v138, v168 :: v_dual_add_f32 v17, v17, v155
	s_delay_alu instid0(VALU_DEP_1) | instskip(NEXT) | instid1(VALU_DEP_1)
	v_dual_add_f32 v138, v138, v170 :: v_dual_add_f32 v17, v17, v157
	v_dual_add_f32 v136, v138, v136 :: v_dual_add_f32 v23, v17, v159
	ds_load_2addr_b64 v[17:20], v21 offset0:103 offset1:104
	v_add_f32_e32 v1, v136, v137
	v_add_f32_e32 v139, v23, v161
	ds_load_2addr_b64 v[21:24], v21 offset0:105 offset1:106
	s_wait_loadcnt_dscnt 0x101
	v_dual_mul_f32 v142, v17, v10 :: v_dual_add_f32 v139, v139, v163
	v_mul_f32_e32 v6, v18, v10
	s_delay_alu instid0(VALU_DEP_2) | instskip(NEXT) | instid1(VALU_DEP_3)
	v_fmac_f32_e32 v142, v18, v9
	v_add_f32_e32 v139, v139, v165
	v_fmac_f32_e32 v141, v8, v3
	v_fma_f32 v3, v7, v3, -v4
	s_delay_alu instid0(VALU_DEP_3) | instskip(NEXT) | instid1(VALU_DEP_1)
	v_dual_mul_f32 v4, v20, v12 :: v_dual_add_f32 v139, v139, v167
	v_fma_f32 v4, v19, v11, -v4
	s_delay_alu instid0(VALU_DEP_2) | instskip(NEXT) | instid1(VALU_DEP_1)
	v_add_f32_e32 v139, v139, v169
	v_add_f32_e32 v134, v139, v134
	s_wait_loadcnt_dscnt 0x0
	s_delay_alu instid0(VALU_DEP_1) | instskip(SKIP_2) | instid1(VALU_DEP_3)
	v_dual_add_f32 v5, v134, v135 :: v_dual_mul_f32 v138, v23, v16
	v_mul_f32_e32 v144, v21, v14
	v_add_f32_e32 v1, v1, v2
	v_add_f32_e32 v2, v5, v140
	v_mul_f32_e32 v143, v19, v12
	v_fma_f32 v5, v17, v9, -v6
	v_fmac_f32_e32 v144, v22, v13
	v_fmac_f32_e32 v138, v24, v15
	s_delay_alu instid0(VALU_DEP_4) | instskip(NEXT) | instid1(VALU_DEP_1)
	v_dual_add_f32 v2, v2, v141 :: v_dual_fmac_f32 v143, v20, v11
	v_add_f32_e32 v2, v2, v142
	s_delay_alu instid0(VALU_DEP_1) | instskip(SKIP_2) | instid1(VALU_DEP_3)
	v_add_f32_e32 v2, v2, v143
	v_add_f32_e32 v1, v1, v3
	v_mul_f32_e32 v3, v22, v14
	v_add_f32_e32 v2, v2, v144
	s_delay_alu instid0(VALU_DEP_2) | instskip(NEXT) | instid1(VALU_DEP_2)
	v_fma_f32 v3, v21, v13, -v3
	v_dual_add_f32 v2, v2, v138 :: v_dual_add_f32 v1, v1, v5
	v_mul_f32_e32 v5, v24, v16
	s_delay_alu instid0(VALU_DEP_2) | instskip(NEXT) | instid1(VALU_DEP_2)
	v_dual_sub_f32 v2, v132, v2 :: v_dual_add_f32 v1, v1, v4
	v_fma_f32 v4, v23, v15, -v5
	s_delay_alu instid0(VALU_DEP_2) | instskip(NEXT) | instid1(VALU_DEP_1)
	v_add_f32_e32 v1, v1, v3
	v_add_f32_e32 v1, v1, v4
	s_delay_alu instid0(VALU_DEP_1)
	v_sub_f32_e32 v1, v131, v1
	scratch_store_b64 off, v[1:2], off offset:160
	v_cmpx_lt_u32_e32 19, v0
	s_cbranch_execz .LBB52_293
; %bb.292:
	scratch_load_b64 v[1:2], off, off offset:152
	v_mov_b32_e32 v3, 0
	s_delay_alu instid0(VALU_DEP_1)
	v_mov_b32_e32 v4, v3
	scratch_store_b64 off, v[3:4], off offset:152
	s_wait_loadcnt 0x0
	ds_store_b64 v133, v[1:2]
.LBB52_293:
	s_wait_alu 0xfffe
	s_or_b32 exec_lo, exec_lo, s0
	s_wait_storecnt_dscnt 0x0
	s_barrier_signal -1
	s_barrier_wait -1
	global_inv scope:SCOPE_SE
	s_clause 0x4
	scratch_load_b128 v[5:8], off, off offset:160
	scratch_load_b128 v[1:4], off, off offset:176
	;; [unrolled: 1-line block ×5, first 2 shown]
	v_mov_b32_e32 v21, 0
	ds_load_b128 v[134:137], v21 offset:592
	ds_load_b128 v[138:141], v21 offset:608
	;; [unrolled: 1-line block ×3, first 2 shown]
	scratch_load_b64 v[22:23], off, off offset:152
	s_mov_b32 s0, exec_lo
	s_wait_loadcnt_dscnt 0x502
	v_mul_f32_e32 v24, v135, v6
	v_dual_mul_f32 v131, v134, v6 :: v_dual_mul_f32 v132, v136, v8
	v_mul_f32_e32 v6, v137, v8
	s_delay_alu instid0(VALU_DEP_3) | instskip(NEXT) | instid1(VALU_DEP_3)
	v_fma_f32 v24, v134, v5, -v24
	v_dual_fmac_f32 v131, v135, v5 :: v_dual_fmac_f32 v132, v137, v7
	s_wait_loadcnt_dscnt 0x401
	v_mul_f32_e32 v135, v138, v2
	v_fma_f32 v134, v136, v7, -v6
	ds_load_b128 v[5:8], v21 offset:640
	s_wait_loadcnt_dscnt 0x301
	v_dual_mul_f32 v136, v140, v4 :: v_dual_mul_f32 v137, v142, v10
	v_dual_mul_f32 v4, v141, v4 :: v_dual_fmac_f32 v135, v139, v1
	v_mul_f32_e32 v10, v143, v10
	s_delay_alu instid0(VALU_DEP_3)
	v_dual_mul_f32 v146, v144, v12 :: v_dual_fmac_f32 v137, v143, v9
	v_mul_f32_e32 v12, v145, v12
	v_mul_f32_e32 v2, v139, v2
	v_fmac_f32_e32 v136, v141, v3
	v_fma_f32 v139, v140, v3, -v4
	v_fma_f32 v140, v142, v9, -v10
	v_fmac_f32_e32 v146, v145, v11
	v_fma_f32 v141, v144, v11, -v12
	ds_load_b128 v[9:12], v21 offset:656
	s_wait_loadcnt_dscnt 0x201
	v_dual_mul_f32 v143, v7, v16 :: v_dual_mul_f32 v142, v5, v14
	v_mul_f32_e32 v14, v6, v14
	v_mul_f32_e32 v16, v8, v16
	s_delay_alu instid0(VALU_DEP_3)
	v_fmac_f32_e32 v143, v8, v15
	v_fma_f32 v138, v138, v1, -v2
	scratch_load_b128 v[1:4], off, off offset:240
	v_fmac_f32_e32 v142, v6, v13
	v_fma_f32 v13, v5, v13, -v14
	v_fma_f32 v14, v7, v15, -v16
	ds_load_b128 v[5:8], v21 offset:672
	s_wait_loadcnt_dscnt 0x201
	v_mul_f32_e32 v15, v9, v18
	v_mul_f32_e32 v16, v10, v18
	;; [unrolled: 1-line block ×3, first 2 shown]
	s_delay_alu instid0(VALU_DEP_3) | instskip(NEXT) | instid1(VALU_DEP_3)
	v_dual_mul_f32 v20, v12, v20 :: v_dual_fmac_f32 v15, v10, v17
	v_fma_f32 v16, v9, v17, -v16
	s_delay_alu instid0(VALU_DEP_3) | instskip(NEXT) | instid1(VALU_DEP_3)
	v_fmac_f32_e32 v18, v12, v19
	v_fma_f32 v17, v11, v19, -v20
	scratch_load_b128 v[9:12], off, off offset:256
	s_wait_loadcnt_dscnt 0x100
	v_mul_f32_e32 v19, v5, v2
	v_mul_f32_e32 v2, v6, v2
	;; [unrolled: 1-line block ×3, first 2 shown]
	s_delay_alu instid0(VALU_DEP_3) | instskip(NEXT) | instid1(VALU_DEP_3)
	v_dual_mul_f32 v4, v8, v4 :: v_dual_fmac_f32 v19, v6, v1
	v_fma_f32 v144, v5, v1, -v2
	s_delay_alu instid0(VALU_DEP_3) | instskip(NEXT) | instid1(VALU_DEP_3)
	v_fmac_f32_e32 v20, v8, v3
	v_fma_f32 v145, v7, v3, -v4
	ds_load_b128 v[1:4], v21 offset:688
	ds_load_b128 v[5:8], v21 offset:704
	s_wait_loadcnt_dscnt 0x1
	v_mul_f32_e32 v147, v1, v10
	v_mul_f32_e32 v10, v2, v10
	s_delay_alu instid0(VALU_DEP_2) | instskip(NEXT) | instid1(VALU_DEP_2)
	v_dual_mul_f32 v148, v3, v12 :: v_dual_fmac_f32 v147, v2, v9
	v_fma_f32 v149, v1, v9, -v10
	v_mul_f32_e32 v1, v4, v12
	s_delay_alu instid0(VALU_DEP_3) | instskip(NEXT) | instid1(VALU_DEP_2)
	v_fmac_f32_e32 v148, v4, v11
	v_fma_f32 v150, v3, v11, -v1
	s_clause 0x1
	scratch_load_b128 v[1:4], off, off offset:272
	scratch_load_b128 v[9:12], off, off offset:288
	s_wait_loadcnt_dscnt 0x100
	v_mul_f32_e32 v151, v5, v2
	v_dual_mul_f32 v2, v6, v2 :: v_dual_mul_f32 v153, v7, v4
	s_delay_alu instid0(VALU_DEP_2) | instskip(NEXT) | instid1(VALU_DEP_2)
	v_fmac_f32_e32 v151, v6, v1
	v_fma_f32 v152, v5, v1, -v2
	v_mul_f32_e32 v1, v8, v4
	s_delay_alu instid0(VALU_DEP_4) | instskip(NEXT) | instid1(VALU_DEP_2)
	v_fmac_f32_e32 v153, v8, v3
	v_fma_f32 v154, v7, v3, -v1
	ds_load_b128 v[1:4], v21 offset:720
	ds_load_b128 v[5:8], v21 offset:736
	s_wait_loadcnt_dscnt 0x1
	v_mul_f32_e32 v155, v1, v10
	v_mul_f32_e32 v157, v3, v12
	s_delay_alu instid0(VALU_DEP_2) | instskip(NEXT) | instid1(VALU_DEP_2)
	v_fmac_f32_e32 v155, v2, v9
	v_dual_mul_f32 v2, v2, v10 :: v_dual_fmac_f32 v157, v4, v11
	s_delay_alu instid0(VALU_DEP_1) | instskip(SKIP_1) | instid1(VALU_DEP_1)
	v_fma_f32 v156, v1, v9, -v2
	v_mul_f32_e32 v1, v4, v12
	v_fma_f32 v158, v3, v11, -v1
	s_clause 0x1
	scratch_load_b128 v[1:4], off, off offset:304
	scratch_load_b128 v[9:12], off, off offset:320
	s_wait_loadcnt_dscnt 0x100
	v_mul_f32_e32 v159, v5, v2
	v_dual_mul_f32 v161, v7, v4 :: v_dual_mul_f32 v2, v6, v2
	s_delay_alu instid0(VALU_DEP_2) | instskip(NEXT) | instid1(VALU_DEP_2)
	v_fmac_f32_e32 v159, v6, v1
	v_fmac_f32_e32 v161, v8, v3
	s_delay_alu instid0(VALU_DEP_3) | instskip(SKIP_1) | instid1(VALU_DEP_1)
	v_fma_f32 v160, v5, v1, -v2
	v_mul_f32_e32 v1, v8, v4
	v_fma_f32 v162, v7, v3, -v1
	ds_load_b128 v[1:4], v21 offset:752
	ds_load_b128 v[5:8], v21 offset:768
	s_wait_loadcnt_dscnt 0x1
	v_mul_f32_e32 v163, v1, v10
	v_mul_f32_e32 v165, v3, v12
	s_delay_alu instid0(VALU_DEP_2) | instskip(NEXT) | instid1(VALU_DEP_2)
	v_fmac_f32_e32 v163, v2, v9
	v_dual_mul_f32 v2, v2, v10 :: v_dual_fmac_f32 v165, v4, v11
	s_delay_alu instid0(VALU_DEP_1) | instskip(SKIP_1) | instid1(VALU_DEP_1)
	v_fma_f32 v164, v1, v9, -v2
	v_mul_f32_e32 v1, v4, v12
	v_fma_f32 v166, v3, v11, -v1
	s_clause 0x1
	scratch_load_b128 v[1:4], off, off offset:336
	scratch_load_b128 v[9:12], off, off offset:352
	s_wait_loadcnt_dscnt 0x100
	v_mul_f32_e32 v167, v5, v2
	v_mul_f32_e32 v2, v6, v2
	s_delay_alu instid0(VALU_DEP_1) | instskip(SKIP_1) | instid1(VALU_DEP_1)
	v_fma_f32 v168, v5, v1, -v2
	v_add_f32_e32 v2, 0, v131
	v_add_f32_e32 v2, v2, v132
	scratch_load_b64 v[131:132], off, off offset:416
	v_add_f32_e32 v2, v2, v135
	s_delay_alu instid0(VALU_DEP_1) | instskip(SKIP_2) | instid1(VALU_DEP_2)
	v_add_f32_e32 v2, v2, v136
	v_mul_f32_e32 v169, v7, v4
	v_fmac_f32_e32 v167, v6, v1
	v_dual_add_f32 v2, v2, v137 :: v_dual_fmac_f32 v169, v8, v3
	s_delay_alu instid0(VALU_DEP_1) | instskip(NEXT) | instid1(VALU_DEP_1)
	v_dual_add_f32 v2, v2, v146 :: v_dual_mul_f32 v1, v8, v4
	v_add_f32_e32 v2, v2, v142
	s_delay_alu instid0(VALU_DEP_2) | instskip(NEXT) | instid1(VALU_DEP_2)
	v_fma_f32 v170, v7, v3, -v1
	v_dual_add_f32 v1, 0, v24 :: v_dual_add_f32 v2, v2, v143
	s_delay_alu instid0(VALU_DEP_1) | instskip(NEXT) | instid1(VALU_DEP_1)
	v_add_f32_e32 v1, v1, v134
	v_add_f32_e32 v1, v1, v138
	s_delay_alu instid0(VALU_DEP_1) | instskip(NEXT) | instid1(VALU_DEP_1)
	v_add_f32_e32 v1, v1, v139
	v_add_f32_e32 v1, v1, v140
	s_delay_alu instid0(VALU_DEP_1) | instskip(NEXT) | instid1(VALU_DEP_1)
	v_add_f32_e32 v1, v1, v141
	v_add_f32_e32 v1, v1, v13
	s_delay_alu instid0(VALU_DEP_1) | instskip(NEXT) | instid1(VALU_DEP_1)
	v_add_f32_e32 v1, v1, v14
	v_add_f32_e32 v1, v1, v16
	s_delay_alu instid0(VALU_DEP_1) | instskip(SKIP_2) | instid1(VALU_DEP_1)
	v_dual_add_f32 v5, v2, v15 :: v_dual_add_f32 v6, v1, v17
	ds_load_b128 v[1:4], v21 offset:784
	v_dual_add_f32 v5, v5, v18 :: v_dual_add_f32 v6, v6, v144
	v_add_f32_e32 v13, v6, v145
	s_delay_alu instid0(VALU_DEP_1) | instskip(NEXT) | instid1(VALU_DEP_1)
	v_add_f32_e32 v13, v13, v149
	v_add_f32_e32 v13, v13, v150
	s_delay_alu instid0(VALU_DEP_1) | instskip(NEXT) | instid1(VALU_DEP_1)
	v_add_f32_e32 v13, v13, v152
	v_add_f32_e32 v18, v13, v154
	s_delay_alu instid0(VALU_DEP_1) | instskip(NEXT) | instid1(VALU_DEP_1)
	v_dual_add_f32 v5, v5, v19 :: v_dual_add_f32 v18, v18, v156
	v_add_f32_e32 v14, v5, v20
	ds_load_b128 v[5:8], v21 offset:800
	s_wait_loadcnt_dscnt 0x101
	v_mul_f32_e32 v24, v1, v10
	v_mul_f32_e32 v10, v2, v10
	;; [unrolled: 1-line block ×4, first 2 shown]
	v_add_f32_e32 v14, v14, v147
	v_fmac_f32_e32 v24, v2, v9
	v_fma_f32 v141, v1, v9, -v10
	v_fmac_f32_e32 v140, v4, v11
	v_fma_f32 v142, v3, v11, -v12
	s_clause 0x1
	scratch_load_b128 v[1:4], off, off offset:368
	scratch_load_b128 v[9:12], off, off offset:384
	v_add_f32_e32 v14, v14, v148
	v_add_f32_e32 v18, v18, v158
	s_delay_alu instid0(VALU_DEP_2) | instskip(SKIP_2) | instid1(VALU_DEP_1)
	v_add_f32_e32 v17, v14, v151
	scratch_load_b128 v[13:16], off, off offset:400
	v_dual_add_f32 v18, v18, v160 :: v_dual_add_f32 v17, v17, v153
	v_add_f32_e32 v18, v18, v162
	s_delay_alu instid0(VALU_DEP_1) | instskip(NEXT) | instid1(VALU_DEP_1)
	v_add_f32_e32 v138, v18, v164
	v_add_f32_e32 v143, v138, v166
	s_wait_loadcnt_dscnt 0x200
	v_mul_f32_e32 v145, v5, v2
	v_dual_mul_f32 v2, v6, v2 :: v_dual_add_f32 v17, v17, v155
	v_mul_f32_e32 v146, v7, v4
	v_mul_f32_e32 v4, v8, v4
	v_add_f32_e32 v143, v143, v168
	s_delay_alu instid0(VALU_DEP_4) | instskip(NEXT) | instid1(VALU_DEP_4)
	v_fma_f32 v2, v5, v1, -v2
	v_dual_add_f32 v17, v17, v157 :: v_dual_fmac_f32 v146, v8, v3
	s_delay_alu instid0(VALU_DEP_1) | instskip(NEXT) | instid1(VALU_DEP_1)
	v_add_f32_e32 v17, v17, v159
	v_add_f32_e32 v134, v17, v161
	ds_load_b128 v[17:20], v21 offset:816
	v_add_f32_e32 v139, v134, v163
	ds_load_b128 v[134:137], v21 offset:832
	v_add_f32_e32 v143, v143, v170
	v_add_f32_e32 v144, v139, v165
	ds_load_b64 v[138:139], v21 offset:848
	v_add_f32_e32 v144, v144, v167
	s_delay_alu instid0(VALU_DEP_1) | instskip(SKIP_2) | instid1(VALU_DEP_2)
	v_add_f32_e32 v144, v144, v169
	s_wait_loadcnt_dscnt 0x102
	v_mul_f32_e32 v5, v20, v12
	v_dual_add_f32 v24, v144, v24 :: v_dual_add_f32 v141, v143, v141
	v_dual_mul_f32 v143, v17, v10 :: v_dual_mul_f32 v144, v19, v12
	s_delay_alu instid0(VALU_DEP_2)
	v_dual_add_f32 v24, v24, v140 :: v_dual_add_f32 v141, v141, v142
	s_wait_dscnt 0x0
	v_mul_f32_e32 v140, v138, v132
	v_fmac_f32_e32 v145, v6, v1
	v_fma_f32 v1, v7, v3, -v4
	v_dual_mul_f32 v3, v18, v10 :: v_dual_fmac_f32 v144, v20, v11
	v_add_f32_e32 v2, v141, v2
	s_wait_loadcnt 0x0
	v_dual_mul_f32 v147, v134, v14 :: v_dual_add_f32 v4, v24, v145
	v_dual_mul_f32 v142, v136, v16 :: v_dual_fmac_f32 v143, v18, v9
	v_fma_f32 v3, v17, v9, -v3
	s_delay_alu instid0(VALU_DEP_3) | instskip(SKIP_3) | instid1(VALU_DEP_4)
	v_dual_add_f32 v1, v2, v1 :: v_dual_add_f32 v2, v4, v146
	v_mul_f32_e32 v4, v135, v14
	v_fma_f32 v5, v19, v11, -v5
	v_dual_fmac_f32 v142, v137, v15 :: v_dual_fmac_f32 v147, v135, v13
	v_add_f32_e32 v2, v2, v143
	v_add_f32_e32 v1, v1, v3
	v_mul_f32_e32 v3, v137, v16
	v_fma_f32 v4, v134, v13, -v4
	v_fmac_f32_e32 v140, v139, v131
	s_delay_alu instid0(VALU_DEP_4) | instskip(SKIP_2) | instid1(VALU_DEP_3)
	v_dual_add_f32 v2, v2, v144 :: v_dual_add_f32 v1, v1, v5
	v_mul_f32_e32 v5, v139, v132
	v_fma_f32 v3, v136, v15, -v3
	v_dual_add_f32 v2, v2, v147 :: v_dual_add_f32 v1, v1, v4
	s_delay_alu instid0(VALU_DEP_3) | instskip(NEXT) | instid1(VALU_DEP_2)
	v_fma_f32 v4, v138, v131, -v5
	v_dual_add_f32 v2, v2, v142 :: v_dual_add_f32 v1, v1, v3
	s_delay_alu instid0(VALU_DEP_1) | instskip(NEXT) | instid1(VALU_DEP_1)
	v_add_f32_e32 v2, v2, v140
	v_dual_add_f32 v1, v1, v4 :: v_dual_sub_f32 v2, v23, v2
	s_delay_alu instid0(VALU_DEP_1)
	v_sub_f32_e32 v1, v22, v1
	scratch_store_b64 off, v[1:2], off offset:152
	v_cmpx_lt_u32_e32 18, v0
	s_cbranch_execz .LBB52_295
; %bb.294:
	scratch_load_b64 v[1:2], off, off offset:144
	v_mov_b32_e32 v22, v21
	scratch_store_b64 off, v[21:22], off offset:144
	s_wait_loadcnt 0x0
	ds_store_b64 v133, v[1:2]
.LBB52_295:
	s_wait_alu 0xfffe
	s_or_b32 exec_lo, exec_lo, s0
	s_wait_storecnt_dscnt 0x0
	s_barrier_signal -1
	s_barrier_wait -1
	global_inv scope:SCOPE_SE
	s_clause 0x4
	scratch_load_b128 v[5:8], off, off offset:152
	scratch_load_b128 v[1:4], off, off offset:168
	;; [unrolled: 1-line block ×5, first 2 shown]
	ds_load_2addr_b64 v[134:137], v21 offset0:73 offset1:74
	ds_load_2addr_b64 v[138:141], v21 offset0:75 offset1:76
	;; [unrolled: 1-line block ×3, first 2 shown]
	scratch_load_b64 v[131:132], off, off offset:144
	s_mov_b32 s0, exec_lo
	s_wait_loadcnt_dscnt 0x502
	v_mul_f32_e32 v22, v135, v6
	v_dual_mul_f32 v23, v134, v6 :: v_dual_mul_f32 v24, v136, v8
	v_mul_f32_e32 v6, v137, v8
	s_delay_alu instid0(VALU_DEP_3) | instskip(NEXT) | instid1(VALU_DEP_3)
	v_fma_f32 v22, v134, v5, -v22
	v_dual_fmac_f32 v23, v135, v5 :: v_dual_fmac_f32 v24, v137, v7
	s_wait_loadcnt_dscnt 0x401
	v_mul_f32_e32 v135, v138, v2
	v_fma_f32 v134, v136, v7, -v6
	ds_load_2addr_b64 v[5:8], v21 offset0:79 offset1:80
	s_wait_loadcnt_dscnt 0x301
	v_dual_mul_f32 v136, v140, v4 :: v_dual_mul_f32 v137, v142, v10
	v_dual_mul_f32 v4, v141, v4 :: v_dual_fmac_f32 v135, v139, v1
	v_mul_f32_e32 v10, v143, v10
	s_delay_alu instid0(VALU_DEP_3)
	v_dual_mul_f32 v146, v144, v12 :: v_dual_fmac_f32 v137, v143, v9
	v_mul_f32_e32 v12, v145, v12
	v_mul_f32_e32 v2, v139, v2
	v_fmac_f32_e32 v136, v141, v3
	v_fma_f32 v139, v140, v3, -v4
	v_fma_f32 v140, v142, v9, -v10
	v_fmac_f32_e32 v146, v145, v11
	v_fma_f32 v141, v144, v11, -v12
	ds_load_2addr_b64 v[9:12], v21 offset0:81 offset1:82
	s_wait_loadcnt_dscnt 0x201
	v_mul_f32_e32 v142, v5, v14
	v_dual_mul_f32 v14, v6, v14 :: v_dual_mul_f32 v143, v7, v16
	v_mul_f32_e32 v16, v8, v16
	s_delay_alu instid0(VALU_DEP_3) | instskip(NEXT) | instid1(VALU_DEP_3)
	v_fmac_f32_e32 v142, v6, v13
	v_fma_f32 v13, v5, v13, -v14
	s_delay_alu instid0(VALU_DEP_4) | instskip(NEXT) | instid1(VALU_DEP_4)
	v_fmac_f32_e32 v143, v8, v15
	v_fma_f32 v14, v7, v15, -v16
	ds_load_2addr_b64 v[5:8], v21 offset0:83 offset1:84
	s_wait_loadcnt_dscnt 0x101
	v_mul_f32_e32 v15, v9, v18
	v_mul_f32_e32 v16, v10, v18
	;; [unrolled: 1-line block ×3, first 2 shown]
	s_delay_alu instid0(VALU_DEP_3)
	v_dual_mul_f32 v20, v12, v20 :: v_dual_fmac_f32 v15, v10, v17
	v_fma_f32 v138, v138, v1, -v2
	scratch_load_b128 v[1:4], off, off offset:232
	v_fma_f32 v16, v9, v17, -v16
	v_fmac_f32_e32 v18, v12, v19
	v_fma_f32 v17, v11, v19, -v20
	scratch_load_b128 v[9:12], off, off offset:248
	s_wait_loadcnt_dscnt 0x100
	v_mul_f32_e32 v19, v5, v2
	v_mul_f32_e32 v2, v6, v2
	;; [unrolled: 1-line block ×3, first 2 shown]
	s_delay_alu instid0(VALU_DEP_3) | instskip(NEXT) | instid1(VALU_DEP_3)
	v_dual_mul_f32 v4, v8, v4 :: v_dual_fmac_f32 v19, v6, v1
	v_fma_f32 v144, v5, v1, -v2
	s_delay_alu instid0(VALU_DEP_3) | instskip(NEXT) | instid1(VALU_DEP_3)
	v_fmac_f32_e32 v20, v8, v3
	v_fma_f32 v145, v7, v3, -v4
	ds_load_2addr_b64 v[1:4], v21 offset0:85 offset1:86
	ds_load_2addr_b64 v[5:8], v21 offset0:87 offset1:88
	s_wait_loadcnt_dscnt 0x1
	v_mul_f32_e32 v147, v1, v10
	v_mul_f32_e32 v10, v2, v10
	s_delay_alu instid0(VALU_DEP_2) | instskip(NEXT) | instid1(VALU_DEP_2)
	v_dual_mul_f32 v148, v3, v12 :: v_dual_fmac_f32 v147, v2, v9
	v_fma_f32 v149, v1, v9, -v10
	v_mul_f32_e32 v1, v4, v12
	s_delay_alu instid0(VALU_DEP_3) | instskip(NEXT) | instid1(VALU_DEP_2)
	v_fmac_f32_e32 v148, v4, v11
	v_fma_f32 v150, v3, v11, -v1
	s_clause 0x1
	scratch_load_b128 v[1:4], off, off offset:264
	scratch_load_b128 v[9:12], off, off offset:280
	s_wait_loadcnt_dscnt 0x100
	v_mul_f32_e32 v151, v5, v2
	v_dual_mul_f32 v2, v6, v2 :: v_dual_mul_f32 v153, v7, v4
	s_delay_alu instid0(VALU_DEP_2) | instskip(NEXT) | instid1(VALU_DEP_2)
	v_fmac_f32_e32 v151, v6, v1
	v_fma_f32 v152, v5, v1, -v2
	v_mul_f32_e32 v1, v8, v4
	s_delay_alu instid0(VALU_DEP_4) | instskip(NEXT) | instid1(VALU_DEP_2)
	v_fmac_f32_e32 v153, v8, v3
	v_fma_f32 v154, v7, v3, -v1
	ds_load_2addr_b64 v[1:4], v21 offset0:89 offset1:90
	ds_load_2addr_b64 v[5:8], v21 offset0:91 offset1:92
	s_wait_loadcnt_dscnt 0x1
	v_mul_f32_e32 v155, v1, v10
	v_mul_f32_e32 v157, v3, v12
	s_delay_alu instid0(VALU_DEP_2) | instskip(NEXT) | instid1(VALU_DEP_2)
	v_fmac_f32_e32 v155, v2, v9
	v_dual_mul_f32 v2, v2, v10 :: v_dual_fmac_f32 v157, v4, v11
	s_delay_alu instid0(VALU_DEP_1) | instskip(SKIP_1) | instid1(VALU_DEP_1)
	v_fma_f32 v156, v1, v9, -v2
	v_mul_f32_e32 v1, v4, v12
	v_fma_f32 v158, v3, v11, -v1
	s_clause 0x1
	scratch_load_b128 v[1:4], off, off offset:296
	scratch_load_b128 v[9:12], off, off offset:312
	s_wait_loadcnt_dscnt 0x100
	v_mul_f32_e32 v159, v5, v2
	v_dual_mul_f32 v2, v6, v2 :: v_dual_mul_f32 v161, v7, v4
	s_delay_alu instid0(VALU_DEP_2) | instskip(NEXT) | instid1(VALU_DEP_2)
	v_fmac_f32_e32 v159, v6, v1
	v_fma_f32 v160, v5, v1, -v2
	v_mul_f32_e32 v1, v8, v4
	s_delay_alu instid0(VALU_DEP_4) | instskip(NEXT) | instid1(VALU_DEP_2)
	v_fmac_f32_e32 v161, v8, v3
	v_fma_f32 v162, v7, v3, -v1
	ds_load_2addr_b64 v[1:4], v21 offset0:93 offset1:94
	ds_load_2addr_b64 v[5:8], v21 offset0:95 offset1:96
	s_wait_loadcnt_dscnt 0x1
	v_mul_f32_e32 v163, v1, v10
	v_mul_f32_e32 v165, v3, v12
	s_delay_alu instid0(VALU_DEP_2) | instskip(NEXT) | instid1(VALU_DEP_2)
	v_fmac_f32_e32 v163, v2, v9
	v_dual_mul_f32 v2, v2, v10 :: v_dual_fmac_f32 v165, v4, v11
	s_delay_alu instid0(VALU_DEP_1) | instskip(SKIP_1) | instid1(VALU_DEP_1)
	v_fma_f32 v164, v1, v9, -v2
	v_mul_f32_e32 v1, v4, v12
	v_fma_f32 v166, v3, v11, -v1
	s_clause 0x1
	scratch_load_b128 v[1:4], off, off offset:328
	scratch_load_b128 v[9:12], off, off offset:344
	s_wait_loadcnt_dscnt 0x100
	v_mul_f32_e32 v167, v5, v2
	v_mul_f32_e32 v2, v6, v2
	s_delay_alu instid0(VALU_DEP_1) | instskip(SKIP_1) | instid1(VALU_DEP_1)
	v_fma_f32 v168, v5, v1, -v2
	v_add_f32_e32 v2, 0, v23
	v_add_f32_e32 v2, v2, v24
	v_fmac_f32_e32 v167, v6, v1
	s_delay_alu instid0(VALU_DEP_2) | instskip(NEXT) | instid1(VALU_DEP_1)
	v_add_f32_e32 v2, v2, v135
	v_add_f32_e32 v2, v2, v136
	s_delay_alu instid0(VALU_DEP_1) | instskip(NEXT) | instid1(VALU_DEP_1)
	v_dual_mul_f32 v169, v7, v4 :: v_dual_add_f32 v2, v2, v137
	v_dual_fmac_f32 v169, v8, v3 :: v_dual_add_f32 v2, v2, v146
	s_delay_alu instid0(VALU_DEP_1) | instskip(NEXT) | instid1(VALU_DEP_1)
	v_dual_mul_f32 v1, v8, v4 :: v_dual_add_f32 v2, v2, v142
	v_fma_f32 v170, v7, v3, -v1
	s_delay_alu instid0(VALU_DEP_2) | instskip(NEXT) | instid1(VALU_DEP_1)
	v_dual_add_f32 v1, 0, v22 :: v_dual_add_f32 v2, v2, v143
	v_dual_add_f32 v1, v1, v134 :: v_dual_add_f32 v2, v2, v15
	s_delay_alu instid0(VALU_DEP_1) | instskip(NEXT) | instid1(VALU_DEP_2)
	v_add_f32_e32 v1, v1, v138
	v_add_f32_e32 v5, v2, v18
	s_delay_alu instid0(VALU_DEP_2) | instskip(NEXT) | instid1(VALU_DEP_1)
	v_add_f32_e32 v1, v1, v139
	v_add_f32_e32 v1, v1, v140
	s_delay_alu instid0(VALU_DEP_1) | instskip(NEXT) | instid1(VALU_DEP_1)
	v_add_f32_e32 v1, v1, v141
	v_add_f32_e32 v1, v1, v13
	;; [unrolled: 1-line block ×3, first 2 shown]
	s_delay_alu instid0(VALU_DEP_1) | instskip(NEXT) | instid1(VALU_DEP_1)
	v_add_f32_e32 v13, v13, v20
	v_add_f32_e32 v13, v13, v147
	s_delay_alu instid0(VALU_DEP_1) | instskip(NEXT) | instid1(VALU_DEP_1)
	v_add_f32_e32 v18, v13, v148
	v_dual_add_f32 v18, v18, v151 :: v_dual_add_f32 v1, v1, v14
	s_delay_alu instid0(VALU_DEP_1) | instskip(NEXT) | instid1(VALU_DEP_1)
	v_dual_add_f32 v18, v18, v153 :: v_dual_add_f32 v1, v1, v16
	v_dual_add_f32 v22, v18, v155 :: v_dual_add_f32 v1, v1, v17
	s_delay_alu instid0(VALU_DEP_1) | instskip(NEXT) | instid1(VALU_DEP_2)
	v_add_f32_e32 v22, v22, v157
	v_add_f32_e32 v6, v1, v144
	ds_load_2addr_b64 v[1:4], v21 offset0:97 offset1:98
	v_add_f32_e32 v22, v22, v159
	v_add_f32_e32 v14, v6, v145
	scratch_load_b128 v[5:8], off, off offset:360
	v_add_f32_e32 v14, v14, v149
	s_delay_alu instid0(VALU_DEP_1)
	v_add_f32_e32 v17, v14, v150
	ds_load_2addr_b64 v[13:16], v21 offset0:99 offset1:100
	v_add_f32_e32 v17, v17, v152
	s_wait_loadcnt_dscnt 0x101
	v_dual_mul_f32 v134, v1, v10 :: v_dual_mul_f32 v135, v3, v12
	v_mul_f32_e32 v10, v2, v10
	v_mul_f32_e32 v12, v4, v12
	s_delay_alu instid0(VALU_DEP_3) | instskip(NEXT) | instid1(VALU_DEP_3)
	v_dual_fmac_f32 v134, v2, v9 :: v_dual_fmac_f32 v135, v4, v11
	v_fma_f32 v136, v1, v9, -v10
	s_delay_alu instid0(VALU_DEP_3)
	v_fma_f32 v137, v3, v11, -v12
	s_clause 0x1
	scratch_load_b128 v[1:4], off, off offset:376
	scratch_load_b128 v[9:12], off, off offset:392
	s_wait_loadcnt_dscnt 0x200
	v_mul_f32_e32 v138, v13, v6
	v_add_f32_e32 v17, v17, v154
	v_dual_mul_f32 v6, v14, v6 :: v_dual_mul_f32 v139, v15, v8
	v_mul_f32_e32 v8, v16, v8
	s_delay_alu instid0(VALU_DEP_3) | instskip(NEXT) | instid1(VALU_DEP_3)
	v_dual_fmac_f32 v138, v14, v5 :: v_dual_add_f32 v17, v17, v156
	v_fma_f32 v140, v13, v5, -v6
	v_add_f32_e32 v13, v22, v161
	v_fmac_f32_e32 v139, v16, v7
	v_fma_f32 v141, v15, v7, -v8
	v_add_f32_e32 v23, v17, v158
	scratch_load_b128 v[17:20], off, off offset:408
	ds_load_2addr_b64 v[5:8], v21 offset0:101 offset1:102
	v_add_f32_e32 v23, v23, v160
	s_delay_alu instid0(VALU_DEP_1) | instskip(NEXT) | instid1(VALU_DEP_1)
	v_add_f32_e32 v23, v23, v162
	v_add_f32_e32 v22, v23, v164
	s_delay_alu instid0(VALU_DEP_1) | instskip(NEXT) | instid1(VALU_DEP_1)
	v_add_f32_e32 v142, v22, v166
	;; [unrolled: 3-line block ×3, first 2 shown]
	v_dual_add_f32 v136, v142, v136 :: v_dual_add_f32 v23, v13, v163
	ds_load_2addr_b64 v[13:16], v21 offset0:103 offset1:104
	s_wait_loadcnt_dscnt 0x201
	v_mul_f32_e32 v144, v5, v2
	v_mul_f32_e32 v2, v6, v2
	v_add_f32_e32 v136, v136, v137
	v_add_f32_e32 v143, v23, v165
	ds_load_2addr_b64 v[21:24], v21 offset0:105 offset1:106
	v_mul_f32_e32 v142, v7, v4
	v_mul_f32_e32 v4, v8, v4
	v_dual_add_f32 v136, v136, v140 :: v_dual_add_f32 v143, v143, v167
	v_fma_f32 v2, v5, v1, -v2
	s_delay_alu instid0(VALU_DEP_4) | instskip(NEXT) | instid1(VALU_DEP_4)
	v_fmac_f32_e32 v142, v8, v3
	v_fma_f32 v3, v7, v3, -v4
	v_fmac_f32_e32 v144, v6, v1
	v_add_f32_e32 v143, v143, v169
	s_delay_alu instid0(VALU_DEP_1) | instskip(SKIP_3) | instid1(VALU_DEP_3)
	v_add_f32_e32 v134, v143, v134
	s_wait_loadcnt_dscnt 0x101
	v_dual_mul_f32 v143, v13, v10 :: v_dual_mul_f32 v4, v16, v12
	v_mul_f32_e32 v6, v14, v10
	v_dual_add_f32 v134, v134, v135 :: v_dual_mul_f32 v145, v15, v12
	s_delay_alu instid0(VALU_DEP_3) | instskip(NEXT) | instid1(VALU_DEP_4)
	v_fmac_f32_e32 v143, v14, v9
	v_fma_f32 v4, v15, v11, -v4
	s_delay_alu instid0(VALU_DEP_3) | instskip(NEXT) | instid1(VALU_DEP_1)
	v_add_f32_e32 v134, v134, v138
	v_add_f32_e32 v5, v134, v139
	;; [unrolled: 1-line block ×3, first 2 shown]
	s_delay_alu instid0(VALU_DEP_1) | instskip(NEXT) | instid1(VALU_DEP_3)
	v_add_f32_e32 v1, v1, v2
	v_add_f32_e32 v2, v5, v144
	v_fma_f32 v5, v13, v9, -v6
	s_delay_alu instid0(VALU_DEP_2) | instskip(NEXT) | instid1(VALU_DEP_1)
	v_dual_add_f32 v1, v1, v3 :: v_dual_add_f32 v2, v2, v142
	v_dual_add_f32 v1, v1, v5 :: v_dual_add_f32 v2, v2, v143
	s_wait_loadcnt_dscnt 0x0
	v_mul_f32_e32 v135, v21, v18
	v_mul_f32_e32 v137, v23, v20
	;; [unrolled: 1-line block ×3, first 2 shown]
	s_delay_alu instid0(VALU_DEP_3) | instskip(NEXT) | instid1(VALU_DEP_3)
	v_fmac_f32_e32 v135, v22, v17
	v_fmac_f32_e32 v137, v24, v19
	;; [unrolled: 1-line block ×3, first 2 shown]
	v_mul_f32_e32 v5, v24, v20
	v_fma_f32 v3, v21, v17, -v3
	s_delay_alu instid0(VALU_DEP_3) | instskip(NEXT) | instid1(VALU_DEP_3)
	v_dual_add_f32 v2, v2, v145 :: v_dual_add_f32 v1, v1, v4
	v_fma_f32 v4, v23, v19, -v5
	s_delay_alu instid0(VALU_DEP_2) | instskip(NEXT) | instid1(VALU_DEP_1)
	v_add_f32_e32 v2, v2, v135
	v_dual_add_f32 v1, v1, v3 :: v_dual_add_f32 v2, v2, v137
	s_delay_alu instid0(VALU_DEP_1) | instskip(NEXT) | instid1(VALU_DEP_1)
	v_dual_add_f32 v1, v1, v4 :: v_dual_sub_f32 v2, v132, v2
	v_sub_f32_e32 v1, v131, v1
	scratch_store_b64 off, v[1:2], off offset:144
	v_cmpx_lt_u32_e32 17, v0
	s_cbranch_execz .LBB52_297
; %bb.296:
	scratch_load_b64 v[1:2], off, off offset:136
	v_mov_b32_e32 v3, 0
	s_delay_alu instid0(VALU_DEP_1)
	v_mov_b32_e32 v4, v3
	scratch_store_b64 off, v[3:4], off offset:136
	s_wait_loadcnt 0x0
	ds_store_b64 v133, v[1:2]
.LBB52_297:
	s_wait_alu 0xfffe
	s_or_b32 exec_lo, exec_lo, s0
	s_wait_storecnt_dscnt 0x0
	s_barrier_signal -1
	s_barrier_wait -1
	global_inv scope:SCOPE_SE
	s_clause 0x4
	scratch_load_b128 v[5:8], off, off offset:144
	scratch_load_b128 v[1:4], off, off offset:160
	;; [unrolled: 1-line block ×5, first 2 shown]
	v_mov_b32_e32 v21, 0
	ds_load_b128 v[134:137], v21 offset:576
	ds_load_b128 v[138:141], v21 offset:592
	;; [unrolled: 1-line block ×3, first 2 shown]
	scratch_load_b64 v[22:23], off, off offset:136
	s_mov_b32 s0, exec_lo
	s_wait_loadcnt_dscnt 0x502
	v_mul_f32_e32 v24, v135, v6
	v_dual_mul_f32 v131, v134, v6 :: v_dual_mul_f32 v132, v136, v8
	v_mul_f32_e32 v6, v137, v8
	s_delay_alu instid0(VALU_DEP_3) | instskip(NEXT) | instid1(VALU_DEP_3)
	v_fma_f32 v24, v134, v5, -v24
	v_dual_fmac_f32 v131, v135, v5 :: v_dual_fmac_f32 v132, v137, v7
	s_wait_loadcnt_dscnt 0x401
	v_mul_f32_e32 v135, v138, v2
	v_fma_f32 v134, v136, v7, -v6
	ds_load_b128 v[5:8], v21 offset:624
	s_wait_loadcnt_dscnt 0x301
	v_dual_mul_f32 v136, v140, v4 :: v_dual_mul_f32 v137, v142, v10
	v_dual_mul_f32 v4, v141, v4 :: v_dual_fmac_f32 v135, v139, v1
	v_mul_f32_e32 v10, v143, v10
	s_delay_alu instid0(VALU_DEP_3)
	v_dual_mul_f32 v146, v144, v12 :: v_dual_fmac_f32 v137, v143, v9
	v_mul_f32_e32 v12, v145, v12
	v_mul_f32_e32 v2, v139, v2
	v_fmac_f32_e32 v136, v141, v3
	v_fma_f32 v139, v140, v3, -v4
	v_fma_f32 v140, v142, v9, -v10
	v_fmac_f32_e32 v146, v145, v11
	v_fma_f32 v141, v144, v11, -v12
	ds_load_b128 v[9:12], v21 offset:640
	s_wait_loadcnt_dscnt 0x201
	v_dual_mul_f32 v143, v7, v16 :: v_dual_mul_f32 v142, v5, v14
	v_mul_f32_e32 v14, v6, v14
	v_mul_f32_e32 v16, v8, v16
	s_delay_alu instid0(VALU_DEP_3)
	v_fmac_f32_e32 v143, v8, v15
	v_fma_f32 v138, v138, v1, -v2
	scratch_load_b128 v[1:4], off, off offset:224
	v_fmac_f32_e32 v142, v6, v13
	v_fma_f32 v13, v5, v13, -v14
	v_fma_f32 v14, v7, v15, -v16
	ds_load_b128 v[5:8], v21 offset:656
	s_wait_loadcnt_dscnt 0x201
	v_mul_f32_e32 v15, v9, v18
	v_mul_f32_e32 v16, v10, v18
	;; [unrolled: 1-line block ×3, first 2 shown]
	s_delay_alu instid0(VALU_DEP_3) | instskip(NEXT) | instid1(VALU_DEP_3)
	v_dual_mul_f32 v20, v12, v20 :: v_dual_fmac_f32 v15, v10, v17
	v_fma_f32 v16, v9, v17, -v16
	s_delay_alu instid0(VALU_DEP_3) | instskip(NEXT) | instid1(VALU_DEP_3)
	v_fmac_f32_e32 v18, v12, v19
	v_fma_f32 v17, v11, v19, -v20
	scratch_load_b128 v[9:12], off, off offset:240
	s_wait_loadcnt_dscnt 0x100
	v_mul_f32_e32 v19, v5, v2
	v_mul_f32_e32 v2, v6, v2
	;; [unrolled: 1-line block ×3, first 2 shown]
	s_delay_alu instid0(VALU_DEP_3) | instskip(NEXT) | instid1(VALU_DEP_3)
	v_dual_mul_f32 v4, v8, v4 :: v_dual_fmac_f32 v19, v6, v1
	v_fma_f32 v144, v5, v1, -v2
	s_delay_alu instid0(VALU_DEP_3) | instskip(NEXT) | instid1(VALU_DEP_3)
	v_fmac_f32_e32 v20, v8, v3
	v_fma_f32 v145, v7, v3, -v4
	ds_load_b128 v[1:4], v21 offset:672
	ds_load_b128 v[5:8], v21 offset:688
	s_wait_loadcnt_dscnt 0x1
	v_mul_f32_e32 v147, v1, v10
	v_mul_f32_e32 v10, v2, v10
	s_delay_alu instid0(VALU_DEP_2) | instskip(NEXT) | instid1(VALU_DEP_2)
	v_dual_mul_f32 v148, v3, v12 :: v_dual_fmac_f32 v147, v2, v9
	v_fma_f32 v149, v1, v9, -v10
	v_mul_f32_e32 v1, v4, v12
	s_delay_alu instid0(VALU_DEP_3) | instskip(NEXT) | instid1(VALU_DEP_2)
	v_fmac_f32_e32 v148, v4, v11
	v_fma_f32 v150, v3, v11, -v1
	s_clause 0x1
	scratch_load_b128 v[1:4], off, off offset:256
	scratch_load_b128 v[9:12], off, off offset:272
	s_wait_loadcnt_dscnt 0x100
	v_mul_f32_e32 v151, v5, v2
	v_dual_mul_f32 v2, v6, v2 :: v_dual_mul_f32 v153, v7, v4
	s_delay_alu instid0(VALU_DEP_2) | instskip(NEXT) | instid1(VALU_DEP_2)
	v_fmac_f32_e32 v151, v6, v1
	v_fma_f32 v152, v5, v1, -v2
	v_mul_f32_e32 v1, v8, v4
	s_delay_alu instid0(VALU_DEP_4) | instskip(NEXT) | instid1(VALU_DEP_2)
	v_fmac_f32_e32 v153, v8, v3
	v_fma_f32 v154, v7, v3, -v1
	ds_load_b128 v[1:4], v21 offset:704
	ds_load_b128 v[5:8], v21 offset:720
	s_wait_loadcnt_dscnt 0x1
	v_mul_f32_e32 v155, v1, v10
	v_mul_f32_e32 v157, v3, v12
	s_delay_alu instid0(VALU_DEP_2) | instskip(NEXT) | instid1(VALU_DEP_2)
	v_fmac_f32_e32 v155, v2, v9
	v_dual_mul_f32 v2, v2, v10 :: v_dual_fmac_f32 v157, v4, v11
	s_delay_alu instid0(VALU_DEP_1) | instskip(SKIP_1) | instid1(VALU_DEP_1)
	v_fma_f32 v156, v1, v9, -v2
	v_mul_f32_e32 v1, v4, v12
	v_fma_f32 v158, v3, v11, -v1
	s_clause 0x1
	scratch_load_b128 v[1:4], off, off offset:288
	scratch_load_b128 v[9:12], off, off offset:304
	s_wait_loadcnt_dscnt 0x100
	v_mul_f32_e32 v159, v5, v2
	v_dual_mul_f32 v161, v7, v4 :: v_dual_mul_f32 v2, v6, v2
	s_delay_alu instid0(VALU_DEP_2) | instskip(NEXT) | instid1(VALU_DEP_2)
	v_fmac_f32_e32 v159, v6, v1
	v_fmac_f32_e32 v161, v8, v3
	s_delay_alu instid0(VALU_DEP_3) | instskip(SKIP_1) | instid1(VALU_DEP_1)
	v_fma_f32 v160, v5, v1, -v2
	v_mul_f32_e32 v1, v8, v4
	v_fma_f32 v162, v7, v3, -v1
	ds_load_b128 v[1:4], v21 offset:736
	ds_load_b128 v[5:8], v21 offset:752
	s_wait_loadcnt_dscnt 0x1
	v_mul_f32_e32 v163, v1, v10
	v_mul_f32_e32 v165, v3, v12
	s_delay_alu instid0(VALU_DEP_2) | instskip(NEXT) | instid1(VALU_DEP_2)
	v_fmac_f32_e32 v163, v2, v9
	v_dual_mul_f32 v2, v2, v10 :: v_dual_fmac_f32 v165, v4, v11
	s_delay_alu instid0(VALU_DEP_1) | instskip(SKIP_1) | instid1(VALU_DEP_1)
	v_fma_f32 v164, v1, v9, -v2
	v_mul_f32_e32 v1, v4, v12
	v_fma_f32 v166, v3, v11, -v1
	s_clause 0x1
	scratch_load_b128 v[1:4], off, off offset:320
	scratch_load_b128 v[9:12], off, off offset:336
	s_wait_loadcnt_dscnt 0x100
	v_mul_f32_e32 v167, v5, v2
	v_mul_f32_e32 v2, v6, v2
	s_delay_alu instid0(VALU_DEP_1) | instskip(SKIP_1) | instid1(VALU_DEP_1)
	v_fma_f32 v168, v5, v1, -v2
	v_add_f32_e32 v2, 0, v131
	v_add_f32_e32 v2, v2, v132
	s_delay_alu instid0(VALU_DEP_1) | instskip(NEXT) | instid1(VALU_DEP_1)
	v_add_f32_e32 v2, v2, v135
	v_add_f32_e32 v2, v2, v136
	v_mul_f32_e32 v169, v7, v4
	v_fmac_f32_e32 v167, v6, v1
	s_delay_alu instid0(VALU_DEP_2) | instskip(NEXT) | instid1(VALU_DEP_1)
	v_dual_add_f32 v2, v2, v137 :: v_dual_fmac_f32 v169, v8, v3
	v_dual_add_f32 v2, v2, v146 :: v_dual_mul_f32 v1, v8, v4
	s_delay_alu instid0(VALU_DEP_1) | instskip(NEXT) | instid1(VALU_DEP_2)
	v_add_f32_e32 v2, v2, v142
	v_fma_f32 v170, v7, v3, -v1
	s_delay_alu instid0(VALU_DEP_2) | instskip(NEXT) | instid1(VALU_DEP_1)
	v_dual_add_f32 v1, 0, v24 :: v_dual_add_f32 v2, v2, v143
	v_dual_add_f32 v1, v1, v134 :: v_dual_add_f32 v2, v2, v15
	s_delay_alu instid0(VALU_DEP_1) | instskip(NEXT) | instid1(VALU_DEP_2)
	v_add_f32_e32 v1, v1, v138
	v_add_f32_e32 v5, v2, v18
	s_delay_alu instid0(VALU_DEP_2) | instskip(NEXT) | instid1(VALU_DEP_1)
	v_add_f32_e32 v1, v1, v139
	v_add_f32_e32 v1, v1, v140
	s_delay_alu instid0(VALU_DEP_1) | instskip(NEXT) | instid1(VALU_DEP_1)
	v_add_f32_e32 v1, v1, v141
	v_add_f32_e32 v1, v1, v13
	;; [unrolled: 1-line block ×3, first 2 shown]
	s_delay_alu instid0(VALU_DEP_2) | instskip(NEXT) | instid1(VALU_DEP_2)
	v_add_f32_e32 v1, v1, v14
	v_add_f32_e32 v13, v13, v20
	s_delay_alu instid0(VALU_DEP_2) | instskip(NEXT) | instid1(VALU_DEP_1)
	v_add_f32_e32 v1, v1, v16
	v_add_f32_e32 v1, v1, v17
	s_delay_alu instid0(VALU_DEP_1)
	v_add_f32_e32 v6, v1, v144
	scratch_load_b128 v[1:4], off, off offset:352
	v_dual_add_f32 v13, v13, v147 :: v_dual_add_f32 v14, v6, v145
	ds_load_b128 v[5:8], v21 offset:768
	v_add_f32_e32 v18, v13, v148
	v_add_f32_e32 v14, v14, v149
	s_delay_alu instid0(VALU_DEP_2) | instskip(NEXT) | instid1(VALU_DEP_2)
	v_add_f32_e32 v18, v18, v151
	v_add_f32_e32 v17, v14, v150
	ds_load_b128 v[13:16], v21 offset:784
	v_add_f32_e32 v18, v18, v153
	s_wait_loadcnt_dscnt 0x101
	s_delay_alu instid0(VALU_DEP_1) | instskip(SKIP_3) | instid1(VALU_DEP_4)
	v_dual_add_f32 v131, v18, v155 :: v_dual_mul_f32 v24, v5, v10
	v_mul_f32_e32 v10, v6, v10
	v_mul_f32_e32 v140, v7, v12
	;; [unrolled: 1-line block ×3, first 2 shown]
	v_add_f32_e32 v134, v131, v157
	v_fmac_f32_e32 v24, v6, v9
	v_fma_f32 v141, v5, v9, -v10
	v_fmac_f32_e32 v140, v8, v11
	v_fma_f32 v142, v7, v11, -v12
	scratch_load_b128 v[5:8], off, off offset:368
	v_add_f32_e32 v134, v134, v159
	scratch_load_b128 v[9:12], off, off offset:384
	v_add_f32_e32 v134, v134, v161
	s_wait_loadcnt_dscnt 0x200
	v_mul_f32_e32 v144, v15, v4
	v_add_f32_e32 v17, v17, v152
	v_dual_mul_f32 v4, v16, v4 :: v_dual_mul_f32 v143, v13, v2
	v_mul_f32_e32 v2, v14, v2
	s_delay_alu instid0(VALU_DEP_3) | instskip(NEXT) | instid1(VALU_DEP_3)
	v_dual_fmac_f32 v144, v16, v3 :: v_dual_add_f32 v17, v17, v154
	v_fma_f32 v146, v15, v3, -v4
	s_delay_alu instid0(VALU_DEP_3) | instskip(SKIP_1) | instid1(VALU_DEP_4)
	v_fma_f32 v145, v13, v1, -v2
	v_add_f32_e32 v13, v134, v163
	v_add_f32_e32 v17, v17, v156
	s_delay_alu instid0(VALU_DEP_2) | instskip(NEXT) | instid1(VALU_DEP_2)
	v_add_f32_e32 v134, v13, v165
	v_add_f32_e32 v132, v17, v158
	scratch_load_b128 v[17:20], off, off offset:400
	v_add_f32_e32 v139, v134, v167
	v_add_f32_e32 v135, v132, v160
	scratch_load_b64 v[131:132], off, off offset:416
	v_add_f32_e32 v148, v139, v169
	s_delay_alu instid0(VALU_DEP_1) | instskip(NEXT) | instid1(VALU_DEP_1)
	v_dual_add_f32 v135, v135, v162 :: v_dual_add_f32 v24, v148, v24
	v_add_f32_e32 v135, v135, v164
	v_fmac_f32_e32 v143, v14, v1
	ds_load_b128 v[1:4], v21 offset:800
	v_add_f32_e32 v24, v24, v140
	v_add_f32_e32 v14, v135, v166
	ds_load_b128 v[134:137], v21 offset:832
	v_add_f32_e32 v24, v24, v143
	v_add_f32_e32 v138, v14, v168
	ds_load_b128 v[13:16], v21 offset:816
	v_dual_add_f32 v24, v24, v144 :: v_dual_add_f32 v147, v138, v170
	ds_load_b64 v[138:139], v21 offset:848
	s_wait_loadcnt_dscnt 0x303
	v_mul_f32_e32 v140, v3, v8
	v_add_f32_e32 v141, v147, v141
	v_dual_mul_f32 v147, v1, v6 :: v_dual_mul_f32 v8, v4, v8
	v_mul_f32_e32 v6, v2, v6
	s_delay_alu instid0(VALU_DEP_3) | instskip(NEXT) | instid1(VALU_DEP_3)
	v_dual_fmac_f32 v140, v4, v7 :: v_dual_add_f32 v141, v141, v142
	v_fmac_f32_e32 v147, v2, v5
	s_delay_alu instid0(VALU_DEP_4) | instskip(NEXT) | instid1(VALU_DEP_4)
	v_fma_f32 v2, v3, v7, -v8
	v_fma_f32 v1, v1, v5, -v6
	s_wait_loadcnt_dscnt 0x201
	v_dual_mul_f32 v142, v13, v10 :: v_dual_mul_f32 v143, v15, v12
	v_add_f32_e32 v141, v141, v145
	v_dual_mul_f32 v3, v14, v10 :: v_dual_add_f32 v4, v24, v147
	s_delay_alu instid0(VALU_DEP_3) | instskip(NEXT) | instid1(VALU_DEP_3)
	v_dual_mul_f32 v5, v16, v12 :: v_dual_fmac_f32 v142, v14, v9
	v_add_f32_e32 v141, v141, v146
	v_fmac_f32_e32 v143, v16, v11
	s_delay_alu instid0(VALU_DEP_4) | instskip(NEXT) | instid1(VALU_DEP_4)
	v_fma_f32 v3, v13, v9, -v3
	v_fma_f32 v5, v15, v11, -v5
	s_wait_loadcnt 0x1
	v_dual_mul_f32 v145, v134, v18 :: v_dual_mul_f32 v146, v136, v20
	s_wait_loadcnt_dscnt 0x0
	v_dual_mul_f32 v144, v138, v132 :: v_dual_add_f32 v1, v141, v1
	s_delay_alu instid0(VALU_DEP_2) | instskip(NEXT) | instid1(VALU_DEP_2)
	v_dual_fmac_f32 v145, v135, v17 :: v_dual_fmac_f32 v146, v137, v19
	v_dual_fmac_f32 v144, v139, v131 :: v_dual_add_f32 v1, v1, v2
	v_add_f32_e32 v2, v4, v140
	s_delay_alu instid0(VALU_DEP_1) | instskip(NEXT) | instid1(VALU_DEP_1)
	v_add_f32_e32 v2, v2, v142
	v_add_f32_e32 v2, v2, v143
	s_delay_alu instid0(VALU_DEP_4) | instskip(NEXT) | instid1(VALU_DEP_2)
	v_dual_mul_f32 v4, v135, v18 :: v_dual_add_f32 v1, v1, v3
	v_dual_mul_f32 v3, v137, v20 :: v_dual_add_f32 v2, v2, v145
	s_delay_alu instid0(VALU_DEP_2) | instskip(NEXT) | instid1(VALU_DEP_3)
	v_fma_f32 v4, v134, v17, -v4
	v_add_f32_e32 v1, v1, v5
	v_mul_f32_e32 v5, v139, v132
	s_delay_alu instid0(VALU_DEP_4) | instskip(SKIP_1) | instid1(VALU_DEP_1)
	v_fma_f32 v3, v136, v19, -v3
	v_add_f32_e32 v2, v2, v146
	v_add_f32_e32 v2, v2, v144
	;; [unrolled: 1-line block ×3, first 2 shown]
	v_fma_f32 v4, v138, v131, -v5
	s_delay_alu instid0(VALU_DEP_2) | instskip(NEXT) | instid1(VALU_DEP_1)
	v_dual_sub_f32 v2, v23, v2 :: v_dual_add_f32 v1, v1, v3
	v_add_f32_e32 v1, v1, v4
	s_delay_alu instid0(VALU_DEP_1)
	v_sub_f32_e32 v1, v22, v1
	scratch_store_b64 off, v[1:2], off offset:136
	v_cmpx_lt_u32_e32 16, v0
	s_cbranch_execz .LBB52_299
; %bb.298:
	scratch_load_b64 v[1:2], off, off offset:128
	v_mov_b32_e32 v22, v21
	scratch_store_b64 off, v[21:22], off offset:128
	s_wait_loadcnt 0x0
	ds_store_b64 v133, v[1:2]
.LBB52_299:
	s_wait_alu 0xfffe
	s_or_b32 exec_lo, exec_lo, s0
	s_wait_storecnt_dscnt 0x0
	s_barrier_signal -1
	s_barrier_wait -1
	global_inv scope:SCOPE_SE
	s_clause 0x4
	scratch_load_b128 v[5:8], off, off offset:136
	scratch_load_b128 v[1:4], off, off offset:152
	;; [unrolled: 1-line block ×5, first 2 shown]
	ds_load_2addr_b64 v[134:137], v21 offset0:71 offset1:72
	ds_load_2addr_b64 v[138:141], v21 offset0:73 offset1:74
	;; [unrolled: 1-line block ×3, first 2 shown]
	scratch_load_b64 v[131:132], off, off offset:128
	s_mov_b32 s0, exec_lo
	s_wait_loadcnt_dscnt 0x502
	v_mul_f32_e32 v22, v135, v6
	v_dual_mul_f32 v23, v134, v6 :: v_dual_mul_f32 v24, v136, v8
	v_mul_f32_e32 v6, v137, v8
	s_delay_alu instid0(VALU_DEP_3) | instskip(NEXT) | instid1(VALU_DEP_3)
	v_fma_f32 v22, v134, v5, -v22
	v_dual_fmac_f32 v23, v135, v5 :: v_dual_fmac_f32 v24, v137, v7
	s_wait_loadcnt_dscnt 0x401
	v_mul_f32_e32 v135, v138, v2
	v_fma_f32 v134, v136, v7, -v6
	ds_load_2addr_b64 v[5:8], v21 offset0:77 offset1:78
	s_wait_loadcnt_dscnt 0x301
	v_dual_mul_f32 v136, v140, v4 :: v_dual_mul_f32 v137, v142, v10
	v_dual_mul_f32 v4, v141, v4 :: v_dual_fmac_f32 v135, v139, v1
	v_mul_f32_e32 v10, v143, v10
	s_delay_alu instid0(VALU_DEP_3)
	v_dual_mul_f32 v146, v144, v12 :: v_dual_fmac_f32 v137, v143, v9
	v_mul_f32_e32 v12, v145, v12
	v_mul_f32_e32 v2, v139, v2
	v_fmac_f32_e32 v136, v141, v3
	v_fma_f32 v139, v140, v3, -v4
	v_fma_f32 v140, v142, v9, -v10
	v_fmac_f32_e32 v146, v145, v11
	v_fma_f32 v141, v144, v11, -v12
	ds_load_2addr_b64 v[9:12], v21 offset0:79 offset1:80
	s_wait_loadcnt_dscnt 0x201
	v_mul_f32_e32 v142, v5, v14
	v_dual_mul_f32 v14, v6, v14 :: v_dual_mul_f32 v143, v7, v16
	v_mul_f32_e32 v16, v8, v16
	s_delay_alu instid0(VALU_DEP_3) | instskip(NEXT) | instid1(VALU_DEP_3)
	v_fmac_f32_e32 v142, v6, v13
	v_fma_f32 v13, v5, v13, -v14
	s_delay_alu instid0(VALU_DEP_4) | instskip(NEXT) | instid1(VALU_DEP_4)
	v_fmac_f32_e32 v143, v8, v15
	v_fma_f32 v14, v7, v15, -v16
	ds_load_2addr_b64 v[5:8], v21 offset0:81 offset1:82
	s_wait_loadcnt_dscnt 0x101
	v_mul_f32_e32 v15, v9, v18
	v_mul_f32_e32 v16, v10, v18
	;; [unrolled: 1-line block ×3, first 2 shown]
	s_delay_alu instid0(VALU_DEP_3)
	v_dual_mul_f32 v20, v12, v20 :: v_dual_fmac_f32 v15, v10, v17
	v_fma_f32 v138, v138, v1, -v2
	scratch_load_b128 v[1:4], off, off offset:216
	v_fma_f32 v16, v9, v17, -v16
	v_fmac_f32_e32 v18, v12, v19
	v_fma_f32 v17, v11, v19, -v20
	scratch_load_b128 v[9:12], off, off offset:232
	s_wait_loadcnt_dscnt 0x100
	v_mul_f32_e32 v19, v5, v2
	v_mul_f32_e32 v2, v6, v2
	;; [unrolled: 1-line block ×3, first 2 shown]
	s_delay_alu instid0(VALU_DEP_3) | instskip(NEXT) | instid1(VALU_DEP_3)
	v_dual_mul_f32 v4, v8, v4 :: v_dual_fmac_f32 v19, v6, v1
	v_fma_f32 v144, v5, v1, -v2
	s_delay_alu instid0(VALU_DEP_3) | instskip(NEXT) | instid1(VALU_DEP_3)
	v_fmac_f32_e32 v20, v8, v3
	v_fma_f32 v145, v7, v3, -v4
	ds_load_2addr_b64 v[1:4], v21 offset0:83 offset1:84
	ds_load_2addr_b64 v[5:8], v21 offset0:85 offset1:86
	s_wait_loadcnt_dscnt 0x1
	v_mul_f32_e32 v147, v1, v10
	v_mul_f32_e32 v10, v2, v10
	s_delay_alu instid0(VALU_DEP_2) | instskip(NEXT) | instid1(VALU_DEP_2)
	v_dual_mul_f32 v148, v3, v12 :: v_dual_fmac_f32 v147, v2, v9
	v_fma_f32 v149, v1, v9, -v10
	v_mul_f32_e32 v1, v4, v12
	s_delay_alu instid0(VALU_DEP_3) | instskip(NEXT) | instid1(VALU_DEP_2)
	v_fmac_f32_e32 v148, v4, v11
	v_fma_f32 v150, v3, v11, -v1
	s_clause 0x1
	scratch_load_b128 v[1:4], off, off offset:248
	scratch_load_b128 v[9:12], off, off offset:264
	s_wait_loadcnt_dscnt 0x100
	v_mul_f32_e32 v151, v5, v2
	v_dual_mul_f32 v2, v6, v2 :: v_dual_mul_f32 v153, v7, v4
	s_delay_alu instid0(VALU_DEP_2) | instskip(NEXT) | instid1(VALU_DEP_2)
	v_fmac_f32_e32 v151, v6, v1
	v_fma_f32 v152, v5, v1, -v2
	v_mul_f32_e32 v1, v8, v4
	s_delay_alu instid0(VALU_DEP_4) | instskip(NEXT) | instid1(VALU_DEP_2)
	v_fmac_f32_e32 v153, v8, v3
	v_fma_f32 v154, v7, v3, -v1
	ds_load_2addr_b64 v[1:4], v21 offset0:87 offset1:88
	ds_load_2addr_b64 v[5:8], v21 offset0:89 offset1:90
	s_wait_loadcnt_dscnt 0x1
	v_mul_f32_e32 v155, v1, v10
	v_mul_f32_e32 v157, v3, v12
	s_delay_alu instid0(VALU_DEP_2) | instskip(NEXT) | instid1(VALU_DEP_2)
	v_fmac_f32_e32 v155, v2, v9
	v_dual_mul_f32 v2, v2, v10 :: v_dual_fmac_f32 v157, v4, v11
	s_delay_alu instid0(VALU_DEP_1) | instskip(SKIP_1) | instid1(VALU_DEP_1)
	v_fma_f32 v156, v1, v9, -v2
	v_mul_f32_e32 v1, v4, v12
	v_fma_f32 v158, v3, v11, -v1
	s_clause 0x1
	scratch_load_b128 v[1:4], off, off offset:280
	scratch_load_b128 v[9:12], off, off offset:296
	s_wait_loadcnt_dscnt 0x100
	v_mul_f32_e32 v159, v5, v2
	v_dual_mul_f32 v2, v6, v2 :: v_dual_mul_f32 v161, v7, v4
	s_delay_alu instid0(VALU_DEP_2) | instskip(NEXT) | instid1(VALU_DEP_2)
	v_fmac_f32_e32 v159, v6, v1
	v_fma_f32 v160, v5, v1, -v2
	v_mul_f32_e32 v1, v8, v4
	s_delay_alu instid0(VALU_DEP_4) | instskip(NEXT) | instid1(VALU_DEP_2)
	v_fmac_f32_e32 v161, v8, v3
	v_fma_f32 v162, v7, v3, -v1
	ds_load_2addr_b64 v[1:4], v21 offset0:91 offset1:92
	ds_load_2addr_b64 v[5:8], v21 offset0:93 offset1:94
	s_wait_loadcnt_dscnt 0x1
	v_mul_f32_e32 v163, v1, v10
	v_mul_f32_e32 v165, v3, v12
	s_delay_alu instid0(VALU_DEP_2) | instskip(NEXT) | instid1(VALU_DEP_2)
	v_fmac_f32_e32 v163, v2, v9
	v_dual_mul_f32 v2, v2, v10 :: v_dual_fmac_f32 v165, v4, v11
	s_delay_alu instid0(VALU_DEP_1) | instskip(SKIP_1) | instid1(VALU_DEP_1)
	v_fma_f32 v164, v1, v9, -v2
	v_mul_f32_e32 v1, v4, v12
	;; [unrolled: 25-line block ×3, first 2 shown]
	v_fma_f32 v174, v3, v11, -v1
	s_clause 0x1
	scratch_load_b128 v[1:4], off, off offset:344
	scratch_load_b128 v[9:12], off, off offset:360
	s_wait_loadcnt_dscnt 0x100
	v_mul_f32_e32 v175, v5, v2
	v_mul_f32_e32 v2, v6, v2
	s_delay_alu instid0(VALU_DEP_1) | instskip(SKIP_1) | instid1(VALU_DEP_1)
	v_fma_f32 v176, v5, v1, -v2
	v_add_f32_e32 v2, 0, v23
	v_add_f32_e32 v2, v2, v24
	s_delay_alu instid0(VALU_DEP_1) | instskip(NEXT) | instid1(VALU_DEP_1)
	v_add_f32_e32 v2, v2, v135
	v_add_f32_e32 v2, v2, v136
	s_delay_alu instid0(VALU_DEP_1) | instskip(NEXT) | instid1(VALU_DEP_1)
	;; [unrolled: 3-line block ×3, first 2 shown]
	v_add_f32_e32 v2, v2, v142
	v_add_f32_e32 v2, v2, v143
	s_delay_alu instid0(VALU_DEP_1) | instskip(SKIP_1) | instid1(VALU_DEP_2)
	v_add_f32_e32 v2, v2, v15
	v_fmac_f32_e32 v175, v6, v1
	v_dual_mul_f32 v177, v7, v4 :: v_dual_add_f32 v2, v2, v18
	s_delay_alu instid0(VALU_DEP_1) | instskip(NEXT) | instid1(VALU_DEP_1)
	v_dual_mul_f32 v1, v8, v4 :: v_dual_add_f32 v2, v2, v19
	v_fma_f32 v178, v7, v3, -v1
	v_add_f32_e32 v1, 0, v22
	s_delay_alu instid0(VALU_DEP_3) | instskip(NEXT) | instid1(VALU_DEP_2)
	v_dual_fmac_f32 v177, v8, v3 :: v_dual_add_f32 v2, v2, v20
	v_add_f32_e32 v1, v1, v134
	s_delay_alu instid0(VALU_DEP_2) | instskip(NEXT) | instid1(VALU_DEP_2)
	v_add_f32_e32 v5, v2, v147
	v_add_f32_e32 v1, v1, v138
	s_delay_alu instid0(VALU_DEP_2) | instskip(NEXT) | instid1(VALU_DEP_2)
	v_add_f32_e32 v5, v5, v148
	v_add_f32_e32 v1, v1, v139
	s_delay_alu instid0(VALU_DEP_2) | instskip(NEXT) | instid1(VALU_DEP_2)
	v_add_f32_e32 v5, v5, v151
	v_add_f32_e32 v1, v1, v140
	s_delay_alu instid0(VALU_DEP_1) | instskip(NEXT) | instid1(VALU_DEP_1)
	v_add_f32_e32 v1, v1, v141
	v_add_f32_e32 v1, v1, v13
	s_delay_alu instid0(VALU_DEP_1) | instskip(SKIP_1) | instid1(VALU_DEP_1)
	v_add_f32_e32 v1, v1, v14
	v_add_f32_e32 v14, v5, v153
	v_dual_add_f32 v1, v1, v16 :: v_dual_add_f32 v14, v14, v155
	s_delay_alu instid0(VALU_DEP_1) | instskip(NEXT) | instid1(VALU_DEP_1)
	v_add_f32_e32 v1, v1, v17
	v_dual_add_f32 v14, v14, v157 :: v_dual_add_f32 v1, v1, v144
	s_delay_alu instid0(VALU_DEP_1) | instskip(NEXT) | instid1(VALU_DEP_2)
	v_add_f32_e32 v17, v14, v159
	v_add_f32_e32 v1, v1, v145
	s_delay_alu instid0(VALU_DEP_2) | instskip(NEXT) | instid1(VALU_DEP_2)
	v_add_f32_e32 v17, v17, v161
	v_add_f32_e32 v1, v1, v149
	s_delay_alu instid0(VALU_DEP_1) | instskip(SKIP_2) | instid1(VALU_DEP_1)
	v_add_f32_e32 v6, v1, v150
	ds_load_2addr_b64 v[1:4], v21 offset0:99 offset1:100
	v_dual_add_f32 v17, v17, v163 :: v_dual_add_f32 v6, v6, v152
	v_add_f32_e32 v17, v17, v165
	s_delay_alu instid0(VALU_DEP_2)
	v_add_f32_e32 v13, v6, v154
	ds_load_2addr_b64 v[5:8], v21 offset0:101 offset1:102
	s_wait_loadcnt_dscnt 0x1
	v_mul_f32_e32 v134, v1, v10
	v_dual_mul_f32 v10, v2, v10 :: v_dual_mul_f32 v135, v3, v12
	v_dual_mul_f32 v12, v4, v12 :: v_dual_add_f32 v23, v17, v167
	s_delay_alu instid0(VALU_DEP_3) | instskip(NEXT) | instid1(VALU_DEP_3)
	v_dual_fmac_f32 v134, v2, v9 :: v_dual_add_f32 v13, v13, v156
	v_fma_f32 v136, v1, v9, -v10
	s_delay_alu instid0(VALU_DEP_3) | instskip(NEXT) | instid1(VALU_DEP_4)
	v_fma_f32 v137, v3, v11, -v12
	v_add_f32_e32 v139, v23, v169
	s_delay_alu instid0(VALU_DEP_4) | instskip(NEXT) | instid1(VALU_DEP_1)
	v_add_f32_e32 v13, v13, v158
	v_add_f32_e32 v13, v13, v160
	s_delay_alu instid0(VALU_DEP_1) | instskip(SKIP_2) | instid1(VALU_DEP_1)
	v_add_f32_e32 v18, v13, v162
	scratch_load_b128 v[13:16], off, off offset:408
	v_add_f32_e32 v18, v18, v164
	v_add_f32_e32 v18, v18, v166
	s_delay_alu instid0(VALU_DEP_1)
	v_add_f32_e32 v22, v18, v168
	ds_load_2addr_b64 v[17:20], v21 offset0:103 offset1:104
	v_add_f32_e32 v138, v22, v170
	ds_load_2addr_b64 v[21:24], v21 offset0:105 offset1:106
	v_fmac_f32_e32 v135, v4, v11
	s_clause 0x1
	scratch_load_b128 v[1:4], off, off offset:376
	scratch_load_b128 v[9:12], off, off offset:392
	v_add_f32_e32 v138, v138, v172
	s_delay_alu instid0(VALU_DEP_1) | instskip(NEXT) | instid1(VALU_DEP_1)
	v_add_f32_e32 v138, v138, v174
	v_add_f32_e32 v138, v138, v176
	s_delay_alu instid0(VALU_DEP_1) | instskip(NEXT) | instid1(VALU_DEP_1)
	v_add_f32_e32 v138, v138, v178
	v_add_f32_e32 v136, v138, v136
	s_wait_loadcnt_dscnt 0x200
	v_mul_f32_e32 v138, v23, v16
	v_mul_f32_e32 v144, v21, v14
	s_delay_alu instid0(VALU_DEP_2) | instskip(SKIP_1) | instid1(VALU_DEP_2)
	v_fmac_f32_e32 v138, v24, v15
	s_wait_loadcnt 0x1
	v_dual_fmac_f32 v144, v22, v13 :: v_dual_mul_f32 v141, v7, v4
	s_wait_loadcnt 0x0
	v_dual_mul_f32 v143, v19, v12 :: v_dual_mul_f32 v140, v5, v2
	v_mul_f32_e32 v2, v6, v2
	v_mul_f32_e32 v4, v8, v4
	v_fmac_f32_e32 v141, v8, v3
	v_add_f32_e32 v139, v139, v171
	v_fmac_f32_e32 v143, v20, v11
	v_fma_f32 v2, v5, v1, -v2
	v_fmac_f32_e32 v140, v6, v1
	v_add_f32_e32 v1, v136, v137
	v_dual_add_f32 v139, v139, v173 :: v_dual_mul_f32 v142, v17, v10
	v_mul_f32_e32 v6, v18, v10
	v_fma_f32 v3, v7, v3, -v4
	s_delay_alu instid0(VALU_DEP_4) | instskip(NEXT) | instid1(VALU_DEP_4)
	v_add_f32_e32 v1, v1, v2
	v_dual_add_f32 v139, v139, v175 :: v_dual_mul_f32 v4, v20, v12
	s_delay_alu instid0(VALU_DEP_2) | instskip(NEXT) | instid1(VALU_DEP_2)
	v_dual_fmac_f32 v142, v18, v9 :: v_dual_add_f32 v1, v1, v3
	v_add_f32_e32 v139, v139, v177
	v_mul_f32_e32 v3, v22, v14
	s_delay_alu instid0(VALU_DEP_4) | instskip(NEXT) | instid1(VALU_DEP_3)
	v_fma_f32 v4, v19, v11, -v4
	v_add_f32_e32 v134, v139, v134
	s_delay_alu instid0(VALU_DEP_3) | instskip(NEXT) | instid1(VALU_DEP_2)
	v_fma_f32 v3, v21, v13, -v3
	v_add_f32_e32 v5, v134, v135
	s_delay_alu instid0(VALU_DEP_1) | instskip(SKIP_1) | instid1(VALU_DEP_2)
	v_add_f32_e32 v2, v5, v140
	v_fma_f32 v5, v17, v9, -v6
	v_add_f32_e32 v2, v2, v141
	s_delay_alu instid0(VALU_DEP_2) | instskip(NEXT) | instid1(VALU_DEP_2)
	v_add_f32_e32 v1, v1, v5
	v_dual_mul_f32 v5, v24, v16 :: v_dual_add_f32 v2, v2, v142
	s_delay_alu instid0(VALU_DEP_2) | instskip(NEXT) | instid1(VALU_DEP_2)
	v_add_f32_e32 v1, v1, v4
	v_fma_f32 v4, v23, v15, -v5
	s_delay_alu instid0(VALU_DEP_3) | instskip(NEXT) | instid1(VALU_DEP_1)
	v_add_f32_e32 v2, v2, v143
	v_dual_add_f32 v1, v1, v3 :: v_dual_add_f32 v2, v2, v144
	s_delay_alu instid0(VALU_DEP_1) | instskip(NEXT) | instid1(VALU_DEP_1)
	v_dual_add_f32 v1, v1, v4 :: v_dual_add_f32 v2, v2, v138
	v_dual_sub_f32 v1, v131, v1 :: v_dual_sub_f32 v2, v132, v2
	scratch_store_b64 off, v[1:2], off offset:128
	v_cmpx_lt_u32_e32 15, v0
	s_cbranch_execz .LBB52_301
; %bb.300:
	scratch_load_b64 v[1:2], off, off offset:120
	v_mov_b32_e32 v3, 0
	s_delay_alu instid0(VALU_DEP_1)
	v_mov_b32_e32 v4, v3
	scratch_store_b64 off, v[3:4], off offset:120
	s_wait_loadcnt 0x0
	ds_store_b64 v133, v[1:2]
.LBB52_301:
	s_wait_alu 0xfffe
	s_or_b32 exec_lo, exec_lo, s0
	s_wait_storecnt_dscnt 0x0
	s_barrier_signal -1
	s_barrier_wait -1
	global_inv scope:SCOPE_SE
	s_clause 0x4
	scratch_load_b128 v[5:8], off, off offset:128
	scratch_load_b128 v[1:4], off, off offset:144
	;; [unrolled: 1-line block ×5, first 2 shown]
	v_mov_b32_e32 v21, 0
	ds_load_b128 v[134:137], v21 offset:560
	ds_load_b128 v[138:141], v21 offset:576
	;; [unrolled: 1-line block ×3, first 2 shown]
	scratch_load_b64 v[22:23], off, off offset:120
	s_mov_b32 s0, exec_lo
	s_wait_loadcnt_dscnt 0x502
	v_mul_f32_e32 v24, v135, v6
	v_dual_mul_f32 v131, v134, v6 :: v_dual_mul_f32 v132, v136, v8
	v_mul_f32_e32 v6, v137, v8
	s_delay_alu instid0(VALU_DEP_3) | instskip(NEXT) | instid1(VALU_DEP_3)
	v_fma_f32 v24, v134, v5, -v24
	v_dual_fmac_f32 v131, v135, v5 :: v_dual_fmac_f32 v132, v137, v7
	s_wait_loadcnt_dscnt 0x401
	v_mul_f32_e32 v135, v138, v2
	v_fma_f32 v134, v136, v7, -v6
	ds_load_b128 v[5:8], v21 offset:608
	s_wait_loadcnt_dscnt 0x301
	v_dual_mul_f32 v136, v140, v4 :: v_dual_mul_f32 v137, v142, v10
	v_dual_mul_f32 v4, v141, v4 :: v_dual_fmac_f32 v135, v139, v1
	v_mul_f32_e32 v10, v143, v10
	s_delay_alu instid0(VALU_DEP_3)
	v_dual_mul_f32 v146, v144, v12 :: v_dual_fmac_f32 v137, v143, v9
	v_mul_f32_e32 v12, v145, v12
	v_mul_f32_e32 v2, v139, v2
	v_fmac_f32_e32 v136, v141, v3
	v_fma_f32 v139, v140, v3, -v4
	v_fma_f32 v140, v142, v9, -v10
	v_fmac_f32_e32 v146, v145, v11
	v_fma_f32 v141, v144, v11, -v12
	ds_load_b128 v[9:12], v21 offset:624
	s_wait_loadcnt_dscnt 0x201
	v_dual_mul_f32 v143, v7, v16 :: v_dual_mul_f32 v142, v5, v14
	v_mul_f32_e32 v14, v6, v14
	v_mul_f32_e32 v16, v8, v16
	s_delay_alu instid0(VALU_DEP_3)
	v_fmac_f32_e32 v143, v8, v15
	v_fma_f32 v138, v138, v1, -v2
	scratch_load_b128 v[1:4], off, off offset:208
	v_fmac_f32_e32 v142, v6, v13
	v_fma_f32 v13, v5, v13, -v14
	v_fma_f32 v14, v7, v15, -v16
	ds_load_b128 v[5:8], v21 offset:640
	s_wait_loadcnt_dscnt 0x201
	v_mul_f32_e32 v15, v9, v18
	v_mul_f32_e32 v16, v10, v18
	;; [unrolled: 1-line block ×3, first 2 shown]
	s_delay_alu instid0(VALU_DEP_3) | instskip(NEXT) | instid1(VALU_DEP_3)
	v_dual_mul_f32 v20, v12, v20 :: v_dual_fmac_f32 v15, v10, v17
	v_fma_f32 v16, v9, v17, -v16
	s_delay_alu instid0(VALU_DEP_3) | instskip(NEXT) | instid1(VALU_DEP_3)
	v_fmac_f32_e32 v18, v12, v19
	v_fma_f32 v17, v11, v19, -v20
	scratch_load_b128 v[9:12], off, off offset:224
	s_wait_loadcnt_dscnt 0x100
	v_mul_f32_e32 v19, v5, v2
	v_mul_f32_e32 v2, v6, v2
	;; [unrolled: 1-line block ×3, first 2 shown]
	s_delay_alu instid0(VALU_DEP_3) | instskip(NEXT) | instid1(VALU_DEP_3)
	v_dual_mul_f32 v4, v8, v4 :: v_dual_fmac_f32 v19, v6, v1
	v_fma_f32 v144, v5, v1, -v2
	s_delay_alu instid0(VALU_DEP_3) | instskip(NEXT) | instid1(VALU_DEP_3)
	v_fmac_f32_e32 v20, v8, v3
	v_fma_f32 v145, v7, v3, -v4
	ds_load_b128 v[1:4], v21 offset:656
	ds_load_b128 v[5:8], v21 offset:672
	s_wait_loadcnt_dscnt 0x1
	v_mul_f32_e32 v147, v1, v10
	v_mul_f32_e32 v10, v2, v10
	s_delay_alu instid0(VALU_DEP_2) | instskip(NEXT) | instid1(VALU_DEP_2)
	v_dual_mul_f32 v148, v3, v12 :: v_dual_fmac_f32 v147, v2, v9
	v_fma_f32 v149, v1, v9, -v10
	v_mul_f32_e32 v1, v4, v12
	s_delay_alu instid0(VALU_DEP_3) | instskip(NEXT) | instid1(VALU_DEP_2)
	v_fmac_f32_e32 v148, v4, v11
	v_fma_f32 v150, v3, v11, -v1
	s_clause 0x1
	scratch_load_b128 v[1:4], off, off offset:240
	scratch_load_b128 v[9:12], off, off offset:256
	s_wait_loadcnt_dscnt 0x100
	v_mul_f32_e32 v151, v5, v2
	v_dual_mul_f32 v2, v6, v2 :: v_dual_mul_f32 v153, v7, v4
	s_delay_alu instid0(VALU_DEP_2) | instskip(NEXT) | instid1(VALU_DEP_2)
	v_fmac_f32_e32 v151, v6, v1
	v_fma_f32 v152, v5, v1, -v2
	v_mul_f32_e32 v1, v8, v4
	s_delay_alu instid0(VALU_DEP_4) | instskip(NEXT) | instid1(VALU_DEP_2)
	v_fmac_f32_e32 v153, v8, v3
	v_fma_f32 v154, v7, v3, -v1
	ds_load_b128 v[1:4], v21 offset:688
	ds_load_b128 v[5:8], v21 offset:704
	s_wait_loadcnt_dscnt 0x1
	v_mul_f32_e32 v155, v1, v10
	v_mul_f32_e32 v157, v3, v12
	s_delay_alu instid0(VALU_DEP_2) | instskip(NEXT) | instid1(VALU_DEP_2)
	v_fmac_f32_e32 v155, v2, v9
	v_dual_mul_f32 v2, v2, v10 :: v_dual_fmac_f32 v157, v4, v11
	s_delay_alu instid0(VALU_DEP_1) | instskip(SKIP_1) | instid1(VALU_DEP_1)
	v_fma_f32 v156, v1, v9, -v2
	v_mul_f32_e32 v1, v4, v12
	v_fma_f32 v158, v3, v11, -v1
	s_clause 0x1
	scratch_load_b128 v[1:4], off, off offset:272
	scratch_load_b128 v[9:12], off, off offset:288
	s_wait_loadcnt_dscnt 0x100
	v_mul_f32_e32 v159, v5, v2
	v_dual_mul_f32 v161, v7, v4 :: v_dual_mul_f32 v2, v6, v2
	s_delay_alu instid0(VALU_DEP_2) | instskip(NEXT) | instid1(VALU_DEP_2)
	v_fmac_f32_e32 v159, v6, v1
	v_fmac_f32_e32 v161, v8, v3
	s_delay_alu instid0(VALU_DEP_3) | instskip(SKIP_1) | instid1(VALU_DEP_1)
	v_fma_f32 v160, v5, v1, -v2
	v_mul_f32_e32 v1, v8, v4
	v_fma_f32 v162, v7, v3, -v1
	ds_load_b128 v[1:4], v21 offset:720
	ds_load_b128 v[5:8], v21 offset:736
	s_wait_loadcnt_dscnt 0x1
	v_mul_f32_e32 v163, v1, v10
	v_mul_f32_e32 v165, v3, v12
	s_delay_alu instid0(VALU_DEP_2) | instskip(NEXT) | instid1(VALU_DEP_2)
	v_fmac_f32_e32 v163, v2, v9
	v_dual_mul_f32 v2, v2, v10 :: v_dual_fmac_f32 v165, v4, v11
	s_delay_alu instid0(VALU_DEP_1) | instskip(SKIP_1) | instid1(VALU_DEP_1)
	v_fma_f32 v164, v1, v9, -v2
	v_mul_f32_e32 v1, v4, v12
	v_fma_f32 v166, v3, v11, -v1
	s_clause 0x1
	scratch_load_b128 v[1:4], off, off offset:304
	scratch_load_b128 v[9:12], off, off offset:320
	s_wait_loadcnt_dscnt 0x100
	v_mul_f32_e32 v167, v5, v2
	v_dual_mul_f32 v2, v6, v2 :: v_dual_mul_f32 v169, v7, v4
	s_delay_alu instid0(VALU_DEP_2) | instskip(NEXT) | instid1(VALU_DEP_2)
	v_fmac_f32_e32 v167, v6, v1
	v_fma_f32 v168, v5, v1, -v2
	v_mul_f32_e32 v1, v8, v4
	s_delay_alu instid0(VALU_DEP_4) | instskip(NEXT) | instid1(VALU_DEP_2)
	v_fmac_f32_e32 v169, v8, v3
	v_fma_f32 v170, v7, v3, -v1
	ds_load_b128 v[1:4], v21 offset:752
	ds_load_b128 v[5:8], v21 offset:768
	s_wait_loadcnt_dscnt 0x1
	v_mul_f32_e32 v171, v1, v10
	v_mul_f32_e32 v173, v3, v12
	s_delay_alu instid0(VALU_DEP_2) | instskip(NEXT) | instid1(VALU_DEP_2)
	v_fmac_f32_e32 v171, v2, v9
	v_dual_mul_f32 v2, v2, v10 :: v_dual_fmac_f32 v173, v4, v11
	s_delay_alu instid0(VALU_DEP_1) | instskip(SKIP_1) | instid1(VALU_DEP_1)
	v_fma_f32 v172, v1, v9, -v2
	v_mul_f32_e32 v1, v4, v12
	v_fma_f32 v174, v3, v11, -v1
	s_clause 0x1
	scratch_load_b128 v[1:4], off, off offset:336
	scratch_load_b128 v[9:12], off, off offset:352
	s_wait_loadcnt_dscnt 0x100
	v_mul_f32_e32 v175, v5, v2
	v_mul_f32_e32 v2, v6, v2
	s_delay_alu instid0(VALU_DEP_1) | instskip(SKIP_1) | instid1(VALU_DEP_1)
	v_fma_f32 v176, v5, v1, -v2
	v_add_f32_e32 v2, 0, v131
	v_add_f32_e32 v2, v2, v132
	scratch_load_b64 v[131:132], off, off offset:416
	v_add_f32_e32 v2, v2, v135
	s_delay_alu instid0(VALU_DEP_1) | instskip(NEXT) | instid1(VALU_DEP_1)
	v_add_f32_e32 v2, v2, v136
	v_add_f32_e32 v2, v2, v137
	s_delay_alu instid0(VALU_DEP_1) | instskip(NEXT) | instid1(VALU_DEP_1)
	v_add_f32_e32 v2, v2, v146
	;; [unrolled: 3-line block ×3, first 2 shown]
	v_dual_add_f32 v2, v2, v15 :: v_dual_mul_f32 v177, v7, v4
	s_delay_alu instid0(VALU_DEP_1) | instskip(NEXT) | instid1(VALU_DEP_1)
	v_add_f32_e32 v2, v2, v18
	v_add_f32_e32 v2, v2, v19
	s_delay_alu instid0(VALU_DEP_3) | instskip(SKIP_1) | instid1(VALU_DEP_3)
	v_fmac_f32_e32 v177, v8, v3
	v_fmac_f32_e32 v175, v6, v1
	v_add_f32_e32 v2, v2, v20
	s_delay_alu instid0(VALU_DEP_1) | instskip(NEXT) | instid1(VALU_DEP_1)
	v_add_f32_e32 v5, v2, v147
	v_add_f32_e32 v5, v5, v148
	s_delay_alu instid0(VALU_DEP_1) | instskip(SKIP_1) | instid1(VALU_DEP_1)
	v_add_f32_e32 v5, v5, v151
	v_mul_f32_e32 v1, v8, v4
	v_fma_f32 v178, v7, v3, -v1
	v_add_f32_e32 v1, 0, v24
	s_delay_alu instid0(VALU_DEP_1) | instskip(NEXT) | instid1(VALU_DEP_1)
	v_add_f32_e32 v1, v1, v134
	v_add_f32_e32 v1, v1, v138
	s_delay_alu instid0(VALU_DEP_1) | instskip(NEXT) | instid1(VALU_DEP_1)
	v_add_f32_e32 v1, v1, v139
	v_add_f32_e32 v1, v1, v140
	s_delay_alu instid0(VALU_DEP_1) | instskip(NEXT) | instid1(VALU_DEP_1)
	v_add_f32_e32 v1, v1, v141
	v_add_f32_e32 v1, v1, v13
	s_delay_alu instid0(VALU_DEP_1) | instskip(SKIP_1) | instid1(VALU_DEP_1)
	v_add_f32_e32 v1, v1, v14
	v_add_f32_e32 v14, v5, v153
	;; [unrolled: 1-line block ×3, first 2 shown]
	s_delay_alu instid0(VALU_DEP_1) | instskip(NEXT) | instid1(VALU_DEP_1)
	v_dual_add_f32 v14, v14, v157 :: v_dual_add_f32 v1, v1, v16
	v_add_f32_e32 v1, v1, v17
	s_delay_alu instid0(VALU_DEP_1) | instskip(NEXT) | instid1(VALU_DEP_1)
	v_add_f32_e32 v1, v1, v144
	v_add_f32_e32 v1, v1, v145
	s_delay_alu instid0(VALU_DEP_1) | instskip(NEXT) | instid1(VALU_DEP_1)
	v_add_f32_e32 v1, v1, v149
	v_add_f32_e32 v6, v1, v150
	ds_load_b128 v[1:4], v21 offset:784
	v_add_f32_e32 v6, v6, v152
	s_delay_alu instid0(VALU_DEP_1)
	v_add_f32_e32 v13, v6, v154
	ds_load_b128 v[5:8], v21 offset:800
	s_wait_loadcnt_dscnt 0x101
	v_mul_f32_e32 v24, v1, v10
	v_mul_f32_e32 v10, v2, v10
	;; [unrolled: 1-line block ×4, first 2 shown]
	s_delay_alu instid0(VALU_DEP_4) | instskip(NEXT) | instid1(VALU_DEP_4)
	v_fmac_f32_e32 v24, v2, v9
	v_fma_f32 v141, v1, v9, -v10
	s_delay_alu instid0(VALU_DEP_4) | instskip(NEXT) | instid1(VALU_DEP_4)
	v_fmac_f32_e32 v140, v4, v11
	v_fma_f32 v142, v3, v11, -v12
	s_clause 0x1
	scratch_load_b128 v[1:4], off, off offset:368
	scratch_load_b128 v[9:12], off, off offset:384
	s_wait_loadcnt_dscnt 0x100
	v_dual_add_f32 v17, v14, v159 :: v_dual_mul_f32 v146, v7, v4
	s_delay_alu instid0(VALU_DEP_1)
	v_add_f32_e32 v17, v17, v161
	v_mul_f32_e32 v145, v5, v2
	v_mul_f32_e32 v2, v6, v2
	;; [unrolled: 1-line block ×3, first 2 shown]
	v_fmac_f32_e32 v146, v8, v3
	v_add_f32_e32 v17, v17, v163
	v_fmac_f32_e32 v145, v6, v1
	v_fma_f32 v2, v5, v1, -v2
	v_fma_f32 v1, v7, v3, -v4
	s_delay_alu instid0(VALU_DEP_4) | instskip(NEXT) | instid1(VALU_DEP_1)
	v_add_f32_e32 v17, v17, v165
	v_add_f32_e32 v17, v17, v167
	s_delay_alu instid0(VALU_DEP_1) | instskip(SKIP_1) | instid1(VALU_DEP_2)
	v_add_f32_e32 v134, v17, v169
	v_add_f32_e32 v13, v13, v156
	;; [unrolled: 1-line block ×3, first 2 shown]
	s_delay_alu instid0(VALU_DEP_2) | instskip(SKIP_2) | instid1(VALU_DEP_1)
	v_add_f32_e32 v13, v13, v158
	ds_load_b128 v[134:137], v21 offset:832
	v_add_f32_e32 v144, v139, v173
	v_add_f32_e32 v144, v144, v175
	s_delay_alu instid0(VALU_DEP_1) | instskip(NEXT) | instid1(VALU_DEP_1)
	v_add_f32_e32 v144, v144, v177
	v_add_f32_e32 v24, v144, v24
	s_delay_alu instid0(VALU_DEP_1) | instskip(NEXT) | instid1(VALU_DEP_1)
	v_add_f32_e32 v24, v24, v140
	v_dual_add_f32 v13, v13, v160 :: v_dual_add_f32 v4, v24, v145
	s_delay_alu instid0(VALU_DEP_1) | instskip(SKIP_2) | instid1(VALU_DEP_1)
	v_add_f32_e32 v18, v13, v162
	scratch_load_b128 v[13:16], off, off offset:400
	v_add_f32_e32 v18, v18, v164
	v_add_f32_e32 v18, v18, v166
	s_delay_alu instid0(VALU_DEP_1) | instskip(NEXT) | instid1(VALU_DEP_1)
	v_add_f32_e32 v18, v18, v168
	v_add_f32_e32 v18, v18, v170
	s_delay_alu instid0(VALU_DEP_1)
	v_add_f32_e32 v138, v18, v172
	ds_load_b128 v[17:20], v21 offset:816
	s_wait_loadcnt_dscnt 0x100
	v_dual_mul_f32 v144, v19, v12 :: v_dual_add_f32 v143, v138, v174
	ds_load_b64 v[138:139], v21 offset:848
	v_dual_mul_f32 v3, v18, v10 :: v_dual_fmac_f32 v144, v20, v11
	v_add_f32_e32 v143, v143, v176
	s_delay_alu instid0(VALU_DEP_2) | instskip(NEXT) | instid1(VALU_DEP_2)
	v_fma_f32 v3, v17, v9, -v3
	v_add_f32_e32 v143, v143, v178
	s_wait_dscnt 0x0
	s_delay_alu instid0(VALU_DEP_1) | instskip(NEXT) | instid1(VALU_DEP_1)
	v_dual_add_f32 v141, v143, v141 :: v_dual_mul_f32 v140, v138, v132
	v_dual_add_f32 v141, v141, v142 :: v_dual_fmac_f32 v140, v139, v131
	s_delay_alu instid0(VALU_DEP_1) | instskip(NEXT) | instid1(VALU_DEP_1)
	v_add_f32_e32 v2, v141, v2
	v_dual_add_f32 v1, v2, v1 :: v_dual_add_f32 v2, v4, v146
	s_wait_loadcnt 0x0
	v_dual_mul_f32 v142, v136, v16 :: v_dual_mul_f32 v147, v134, v14
	v_mul_f32_e32 v4, v135, v14
	s_delay_alu instid0(VALU_DEP_2) | instskip(SKIP_1) | instid1(VALU_DEP_3)
	v_dual_fmac_f32 v142, v137, v15 :: v_dual_fmac_f32 v147, v135, v13
	v_mul_f32_e32 v143, v17, v10
	v_fma_f32 v4, v134, v13, -v4
	s_delay_alu instid0(VALU_DEP_2) | instskip(NEXT) | instid1(VALU_DEP_1)
	v_fmac_f32_e32 v143, v18, v9
	v_add_f32_e32 v2, v2, v143
	s_delay_alu instid0(VALU_DEP_1) | instskip(NEXT) | instid1(VALU_DEP_1)
	v_add_f32_e32 v2, v2, v144
	v_dual_add_f32 v2, v2, v147 :: v_dual_mul_f32 v5, v20, v12
	s_delay_alu instid0(VALU_DEP_1) | instskip(NEXT) | instid1(VALU_DEP_2)
	v_add_f32_e32 v2, v2, v142
	v_fma_f32 v5, v19, v11, -v5
	v_add_f32_e32 v1, v1, v3
	v_mul_f32_e32 v3, v137, v16
	s_delay_alu instid0(VALU_DEP_2) | instskip(SKIP_1) | instid1(VALU_DEP_3)
	v_dual_add_f32 v2, v2, v140 :: v_dual_add_f32 v1, v1, v5
	v_mul_f32_e32 v5, v139, v132
	v_fma_f32 v3, v136, v15, -v3
	s_delay_alu instid0(VALU_DEP_3) | instskip(NEXT) | instid1(VALU_DEP_3)
	v_dual_sub_f32 v2, v23, v2 :: v_dual_add_f32 v1, v1, v4
	v_fma_f32 v4, v138, v131, -v5
	s_delay_alu instid0(VALU_DEP_2) | instskip(NEXT) | instid1(VALU_DEP_1)
	v_add_f32_e32 v1, v1, v3
	v_add_f32_e32 v1, v1, v4
	s_delay_alu instid0(VALU_DEP_1)
	v_sub_f32_e32 v1, v22, v1
	scratch_store_b64 off, v[1:2], off offset:120
	v_cmpx_lt_u32_e32 14, v0
	s_cbranch_execz .LBB52_303
; %bb.302:
	scratch_load_b64 v[1:2], off, off offset:112
	v_mov_b32_e32 v22, v21
	scratch_store_b64 off, v[21:22], off offset:112
	s_wait_loadcnt 0x0
	ds_store_b64 v133, v[1:2]
.LBB52_303:
	s_wait_alu 0xfffe
	s_or_b32 exec_lo, exec_lo, s0
	s_wait_storecnt_dscnt 0x0
	s_barrier_signal -1
	s_barrier_wait -1
	global_inv scope:SCOPE_SE
	s_clause 0x4
	scratch_load_b128 v[5:8], off, off offset:120
	scratch_load_b128 v[1:4], off, off offset:136
	;; [unrolled: 1-line block ×5, first 2 shown]
	ds_load_2addr_b64 v[134:137], v21 offset0:69 offset1:70
	ds_load_2addr_b64 v[138:141], v21 offset0:71 offset1:72
	;; [unrolled: 1-line block ×3, first 2 shown]
	scratch_load_b64 v[131:132], off, off offset:112
	s_mov_b32 s0, exec_lo
	s_wait_loadcnt_dscnt 0x502
	v_mul_f32_e32 v22, v135, v6
	v_dual_mul_f32 v23, v134, v6 :: v_dual_mul_f32 v24, v136, v8
	v_mul_f32_e32 v6, v137, v8
	s_delay_alu instid0(VALU_DEP_3) | instskip(NEXT) | instid1(VALU_DEP_3)
	v_fma_f32 v22, v134, v5, -v22
	v_dual_fmac_f32 v23, v135, v5 :: v_dual_fmac_f32 v24, v137, v7
	s_wait_loadcnt_dscnt 0x401
	v_mul_f32_e32 v135, v138, v2
	v_fma_f32 v134, v136, v7, -v6
	ds_load_2addr_b64 v[5:8], v21 offset0:75 offset1:76
	s_wait_loadcnt_dscnt 0x301
	v_dual_mul_f32 v136, v140, v4 :: v_dual_mul_f32 v137, v142, v10
	v_dual_mul_f32 v4, v141, v4 :: v_dual_fmac_f32 v135, v139, v1
	v_mul_f32_e32 v10, v143, v10
	s_delay_alu instid0(VALU_DEP_3)
	v_dual_mul_f32 v146, v144, v12 :: v_dual_fmac_f32 v137, v143, v9
	v_mul_f32_e32 v12, v145, v12
	v_mul_f32_e32 v2, v139, v2
	v_fmac_f32_e32 v136, v141, v3
	v_fma_f32 v139, v140, v3, -v4
	v_fma_f32 v140, v142, v9, -v10
	v_fmac_f32_e32 v146, v145, v11
	v_fma_f32 v141, v144, v11, -v12
	ds_load_2addr_b64 v[9:12], v21 offset0:77 offset1:78
	s_wait_loadcnt_dscnt 0x201
	v_mul_f32_e32 v142, v5, v14
	v_dual_mul_f32 v14, v6, v14 :: v_dual_mul_f32 v143, v7, v16
	v_mul_f32_e32 v16, v8, v16
	s_delay_alu instid0(VALU_DEP_3) | instskip(NEXT) | instid1(VALU_DEP_3)
	v_fmac_f32_e32 v142, v6, v13
	v_fma_f32 v13, v5, v13, -v14
	s_delay_alu instid0(VALU_DEP_4) | instskip(NEXT) | instid1(VALU_DEP_4)
	v_fmac_f32_e32 v143, v8, v15
	v_fma_f32 v14, v7, v15, -v16
	ds_load_2addr_b64 v[5:8], v21 offset0:79 offset1:80
	s_wait_loadcnt_dscnt 0x101
	v_mul_f32_e32 v15, v9, v18
	v_mul_f32_e32 v16, v10, v18
	;; [unrolled: 1-line block ×3, first 2 shown]
	s_delay_alu instid0(VALU_DEP_3)
	v_dual_mul_f32 v20, v12, v20 :: v_dual_fmac_f32 v15, v10, v17
	v_fma_f32 v138, v138, v1, -v2
	scratch_load_b128 v[1:4], off, off offset:200
	v_fma_f32 v16, v9, v17, -v16
	v_fmac_f32_e32 v18, v12, v19
	v_fma_f32 v17, v11, v19, -v20
	scratch_load_b128 v[9:12], off, off offset:216
	s_wait_loadcnt_dscnt 0x100
	v_mul_f32_e32 v19, v5, v2
	v_mul_f32_e32 v2, v6, v2
	;; [unrolled: 1-line block ×3, first 2 shown]
	s_delay_alu instid0(VALU_DEP_3) | instskip(NEXT) | instid1(VALU_DEP_3)
	v_dual_mul_f32 v4, v8, v4 :: v_dual_fmac_f32 v19, v6, v1
	v_fma_f32 v144, v5, v1, -v2
	s_delay_alu instid0(VALU_DEP_3) | instskip(NEXT) | instid1(VALU_DEP_3)
	v_fmac_f32_e32 v20, v8, v3
	v_fma_f32 v145, v7, v3, -v4
	ds_load_2addr_b64 v[1:4], v21 offset0:81 offset1:82
	ds_load_2addr_b64 v[5:8], v21 offset0:83 offset1:84
	s_wait_loadcnt_dscnt 0x1
	v_mul_f32_e32 v147, v1, v10
	v_mul_f32_e32 v10, v2, v10
	s_delay_alu instid0(VALU_DEP_2) | instskip(NEXT) | instid1(VALU_DEP_2)
	v_dual_mul_f32 v148, v3, v12 :: v_dual_fmac_f32 v147, v2, v9
	v_fma_f32 v149, v1, v9, -v10
	v_mul_f32_e32 v1, v4, v12
	s_delay_alu instid0(VALU_DEP_3) | instskip(NEXT) | instid1(VALU_DEP_2)
	v_fmac_f32_e32 v148, v4, v11
	v_fma_f32 v150, v3, v11, -v1
	s_clause 0x1
	scratch_load_b128 v[1:4], off, off offset:232
	scratch_load_b128 v[9:12], off, off offset:248
	s_wait_loadcnt_dscnt 0x100
	v_mul_f32_e32 v151, v5, v2
	v_dual_mul_f32 v2, v6, v2 :: v_dual_mul_f32 v153, v7, v4
	s_delay_alu instid0(VALU_DEP_2) | instskip(NEXT) | instid1(VALU_DEP_2)
	v_fmac_f32_e32 v151, v6, v1
	v_fma_f32 v152, v5, v1, -v2
	v_mul_f32_e32 v1, v8, v4
	s_delay_alu instid0(VALU_DEP_4) | instskip(NEXT) | instid1(VALU_DEP_2)
	v_fmac_f32_e32 v153, v8, v3
	v_fma_f32 v154, v7, v3, -v1
	ds_load_2addr_b64 v[1:4], v21 offset0:85 offset1:86
	ds_load_2addr_b64 v[5:8], v21 offset0:87 offset1:88
	s_wait_loadcnt_dscnt 0x1
	v_mul_f32_e32 v155, v1, v10
	v_mul_f32_e32 v157, v3, v12
	s_delay_alu instid0(VALU_DEP_2) | instskip(NEXT) | instid1(VALU_DEP_2)
	v_fmac_f32_e32 v155, v2, v9
	v_dual_mul_f32 v2, v2, v10 :: v_dual_fmac_f32 v157, v4, v11
	s_delay_alu instid0(VALU_DEP_1) | instskip(SKIP_1) | instid1(VALU_DEP_1)
	v_fma_f32 v156, v1, v9, -v2
	v_mul_f32_e32 v1, v4, v12
	v_fma_f32 v158, v3, v11, -v1
	s_clause 0x1
	scratch_load_b128 v[1:4], off, off offset:264
	scratch_load_b128 v[9:12], off, off offset:280
	s_wait_loadcnt_dscnt 0x100
	v_mul_f32_e32 v159, v5, v2
	v_dual_mul_f32 v2, v6, v2 :: v_dual_mul_f32 v161, v7, v4
	s_delay_alu instid0(VALU_DEP_2) | instskip(NEXT) | instid1(VALU_DEP_2)
	v_fmac_f32_e32 v159, v6, v1
	v_fma_f32 v160, v5, v1, -v2
	v_mul_f32_e32 v1, v8, v4
	s_delay_alu instid0(VALU_DEP_4) | instskip(NEXT) | instid1(VALU_DEP_2)
	v_fmac_f32_e32 v161, v8, v3
	v_fma_f32 v162, v7, v3, -v1
	ds_load_2addr_b64 v[1:4], v21 offset0:89 offset1:90
	ds_load_2addr_b64 v[5:8], v21 offset0:91 offset1:92
	s_wait_loadcnt_dscnt 0x1
	v_mul_f32_e32 v163, v1, v10
	v_mul_f32_e32 v165, v3, v12
	s_delay_alu instid0(VALU_DEP_2) | instskip(NEXT) | instid1(VALU_DEP_2)
	v_fmac_f32_e32 v163, v2, v9
	v_dual_mul_f32 v2, v2, v10 :: v_dual_fmac_f32 v165, v4, v11
	s_delay_alu instid0(VALU_DEP_1) | instskip(SKIP_1) | instid1(VALU_DEP_1)
	v_fma_f32 v164, v1, v9, -v2
	v_mul_f32_e32 v1, v4, v12
	;; [unrolled: 25-line block ×3, first 2 shown]
	v_fma_f32 v174, v3, v11, -v1
	s_clause 0x1
	scratch_load_b128 v[1:4], off, off offset:328
	scratch_load_b128 v[9:12], off, off offset:344
	s_wait_loadcnt_dscnt 0x100
	v_mul_f32_e32 v175, v5, v2
	v_mul_f32_e32 v2, v6, v2
	s_delay_alu instid0(VALU_DEP_1) | instskip(SKIP_1) | instid1(VALU_DEP_1)
	v_fma_f32 v176, v5, v1, -v2
	v_add_f32_e32 v2, 0, v23
	v_add_f32_e32 v2, v2, v24
	s_delay_alu instid0(VALU_DEP_1) | instskip(NEXT) | instid1(VALU_DEP_1)
	v_add_f32_e32 v2, v2, v135
	v_add_f32_e32 v2, v2, v136
	s_delay_alu instid0(VALU_DEP_1) | instskip(NEXT) | instid1(VALU_DEP_1)
	;; [unrolled: 3-line block ×3, first 2 shown]
	v_add_f32_e32 v2, v2, v142
	v_add_f32_e32 v2, v2, v143
	s_delay_alu instid0(VALU_DEP_1) | instskip(SKIP_1) | instid1(VALU_DEP_2)
	v_dual_add_f32 v2, v2, v15 :: v_dual_mul_f32 v177, v7, v4
	v_fmac_f32_e32 v175, v6, v1
	v_dual_add_f32 v2, v2, v18 :: v_dual_mul_f32 v1, v8, v4
	s_delay_alu instid0(VALU_DEP_1) | instskip(NEXT) | instid1(VALU_DEP_4)
	v_add_f32_e32 v2, v2, v19
	v_fmac_f32_e32 v177, v8, v3
	s_delay_alu instid0(VALU_DEP_3) | instskip(NEXT) | instid1(VALU_DEP_3)
	v_fma_f32 v178, v7, v3, -v1
	v_dual_add_f32 v2, v2, v20 :: v_dual_add_f32 v1, 0, v22
	s_delay_alu instid0(VALU_DEP_1) | instskip(NEXT) | instid1(VALU_DEP_1)
	v_dual_add_f32 v2, v2, v147 :: v_dual_add_f32 v1, v1, v134
	v_add_f32_e32 v5, v2, v148
	s_delay_alu instid0(VALU_DEP_2) | instskip(NEXT) | instid1(VALU_DEP_1)
	v_add_f32_e32 v1, v1, v138
	v_add_f32_e32 v1, v1, v139
	s_delay_alu instid0(VALU_DEP_1) | instskip(NEXT) | instid1(VALU_DEP_1)
	v_add_f32_e32 v1, v1, v140
	v_add_f32_e32 v1, v1, v141
	s_delay_alu instid0(VALU_DEP_1) | instskip(SKIP_1) | instid1(VALU_DEP_2)
	v_add_f32_e32 v1, v1, v13
	v_add_f32_e32 v13, v5, v151
	;; [unrolled: 1-line block ×3, first 2 shown]
	s_delay_alu instid0(VALU_DEP_2) | instskip(NEXT) | instid1(VALU_DEP_1)
	v_add_f32_e32 v13, v13, v153
	v_add_f32_e32 v13, v13, v155
	s_delay_alu instid0(VALU_DEP_1) | instskip(NEXT) | instid1(VALU_DEP_1)
	v_add_f32_e32 v18, v13, v157
	v_dual_add_f32 v18, v18, v159 :: v_dual_add_f32 v1, v1, v16
	s_delay_alu instid0(VALU_DEP_1) | instskip(NEXT) | instid1(VALU_DEP_2)
	v_add_f32_e32 v18, v18, v161
	v_add_f32_e32 v1, v1, v17
	s_delay_alu instid0(VALU_DEP_1) | instskip(NEXT) | instid1(VALU_DEP_1)
	v_add_f32_e32 v1, v1, v144
	v_add_f32_e32 v1, v1, v145
	s_delay_alu instid0(VALU_DEP_1) | instskip(NEXT) | instid1(VALU_DEP_1)
	v_add_f32_e32 v1, v1, v149
	v_add_f32_e32 v1, v1, v150
	s_delay_alu instid0(VALU_DEP_1)
	v_add_f32_e32 v6, v1, v152
	ds_load_2addr_b64 v[1:4], v21 offset0:97 offset1:98
	v_add_f32_e32 v22, v18, v163
	v_add_f32_e32 v14, v6, v154
	scratch_load_b128 v[5:8], off, off offset:360
	v_add_f32_e32 v22, v22, v165
	v_add_f32_e32 v14, v14, v156
	s_delay_alu instid0(VALU_DEP_1)
	v_add_f32_e32 v17, v14, v158
	ds_load_2addr_b64 v[13:16], v21 offset0:99 offset1:100
	s_wait_loadcnt_dscnt 0x101
	v_mul_f32_e32 v134, v1, v10
	v_dual_mul_f32 v10, v2, v10 :: v_dual_mul_f32 v135, v3, v12
	v_mul_f32_e32 v12, v4, v12
	v_add_f32_e32 v22, v22, v167
	s_delay_alu instid0(VALU_DEP_4) | instskip(NEXT) | instid1(VALU_DEP_4)
	v_fmac_f32_e32 v134, v2, v9
	v_fma_f32 v136, v1, v9, -v10
	v_fmac_f32_e32 v135, v4, v11
	v_fma_f32 v137, v3, v11, -v12
	s_clause 0x1
	scratch_load_b128 v[1:4], off, off offset:376
	scratch_load_b128 v[9:12], off, off offset:392
	v_add_f32_e32 v17, v17, v160
	s_delay_alu instid0(VALU_DEP_1) | instskip(NEXT) | instid1(VALU_DEP_1)
	v_add_f32_e32 v17, v17, v162
	v_add_f32_e32 v17, v17, v164
	s_delay_alu instid0(VALU_DEP_1)
	v_add_f32_e32 v23, v17, v166
	scratch_load_b128 v[17:20], off, off offset:408
	s_wait_loadcnt_dscnt 0x300
	v_mul_f32_e32 v138, v13, v6
	v_dual_mul_f32 v6, v14, v6 :: v_dual_mul_f32 v139, v15, v8
	v_mul_f32_e32 v8, v16, v8
	s_delay_alu instid0(VALU_DEP_3) | instskip(NEXT) | instid1(VALU_DEP_3)
	v_dual_fmac_f32 v138, v14, v5 :: v_dual_add_f32 v23, v23, v168
	v_fma_f32 v140, v13, v5, -v6
	s_delay_alu instid0(VALU_DEP_4) | instskip(NEXT) | instid1(VALU_DEP_4)
	v_fmac_f32_e32 v139, v16, v7
	v_fma_f32 v141, v15, v7, -v8
	ds_load_2addr_b64 v[5:8], v21 offset0:101 offset1:102
	v_add_f32_e32 v23, v23, v170
	s_delay_alu instid0(VALU_DEP_1) | instskip(NEXT) | instid1(VALU_DEP_1)
	v_dual_add_f32 v13, v22, v169 :: v_dual_add_f32 v22, v23, v172
	v_add_f32_e32 v142, v22, v174
	s_delay_alu instid0(VALU_DEP_1) | instskip(NEXT) | instid1(VALU_DEP_1)
	v_add_f32_e32 v142, v142, v176
	v_add_f32_e32 v142, v142, v178
	s_delay_alu instid0(VALU_DEP_1) | instskip(NEXT) | instid1(VALU_DEP_1)
	v_add_f32_e32 v136, v142, v136
	v_add_f32_e32 v136, v136, v137
	s_delay_alu instid0(VALU_DEP_1)
	v_dual_add_f32 v136, v136, v140 :: v_dual_add_f32 v23, v13, v171
	ds_load_2addr_b64 v[13:16], v21 offset0:103 offset1:104
	s_wait_loadcnt_dscnt 0x201
	v_mul_f32_e32 v144, v5, v2
	v_mul_f32_e32 v142, v7, v4
	;; [unrolled: 1-line block ×4, first 2 shown]
	s_delay_alu instid0(VALU_DEP_4) | instskip(NEXT) | instid1(VALU_DEP_4)
	v_fmac_f32_e32 v144, v6, v1
	v_fmac_f32_e32 v142, v8, v3
	s_delay_alu instid0(VALU_DEP_4) | instskip(NEXT) | instid1(VALU_DEP_4)
	v_fma_f32 v3, v7, v3, -v4
	v_fma_f32 v2, v5, v1, -v2
	v_add_f32_e32 v1, v136, v141
	s_wait_loadcnt_dscnt 0x100
	v_mul_f32_e32 v145, v15, v12
	v_dual_mul_f32 v4, v16, v12 :: v_dual_add_f32 v143, v23, v173
	ds_load_2addr_b64 v[21:24], v21 offset0:105 offset1:106
	v_dual_mul_f32 v6, v14, v10 :: v_dual_fmac_f32 v145, v16, v11
	v_fma_f32 v4, v15, v11, -v4
	v_add_f32_e32 v143, v143, v175
	s_delay_alu instid0(VALU_DEP_1) | instskip(NEXT) | instid1(VALU_DEP_1)
	v_add_f32_e32 v143, v143, v177
	v_add_f32_e32 v134, v143, v134
	s_delay_alu instid0(VALU_DEP_1) | instskip(SKIP_2) | instid1(VALU_DEP_2)
	v_dual_mul_f32 v143, v13, v10 :: v_dual_add_f32 v134, v134, v135
	s_wait_loadcnt_dscnt 0x0
	v_mul_f32_e32 v137, v23, v20
	v_fmac_f32_e32 v143, v14, v9
	s_delay_alu instid0(VALU_DEP_2) | instskip(SKIP_1) | instid1(VALU_DEP_2)
	v_dual_add_f32 v134, v134, v138 :: v_dual_fmac_f32 v137, v24, v19
	v_add_f32_e32 v1, v1, v2
	v_add_f32_e32 v5, v134, v139
	s_delay_alu instid0(VALU_DEP_1) | instskip(SKIP_1) | instid1(VALU_DEP_2)
	v_add_f32_e32 v2, v5, v144
	v_fma_f32 v5, v13, v9, -v6
	v_add_f32_e32 v2, v2, v142
	s_delay_alu instid0(VALU_DEP_1) | instskip(NEXT) | instid1(VALU_DEP_1)
	v_dual_mul_f32 v135, v21, v18 :: v_dual_add_f32 v2, v2, v143
	v_fmac_f32_e32 v135, v22, v17
	s_delay_alu instid0(VALU_DEP_2) | instskip(NEXT) | instid1(VALU_DEP_1)
	v_add_f32_e32 v2, v2, v145
	v_add_f32_e32 v2, v2, v135
	s_delay_alu instid0(VALU_DEP_1) | instskip(SKIP_1) | instid1(VALU_DEP_2)
	v_dual_add_f32 v2, v2, v137 :: v_dual_add_f32 v1, v1, v3
	v_mul_f32_e32 v3, v22, v18
	v_dual_sub_f32 v2, v132, v2 :: v_dual_add_f32 v1, v1, v5
	v_mul_f32_e32 v5, v24, v20
	s_delay_alu instid0(VALU_DEP_3) | instskip(NEXT) | instid1(VALU_DEP_3)
	v_fma_f32 v3, v21, v17, -v3
	v_add_f32_e32 v1, v1, v4
	s_delay_alu instid0(VALU_DEP_3) | instskip(NEXT) | instid1(VALU_DEP_2)
	v_fma_f32 v4, v23, v19, -v5
	v_add_f32_e32 v1, v1, v3
	s_delay_alu instid0(VALU_DEP_1) | instskip(NEXT) | instid1(VALU_DEP_1)
	v_add_f32_e32 v1, v1, v4
	v_sub_f32_e32 v1, v131, v1
	scratch_store_b64 off, v[1:2], off offset:112
	v_cmpx_lt_u32_e32 13, v0
	s_cbranch_execz .LBB52_305
; %bb.304:
	scratch_load_b64 v[1:2], off, off offset:104
	v_mov_b32_e32 v3, 0
	s_delay_alu instid0(VALU_DEP_1)
	v_mov_b32_e32 v4, v3
	scratch_store_b64 off, v[3:4], off offset:104
	s_wait_loadcnt 0x0
	ds_store_b64 v133, v[1:2]
.LBB52_305:
	s_wait_alu 0xfffe
	s_or_b32 exec_lo, exec_lo, s0
	s_wait_storecnt_dscnt 0x0
	s_barrier_signal -1
	s_barrier_wait -1
	global_inv scope:SCOPE_SE
	s_clause 0x4
	scratch_load_b128 v[5:8], off, off offset:112
	scratch_load_b128 v[1:4], off, off offset:128
	scratch_load_b128 v[9:12], off, off offset:144
	scratch_load_b128 v[13:16], off, off offset:160
	scratch_load_b128 v[17:20], off, off offset:176
	v_mov_b32_e32 v21, 0
	ds_load_b128 v[134:137], v21 offset:544
	ds_load_b128 v[138:141], v21 offset:560
	;; [unrolled: 1-line block ×3, first 2 shown]
	scratch_load_b64 v[22:23], off, off offset:104
	s_mov_b32 s0, exec_lo
	s_wait_loadcnt_dscnt 0x502
	v_mul_f32_e32 v24, v135, v6
	v_dual_mul_f32 v131, v134, v6 :: v_dual_mul_f32 v132, v136, v8
	v_mul_f32_e32 v6, v137, v8
	s_delay_alu instid0(VALU_DEP_3) | instskip(NEXT) | instid1(VALU_DEP_3)
	v_fma_f32 v24, v134, v5, -v24
	v_dual_fmac_f32 v131, v135, v5 :: v_dual_fmac_f32 v132, v137, v7
	s_wait_loadcnt_dscnt 0x401
	v_mul_f32_e32 v135, v138, v2
	v_fma_f32 v134, v136, v7, -v6
	ds_load_b128 v[5:8], v21 offset:592
	s_wait_loadcnt_dscnt 0x301
	v_dual_mul_f32 v136, v140, v4 :: v_dual_mul_f32 v137, v142, v10
	v_dual_mul_f32 v4, v141, v4 :: v_dual_fmac_f32 v135, v139, v1
	v_mul_f32_e32 v10, v143, v10
	s_delay_alu instid0(VALU_DEP_3)
	v_dual_mul_f32 v146, v144, v12 :: v_dual_fmac_f32 v137, v143, v9
	v_mul_f32_e32 v12, v145, v12
	v_mul_f32_e32 v2, v139, v2
	v_fmac_f32_e32 v136, v141, v3
	v_fma_f32 v139, v140, v3, -v4
	v_fma_f32 v140, v142, v9, -v10
	v_fmac_f32_e32 v146, v145, v11
	v_fma_f32 v141, v144, v11, -v12
	ds_load_b128 v[9:12], v21 offset:608
	s_wait_loadcnt_dscnt 0x201
	v_dual_mul_f32 v143, v7, v16 :: v_dual_mul_f32 v142, v5, v14
	v_mul_f32_e32 v14, v6, v14
	v_mul_f32_e32 v16, v8, v16
	s_delay_alu instid0(VALU_DEP_3)
	v_fmac_f32_e32 v143, v8, v15
	v_fma_f32 v138, v138, v1, -v2
	scratch_load_b128 v[1:4], off, off offset:192
	v_fmac_f32_e32 v142, v6, v13
	v_fma_f32 v13, v5, v13, -v14
	v_fma_f32 v14, v7, v15, -v16
	ds_load_b128 v[5:8], v21 offset:624
	s_wait_loadcnt_dscnt 0x201
	v_mul_f32_e32 v15, v9, v18
	v_mul_f32_e32 v16, v10, v18
	;; [unrolled: 1-line block ×3, first 2 shown]
	s_delay_alu instid0(VALU_DEP_3) | instskip(NEXT) | instid1(VALU_DEP_3)
	v_dual_mul_f32 v20, v12, v20 :: v_dual_fmac_f32 v15, v10, v17
	v_fma_f32 v16, v9, v17, -v16
	s_delay_alu instid0(VALU_DEP_3) | instskip(NEXT) | instid1(VALU_DEP_3)
	v_fmac_f32_e32 v18, v12, v19
	v_fma_f32 v17, v11, v19, -v20
	scratch_load_b128 v[9:12], off, off offset:208
	s_wait_loadcnt_dscnt 0x100
	v_mul_f32_e32 v19, v5, v2
	v_mul_f32_e32 v2, v6, v2
	v_mul_f32_e32 v20, v7, v4
	s_delay_alu instid0(VALU_DEP_3) | instskip(NEXT) | instid1(VALU_DEP_3)
	v_dual_mul_f32 v4, v8, v4 :: v_dual_fmac_f32 v19, v6, v1
	v_fma_f32 v144, v5, v1, -v2
	s_delay_alu instid0(VALU_DEP_3) | instskip(NEXT) | instid1(VALU_DEP_3)
	v_fmac_f32_e32 v20, v8, v3
	v_fma_f32 v145, v7, v3, -v4
	ds_load_b128 v[1:4], v21 offset:640
	ds_load_b128 v[5:8], v21 offset:656
	s_wait_loadcnt_dscnt 0x1
	v_mul_f32_e32 v147, v1, v10
	v_mul_f32_e32 v10, v2, v10
	s_delay_alu instid0(VALU_DEP_2) | instskip(NEXT) | instid1(VALU_DEP_2)
	v_dual_mul_f32 v148, v3, v12 :: v_dual_fmac_f32 v147, v2, v9
	v_fma_f32 v149, v1, v9, -v10
	v_mul_f32_e32 v1, v4, v12
	s_delay_alu instid0(VALU_DEP_3) | instskip(NEXT) | instid1(VALU_DEP_2)
	v_fmac_f32_e32 v148, v4, v11
	v_fma_f32 v150, v3, v11, -v1
	s_clause 0x1
	scratch_load_b128 v[1:4], off, off offset:224
	scratch_load_b128 v[9:12], off, off offset:240
	s_wait_loadcnt_dscnt 0x100
	v_mul_f32_e32 v151, v5, v2
	v_dual_mul_f32 v2, v6, v2 :: v_dual_mul_f32 v153, v7, v4
	s_delay_alu instid0(VALU_DEP_2) | instskip(NEXT) | instid1(VALU_DEP_2)
	v_fmac_f32_e32 v151, v6, v1
	v_fma_f32 v152, v5, v1, -v2
	v_mul_f32_e32 v1, v8, v4
	s_delay_alu instid0(VALU_DEP_4) | instskip(NEXT) | instid1(VALU_DEP_2)
	v_fmac_f32_e32 v153, v8, v3
	v_fma_f32 v154, v7, v3, -v1
	ds_load_b128 v[1:4], v21 offset:672
	ds_load_b128 v[5:8], v21 offset:688
	s_wait_loadcnt_dscnt 0x1
	v_mul_f32_e32 v155, v1, v10
	v_mul_f32_e32 v157, v3, v12
	s_delay_alu instid0(VALU_DEP_2) | instskip(NEXT) | instid1(VALU_DEP_2)
	v_fmac_f32_e32 v155, v2, v9
	v_dual_mul_f32 v2, v2, v10 :: v_dual_fmac_f32 v157, v4, v11
	s_delay_alu instid0(VALU_DEP_1) | instskip(SKIP_1) | instid1(VALU_DEP_1)
	v_fma_f32 v156, v1, v9, -v2
	v_mul_f32_e32 v1, v4, v12
	v_fma_f32 v158, v3, v11, -v1
	s_clause 0x1
	scratch_load_b128 v[1:4], off, off offset:256
	scratch_load_b128 v[9:12], off, off offset:272
	s_wait_loadcnt_dscnt 0x100
	v_mul_f32_e32 v159, v5, v2
	v_dual_mul_f32 v161, v7, v4 :: v_dual_mul_f32 v2, v6, v2
	s_delay_alu instid0(VALU_DEP_2) | instskip(NEXT) | instid1(VALU_DEP_2)
	v_fmac_f32_e32 v159, v6, v1
	v_fmac_f32_e32 v161, v8, v3
	s_delay_alu instid0(VALU_DEP_3) | instskip(SKIP_1) | instid1(VALU_DEP_1)
	v_fma_f32 v160, v5, v1, -v2
	v_mul_f32_e32 v1, v8, v4
	v_fma_f32 v162, v7, v3, -v1
	ds_load_b128 v[1:4], v21 offset:704
	ds_load_b128 v[5:8], v21 offset:720
	s_wait_loadcnt_dscnt 0x1
	v_mul_f32_e32 v163, v1, v10
	v_mul_f32_e32 v165, v3, v12
	s_delay_alu instid0(VALU_DEP_2) | instskip(NEXT) | instid1(VALU_DEP_2)
	v_fmac_f32_e32 v163, v2, v9
	v_dual_mul_f32 v2, v2, v10 :: v_dual_fmac_f32 v165, v4, v11
	s_delay_alu instid0(VALU_DEP_1) | instskip(SKIP_1) | instid1(VALU_DEP_1)
	v_fma_f32 v164, v1, v9, -v2
	v_mul_f32_e32 v1, v4, v12
	v_fma_f32 v166, v3, v11, -v1
	s_clause 0x1
	scratch_load_b128 v[1:4], off, off offset:288
	scratch_load_b128 v[9:12], off, off offset:304
	s_wait_loadcnt_dscnt 0x100
	v_mul_f32_e32 v167, v5, v2
	v_dual_mul_f32 v2, v6, v2 :: v_dual_mul_f32 v169, v7, v4
	s_delay_alu instid0(VALU_DEP_2) | instskip(NEXT) | instid1(VALU_DEP_2)
	v_fmac_f32_e32 v167, v6, v1
	v_fma_f32 v168, v5, v1, -v2
	v_mul_f32_e32 v1, v8, v4
	s_delay_alu instid0(VALU_DEP_4) | instskip(NEXT) | instid1(VALU_DEP_2)
	v_fmac_f32_e32 v169, v8, v3
	v_fma_f32 v170, v7, v3, -v1
	ds_load_b128 v[1:4], v21 offset:736
	ds_load_b128 v[5:8], v21 offset:752
	s_wait_loadcnt_dscnt 0x1
	v_mul_f32_e32 v171, v1, v10
	v_mul_f32_e32 v173, v3, v12
	s_delay_alu instid0(VALU_DEP_2) | instskip(NEXT) | instid1(VALU_DEP_2)
	v_fmac_f32_e32 v171, v2, v9
	v_dual_mul_f32 v2, v2, v10 :: v_dual_fmac_f32 v173, v4, v11
	s_delay_alu instid0(VALU_DEP_1) | instskip(SKIP_1) | instid1(VALU_DEP_1)
	v_fma_f32 v172, v1, v9, -v2
	v_mul_f32_e32 v1, v4, v12
	v_fma_f32 v174, v3, v11, -v1
	s_clause 0x1
	scratch_load_b128 v[1:4], off, off offset:320
	scratch_load_b128 v[9:12], off, off offset:336
	s_wait_loadcnt_dscnt 0x100
	v_mul_f32_e32 v175, v5, v2
	v_mul_f32_e32 v2, v6, v2
	s_delay_alu instid0(VALU_DEP_1) | instskip(SKIP_1) | instid1(VALU_DEP_1)
	v_fma_f32 v176, v5, v1, -v2
	v_add_f32_e32 v2, 0, v131
	v_add_f32_e32 v2, v2, v132
	s_delay_alu instid0(VALU_DEP_1) | instskip(NEXT) | instid1(VALU_DEP_1)
	v_add_f32_e32 v2, v2, v135
	v_add_f32_e32 v2, v2, v136
	s_delay_alu instid0(VALU_DEP_1) | instskip(NEXT) | instid1(VALU_DEP_1)
	;; [unrolled: 3-line block ×4, first 2 shown]
	v_dual_add_f32 v2, v2, v15 :: v_dual_mul_f32 v177, v7, v4
	v_add_f32_e32 v2, v2, v18
	s_delay_alu instid0(VALU_DEP_1) | instskip(SKIP_1) | instid1(VALU_DEP_2)
	v_add_f32_e32 v2, v2, v19
	v_fmac_f32_e32 v175, v6, v1
	v_dual_fmac_f32 v177, v8, v3 :: v_dual_add_f32 v2, v2, v20
	s_delay_alu instid0(VALU_DEP_1) | instskip(NEXT) | instid1(VALU_DEP_1)
	v_dual_mul_f32 v1, v8, v4 :: v_dual_add_f32 v2, v2, v147
	v_fma_f32 v178, v7, v3, -v1
	v_add_f32_e32 v1, 0, v24
	s_delay_alu instid0(VALU_DEP_3) | instskip(NEXT) | instid1(VALU_DEP_2)
	v_add_f32_e32 v5, v2, v148
	v_add_f32_e32 v1, v1, v134
	s_delay_alu instid0(VALU_DEP_1) | instskip(NEXT) | instid1(VALU_DEP_1)
	v_add_f32_e32 v1, v1, v138
	v_add_f32_e32 v1, v1, v139
	s_delay_alu instid0(VALU_DEP_1) | instskip(NEXT) | instid1(VALU_DEP_1)
	v_add_f32_e32 v1, v1, v140
	v_add_f32_e32 v1, v1, v141
	s_delay_alu instid0(VALU_DEP_1) | instskip(SKIP_1) | instid1(VALU_DEP_1)
	v_add_f32_e32 v1, v1, v13
	v_add_f32_e32 v13, v5, v151
	;; [unrolled: 1-line block ×3, first 2 shown]
	s_delay_alu instid0(VALU_DEP_1) | instskip(NEXT) | instid1(VALU_DEP_1)
	v_add_f32_e32 v13, v13, v155
	v_add_f32_e32 v18, v13, v157
	s_delay_alu instid0(VALU_DEP_1) | instskip(NEXT) | instid1(VALU_DEP_1)
	v_dual_add_f32 v18, v18, v159 :: v_dual_add_f32 v1, v1, v14
	v_dual_add_f32 v18, v18, v161 :: v_dual_add_f32 v1, v1, v16
	s_delay_alu instid0(VALU_DEP_1) | instskip(NEXT) | instid1(VALU_DEP_1)
	v_add_f32_e32 v1, v1, v17
	v_add_f32_e32 v1, v1, v144
	s_delay_alu instid0(VALU_DEP_1) | instskip(NEXT) | instid1(VALU_DEP_1)
	v_add_f32_e32 v1, v1, v145
	v_add_f32_e32 v1, v1, v149
	;; [unrolled: 3-line block ×3, first 2 shown]
	scratch_load_b128 v[1:4], off, off offset:352
	v_add_f32_e32 v131, v18, v163
	v_add_f32_e32 v14, v6, v154
	ds_load_b128 v[5:8], v21 offset:768
	v_add_f32_e32 v134, v131, v165
	v_add_f32_e32 v14, v14, v156
	s_delay_alu instid0(VALU_DEP_1)
	v_add_f32_e32 v17, v14, v158
	ds_load_b128 v[13:16], v21 offset:784
	s_wait_loadcnt_dscnt 0x101
	v_mul_f32_e32 v24, v5, v10
	v_mul_f32_e32 v10, v6, v10
	;; [unrolled: 1-line block ×4, first 2 shown]
	v_add_f32_e32 v134, v134, v167
	v_fmac_f32_e32 v24, v6, v9
	v_fma_f32 v141, v5, v9, -v10
	v_fmac_f32_e32 v140, v8, v11
	v_fma_f32 v142, v7, v11, -v12
	scratch_load_b128 v[5:8], off, off offset:368
	v_add_f32_e32 v134, v134, v169
	scratch_load_b128 v[9:12], off, off offset:384
	s_wait_loadcnt_dscnt 0x200
	v_mul_f32_e32 v143, v13, v2
	v_mul_f32_e32 v2, v14, v2
	;; [unrolled: 1-line block ×3, first 2 shown]
	s_delay_alu instid0(VALU_DEP_3) | instskip(NEXT) | instid1(VALU_DEP_3)
	v_dual_mul_f32 v4, v16, v4 :: v_dual_fmac_f32 v143, v14, v1
	v_fma_f32 v145, v13, v1, -v2
	v_add_f32_e32 v13, v134, v171
	s_delay_alu instid0(VALU_DEP_4) | instskip(NEXT) | instid1(VALU_DEP_4)
	v_fmac_f32_e32 v144, v16, v3
	v_fma_f32 v146, v15, v3, -v4
	ds_load_b128 v[1:4], v21 offset:800
	v_add_f32_e32 v134, v13, v173
	v_add_f32_e32 v17, v17, v160
	s_delay_alu instid0(VALU_DEP_2) | instskip(NEXT) | instid1(VALU_DEP_1)
	v_add_f32_e32 v139, v134, v175
	v_dual_add_f32 v148, v139, v177 :: v_dual_add_f32 v17, v17, v162
	s_delay_alu instid0(VALU_DEP_1) | instskip(NEXT) | instid1(VALU_DEP_1)
	v_add_f32_e32 v24, v148, v24
	v_add_f32_e32 v24, v24, v140
	s_delay_alu instid0(VALU_DEP_1) | instskip(NEXT) | instid1(VALU_DEP_1)
	v_dual_add_f32 v17, v17, v164 :: v_dual_add_f32 v24, v24, v143
	v_add_f32_e32 v132, v17, v166
	scratch_load_b128 v[17:20], off, off offset:400
	v_add_f32_e32 v24, v24, v144
	v_add_f32_e32 v135, v132, v168
	scratch_load_b64 v[131:132], off, off offset:416
	v_add_f32_e32 v135, v135, v170
	s_delay_alu instid0(VALU_DEP_1) | instskip(NEXT) | instid1(VALU_DEP_1)
	v_add_f32_e32 v135, v135, v172
	v_add_f32_e32 v14, v135, v174
	ds_load_b128 v[134:137], v21 offset:832
	v_add_f32_e32 v138, v14, v176
	ds_load_b128 v[13:16], v21 offset:816
	s_wait_loadcnt_dscnt 0x302
	v_mul_f32_e32 v140, v3, v8
	v_mul_f32_e32 v8, v4, v8
	s_delay_alu instid0(VALU_DEP_2) | instskip(SKIP_3) | instid1(VALU_DEP_1)
	v_dual_fmac_f32 v140, v4, v7 :: v_dual_add_f32 v147, v138, v178
	ds_load_b64 v[138:139], v21 offset:848
	s_wait_loadcnt_dscnt 0x0
	v_dual_add_f32 v141, v147, v141 :: v_dual_mul_f32 v144, v138, v132
	v_add_f32_e32 v141, v141, v142
	v_mul_f32_e32 v142, v13, v10
	v_mul_f32_e32 v147, v1, v6
	;; [unrolled: 1-line block ×3, first 2 shown]
	v_fmac_f32_e32 v144, v139, v131
	s_delay_alu instid0(VALU_DEP_4) | instskip(NEXT) | instid1(VALU_DEP_4)
	v_fmac_f32_e32 v142, v14, v9
	v_fmac_f32_e32 v147, v2, v5
	s_delay_alu instid0(VALU_DEP_4) | instskip(SKIP_1) | instid1(VALU_DEP_3)
	v_fma_f32 v1, v1, v5, -v6
	v_fma_f32 v2, v3, v7, -v8
	v_dual_mul_f32 v3, v14, v10 :: v_dual_add_f32 v4, v24, v147
	v_add_f32_e32 v141, v141, v145
	s_delay_alu instid0(VALU_DEP_2) | instskip(NEXT) | instid1(VALU_DEP_2)
	v_fma_f32 v3, v13, v9, -v3
	v_dual_add_f32 v141, v141, v146 :: v_dual_mul_f32 v146, v136, v20
	s_delay_alu instid0(VALU_DEP_1) | instskip(NEXT) | instid1(VALU_DEP_2)
	v_dual_mul_f32 v145, v134, v18 :: v_dual_fmac_f32 v146, v137, v19
	v_add_f32_e32 v1, v141, v1
	s_delay_alu instid0(VALU_DEP_2) | instskip(NEXT) | instid1(VALU_DEP_2)
	v_fmac_f32_e32 v145, v135, v17
	v_dual_add_f32 v1, v1, v2 :: v_dual_add_f32 v2, v4, v140
	v_mul_f32_e32 v143, v15, v12
	v_mul_f32_e32 v4, v135, v18
	s_delay_alu instid0(VALU_DEP_2) | instskip(NEXT) | instid1(VALU_DEP_2)
	v_dual_add_f32 v2, v2, v142 :: v_dual_fmac_f32 v143, v16, v11
	v_fma_f32 v4, v134, v17, -v4
	s_delay_alu instid0(VALU_DEP_2) | instskip(NEXT) | instid1(VALU_DEP_1)
	v_dual_add_f32 v2, v2, v143 :: v_dual_mul_f32 v5, v16, v12
	v_add_f32_e32 v2, v2, v145
	s_delay_alu instid0(VALU_DEP_2) | instskip(NEXT) | instid1(VALU_DEP_2)
	v_fma_f32 v5, v15, v11, -v5
	v_add_f32_e32 v2, v2, v146
	s_delay_alu instid0(VALU_DEP_1) | instskip(NEXT) | instid1(VALU_DEP_1)
	v_dual_add_f32 v2, v2, v144 :: v_dual_add_f32 v1, v1, v3
	v_dual_mul_f32 v3, v137, v20 :: v_dual_sub_f32 v2, v23, v2
	s_delay_alu instid0(VALU_DEP_2) | instskip(SKIP_1) | instid1(VALU_DEP_3)
	v_add_f32_e32 v1, v1, v5
	v_mul_f32_e32 v5, v139, v132
	v_fma_f32 v3, v136, v19, -v3
	s_delay_alu instid0(VALU_DEP_3) | instskip(NEXT) | instid1(VALU_DEP_3)
	v_add_f32_e32 v1, v1, v4
	v_fma_f32 v4, v138, v131, -v5
	s_delay_alu instid0(VALU_DEP_2) | instskip(NEXT) | instid1(VALU_DEP_1)
	v_add_f32_e32 v1, v1, v3
	v_add_f32_e32 v1, v1, v4
	s_delay_alu instid0(VALU_DEP_1)
	v_sub_f32_e32 v1, v22, v1
	scratch_store_b64 off, v[1:2], off offset:104
	v_cmpx_lt_u32_e32 12, v0
	s_cbranch_execz .LBB52_307
; %bb.306:
	scratch_load_b64 v[1:2], off, off offset:96
	v_mov_b32_e32 v22, v21
	scratch_store_b64 off, v[21:22], off offset:96
	s_wait_loadcnt 0x0
	ds_store_b64 v133, v[1:2]
.LBB52_307:
	s_wait_alu 0xfffe
	s_or_b32 exec_lo, exec_lo, s0
	s_wait_storecnt_dscnt 0x0
	s_barrier_signal -1
	s_barrier_wait -1
	global_inv scope:SCOPE_SE
	s_clause 0x4
	scratch_load_b128 v[5:8], off, off offset:104
	scratch_load_b128 v[1:4], off, off offset:120
	;; [unrolled: 1-line block ×5, first 2 shown]
	ds_load_2addr_b64 v[134:137], v21 offset0:67 offset1:68
	ds_load_2addr_b64 v[138:141], v21 offset0:69 offset1:70
	ds_load_2addr_b64 v[142:145], v21 offset0:71 offset1:72
	scratch_load_b64 v[131:132], off, off offset:96
	s_mov_b32 s0, exec_lo
	s_wait_loadcnt_dscnt 0x502
	v_mul_f32_e32 v22, v135, v6
	v_dual_mul_f32 v23, v134, v6 :: v_dual_mul_f32 v24, v136, v8
	v_mul_f32_e32 v6, v137, v8
	s_delay_alu instid0(VALU_DEP_3) | instskip(NEXT) | instid1(VALU_DEP_3)
	v_fma_f32 v22, v134, v5, -v22
	v_dual_fmac_f32 v23, v135, v5 :: v_dual_fmac_f32 v24, v137, v7
	s_wait_loadcnt_dscnt 0x401
	v_mul_f32_e32 v135, v138, v2
	v_fma_f32 v134, v136, v7, -v6
	ds_load_2addr_b64 v[5:8], v21 offset0:73 offset1:74
	s_wait_loadcnt_dscnt 0x301
	v_dual_mul_f32 v136, v140, v4 :: v_dual_mul_f32 v137, v142, v10
	v_dual_mul_f32 v4, v141, v4 :: v_dual_fmac_f32 v135, v139, v1
	v_mul_f32_e32 v10, v143, v10
	s_delay_alu instid0(VALU_DEP_3)
	v_dual_mul_f32 v146, v144, v12 :: v_dual_fmac_f32 v137, v143, v9
	v_mul_f32_e32 v12, v145, v12
	v_mul_f32_e32 v2, v139, v2
	v_fmac_f32_e32 v136, v141, v3
	v_fma_f32 v139, v140, v3, -v4
	v_fma_f32 v140, v142, v9, -v10
	v_fmac_f32_e32 v146, v145, v11
	v_fma_f32 v141, v144, v11, -v12
	ds_load_2addr_b64 v[9:12], v21 offset0:75 offset1:76
	s_wait_loadcnt_dscnt 0x201
	v_mul_f32_e32 v142, v5, v14
	v_dual_mul_f32 v14, v6, v14 :: v_dual_mul_f32 v143, v7, v16
	v_mul_f32_e32 v16, v8, v16
	s_delay_alu instid0(VALU_DEP_3) | instskip(NEXT) | instid1(VALU_DEP_3)
	v_fmac_f32_e32 v142, v6, v13
	v_fma_f32 v13, v5, v13, -v14
	s_delay_alu instid0(VALU_DEP_4) | instskip(NEXT) | instid1(VALU_DEP_4)
	v_fmac_f32_e32 v143, v8, v15
	v_fma_f32 v14, v7, v15, -v16
	ds_load_2addr_b64 v[5:8], v21 offset0:77 offset1:78
	s_wait_loadcnt_dscnt 0x101
	v_mul_f32_e32 v15, v9, v18
	v_mul_f32_e32 v16, v10, v18
	;; [unrolled: 1-line block ×3, first 2 shown]
	s_delay_alu instid0(VALU_DEP_3)
	v_dual_mul_f32 v20, v12, v20 :: v_dual_fmac_f32 v15, v10, v17
	v_fma_f32 v138, v138, v1, -v2
	scratch_load_b128 v[1:4], off, off offset:184
	v_fma_f32 v16, v9, v17, -v16
	v_fmac_f32_e32 v18, v12, v19
	v_fma_f32 v17, v11, v19, -v20
	scratch_load_b128 v[9:12], off, off offset:200
	s_wait_loadcnt_dscnt 0x100
	v_mul_f32_e32 v19, v5, v2
	v_mul_f32_e32 v2, v6, v2
	;; [unrolled: 1-line block ×3, first 2 shown]
	s_delay_alu instid0(VALU_DEP_3) | instskip(NEXT) | instid1(VALU_DEP_3)
	v_dual_mul_f32 v4, v8, v4 :: v_dual_fmac_f32 v19, v6, v1
	v_fma_f32 v144, v5, v1, -v2
	s_delay_alu instid0(VALU_DEP_3) | instskip(NEXT) | instid1(VALU_DEP_3)
	v_fmac_f32_e32 v20, v8, v3
	v_fma_f32 v145, v7, v3, -v4
	ds_load_2addr_b64 v[1:4], v21 offset0:79 offset1:80
	ds_load_2addr_b64 v[5:8], v21 offset0:81 offset1:82
	s_wait_loadcnt_dscnt 0x1
	v_mul_f32_e32 v147, v1, v10
	v_mul_f32_e32 v10, v2, v10
	s_delay_alu instid0(VALU_DEP_2) | instskip(NEXT) | instid1(VALU_DEP_2)
	v_dual_mul_f32 v148, v3, v12 :: v_dual_fmac_f32 v147, v2, v9
	v_fma_f32 v149, v1, v9, -v10
	v_mul_f32_e32 v1, v4, v12
	s_delay_alu instid0(VALU_DEP_3) | instskip(NEXT) | instid1(VALU_DEP_2)
	v_fmac_f32_e32 v148, v4, v11
	v_fma_f32 v150, v3, v11, -v1
	s_clause 0x1
	scratch_load_b128 v[1:4], off, off offset:216
	scratch_load_b128 v[9:12], off, off offset:232
	s_wait_loadcnt_dscnt 0x100
	v_mul_f32_e32 v151, v5, v2
	v_dual_mul_f32 v2, v6, v2 :: v_dual_mul_f32 v153, v7, v4
	s_delay_alu instid0(VALU_DEP_2) | instskip(NEXT) | instid1(VALU_DEP_2)
	v_fmac_f32_e32 v151, v6, v1
	v_fma_f32 v152, v5, v1, -v2
	v_mul_f32_e32 v1, v8, v4
	s_delay_alu instid0(VALU_DEP_4) | instskip(NEXT) | instid1(VALU_DEP_2)
	v_fmac_f32_e32 v153, v8, v3
	v_fma_f32 v154, v7, v3, -v1
	ds_load_2addr_b64 v[1:4], v21 offset0:83 offset1:84
	ds_load_2addr_b64 v[5:8], v21 offset0:85 offset1:86
	s_wait_loadcnt_dscnt 0x1
	v_mul_f32_e32 v155, v1, v10
	v_mul_f32_e32 v157, v3, v12
	s_delay_alu instid0(VALU_DEP_2) | instskip(NEXT) | instid1(VALU_DEP_2)
	v_fmac_f32_e32 v155, v2, v9
	v_dual_mul_f32 v2, v2, v10 :: v_dual_fmac_f32 v157, v4, v11
	s_delay_alu instid0(VALU_DEP_1) | instskip(SKIP_1) | instid1(VALU_DEP_1)
	v_fma_f32 v156, v1, v9, -v2
	v_mul_f32_e32 v1, v4, v12
	v_fma_f32 v158, v3, v11, -v1
	s_clause 0x1
	scratch_load_b128 v[1:4], off, off offset:248
	scratch_load_b128 v[9:12], off, off offset:264
	s_wait_loadcnt_dscnt 0x100
	v_mul_f32_e32 v159, v5, v2
	v_dual_mul_f32 v2, v6, v2 :: v_dual_mul_f32 v161, v7, v4
	s_delay_alu instid0(VALU_DEP_2) | instskip(NEXT) | instid1(VALU_DEP_2)
	v_fmac_f32_e32 v159, v6, v1
	v_fma_f32 v160, v5, v1, -v2
	v_mul_f32_e32 v1, v8, v4
	s_delay_alu instid0(VALU_DEP_4) | instskip(NEXT) | instid1(VALU_DEP_2)
	v_fmac_f32_e32 v161, v8, v3
	v_fma_f32 v162, v7, v3, -v1
	ds_load_2addr_b64 v[1:4], v21 offset0:87 offset1:88
	ds_load_2addr_b64 v[5:8], v21 offset0:89 offset1:90
	s_wait_loadcnt_dscnt 0x1
	v_mul_f32_e32 v163, v1, v10
	v_mul_f32_e32 v165, v3, v12
	s_delay_alu instid0(VALU_DEP_2) | instskip(NEXT) | instid1(VALU_DEP_2)
	v_fmac_f32_e32 v163, v2, v9
	v_dual_mul_f32 v2, v2, v10 :: v_dual_fmac_f32 v165, v4, v11
	s_delay_alu instid0(VALU_DEP_1) | instskip(SKIP_1) | instid1(VALU_DEP_1)
	v_fma_f32 v164, v1, v9, -v2
	v_mul_f32_e32 v1, v4, v12
	;; [unrolled: 25-line block ×4, first 2 shown]
	v_fma_f32 v182, v3, v11, -v1
	s_clause 0x1
	scratch_load_b128 v[1:4], off, off offset:344
	scratch_load_b128 v[9:12], off, off offset:360
	s_wait_loadcnt_dscnt 0x100
	v_mul_f32_e32 v183, v5, v2
	v_mul_f32_e32 v2, v6, v2
	s_delay_alu instid0(VALU_DEP_1) | instskip(SKIP_1) | instid1(VALU_DEP_1)
	v_fma_f32 v184, v5, v1, -v2
	v_add_f32_e32 v2, 0, v23
	v_add_f32_e32 v2, v2, v24
	s_delay_alu instid0(VALU_DEP_1) | instskip(NEXT) | instid1(VALU_DEP_1)
	v_add_f32_e32 v2, v2, v135
	v_add_f32_e32 v2, v2, v136
	s_delay_alu instid0(VALU_DEP_1) | instskip(NEXT) | instid1(VALU_DEP_1)
	;; [unrolled: 3-line block ×6, first 2 shown]
	v_add_f32_e32 v2, v2, v147
	v_add_f32_e32 v2, v2, v148
	v_fmac_f32_e32 v183, v6, v1
	s_delay_alu instid0(VALU_DEP_2) | instskip(NEXT) | instid1(VALU_DEP_1)
	v_dual_add_f32 v2, v2, v151 :: v_dual_mul_f32 v185, v7, v4
	v_add_f32_e32 v2, v2, v153
	s_delay_alu instid0(VALU_DEP_1) | instskip(NEXT) | instid1(VALU_DEP_1)
	v_add_f32_e32 v5, v2, v155
	v_add_f32_e32 v5, v5, v157
	s_delay_alu instid0(VALU_DEP_1) | instskip(SKIP_1) | instid1(VALU_DEP_1)
	v_add_f32_e32 v5, v5, v159
	v_mul_f32_e32 v1, v8, v4
	v_fma_f32 v186, v7, v3, -v1
	v_add_f32_e32 v1, 0, v22
	s_delay_alu instid0(VALU_DEP_1) | instskip(NEXT) | instid1(VALU_DEP_1)
	v_add_f32_e32 v1, v1, v134
	v_add_f32_e32 v1, v1, v138
	s_delay_alu instid0(VALU_DEP_1) | instskip(NEXT) | instid1(VALU_DEP_1)
	v_add_f32_e32 v1, v1, v139
	;; [unrolled: 3-line block ×3, first 2 shown]
	v_add_f32_e32 v1, v1, v13
	s_delay_alu instid0(VALU_DEP_1) | instskip(SKIP_1) | instid1(VALU_DEP_2)
	v_add_f32_e32 v1, v1, v14
	v_add_f32_e32 v14, v5, v161
	v_add_f32_e32 v1, v1, v16
	s_delay_alu instid0(VALU_DEP_1) | instskip(NEXT) | instid1(VALU_DEP_1)
	v_add_f32_e32 v1, v1, v17
	v_add_f32_e32 v1, v1, v144
	s_delay_alu instid0(VALU_DEP_1) | instskip(NEXT) | instid1(VALU_DEP_1)
	v_add_f32_e32 v1, v1, v145
	v_add_f32_e32 v1, v1, v149
	;; [unrolled: 3-line block ×4, first 2 shown]
	s_delay_alu instid0(VALU_DEP_1) | instskip(SKIP_3) | instid1(VALU_DEP_2)
	v_dual_add_f32 v6, v1, v158 :: v_dual_fmac_f32 v185, v8, v3
	ds_load_2addr_b64 v[1:4], v21 offset0:99 offset1:100
	v_add_f32_e32 v14, v14, v163
	v_add_f32_e32 v6, v6, v160
	v_add_f32_e32 v14, v14, v165
	s_delay_alu instid0(VALU_DEP_2)
	v_add_f32_e32 v13, v6, v162
	ds_load_2addr_b64 v[5:8], v21 offset0:101 offset1:102
	s_wait_loadcnt_dscnt 0x1
	v_dual_mul_f32 v134, v1, v10 :: v_dual_mul_f32 v135, v3, v12
	v_mul_f32_e32 v10, v2, v10
	v_dual_mul_f32 v12, v4, v12 :: v_dual_add_f32 v17, v14, v167
	s_delay_alu instid0(VALU_DEP_3) | instskip(NEXT) | instid1(VALU_DEP_3)
	v_dual_fmac_f32 v134, v2, v9 :: v_dual_fmac_f32 v135, v4, v11
	v_fma_f32 v136, v1, v9, -v10
	s_delay_alu instid0(VALU_DEP_3) | instskip(SKIP_4) | instid1(VALU_DEP_1)
	v_fma_f32 v137, v3, v11, -v12
	s_clause 0x1
	scratch_load_b128 v[1:4], off, off offset:376
	scratch_load_b128 v[9:12], off, off offset:392
	v_add_f32_e32 v13, v13, v164
	v_add_f32_e32 v13, v13, v166
	s_delay_alu instid0(VALU_DEP_1) | instskip(NEXT) | instid1(VALU_DEP_1)
	v_add_f32_e32 v13, v13, v168
	v_add_f32_e32 v18, v13, v170
	scratch_load_b128 v[13:16], off, off offset:408
	v_dual_add_f32 v17, v17, v169 :: v_dual_add_f32 v18, v18, v172
	s_delay_alu instid0(VALU_DEP_1) | instskip(NEXT) | instid1(VALU_DEP_1)
	v_dual_add_f32 v17, v17, v171 :: v_dual_add_f32 v18, v18, v174
	v_dual_add_f32 v17, v17, v173 :: v_dual_add_f32 v22, v18, v176
	s_delay_alu instid0(VALU_DEP_1) | instskip(SKIP_4) | instid1(VALU_DEP_1)
	v_add_f32_e32 v23, v17, v175
	ds_load_2addr_b64 v[17:20], v21 offset0:103 offset1:104
	v_dual_add_f32 v138, v22, v178 :: v_dual_add_f32 v139, v23, v177
	ds_load_2addr_b64 v[21:24], v21 offset0:105 offset1:106
	v_add_f32_e32 v138, v138, v180
	v_add_f32_e32 v138, v138, v182
	s_delay_alu instid0(VALU_DEP_1) | instskip(NEXT) | instid1(VALU_DEP_1)
	v_add_f32_e32 v138, v138, v184
	v_add_f32_e32 v138, v138, v186
	s_delay_alu instid0(VALU_DEP_1)
	v_add_f32_e32 v136, v138, v136
	s_wait_loadcnt_dscnt 0x202
	v_dual_mul_f32 v140, v5, v2 :: v_dual_add_f32 v139, v139, v179
	s_wait_loadcnt_dscnt 0x101
	v_mul_f32_e32 v142, v17, v10
	v_dual_mul_f32 v2, v6, v2 :: v_dual_mul_f32 v141, v7, v4
	s_delay_alu instid0(VALU_DEP_3) | instskip(SKIP_1) | instid1(VALU_DEP_3)
	v_dual_mul_f32 v4, v8, v4 :: v_dual_add_f32 v139, v139, v181
	v_fmac_f32_e32 v140, v6, v1
	v_fma_f32 v2, v5, v1, -v2
	v_dual_add_f32 v1, v136, v137 :: v_dual_mul_f32 v6, v18, v10
	s_delay_alu instid0(VALU_DEP_4) | instskip(SKIP_2) | instid1(VALU_DEP_4)
	v_add_f32_e32 v139, v139, v183
	v_fmac_f32_e32 v141, v8, v3
	v_fma_f32 v3, v7, v3, -v4
	v_add_f32_e32 v1, v1, v2
	v_mul_f32_e32 v143, v19, v12
	v_dual_add_f32 v139, v139, v185 :: v_dual_mul_f32 v4, v20, v12
	s_delay_alu instid0(VALU_DEP_3) | instskip(SKIP_2) | instid1(VALU_DEP_3)
	v_dual_fmac_f32 v142, v18, v9 :: v_dual_add_f32 v1, v1, v3
	s_wait_loadcnt_dscnt 0x0
	v_mul_f32_e32 v144, v21, v14
	v_add_f32_e32 v134, v139, v134
	v_mul_f32_e32 v3, v22, v14
	v_fmac_f32_e32 v143, v20, v11
	v_fma_f32 v4, v19, v11, -v4
	s_delay_alu instid0(VALU_DEP_4) | instskip(SKIP_2) | instid1(VALU_DEP_3)
	v_dual_mul_f32 v138, v23, v16 :: v_dual_add_f32 v5, v134, v135
	v_fmac_f32_e32 v144, v22, v13
	v_fma_f32 v3, v21, v13, -v3
	v_fmac_f32_e32 v138, v24, v15
	s_delay_alu instid0(VALU_DEP_4) | instskip(SKIP_1) | instid1(VALU_DEP_2)
	v_add_f32_e32 v2, v5, v140
	v_fma_f32 v5, v17, v9, -v6
	v_add_f32_e32 v2, v2, v141
	s_delay_alu instid0(VALU_DEP_2) | instskip(NEXT) | instid1(VALU_DEP_2)
	v_add_f32_e32 v1, v1, v5
	v_dual_mul_f32 v5, v24, v16 :: v_dual_add_f32 v2, v2, v142
	s_delay_alu instid0(VALU_DEP_2) | instskip(NEXT) | instid1(VALU_DEP_2)
	v_add_f32_e32 v1, v1, v4
	v_fma_f32 v4, v23, v15, -v5
	s_delay_alu instid0(VALU_DEP_3) | instskip(NEXT) | instid1(VALU_DEP_1)
	v_add_f32_e32 v2, v2, v143
	v_dual_add_f32 v1, v1, v3 :: v_dual_add_f32 v2, v2, v144
	s_delay_alu instid0(VALU_DEP_1) | instskip(NEXT) | instid1(VALU_DEP_1)
	v_dual_add_f32 v1, v1, v4 :: v_dual_add_f32 v2, v2, v138
	v_dual_sub_f32 v1, v131, v1 :: v_dual_sub_f32 v2, v132, v2
	scratch_store_b64 off, v[1:2], off offset:96
	v_cmpx_lt_u32_e32 11, v0
	s_cbranch_execz .LBB52_309
; %bb.308:
	scratch_load_b64 v[1:2], off, off offset:88
	v_mov_b32_e32 v3, 0
	s_delay_alu instid0(VALU_DEP_1)
	v_mov_b32_e32 v4, v3
	scratch_store_b64 off, v[3:4], off offset:88
	s_wait_loadcnt 0x0
	ds_store_b64 v133, v[1:2]
.LBB52_309:
	s_wait_alu 0xfffe
	s_or_b32 exec_lo, exec_lo, s0
	s_wait_storecnt_dscnt 0x0
	s_barrier_signal -1
	s_barrier_wait -1
	global_inv scope:SCOPE_SE
	s_clause 0x4
	scratch_load_b128 v[5:8], off, off offset:96
	scratch_load_b128 v[1:4], off, off offset:112
	;; [unrolled: 1-line block ×5, first 2 shown]
	v_mov_b32_e32 v21, 0
	ds_load_b128 v[134:137], v21 offset:528
	ds_load_b128 v[138:141], v21 offset:544
	;; [unrolled: 1-line block ×3, first 2 shown]
	scratch_load_b64 v[22:23], off, off offset:88
	s_mov_b32 s0, exec_lo
	s_wait_loadcnt_dscnt 0x502
	v_mul_f32_e32 v24, v135, v6
	v_dual_mul_f32 v131, v134, v6 :: v_dual_mul_f32 v132, v136, v8
	v_mul_f32_e32 v6, v137, v8
	s_delay_alu instid0(VALU_DEP_3) | instskip(NEXT) | instid1(VALU_DEP_3)
	v_fma_f32 v24, v134, v5, -v24
	v_dual_fmac_f32 v131, v135, v5 :: v_dual_fmac_f32 v132, v137, v7
	s_wait_loadcnt_dscnt 0x401
	v_mul_f32_e32 v135, v138, v2
	v_fma_f32 v134, v136, v7, -v6
	ds_load_b128 v[5:8], v21 offset:576
	s_wait_loadcnt_dscnt 0x301
	v_dual_mul_f32 v136, v140, v4 :: v_dual_mul_f32 v137, v142, v10
	v_dual_mul_f32 v4, v141, v4 :: v_dual_fmac_f32 v135, v139, v1
	v_mul_f32_e32 v10, v143, v10
	s_delay_alu instid0(VALU_DEP_3)
	v_dual_mul_f32 v146, v144, v12 :: v_dual_fmac_f32 v137, v143, v9
	v_mul_f32_e32 v12, v145, v12
	v_mul_f32_e32 v2, v139, v2
	v_fmac_f32_e32 v136, v141, v3
	v_fma_f32 v139, v140, v3, -v4
	v_fma_f32 v140, v142, v9, -v10
	v_fmac_f32_e32 v146, v145, v11
	v_fma_f32 v141, v144, v11, -v12
	ds_load_b128 v[9:12], v21 offset:592
	s_wait_loadcnt_dscnt 0x201
	v_dual_mul_f32 v143, v7, v16 :: v_dual_mul_f32 v142, v5, v14
	v_mul_f32_e32 v14, v6, v14
	v_mul_f32_e32 v16, v8, v16
	s_delay_alu instid0(VALU_DEP_3)
	v_fmac_f32_e32 v143, v8, v15
	v_fma_f32 v138, v138, v1, -v2
	scratch_load_b128 v[1:4], off, off offset:176
	v_fmac_f32_e32 v142, v6, v13
	v_fma_f32 v13, v5, v13, -v14
	v_fma_f32 v14, v7, v15, -v16
	ds_load_b128 v[5:8], v21 offset:608
	s_wait_loadcnt_dscnt 0x201
	v_mul_f32_e32 v15, v9, v18
	v_mul_f32_e32 v16, v10, v18
	;; [unrolled: 1-line block ×3, first 2 shown]
	s_delay_alu instid0(VALU_DEP_3) | instskip(NEXT) | instid1(VALU_DEP_3)
	v_dual_mul_f32 v20, v12, v20 :: v_dual_fmac_f32 v15, v10, v17
	v_fma_f32 v16, v9, v17, -v16
	s_delay_alu instid0(VALU_DEP_3) | instskip(NEXT) | instid1(VALU_DEP_3)
	v_fmac_f32_e32 v18, v12, v19
	v_fma_f32 v17, v11, v19, -v20
	scratch_load_b128 v[9:12], off, off offset:192
	s_wait_loadcnt_dscnt 0x100
	v_mul_f32_e32 v19, v5, v2
	v_mul_f32_e32 v2, v6, v2
	;; [unrolled: 1-line block ×3, first 2 shown]
	s_delay_alu instid0(VALU_DEP_3) | instskip(NEXT) | instid1(VALU_DEP_3)
	v_dual_mul_f32 v4, v8, v4 :: v_dual_fmac_f32 v19, v6, v1
	v_fma_f32 v144, v5, v1, -v2
	s_delay_alu instid0(VALU_DEP_3) | instskip(NEXT) | instid1(VALU_DEP_3)
	v_fmac_f32_e32 v20, v8, v3
	v_fma_f32 v145, v7, v3, -v4
	ds_load_b128 v[1:4], v21 offset:624
	ds_load_b128 v[5:8], v21 offset:640
	s_wait_loadcnt_dscnt 0x1
	v_mul_f32_e32 v147, v1, v10
	v_mul_f32_e32 v10, v2, v10
	s_delay_alu instid0(VALU_DEP_2) | instskip(NEXT) | instid1(VALU_DEP_2)
	v_dual_mul_f32 v148, v3, v12 :: v_dual_fmac_f32 v147, v2, v9
	v_fma_f32 v149, v1, v9, -v10
	v_mul_f32_e32 v1, v4, v12
	s_delay_alu instid0(VALU_DEP_3) | instskip(NEXT) | instid1(VALU_DEP_2)
	v_fmac_f32_e32 v148, v4, v11
	v_fma_f32 v150, v3, v11, -v1
	s_clause 0x1
	scratch_load_b128 v[1:4], off, off offset:208
	scratch_load_b128 v[9:12], off, off offset:224
	s_wait_loadcnt_dscnt 0x100
	v_mul_f32_e32 v151, v5, v2
	v_dual_mul_f32 v2, v6, v2 :: v_dual_mul_f32 v153, v7, v4
	s_delay_alu instid0(VALU_DEP_2) | instskip(NEXT) | instid1(VALU_DEP_2)
	v_fmac_f32_e32 v151, v6, v1
	v_fma_f32 v152, v5, v1, -v2
	v_mul_f32_e32 v1, v8, v4
	s_delay_alu instid0(VALU_DEP_4) | instskip(NEXT) | instid1(VALU_DEP_2)
	v_fmac_f32_e32 v153, v8, v3
	v_fma_f32 v154, v7, v3, -v1
	ds_load_b128 v[1:4], v21 offset:656
	ds_load_b128 v[5:8], v21 offset:672
	s_wait_loadcnt_dscnt 0x1
	v_mul_f32_e32 v155, v1, v10
	v_mul_f32_e32 v157, v3, v12
	s_delay_alu instid0(VALU_DEP_2) | instskip(NEXT) | instid1(VALU_DEP_2)
	v_fmac_f32_e32 v155, v2, v9
	v_dual_mul_f32 v2, v2, v10 :: v_dual_fmac_f32 v157, v4, v11
	s_delay_alu instid0(VALU_DEP_1) | instskip(SKIP_1) | instid1(VALU_DEP_1)
	v_fma_f32 v156, v1, v9, -v2
	v_mul_f32_e32 v1, v4, v12
	v_fma_f32 v158, v3, v11, -v1
	s_clause 0x1
	scratch_load_b128 v[1:4], off, off offset:240
	scratch_load_b128 v[9:12], off, off offset:256
	s_wait_loadcnt_dscnt 0x100
	v_mul_f32_e32 v159, v5, v2
	v_dual_mul_f32 v161, v7, v4 :: v_dual_mul_f32 v2, v6, v2
	s_delay_alu instid0(VALU_DEP_2) | instskip(NEXT) | instid1(VALU_DEP_2)
	v_fmac_f32_e32 v159, v6, v1
	v_fmac_f32_e32 v161, v8, v3
	s_delay_alu instid0(VALU_DEP_3) | instskip(SKIP_1) | instid1(VALU_DEP_1)
	v_fma_f32 v160, v5, v1, -v2
	v_mul_f32_e32 v1, v8, v4
	v_fma_f32 v162, v7, v3, -v1
	ds_load_b128 v[1:4], v21 offset:688
	ds_load_b128 v[5:8], v21 offset:704
	s_wait_loadcnt_dscnt 0x1
	v_mul_f32_e32 v163, v1, v10
	v_mul_f32_e32 v165, v3, v12
	s_delay_alu instid0(VALU_DEP_2) | instskip(NEXT) | instid1(VALU_DEP_2)
	v_fmac_f32_e32 v163, v2, v9
	v_dual_mul_f32 v2, v2, v10 :: v_dual_fmac_f32 v165, v4, v11
	s_delay_alu instid0(VALU_DEP_1) | instskip(SKIP_1) | instid1(VALU_DEP_1)
	v_fma_f32 v164, v1, v9, -v2
	v_mul_f32_e32 v1, v4, v12
	v_fma_f32 v166, v3, v11, -v1
	s_clause 0x1
	scratch_load_b128 v[1:4], off, off offset:272
	scratch_load_b128 v[9:12], off, off offset:288
	s_wait_loadcnt_dscnt 0x100
	v_mul_f32_e32 v167, v5, v2
	v_dual_mul_f32 v2, v6, v2 :: v_dual_mul_f32 v169, v7, v4
	s_delay_alu instid0(VALU_DEP_2) | instskip(NEXT) | instid1(VALU_DEP_2)
	v_fmac_f32_e32 v167, v6, v1
	v_fma_f32 v168, v5, v1, -v2
	v_mul_f32_e32 v1, v8, v4
	s_delay_alu instid0(VALU_DEP_4) | instskip(NEXT) | instid1(VALU_DEP_2)
	v_fmac_f32_e32 v169, v8, v3
	v_fma_f32 v170, v7, v3, -v1
	ds_load_b128 v[1:4], v21 offset:720
	ds_load_b128 v[5:8], v21 offset:736
	s_wait_loadcnt_dscnt 0x1
	v_mul_f32_e32 v171, v1, v10
	v_mul_f32_e32 v173, v3, v12
	s_delay_alu instid0(VALU_DEP_2) | instskip(NEXT) | instid1(VALU_DEP_2)
	v_fmac_f32_e32 v171, v2, v9
	v_dual_mul_f32 v2, v2, v10 :: v_dual_fmac_f32 v173, v4, v11
	s_delay_alu instid0(VALU_DEP_1) | instskip(SKIP_1) | instid1(VALU_DEP_1)
	v_fma_f32 v172, v1, v9, -v2
	v_mul_f32_e32 v1, v4, v12
	v_fma_f32 v174, v3, v11, -v1
	s_clause 0x1
	scratch_load_b128 v[1:4], off, off offset:304
	scratch_load_b128 v[9:12], off, off offset:320
	s_wait_loadcnt_dscnt 0x100
	v_mul_f32_e32 v175, v5, v2
	v_dual_mul_f32 v2, v6, v2 :: v_dual_mul_f32 v177, v7, v4
	s_delay_alu instid0(VALU_DEP_2) | instskip(NEXT) | instid1(VALU_DEP_2)
	v_fmac_f32_e32 v175, v6, v1
	v_fma_f32 v176, v5, v1, -v2
	v_mul_f32_e32 v1, v8, v4
	s_delay_alu instid0(VALU_DEP_4) | instskip(NEXT) | instid1(VALU_DEP_2)
	v_fmac_f32_e32 v177, v8, v3
	v_fma_f32 v178, v7, v3, -v1
	ds_load_b128 v[1:4], v21 offset:752
	ds_load_b128 v[5:8], v21 offset:768
	s_wait_loadcnt_dscnt 0x1
	v_mul_f32_e32 v179, v1, v10
	v_mul_f32_e32 v181, v3, v12
	s_delay_alu instid0(VALU_DEP_2) | instskip(NEXT) | instid1(VALU_DEP_2)
	v_fmac_f32_e32 v179, v2, v9
	v_dual_mul_f32 v2, v2, v10 :: v_dual_fmac_f32 v181, v4, v11
	s_delay_alu instid0(VALU_DEP_1) | instskip(SKIP_1) | instid1(VALU_DEP_1)
	v_fma_f32 v180, v1, v9, -v2
	v_mul_f32_e32 v1, v4, v12
	v_fma_f32 v182, v3, v11, -v1
	s_clause 0x1
	scratch_load_b128 v[1:4], off, off offset:336
	scratch_load_b128 v[9:12], off, off offset:352
	s_wait_loadcnt_dscnt 0x100
	v_mul_f32_e32 v183, v5, v2
	v_mul_f32_e32 v2, v6, v2
	s_delay_alu instid0(VALU_DEP_1) | instskip(SKIP_1) | instid1(VALU_DEP_1)
	v_fma_f32 v184, v5, v1, -v2
	v_add_f32_e32 v2, 0, v131
	v_add_f32_e32 v2, v2, v132
	scratch_load_b64 v[131:132], off, off offset:416
	v_add_f32_e32 v2, v2, v135
	s_delay_alu instid0(VALU_DEP_1) | instskip(NEXT) | instid1(VALU_DEP_1)
	v_add_f32_e32 v2, v2, v136
	v_add_f32_e32 v2, v2, v137
	s_delay_alu instid0(VALU_DEP_1) | instskip(NEXT) | instid1(VALU_DEP_1)
	v_add_f32_e32 v2, v2, v146
	;; [unrolled: 3-line block ×6, first 2 shown]
	v_add_f32_e32 v2, v2, v151
	s_delay_alu instid0(VALU_DEP_1) | instskip(SKIP_2) | instid1(VALU_DEP_3)
	v_add_f32_e32 v2, v2, v153
	v_fmac_f32_e32 v183, v6, v1
	v_mul_f32_e32 v1, v8, v4
	v_add_f32_e32 v5, v2, v155
	s_delay_alu instid0(VALU_DEP_2) | instskip(SKIP_1) | instid1(VALU_DEP_3)
	v_fma_f32 v186, v7, v3, -v1
	v_add_f32_e32 v1, 0, v24
	v_add_f32_e32 v5, v5, v157
	s_delay_alu instid0(VALU_DEP_2) | instskip(NEXT) | instid1(VALU_DEP_2)
	v_add_f32_e32 v1, v1, v134
	v_add_f32_e32 v5, v5, v159
	v_mul_f32_e32 v185, v7, v4
	s_delay_alu instid0(VALU_DEP_3) | instskip(NEXT) | instid1(VALU_DEP_1)
	v_add_f32_e32 v1, v1, v138
	v_add_f32_e32 v1, v1, v139
	s_delay_alu instid0(VALU_DEP_1) | instskip(NEXT) | instid1(VALU_DEP_1)
	v_add_f32_e32 v1, v1, v140
	v_add_f32_e32 v1, v1, v141
	s_delay_alu instid0(VALU_DEP_1) | instskip(NEXT) | instid1(VALU_DEP_1)
	v_add_f32_e32 v1, v1, v13
	v_add_f32_e32 v1, v1, v14
	;; [unrolled: 1-line block ×3, first 2 shown]
	s_delay_alu instid0(VALU_DEP_2) | instskip(NEXT) | instid1(VALU_DEP_1)
	v_add_f32_e32 v1, v1, v16
	v_add_f32_e32 v1, v1, v17
	s_delay_alu instid0(VALU_DEP_1) | instskip(NEXT) | instid1(VALU_DEP_1)
	v_add_f32_e32 v1, v1, v144
	v_add_f32_e32 v1, v1, v145
	s_delay_alu instid0(VALU_DEP_1) | instskip(NEXT) | instid1(VALU_DEP_1)
	;; [unrolled: 3-line block ×4, first 2 shown]
	v_add_f32_e32 v1, v1, v156
	v_dual_add_f32 v6, v1, v158 :: v_dual_fmac_f32 v185, v8, v3
	ds_load_b128 v[1:4], v21 offset:784
	v_add_f32_e32 v14, v14, v163
	v_add_f32_e32 v6, v6, v160
	s_delay_alu instid0(VALU_DEP_2) | instskip(NEXT) | instid1(VALU_DEP_2)
	v_add_f32_e32 v14, v14, v165
	v_add_f32_e32 v13, v6, v162
	ds_load_b128 v[5:8], v21 offset:800
	s_wait_loadcnt_dscnt 0x101
	v_mul_f32_e32 v24, v1, v10
	v_mul_f32_e32 v10, v2, v10
	v_mul_f32_e32 v140, v3, v12
	v_mul_f32_e32 v12, v4, v12
	s_delay_alu instid0(VALU_DEP_4) | instskip(NEXT) | instid1(VALU_DEP_4)
	v_fmac_f32_e32 v24, v2, v9
	v_fma_f32 v141, v1, v9, -v10
	s_delay_alu instid0(VALU_DEP_4) | instskip(NEXT) | instid1(VALU_DEP_4)
	v_fmac_f32_e32 v140, v4, v11
	v_fma_f32 v142, v3, v11, -v12
	s_clause 0x1
	scratch_load_b128 v[1:4], off, off offset:368
	scratch_load_b128 v[9:12], off, off offset:384
	s_wait_loadcnt_dscnt 0x100
	v_dual_mul_f32 v146, v7, v4 :: v_dual_mul_f32 v145, v5, v2
	v_mul_f32_e32 v2, v6, v2
	v_mul_f32_e32 v4, v8, v4
	s_delay_alu instid0(VALU_DEP_3) | instskip(NEXT) | instid1(VALU_DEP_3)
	v_dual_fmac_f32 v146, v8, v3 :: v_dual_add_f32 v13, v13, v164
	v_fma_f32 v2, v5, v1, -v2
	s_delay_alu instid0(VALU_DEP_2) | instskip(NEXT) | instid1(VALU_DEP_1)
	v_add_f32_e32 v13, v13, v166
	v_add_f32_e32 v13, v13, v168
	s_delay_alu instid0(VALU_DEP_1) | instskip(NEXT) | instid1(VALU_DEP_1)
	v_add_f32_e32 v18, v13, v170
	v_add_f32_e32 v18, v18, v172
	s_delay_alu instid0(VALU_DEP_1) | instskip(NEXT) | instid1(VALU_DEP_1)
	;; [unrolled: 3-line block ×5, first 2 shown]
	v_add_f32_e32 v143, v143, v186
	v_add_f32_e32 v141, v143, v141
	s_delay_alu instid0(VALU_DEP_1) | instskip(SKIP_4) | instid1(VALU_DEP_1)
	v_add_f32_e32 v141, v141, v142
	v_add_f32_e32 v17, v14, v167
	scratch_load_b128 v[13:16], off, off offset:400
	v_add_f32_e32 v2, v141, v2
	v_add_f32_e32 v17, v17, v169
	;; [unrolled: 1-line block ×3, first 2 shown]
	s_delay_alu instid0(VALU_DEP_1) | instskip(NEXT) | instid1(VALU_DEP_1)
	v_add_f32_e32 v17, v17, v173
	v_add_f32_e32 v17, v17, v175
	s_delay_alu instid0(VALU_DEP_1)
	v_add_f32_e32 v134, v17, v177
	ds_load_b128 v[17:20], v21 offset:816
	v_add_f32_e32 v139, v134, v179
	ds_load_b128 v[134:137], v21 offset:832
	v_add_f32_e32 v144, v139, v181
	ds_load_b64 v[138:139], v21 offset:848
	v_add_f32_e32 v144, v144, v183
	s_wait_loadcnt_dscnt 0x102
	s_delay_alu instid0(VALU_DEP_1) | instskip(SKIP_1) | instid1(VALU_DEP_2)
	v_dual_add_f32 v144, v144, v185 :: v_dual_mul_f32 v143, v17, v10
	v_mul_f32_e32 v5, v20, v12
	v_add_f32_e32 v24, v144, v24
	s_delay_alu instid0(VALU_DEP_3) | instskip(NEXT) | instid1(VALU_DEP_3)
	v_dual_mul_f32 v144, v19, v12 :: v_dual_fmac_f32 v143, v18, v9
	v_fma_f32 v5, v19, v11, -v5
	s_delay_alu instid0(VALU_DEP_3) | instskip(NEXT) | instid1(VALU_DEP_3)
	v_add_f32_e32 v24, v24, v140
	v_fmac_f32_e32 v144, v20, v11
	s_wait_dscnt 0x0
	v_mul_f32_e32 v140, v138, v132
	s_delay_alu instid0(VALU_DEP_1) | instskip(SKIP_1) | instid1(VALU_DEP_2)
	v_dual_fmac_f32 v140, v139, v131 :: v_dual_fmac_f32 v145, v6, v1
	v_fma_f32 v1, v7, v3, -v4
	v_dual_mul_f32 v3, v18, v10 :: v_dual_add_f32 v4, v24, v145
	s_delay_alu instid0(VALU_DEP_2) | instskip(NEXT) | instid1(VALU_DEP_2)
	v_add_f32_e32 v1, v2, v1
	v_fma_f32 v3, v17, v9, -v3
	s_delay_alu instid0(VALU_DEP_1) | instskip(NEXT) | instid1(VALU_DEP_1)
	v_dual_add_f32 v2, v4, v146 :: v_dual_add_f32 v1, v1, v3
	v_dual_add_f32 v2, v2, v143 :: v_dual_add_f32 v1, v1, v5
	v_mul_f32_e32 v5, v139, v132
	s_delay_alu instid0(VALU_DEP_2)
	v_add_f32_e32 v2, v2, v144
	s_wait_loadcnt 0x0
	v_mul_f32_e32 v147, v134, v14
	v_mul_f32_e32 v4, v135, v14
	;; [unrolled: 1-line block ×4, first 2 shown]
	s_delay_alu instid0(VALU_DEP_4) | instskip(NEXT) | instid1(VALU_DEP_4)
	v_fmac_f32_e32 v147, v135, v13
	v_fma_f32 v4, v134, v13, -v4
	s_delay_alu instid0(VALU_DEP_4) | instskip(NEXT) | instid1(VALU_DEP_4)
	v_fmac_f32_e32 v142, v137, v15
	v_fma_f32 v3, v136, v15, -v3
	s_delay_alu instid0(VALU_DEP_3) | instskip(SKIP_1) | instid1(VALU_DEP_2)
	v_dual_add_f32 v2, v2, v147 :: v_dual_add_f32 v1, v1, v4
	v_fma_f32 v4, v138, v131, -v5
	v_dual_add_f32 v2, v2, v142 :: v_dual_add_f32 v1, v1, v3
	s_delay_alu instid0(VALU_DEP_1) | instskip(NEXT) | instid1(VALU_DEP_1)
	v_add_f32_e32 v2, v2, v140
	v_dual_add_f32 v1, v1, v4 :: v_dual_sub_f32 v2, v23, v2
	s_delay_alu instid0(VALU_DEP_1)
	v_sub_f32_e32 v1, v22, v1
	scratch_store_b64 off, v[1:2], off offset:88
	v_cmpx_lt_u32_e32 10, v0
	s_cbranch_execz .LBB52_311
; %bb.310:
	scratch_load_b64 v[1:2], off, off offset:80
	v_mov_b32_e32 v22, v21
	scratch_store_b64 off, v[21:22], off offset:80
	s_wait_loadcnt 0x0
	ds_store_b64 v133, v[1:2]
.LBB52_311:
	s_wait_alu 0xfffe
	s_or_b32 exec_lo, exec_lo, s0
	s_wait_storecnt_dscnt 0x0
	s_barrier_signal -1
	s_barrier_wait -1
	global_inv scope:SCOPE_SE
	s_clause 0x4
	scratch_load_b128 v[5:8], off, off offset:88
	scratch_load_b128 v[1:4], off, off offset:104
	;; [unrolled: 1-line block ×5, first 2 shown]
	ds_load_2addr_b64 v[134:137], v21 offset0:65 offset1:66
	ds_load_2addr_b64 v[138:141], v21 offset0:67 offset1:68
	;; [unrolled: 1-line block ×3, first 2 shown]
	scratch_load_b64 v[131:132], off, off offset:80
	s_mov_b32 s0, exec_lo
	s_wait_loadcnt_dscnt 0x502
	v_mul_f32_e32 v22, v135, v6
	v_dual_mul_f32 v23, v134, v6 :: v_dual_mul_f32 v24, v136, v8
	v_mul_f32_e32 v6, v137, v8
	s_delay_alu instid0(VALU_DEP_3) | instskip(NEXT) | instid1(VALU_DEP_3)
	v_fma_f32 v22, v134, v5, -v22
	v_dual_fmac_f32 v23, v135, v5 :: v_dual_fmac_f32 v24, v137, v7
	s_wait_loadcnt_dscnt 0x401
	v_mul_f32_e32 v135, v138, v2
	v_fma_f32 v134, v136, v7, -v6
	ds_load_2addr_b64 v[5:8], v21 offset0:71 offset1:72
	s_wait_loadcnt_dscnt 0x301
	v_dual_mul_f32 v136, v140, v4 :: v_dual_mul_f32 v137, v142, v10
	v_dual_mul_f32 v4, v141, v4 :: v_dual_fmac_f32 v135, v139, v1
	v_mul_f32_e32 v10, v143, v10
	s_delay_alu instid0(VALU_DEP_3)
	v_dual_mul_f32 v146, v144, v12 :: v_dual_fmac_f32 v137, v143, v9
	v_mul_f32_e32 v12, v145, v12
	v_mul_f32_e32 v2, v139, v2
	v_fmac_f32_e32 v136, v141, v3
	v_fma_f32 v139, v140, v3, -v4
	v_fma_f32 v140, v142, v9, -v10
	v_fmac_f32_e32 v146, v145, v11
	v_fma_f32 v141, v144, v11, -v12
	ds_load_2addr_b64 v[9:12], v21 offset0:73 offset1:74
	s_wait_loadcnt_dscnt 0x201
	v_mul_f32_e32 v142, v5, v14
	v_dual_mul_f32 v14, v6, v14 :: v_dual_mul_f32 v143, v7, v16
	v_mul_f32_e32 v16, v8, v16
	s_delay_alu instid0(VALU_DEP_3) | instskip(NEXT) | instid1(VALU_DEP_3)
	v_fmac_f32_e32 v142, v6, v13
	v_fma_f32 v13, v5, v13, -v14
	s_delay_alu instid0(VALU_DEP_4) | instskip(NEXT) | instid1(VALU_DEP_4)
	v_fmac_f32_e32 v143, v8, v15
	v_fma_f32 v14, v7, v15, -v16
	ds_load_2addr_b64 v[5:8], v21 offset0:75 offset1:76
	s_wait_loadcnt_dscnt 0x101
	v_mul_f32_e32 v15, v9, v18
	v_mul_f32_e32 v16, v10, v18
	;; [unrolled: 1-line block ×3, first 2 shown]
	s_delay_alu instid0(VALU_DEP_3)
	v_dual_mul_f32 v20, v12, v20 :: v_dual_fmac_f32 v15, v10, v17
	v_fma_f32 v138, v138, v1, -v2
	scratch_load_b128 v[1:4], off, off offset:168
	v_fma_f32 v16, v9, v17, -v16
	v_fmac_f32_e32 v18, v12, v19
	v_fma_f32 v17, v11, v19, -v20
	scratch_load_b128 v[9:12], off, off offset:184
	s_wait_loadcnt_dscnt 0x100
	v_mul_f32_e32 v19, v5, v2
	v_mul_f32_e32 v2, v6, v2
	;; [unrolled: 1-line block ×3, first 2 shown]
	s_delay_alu instid0(VALU_DEP_3) | instskip(NEXT) | instid1(VALU_DEP_3)
	v_dual_mul_f32 v4, v8, v4 :: v_dual_fmac_f32 v19, v6, v1
	v_fma_f32 v144, v5, v1, -v2
	s_delay_alu instid0(VALU_DEP_3) | instskip(NEXT) | instid1(VALU_DEP_3)
	v_fmac_f32_e32 v20, v8, v3
	v_fma_f32 v145, v7, v3, -v4
	ds_load_2addr_b64 v[1:4], v21 offset0:77 offset1:78
	ds_load_2addr_b64 v[5:8], v21 offset0:79 offset1:80
	s_wait_loadcnt_dscnt 0x1
	v_mul_f32_e32 v147, v1, v10
	v_mul_f32_e32 v10, v2, v10
	s_delay_alu instid0(VALU_DEP_2) | instskip(NEXT) | instid1(VALU_DEP_2)
	v_dual_mul_f32 v148, v3, v12 :: v_dual_fmac_f32 v147, v2, v9
	v_fma_f32 v149, v1, v9, -v10
	v_mul_f32_e32 v1, v4, v12
	s_delay_alu instid0(VALU_DEP_3) | instskip(NEXT) | instid1(VALU_DEP_2)
	v_fmac_f32_e32 v148, v4, v11
	v_fma_f32 v150, v3, v11, -v1
	s_clause 0x1
	scratch_load_b128 v[1:4], off, off offset:200
	scratch_load_b128 v[9:12], off, off offset:216
	s_wait_loadcnt_dscnt 0x100
	v_mul_f32_e32 v151, v5, v2
	v_dual_mul_f32 v2, v6, v2 :: v_dual_mul_f32 v153, v7, v4
	s_delay_alu instid0(VALU_DEP_2) | instskip(NEXT) | instid1(VALU_DEP_2)
	v_fmac_f32_e32 v151, v6, v1
	v_fma_f32 v152, v5, v1, -v2
	v_mul_f32_e32 v1, v8, v4
	s_delay_alu instid0(VALU_DEP_4) | instskip(NEXT) | instid1(VALU_DEP_2)
	v_fmac_f32_e32 v153, v8, v3
	v_fma_f32 v154, v7, v3, -v1
	ds_load_2addr_b64 v[1:4], v21 offset0:81 offset1:82
	ds_load_2addr_b64 v[5:8], v21 offset0:83 offset1:84
	s_wait_loadcnt_dscnt 0x1
	v_mul_f32_e32 v155, v1, v10
	v_mul_f32_e32 v157, v3, v12
	s_delay_alu instid0(VALU_DEP_2) | instskip(NEXT) | instid1(VALU_DEP_2)
	v_fmac_f32_e32 v155, v2, v9
	v_dual_mul_f32 v2, v2, v10 :: v_dual_fmac_f32 v157, v4, v11
	s_delay_alu instid0(VALU_DEP_1) | instskip(SKIP_1) | instid1(VALU_DEP_1)
	v_fma_f32 v156, v1, v9, -v2
	v_mul_f32_e32 v1, v4, v12
	v_fma_f32 v158, v3, v11, -v1
	s_clause 0x1
	scratch_load_b128 v[1:4], off, off offset:232
	scratch_load_b128 v[9:12], off, off offset:248
	s_wait_loadcnt_dscnt 0x100
	v_mul_f32_e32 v159, v5, v2
	v_dual_mul_f32 v2, v6, v2 :: v_dual_mul_f32 v161, v7, v4
	s_delay_alu instid0(VALU_DEP_2) | instskip(NEXT) | instid1(VALU_DEP_2)
	v_fmac_f32_e32 v159, v6, v1
	v_fma_f32 v160, v5, v1, -v2
	v_mul_f32_e32 v1, v8, v4
	s_delay_alu instid0(VALU_DEP_4) | instskip(NEXT) | instid1(VALU_DEP_2)
	v_fmac_f32_e32 v161, v8, v3
	v_fma_f32 v162, v7, v3, -v1
	ds_load_2addr_b64 v[1:4], v21 offset0:85 offset1:86
	ds_load_2addr_b64 v[5:8], v21 offset0:87 offset1:88
	s_wait_loadcnt_dscnt 0x1
	v_mul_f32_e32 v163, v1, v10
	v_mul_f32_e32 v165, v3, v12
	s_delay_alu instid0(VALU_DEP_2) | instskip(NEXT) | instid1(VALU_DEP_2)
	v_fmac_f32_e32 v163, v2, v9
	v_dual_mul_f32 v2, v2, v10 :: v_dual_fmac_f32 v165, v4, v11
	s_delay_alu instid0(VALU_DEP_1) | instskip(SKIP_1) | instid1(VALU_DEP_1)
	v_fma_f32 v164, v1, v9, -v2
	v_mul_f32_e32 v1, v4, v12
	;; [unrolled: 25-line block ×4, first 2 shown]
	v_fma_f32 v182, v3, v11, -v1
	s_clause 0x1
	scratch_load_b128 v[1:4], off, off offset:328
	scratch_load_b128 v[9:12], off, off offset:344
	s_wait_loadcnt_dscnt 0x100
	v_mul_f32_e32 v183, v5, v2
	v_mul_f32_e32 v2, v6, v2
	s_delay_alu instid0(VALU_DEP_1) | instskip(SKIP_1) | instid1(VALU_DEP_1)
	v_fma_f32 v184, v5, v1, -v2
	v_add_f32_e32 v2, 0, v23
	v_add_f32_e32 v2, v2, v24
	s_delay_alu instid0(VALU_DEP_1) | instskip(NEXT) | instid1(VALU_DEP_1)
	v_add_f32_e32 v2, v2, v135
	v_add_f32_e32 v2, v2, v136
	s_delay_alu instid0(VALU_DEP_1) | instskip(NEXT) | instid1(VALU_DEP_1)
	;; [unrolled: 3-line block ×6, first 2 shown]
	v_add_f32_e32 v2, v2, v147
	v_add_f32_e32 v2, v2, v148
	v_fmac_f32_e32 v183, v6, v1
	s_delay_alu instid0(VALU_DEP_2) | instskip(NEXT) | instid1(VALU_DEP_1)
	v_dual_add_f32 v2, v2, v151 :: v_dual_mul_f32 v185, v7, v4
	v_dual_add_f32 v2, v2, v153 :: v_dual_mul_f32 v1, v8, v4
	s_delay_alu instid0(VALU_DEP_1) | instskip(NEXT) | instid1(VALU_DEP_2)
	v_add_f32_e32 v2, v2, v155
	v_fma_f32 v186, v7, v3, -v1
	v_add_f32_e32 v1, 0, v22
	s_delay_alu instid0(VALU_DEP_3) | instskip(NEXT) | instid1(VALU_DEP_2)
	v_add_f32_e32 v5, v2, v157
	v_add_f32_e32 v1, v1, v134
	s_delay_alu instid0(VALU_DEP_1) | instskip(NEXT) | instid1(VALU_DEP_1)
	v_add_f32_e32 v1, v1, v138
	v_add_f32_e32 v1, v1, v139
	s_delay_alu instid0(VALU_DEP_1) | instskip(NEXT) | instid1(VALU_DEP_1)
	v_add_f32_e32 v1, v1, v140
	v_add_f32_e32 v1, v1, v141
	s_delay_alu instid0(VALU_DEP_1) | instskip(SKIP_1) | instid1(VALU_DEP_2)
	v_add_f32_e32 v1, v1, v13
	v_add_f32_e32 v13, v5, v159
	;; [unrolled: 1-line block ×3, first 2 shown]
	s_delay_alu instid0(VALU_DEP_2) | instskip(NEXT) | instid1(VALU_DEP_2)
	v_add_f32_e32 v13, v13, v161
	v_add_f32_e32 v1, v1, v16
	s_delay_alu instid0(VALU_DEP_1) | instskip(NEXT) | instid1(VALU_DEP_1)
	v_add_f32_e32 v1, v1, v17
	v_add_f32_e32 v1, v1, v144
	s_delay_alu instid0(VALU_DEP_1) | instskip(NEXT) | instid1(VALU_DEP_1)
	;; [unrolled: 3-line block ×5, first 2 shown]
	v_add_f32_e32 v1, v1, v158
	v_dual_add_f32 v6, v1, v160 :: v_dual_fmac_f32 v185, v8, v3
	ds_load_2addr_b64 v[1:4], v21 offset0:97 offset1:98
	v_dual_add_f32 v13, v13, v163 :: v_dual_add_f32 v14, v6, v162
	scratch_load_b128 v[5:8], off, off offset:360
	v_add_f32_e32 v18, v13, v165
	v_add_f32_e32 v14, v14, v164
	s_delay_alu instid0(VALU_DEP_1)
	v_add_f32_e32 v17, v14, v166
	ds_load_2addr_b64 v[13:16], v21 offset0:99 offset1:100
	s_wait_loadcnt_dscnt 0x101
	v_mul_f32_e32 v134, v1, v10
	v_dual_mul_f32 v10, v2, v10 :: v_dual_mul_f32 v135, v3, v12
	v_mul_f32_e32 v12, v4, v12
	v_add_f32_e32 v18, v18, v167
	s_delay_alu instid0(VALU_DEP_4) | instskip(NEXT) | instid1(VALU_DEP_4)
	v_fmac_f32_e32 v134, v2, v9
	v_fma_f32 v136, v1, v9, -v10
	v_fmac_f32_e32 v135, v4, v11
	v_fma_f32 v137, v3, v11, -v12
	s_clause 0x1
	scratch_load_b128 v[1:4], off, off offset:376
	scratch_load_b128 v[9:12], off, off offset:392
	v_add_f32_e32 v18, v18, v169
	s_delay_alu instid0(VALU_DEP_1) | instskip(NEXT) | instid1(VALU_DEP_1)
	v_add_f32_e32 v22, v18, v171
	v_add_f32_e32 v22, v22, v173
	s_wait_loadcnt_dscnt 0x200
	v_mul_f32_e32 v138, v13, v6
	v_dual_mul_f32 v6, v14, v6 :: v_dual_mul_f32 v139, v15, v8
	v_mul_f32_e32 v8, v16, v8
	v_add_f32_e32 v22, v22, v175
	s_delay_alu instid0(VALU_DEP_4) | instskip(NEXT) | instid1(VALU_DEP_4)
	v_fmac_f32_e32 v138, v14, v5
	v_fma_f32 v140, v13, v5, -v6
	v_fmac_f32_e32 v139, v16, v7
	v_fma_f32 v141, v15, v7, -v8
	ds_load_2addr_b64 v[5:8], v21 offset0:101 offset1:102
	v_add_f32_e32 v17, v17, v168
	v_add_f32_e32 v13, v22, v177
	s_delay_alu instid0(VALU_DEP_2) | instskip(NEXT) | instid1(VALU_DEP_1)
	v_add_f32_e32 v17, v17, v170
	v_add_f32_e32 v17, v17, v172
	s_delay_alu instid0(VALU_DEP_1) | instskip(SKIP_2) | instid1(VALU_DEP_1)
	v_add_f32_e32 v23, v17, v174
	scratch_load_b128 v[17:20], off, off offset:408
	v_add_f32_e32 v23, v23, v176
	v_add_f32_e32 v23, v23, v178
	s_delay_alu instid0(VALU_DEP_1)
	v_dual_add_f32 v22, v23, v180 :: v_dual_add_f32 v23, v13, v179
	ds_load_2addr_b64 v[13:16], v21 offset0:103 offset1:104
	s_wait_loadcnt_dscnt 0x201
	v_mul_f32_e32 v144, v5, v2
	v_mul_f32_e32 v2, v6, v2
	v_dual_add_f32 v142, v22, v182 :: v_dual_add_f32 v143, v23, v181
	ds_load_2addr_b64 v[21:24], v21 offset0:105 offset1:106
	v_fmac_f32_e32 v144, v6, v1
	v_fma_f32 v2, v5, v1, -v2
	v_dual_add_f32 v142, v142, v184 :: v_dual_add_f32 v143, v143, v183
	s_delay_alu instid0(VALU_DEP_1) | instskip(NEXT) | instid1(VALU_DEP_1)
	v_dual_add_f32 v142, v142, v186 :: v_dual_add_f32 v143, v143, v185
	v_add_f32_e32 v136, v142, v136
	s_delay_alu instid0(VALU_DEP_2)
	v_add_f32_e32 v134, v143, v134
	s_wait_loadcnt_dscnt 0x101
	v_mul_f32_e32 v6, v14, v10
	v_mul_f32_e32 v142, v7, v4
	;; [unrolled: 1-line block ×3, first 2 shown]
	v_add_f32_e32 v136, v136, v137
	v_dual_add_f32 v134, v134, v135 :: v_dual_mul_f32 v143, v13, v10
	s_delay_alu instid0(VALU_DEP_4) | instskip(NEXT) | instid1(VALU_DEP_4)
	v_fmac_f32_e32 v142, v8, v3
	v_fma_f32 v3, v7, v3, -v4
	s_delay_alu instid0(VALU_DEP_4) | instskip(NEXT) | instid1(VALU_DEP_4)
	v_add_f32_e32 v136, v136, v140
	v_dual_add_f32 v134, v134, v138 :: v_dual_mul_f32 v145, v15, v12
	v_dual_mul_f32 v4, v16, v12 :: v_dual_fmac_f32 v143, v14, v9
	s_delay_alu instid0(VALU_DEP_3) | instskip(NEXT) | instid1(VALU_DEP_3)
	v_add_f32_e32 v1, v136, v141
	v_add_f32_e32 v5, v134, v139
	s_delay_alu instid0(VALU_DEP_4) | instskip(NEXT) | instid1(VALU_DEP_4)
	v_fmac_f32_e32 v145, v16, v11
	v_fma_f32 v4, v15, v11, -v4
	s_delay_alu instid0(VALU_DEP_4) | instskip(NEXT) | instid1(VALU_DEP_4)
	v_add_f32_e32 v1, v1, v2
	v_add_f32_e32 v2, v5, v144
	v_fma_f32 v5, v13, v9, -v6
	s_delay_alu instid0(VALU_DEP_2) | instskip(NEXT) | instid1(VALU_DEP_1)
	v_dual_add_f32 v1, v1, v3 :: v_dual_add_f32 v2, v2, v142
	v_dual_add_f32 v1, v1, v5 :: v_dual_add_f32 v2, v2, v143
	s_delay_alu instid0(VALU_DEP_1)
	v_dual_add_f32 v1, v1, v4 :: v_dual_add_f32 v2, v2, v145
	s_wait_loadcnt_dscnt 0x0
	v_mul_f32_e32 v135, v21, v18
	v_mul_f32_e32 v3, v22, v18
	;; [unrolled: 1-line block ×4, first 2 shown]
	s_delay_alu instid0(VALU_DEP_4) | instskip(NEXT) | instid1(VALU_DEP_4)
	v_fmac_f32_e32 v135, v22, v17
	v_fma_f32 v3, v21, v17, -v3
	s_delay_alu instid0(VALU_DEP_4) | instskip(NEXT) | instid1(VALU_DEP_4)
	v_fmac_f32_e32 v137, v24, v19
	v_fma_f32 v4, v23, v19, -v5
	s_delay_alu instid0(VALU_DEP_4) | instskip(NEXT) | instid1(VALU_DEP_1)
	v_add_f32_e32 v2, v2, v135
	v_dual_add_f32 v1, v1, v3 :: v_dual_add_f32 v2, v2, v137
	s_delay_alu instid0(VALU_DEP_1) | instskip(NEXT) | instid1(VALU_DEP_1)
	v_dual_add_f32 v1, v1, v4 :: v_dual_sub_f32 v2, v132, v2
	v_sub_f32_e32 v1, v131, v1
	scratch_store_b64 off, v[1:2], off offset:80
	v_cmpx_lt_u32_e32 9, v0
	s_cbranch_execz .LBB52_313
; %bb.312:
	scratch_load_b64 v[1:2], off, off offset:72
	v_mov_b32_e32 v3, 0
	s_delay_alu instid0(VALU_DEP_1)
	v_mov_b32_e32 v4, v3
	scratch_store_b64 off, v[3:4], off offset:72
	s_wait_loadcnt 0x0
	ds_store_b64 v133, v[1:2]
.LBB52_313:
	s_wait_alu 0xfffe
	s_or_b32 exec_lo, exec_lo, s0
	s_wait_storecnt_dscnt 0x0
	s_barrier_signal -1
	s_barrier_wait -1
	global_inv scope:SCOPE_SE
	s_clause 0x4
	scratch_load_b128 v[5:8], off, off offset:80
	scratch_load_b128 v[1:4], off, off offset:96
	;; [unrolled: 1-line block ×5, first 2 shown]
	v_mov_b32_e32 v21, 0
	ds_load_b128 v[134:137], v21 offset:512
	ds_load_b128 v[138:141], v21 offset:528
	;; [unrolled: 1-line block ×3, first 2 shown]
	scratch_load_b64 v[22:23], off, off offset:72
	s_mov_b32 s0, exec_lo
	s_wait_loadcnt_dscnt 0x502
	v_mul_f32_e32 v24, v135, v6
	v_dual_mul_f32 v131, v134, v6 :: v_dual_mul_f32 v132, v136, v8
	v_mul_f32_e32 v6, v137, v8
	s_delay_alu instid0(VALU_DEP_3) | instskip(NEXT) | instid1(VALU_DEP_3)
	v_fma_f32 v24, v134, v5, -v24
	v_dual_fmac_f32 v131, v135, v5 :: v_dual_fmac_f32 v132, v137, v7
	s_wait_loadcnt_dscnt 0x401
	v_mul_f32_e32 v135, v138, v2
	v_fma_f32 v134, v136, v7, -v6
	ds_load_b128 v[5:8], v21 offset:560
	s_wait_loadcnt_dscnt 0x301
	v_dual_mul_f32 v136, v140, v4 :: v_dual_mul_f32 v137, v142, v10
	v_dual_mul_f32 v4, v141, v4 :: v_dual_fmac_f32 v135, v139, v1
	v_mul_f32_e32 v10, v143, v10
	s_delay_alu instid0(VALU_DEP_3)
	v_dual_mul_f32 v146, v144, v12 :: v_dual_fmac_f32 v137, v143, v9
	v_mul_f32_e32 v12, v145, v12
	v_mul_f32_e32 v2, v139, v2
	v_fmac_f32_e32 v136, v141, v3
	v_fma_f32 v139, v140, v3, -v4
	v_fma_f32 v140, v142, v9, -v10
	v_fmac_f32_e32 v146, v145, v11
	v_fma_f32 v141, v144, v11, -v12
	ds_load_b128 v[9:12], v21 offset:576
	s_wait_loadcnt_dscnt 0x201
	v_dual_mul_f32 v143, v7, v16 :: v_dual_mul_f32 v142, v5, v14
	v_mul_f32_e32 v14, v6, v14
	v_mul_f32_e32 v16, v8, v16
	s_delay_alu instid0(VALU_DEP_3)
	v_fmac_f32_e32 v143, v8, v15
	v_fma_f32 v138, v138, v1, -v2
	scratch_load_b128 v[1:4], off, off offset:160
	v_fmac_f32_e32 v142, v6, v13
	v_fma_f32 v13, v5, v13, -v14
	v_fma_f32 v14, v7, v15, -v16
	ds_load_b128 v[5:8], v21 offset:592
	s_wait_loadcnt_dscnt 0x201
	v_mul_f32_e32 v15, v9, v18
	v_mul_f32_e32 v16, v10, v18
	;; [unrolled: 1-line block ×3, first 2 shown]
	s_delay_alu instid0(VALU_DEP_3) | instskip(NEXT) | instid1(VALU_DEP_3)
	v_dual_mul_f32 v20, v12, v20 :: v_dual_fmac_f32 v15, v10, v17
	v_fma_f32 v16, v9, v17, -v16
	s_delay_alu instid0(VALU_DEP_3) | instskip(NEXT) | instid1(VALU_DEP_3)
	v_fmac_f32_e32 v18, v12, v19
	v_fma_f32 v17, v11, v19, -v20
	scratch_load_b128 v[9:12], off, off offset:176
	s_wait_loadcnt_dscnt 0x100
	v_mul_f32_e32 v19, v5, v2
	v_mul_f32_e32 v2, v6, v2
	;; [unrolled: 1-line block ×3, first 2 shown]
	s_delay_alu instid0(VALU_DEP_3) | instskip(NEXT) | instid1(VALU_DEP_3)
	v_dual_mul_f32 v4, v8, v4 :: v_dual_fmac_f32 v19, v6, v1
	v_fma_f32 v144, v5, v1, -v2
	s_delay_alu instid0(VALU_DEP_3) | instskip(NEXT) | instid1(VALU_DEP_3)
	v_fmac_f32_e32 v20, v8, v3
	v_fma_f32 v145, v7, v3, -v4
	ds_load_b128 v[1:4], v21 offset:608
	ds_load_b128 v[5:8], v21 offset:624
	s_wait_loadcnt_dscnt 0x1
	v_mul_f32_e32 v147, v1, v10
	v_mul_f32_e32 v10, v2, v10
	s_delay_alu instid0(VALU_DEP_2) | instskip(NEXT) | instid1(VALU_DEP_2)
	v_dual_mul_f32 v148, v3, v12 :: v_dual_fmac_f32 v147, v2, v9
	v_fma_f32 v149, v1, v9, -v10
	v_mul_f32_e32 v1, v4, v12
	s_delay_alu instid0(VALU_DEP_3) | instskip(NEXT) | instid1(VALU_DEP_2)
	v_fmac_f32_e32 v148, v4, v11
	v_fma_f32 v150, v3, v11, -v1
	s_clause 0x1
	scratch_load_b128 v[1:4], off, off offset:192
	scratch_load_b128 v[9:12], off, off offset:208
	s_wait_loadcnt_dscnt 0x100
	v_mul_f32_e32 v151, v5, v2
	v_dual_mul_f32 v2, v6, v2 :: v_dual_mul_f32 v153, v7, v4
	s_delay_alu instid0(VALU_DEP_2) | instskip(NEXT) | instid1(VALU_DEP_2)
	v_fmac_f32_e32 v151, v6, v1
	v_fma_f32 v152, v5, v1, -v2
	v_mul_f32_e32 v1, v8, v4
	s_delay_alu instid0(VALU_DEP_4) | instskip(NEXT) | instid1(VALU_DEP_2)
	v_fmac_f32_e32 v153, v8, v3
	v_fma_f32 v154, v7, v3, -v1
	ds_load_b128 v[1:4], v21 offset:640
	ds_load_b128 v[5:8], v21 offset:656
	s_wait_loadcnt_dscnt 0x1
	v_mul_f32_e32 v155, v1, v10
	v_mul_f32_e32 v157, v3, v12
	s_delay_alu instid0(VALU_DEP_2) | instskip(NEXT) | instid1(VALU_DEP_2)
	v_fmac_f32_e32 v155, v2, v9
	v_dual_mul_f32 v2, v2, v10 :: v_dual_fmac_f32 v157, v4, v11
	s_delay_alu instid0(VALU_DEP_1) | instskip(SKIP_1) | instid1(VALU_DEP_1)
	v_fma_f32 v156, v1, v9, -v2
	v_mul_f32_e32 v1, v4, v12
	v_fma_f32 v158, v3, v11, -v1
	s_clause 0x1
	scratch_load_b128 v[1:4], off, off offset:224
	scratch_load_b128 v[9:12], off, off offset:240
	s_wait_loadcnt_dscnt 0x100
	v_mul_f32_e32 v159, v5, v2
	v_dual_mul_f32 v161, v7, v4 :: v_dual_mul_f32 v2, v6, v2
	s_delay_alu instid0(VALU_DEP_2) | instskip(NEXT) | instid1(VALU_DEP_2)
	v_fmac_f32_e32 v159, v6, v1
	v_fmac_f32_e32 v161, v8, v3
	s_delay_alu instid0(VALU_DEP_3) | instskip(SKIP_1) | instid1(VALU_DEP_1)
	v_fma_f32 v160, v5, v1, -v2
	v_mul_f32_e32 v1, v8, v4
	v_fma_f32 v162, v7, v3, -v1
	ds_load_b128 v[1:4], v21 offset:672
	ds_load_b128 v[5:8], v21 offset:688
	s_wait_loadcnt_dscnt 0x1
	v_mul_f32_e32 v163, v1, v10
	v_mul_f32_e32 v165, v3, v12
	s_delay_alu instid0(VALU_DEP_2) | instskip(NEXT) | instid1(VALU_DEP_2)
	v_fmac_f32_e32 v163, v2, v9
	v_dual_mul_f32 v2, v2, v10 :: v_dual_fmac_f32 v165, v4, v11
	s_delay_alu instid0(VALU_DEP_1) | instskip(SKIP_1) | instid1(VALU_DEP_1)
	v_fma_f32 v164, v1, v9, -v2
	v_mul_f32_e32 v1, v4, v12
	v_fma_f32 v166, v3, v11, -v1
	s_clause 0x1
	scratch_load_b128 v[1:4], off, off offset:256
	scratch_load_b128 v[9:12], off, off offset:272
	s_wait_loadcnt_dscnt 0x100
	v_mul_f32_e32 v167, v5, v2
	v_dual_mul_f32 v2, v6, v2 :: v_dual_mul_f32 v169, v7, v4
	s_delay_alu instid0(VALU_DEP_2) | instskip(NEXT) | instid1(VALU_DEP_2)
	v_fmac_f32_e32 v167, v6, v1
	v_fma_f32 v168, v5, v1, -v2
	v_mul_f32_e32 v1, v8, v4
	s_delay_alu instid0(VALU_DEP_4) | instskip(NEXT) | instid1(VALU_DEP_2)
	v_fmac_f32_e32 v169, v8, v3
	v_fma_f32 v170, v7, v3, -v1
	ds_load_b128 v[1:4], v21 offset:704
	ds_load_b128 v[5:8], v21 offset:720
	s_wait_loadcnt_dscnt 0x1
	v_mul_f32_e32 v171, v1, v10
	v_mul_f32_e32 v173, v3, v12
	s_delay_alu instid0(VALU_DEP_2) | instskip(NEXT) | instid1(VALU_DEP_2)
	v_fmac_f32_e32 v171, v2, v9
	v_dual_mul_f32 v2, v2, v10 :: v_dual_fmac_f32 v173, v4, v11
	s_delay_alu instid0(VALU_DEP_1) | instskip(SKIP_1) | instid1(VALU_DEP_1)
	v_fma_f32 v172, v1, v9, -v2
	v_mul_f32_e32 v1, v4, v12
	v_fma_f32 v174, v3, v11, -v1
	s_clause 0x1
	scratch_load_b128 v[1:4], off, off offset:288
	scratch_load_b128 v[9:12], off, off offset:304
	s_wait_loadcnt_dscnt 0x100
	v_mul_f32_e32 v175, v5, v2
	v_dual_mul_f32 v2, v6, v2 :: v_dual_mul_f32 v177, v7, v4
	s_delay_alu instid0(VALU_DEP_2) | instskip(NEXT) | instid1(VALU_DEP_2)
	v_fmac_f32_e32 v175, v6, v1
	v_fma_f32 v176, v5, v1, -v2
	v_mul_f32_e32 v1, v8, v4
	s_delay_alu instid0(VALU_DEP_4) | instskip(NEXT) | instid1(VALU_DEP_2)
	v_fmac_f32_e32 v177, v8, v3
	v_fma_f32 v178, v7, v3, -v1
	ds_load_b128 v[1:4], v21 offset:736
	ds_load_b128 v[5:8], v21 offset:752
	s_wait_loadcnt_dscnt 0x1
	v_mul_f32_e32 v179, v1, v10
	v_mul_f32_e32 v181, v3, v12
	s_delay_alu instid0(VALU_DEP_2) | instskip(NEXT) | instid1(VALU_DEP_2)
	v_fmac_f32_e32 v179, v2, v9
	v_dual_mul_f32 v2, v2, v10 :: v_dual_fmac_f32 v181, v4, v11
	s_delay_alu instid0(VALU_DEP_1) | instskip(SKIP_1) | instid1(VALU_DEP_1)
	v_fma_f32 v180, v1, v9, -v2
	v_mul_f32_e32 v1, v4, v12
	v_fma_f32 v182, v3, v11, -v1
	s_clause 0x1
	scratch_load_b128 v[1:4], off, off offset:320
	scratch_load_b128 v[9:12], off, off offset:336
	s_wait_loadcnt_dscnt 0x100
	v_mul_f32_e32 v183, v5, v2
	v_mul_f32_e32 v2, v6, v2
	s_delay_alu instid0(VALU_DEP_1) | instskip(SKIP_1) | instid1(VALU_DEP_1)
	v_fma_f32 v184, v5, v1, -v2
	v_add_f32_e32 v2, 0, v131
	v_add_f32_e32 v2, v2, v132
	s_delay_alu instid0(VALU_DEP_1) | instskip(NEXT) | instid1(VALU_DEP_1)
	v_add_f32_e32 v2, v2, v135
	v_add_f32_e32 v2, v2, v136
	s_delay_alu instid0(VALU_DEP_1) | instskip(NEXT) | instid1(VALU_DEP_1)
	v_add_f32_e32 v2, v2, v137
	v_add_f32_e32 v2, v2, v146
	s_delay_alu instid0(VALU_DEP_1) | instskip(NEXT) | instid1(VALU_DEP_1)
	v_add_f32_e32 v2, v2, v142
	v_add_f32_e32 v2, v2, v143
	s_delay_alu instid0(VALU_DEP_1) | instskip(NEXT) | instid1(VALU_DEP_1)
	v_add_f32_e32 v2, v2, v15
	v_add_f32_e32 v2, v2, v18
	s_delay_alu instid0(VALU_DEP_1) | instskip(NEXT) | instid1(VALU_DEP_1)
	v_add_f32_e32 v2, v2, v19
	v_add_f32_e32 v2, v2, v20
	s_delay_alu instid0(VALU_DEP_1) | instskip(NEXT) | instid1(VALU_DEP_1)
	v_add_f32_e32 v2, v2, v147
	v_add_f32_e32 v2, v2, v148
	s_delay_alu instid0(VALU_DEP_1) | instskip(NEXT) | instid1(VALU_DEP_1)
	v_add_f32_e32 v2, v2, v151
	v_add_f32_e32 v2, v2, v153
	v_fmac_f32_e32 v183, v6, v1
	v_mul_f32_e32 v1, v8, v4
	s_delay_alu instid0(VALU_DEP_3) | instskip(NEXT) | instid1(VALU_DEP_2)
	v_dual_mul_f32 v185, v7, v4 :: v_dual_add_f32 v2, v2, v155
	v_fma_f32 v186, v7, v3, -v1
	v_add_f32_e32 v1, 0, v24
	s_delay_alu instid0(VALU_DEP_3) | instskip(NEXT) | instid1(VALU_DEP_2)
	v_add_f32_e32 v5, v2, v157
	v_add_f32_e32 v1, v1, v134
	s_delay_alu instid0(VALU_DEP_1) | instskip(NEXT) | instid1(VALU_DEP_1)
	v_add_f32_e32 v1, v1, v138
	v_add_f32_e32 v1, v1, v139
	s_delay_alu instid0(VALU_DEP_1) | instskip(NEXT) | instid1(VALU_DEP_1)
	v_add_f32_e32 v1, v1, v140
	v_add_f32_e32 v1, v1, v141
	s_delay_alu instid0(VALU_DEP_1) | instskip(SKIP_1) | instid1(VALU_DEP_2)
	v_add_f32_e32 v1, v1, v13
	v_add_f32_e32 v13, v5, v159
	v_add_f32_e32 v1, v1, v14
	s_delay_alu instid0(VALU_DEP_2) | instskip(NEXT) | instid1(VALU_DEP_2)
	v_add_f32_e32 v13, v13, v161
	v_add_f32_e32 v1, v1, v16
	s_delay_alu instid0(VALU_DEP_1) | instskip(NEXT) | instid1(VALU_DEP_1)
	v_add_f32_e32 v1, v1, v17
	v_add_f32_e32 v1, v1, v144
	s_delay_alu instid0(VALU_DEP_1) | instskip(NEXT) | instid1(VALU_DEP_1)
	;; [unrolled: 3-line block ×5, first 2 shown]
	v_add_f32_e32 v1, v1, v158
	v_dual_add_f32 v6, v1, v160 :: v_dual_fmac_f32 v185, v8, v3
	scratch_load_b128 v[1:4], off, off offset:352
	v_dual_add_f32 v13, v13, v163 :: v_dual_add_f32 v14, v6, v162
	ds_load_b128 v[5:8], v21 offset:768
	v_add_f32_e32 v18, v13, v165
	v_add_f32_e32 v14, v14, v164
	s_delay_alu instid0(VALU_DEP_1)
	v_add_f32_e32 v17, v14, v166
	ds_load_b128 v[13:16], v21 offset:784
	s_wait_loadcnt_dscnt 0x101
	v_mul_f32_e32 v24, v5, v10
	v_add_f32_e32 v18, v18, v167
	v_mul_f32_e32 v10, v6, v10
	v_mul_f32_e32 v140, v7, v12
	v_mul_f32_e32 v12, v8, v12
	v_fmac_f32_e32 v24, v6, v9
	v_add_f32_e32 v18, v18, v169
	v_fma_f32 v141, v5, v9, -v10
	v_fmac_f32_e32 v140, v8, v11
	v_fma_f32 v142, v7, v11, -v12
	scratch_load_b128 v[9:12], off, off offset:384
	v_add_f32_e32 v131, v18, v171
	scratch_load_b128 v[5:8], off, off offset:368
	v_add_f32_e32 v134, v131, v173
	s_delay_alu instid0(VALU_DEP_1) | instskip(SKIP_1) | instid1(VALU_DEP_1)
	v_add_f32_e32 v134, v134, v175
	s_wait_loadcnt_dscnt 0x200
	v_dual_add_f32 v134, v134, v177 :: v_dual_mul_f32 v143, v13, v2
	v_mul_f32_e32 v2, v14, v2
	v_mul_f32_e32 v144, v15, v4
	s_delay_alu instid0(VALU_DEP_3) | instskip(NEXT) | instid1(VALU_DEP_3)
	v_dual_mul_f32 v4, v16, v4 :: v_dual_fmac_f32 v143, v14, v1
	v_fma_f32 v145, v13, v1, -v2
	v_add_f32_e32 v13, v134, v179
	s_delay_alu instid0(VALU_DEP_4) | instskip(NEXT) | instid1(VALU_DEP_4)
	v_fmac_f32_e32 v144, v16, v3
	v_fma_f32 v146, v15, v3, -v4
	ds_load_b128 v[1:4], v21 offset:800
	v_add_f32_e32 v134, v13, v181
	v_add_f32_e32 v17, v17, v168
	s_delay_alu instid0(VALU_DEP_1) | instskip(NEXT) | instid1(VALU_DEP_1)
	v_add_f32_e32 v17, v17, v170
	v_add_f32_e32 v17, v17, v172
	s_delay_alu instid0(VALU_DEP_1)
	v_add_f32_e32 v132, v17, v174
	scratch_load_b128 v[17:20], off, off offset:400
	v_add_f32_e32 v139, v134, v183
	v_add_f32_e32 v135, v132, v176
	scratch_load_b64 v[131:132], off, off offset:416
	v_add_f32_e32 v148, v139, v185
	s_delay_alu instid0(VALU_DEP_1) | instskip(NEXT) | instid1(VALU_DEP_1)
	v_dual_add_f32 v135, v135, v178 :: v_dual_add_f32 v24, v148, v24
	v_add_f32_e32 v135, v135, v180
	s_delay_alu instid0(VALU_DEP_2) | instskip(NEXT) | instid1(VALU_DEP_2)
	v_add_f32_e32 v24, v24, v140
	v_add_f32_e32 v14, v135, v182
	ds_load_b128 v[134:137], v21 offset:832
	v_add_f32_e32 v24, v24, v143
	v_add_f32_e32 v138, v14, v184
	ds_load_b128 v[13:16], v21 offset:816
	v_add_f32_e32 v24, v24, v144
	s_wait_loadcnt_dscnt 0x202
	v_mul_f32_e32 v140, v3, v8
	v_dual_mul_f32 v8, v4, v8 :: v_dual_add_f32 v147, v138, v186
	ds_load_b64 v[138:139], v21 offset:848
	s_wait_dscnt 0x1
	v_dual_fmac_f32 v140, v4, v7 :: v_dual_mul_f32 v143, v15, v12
	s_delay_alu instid0(VALU_DEP_1) | instskip(SKIP_2) | instid1(VALU_DEP_1)
	v_fmac_f32_e32 v143, v16, v11
	s_wait_loadcnt_dscnt 0x0
	v_dual_add_f32 v141, v147, v141 :: v_dual_mul_f32 v144, v138, v132
	v_add_f32_e32 v141, v141, v142
	v_mul_f32_e32 v142, v13, v10
	s_delay_alu instid0(VALU_DEP_2) | instskip(SKIP_1) | instid1(VALU_DEP_2)
	v_dual_fmac_f32 v144, v139, v131 :: v_dual_add_f32 v141, v141, v145
	v_mul_f32_e32 v145, v134, v18
	v_dual_fmac_f32 v142, v14, v9 :: v_dual_add_f32 v141, v141, v146
	s_delay_alu instid0(VALU_DEP_2) | instskip(SKIP_2) | instid1(VALU_DEP_2)
	v_fmac_f32_e32 v145, v135, v17
	v_mul_f32_e32 v147, v1, v6
	v_mul_f32_e32 v6, v2, v6
	v_dual_mul_f32 v146, v136, v20 :: v_dual_fmac_f32 v147, v2, v5
	s_delay_alu instid0(VALU_DEP_2) | instskip(SKIP_3) | instid1(VALU_DEP_4)
	v_fma_f32 v1, v1, v5, -v6
	v_fma_f32 v2, v3, v7, -v8
	v_mul_f32_e32 v3, v14, v10
	v_mul_f32_e32 v5, v16, v12
	v_dual_add_f32 v4, v24, v147 :: v_dual_add_f32 v1, v141, v1
	v_fmac_f32_e32 v146, v137, v19
	s_delay_alu instid0(VALU_DEP_4) | instskip(NEXT) | instid1(VALU_DEP_4)
	v_fma_f32 v3, v13, v9, -v3
	v_fma_f32 v5, v15, v11, -v5
	s_delay_alu instid0(VALU_DEP_4) | instskip(NEXT) | instid1(VALU_DEP_1)
	v_dual_add_f32 v1, v1, v2 :: v_dual_add_f32 v2, v4, v140
	v_dual_mul_f32 v4, v135, v18 :: v_dual_add_f32 v1, v1, v3
	s_delay_alu instid0(VALU_DEP_2) | instskip(NEXT) | instid1(VALU_DEP_2)
	v_dual_add_f32 v2, v2, v142 :: v_dual_mul_f32 v3, v137, v20
	v_fma_f32 v4, v134, v17, -v4
	s_delay_alu instid0(VALU_DEP_2) | instskip(SKIP_1) | instid1(VALU_DEP_4)
	v_dual_add_f32 v1, v1, v5 :: v_dual_add_f32 v2, v2, v143
	v_mul_f32_e32 v5, v139, v132
	v_fma_f32 v3, v136, v19, -v3
	s_delay_alu instid0(VALU_DEP_3) | instskip(NEXT) | instid1(VALU_DEP_3)
	v_dual_add_f32 v1, v1, v4 :: v_dual_add_f32 v2, v2, v145
	v_fma_f32 v4, v138, v131, -v5
	s_delay_alu instid0(VALU_DEP_2) | instskip(NEXT) | instid1(VALU_DEP_1)
	v_dual_add_f32 v1, v1, v3 :: v_dual_add_f32 v2, v2, v146
	v_add_f32_e32 v1, v1, v4
	s_delay_alu instid0(VALU_DEP_2) | instskip(NEXT) | instid1(VALU_DEP_1)
	v_add_f32_e32 v2, v2, v144
	v_dual_sub_f32 v1, v22, v1 :: v_dual_sub_f32 v2, v23, v2
	scratch_store_b64 off, v[1:2], off offset:72
	v_cmpx_lt_u32_e32 8, v0
	s_cbranch_execz .LBB52_315
; %bb.314:
	scratch_load_b64 v[1:2], off, off offset:64
	v_mov_b32_e32 v22, v21
	scratch_store_b64 off, v[21:22], off offset:64
	s_wait_loadcnt 0x0
	ds_store_b64 v133, v[1:2]
.LBB52_315:
	s_wait_alu 0xfffe
	s_or_b32 exec_lo, exec_lo, s0
	s_wait_storecnt_dscnt 0x0
	s_barrier_signal -1
	s_barrier_wait -1
	global_inv scope:SCOPE_SE
	s_clause 0x4
	scratch_load_b128 v[5:8], off, off offset:72
	scratch_load_b128 v[1:4], off, off offset:88
	;; [unrolled: 1-line block ×5, first 2 shown]
	ds_load_2addr_b64 v[134:137], v21 offset0:63 offset1:64
	ds_load_2addr_b64 v[138:141], v21 offset0:65 offset1:66
	;; [unrolled: 1-line block ×3, first 2 shown]
	scratch_load_b64 v[131:132], off, off offset:64
	s_mov_b32 s0, exec_lo
	s_wait_loadcnt_dscnt 0x502
	v_mul_f32_e32 v22, v135, v6
	v_dual_mul_f32 v23, v134, v6 :: v_dual_mul_f32 v24, v136, v8
	v_mul_f32_e32 v6, v137, v8
	s_delay_alu instid0(VALU_DEP_3) | instskip(NEXT) | instid1(VALU_DEP_3)
	v_fma_f32 v22, v134, v5, -v22
	v_dual_fmac_f32 v23, v135, v5 :: v_dual_fmac_f32 v24, v137, v7
	s_wait_loadcnt_dscnt 0x401
	v_mul_f32_e32 v135, v138, v2
	v_fma_f32 v134, v136, v7, -v6
	ds_load_2addr_b64 v[5:8], v21 offset0:69 offset1:70
	s_wait_loadcnt_dscnt 0x301
	v_dual_mul_f32 v136, v140, v4 :: v_dual_mul_f32 v137, v142, v10
	v_dual_mul_f32 v4, v141, v4 :: v_dual_fmac_f32 v135, v139, v1
	v_mul_f32_e32 v10, v143, v10
	s_delay_alu instid0(VALU_DEP_3)
	v_dual_mul_f32 v146, v144, v12 :: v_dual_fmac_f32 v137, v143, v9
	v_mul_f32_e32 v12, v145, v12
	v_mul_f32_e32 v2, v139, v2
	v_fmac_f32_e32 v136, v141, v3
	v_fma_f32 v139, v140, v3, -v4
	v_fma_f32 v140, v142, v9, -v10
	v_fmac_f32_e32 v146, v145, v11
	v_fma_f32 v141, v144, v11, -v12
	ds_load_2addr_b64 v[9:12], v21 offset0:71 offset1:72
	s_wait_loadcnt_dscnt 0x201
	v_mul_f32_e32 v142, v5, v14
	v_dual_mul_f32 v14, v6, v14 :: v_dual_mul_f32 v143, v7, v16
	v_mul_f32_e32 v16, v8, v16
	s_delay_alu instid0(VALU_DEP_3) | instskip(NEXT) | instid1(VALU_DEP_3)
	v_fmac_f32_e32 v142, v6, v13
	v_fma_f32 v13, v5, v13, -v14
	s_delay_alu instid0(VALU_DEP_4) | instskip(NEXT) | instid1(VALU_DEP_4)
	v_fmac_f32_e32 v143, v8, v15
	v_fma_f32 v14, v7, v15, -v16
	ds_load_2addr_b64 v[5:8], v21 offset0:73 offset1:74
	s_wait_loadcnt_dscnt 0x101
	v_mul_f32_e32 v15, v9, v18
	v_mul_f32_e32 v16, v10, v18
	;; [unrolled: 1-line block ×3, first 2 shown]
	s_delay_alu instid0(VALU_DEP_3)
	v_dual_mul_f32 v20, v12, v20 :: v_dual_fmac_f32 v15, v10, v17
	v_fma_f32 v138, v138, v1, -v2
	scratch_load_b128 v[1:4], off, off offset:152
	v_fma_f32 v16, v9, v17, -v16
	v_fmac_f32_e32 v18, v12, v19
	v_fma_f32 v17, v11, v19, -v20
	scratch_load_b128 v[9:12], off, off offset:168
	s_wait_loadcnt_dscnt 0x100
	v_mul_f32_e32 v19, v5, v2
	v_mul_f32_e32 v2, v6, v2
	;; [unrolled: 1-line block ×3, first 2 shown]
	s_delay_alu instid0(VALU_DEP_3) | instskip(NEXT) | instid1(VALU_DEP_3)
	v_dual_mul_f32 v4, v8, v4 :: v_dual_fmac_f32 v19, v6, v1
	v_fma_f32 v144, v5, v1, -v2
	s_delay_alu instid0(VALU_DEP_3) | instskip(NEXT) | instid1(VALU_DEP_3)
	v_fmac_f32_e32 v20, v8, v3
	v_fma_f32 v145, v7, v3, -v4
	ds_load_2addr_b64 v[1:4], v21 offset0:75 offset1:76
	ds_load_2addr_b64 v[5:8], v21 offset0:77 offset1:78
	s_wait_loadcnt_dscnt 0x1
	v_mul_f32_e32 v147, v1, v10
	v_mul_f32_e32 v10, v2, v10
	s_delay_alu instid0(VALU_DEP_2) | instskip(NEXT) | instid1(VALU_DEP_2)
	v_dual_mul_f32 v148, v3, v12 :: v_dual_fmac_f32 v147, v2, v9
	v_fma_f32 v149, v1, v9, -v10
	v_mul_f32_e32 v1, v4, v12
	s_delay_alu instid0(VALU_DEP_3) | instskip(NEXT) | instid1(VALU_DEP_2)
	v_fmac_f32_e32 v148, v4, v11
	v_fma_f32 v150, v3, v11, -v1
	s_clause 0x1
	scratch_load_b128 v[1:4], off, off offset:184
	scratch_load_b128 v[9:12], off, off offset:200
	s_wait_loadcnt_dscnt 0x100
	v_mul_f32_e32 v151, v5, v2
	v_dual_mul_f32 v2, v6, v2 :: v_dual_mul_f32 v153, v7, v4
	s_delay_alu instid0(VALU_DEP_2) | instskip(NEXT) | instid1(VALU_DEP_2)
	v_fmac_f32_e32 v151, v6, v1
	v_fma_f32 v152, v5, v1, -v2
	v_mul_f32_e32 v1, v8, v4
	s_delay_alu instid0(VALU_DEP_4) | instskip(NEXT) | instid1(VALU_DEP_2)
	v_fmac_f32_e32 v153, v8, v3
	v_fma_f32 v154, v7, v3, -v1
	ds_load_2addr_b64 v[1:4], v21 offset0:79 offset1:80
	ds_load_2addr_b64 v[5:8], v21 offset0:81 offset1:82
	s_wait_loadcnt_dscnt 0x1
	v_mul_f32_e32 v155, v1, v10
	v_mul_f32_e32 v157, v3, v12
	s_delay_alu instid0(VALU_DEP_2) | instskip(NEXT) | instid1(VALU_DEP_2)
	v_fmac_f32_e32 v155, v2, v9
	v_dual_mul_f32 v2, v2, v10 :: v_dual_fmac_f32 v157, v4, v11
	s_delay_alu instid0(VALU_DEP_1) | instskip(SKIP_1) | instid1(VALU_DEP_1)
	v_fma_f32 v156, v1, v9, -v2
	v_mul_f32_e32 v1, v4, v12
	v_fma_f32 v158, v3, v11, -v1
	s_clause 0x1
	scratch_load_b128 v[1:4], off, off offset:216
	scratch_load_b128 v[9:12], off, off offset:232
	s_wait_loadcnt_dscnt 0x100
	v_mul_f32_e32 v159, v5, v2
	v_dual_mul_f32 v2, v6, v2 :: v_dual_mul_f32 v161, v7, v4
	s_delay_alu instid0(VALU_DEP_2) | instskip(NEXT) | instid1(VALU_DEP_2)
	v_fmac_f32_e32 v159, v6, v1
	v_fma_f32 v160, v5, v1, -v2
	v_mul_f32_e32 v1, v8, v4
	s_delay_alu instid0(VALU_DEP_4) | instskip(NEXT) | instid1(VALU_DEP_2)
	v_fmac_f32_e32 v161, v8, v3
	v_fma_f32 v162, v7, v3, -v1
	ds_load_2addr_b64 v[1:4], v21 offset0:83 offset1:84
	ds_load_2addr_b64 v[5:8], v21 offset0:85 offset1:86
	s_wait_loadcnt_dscnt 0x1
	v_mul_f32_e32 v163, v1, v10
	v_mul_f32_e32 v165, v3, v12
	s_delay_alu instid0(VALU_DEP_2) | instskip(NEXT) | instid1(VALU_DEP_2)
	v_fmac_f32_e32 v163, v2, v9
	v_dual_mul_f32 v2, v2, v10 :: v_dual_fmac_f32 v165, v4, v11
	s_delay_alu instid0(VALU_DEP_1) | instskip(SKIP_1) | instid1(VALU_DEP_1)
	v_fma_f32 v164, v1, v9, -v2
	v_mul_f32_e32 v1, v4, v12
	;; [unrolled: 25-line block ×5, first 2 shown]
	v_fma_f32 v190, v3, v11, -v1
	s_clause 0x1
	scratch_load_b128 v[1:4], off, off offset:344
	scratch_load_b128 v[9:12], off, off offset:360
	s_wait_loadcnt_dscnt 0x100
	v_mul_f32_e32 v191, v5, v2
	v_mul_f32_e32 v2, v6, v2
	s_delay_alu instid0(VALU_DEP_2) | instskip(NEXT) | instid1(VALU_DEP_2)
	v_fmac_f32_e32 v191, v6, v1
	v_fma_f32 v192, v5, v1, -v2
	v_dual_mul_f32 v1, v8, v4 :: v_dual_add_f32 v2, 0, v23
	s_delay_alu instid0(VALU_DEP_1) | instskip(NEXT) | instid1(VALU_DEP_2)
	v_fma_f32 v194, v7, v3, -v1
	v_dual_add_f32 v1, 0, v22 :: v_dual_add_f32 v2, v2, v24
	s_delay_alu instid0(VALU_DEP_1) | instskip(NEXT) | instid1(VALU_DEP_1)
	v_dual_add_f32 v1, v1, v134 :: v_dual_add_f32 v2, v2, v135
	v_dual_add_f32 v1, v1, v138 :: v_dual_add_f32 v2, v2, v136
	s_delay_alu instid0(VALU_DEP_1) | instskip(NEXT) | instid1(VALU_DEP_1)
	v_dual_add_f32 v1, v1, v139 :: v_dual_add_f32 v2, v2, v137
	;; [unrolled: 3-line block ×5, first 2 shown]
	v_add_f32_e32 v1, v1, v144
	s_delay_alu instid0(VALU_DEP_1) | instskip(NEXT) | instid1(VALU_DEP_1)
	v_dual_add_f32 v2, v2, v20 :: v_dual_add_f32 v1, v1, v145
	v_dual_add_f32 v2, v2, v147 :: v_dual_add_f32 v1, v1, v149
	s_delay_alu instid0(VALU_DEP_1) | instskip(NEXT) | instid1(VALU_DEP_1)
	v_dual_add_f32 v2, v2, v148 :: v_dual_add_f32 v1, v1, v150
	v_dual_add_f32 v2, v2, v151 :: v_dual_add_f32 v1, v1, v152
	;; [unrolled: 3-line block ×4, first 2 shown]
	s_delay_alu instid0(VALU_DEP_1) | instskip(NEXT) | instid1(VALU_DEP_1)
	v_dual_add_f32 v2, v2, v161 :: v_dual_add_f32 v1, v1, v162
	v_add_f32_e32 v1, v1, v164
	s_delay_alu instid0(VALU_DEP_1) | instskip(NEXT) | instid1(VALU_DEP_1)
	v_dual_add_f32 v6, v1, v166 :: v_dual_add_f32 v5, v2, v163
	v_dual_add_f32 v6, v6, v168 :: v_dual_add_f32 v5, v5, v165
	s_delay_alu instid0(VALU_DEP_1) | instskip(NEXT) | instid1(VALU_DEP_2)
	v_add_f32_e32 v13, v6, v170
	v_add_f32_e32 v5, v5, v167
	v_mul_f32_e32 v193, v7, v4
	s_delay_alu instid0(VALU_DEP_3) | instskip(NEXT) | instid1(VALU_DEP_2)
	v_add_f32_e32 v13, v13, v172
	v_dual_add_f32 v14, v5, v169 :: v_dual_fmac_f32 v193, v8, v3
	ds_load_2addr_b64 v[1:4], v21 offset0:99 offset1:100
	ds_load_2addr_b64 v[5:8], v21 offset0:101 offset1:102
	v_add_f32_e32 v13, v13, v174
	s_delay_alu instid0(VALU_DEP_1) | instskip(NEXT) | instid1(VALU_DEP_1)
	v_add_f32_e32 v13, v13, v176
	v_add_f32_e32 v18, v13, v178
	s_delay_alu instid0(VALU_DEP_1)
	v_add_f32_e32 v18, v18, v180
	s_wait_loadcnt_dscnt 0x1
	v_dual_mul_f32 v134, v1, v10 :: v_dual_mul_f32 v135, v3, v12
	v_mul_f32_e32 v10, v2, v10
	v_mul_f32_e32 v12, v4, v12
	v_add_f32_e32 v14, v14, v171
	s_delay_alu instid0(VALU_DEP_4) | instskip(NEXT) | instid1(VALU_DEP_4)
	v_dual_fmac_f32 v134, v2, v9 :: v_dual_fmac_f32 v135, v4, v11
	v_fma_f32 v136, v1, v9, -v10
	s_delay_alu instid0(VALU_DEP_4)
	v_fma_f32 v137, v3, v11, -v12
	s_clause 0x1
	scratch_load_b128 v[1:4], off, off offset:376
	scratch_load_b128 v[9:12], off, off offset:392
	v_add_f32_e32 v14, v14, v173
	v_add_f32_e32 v18, v18, v182
	s_delay_alu instid0(VALU_DEP_2) | instskip(SKIP_2) | instid1(VALU_DEP_1)
	v_add_f32_e32 v17, v14, v175
	scratch_load_b128 v[13:16], off, off offset:408
	v_dual_add_f32 v22, v18, v184 :: v_dual_add_f32 v17, v17, v177
	v_add_f32_e32 v138, v22, v186
	s_delay_alu instid0(VALU_DEP_1) | instskip(NEXT) | instid1(VALU_DEP_1)
	v_add_f32_e32 v138, v138, v188
	v_add_f32_e32 v138, v138, v190
	s_delay_alu instid0(VALU_DEP_1) | instskip(NEXT) | instid1(VALU_DEP_1)
	v_add_f32_e32 v138, v138, v192
	v_add_f32_e32 v138, v138, v194
	s_delay_alu instid0(VALU_DEP_1)
	v_add_f32_e32 v136, v138, v136
	s_wait_loadcnt_dscnt 0x200
	v_mul_f32_e32 v140, v5, v2
	v_add_f32_e32 v17, v17, v179
	v_mul_f32_e32 v141, v7, v4
	v_mul_f32_e32 v4, v8, v4
	v_mul_f32_e32 v2, v6, v2
	v_fmac_f32_e32 v140, v6, v1
	v_add_f32_e32 v17, v17, v181
	v_fmac_f32_e32 v141, v8, v3
	v_fma_f32 v3, v7, v3, -v4
	v_fma_f32 v2, v5, v1, -v2
	v_add_f32_e32 v1, v136, v137
	v_add_f32_e32 v23, v17, v183
	ds_load_2addr_b64 v[17:20], v21 offset0:103 offset1:104
	v_add_f32_e32 v1, v1, v2
	v_add_f32_e32 v139, v23, v185
	ds_load_2addr_b64 v[21:24], v21 offset0:105 offset1:106
	v_add_f32_e32 v1, v1, v3
	s_wait_loadcnt_dscnt 0x101
	v_mul_f32_e32 v142, v17, v10
	v_dual_mul_f32 v6, v18, v10 :: v_dual_mul_f32 v143, v19, v12
	v_mul_f32_e32 v4, v20, v12
	s_wait_loadcnt_dscnt 0x0
	v_dual_mul_f32 v144, v21, v14 :: v_dual_add_f32 v139, v139, v187
	v_fmac_f32_e32 v142, v18, v9
	v_mul_f32_e32 v3, v22, v14
	v_fmac_f32_e32 v143, v20, v11
	v_fma_f32 v4, v19, v11, -v4
	v_add_f32_e32 v139, v139, v189
	v_mul_f32_e32 v138, v23, v16
	v_fmac_f32_e32 v144, v22, v13
	v_fma_f32 v3, v21, v13, -v3
	s_delay_alu instid0(VALU_DEP_4) | instskip(NEXT) | instid1(VALU_DEP_1)
	v_add_f32_e32 v139, v139, v191
	v_dual_fmac_f32 v138, v24, v15 :: v_dual_add_f32 v139, v139, v193
	s_delay_alu instid0(VALU_DEP_1) | instskip(NEXT) | instid1(VALU_DEP_1)
	v_add_f32_e32 v134, v139, v134
	v_add_f32_e32 v5, v134, v135
	s_delay_alu instid0(VALU_DEP_1) | instskip(SKIP_1) | instid1(VALU_DEP_2)
	v_add_f32_e32 v2, v5, v140
	v_fma_f32 v5, v17, v9, -v6
	v_add_f32_e32 v2, v2, v141
	s_delay_alu instid0(VALU_DEP_2) | instskip(NEXT) | instid1(VALU_DEP_2)
	v_add_f32_e32 v1, v1, v5
	v_dual_mul_f32 v5, v24, v16 :: v_dual_add_f32 v2, v2, v142
	s_delay_alu instid0(VALU_DEP_2) | instskip(NEXT) | instid1(VALU_DEP_2)
	v_add_f32_e32 v1, v1, v4
	v_fma_f32 v4, v23, v15, -v5
	s_delay_alu instid0(VALU_DEP_3) | instskip(NEXT) | instid1(VALU_DEP_1)
	v_add_f32_e32 v2, v2, v143
	v_dual_add_f32 v1, v1, v3 :: v_dual_add_f32 v2, v2, v144
	s_delay_alu instid0(VALU_DEP_1) | instskip(NEXT) | instid1(VALU_DEP_1)
	v_dual_add_f32 v1, v1, v4 :: v_dual_add_f32 v2, v2, v138
	v_dual_sub_f32 v1, v131, v1 :: v_dual_sub_f32 v2, v132, v2
	scratch_store_b64 off, v[1:2], off offset:64
	v_cmpx_lt_u32_e32 7, v0
	s_cbranch_execz .LBB52_317
; %bb.316:
	scratch_load_b64 v[1:2], off, off offset:56
	v_mov_b32_e32 v3, 0
	s_delay_alu instid0(VALU_DEP_1)
	v_mov_b32_e32 v4, v3
	scratch_store_b64 off, v[3:4], off offset:56
	s_wait_loadcnt 0x0
	ds_store_b64 v133, v[1:2]
.LBB52_317:
	s_wait_alu 0xfffe
	s_or_b32 exec_lo, exec_lo, s0
	s_wait_storecnt_dscnt 0x0
	s_barrier_signal -1
	s_barrier_wait -1
	global_inv scope:SCOPE_SE
	s_clause 0x4
	scratch_load_b128 v[5:8], off, off offset:64
	scratch_load_b128 v[1:4], off, off offset:80
	;; [unrolled: 1-line block ×5, first 2 shown]
	v_mov_b32_e32 v21, 0
	ds_load_b128 v[134:137], v21 offset:496
	ds_load_b128 v[138:141], v21 offset:512
	;; [unrolled: 1-line block ×3, first 2 shown]
	scratch_load_b64 v[22:23], off, off offset:56
	s_mov_b32 s0, exec_lo
	s_wait_loadcnt_dscnt 0x502
	v_mul_f32_e32 v24, v135, v6
	v_dual_mul_f32 v131, v134, v6 :: v_dual_mul_f32 v132, v136, v8
	v_mul_f32_e32 v6, v137, v8
	s_delay_alu instid0(VALU_DEP_3) | instskip(NEXT) | instid1(VALU_DEP_3)
	v_fma_f32 v24, v134, v5, -v24
	v_dual_fmac_f32 v131, v135, v5 :: v_dual_fmac_f32 v132, v137, v7
	s_wait_loadcnt_dscnt 0x401
	v_mul_f32_e32 v135, v138, v2
	v_fma_f32 v134, v136, v7, -v6
	ds_load_b128 v[5:8], v21 offset:544
	s_wait_loadcnt_dscnt 0x301
	v_dual_mul_f32 v136, v140, v4 :: v_dual_mul_f32 v137, v142, v10
	v_dual_mul_f32 v4, v141, v4 :: v_dual_fmac_f32 v135, v139, v1
	v_mul_f32_e32 v10, v143, v10
	s_delay_alu instid0(VALU_DEP_3)
	v_dual_mul_f32 v146, v144, v12 :: v_dual_fmac_f32 v137, v143, v9
	v_mul_f32_e32 v12, v145, v12
	v_mul_f32_e32 v2, v139, v2
	v_fmac_f32_e32 v136, v141, v3
	v_fma_f32 v139, v140, v3, -v4
	v_fma_f32 v140, v142, v9, -v10
	v_fmac_f32_e32 v146, v145, v11
	v_fma_f32 v141, v144, v11, -v12
	ds_load_b128 v[9:12], v21 offset:560
	s_wait_loadcnt_dscnt 0x201
	v_dual_mul_f32 v143, v7, v16 :: v_dual_mul_f32 v142, v5, v14
	v_mul_f32_e32 v14, v6, v14
	v_mul_f32_e32 v16, v8, v16
	s_delay_alu instid0(VALU_DEP_3)
	v_fmac_f32_e32 v143, v8, v15
	v_fma_f32 v138, v138, v1, -v2
	scratch_load_b128 v[1:4], off, off offset:144
	v_fmac_f32_e32 v142, v6, v13
	v_fma_f32 v13, v5, v13, -v14
	v_fma_f32 v14, v7, v15, -v16
	ds_load_b128 v[5:8], v21 offset:576
	s_wait_loadcnt_dscnt 0x201
	v_mul_f32_e32 v15, v9, v18
	v_mul_f32_e32 v16, v10, v18
	;; [unrolled: 1-line block ×3, first 2 shown]
	s_delay_alu instid0(VALU_DEP_3) | instskip(NEXT) | instid1(VALU_DEP_3)
	v_dual_mul_f32 v20, v12, v20 :: v_dual_fmac_f32 v15, v10, v17
	v_fma_f32 v16, v9, v17, -v16
	s_delay_alu instid0(VALU_DEP_3) | instskip(NEXT) | instid1(VALU_DEP_3)
	v_fmac_f32_e32 v18, v12, v19
	v_fma_f32 v17, v11, v19, -v20
	scratch_load_b128 v[9:12], off, off offset:160
	s_wait_loadcnt_dscnt 0x100
	v_mul_f32_e32 v19, v5, v2
	v_mul_f32_e32 v2, v6, v2
	;; [unrolled: 1-line block ×3, first 2 shown]
	s_delay_alu instid0(VALU_DEP_3) | instskip(NEXT) | instid1(VALU_DEP_3)
	v_dual_mul_f32 v4, v8, v4 :: v_dual_fmac_f32 v19, v6, v1
	v_fma_f32 v144, v5, v1, -v2
	s_delay_alu instid0(VALU_DEP_3) | instskip(NEXT) | instid1(VALU_DEP_3)
	v_fmac_f32_e32 v20, v8, v3
	v_fma_f32 v145, v7, v3, -v4
	ds_load_b128 v[1:4], v21 offset:592
	ds_load_b128 v[5:8], v21 offset:608
	s_wait_loadcnt_dscnt 0x1
	v_mul_f32_e32 v147, v1, v10
	v_mul_f32_e32 v10, v2, v10
	s_delay_alu instid0(VALU_DEP_2) | instskip(NEXT) | instid1(VALU_DEP_2)
	v_dual_mul_f32 v148, v3, v12 :: v_dual_fmac_f32 v147, v2, v9
	v_fma_f32 v149, v1, v9, -v10
	v_mul_f32_e32 v1, v4, v12
	s_delay_alu instid0(VALU_DEP_3) | instskip(NEXT) | instid1(VALU_DEP_2)
	v_fmac_f32_e32 v148, v4, v11
	v_fma_f32 v150, v3, v11, -v1
	s_clause 0x1
	scratch_load_b128 v[1:4], off, off offset:176
	scratch_load_b128 v[9:12], off, off offset:192
	s_wait_loadcnt_dscnt 0x100
	v_mul_f32_e32 v151, v5, v2
	v_dual_mul_f32 v2, v6, v2 :: v_dual_mul_f32 v153, v7, v4
	s_delay_alu instid0(VALU_DEP_2) | instskip(NEXT) | instid1(VALU_DEP_2)
	v_fmac_f32_e32 v151, v6, v1
	v_fma_f32 v152, v5, v1, -v2
	v_mul_f32_e32 v1, v8, v4
	s_delay_alu instid0(VALU_DEP_4) | instskip(NEXT) | instid1(VALU_DEP_2)
	v_fmac_f32_e32 v153, v8, v3
	v_fma_f32 v154, v7, v3, -v1
	ds_load_b128 v[1:4], v21 offset:624
	ds_load_b128 v[5:8], v21 offset:640
	s_wait_loadcnt_dscnt 0x1
	v_mul_f32_e32 v155, v1, v10
	v_mul_f32_e32 v157, v3, v12
	s_delay_alu instid0(VALU_DEP_2) | instskip(NEXT) | instid1(VALU_DEP_2)
	v_fmac_f32_e32 v155, v2, v9
	v_dual_mul_f32 v2, v2, v10 :: v_dual_fmac_f32 v157, v4, v11
	s_delay_alu instid0(VALU_DEP_1) | instskip(SKIP_1) | instid1(VALU_DEP_1)
	v_fma_f32 v156, v1, v9, -v2
	v_mul_f32_e32 v1, v4, v12
	v_fma_f32 v158, v3, v11, -v1
	s_clause 0x1
	scratch_load_b128 v[1:4], off, off offset:208
	scratch_load_b128 v[9:12], off, off offset:224
	s_wait_loadcnt_dscnt 0x100
	v_mul_f32_e32 v159, v5, v2
	v_dual_mul_f32 v161, v7, v4 :: v_dual_mul_f32 v2, v6, v2
	s_delay_alu instid0(VALU_DEP_2) | instskip(NEXT) | instid1(VALU_DEP_2)
	v_fmac_f32_e32 v159, v6, v1
	v_fmac_f32_e32 v161, v8, v3
	s_delay_alu instid0(VALU_DEP_3) | instskip(SKIP_1) | instid1(VALU_DEP_1)
	v_fma_f32 v160, v5, v1, -v2
	v_mul_f32_e32 v1, v8, v4
	v_fma_f32 v162, v7, v3, -v1
	ds_load_b128 v[1:4], v21 offset:656
	ds_load_b128 v[5:8], v21 offset:672
	s_wait_loadcnt_dscnt 0x1
	v_mul_f32_e32 v163, v1, v10
	v_mul_f32_e32 v165, v3, v12
	s_delay_alu instid0(VALU_DEP_2) | instskip(NEXT) | instid1(VALU_DEP_2)
	v_fmac_f32_e32 v163, v2, v9
	v_dual_mul_f32 v2, v2, v10 :: v_dual_fmac_f32 v165, v4, v11
	s_delay_alu instid0(VALU_DEP_1) | instskip(SKIP_1) | instid1(VALU_DEP_1)
	v_fma_f32 v164, v1, v9, -v2
	v_mul_f32_e32 v1, v4, v12
	v_fma_f32 v166, v3, v11, -v1
	s_clause 0x1
	scratch_load_b128 v[1:4], off, off offset:240
	scratch_load_b128 v[9:12], off, off offset:256
	s_wait_loadcnt_dscnt 0x100
	v_mul_f32_e32 v167, v5, v2
	v_dual_mul_f32 v2, v6, v2 :: v_dual_mul_f32 v169, v7, v4
	s_delay_alu instid0(VALU_DEP_2) | instskip(NEXT) | instid1(VALU_DEP_2)
	v_fmac_f32_e32 v167, v6, v1
	v_fma_f32 v168, v5, v1, -v2
	v_mul_f32_e32 v1, v8, v4
	s_delay_alu instid0(VALU_DEP_4) | instskip(NEXT) | instid1(VALU_DEP_2)
	v_fmac_f32_e32 v169, v8, v3
	v_fma_f32 v170, v7, v3, -v1
	ds_load_b128 v[1:4], v21 offset:688
	ds_load_b128 v[5:8], v21 offset:704
	s_wait_loadcnt_dscnt 0x1
	v_mul_f32_e32 v171, v1, v10
	v_mul_f32_e32 v173, v3, v12
	s_delay_alu instid0(VALU_DEP_2) | instskip(NEXT) | instid1(VALU_DEP_2)
	v_fmac_f32_e32 v171, v2, v9
	v_dual_mul_f32 v2, v2, v10 :: v_dual_fmac_f32 v173, v4, v11
	s_delay_alu instid0(VALU_DEP_1) | instskip(SKIP_1) | instid1(VALU_DEP_1)
	v_fma_f32 v172, v1, v9, -v2
	v_mul_f32_e32 v1, v4, v12
	v_fma_f32 v174, v3, v11, -v1
	s_clause 0x1
	scratch_load_b128 v[1:4], off, off offset:272
	scratch_load_b128 v[9:12], off, off offset:288
	s_wait_loadcnt_dscnt 0x100
	v_mul_f32_e32 v175, v5, v2
	v_dual_mul_f32 v2, v6, v2 :: v_dual_mul_f32 v177, v7, v4
	s_delay_alu instid0(VALU_DEP_2) | instskip(NEXT) | instid1(VALU_DEP_2)
	v_fmac_f32_e32 v175, v6, v1
	v_fma_f32 v176, v5, v1, -v2
	v_mul_f32_e32 v1, v8, v4
	s_delay_alu instid0(VALU_DEP_4) | instskip(NEXT) | instid1(VALU_DEP_2)
	v_fmac_f32_e32 v177, v8, v3
	v_fma_f32 v178, v7, v3, -v1
	ds_load_b128 v[1:4], v21 offset:720
	ds_load_b128 v[5:8], v21 offset:736
	s_wait_loadcnt_dscnt 0x1
	v_mul_f32_e32 v179, v1, v10
	v_mul_f32_e32 v181, v3, v12
	s_delay_alu instid0(VALU_DEP_2) | instskip(NEXT) | instid1(VALU_DEP_2)
	v_fmac_f32_e32 v179, v2, v9
	v_dual_mul_f32 v2, v2, v10 :: v_dual_fmac_f32 v181, v4, v11
	s_delay_alu instid0(VALU_DEP_1) | instskip(SKIP_1) | instid1(VALU_DEP_1)
	v_fma_f32 v180, v1, v9, -v2
	v_mul_f32_e32 v1, v4, v12
	v_fma_f32 v182, v3, v11, -v1
	s_clause 0x1
	scratch_load_b128 v[1:4], off, off offset:304
	scratch_load_b128 v[9:12], off, off offset:320
	s_wait_loadcnt_dscnt 0x100
	v_mul_f32_e32 v183, v5, v2
	v_dual_mul_f32 v2, v6, v2 :: v_dual_mul_f32 v185, v7, v4
	s_delay_alu instid0(VALU_DEP_2) | instskip(NEXT) | instid1(VALU_DEP_2)
	v_fmac_f32_e32 v183, v6, v1
	v_fma_f32 v184, v5, v1, -v2
	v_mul_f32_e32 v1, v8, v4
	s_delay_alu instid0(VALU_DEP_4) | instskip(NEXT) | instid1(VALU_DEP_2)
	v_fmac_f32_e32 v185, v8, v3
	v_fma_f32 v186, v7, v3, -v1
	ds_load_b128 v[1:4], v21 offset:752
	ds_load_b128 v[5:8], v21 offset:768
	s_wait_loadcnt_dscnt 0x1
	v_mul_f32_e32 v187, v1, v10
	v_mul_f32_e32 v189, v3, v12
	s_delay_alu instid0(VALU_DEP_2) | instskip(NEXT) | instid1(VALU_DEP_2)
	v_fmac_f32_e32 v187, v2, v9
	v_dual_mul_f32 v2, v2, v10 :: v_dual_fmac_f32 v189, v4, v11
	s_delay_alu instid0(VALU_DEP_1) | instskip(SKIP_1) | instid1(VALU_DEP_1)
	v_fma_f32 v188, v1, v9, -v2
	v_mul_f32_e32 v1, v4, v12
	v_fma_f32 v190, v3, v11, -v1
	s_clause 0x1
	scratch_load_b128 v[1:4], off, off offset:336
	scratch_load_b128 v[9:12], off, off offset:352
	s_wait_loadcnt_dscnt 0x100
	v_mul_f32_e32 v191, v5, v2
	v_dual_mul_f32 v2, v6, v2 :: v_dual_mul_f32 v193, v7, v4
	s_delay_alu instid0(VALU_DEP_2) | instskip(NEXT) | instid1(VALU_DEP_2)
	v_fmac_f32_e32 v191, v6, v1
	v_fma_f32 v192, v5, v1, -v2
	v_dual_add_f32 v2, 0, v131 :: v_dual_mul_f32 v1, v8, v4
	s_delay_alu instid0(VALU_DEP_1) | instskip(NEXT) | instid1(VALU_DEP_2)
	v_dual_fmac_f32 v193, v8, v3 :: v_dual_add_f32 v2, v2, v132
	v_fma_f32 v194, v7, v3, -v1
	scratch_load_b64 v[131:132], off, off offset:416
	v_add_f32_e32 v2, v2, v135
	s_delay_alu instid0(VALU_DEP_1) | instskip(NEXT) | instid1(VALU_DEP_1)
	v_add_f32_e32 v2, v2, v136
	v_dual_add_f32 v1, 0, v24 :: v_dual_add_f32 v2, v2, v137
	s_delay_alu instid0(VALU_DEP_1) | instskip(NEXT) | instid1(VALU_DEP_2)
	v_add_f32_e32 v1, v1, v134
	v_add_f32_e32 v2, v2, v146
	s_delay_alu instid0(VALU_DEP_2) | instskip(NEXT) | instid1(VALU_DEP_1)
	v_add_f32_e32 v1, v1, v138
	v_dual_add_f32 v2, v2, v142 :: v_dual_add_f32 v1, v1, v139
	s_delay_alu instid0(VALU_DEP_1) | instskip(NEXT) | instid1(VALU_DEP_1)
	v_dual_add_f32 v2, v2, v143 :: v_dual_add_f32 v1, v1, v140
	v_dual_add_f32 v2, v2, v15 :: v_dual_add_f32 v1, v1, v141
	s_delay_alu instid0(VALU_DEP_1) | instskip(NEXT) | instid1(VALU_DEP_1)
	v_dual_add_f32 v2, v2, v18 :: v_dual_add_f32 v1, v1, v13
	v_add_f32_e32 v2, v2, v19
	s_delay_alu instid0(VALU_DEP_1) | instskip(NEXT) | instid1(VALU_DEP_1)
	v_add_f32_e32 v2, v2, v20
	v_add_f32_e32 v2, v2, v147
	s_delay_alu instid0(VALU_DEP_1) | instskip(NEXT) | instid1(VALU_DEP_1)
	v_add_f32_e32 v2, v2, v148
	;; [unrolled: 3-line block ×4, first 2 shown]
	v_add_f32_e32 v2, v2, v159
	s_delay_alu instid0(VALU_DEP_1) | instskip(NEXT) | instid1(VALU_DEP_1)
	v_dual_add_f32 v2, v2, v161 :: v_dual_add_f32 v1, v1, v14
	v_add_f32_e32 v1, v1, v16
	s_delay_alu instid0(VALU_DEP_1) | instskip(NEXT) | instid1(VALU_DEP_1)
	v_add_f32_e32 v1, v1, v17
	v_add_f32_e32 v1, v1, v144
	s_delay_alu instid0(VALU_DEP_1) | instskip(NEXT) | instid1(VALU_DEP_1)
	v_add_f32_e32 v1, v1, v145
	;; [unrolled: 3-line block ×6, first 2 shown]
	v_add_f32_e32 v1, v1, v164
	s_delay_alu instid0(VALU_DEP_1) | instskip(SKIP_2) | instid1(VALU_DEP_1)
	v_dual_add_f32 v6, v1, v166 :: v_dual_add_f32 v5, v2, v163
	ds_load_b128 v[1:4], v21 offset:784
	v_dual_add_f32 v6, v6, v168 :: v_dual_add_f32 v5, v5, v165
	v_add_f32_e32 v13, v6, v170
	s_delay_alu instid0(VALU_DEP_2) | instskip(NEXT) | instid1(VALU_DEP_2)
	v_add_f32_e32 v5, v5, v167
	v_add_f32_e32 v13, v13, v172
	s_delay_alu instid0(VALU_DEP_2)
	v_add_f32_e32 v14, v5, v169
	ds_load_b128 v[5:8], v21 offset:800
	v_add_f32_e32 v13, v13, v174
	s_wait_loadcnt_dscnt 0x101
	v_mul_f32_e32 v24, v1, v10
	v_mul_f32_e32 v10, v2, v10
	;; [unrolled: 1-line block ×4, first 2 shown]
	s_delay_alu instid0(VALU_DEP_4) | instskip(NEXT) | instid1(VALU_DEP_4)
	v_dual_add_f32 v13, v13, v176 :: v_dual_fmac_f32 v24, v2, v9
	v_fma_f32 v141, v1, v9, -v10
	s_delay_alu instid0(VALU_DEP_4) | instskip(NEXT) | instid1(VALU_DEP_4)
	v_fmac_f32_e32 v140, v4, v11
	v_fma_f32 v142, v3, v11, -v12
	s_clause 0x1
	scratch_load_b128 v[1:4], off, off offset:368
	scratch_load_b128 v[9:12], off, off offset:384
	v_add_f32_e32 v18, v13, v178
	v_add_f32_e32 v14, v14, v171
	s_delay_alu instid0(VALU_DEP_2) | instskip(NEXT) | instid1(VALU_DEP_2)
	v_add_f32_e32 v18, v18, v180
	v_add_f32_e32 v14, v14, v173
	s_delay_alu instid0(VALU_DEP_2) | instskip(NEXT) | instid1(VALU_DEP_1)
	v_add_f32_e32 v18, v18, v182
	v_add_f32_e32 v18, v18, v184
	s_delay_alu instid0(VALU_DEP_1) | instskip(NEXT) | instid1(VALU_DEP_1)
	v_add_f32_e32 v18, v18, v186
	v_add_f32_e32 v138, v18, v188
	s_delay_alu instid0(VALU_DEP_1) | instskip(NEXT) | instid1(VALU_DEP_1)
	;; [unrolled: 3-line block ×3, first 2 shown]
	v_add_f32_e32 v143, v143, v194
	v_add_f32_e32 v141, v143, v141
	s_delay_alu instid0(VALU_DEP_1) | instskip(SKIP_4) | instid1(VALU_DEP_3)
	v_add_f32_e32 v141, v141, v142
	s_wait_loadcnt_dscnt 0x100
	v_mul_f32_e32 v145, v5, v2
	v_mul_f32_e32 v2, v6, v2
	;; [unrolled: 1-line block ×3, first 2 shown]
	v_dual_mul_f32 v4, v8, v4 :: v_dual_fmac_f32 v145, v6, v1
	s_delay_alu instid0(VALU_DEP_3)
	v_fma_f32 v2, v5, v1, -v2
	v_add_f32_e32 v17, v14, v175
	scratch_load_b128 v[13:16], off, off offset:400
	v_fmac_f32_e32 v146, v8, v3
	v_fma_f32 v1, v7, v3, -v4
	v_add_f32_e32 v2, v141, v2
	v_add_f32_e32 v17, v17, v177
	s_delay_alu instid0(VALU_DEP_2) | instskip(NEXT) | instid1(VALU_DEP_2)
	v_add_f32_e32 v1, v2, v1
	v_add_f32_e32 v17, v17, v179
	s_delay_alu instid0(VALU_DEP_1) | instskip(NEXT) | instid1(VALU_DEP_1)
	v_add_f32_e32 v17, v17, v181
	v_add_f32_e32 v17, v17, v183
	s_delay_alu instid0(VALU_DEP_1)
	v_add_f32_e32 v134, v17, v185
	ds_load_b128 v[17:20], v21 offset:816
	v_add_f32_e32 v139, v134, v187
	ds_load_b128 v[134:137], v21 offset:832
	v_add_f32_e32 v144, v139, v189
	ds_load_b64 v[138:139], v21 offset:848
	v_add_f32_e32 v144, v144, v191
	s_wait_loadcnt_dscnt 0x102
	s_delay_alu instid0(VALU_DEP_1) | instskip(SKIP_2) | instid1(VALU_DEP_3)
	v_dual_add_f32 v144, v144, v193 :: v_dual_mul_f32 v143, v17, v10
	v_mul_f32_e32 v3, v18, v10
	v_mul_f32_e32 v5, v20, v12
	v_add_f32_e32 v24, v144, v24
	s_delay_alu instid0(VALU_DEP_4) | instskip(NEXT) | instid1(VALU_DEP_4)
	v_dual_mul_f32 v144, v19, v12 :: v_dual_fmac_f32 v143, v18, v9
	v_fma_f32 v3, v17, v9, -v3
	s_delay_alu instid0(VALU_DEP_4) | instskip(NEXT) | instid1(VALU_DEP_4)
	v_fma_f32 v5, v19, v11, -v5
	v_add_f32_e32 v24, v24, v140
	s_delay_alu instid0(VALU_DEP_4) | instskip(SKIP_2) | instid1(VALU_DEP_3)
	v_fmac_f32_e32 v144, v20, v11
	s_wait_dscnt 0x0
	v_dual_mul_f32 v140, v138, v132 :: v_dual_add_f32 v1, v1, v3
	v_add_f32_e32 v4, v24, v145
	s_delay_alu instid0(VALU_DEP_2) | instskip(NEXT) | instid1(VALU_DEP_2)
	v_dual_fmac_f32 v140, v139, v131 :: v_dual_add_f32 v1, v1, v5
	v_dual_mul_f32 v5, v139, v132 :: v_dual_add_f32 v2, v4, v146
	s_delay_alu instid0(VALU_DEP_1) | instskip(NEXT) | instid1(VALU_DEP_1)
	v_add_f32_e32 v2, v2, v143
	v_add_f32_e32 v2, v2, v144
	s_wait_loadcnt 0x0
	v_mul_f32_e32 v147, v134, v14
	v_mul_f32_e32 v4, v135, v14
	;; [unrolled: 1-line block ×4, first 2 shown]
	s_delay_alu instid0(VALU_DEP_4) | instskip(NEXT) | instid1(VALU_DEP_4)
	v_fmac_f32_e32 v147, v135, v13
	v_fma_f32 v4, v134, v13, -v4
	s_delay_alu instid0(VALU_DEP_4) | instskip(NEXT) | instid1(VALU_DEP_4)
	v_fmac_f32_e32 v142, v137, v15
	v_fma_f32 v3, v136, v15, -v3
	s_delay_alu instid0(VALU_DEP_3) | instskip(SKIP_1) | instid1(VALU_DEP_2)
	v_dual_add_f32 v2, v2, v147 :: v_dual_add_f32 v1, v1, v4
	v_fma_f32 v4, v138, v131, -v5
	v_dual_add_f32 v2, v2, v142 :: v_dual_add_f32 v1, v1, v3
	s_delay_alu instid0(VALU_DEP_1) | instskip(NEXT) | instid1(VALU_DEP_1)
	v_add_f32_e32 v2, v2, v140
	v_dual_add_f32 v1, v1, v4 :: v_dual_sub_f32 v2, v23, v2
	s_delay_alu instid0(VALU_DEP_1)
	v_sub_f32_e32 v1, v22, v1
	scratch_store_b64 off, v[1:2], off offset:56
	v_cmpx_lt_u32_e32 6, v0
	s_cbranch_execz .LBB52_319
; %bb.318:
	scratch_load_b64 v[1:2], off, off offset:48
	v_mov_b32_e32 v22, v21
	scratch_store_b64 off, v[21:22], off offset:48
	s_wait_loadcnt 0x0
	ds_store_b64 v133, v[1:2]
.LBB52_319:
	s_wait_alu 0xfffe
	s_or_b32 exec_lo, exec_lo, s0
	s_wait_storecnt_dscnt 0x0
	s_barrier_signal -1
	s_barrier_wait -1
	global_inv scope:SCOPE_SE
	s_clause 0x4
	scratch_load_b128 v[5:8], off, off offset:56
	scratch_load_b128 v[1:4], off, off offset:72
	scratch_load_b128 v[9:12], off, off offset:88
	scratch_load_b128 v[13:16], off, off offset:104
	scratch_load_b128 v[17:20], off, off offset:120
	ds_load_2addr_b64 v[134:137], v21 offset0:61 offset1:62
	ds_load_2addr_b64 v[138:141], v21 offset0:63 offset1:64
	;; [unrolled: 1-line block ×3, first 2 shown]
	scratch_load_b64 v[131:132], off, off offset:48
	s_mov_b32 s0, exec_lo
	s_wait_loadcnt_dscnt 0x502
	v_mul_f32_e32 v22, v135, v6
	v_dual_mul_f32 v23, v134, v6 :: v_dual_mul_f32 v24, v136, v8
	v_mul_f32_e32 v6, v137, v8
	s_delay_alu instid0(VALU_DEP_3) | instskip(NEXT) | instid1(VALU_DEP_3)
	v_fma_f32 v22, v134, v5, -v22
	v_dual_fmac_f32 v23, v135, v5 :: v_dual_fmac_f32 v24, v137, v7
	s_wait_loadcnt_dscnt 0x401
	v_mul_f32_e32 v135, v138, v2
	v_fma_f32 v134, v136, v7, -v6
	ds_load_2addr_b64 v[5:8], v21 offset0:67 offset1:68
	s_wait_loadcnt_dscnt 0x301
	v_dual_mul_f32 v136, v140, v4 :: v_dual_mul_f32 v137, v142, v10
	v_dual_mul_f32 v4, v141, v4 :: v_dual_fmac_f32 v135, v139, v1
	v_mul_f32_e32 v10, v143, v10
	s_delay_alu instid0(VALU_DEP_3)
	v_dual_mul_f32 v146, v144, v12 :: v_dual_fmac_f32 v137, v143, v9
	v_mul_f32_e32 v12, v145, v12
	v_mul_f32_e32 v2, v139, v2
	v_fmac_f32_e32 v136, v141, v3
	v_fma_f32 v139, v140, v3, -v4
	v_fma_f32 v140, v142, v9, -v10
	v_fmac_f32_e32 v146, v145, v11
	v_fma_f32 v141, v144, v11, -v12
	ds_load_2addr_b64 v[9:12], v21 offset0:69 offset1:70
	s_wait_loadcnt_dscnt 0x201
	v_mul_f32_e32 v142, v5, v14
	v_dual_mul_f32 v14, v6, v14 :: v_dual_mul_f32 v143, v7, v16
	v_mul_f32_e32 v16, v8, v16
	s_delay_alu instid0(VALU_DEP_3) | instskip(NEXT) | instid1(VALU_DEP_3)
	v_fmac_f32_e32 v142, v6, v13
	v_fma_f32 v13, v5, v13, -v14
	s_delay_alu instid0(VALU_DEP_4) | instskip(NEXT) | instid1(VALU_DEP_4)
	v_fmac_f32_e32 v143, v8, v15
	v_fma_f32 v14, v7, v15, -v16
	ds_load_2addr_b64 v[5:8], v21 offset0:71 offset1:72
	s_wait_loadcnt_dscnt 0x101
	v_mul_f32_e32 v15, v9, v18
	v_mul_f32_e32 v16, v10, v18
	;; [unrolled: 1-line block ×3, first 2 shown]
	s_delay_alu instid0(VALU_DEP_3)
	v_dual_mul_f32 v20, v12, v20 :: v_dual_fmac_f32 v15, v10, v17
	v_fma_f32 v138, v138, v1, -v2
	scratch_load_b128 v[1:4], off, off offset:136
	v_fma_f32 v16, v9, v17, -v16
	v_fmac_f32_e32 v18, v12, v19
	v_fma_f32 v17, v11, v19, -v20
	scratch_load_b128 v[9:12], off, off offset:152
	s_wait_loadcnt_dscnt 0x100
	v_mul_f32_e32 v19, v5, v2
	v_mul_f32_e32 v2, v6, v2
	;; [unrolled: 1-line block ×3, first 2 shown]
	s_delay_alu instid0(VALU_DEP_3) | instskip(NEXT) | instid1(VALU_DEP_3)
	v_dual_mul_f32 v4, v8, v4 :: v_dual_fmac_f32 v19, v6, v1
	v_fma_f32 v144, v5, v1, -v2
	s_delay_alu instid0(VALU_DEP_3) | instskip(NEXT) | instid1(VALU_DEP_3)
	v_fmac_f32_e32 v20, v8, v3
	v_fma_f32 v145, v7, v3, -v4
	ds_load_2addr_b64 v[1:4], v21 offset0:73 offset1:74
	ds_load_2addr_b64 v[5:8], v21 offset0:75 offset1:76
	s_wait_loadcnt_dscnt 0x1
	v_mul_f32_e32 v147, v1, v10
	v_mul_f32_e32 v10, v2, v10
	s_delay_alu instid0(VALU_DEP_2) | instskip(NEXT) | instid1(VALU_DEP_2)
	v_dual_mul_f32 v148, v3, v12 :: v_dual_fmac_f32 v147, v2, v9
	v_fma_f32 v149, v1, v9, -v10
	v_mul_f32_e32 v1, v4, v12
	s_delay_alu instid0(VALU_DEP_3) | instskip(NEXT) | instid1(VALU_DEP_2)
	v_fmac_f32_e32 v148, v4, v11
	v_fma_f32 v150, v3, v11, -v1
	s_clause 0x1
	scratch_load_b128 v[1:4], off, off offset:168
	scratch_load_b128 v[9:12], off, off offset:184
	s_wait_loadcnt_dscnt 0x100
	v_mul_f32_e32 v151, v5, v2
	v_dual_mul_f32 v2, v6, v2 :: v_dual_mul_f32 v153, v7, v4
	s_delay_alu instid0(VALU_DEP_2) | instskip(NEXT) | instid1(VALU_DEP_2)
	v_fmac_f32_e32 v151, v6, v1
	v_fma_f32 v152, v5, v1, -v2
	v_mul_f32_e32 v1, v8, v4
	s_delay_alu instid0(VALU_DEP_4) | instskip(NEXT) | instid1(VALU_DEP_2)
	v_fmac_f32_e32 v153, v8, v3
	v_fma_f32 v154, v7, v3, -v1
	ds_load_2addr_b64 v[1:4], v21 offset0:77 offset1:78
	ds_load_2addr_b64 v[5:8], v21 offset0:79 offset1:80
	s_wait_loadcnt_dscnt 0x1
	v_mul_f32_e32 v155, v1, v10
	v_mul_f32_e32 v157, v3, v12
	s_delay_alu instid0(VALU_DEP_2) | instskip(NEXT) | instid1(VALU_DEP_2)
	v_fmac_f32_e32 v155, v2, v9
	v_dual_mul_f32 v2, v2, v10 :: v_dual_fmac_f32 v157, v4, v11
	s_delay_alu instid0(VALU_DEP_1) | instskip(SKIP_1) | instid1(VALU_DEP_1)
	v_fma_f32 v156, v1, v9, -v2
	v_mul_f32_e32 v1, v4, v12
	v_fma_f32 v158, v3, v11, -v1
	s_clause 0x1
	scratch_load_b128 v[1:4], off, off offset:200
	scratch_load_b128 v[9:12], off, off offset:216
	s_wait_loadcnt_dscnt 0x100
	v_mul_f32_e32 v159, v5, v2
	v_dual_mul_f32 v2, v6, v2 :: v_dual_mul_f32 v161, v7, v4
	s_delay_alu instid0(VALU_DEP_2) | instskip(NEXT) | instid1(VALU_DEP_2)
	v_fmac_f32_e32 v159, v6, v1
	v_fma_f32 v160, v5, v1, -v2
	v_mul_f32_e32 v1, v8, v4
	s_delay_alu instid0(VALU_DEP_4) | instskip(NEXT) | instid1(VALU_DEP_2)
	v_fmac_f32_e32 v161, v8, v3
	v_fma_f32 v162, v7, v3, -v1
	ds_load_2addr_b64 v[1:4], v21 offset0:81 offset1:82
	ds_load_2addr_b64 v[5:8], v21 offset0:83 offset1:84
	s_wait_loadcnt_dscnt 0x1
	v_mul_f32_e32 v163, v1, v10
	v_mul_f32_e32 v165, v3, v12
	s_delay_alu instid0(VALU_DEP_2) | instskip(NEXT) | instid1(VALU_DEP_2)
	v_fmac_f32_e32 v163, v2, v9
	v_dual_mul_f32 v2, v2, v10 :: v_dual_fmac_f32 v165, v4, v11
	s_delay_alu instid0(VALU_DEP_1) | instskip(SKIP_1) | instid1(VALU_DEP_1)
	v_fma_f32 v164, v1, v9, -v2
	v_mul_f32_e32 v1, v4, v12
	;; [unrolled: 25-line block ×5, first 2 shown]
	v_fma_f32 v190, v3, v11, -v1
	s_clause 0x1
	scratch_load_b128 v[1:4], off, off offset:328
	scratch_load_b128 v[9:12], off, off offset:344
	s_wait_loadcnt_dscnt 0x100
	v_mul_f32_e32 v191, v5, v2
	v_mul_f32_e32 v2, v6, v2
	s_delay_alu instid0(VALU_DEP_2) | instskip(NEXT) | instid1(VALU_DEP_2)
	v_fmac_f32_e32 v191, v6, v1
	v_fma_f32 v192, v5, v1, -v2
	v_dual_add_f32 v2, 0, v23 :: v_dual_mul_f32 v1, v8, v4
	s_delay_alu instid0(VALU_DEP_1) | instskip(NEXT) | instid1(VALU_DEP_2)
	v_add_f32_e32 v2, v2, v24
	v_fma_f32 v194, v7, v3, -v1
	s_delay_alu instid0(VALU_DEP_2) | instskip(NEXT) | instid1(VALU_DEP_1)
	v_dual_add_f32 v1, 0, v22 :: v_dual_add_f32 v2, v2, v135
	v_dual_add_f32 v1, v1, v134 :: v_dual_add_f32 v2, v2, v136
	s_delay_alu instid0(VALU_DEP_1) | instskip(NEXT) | instid1(VALU_DEP_1)
	v_add_f32_e32 v2, v2, v137
	v_add_f32_e32 v2, v2, v146
	s_delay_alu instid0(VALU_DEP_1) | instskip(NEXT) | instid1(VALU_DEP_1)
	v_add_f32_e32 v2, v2, v142
	v_dual_add_f32 v1, v1, v138 :: v_dual_add_f32 v2, v2, v143
	s_delay_alu instid0(VALU_DEP_1) | instskip(NEXT) | instid1(VALU_DEP_1)
	v_add_f32_e32 v1, v1, v139
	v_dual_add_f32 v2, v2, v15 :: v_dual_add_f32 v1, v1, v140
	s_delay_alu instid0(VALU_DEP_1) | instskip(NEXT) | instid1(VALU_DEP_1)
	v_dual_add_f32 v2, v2, v18 :: v_dual_add_f32 v1, v1, v141
	v_dual_add_f32 v2, v2, v19 :: v_dual_add_f32 v1, v1, v13
	s_delay_alu instid0(VALU_DEP_1) | instskip(NEXT) | instid1(VALU_DEP_1)
	v_dual_add_f32 v2, v2, v20 :: v_dual_add_f32 v1, v1, v14
	;; [unrolled: 3-line block ×3, first 2 shown]
	v_dual_add_f32 v2, v2, v151 :: v_dual_add_f32 v1, v1, v144
	s_delay_alu instid0(VALU_DEP_1) | instskip(NEXT) | instid1(VALU_DEP_1)
	v_add_f32_e32 v2, v2, v153
	v_dual_add_f32 v1, v1, v145 :: v_dual_add_f32 v2, v2, v155
	s_delay_alu instid0(VALU_DEP_1) | instskip(NEXT) | instid1(VALU_DEP_1)
	v_add_f32_e32 v1, v1, v149
	v_dual_add_f32 v2, v2, v157 :: v_dual_add_f32 v1, v1, v150
	s_delay_alu instid0(VALU_DEP_1) | instskip(NEXT) | instid1(VALU_DEP_1)
	v_dual_add_f32 v2, v2, v159 :: v_dual_add_f32 v1, v1, v152
	v_dual_add_f32 v2, v2, v161 :: v_dual_add_f32 v1, v1, v154
	s_delay_alu instid0(VALU_DEP_1) | instskip(NEXT) | instid1(VALU_DEP_1)
	v_add_f32_e32 v1, v1, v156
	v_add_f32_e32 v1, v1, v158
	s_delay_alu instid0(VALU_DEP_1) | instskip(NEXT) | instid1(VALU_DEP_1)
	v_add_f32_e32 v1, v1, v160
	v_add_f32_e32 v1, v1, v162
	;; [unrolled: 3-line block ×3, first 2 shown]
	s_delay_alu instid0(VALU_DEP_1) | instskip(SKIP_1) | instid1(VALU_DEP_2)
	v_add_f32_e32 v6, v1, v168
	v_dual_add_f32 v2, v2, v163 :: v_dual_mul_f32 v193, v7, v4
	v_add_f32_e32 v14, v6, v170
	s_delay_alu instid0(VALU_DEP_2) | instskip(NEXT) | instid1(VALU_DEP_3)
	v_add_f32_e32 v5, v2, v165
	v_fmac_f32_e32 v193, v8, v3
	ds_load_2addr_b64 v[1:4], v21 offset0:97 offset1:98
	v_dual_add_f32 v14, v14, v172 :: v_dual_add_f32 v13, v5, v167
	scratch_load_b128 v[5:8], off, off offset:360
	v_add_f32_e32 v17, v14, v174
	v_add_f32_e32 v13, v13, v169
	s_delay_alu instid0(VALU_DEP_2) | instskip(NEXT) | instid1(VALU_DEP_2)
	v_add_f32_e32 v17, v17, v176
	v_add_f32_e32 v13, v13, v171
	s_delay_alu instid0(VALU_DEP_2) | instskip(NEXT) | instid1(VALU_DEP_2)
	v_add_f32_e32 v17, v17, v178
	v_add_f32_e32 v18, v13, v173
	ds_load_2addr_b64 v[13:16], v21 offset0:99 offset1:100
	s_wait_loadcnt_dscnt 0x101
	v_mul_f32_e32 v134, v1, v10
	v_dual_mul_f32 v10, v2, v10 :: v_dual_mul_f32 v135, v3, v12
	v_mul_f32_e32 v12, v4, v12
	s_delay_alu instid0(VALU_DEP_3) | instskip(NEXT) | instid1(VALU_DEP_3)
	v_dual_add_f32 v17, v17, v180 :: v_dual_fmac_f32 v134, v2, v9
	v_fma_f32 v136, v1, v9, -v10
	s_delay_alu instid0(VALU_DEP_4) | instskip(NEXT) | instid1(VALU_DEP_4)
	v_fmac_f32_e32 v135, v4, v11
	v_fma_f32 v137, v3, v11, -v12
	s_clause 0x1
	scratch_load_b128 v[1:4], off, off offset:376
	scratch_load_b128 v[9:12], off, off offset:392
	v_add_f32_e32 v23, v17, v182
	s_delay_alu instid0(VALU_DEP_1) | instskip(NEXT) | instid1(VALU_DEP_1)
	v_add_f32_e32 v23, v23, v184
	v_add_f32_e32 v23, v23, v186
	s_wait_loadcnt_dscnt 0x200
	v_mul_f32_e32 v138, v13, v6
	v_dual_add_f32 v18, v18, v175 :: v_dual_mul_f32 v139, v15, v8
	v_mul_f32_e32 v8, v16, v8
	v_mul_f32_e32 v6, v14, v6
	s_delay_alu instid0(VALU_DEP_4) | instskip(NEXT) | instid1(VALU_DEP_4)
	v_fmac_f32_e32 v138, v14, v5
	v_dual_add_f32 v18, v18, v177 :: v_dual_fmac_f32 v139, v16, v7
	s_delay_alu instid0(VALU_DEP_4) | instskip(NEXT) | instid1(VALU_DEP_4)
	v_fma_f32 v141, v15, v7, -v8
	v_fma_f32 v140, v13, v5, -v6
	ds_load_2addr_b64 v[5:8], v21 offset0:101 offset1:102
	v_add_f32_e32 v22, v18, v179
	scratch_load_b128 v[17:20], off, off offset:408
	v_add_f32_e32 v22, v22, v181
	s_delay_alu instid0(VALU_DEP_1) | instskip(NEXT) | instid1(VALU_DEP_1)
	v_add_f32_e32 v22, v22, v183
	v_dual_add_f32 v13, v22, v185 :: v_dual_add_f32 v22, v23, v188
	s_delay_alu instid0(VALU_DEP_1)
	v_dual_add_f32 v23, v13, v187 :: v_dual_add_f32 v142, v22, v190
	ds_load_2addr_b64 v[13:16], v21 offset0:103 offset1:104
	s_wait_loadcnt_dscnt 0x201
	v_mul_f32_e32 v144, v5, v2
	v_dual_mul_f32 v2, v6, v2 :: v_dual_add_f32 v143, v23, v189
	v_add_f32_e32 v142, v142, v192
	ds_load_2addr_b64 v[21:24], v21 offset0:105 offset1:106
	v_fmac_f32_e32 v144, v6, v1
	v_fma_f32 v2, v5, v1, -v2
	v_dual_add_f32 v143, v143, v191 :: v_dual_add_f32 v142, v142, v194
	s_delay_alu instid0(VALU_DEP_1) | instskip(SKIP_2) | instid1(VALU_DEP_3)
	v_dual_add_f32 v143, v143, v193 :: v_dual_add_f32 v136, v142, v136
	v_mul_f32_e32 v142, v7, v4
	v_mul_f32_e32 v4, v8, v4
	v_add_f32_e32 v134, v143, v134
	s_wait_loadcnt_dscnt 0x101
	v_dual_add_f32 v136, v136, v137 :: v_dual_mul_f32 v143, v13, v10
	v_mul_f32_e32 v6, v14, v10
	v_fmac_f32_e32 v142, v8, v3
	v_add_f32_e32 v134, v134, v135
	s_delay_alu instid0(VALU_DEP_4) | instskip(SKIP_3) | instid1(VALU_DEP_4)
	v_add_f32_e32 v136, v136, v140
	v_fma_f32 v3, v7, v3, -v4
	v_mul_f32_e32 v145, v15, v12
	v_mul_f32_e32 v4, v16, v12
	v_dual_add_f32 v134, v134, v138 :: v_dual_add_f32 v1, v136, v141
	v_fmac_f32_e32 v143, v14, v9
	s_delay_alu instid0(VALU_DEP_4) | instskip(NEXT) | instid1(VALU_DEP_4)
	v_fmac_f32_e32 v145, v16, v11
	v_fma_f32 v4, v15, v11, -v4
	s_delay_alu instid0(VALU_DEP_4) | instskip(SKIP_1) | instid1(VALU_DEP_2)
	v_add_f32_e32 v5, v134, v139
	v_add_f32_e32 v1, v1, v2
	;; [unrolled: 1-line block ×3, first 2 shown]
	v_fma_f32 v5, v13, v9, -v6
	s_delay_alu instid0(VALU_DEP_2) | instskip(NEXT) | instid1(VALU_DEP_1)
	v_dual_add_f32 v1, v1, v3 :: v_dual_add_f32 v2, v2, v142
	v_dual_add_f32 v1, v1, v5 :: v_dual_add_f32 v2, v2, v143
	s_delay_alu instid0(VALU_DEP_1)
	v_dual_add_f32 v1, v1, v4 :: v_dual_add_f32 v2, v2, v145
	s_wait_loadcnt_dscnt 0x0
	v_mul_f32_e32 v135, v21, v18
	v_mul_f32_e32 v3, v22, v18
	;; [unrolled: 1-line block ×4, first 2 shown]
	s_delay_alu instid0(VALU_DEP_4) | instskip(NEXT) | instid1(VALU_DEP_4)
	v_fmac_f32_e32 v135, v22, v17
	v_fma_f32 v3, v21, v17, -v3
	s_delay_alu instid0(VALU_DEP_4) | instskip(NEXT) | instid1(VALU_DEP_4)
	v_fmac_f32_e32 v137, v24, v19
	v_fma_f32 v4, v23, v19, -v5
	s_delay_alu instid0(VALU_DEP_4) | instskip(NEXT) | instid1(VALU_DEP_1)
	v_add_f32_e32 v2, v2, v135
	v_dual_add_f32 v1, v1, v3 :: v_dual_add_f32 v2, v2, v137
	s_delay_alu instid0(VALU_DEP_1) | instskip(NEXT) | instid1(VALU_DEP_1)
	v_dual_add_f32 v1, v1, v4 :: v_dual_sub_f32 v2, v132, v2
	v_sub_f32_e32 v1, v131, v1
	scratch_store_b64 off, v[1:2], off offset:48
	v_cmpx_lt_u32_e32 5, v0
	s_cbranch_execz .LBB52_321
; %bb.320:
	scratch_load_b64 v[1:2], off, off offset:40
	v_mov_b32_e32 v3, 0
	s_delay_alu instid0(VALU_DEP_1)
	v_mov_b32_e32 v4, v3
	scratch_store_b64 off, v[3:4], off offset:40
	s_wait_loadcnt 0x0
	ds_store_b64 v133, v[1:2]
.LBB52_321:
	s_wait_alu 0xfffe
	s_or_b32 exec_lo, exec_lo, s0
	s_wait_storecnt_dscnt 0x0
	s_barrier_signal -1
	s_barrier_wait -1
	global_inv scope:SCOPE_SE
	s_clause 0x4
	scratch_load_b128 v[5:8], off, off offset:48
	scratch_load_b128 v[1:4], off, off offset:64
	;; [unrolled: 1-line block ×5, first 2 shown]
	v_mov_b32_e32 v21, 0
	ds_load_b128 v[134:137], v21 offset:480
	ds_load_b128 v[138:141], v21 offset:496
	;; [unrolled: 1-line block ×3, first 2 shown]
	scratch_load_b64 v[22:23], off, off offset:40
	s_mov_b32 s0, exec_lo
	s_wait_loadcnt_dscnt 0x502
	v_mul_f32_e32 v24, v135, v6
	v_dual_mul_f32 v131, v134, v6 :: v_dual_mul_f32 v132, v136, v8
	v_mul_f32_e32 v6, v137, v8
	s_delay_alu instid0(VALU_DEP_3) | instskip(NEXT) | instid1(VALU_DEP_3)
	v_fma_f32 v24, v134, v5, -v24
	v_dual_fmac_f32 v131, v135, v5 :: v_dual_fmac_f32 v132, v137, v7
	s_wait_loadcnt_dscnt 0x401
	v_mul_f32_e32 v135, v138, v2
	v_fma_f32 v134, v136, v7, -v6
	ds_load_b128 v[5:8], v21 offset:528
	s_wait_loadcnt_dscnt 0x301
	v_dual_mul_f32 v136, v140, v4 :: v_dual_mul_f32 v137, v142, v10
	v_dual_mul_f32 v4, v141, v4 :: v_dual_fmac_f32 v135, v139, v1
	v_mul_f32_e32 v10, v143, v10
	s_delay_alu instid0(VALU_DEP_3)
	v_dual_mul_f32 v146, v144, v12 :: v_dual_fmac_f32 v137, v143, v9
	v_mul_f32_e32 v12, v145, v12
	v_mul_f32_e32 v2, v139, v2
	v_fmac_f32_e32 v136, v141, v3
	v_fma_f32 v139, v140, v3, -v4
	v_fma_f32 v140, v142, v9, -v10
	v_fmac_f32_e32 v146, v145, v11
	v_fma_f32 v141, v144, v11, -v12
	ds_load_b128 v[9:12], v21 offset:544
	s_wait_loadcnt_dscnt 0x201
	v_dual_mul_f32 v143, v7, v16 :: v_dual_mul_f32 v142, v5, v14
	v_mul_f32_e32 v14, v6, v14
	v_mul_f32_e32 v16, v8, v16
	s_delay_alu instid0(VALU_DEP_3)
	v_fmac_f32_e32 v143, v8, v15
	v_fma_f32 v138, v138, v1, -v2
	scratch_load_b128 v[1:4], off, off offset:128
	v_fmac_f32_e32 v142, v6, v13
	v_fma_f32 v13, v5, v13, -v14
	v_fma_f32 v14, v7, v15, -v16
	ds_load_b128 v[5:8], v21 offset:560
	s_wait_loadcnt_dscnt 0x201
	v_mul_f32_e32 v15, v9, v18
	v_mul_f32_e32 v16, v10, v18
	;; [unrolled: 1-line block ×3, first 2 shown]
	s_delay_alu instid0(VALU_DEP_3) | instskip(NEXT) | instid1(VALU_DEP_3)
	v_dual_mul_f32 v20, v12, v20 :: v_dual_fmac_f32 v15, v10, v17
	v_fma_f32 v16, v9, v17, -v16
	s_delay_alu instid0(VALU_DEP_3) | instskip(NEXT) | instid1(VALU_DEP_3)
	v_fmac_f32_e32 v18, v12, v19
	v_fma_f32 v17, v11, v19, -v20
	scratch_load_b128 v[9:12], off, off offset:144
	s_wait_loadcnt_dscnt 0x100
	v_mul_f32_e32 v19, v5, v2
	v_mul_f32_e32 v2, v6, v2
	;; [unrolled: 1-line block ×3, first 2 shown]
	s_delay_alu instid0(VALU_DEP_3) | instskip(NEXT) | instid1(VALU_DEP_3)
	v_dual_mul_f32 v4, v8, v4 :: v_dual_fmac_f32 v19, v6, v1
	v_fma_f32 v144, v5, v1, -v2
	s_delay_alu instid0(VALU_DEP_3) | instskip(NEXT) | instid1(VALU_DEP_3)
	v_fmac_f32_e32 v20, v8, v3
	v_fma_f32 v145, v7, v3, -v4
	ds_load_b128 v[1:4], v21 offset:576
	ds_load_b128 v[5:8], v21 offset:592
	s_wait_loadcnt_dscnt 0x1
	v_mul_f32_e32 v147, v1, v10
	v_mul_f32_e32 v10, v2, v10
	s_delay_alu instid0(VALU_DEP_2) | instskip(NEXT) | instid1(VALU_DEP_2)
	v_dual_mul_f32 v148, v3, v12 :: v_dual_fmac_f32 v147, v2, v9
	v_fma_f32 v149, v1, v9, -v10
	v_mul_f32_e32 v1, v4, v12
	s_delay_alu instid0(VALU_DEP_3) | instskip(NEXT) | instid1(VALU_DEP_2)
	v_fmac_f32_e32 v148, v4, v11
	v_fma_f32 v150, v3, v11, -v1
	s_clause 0x1
	scratch_load_b128 v[1:4], off, off offset:160
	scratch_load_b128 v[9:12], off, off offset:176
	s_wait_loadcnt_dscnt 0x100
	v_mul_f32_e32 v151, v5, v2
	v_dual_mul_f32 v2, v6, v2 :: v_dual_mul_f32 v153, v7, v4
	s_delay_alu instid0(VALU_DEP_2) | instskip(NEXT) | instid1(VALU_DEP_2)
	v_fmac_f32_e32 v151, v6, v1
	v_fma_f32 v152, v5, v1, -v2
	v_mul_f32_e32 v1, v8, v4
	s_delay_alu instid0(VALU_DEP_4) | instskip(NEXT) | instid1(VALU_DEP_2)
	v_fmac_f32_e32 v153, v8, v3
	v_fma_f32 v154, v7, v3, -v1
	ds_load_b128 v[1:4], v21 offset:608
	ds_load_b128 v[5:8], v21 offset:624
	s_wait_loadcnt_dscnt 0x1
	v_mul_f32_e32 v155, v1, v10
	v_mul_f32_e32 v157, v3, v12
	s_delay_alu instid0(VALU_DEP_2) | instskip(NEXT) | instid1(VALU_DEP_2)
	v_fmac_f32_e32 v155, v2, v9
	v_dual_mul_f32 v2, v2, v10 :: v_dual_fmac_f32 v157, v4, v11
	s_delay_alu instid0(VALU_DEP_1) | instskip(SKIP_1) | instid1(VALU_DEP_1)
	v_fma_f32 v156, v1, v9, -v2
	v_mul_f32_e32 v1, v4, v12
	v_fma_f32 v158, v3, v11, -v1
	s_clause 0x1
	scratch_load_b128 v[1:4], off, off offset:192
	scratch_load_b128 v[9:12], off, off offset:208
	s_wait_loadcnt_dscnt 0x100
	v_mul_f32_e32 v159, v5, v2
	v_dual_mul_f32 v161, v7, v4 :: v_dual_mul_f32 v2, v6, v2
	s_delay_alu instid0(VALU_DEP_2) | instskip(NEXT) | instid1(VALU_DEP_2)
	v_fmac_f32_e32 v159, v6, v1
	v_fmac_f32_e32 v161, v8, v3
	s_delay_alu instid0(VALU_DEP_3) | instskip(SKIP_1) | instid1(VALU_DEP_1)
	v_fma_f32 v160, v5, v1, -v2
	v_mul_f32_e32 v1, v8, v4
	v_fma_f32 v162, v7, v3, -v1
	ds_load_b128 v[1:4], v21 offset:640
	ds_load_b128 v[5:8], v21 offset:656
	s_wait_loadcnt_dscnt 0x1
	v_mul_f32_e32 v163, v1, v10
	v_mul_f32_e32 v165, v3, v12
	s_delay_alu instid0(VALU_DEP_2) | instskip(NEXT) | instid1(VALU_DEP_2)
	v_fmac_f32_e32 v163, v2, v9
	v_dual_mul_f32 v2, v2, v10 :: v_dual_fmac_f32 v165, v4, v11
	s_delay_alu instid0(VALU_DEP_1) | instskip(SKIP_1) | instid1(VALU_DEP_1)
	v_fma_f32 v164, v1, v9, -v2
	v_mul_f32_e32 v1, v4, v12
	v_fma_f32 v166, v3, v11, -v1
	s_clause 0x1
	scratch_load_b128 v[1:4], off, off offset:224
	scratch_load_b128 v[9:12], off, off offset:240
	s_wait_loadcnt_dscnt 0x100
	v_mul_f32_e32 v167, v5, v2
	v_dual_mul_f32 v2, v6, v2 :: v_dual_mul_f32 v169, v7, v4
	s_delay_alu instid0(VALU_DEP_2) | instskip(NEXT) | instid1(VALU_DEP_2)
	v_fmac_f32_e32 v167, v6, v1
	v_fma_f32 v168, v5, v1, -v2
	v_mul_f32_e32 v1, v8, v4
	s_delay_alu instid0(VALU_DEP_4) | instskip(NEXT) | instid1(VALU_DEP_2)
	v_fmac_f32_e32 v169, v8, v3
	v_fma_f32 v170, v7, v3, -v1
	ds_load_b128 v[1:4], v21 offset:672
	ds_load_b128 v[5:8], v21 offset:688
	s_wait_loadcnt_dscnt 0x1
	v_mul_f32_e32 v171, v1, v10
	v_mul_f32_e32 v173, v3, v12
	s_delay_alu instid0(VALU_DEP_2) | instskip(NEXT) | instid1(VALU_DEP_2)
	v_fmac_f32_e32 v171, v2, v9
	v_dual_mul_f32 v2, v2, v10 :: v_dual_fmac_f32 v173, v4, v11
	s_delay_alu instid0(VALU_DEP_1) | instskip(SKIP_1) | instid1(VALU_DEP_1)
	v_fma_f32 v172, v1, v9, -v2
	v_mul_f32_e32 v1, v4, v12
	v_fma_f32 v174, v3, v11, -v1
	s_clause 0x1
	scratch_load_b128 v[1:4], off, off offset:256
	scratch_load_b128 v[9:12], off, off offset:272
	s_wait_loadcnt_dscnt 0x100
	v_mul_f32_e32 v175, v5, v2
	v_dual_mul_f32 v2, v6, v2 :: v_dual_mul_f32 v177, v7, v4
	s_delay_alu instid0(VALU_DEP_2) | instskip(NEXT) | instid1(VALU_DEP_2)
	v_fmac_f32_e32 v175, v6, v1
	v_fma_f32 v176, v5, v1, -v2
	v_mul_f32_e32 v1, v8, v4
	s_delay_alu instid0(VALU_DEP_4) | instskip(NEXT) | instid1(VALU_DEP_2)
	v_fmac_f32_e32 v177, v8, v3
	;; [unrolled: 25-line block ×3, first 2 shown]
	v_fma_f32 v186, v7, v3, -v1
	ds_load_b128 v[1:4], v21 offset:736
	ds_load_b128 v[5:8], v21 offset:752
	s_wait_loadcnt_dscnt 0x1
	v_mul_f32_e32 v187, v1, v10
	v_mul_f32_e32 v189, v3, v12
	s_delay_alu instid0(VALU_DEP_2) | instskip(NEXT) | instid1(VALU_DEP_2)
	v_fmac_f32_e32 v187, v2, v9
	v_dual_mul_f32 v2, v2, v10 :: v_dual_fmac_f32 v189, v4, v11
	s_delay_alu instid0(VALU_DEP_1) | instskip(SKIP_1) | instid1(VALU_DEP_1)
	v_fma_f32 v188, v1, v9, -v2
	v_mul_f32_e32 v1, v4, v12
	v_fma_f32 v190, v3, v11, -v1
	s_clause 0x1
	scratch_load_b128 v[1:4], off, off offset:320
	scratch_load_b128 v[9:12], off, off offset:336
	s_wait_loadcnt_dscnt 0x100
	v_mul_f32_e32 v191, v5, v2
	v_mul_f32_e32 v2, v6, v2
	s_delay_alu instid0(VALU_DEP_2) | instskip(NEXT) | instid1(VALU_DEP_2)
	v_fmac_f32_e32 v191, v6, v1
	v_fma_f32 v192, v5, v1, -v2
	v_dual_add_f32 v2, 0, v131 :: v_dual_mul_f32 v1, v8, v4
	s_delay_alu instid0(VALU_DEP_1) | instskip(NEXT) | instid1(VALU_DEP_2)
	v_add_f32_e32 v2, v2, v132
	v_fma_f32 v194, v7, v3, -v1
	s_delay_alu instid0(VALU_DEP_2) | instskip(NEXT) | instid1(VALU_DEP_1)
	v_dual_add_f32 v1, 0, v24 :: v_dual_add_f32 v2, v2, v135
	v_dual_add_f32 v1, v1, v134 :: v_dual_add_f32 v2, v2, v136
	s_delay_alu instid0(VALU_DEP_1) | instskip(NEXT) | instid1(VALU_DEP_1)
	v_add_f32_e32 v2, v2, v137
	v_add_f32_e32 v2, v2, v146
	s_delay_alu instid0(VALU_DEP_1) | instskip(NEXT) | instid1(VALU_DEP_1)
	v_add_f32_e32 v2, v2, v142
	v_dual_add_f32 v1, v1, v138 :: v_dual_add_f32 v2, v2, v143
	s_delay_alu instid0(VALU_DEP_1) | instskip(NEXT) | instid1(VALU_DEP_1)
	v_add_f32_e32 v2, v2, v15
	v_add_f32_e32 v2, v2, v18
	s_delay_alu instid0(VALU_DEP_1) | instskip(NEXT) | instid1(VALU_DEP_1)
	v_add_f32_e32 v2, v2, v19
	v_dual_add_f32 v2, v2, v20 :: v_dual_add_f32 v1, v1, v139
	s_delay_alu instid0(VALU_DEP_1) | instskip(NEXT) | instid1(VALU_DEP_1)
	v_dual_add_f32 v2, v2, v147 :: v_dual_add_f32 v1, v1, v140
	v_dual_add_f32 v2, v2, v148 :: v_dual_add_f32 v1, v1, v141
	s_delay_alu instid0(VALU_DEP_1) | instskip(NEXT) | instid1(VALU_DEP_1)
	v_dual_add_f32 v2, v2, v151 :: v_dual_add_f32 v1, v1, v13
	;; [unrolled: 3-line block ×3, first 2 shown]
	v_add_f32_e32 v2, v2, v157
	s_delay_alu instid0(VALU_DEP_1) | instskip(NEXT) | instid1(VALU_DEP_1)
	v_dual_add_f32 v1, v1, v17 :: v_dual_add_f32 v2, v2, v159
	v_dual_add_f32 v1, v1, v144 :: v_dual_add_f32 v2, v2, v161
	s_delay_alu instid0(VALU_DEP_1) | instskip(NEXT) | instid1(VALU_DEP_1)
	v_add_f32_e32 v1, v1, v145
	v_add_f32_e32 v1, v1, v149
	s_delay_alu instid0(VALU_DEP_1) | instskip(NEXT) | instid1(VALU_DEP_1)
	v_add_f32_e32 v1, v1, v150
	v_add_f32_e32 v1, v1, v152
	;; [unrolled: 3-line block ×6, first 2 shown]
	v_dual_add_f32 v2, v2, v163 :: v_dual_mul_f32 v193, v7, v4
	s_delay_alu instid0(VALU_DEP_2) | instskip(NEXT) | instid1(VALU_DEP_2)
	v_add_f32_e32 v14, v6, v170
	v_add_f32_e32 v5, v2, v165
	s_delay_alu instid0(VALU_DEP_1) | instskip(NEXT) | instid1(VALU_DEP_1)
	v_dual_add_f32 v14, v14, v172 :: v_dual_add_f32 v13, v5, v167
	v_add_f32_e32 v17, v14, v174
	s_delay_alu instid0(VALU_DEP_2) | instskip(NEXT) | instid1(VALU_DEP_2)
	v_add_f32_e32 v13, v13, v169
	v_add_f32_e32 v17, v17, v176
	s_delay_alu instid0(VALU_DEP_2)
	v_add_f32_e32 v13, v13, v171
	v_fmac_f32_e32 v193, v8, v3
	scratch_load_b128 v[1:4], off, off offset:352
	ds_load_b128 v[5:8], v21 offset:768
	v_add_f32_e32 v17, v17, v178
	v_add_f32_e32 v18, v13, v173
	ds_load_b128 v[13:16], v21 offset:784
	v_add_f32_e32 v17, v17, v180
	s_delay_alu instid0(VALU_DEP_1)
	v_add_f32_e32 v132, v17, v182
	s_wait_loadcnt_dscnt 0x101
	v_mul_f32_e32 v24, v5, v10
	v_mul_f32_e32 v10, v6, v10
	v_mul_f32_e32 v140, v7, v12
	v_mul_f32_e32 v12, v8, v12
	v_add_f32_e32 v18, v18, v175
	v_fmac_f32_e32 v24, v6, v9
	v_fma_f32 v141, v5, v9, -v10
	v_fmac_f32_e32 v140, v8, v11
	v_fma_f32 v142, v7, v11, -v12
	s_clause 0x1
	scratch_load_b128 v[5:8], off, off offset:368
	scratch_load_b128 v[9:12], off, off offset:384
	v_add_f32_e32 v18, v18, v177
	s_delay_alu instid0(VALU_DEP_1) | instskip(SKIP_4) | instid1(VALU_DEP_1)
	v_add_f32_e32 v131, v18, v179
	scratch_load_b128 v[17:20], off, off offset:400
	v_dual_add_f32 v135, v132, v184 :: v_dual_add_f32 v134, v131, v181
	scratch_load_b64 v[131:132], off, off offset:416
	v_dual_add_f32 v135, v135, v186 :: v_dual_add_f32 v134, v134, v183
	v_dual_add_f32 v135, v135, v188 :: v_dual_add_f32 v134, v134, v185
	s_wait_loadcnt_dscnt 0x400
	v_mul_f32_e32 v143, v13, v2
	v_mul_f32_e32 v2, v14, v2
	;; [unrolled: 1-line block ×3, first 2 shown]
	s_delay_alu instid0(VALU_DEP_3) | instskip(NEXT) | instid1(VALU_DEP_3)
	v_dual_mul_f32 v4, v16, v4 :: v_dual_fmac_f32 v143, v14, v1
	v_fma_f32 v145, v13, v1, -v2
	v_dual_add_f32 v13, v134, v187 :: v_dual_add_f32 v14, v135, v190
	s_delay_alu instid0(VALU_DEP_4) | instskip(NEXT) | instid1(VALU_DEP_4)
	v_fmac_f32_e32 v144, v16, v3
	v_fma_f32 v146, v15, v3, -v4
	ds_load_b128 v[1:4], v21 offset:800
	v_add_f32_e32 v134, v13, v189
	v_add_f32_e32 v138, v14, v192
	ds_load_b128 v[13:16], v21 offset:816
	v_add_f32_e32 v139, v134, v191
	v_add_f32_e32 v147, v138, v194
	;; [unrolled: 3-line block ×3, first 2 shown]
	ds_load_b64 v[138:139], v21 offset:848
	v_dual_add_f32 v24, v148, v24 :: v_dual_add_f32 v141, v141, v142
	s_wait_loadcnt_dscnt 0x303
	s_delay_alu instid0(VALU_DEP_1) | instskip(NEXT) | instid1(VALU_DEP_2)
	v_dual_mul_f32 v147, v1, v6 :: v_dual_add_f32 v24, v24, v140
	v_dual_mul_f32 v6, v2, v6 :: v_dual_add_f32 v141, v141, v145
	v_mul_f32_e32 v140, v3, v8
	v_mul_f32_e32 v8, v4, v8
	s_delay_alu instid0(VALU_DEP_4) | instskip(NEXT) | instid1(VALU_DEP_4)
	v_add_f32_e32 v24, v24, v143
	v_fma_f32 v1, v1, v5, -v6
	v_add_f32_e32 v141, v141, v146
	s_wait_loadcnt_dscnt 0x202
	v_dual_fmac_f32 v147, v2, v5 :: v_dual_mul_f32 v142, v13, v10
	v_add_f32_e32 v24, v24, v144
	v_fmac_f32_e32 v140, v4, v7
	v_fma_f32 v2, v3, v7, -v8
	v_mul_f32_e32 v3, v14, v10
	s_delay_alu instid0(VALU_DEP_4) | instskip(SKIP_2) | instid1(VALU_DEP_4)
	v_dual_add_f32 v1, v141, v1 :: v_dual_add_f32 v4, v24, v147
	v_mul_f32_e32 v143, v15, v12
	v_dual_mul_f32 v5, v16, v12 :: v_dual_fmac_f32 v142, v14, v9
	v_fma_f32 v3, v13, v9, -v3
	s_delay_alu instid0(VALU_DEP_4)
	v_dual_add_f32 v1, v1, v2 :: v_dual_add_f32 v2, v4, v140
	s_wait_loadcnt_dscnt 0x101
	v_mul_f32_e32 v145, v134, v18
	v_dual_mul_f32 v4, v135, v18 :: v_dual_fmac_f32 v143, v16, v11
	v_fma_f32 v5, v15, v11, -v5
	v_dual_add_f32 v1, v1, v3 :: v_dual_add_f32 v2, v2, v142
	v_mul_f32_e32 v146, v136, v20
	v_mul_f32_e32 v3, v137, v20
	v_fmac_f32_e32 v145, v135, v17
	v_fma_f32 v4, v134, v17, -v4
	v_dual_add_f32 v1, v1, v5 :: v_dual_add_f32 v2, v2, v143
	s_wait_loadcnt_dscnt 0x0
	v_mul_f32_e32 v144, v138, v132
	v_dual_mul_f32 v5, v139, v132 :: v_dual_fmac_f32 v146, v137, v19
	v_fma_f32 v3, v136, v19, -v3
	v_dual_add_f32 v1, v1, v4 :: v_dual_add_f32 v2, v2, v145
	s_delay_alu instid0(VALU_DEP_4) | instskip(NEXT) | instid1(VALU_DEP_4)
	v_fmac_f32_e32 v144, v139, v131
	v_fma_f32 v4, v138, v131, -v5
	s_delay_alu instid0(VALU_DEP_3) | instskip(NEXT) | instid1(VALU_DEP_1)
	v_dual_add_f32 v1, v1, v3 :: v_dual_add_f32 v2, v2, v146
	v_add_f32_e32 v1, v1, v4
	s_delay_alu instid0(VALU_DEP_2) | instskip(NEXT) | instid1(VALU_DEP_1)
	v_add_f32_e32 v2, v2, v144
	v_dual_sub_f32 v1, v22, v1 :: v_dual_sub_f32 v2, v23, v2
	scratch_store_b64 off, v[1:2], off offset:40
	v_cmpx_lt_u32_e32 4, v0
	s_cbranch_execz .LBB52_323
; %bb.322:
	scratch_load_b64 v[1:2], off, off offset:32
	v_mov_b32_e32 v22, v21
	scratch_store_b64 off, v[21:22], off offset:32
	s_wait_loadcnt 0x0
	ds_store_b64 v133, v[1:2]
.LBB52_323:
	s_wait_alu 0xfffe
	s_or_b32 exec_lo, exec_lo, s0
	s_wait_storecnt_dscnt 0x0
	s_barrier_signal -1
	s_barrier_wait -1
	global_inv scope:SCOPE_SE
	s_clause 0x4
	scratch_load_b128 v[5:8], off, off offset:40
	scratch_load_b128 v[1:4], off, off offset:56
	;; [unrolled: 1-line block ×5, first 2 shown]
	ds_load_2addr_b64 v[134:137], v21 offset0:59 offset1:60
	ds_load_2addr_b64 v[138:141], v21 offset0:61 offset1:62
	;; [unrolled: 1-line block ×3, first 2 shown]
	scratch_load_b64 v[131:132], off, off offset:32
	s_mov_b32 s0, exec_lo
	s_wait_loadcnt_dscnt 0x502
	v_mul_f32_e32 v22, v135, v6
	v_dual_mul_f32 v23, v134, v6 :: v_dual_mul_f32 v24, v136, v8
	v_mul_f32_e32 v6, v137, v8
	s_delay_alu instid0(VALU_DEP_3) | instskip(NEXT) | instid1(VALU_DEP_3)
	v_fma_f32 v22, v134, v5, -v22
	v_dual_fmac_f32 v23, v135, v5 :: v_dual_fmac_f32 v24, v137, v7
	s_wait_loadcnt_dscnt 0x401
	v_mul_f32_e32 v135, v138, v2
	v_fma_f32 v134, v136, v7, -v6
	ds_load_2addr_b64 v[5:8], v21 offset0:65 offset1:66
	s_wait_loadcnt_dscnt 0x301
	v_dual_mul_f32 v136, v140, v4 :: v_dual_mul_f32 v137, v142, v10
	v_dual_mul_f32 v4, v141, v4 :: v_dual_fmac_f32 v135, v139, v1
	v_mul_f32_e32 v10, v143, v10
	s_delay_alu instid0(VALU_DEP_3)
	v_dual_mul_f32 v146, v144, v12 :: v_dual_fmac_f32 v137, v143, v9
	v_mul_f32_e32 v12, v145, v12
	v_mul_f32_e32 v2, v139, v2
	v_fmac_f32_e32 v136, v141, v3
	v_fma_f32 v139, v140, v3, -v4
	v_fma_f32 v140, v142, v9, -v10
	v_fmac_f32_e32 v146, v145, v11
	v_fma_f32 v141, v144, v11, -v12
	ds_load_2addr_b64 v[9:12], v21 offset0:67 offset1:68
	s_wait_loadcnt_dscnt 0x201
	v_mul_f32_e32 v142, v5, v14
	v_dual_mul_f32 v14, v6, v14 :: v_dual_mul_f32 v143, v7, v16
	v_mul_f32_e32 v16, v8, v16
	s_delay_alu instid0(VALU_DEP_3) | instskip(NEXT) | instid1(VALU_DEP_3)
	v_fmac_f32_e32 v142, v6, v13
	v_fma_f32 v13, v5, v13, -v14
	s_delay_alu instid0(VALU_DEP_4) | instskip(NEXT) | instid1(VALU_DEP_4)
	v_fmac_f32_e32 v143, v8, v15
	v_fma_f32 v14, v7, v15, -v16
	ds_load_2addr_b64 v[5:8], v21 offset0:69 offset1:70
	s_wait_loadcnt_dscnt 0x101
	v_mul_f32_e32 v15, v9, v18
	v_mul_f32_e32 v16, v10, v18
	;; [unrolled: 1-line block ×3, first 2 shown]
	s_delay_alu instid0(VALU_DEP_3)
	v_dual_mul_f32 v20, v12, v20 :: v_dual_fmac_f32 v15, v10, v17
	v_fma_f32 v138, v138, v1, -v2
	scratch_load_b128 v[1:4], off, off offset:120
	v_fma_f32 v16, v9, v17, -v16
	v_fmac_f32_e32 v18, v12, v19
	v_fma_f32 v17, v11, v19, -v20
	scratch_load_b128 v[9:12], off, off offset:136
	s_wait_loadcnt_dscnt 0x100
	v_mul_f32_e32 v19, v5, v2
	v_mul_f32_e32 v2, v6, v2
	;; [unrolled: 1-line block ×3, first 2 shown]
	s_delay_alu instid0(VALU_DEP_3) | instskip(NEXT) | instid1(VALU_DEP_3)
	v_dual_mul_f32 v4, v8, v4 :: v_dual_fmac_f32 v19, v6, v1
	v_fma_f32 v144, v5, v1, -v2
	s_delay_alu instid0(VALU_DEP_3) | instskip(NEXT) | instid1(VALU_DEP_3)
	v_fmac_f32_e32 v20, v8, v3
	v_fma_f32 v145, v7, v3, -v4
	ds_load_2addr_b64 v[1:4], v21 offset0:71 offset1:72
	ds_load_2addr_b64 v[5:8], v21 offset0:73 offset1:74
	s_wait_loadcnt_dscnt 0x1
	v_mul_f32_e32 v147, v1, v10
	v_mul_f32_e32 v10, v2, v10
	s_delay_alu instid0(VALU_DEP_2) | instskip(NEXT) | instid1(VALU_DEP_2)
	v_dual_mul_f32 v148, v3, v12 :: v_dual_fmac_f32 v147, v2, v9
	v_fma_f32 v149, v1, v9, -v10
	v_mul_f32_e32 v1, v4, v12
	s_delay_alu instid0(VALU_DEP_3) | instskip(NEXT) | instid1(VALU_DEP_2)
	v_fmac_f32_e32 v148, v4, v11
	v_fma_f32 v150, v3, v11, -v1
	s_clause 0x1
	scratch_load_b128 v[1:4], off, off offset:152
	scratch_load_b128 v[9:12], off, off offset:168
	s_wait_loadcnt_dscnt 0x100
	v_mul_f32_e32 v151, v5, v2
	v_dual_mul_f32 v2, v6, v2 :: v_dual_mul_f32 v153, v7, v4
	s_delay_alu instid0(VALU_DEP_2) | instskip(NEXT) | instid1(VALU_DEP_2)
	v_fmac_f32_e32 v151, v6, v1
	v_fma_f32 v152, v5, v1, -v2
	v_mul_f32_e32 v1, v8, v4
	s_delay_alu instid0(VALU_DEP_4) | instskip(NEXT) | instid1(VALU_DEP_2)
	v_fmac_f32_e32 v153, v8, v3
	v_fma_f32 v154, v7, v3, -v1
	ds_load_2addr_b64 v[1:4], v21 offset0:75 offset1:76
	ds_load_2addr_b64 v[5:8], v21 offset0:77 offset1:78
	s_wait_loadcnt_dscnt 0x1
	v_mul_f32_e32 v155, v1, v10
	v_mul_f32_e32 v157, v3, v12
	s_delay_alu instid0(VALU_DEP_2) | instskip(NEXT) | instid1(VALU_DEP_2)
	v_fmac_f32_e32 v155, v2, v9
	v_dual_mul_f32 v2, v2, v10 :: v_dual_fmac_f32 v157, v4, v11
	s_delay_alu instid0(VALU_DEP_1) | instskip(SKIP_1) | instid1(VALU_DEP_1)
	v_fma_f32 v156, v1, v9, -v2
	v_mul_f32_e32 v1, v4, v12
	v_fma_f32 v158, v3, v11, -v1
	s_clause 0x1
	scratch_load_b128 v[1:4], off, off offset:184
	scratch_load_b128 v[9:12], off, off offset:200
	s_wait_loadcnt_dscnt 0x100
	v_mul_f32_e32 v159, v5, v2
	v_dual_mul_f32 v2, v6, v2 :: v_dual_mul_f32 v161, v7, v4
	s_delay_alu instid0(VALU_DEP_2) | instskip(NEXT) | instid1(VALU_DEP_2)
	v_fmac_f32_e32 v159, v6, v1
	v_fma_f32 v160, v5, v1, -v2
	v_mul_f32_e32 v1, v8, v4
	s_delay_alu instid0(VALU_DEP_4) | instskip(NEXT) | instid1(VALU_DEP_2)
	v_fmac_f32_e32 v161, v8, v3
	v_fma_f32 v162, v7, v3, -v1
	ds_load_2addr_b64 v[1:4], v21 offset0:79 offset1:80
	ds_load_2addr_b64 v[5:8], v21 offset0:81 offset1:82
	s_wait_loadcnt_dscnt 0x1
	v_mul_f32_e32 v163, v1, v10
	v_mul_f32_e32 v165, v3, v12
	s_delay_alu instid0(VALU_DEP_2) | instskip(NEXT) | instid1(VALU_DEP_2)
	v_fmac_f32_e32 v163, v2, v9
	v_dual_mul_f32 v2, v2, v10 :: v_dual_fmac_f32 v165, v4, v11
	s_delay_alu instid0(VALU_DEP_1) | instskip(SKIP_1) | instid1(VALU_DEP_1)
	v_fma_f32 v164, v1, v9, -v2
	v_mul_f32_e32 v1, v4, v12
	;; [unrolled: 25-line block ×6, first 2 shown]
	v_fma_f32 v198, v3, v11, -v1
	s_clause 0x1
	scratch_load_b128 v[1:4], off, off offset:344
	scratch_load_b128 v[9:12], off, off offset:360
	s_wait_loadcnt_dscnt 0x100
	v_mul_f32_e32 v199, v5, v2
	v_dual_mul_f32 v2, v6, v2 :: v_dual_mul_f32 v201, v7, v4
	s_delay_alu instid0(VALU_DEP_2) | instskip(NEXT) | instid1(VALU_DEP_2)
	v_fmac_f32_e32 v199, v6, v1
	v_fma_f32 v200, v5, v1, -v2
	v_add_f32_e32 v2, 0, v23
	s_delay_alu instid0(VALU_DEP_1) | instskip(NEXT) | instid1(VALU_DEP_1)
	v_dual_fmac_f32 v201, v8, v3 :: v_dual_add_f32 v2, v2, v24
	v_add_f32_e32 v2, v2, v135
	s_delay_alu instid0(VALU_DEP_1) | instskip(NEXT) | instid1(VALU_DEP_1)
	v_add_f32_e32 v2, v2, v136
	v_add_f32_e32 v2, v2, v137
	s_delay_alu instid0(VALU_DEP_1) | instskip(NEXT) | instid1(VALU_DEP_1)
	v_add_f32_e32 v2, v2, v146
	;; [unrolled: 3-line block ×3, first 2 shown]
	v_add_f32_e32 v2, v2, v15
	s_delay_alu instid0(VALU_DEP_1) | instskip(NEXT) | instid1(VALU_DEP_1)
	v_dual_add_f32 v2, v2, v18 :: v_dual_mul_f32 v1, v8, v4
	v_add_f32_e32 v2, v2, v19
	s_delay_alu instid0(VALU_DEP_2) | instskip(NEXT) | instid1(VALU_DEP_2)
	v_fma_f32 v202, v7, v3, -v1
	v_dual_add_f32 v1, 0, v22 :: v_dual_add_f32 v2, v2, v20
	s_delay_alu instid0(VALU_DEP_1) | instskip(NEXT) | instid1(VALU_DEP_1)
	v_dual_add_f32 v1, v1, v134 :: v_dual_add_f32 v2, v2, v147
	v_dual_add_f32 v1, v1, v138 :: v_dual_add_f32 v2, v2, v148
	s_delay_alu instid0(VALU_DEP_1) | instskip(NEXT) | instid1(VALU_DEP_1)
	v_add_f32_e32 v1, v1, v139
	v_dual_add_f32 v2, v2, v151 :: v_dual_add_f32 v1, v1, v140
	s_delay_alu instid0(VALU_DEP_1) | instskip(NEXT) | instid1(VALU_DEP_1)
	v_add_f32_e32 v2, v2, v153
	;; [unrolled: 3-line block ×3, first 2 shown]
	v_dual_add_f32 v2, v2, v157 :: v_dual_add_f32 v1, v1, v14
	s_delay_alu instid0(VALU_DEP_1) | instskip(NEXT) | instid1(VALU_DEP_1)
	v_dual_add_f32 v2, v2, v159 :: v_dual_add_f32 v1, v1, v16
	v_add_f32_e32 v2, v2, v161
	s_delay_alu instid0(VALU_DEP_2) | instskip(NEXT) | instid1(VALU_DEP_1)
	v_add_f32_e32 v1, v1, v17
	v_add_f32_e32 v1, v1, v144
	s_delay_alu instid0(VALU_DEP_1) | instskip(NEXT) | instid1(VALU_DEP_1)
	v_add_f32_e32 v1, v1, v145
	v_add_f32_e32 v1, v1, v149
	s_delay_alu instid0(VALU_DEP_1) | instskip(NEXT) | instid1(VALU_DEP_1)
	;; [unrolled: 3-line block ×7, first 2 shown]
	v_add_f32_e32 v1, v1, v170
	v_add_f32_e32 v1, v1, v172
	s_delay_alu instid0(VALU_DEP_1) | instskip(SKIP_1) | instid1(VALU_DEP_2)
	v_add_f32_e32 v6, v1, v174
	v_add_f32_e32 v2, v2, v163
	;; [unrolled: 1-line block ×3, first 2 shown]
	s_delay_alu instid0(VALU_DEP_2) | instskip(NEXT) | instid1(VALU_DEP_2)
	v_add_f32_e32 v2, v2, v165
	v_add_f32_e32 v13, v6, v178
	s_delay_alu instid0(VALU_DEP_1) | instskip(NEXT) | instid1(VALU_DEP_1)
	v_dual_add_f32 v2, v2, v167 :: v_dual_add_f32 v13, v13, v180
	v_dual_add_f32 v2, v2, v169 :: v_dual_add_f32 v13, v13, v182
	s_delay_alu instid0(VALU_DEP_1) | instskip(SKIP_3) | instid1(VALU_DEP_2)
	v_add_f32_e32 v5, v2, v171
	ds_load_2addr_b64 v[1:4], v21 offset0:99 offset1:100
	v_add_f32_e32 v13, v13, v184
	v_add_f32_e32 v5, v5, v173
	;; [unrolled: 1-line block ×3, first 2 shown]
	s_delay_alu instid0(VALU_DEP_1) | instskip(NEXT) | instid1(VALU_DEP_1)
	v_dual_add_f32 v5, v5, v175 :: v_dual_add_f32 v18, v18, v188
	v_add_f32_e32 v14, v5, v177
	ds_load_2addr_b64 v[5:8], v21 offset0:101 offset1:102
	v_add_f32_e32 v18, v18, v190
	s_wait_loadcnt_dscnt 0x1
	v_dual_mul_f32 v134, v1, v10 :: v_dual_mul_f32 v135, v3, v12
	v_mul_f32_e32 v10, v2, v10
	v_mul_f32_e32 v12, v4, v12
	v_add_f32_e32 v22, v18, v192
	s_delay_alu instid0(VALU_DEP_4) | instskip(NEXT) | instid1(VALU_DEP_4)
	v_dual_fmac_f32 v134, v2, v9 :: v_dual_fmac_f32 v135, v4, v11
	v_fma_f32 v136, v1, v9, -v10
	s_delay_alu instid0(VALU_DEP_4) | instskip(SKIP_4) | instid1(VALU_DEP_1)
	v_fma_f32 v137, v3, v11, -v12
	s_clause 0x1
	scratch_load_b128 v[1:4], off, off offset:376
	scratch_load_b128 v[9:12], off, off offset:392
	v_add_f32_e32 v138, v22, v194
	v_add_f32_e32 v138, v138, v196
	s_delay_alu instid0(VALU_DEP_1) | instskip(NEXT) | instid1(VALU_DEP_1)
	v_add_f32_e32 v138, v138, v198
	v_add_f32_e32 v138, v138, v200
	s_delay_alu instid0(VALU_DEP_1) | instskip(NEXT) | instid1(VALU_DEP_1)
	v_add_f32_e32 v138, v138, v202
	v_add_f32_e32 v136, v138, v136
	s_wait_loadcnt_dscnt 0x100
	v_mul_f32_e32 v140, v5, v2
	v_dual_add_f32 v14, v14, v179 :: v_dual_mul_f32 v141, v7, v4
	v_mul_f32_e32 v4, v8, v4
	v_mul_f32_e32 v2, v6, v2
	s_delay_alu instid0(VALU_DEP_4) | instskip(NEXT) | instid1(VALU_DEP_4)
	v_fmac_f32_e32 v140, v6, v1
	v_dual_add_f32 v14, v14, v181 :: v_dual_fmac_f32 v141, v8, v3
	s_delay_alu instid0(VALU_DEP_4) | instskip(NEXT) | instid1(VALU_DEP_4)
	v_fma_f32 v3, v7, v3, -v4
	v_fma_f32 v2, v5, v1, -v2
	v_add_f32_e32 v1, v136, v137
	s_delay_alu instid0(VALU_DEP_4) | instskip(SKIP_3) | instid1(VALU_DEP_2)
	v_add_f32_e32 v17, v14, v183
	scratch_load_b128 v[13:16], off, off offset:408
	v_add_f32_e32 v1, v1, v2
	v_add_f32_e32 v17, v17, v185
	;; [unrolled: 1-line block ×3, first 2 shown]
	s_delay_alu instid0(VALU_DEP_2) | instskip(NEXT) | instid1(VALU_DEP_1)
	v_add_f32_e32 v17, v17, v187
	v_add_f32_e32 v17, v17, v189
	s_delay_alu instid0(VALU_DEP_1)
	v_add_f32_e32 v23, v17, v191
	ds_load_2addr_b64 v[17:20], v21 offset0:103 offset1:104
	v_add_f32_e32 v139, v23, v193
	ds_load_2addr_b64 v[21:24], v21 offset0:105 offset1:106
	v_add_f32_e32 v139, v139, v195
	s_wait_loadcnt_dscnt 0x101
	s_delay_alu instid0(VALU_DEP_1) | instskip(SKIP_2) | instid1(VALU_DEP_2)
	v_dual_add_f32 v139, v139, v197 :: v_dual_mul_f32 v142, v17, v10
	v_dual_mul_f32 v6, v18, v10 :: v_dual_mul_f32 v143, v19, v12
	v_mul_f32_e32 v4, v20, v12
	v_dual_fmac_f32 v142, v18, v9 :: v_dual_fmac_f32 v143, v20, v11
	s_delay_alu instid0(VALU_DEP_2) | instskip(SKIP_3) | instid1(VALU_DEP_2)
	v_fma_f32 v4, v19, v11, -v4
	s_wait_loadcnt_dscnt 0x0
	v_mul_f32_e32 v138, v23, v16
	v_dual_add_f32 v139, v139, v199 :: v_dual_mul_f32 v144, v21, v14
	v_dual_mul_f32 v3, v22, v14 :: v_dual_fmac_f32 v138, v24, v15
	s_delay_alu instid0(VALU_DEP_2) | instskip(NEXT) | instid1(VALU_DEP_3)
	v_add_f32_e32 v139, v139, v201
	v_fmac_f32_e32 v144, v22, v13
	s_delay_alu instid0(VALU_DEP_3) | instskip(NEXT) | instid1(VALU_DEP_3)
	v_fma_f32 v3, v21, v13, -v3
	v_add_f32_e32 v134, v139, v134
	s_delay_alu instid0(VALU_DEP_1) | instskip(NEXT) | instid1(VALU_DEP_1)
	v_add_f32_e32 v5, v134, v135
	v_add_f32_e32 v2, v5, v140
	v_fma_f32 v5, v17, v9, -v6
	s_delay_alu instid0(VALU_DEP_2) | instskip(NEXT) | instid1(VALU_DEP_2)
	v_add_f32_e32 v2, v2, v141
	v_add_f32_e32 v1, v1, v5
	s_delay_alu instid0(VALU_DEP_2) | instskip(NEXT) | instid1(VALU_DEP_2)
	v_dual_mul_f32 v5, v24, v16 :: v_dual_add_f32 v2, v2, v142
	v_add_f32_e32 v1, v1, v4
	s_delay_alu instid0(VALU_DEP_2) | instskip(NEXT) | instid1(VALU_DEP_3)
	v_fma_f32 v4, v23, v15, -v5
	v_add_f32_e32 v2, v2, v143
	s_delay_alu instid0(VALU_DEP_1) | instskip(NEXT) | instid1(VALU_DEP_1)
	v_dual_add_f32 v1, v1, v3 :: v_dual_add_f32 v2, v2, v144
	v_dual_add_f32 v1, v1, v4 :: v_dual_add_f32 v2, v2, v138
	s_delay_alu instid0(VALU_DEP_1)
	v_dual_sub_f32 v1, v131, v1 :: v_dual_sub_f32 v2, v132, v2
	scratch_store_b64 off, v[1:2], off offset:32
	v_cmpx_lt_u32_e32 3, v0
	s_cbranch_execz .LBB52_325
; %bb.324:
	scratch_load_b64 v[1:2], off, off offset:24
	v_mov_b32_e32 v3, 0
	s_delay_alu instid0(VALU_DEP_1)
	v_mov_b32_e32 v4, v3
	scratch_store_b64 off, v[3:4], off offset:24
	s_wait_loadcnt 0x0
	ds_store_b64 v133, v[1:2]
.LBB52_325:
	s_wait_alu 0xfffe
	s_or_b32 exec_lo, exec_lo, s0
	s_wait_storecnt_dscnt 0x0
	s_barrier_signal -1
	s_barrier_wait -1
	global_inv scope:SCOPE_SE
	s_clause 0x4
	scratch_load_b128 v[5:8], off, off offset:32
	scratch_load_b128 v[1:4], off, off offset:48
	;; [unrolled: 1-line block ×5, first 2 shown]
	v_mov_b32_e32 v131, 0
	ds_load_b128 v[21:24], v131 offset:464
	ds_load_b128 v[134:137], v131 offset:480
	;; [unrolled: 1-line block ×3, first 2 shown]
	scratch_load_b64 v[142:143], off, off offset:24
	s_mov_b32 s0, exec_lo
	s_wait_loadcnt_dscnt 0x502
	v_mul_f32_e32 v132, v22, v6
	v_dual_mul_f32 v144, v21, v6 :: v_dual_mul_f32 v145, v23, v8
	v_mul_f32_e32 v6, v24, v8
	s_wait_loadcnt_dscnt 0x300
	v_mul_f32_e32 v146, v140, v12
	v_fma_f32 v21, v21, v5, -v132
	v_dual_fmac_f32 v144, v22, v5 :: v_dual_fmac_f32 v145, v24, v7
	v_fma_f32 v22, v23, v7, -v6
	ds_load_b128 v[5:8], v131 offset:512
	v_dual_mul_f32 v23, v134, v2 :: v_dual_mul_f32 v24, v136, v4
	v_mul_f32_e32 v4, v137, v4
	v_mul_f32_e32 v132, v138, v10
	v_mul_f32_e32 v10, v139, v10
	v_mul_f32_e32 v12, v141, v12
	v_mul_f32_e32 v2, v135, v2
	v_dual_fmac_f32 v23, v135, v1 :: v_dual_fmac_f32 v24, v137, v3
	v_fma_f32 v135, v136, v3, -v4
	v_fmac_f32_e32 v132, v139, v9
	v_fma_f32 v136, v138, v9, -v10
	v_fmac_f32_e32 v146, v141, v11
	v_fma_f32 v137, v140, v11, -v12
	ds_load_b128 v[9:12], v131 offset:528
	s_wait_loadcnt_dscnt 0x201
	v_dual_mul_f32 v139, v7, v16 :: v_dual_mul_f32 v138, v5, v14
	v_mul_f32_e32 v14, v6, v14
	v_mul_f32_e32 v16, v8, v16
	s_delay_alu instid0(VALU_DEP_3)
	v_fmac_f32_e32 v139, v8, v15
	v_fma_f32 v134, v134, v1, -v2
	scratch_load_b128 v[1:4], off, off offset:112
	v_fmac_f32_e32 v138, v6, v13
	v_fma_f32 v13, v5, v13, -v14
	v_fma_f32 v14, v7, v15, -v16
	ds_load_b128 v[5:8], v131 offset:544
	s_wait_loadcnt_dscnt 0x201
	v_mul_f32_e32 v15, v9, v18
	v_mul_f32_e32 v16, v10, v18
	;; [unrolled: 1-line block ×3, first 2 shown]
	s_delay_alu instid0(VALU_DEP_3) | instskip(NEXT) | instid1(VALU_DEP_3)
	v_dual_mul_f32 v20, v12, v20 :: v_dual_fmac_f32 v15, v10, v17
	v_fma_f32 v16, v9, v17, -v16
	s_delay_alu instid0(VALU_DEP_3) | instskip(NEXT) | instid1(VALU_DEP_3)
	v_fmac_f32_e32 v18, v12, v19
	v_fma_f32 v17, v11, v19, -v20
	scratch_load_b128 v[9:12], off, off offset:128
	s_wait_loadcnt_dscnt 0x100
	v_mul_f32_e32 v19, v5, v2
	v_mul_f32_e32 v2, v6, v2
	;; [unrolled: 1-line block ×3, first 2 shown]
	s_delay_alu instid0(VALU_DEP_3) | instskip(NEXT) | instid1(VALU_DEP_3)
	v_dual_mul_f32 v4, v8, v4 :: v_dual_fmac_f32 v19, v6, v1
	v_fma_f32 v140, v5, v1, -v2
	s_delay_alu instid0(VALU_DEP_3) | instskip(NEXT) | instid1(VALU_DEP_3)
	v_fmac_f32_e32 v20, v8, v3
	v_fma_f32 v141, v7, v3, -v4
	ds_load_b128 v[1:4], v131 offset:560
	ds_load_b128 v[5:8], v131 offset:576
	s_wait_loadcnt_dscnt 0x1
	v_mul_f32_e32 v147, v1, v10
	v_mul_f32_e32 v10, v2, v10
	s_delay_alu instid0(VALU_DEP_2) | instskip(NEXT) | instid1(VALU_DEP_2)
	v_dual_mul_f32 v148, v3, v12 :: v_dual_fmac_f32 v147, v2, v9
	v_fma_f32 v149, v1, v9, -v10
	v_mul_f32_e32 v1, v4, v12
	s_delay_alu instid0(VALU_DEP_3) | instskip(NEXT) | instid1(VALU_DEP_2)
	v_fmac_f32_e32 v148, v4, v11
	v_fma_f32 v150, v3, v11, -v1
	s_clause 0x1
	scratch_load_b128 v[1:4], off, off offset:144
	scratch_load_b128 v[9:12], off, off offset:160
	s_wait_loadcnt_dscnt 0x100
	v_mul_f32_e32 v151, v5, v2
	v_dual_mul_f32 v2, v6, v2 :: v_dual_mul_f32 v153, v7, v4
	s_delay_alu instid0(VALU_DEP_2) | instskip(NEXT) | instid1(VALU_DEP_2)
	v_fmac_f32_e32 v151, v6, v1
	v_fma_f32 v152, v5, v1, -v2
	v_mul_f32_e32 v1, v8, v4
	s_delay_alu instid0(VALU_DEP_4) | instskip(NEXT) | instid1(VALU_DEP_2)
	v_fmac_f32_e32 v153, v8, v3
	v_fma_f32 v154, v7, v3, -v1
	ds_load_b128 v[1:4], v131 offset:592
	ds_load_b128 v[5:8], v131 offset:608
	s_wait_loadcnt_dscnt 0x1
	v_mul_f32_e32 v155, v1, v10
	v_mul_f32_e32 v157, v3, v12
	s_delay_alu instid0(VALU_DEP_2) | instskip(NEXT) | instid1(VALU_DEP_2)
	v_fmac_f32_e32 v155, v2, v9
	v_dual_mul_f32 v2, v2, v10 :: v_dual_fmac_f32 v157, v4, v11
	s_delay_alu instid0(VALU_DEP_1) | instskip(SKIP_1) | instid1(VALU_DEP_1)
	v_fma_f32 v156, v1, v9, -v2
	v_mul_f32_e32 v1, v4, v12
	v_fma_f32 v158, v3, v11, -v1
	s_clause 0x1
	scratch_load_b128 v[1:4], off, off offset:176
	scratch_load_b128 v[9:12], off, off offset:192
	s_wait_loadcnt_dscnt 0x100
	v_mul_f32_e32 v159, v5, v2
	v_dual_mul_f32 v2, v6, v2 :: v_dual_mul_f32 v161, v7, v4
	s_delay_alu instid0(VALU_DEP_2) | instskip(NEXT) | instid1(VALU_DEP_2)
	v_fmac_f32_e32 v159, v6, v1
	v_fma_f32 v160, v5, v1, -v2
	v_mul_f32_e32 v1, v8, v4
	s_delay_alu instid0(VALU_DEP_4) | instskip(NEXT) | instid1(VALU_DEP_2)
	v_fmac_f32_e32 v161, v8, v3
	v_fma_f32 v162, v7, v3, -v1
	ds_load_b128 v[1:4], v131 offset:624
	ds_load_b128 v[5:8], v131 offset:640
	s_wait_loadcnt_dscnt 0x1
	v_mul_f32_e32 v163, v1, v10
	v_mul_f32_e32 v165, v3, v12
	s_delay_alu instid0(VALU_DEP_2) | instskip(NEXT) | instid1(VALU_DEP_2)
	v_fmac_f32_e32 v163, v2, v9
	v_dual_mul_f32 v2, v2, v10 :: v_dual_fmac_f32 v165, v4, v11
	s_delay_alu instid0(VALU_DEP_1) | instskip(SKIP_1) | instid1(VALU_DEP_1)
	v_fma_f32 v164, v1, v9, -v2
	v_mul_f32_e32 v1, v4, v12
	v_fma_f32 v166, v3, v11, -v1
	s_clause 0x1
	scratch_load_b128 v[1:4], off, off offset:208
	scratch_load_b128 v[9:12], off, off offset:224
	s_wait_loadcnt_dscnt 0x100
	v_mul_f32_e32 v167, v5, v2
	v_dual_mul_f32 v2, v6, v2 :: v_dual_mul_f32 v169, v7, v4
	s_delay_alu instid0(VALU_DEP_2) | instskip(NEXT) | instid1(VALU_DEP_2)
	v_fmac_f32_e32 v167, v6, v1
	v_fma_f32 v168, v5, v1, -v2
	v_mul_f32_e32 v1, v8, v4
	s_delay_alu instid0(VALU_DEP_4) | instskip(NEXT) | instid1(VALU_DEP_2)
	v_fmac_f32_e32 v169, v8, v3
	v_fma_f32 v170, v7, v3, -v1
	ds_load_b128 v[1:4], v131 offset:656
	ds_load_b128 v[5:8], v131 offset:672
	s_wait_loadcnt_dscnt 0x1
	v_mul_f32_e32 v171, v1, v10
	v_mul_f32_e32 v173, v3, v12
	s_delay_alu instid0(VALU_DEP_2) | instskip(NEXT) | instid1(VALU_DEP_2)
	v_fmac_f32_e32 v171, v2, v9
	v_dual_mul_f32 v2, v2, v10 :: v_dual_fmac_f32 v173, v4, v11
	s_delay_alu instid0(VALU_DEP_1) | instskip(SKIP_1) | instid1(VALU_DEP_1)
	v_fma_f32 v172, v1, v9, -v2
	v_mul_f32_e32 v1, v4, v12
	v_fma_f32 v174, v3, v11, -v1
	s_clause 0x1
	scratch_load_b128 v[1:4], off, off offset:240
	scratch_load_b128 v[9:12], off, off offset:256
	s_wait_loadcnt_dscnt 0x100
	v_mul_f32_e32 v175, v5, v2
	v_dual_mul_f32 v2, v6, v2 :: v_dual_mul_f32 v177, v7, v4
	s_delay_alu instid0(VALU_DEP_2) | instskip(NEXT) | instid1(VALU_DEP_2)
	v_fmac_f32_e32 v175, v6, v1
	v_fma_f32 v176, v5, v1, -v2
	v_mul_f32_e32 v1, v8, v4
	s_delay_alu instid0(VALU_DEP_4) | instskip(NEXT) | instid1(VALU_DEP_2)
	v_fmac_f32_e32 v177, v8, v3
	v_fma_f32 v178, v7, v3, -v1
	ds_load_b128 v[1:4], v131 offset:688
	ds_load_b128 v[5:8], v131 offset:704
	s_wait_loadcnt_dscnt 0x1
	v_mul_f32_e32 v179, v1, v10
	v_mul_f32_e32 v181, v3, v12
	s_delay_alu instid0(VALU_DEP_2) | instskip(NEXT) | instid1(VALU_DEP_2)
	v_fmac_f32_e32 v179, v2, v9
	v_dual_mul_f32 v2, v2, v10 :: v_dual_fmac_f32 v181, v4, v11
	s_delay_alu instid0(VALU_DEP_1) | instskip(SKIP_1) | instid1(VALU_DEP_1)
	v_fma_f32 v180, v1, v9, -v2
	v_mul_f32_e32 v1, v4, v12
	v_fma_f32 v182, v3, v11, -v1
	s_clause 0x1
	scratch_load_b128 v[1:4], off, off offset:272
	scratch_load_b128 v[9:12], off, off offset:288
	s_wait_loadcnt_dscnt 0x100
	v_mul_f32_e32 v183, v5, v2
	v_dual_mul_f32 v2, v6, v2 :: v_dual_mul_f32 v185, v7, v4
	s_delay_alu instid0(VALU_DEP_2) | instskip(NEXT) | instid1(VALU_DEP_2)
	v_fmac_f32_e32 v183, v6, v1
	v_fma_f32 v184, v5, v1, -v2
	v_mul_f32_e32 v1, v8, v4
	s_delay_alu instid0(VALU_DEP_4) | instskip(NEXT) | instid1(VALU_DEP_2)
	v_fmac_f32_e32 v185, v8, v3
	v_fma_f32 v186, v7, v3, -v1
	ds_load_b128 v[1:4], v131 offset:720
	ds_load_b128 v[5:8], v131 offset:736
	s_wait_loadcnt_dscnt 0x1
	v_mul_f32_e32 v187, v1, v10
	v_mul_f32_e32 v189, v3, v12
	s_delay_alu instid0(VALU_DEP_2) | instskip(NEXT) | instid1(VALU_DEP_2)
	v_fmac_f32_e32 v187, v2, v9
	v_dual_mul_f32 v2, v2, v10 :: v_dual_fmac_f32 v189, v4, v11
	s_delay_alu instid0(VALU_DEP_1) | instskip(SKIP_1) | instid1(VALU_DEP_1)
	v_fma_f32 v188, v1, v9, -v2
	v_mul_f32_e32 v1, v4, v12
	v_fma_f32 v190, v3, v11, -v1
	s_clause 0x1
	scratch_load_b128 v[1:4], off, off offset:304
	scratch_load_b128 v[9:12], off, off offset:320
	s_wait_loadcnt_dscnt 0x100
	v_mul_f32_e32 v191, v5, v2
	v_dual_mul_f32 v2, v6, v2 :: v_dual_mul_f32 v193, v7, v4
	s_delay_alu instid0(VALU_DEP_2) | instskip(NEXT) | instid1(VALU_DEP_2)
	v_fmac_f32_e32 v191, v6, v1
	v_fma_f32 v192, v5, v1, -v2
	v_mul_f32_e32 v1, v8, v4
	s_delay_alu instid0(VALU_DEP_4) | instskip(NEXT) | instid1(VALU_DEP_2)
	v_fmac_f32_e32 v193, v8, v3
	v_fma_f32 v194, v7, v3, -v1
	ds_load_b128 v[1:4], v131 offset:752
	ds_load_b128 v[5:8], v131 offset:768
	s_wait_loadcnt_dscnt 0x1
	v_mul_f32_e32 v195, v1, v10
	v_mul_f32_e32 v197, v3, v12
	s_delay_alu instid0(VALU_DEP_2) | instskip(NEXT) | instid1(VALU_DEP_2)
	v_fmac_f32_e32 v195, v2, v9
	v_dual_mul_f32 v2, v2, v10 :: v_dual_fmac_f32 v197, v4, v11
	s_delay_alu instid0(VALU_DEP_1) | instskip(SKIP_1) | instid1(VALU_DEP_1)
	v_fma_f32 v196, v1, v9, -v2
	v_mul_f32_e32 v1, v4, v12
	v_fma_f32 v198, v3, v11, -v1
	s_clause 0x1
	scratch_load_b128 v[1:4], off, off offset:336
	scratch_load_b128 v[9:12], off, off offset:352
	s_wait_loadcnt_dscnt 0x100
	v_mul_f32_e32 v199, v5, v2
	v_mul_f32_e32 v2, v6, v2
	s_delay_alu instid0(VALU_DEP_2) | instskip(NEXT) | instid1(VALU_DEP_2)
	v_fmac_f32_e32 v199, v6, v1
	v_fma_f32 v200, v5, v1, -v2
	v_add_f32_e32 v2, 0, v144
	s_delay_alu instid0(VALU_DEP_1) | instskip(NEXT) | instid1(VALU_DEP_1)
	v_dual_mul_f32 v1, v8, v4 :: v_dual_add_f32 v2, v2, v145
	v_fma_f32 v202, v7, v3, -v1
	s_delay_alu instid0(VALU_DEP_2) | instskip(NEXT) | instid1(VALU_DEP_1)
	v_dual_add_f32 v1, 0, v21 :: v_dual_add_f32 v2, v2, v23
	v_dual_add_f32 v1, v1, v22 :: v_dual_add_f32 v2, v2, v24
	s_delay_alu instid0(VALU_DEP_1) | instskip(NEXT) | instid1(VALU_DEP_1)
	v_add_f32_e32 v2, v2, v132
	v_add_f32_e32 v2, v2, v146
	s_delay_alu instid0(VALU_DEP_1) | instskip(NEXT) | instid1(VALU_DEP_1)
	v_add_f32_e32 v2, v2, v138
	v_dual_add_f32 v1, v1, v134 :: v_dual_add_f32 v2, v2, v139
	s_delay_alu instid0(VALU_DEP_1) | instskip(SKIP_2) | instid1(VALU_DEP_1)
	v_add_f32_e32 v1, v1, v135
	scratch_load_b64 v[134:135], off, off offset:416
	v_dual_add_f32 v2, v2, v15 :: v_dual_add_f32 v1, v1, v136
	v_dual_add_f32 v2, v2, v18 :: v_dual_add_f32 v1, v1, v137
	s_delay_alu instid0(VALU_DEP_1) | instskip(NEXT) | instid1(VALU_DEP_1)
	v_dual_add_f32 v2, v2, v19 :: v_dual_add_f32 v1, v1, v13
	v_dual_add_f32 v2, v2, v20 :: v_dual_add_f32 v1, v1, v14
	s_delay_alu instid0(VALU_DEP_1) | instskip(NEXT) | instid1(VALU_DEP_1)
	;; [unrolled: 3-line block ×3, first 2 shown]
	v_dual_add_f32 v2, v2, v151 :: v_dual_add_f32 v1, v1, v140
	v_add_f32_e32 v2, v2, v153
	s_delay_alu instid0(VALU_DEP_1) | instskip(NEXT) | instid1(VALU_DEP_1)
	v_dual_add_f32 v1, v1, v141 :: v_dual_add_f32 v2, v2, v155
	v_add_f32_e32 v1, v1, v149
	s_delay_alu instid0(VALU_DEP_1) | instskip(NEXT) | instid1(VALU_DEP_1)
	v_dual_add_f32 v2, v2, v157 :: v_dual_add_f32 v1, v1, v150
	v_dual_add_f32 v2, v2, v159 :: v_dual_add_f32 v1, v1, v152
	s_delay_alu instid0(VALU_DEP_1) | instskip(NEXT) | instid1(VALU_DEP_1)
	v_dual_add_f32 v2, v2, v161 :: v_dual_add_f32 v1, v1, v154
	v_dual_add_f32 v2, v2, v163 :: v_dual_add_f32 v1, v1, v156
	s_delay_alu instid0(VALU_DEP_1) | instskip(NEXT) | instid1(VALU_DEP_1)
	v_dual_add_f32 v2, v2, v165 :: v_dual_add_f32 v1, v1, v158
	v_add_f32_e32 v1, v1, v160
	s_delay_alu instid0(VALU_DEP_1) | instskip(NEXT) | instid1(VALU_DEP_1)
	v_add_f32_e32 v1, v1, v162
	v_add_f32_e32 v1, v1, v164
	s_delay_alu instid0(VALU_DEP_1) | instskip(NEXT) | instid1(VALU_DEP_1)
	v_add_f32_e32 v1, v1, v166
	;; [unrolled: 3-line block ×3, first 2 shown]
	v_add_f32_e32 v1, v1, v172
	s_delay_alu instid0(VALU_DEP_1) | instskip(SKIP_1) | instid1(VALU_DEP_2)
	v_add_f32_e32 v6, v1, v174
	v_add_f32_e32 v2, v2, v167
	;; [unrolled: 1-line block ×3, first 2 shown]
	s_delay_alu instid0(VALU_DEP_2) | instskip(NEXT) | instid1(VALU_DEP_2)
	v_add_f32_e32 v2, v2, v169
	v_add_f32_e32 v13, v6, v178
	s_delay_alu instid0(VALU_DEP_2) | instskip(NEXT) | instid1(VALU_DEP_2)
	v_add_f32_e32 v5, v2, v171
	v_add_f32_e32 v13, v13, v180
	;; [unrolled: 3-line block ×3, first 2 shown]
	s_delay_alu instid0(VALU_DEP_2) | instskip(SKIP_1) | instid1(VALU_DEP_3)
	v_add_f32_e32 v5, v5, v175
	v_mul_f32_e32 v201, v7, v4
	v_add_f32_e32 v13, v13, v184
	s_delay_alu instid0(VALU_DEP_2) | instskip(SKIP_3) | instid1(VALU_DEP_1)
	v_dual_add_f32 v14, v5, v177 :: v_dual_fmac_f32 v201, v8, v3
	ds_load_b128 v[1:4], v131 offset:784
	ds_load_b128 v[5:8], v131 offset:800
	v_add_f32_e32 v18, v13, v186
	v_add_f32_e32 v18, v18, v188
	s_delay_alu instid0(VALU_DEP_1) | instskip(NEXT) | instid1(VALU_DEP_1)
	v_add_f32_e32 v18, v18, v190
	v_add_f32_e32 v18, v18, v192
	s_wait_loadcnt_dscnt 0x101
	v_mul_f32_e32 v132, v1, v10
	v_mul_f32_e32 v10, v2, v10
	v_mul_f32_e32 v138, v3, v12
	v_mul_f32_e32 v12, v4, v12
	v_add_f32_e32 v14, v14, v179
	v_fmac_f32_e32 v132, v2, v9
	v_fma_f32 v139, v1, v9, -v10
	v_fmac_f32_e32 v138, v4, v11
	v_fma_f32 v140, v3, v11, -v12
	s_clause 0x1
	scratch_load_b128 v[1:4], off, off offset:368
	scratch_load_b128 v[9:12], off, off offset:384
	v_add_f32_e32 v14, v14, v181
	v_add_f32_e32 v18, v18, v194
	s_delay_alu instid0(VALU_DEP_2) | instskip(SKIP_2) | instid1(VALU_DEP_1)
	v_add_f32_e32 v17, v14, v183
	scratch_load_b128 v[13:16], off, off offset:400
	v_dual_add_f32 v136, v18, v196 :: v_dual_add_f32 v17, v17, v185
	v_add_f32_e32 v141, v136, v198
	s_delay_alu instid0(VALU_DEP_2) | instskip(NEXT) | instid1(VALU_DEP_2)
	v_add_f32_e32 v17, v17, v187
	v_add_f32_e32 v141, v141, v200
	s_delay_alu instid0(VALU_DEP_2) | instskip(NEXT) | instid1(VALU_DEP_2)
	v_add_f32_e32 v17, v17, v189
	v_add_f32_e32 v141, v141, v202
	s_delay_alu instid0(VALU_DEP_2) | instskip(NEXT) | instid1(VALU_DEP_2)
	v_add_f32_e32 v17, v17, v191
	v_add_f32_e32 v139, v141, v139
	s_delay_alu instid0(VALU_DEP_2)
	v_add_f32_e32 v21, v17, v193
	ds_load_b128 v[17:20], v131 offset:816
	v_add_f32_e32 v139, v139, v140
	s_wait_loadcnt_dscnt 0x201
	v_dual_mul_f32 v146, v7, v4 :: v_dual_add_f32 v137, v21, v195
	v_mul_f32_e32 v4, v8, v4
	ds_load_b128 v[21:24], v131 offset:832
	v_mul_f32_e32 v145, v5, v2
	v_mul_f32_e32 v2, v6, v2
	v_add_f32_e32 v144, v137, v197
	ds_load_b64 v[136:137], v131 offset:848
	s_wait_loadcnt_dscnt 0x102
	v_mul_f32_e32 v141, v17, v10
	v_fmac_f32_e32 v145, v6, v1
	v_fma_f32 v2, v5, v1, -v2
	v_add_f32_e32 v144, v144, v199
	v_fmac_f32_e32 v146, v8, v3
	v_fma_f32 v1, v7, v3, -v4
	v_mul_f32_e32 v3, v18, v10
	v_add_f32_e32 v2, v139, v2
	v_add_f32_e32 v144, v144, v201
	v_mul_f32_e32 v5, v20, v12
	v_fmac_f32_e32 v141, v18, v9
	v_fma_f32 v3, v17, v9, -v3
	s_delay_alu instid0(VALU_DEP_4) | instskip(SKIP_3) | instid1(VALU_DEP_3)
	v_dual_add_f32 v1, v2, v1 :: v_dual_add_f32 v132, v144, v132
	s_wait_loadcnt_dscnt 0x1
	v_dual_mul_f32 v144, v19, v12 :: v_dual_mul_f32 v147, v21, v14
	v_fma_f32 v5, v19, v11, -v5
	v_dual_add_f32 v1, v1, v3 :: v_dual_add_f32 v132, v132, v138
	s_delay_alu instid0(VALU_DEP_3)
	v_fmac_f32_e32 v144, v20, v11
	v_mul_f32_e32 v140, v23, v16
	v_mul_f32_e32 v3, v24, v16
	v_fmac_f32_e32 v147, v22, v13
	v_add_f32_e32 v4, v132, v145
	s_wait_dscnt 0x0
	v_dual_add_f32 v1, v1, v5 :: v_dual_mul_f32 v138, v136, v135
	v_mul_f32_e32 v5, v137, v135
	v_fmac_f32_e32 v140, v24, v15
	v_add_f32_e32 v2, v4, v146
	v_mul_f32_e32 v4, v22, v14
	v_fma_f32 v3, v23, v15, -v3
	v_fmac_f32_e32 v138, v137, v134
	s_delay_alu instid0(VALU_DEP_4) | instskip(NEXT) | instid1(VALU_DEP_4)
	v_add_f32_e32 v2, v2, v141
	v_fma_f32 v4, v21, v13, -v4
	s_delay_alu instid0(VALU_DEP_2) | instskip(NEXT) | instid1(VALU_DEP_2)
	v_add_f32_e32 v2, v2, v144
	v_add_f32_e32 v1, v1, v4
	v_fma_f32 v4, v136, v134, -v5
	s_delay_alu instid0(VALU_DEP_3) | instskip(NEXT) | instid1(VALU_DEP_1)
	v_add_f32_e32 v2, v2, v147
	v_dual_add_f32 v1, v1, v3 :: v_dual_add_f32 v2, v2, v140
	s_delay_alu instid0(VALU_DEP_1) | instskip(NEXT) | instid1(VALU_DEP_1)
	v_dual_add_f32 v1, v1, v4 :: v_dual_add_f32 v2, v2, v138
	v_dual_sub_f32 v1, v142, v1 :: v_dual_sub_f32 v2, v143, v2
	scratch_store_b64 off, v[1:2], off offset:24
	v_cmpx_lt_u32_e32 2, v0
	s_cbranch_execz .LBB52_327
; %bb.326:
	scratch_load_b64 v[1:2], off, off offset:16
	v_mov_b32_e32 v132, v131
	scratch_store_b64 off, v[131:132], off offset:16
	s_wait_loadcnt 0x0
	ds_store_b64 v133, v[1:2]
.LBB52_327:
	s_wait_alu 0xfffe
	s_or_b32 exec_lo, exec_lo, s0
	s_wait_storecnt_dscnt 0x0
	s_barrier_signal -1
	s_barrier_wait -1
	global_inv scope:SCOPE_SE
	s_clause 0x4
	scratch_load_b128 v[5:8], off, off offset:24
	scratch_load_b128 v[1:4], off, off offset:40
	;; [unrolled: 1-line block ×5, first 2 shown]
	ds_load_2addr_b64 v[21:24], v131 offset0:57 offset1:58
	ds_load_2addr_b64 v[134:137], v131 offset0:59 offset1:60
	ds_load_2addr_b64 v[138:141], v131 offset0:61 offset1:62
	scratch_load_b64 v[142:143], off, off offset:16
	s_mov_b32 s0, exec_lo
	s_wait_loadcnt_dscnt 0x502
	v_mul_f32_e32 v132, v21, v6
	v_mul_f32_e32 v144, v23, v8
	s_wait_loadcnt_dscnt 0x300
	v_dual_mul_f32 v8, v24, v8 :: v_dual_mul_f32 v145, v138, v10
	v_mul_f32_e32 v6, v22, v6
	v_fmac_f32_e32 v132, v22, v5
	v_mul_f32_e32 v10, v139, v10
	s_delay_alu instid0(VALU_DEP_4)
	v_fma_f32 v22, v23, v7, -v8
	v_dual_mul_f32 v23, v134, v2 :: v_dual_fmac_f32 v144, v24, v7
	v_fmac_f32_e32 v145, v139, v9
	v_fma_f32 v21, v21, v5, -v6
	ds_load_2addr_b64 v[5:8], v131 offset0:63 offset1:64
	v_mul_f32_e32 v24, v136, v4
	v_mul_f32_e32 v4, v137, v4
	;; [unrolled: 1-line block ×5, first 2 shown]
	v_dual_fmac_f32 v23, v135, v1 :: v_dual_fmac_f32 v24, v137, v3
	v_fma_f32 v135, v136, v3, -v4
	v_fma_f32 v136, v138, v9, -v10
	v_fmac_f32_e32 v146, v141, v11
	v_fma_f32 v137, v140, v11, -v12
	ds_load_2addr_b64 v[9:12], v131 offset0:65 offset1:66
	s_wait_loadcnt_dscnt 0x201
	v_dual_mul_f32 v139, v7, v16 :: v_dual_mul_f32 v138, v5, v14
	v_mul_f32_e32 v14, v6, v14
	v_mul_f32_e32 v16, v8, v16
	s_delay_alu instid0(VALU_DEP_3)
	v_fmac_f32_e32 v139, v8, v15
	v_fma_f32 v134, v134, v1, -v2
	scratch_load_b128 v[1:4], off, off offset:104
	v_fmac_f32_e32 v138, v6, v13
	v_fma_f32 v13, v5, v13, -v14
	v_fma_f32 v14, v7, v15, -v16
	ds_load_2addr_b64 v[5:8], v131 offset0:67 offset1:68
	s_wait_loadcnt_dscnt 0x201
	v_mul_f32_e32 v15, v9, v18
	v_mul_f32_e32 v16, v10, v18
	;; [unrolled: 1-line block ×3, first 2 shown]
	s_delay_alu instid0(VALU_DEP_3) | instskip(NEXT) | instid1(VALU_DEP_3)
	v_dual_mul_f32 v20, v12, v20 :: v_dual_fmac_f32 v15, v10, v17
	v_fma_f32 v16, v9, v17, -v16
	s_delay_alu instid0(VALU_DEP_3) | instskip(NEXT) | instid1(VALU_DEP_3)
	v_fmac_f32_e32 v18, v12, v19
	v_fma_f32 v17, v11, v19, -v20
	scratch_load_b128 v[9:12], off, off offset:120
	s_wait_loadcnt_dscnt 0x100
	v_mul_f32_e32 v19, v5, v2
	v_mul_f32_e32 v2, v6, v2
	;; [unrolled: 1-line block ×3, first 2 shown]
	s_delay_alu instid0(VALU_DEP_3) | instskip(NEXT) | instid1(VALU_DEP_3)
	v_dual_mul_f32 v4, v8, v4 :: v_dual_fmac_f32 v19, v6, v1
	v_fma_f32 v140, v5, v1, -v2
	s_delay_alu instid0(VALU_DEP_3) | instskip(NEXT) | instid1(VALU_DEP_3)
	v_fmac_f32_e32 v20, v8, v3
	v_fma_f32 v141, v7, v3, -v4
	ds_load_2addr_b64 v[1:4], v131 offset0:69 offset1:70
	ds_load_2addr_b64 v[5:8], v131 offset0:71 offset1:72
	s_wait_loadcnt_dscnt 0x1
	v_mul_f32_e32 v147, v1, v10
	v_mul_f32_e32 v10, v2, v10
	s_delay_alu instid0(VALU_DEP_2) | instskip(NEXT) | instid1(VALU_DEP_2)
	v_dual_mul_f32 v148, v3, v12 :: v_dual_fmac_f32 v147, v2, v9
	v_fma_f32 v149, v1, v9, -v10
	v_mul_f32_e32 v1, v4, v12
	s_delay_alu instid0(VALU_DEP_3) | instskip(NEXT) | instid1(VALU_DEP_2)
	v_fmac_f32_e32 v148, v4, v11
	v_fma_f32 v150, v3, v11, -v1
	s_clause 0x1
	scratch_load_b128 v[1:4], off, off offset:136
	scratch_load_b128 v[9:12], off, off offset:152
	s_wait_loadcnt_dscnt 0x100
	v_mul_f32_e32 v151, v5, v2
	v_dual_mul_f32 v2, v6, v2 :: v_dual_mul_f32 v153, v7, v4
	s_delay_alu instid0(VALU_DEP_2) | instskip(NEXT) | instid1(VALU_DEP_2)
	v_fmac_f32_e32 v151, v6, v1
	v_fma_f32 v152, v5, v1, -v2
	v_mul_f32_e32 v1, v8, v4
	s_delay_alu instid0(VALU_DEP_4) | instskip(NEXT) | instid1(VALU_DEP_2)
	v_fmac_f32_e32 v153, v8, v3
	v_fma_f32 v154, v7, v3, -v1
	ds_load_2addr_b64 v[1:4], v131 offset0:73 offset1:74
	ds_load_2addr_b64 v[5:8], v131 offset0:75 offset1:76
	s_wait_loadcnt_dscnt 0x1
	v_mul_f32_e32 v155, v1, v10
	v_mul_f32_e32 v157, v3, v12
	s_delay_alu instid0(VALU_DEP_2) | instskip(NEXT) | instid1(VALU_DEP_2)
	v_fmac_f32_e32 v155, v2, v9
	v_dual_mul_f32 v2, v2, v10 :: v_dual_fmac_f32 v157, v4, v11
	s_delay_alu instid0(VALU_DEP_1) | instskip(SKIP_1) | instid1(VALU_DEP_1)
	v_fma_f32 v156, v1, v9, -v2
	v_mul_f32_e32 v1, v4, v12
	v_fma_f32 v158, v3, v11, -v1
	s_clause 0x1
	scratch_load_b128 v[1:4], off, off offset:168
	scratch_load_b128 v[9:12], off, off offset:184
	s_wait_loadcnt_dscnt 0x100
	v_mul_f32_e32 v159, v5, v2
	v_dual_mul_f32 v2, v6, v2 :: v_dual_mul_f32 v161, v7, v4
	s_delay_alu instid0(VALU_DEP_2) | instskip(NEXT) | instid1(VALU_DEP_2)
	v_fmac_f32_e32 v159, v6, v1
	v_fma_f32 v160, v5, v1, -v2
	v_mul_f32_e32 v1, v8, v4
	s_delay_alu instid0(VALU_DEP_4) | instskip(NEXT) | instid1(VALU_DEP_2)
	v_fmac_f32_e32 v161, v8, v3
	v_fma_f32 v162, v7, v3, -v1
	ds_load_2addr_b64 v[1:4], v131 offset0:77 offset1:78
	ds_load_2addr_b64 v[5:8], v131 offset0:79 offset1:80
	s_wait_loadcnt_dscnt 0x1
	v_mul_f32_e32 v163, v1, v10
	v_mul_f32_e32 v165, v3, v12
	s_delay_alu instid0(VALU_DEP_2) | instskip(NEXT) | instid1(VALU_DEP_2)
	v_fmac_f32_e32 v163, v2, v9
	v_dual_mul_f32 v2, v2, v10 :: v_dual_fmac_f32 v165, v4, v11
	s_delay_alu instid0(VALU_DEP_1) | instskip(SKIP_1) | instid1(VALU_DEP_1)
	v_fma_f32 v164, v1, v9, -v2
	v_mul_f32_e32 v1, v4, v12
	;; [unrolled: 25-line block ×6, first 2 shown]
	v_fma_f32 v198, v3, v11, -v1
	s_clause 0x1
	scratch_load_b128 v[1:4], off, off offset:328
	scratch_load_b128 v[9:12], off, off offset:344
	s_wait_loadcnt_dscnt 0x100
	v_mul_f32_e32 v199, v5, v2
	v_mul_f32_e32 v2, v6, v2
	s_delay_alu instid0(VALU_DEP_2) | instskip(NEXT) | instid1(VALU_DEP_2)
	v_fmac_f32_e32 v199, v6, v1
	v_fma_f32 v200, v5, v1, -v2
	v_add_f32_e32 v2, 0, v132
	s_delay_alu instid0(VALU_DEP_1) | instskip(NEXT) | instid1(VALU_DEP_1)
	v_add_f32_e32 v2, v2, v144
	v_add_f32_e32 v2, v2, v23
	s_delay_alu instid0(VALU_DEP_1) | instskip(NEXT) | instid1(VALU_DEP_1)
	v_add_f32_e32 v2, v2, v24
	v_add_f32_e32 v2, v2, v145
	s_delay_alu instid0(VALU_DEP_1) | instskip(NEXT) | instid1(VALU_DEP_1)
	v_dual_add_f32 v2, v2, v146 :: v_dual_mul_f32 v1, v8, v4
	v_add_f32_e32 v2, v2, v138
	s_delay_alu instid0(VALU_DEP_2) | instskip(NEXT) | instid1(VALU_DEP_2)
	v_fma_f32 v202, v7, v3, -v1
	v_dual_add_f32 v1, 0, v21 :: v_dual_add_f32 v2, v2, v139
	s_delay_alu instid0(VALU_DEP_1) | instskip(NEXT) | instid1(VALU_DEP_1)
	v_dual_add_f32 v1, v1, v22 :: v_dual_add_f32 v2, v2, v15
	v_add_f32_e32 v1, v1, v134
	s_delay_alu instid0(VALU_DEP_1) | instskip(NEXT) | instid1(VALU_DEP_1)
	v_dual_add_f32 v2, v2, v18 :: v_dual_add_f32 v1, v1, v135
	v_dual_add_f32 v2, v2, v19 :: v_dual_add_f32 v1, v1, v136
	s_delay_alu instid0(VALU_DEP_1) | instskip(NEXT) | instid1(VALU_DEP_1)
	v_dual_add_f32 v2, v2, v20 :: v_dual_add_f32 v1, v1, v137
	v_dual_add_f32 v2, v2, v147 :: v_dual_add_f32 v1, v1, v13
	s_delay_alu instid0(VALU_DEP_1) | instskip(NEXT) | instid1(VALU_DEP_1)
	v_add_f32_e32 v2, v2, v148
	v_add_f32_e32 v2, v2, v151
	s_delay_alu instid0(VALU_DEP_1) | instskip(NEXT) | instid1(VALU_DEP_1)
	v_add_f32_e32 v2, v2, v153
	v_add_f32_e32 v2, v2, v155
	;; [unrolled: 3-line block ×4, first 2 shown]
	s_delay_alu instid0(VALU_DEP_1) | instskip(NEXT) | instid1(VALU_DEP_1)
	v_dual_add_f32 v2, v2, v165 :: v_dual_add_f32 v1, v1, v14
	v_add_f32_e32 v1, v1, v16
	s_delay_alu instid0(VALU_DEP_1) | instskip(NEXT) | instid1(VALU_DEP_1)
	v_add_f32_e32 v1, v1, v17
	v_add_f32_e32 v1, v1, v140
	s_delay_alu instid0(VALU_DEP_1) | instskip(NEXT) | instid1(VALU_DEP_1)
	v_add_f32_e32 v1, v1, v141
	;; [unrolled: 3-line block ×9, first 2 shown]
	v_add_f32_e32 v6, v1, v176
	v_add_f32_e32 v2, v2, v167
	s_delay_alu instid0(VALU_DEP_2) | instskip(NEXT) | instid1(VALU_DEP_2)
	v_add_f32_e32 v14, v6, v178
	v_dual_add_f32 v2, v2, v169 :: v_dual_mul_f32 v201, v7, v4
	s_delay_alu instid0(VALU_DEP_2) | instskip(NEXT) | instid1(VALU_DEP_2)
	v_add_f32_e32 v14, v14, v180
	v_add_f32_e32 v2, v2, v171
	s_delay_alu instid0(VALU_DEP_3) | instskip(NEXT) | instid1(VALU_DEP_3)
	v_fmac_f32_e32 v201, v8, v3
	v_add_f32_e32 v17, v14, v182
	s_delay_alu instid0(VALU_DEP_3)
	v_add_f32_e32 v5, v2, v173
	ds_load_2addr_b64 v[1:4], v131 offset0:97 offset1:98
	v_add_f32_e32 v17, v17, v184
	v_add_f32_e32 v13, v5, v175
	scratch_load_b128 v[5:8], off, off offset:360
	v_add_f32_e32 v17, v17, v186
	v_add_f32_e32 v13, v13, v177
	s_delay_alu instid0(VALU_DEP_2) | instskip(NEXT) | instid1(VALU_DEP_2)
	v_add_f32_e32 v17, v17, v188
	v_add_f32_e32 v13, v13, v179
	s_delay_alu instid0(VALU_DEP_2) | instskip(NEXT) | instid1(VALU_DEP_2)
	v_add_f32_e32 v22, v17, v190
	v_add_f32_e32 v18, v13, v181
	ds_load_2addr_b64 v[13:16], v131 offset0:99 offset1:100
	s_wait_loadcnt_dscnt 0x101
	v_mul_f32_e32 v134, v3, v12
	v_mul_f32_e32 v132, v1, v10
	;; [unrolled: 1-line block ×4, first 2 shown]
	v_add_f32_e32 v22, v22, v192
	v_fmac_f32_e32 v134, v4, v11
	v_add_f32_e32 v18, v18, v183
	v_fmac_f32_e32 v132, v2, v9
	v_fma_f32 v135, v1, v9, -v10
	v_fma_f32 v136, v3, v11, -v12
	scratch_load_b128 v[1:4], off, off offset:376
	v_add_f32_e32 v18, v18, v185
	scratch_load_b128 v[9:12], off, off offset:392
	v_add_f32_e32 v22, v22, v194
	s_wait_loadcnt_dscnt 0x200
	v_mul_f32_e32 v137, v13, v6
	v_mul_f32_e32 v6, v14, v6
	;; [unrolled: 1-line block ×3, first 2 shown]
	s_delay_alu instid0(VALU_DEP_3) | instskip(NEXT) | instid1(VALU_DEP_3)
	v_dual_mul_f32 v8, v16, v8 :: v_dual_fmac_f32 v137, v14, v5
	v_fma_f32 v139, v13, v5, -v6
	s_delay_alu instid0(VALU_DEP_3) | instskip(NEXT) | instid1(VALU_DEP_3)
	v_fmac_f32_e32 v138, v16, v7
	v_fma_f32 v140, v15, v7, -v8
	ds_load_2addr_b64 v[5:8], v131 offset0:101 offset1:102
	v_add_f32_e32 v21, v18, v187
	scratch_load_b128 v[17:20], off, off offset:408
	v_add_f32_e32 v21, v21, v189
	s_delay_alu instid0(VALU_DEP_1) | instskip(NEXT) | instid1(VALU_DEP_1)
	v_add_f32_e32 v21, v21, v191
	v_add_f32_e32 v13, v21, v193
	s_delay_alu instid0(VALU_DEP_1) | instskip(NEXT) | instid1(VALU_DEP_1)
	v_dual_add_f32 v21, v22, v196 :: v_dual_add_f32 v22, v13, v195
	v_add_f32_e32 v141, v21, v198
	ds_load_2addr_b64 v[13:16], v131 offset0:103 offset1:104
	v_add_f32_e32 v144, v22, v197
	ds_load_2addr_b64 v[21:24], v131 offset0:105 offset1:106
	v_add_f32_e32 v131, v141, v200
	s_wait_loadcnt_dscnt 0x202
	v_dual_add_f32 v141, v144, v199 :: v_dual_mul_f32 v144, v5, v2
	s_delay_alu instid0(VALU_DEP_2) | instskip(NEXT) | instid1(VALU_DEP_2)
	v_add_f32_e32 v131, v131, v202
	v_dual_mul_f32 v2, v6, v2 :: v_dual_add_f32 v141, v141, v201
	s_delay_alu instid0(VALU_DEP_2) | instskip(SKIP_2) | instid1(VALU_DEP_4)
	v_dual_fmac_f32 v144, v6, v1 :: v_dual_add_f32 v131, v131, v135
	v_mul_f32_e32 v135, v7, v4
	v_mul_f32_e32 v4, v8, v4
	v_add_f32_e32 v132, v141, v132
	v_fma_f32 v2, v5, v1, -v2
	v_add_f32_e32 v131, v131, v136
	s_wait_loadcnt_dscnt 0x101
	v_mul_f32_e32 v141, v13, v10
	v_mul_f32_e32 v6, v14, v10
	v_add_f32_e32 v132, v132, v134
	v_fmac_f32_e32 v135, v8, v3
	v_add_f32_e32 v131, v131, v139
	v_fma_f32 v3, v7, v3, -v4
	v_mul_f32_e32 v145, v15, v12
	v_dual_mul_f32 v4, v16, v12 :: v_dual_fmac_f32 v141, v14, v9
	s_delay_alu instid0(VALU_DEP_4) | instskip(NEXT) | instid1(VALU_DEP_3)
	v_add_f32_e32 v1, v131, v140
	v_fmac_f32_e32 v145, v16, v11
	s_delay_alu instid0(VALU_DEP_3) | instskip(NEXT) | instid1(VALU_DEP_3)
	v_fma_f32 v4, v15, v11, -v4
	v_add_f32_e32 v1, v1, v2
	s_delay_alu instid0(VALU_DEP_1) | instskip(SKIP_4) | instid1(VALU_DEP_2)
	v_add_f32_e32 v1, v1, v3
	s_wait_loadcnt_dscnt 0x0
	v_mul_f32_e32 v134, v21, v18
	v_dual_add_f32 v132, v132, v137 :: v_dual_mul_f32 v3, v22, v18
	v_mul_f32_e32 v136, v23, v20
	v_dual_fmac_f32 v134, v22, v17 :: v_dual_add_f32 v5, v132, v138
	s_delay_alu instid0(VALU_DEP_3) | instskip(NEXT) | instid1(VALU_DEP_3)
	v_fma_f32 v3, v21, v17, -v3
	v_fmac_f32_e32 v136, v24, v19
	s_delay_alu instid0(VALU_DEP_3) | instskip(SKIP_1) | instid1(VALU_DEP_1)
	v_add_f32_e32 v2, v5, v144
	v_fma_f32 v5, v13, v9, -v6
	v_dual_add_f32 v2, v2, v135 :: v_dual_add_f32 v1, v1, v5
	s_delay_alu instid0(VALU_DEP_1) | instskip(NEXT) | instid1(VALU_DEP_2)
	v_dual_mul_f32 v5, v24, v20 :: v_dual_add_f32 v2, v2, v141
	v_add_f32_e32 v1, v1, v4
	s_delay_alu instid0(VALU_DEP_2) | instskip(NEXT) | instid1(VALU_DEP_2)
	v_fma_f32 v4, v23, v19, -v5
	v_dual_add_f32 v2, v2, v145 :: v_dual_add_f32 v1, v1, v3
	s_delay_alu instid0(VALU_DEP_1) | instskip(NEXT) | instid1(VALU_DEP_1)
	v_dual_add_f32 v2, v2, v134 :: v_dual_add_f32 v1, v1, v4
	v_add_f32_e32 v2, v2, v136
	s_delay_alu instid0(VALU_DEP_1)
	v_dual_sub_f32 v1, v142, v1 :: v_dual_sub_f32 v2, v143, v2
	scratch_store_b64 off, v[1:2], off offset:16
	v_cmpx_lt_u32_e32 1, v0
	s_cbranch_execz .LBB52_329
; %bb.328:
	scratch_load_b64 v[1:2], off, off offset:8
	v_mov_b32_e32 v3, 0
	s_delay_alu instid0(VALU_DEP_1)
	v_mov_b32_e32 v4, v3
	scratch_store_b64 off, v[3:4], off offset:8
	s_wait_loadcnt 0x0
	ds_store_b64 v133, v[1:2]
.LBB52_329:
	s_wait_alu 0xfffe
	s_or_b32 exec_lo, exec_lo, s0
	s_wait_storecnt_dscnt 0x0
	s_barrier_signal -1
	s_barrier_wait -1
	global_inv scope:SCOPE_SE
	s_clause 0x4
	scratch_load_b128 v[5:8], off, off offset:16
	scratch_load_b128 v[1:4], off, off offset:32
	;; [unrolled: 1-line block ×5, first 2 shown]
	v_mov_b32_e32 v131, 0
	ds_load_b128 v[21:24], v131 offset:448
	ds_load_b128 v[134:137], v131 offset:464
	;; [unrolled: 1-line block ×3, first 2 shown]
	scratch_load_b64 v[142:143], off, off offset:8
	s_mov_b32 s0, exec_lo
	s_wait_loadcnt_dscnt 0x502
	v_mul_f32_e32 v132, v21, v6
	v_mul_f32_e32 v144, v23, v8
	s_wait_loadcnt_dscnt 0x300
	v_dual_mul_f32 v8, v24, v8 :: v_dual_mul_f32 v145, v138, v10
	v_mul_f32_e32 v6, v22, v6
	v_fmac_f32_e32 v132, v22, v5
	v_mul_f32_e32 v10, v139, v10
	s_delay_alu instid0(VALU_DEP_4) | instskip(SKIP_2) | instid1(VALU_DEP_2)
	v_fma_f32 v22, v23, v7, -v8
	v_dual_mul_f32 v23, v134, v2 :: v_dual_fmac_f32 v144, v24, v7
	v_dual_fmac_f32 v145, v139, v9 :: v_dual_mul_f32 v24, v136, v4
	v_dual_mul_f32 v4, v137, v4 :: v_dual_fmac_f32 v23, v135, v1
	v_fma_f32 v21, v21, v5, -v6
	ds_load_b128 v[5:8], v131 offset:496
	v_mul_f32_e32 v146, v140, v12
	v_mul_f32_e32 v12, v141, v12
	;; [unrolled: 1-line block ×3, first 2 shown]
	v_fmac_f32_e32 v24, v137, v3
	v_fma_f32 v135, v136, v3, -v4
	v_fma_f32 v136, v138, v9, -v10
	v_fmac_f32_e32 v146, v141, v11
	v_fma_f32 v137, v140, v11, -v12
	ds_load_b128 v[9:12], v131 offset:512
	s_wait_loadcnt_dscnt 0x201
	v_dual_mul_f32 v139, v7, v16 :: v_dual_mul_f32 v138, v5, v14
	v_mul_f32_e32 v14, v6, v14
	v_mul_f32_e32 v16, v8, v16
	s_delay_alu instid0(VALU_DEP_3)
	v_fmac_f32_e32 v139, v8, v15
	v_fma_f32 v134, v134, v1, -v2
	scratch_load_b128 v[1:4], off, off offset:96
	v_fmac_f32_e32 v138, v6, v13
	v_fma_f32 v13, v5, v13, -v14
	v_fma_f32 v14, v7, v15, -v16
	s_wait_loadcnt_dscnt 0x200
	v_mul_f32_e32 v15, v9, v18
	v_mul_f32_e32 v16, v10, v18
	;; [unrolled: 1-line block ×4, first 2 shown]
	ds_load_b128 v[5:8], v131 offset:528
	v_fmac_f32_e32 v15, v10, v17
	v_fma_f32 v16, v9, v17, -v16
	v_fmac_f32_e32 v18, v12, v19
	v_fma_f32 v17, v11, v19, -v20
	scratch_load_b128 v[9:12], off, off offset:112
	s_wait_loadcnt_dscnt 0x100
	v_mul_f32_e32 v19, v5, v2
	v_mul_f32_e32 v2, v6, v2
	v_mul_f32_e32 v20, v7, v4
	s_delay_alu instid0(VALU_DEP_3) | instskip(NEXT) | instid1(VALU_DEP_3)
	v_dual_mul_f32 v4, v8, v4 :: v_dual_fmac_f32 v19, v6, v1
	v_fma_f32 v140, v5, v1, -v2
	s_delay_alu instid0(VALU_DEP_3) | instskip(NEXT) | instid1(VALU_DEP_3)
	v_fmac_f32_e32 v20, v8, v3
	v_fma_f32 v141, v7, v3, -v4
	ds_load_b128 v[1:4], v131 offset:544
	ds_load_b128 v[5:8], v131 offset:560
	s_wait_loadcnt_dscnt 0x1
	v_mul_f32_e32 v147, v1, v10
	v_mul_f32_e32 v10, v2, v10
	s_delay_alu instid0(VALU_DEP_2) | instskip(NEXT) | instid1(VALU_DEP_2)
	v_dual_mul_f32 v148, v3, v12 :: v_dual_fmac_f32 v147, v2, v9
	v_fma_f32 v149, v1, v9, -v10
	v_mul_f32_e32 v1, v4, v12
	s_delay_alu instid0(VALU_DEP_3) | instskip(NEXT) | instid1(VALU_DEP_2)
	v_fmac_f32_e32 v148, v4, v11
	v_fma_f32 v150, v3, v11, -v1
	s_clause 0x1
	scratch_load_b128 v[1:4], off, off offset:128
	scratch_load_b128 v[9:12], off, off offset:144
	s_wait_loadcnt_dscnt 0x100
	v_mul_f32_e32 v151, v5, v2
	v_dual_mul_f32 v2, v6, v2 :: v_dual_mul_f32 v153, v7, v4
	s_delay_alu instid0(VALU_DEP_2) | instskip(NEXT) | instid1(VALU_DEP_2)
	v_fmac_f32_e32 v151, v6, v1
	v_fma_f32 v152, v5, v1, -v2
	v_mul_f32_e32 v1, v8, v4
	s_delay_alu instid0(VALU_DEP_4) | instskip(NEXT) | instid1(VALU_DEP_2)
	v_fmac_f32_e32 v153, v8, v3
	v_fma_f32 v154, v7, v3, -v1
	ds_load_b128 v[1:4], v131 offset:576
	ds_load_b128 v[5:8], v131 offset:592
	s_wait_loadcnt_dscnt 0x1
	v_mul_f32_e32 v155, v1, v10
	v_mul_f32_e32 v157, v3, v12
	s_delay_alu instid0(VALU_DEP_2) | instskip(NEXT) | instid1(VALU_DEP_2)
	v_fmac_f32_e32 v155, v2, v9
	v_dual_mul_f32 v2, v2, v10 :: v_dual_fmac_f32 v157, v4, v11
	s_delay_alu instid0(VALU_DEP_1) | instskip(SKIP_1) | instid1(VALU_DEP_1)
	v_fma_f32 v156, v1, v9, -v2
	v_mul_f32_e32 v1, v4, v12
	v_fma_f32 v158, v3, v11, -v1
	s_clause 0x1
	scratch_load_b128 v[1:4], off, off offset:160
	scratch_load_b128 v[9:12], off, off offset:176
	s_wait_loadcnt_dscnt 0x100
	v_mul_f32_e32 v159, v5, v2
	v_dual_mul_f32 v2, v6, v2 :: v_dual_mul_f32 v161, v7, v4
	s_delay_alu instid0(VALU_DEP_2) | instskip(NEXT) | instid1(VALU_DEP_2)
	v_fmac_f32_e32 v159, v6, v1
	v_fma_f32 v160, v5, v1, -v2
	v_mul_f32_e32 v1, v8, v4
	s_delay_alu instid0(VALU_DEP_4) | instskip(NEXT) | instid1(VALU_DEP_2)
	v_fmac_f32_e32 v161, v8, v3
	v_fma_f32 v162, v7, v3, -v1
	ds_load_b128 v[1:4], v131 offset:608
	ds_load_b128 v[5:8], v131 offset:624
	s_wait_loadcnt_dscnt 0x1
	v_mul_f32_e32 v163, v1, v10
	v_mul_f32_e32 v165, v3, v12
	s_delay_alu instid0(VALU_DEP_2) | instskip(NEXT) | instid1(VALU_DEP_2)
	v_fmac_f32_e32 v163, v2, v9
	v_dual_mul_f32 v2, v2, v10 :: v_dual_fmac_f32 v165, v4, v11
	s_delay_alu instid0(VALU_DEP_1) | instskip(SKIP_1) | instid1(VALU_DEP_1)
	v_fma_f32 v164, v1, v9, -v2
	v_mul_f32_e32 v1, v4, v12
	;; [unrolled: 25-line block ×6, first 2 shown]
	v_fma_f32 v198, v3, v11, -v1
	s_clause 0x1
	scratch_load_b128 v[1:4], off, off offset:320
	scratch_load_b128 v[9:12], off, off offset:336
	s_wait_loadcnt_dscnt 0x100
	v_mul_f32_e32 v199, v5, v2
	v_mul_f32_e32 v2, v6, v2
	s_delay_alu instid0(VALU_DEP_2) | instskip(NEXT) | instid1(VALU_DEP_2)
	v_fmac_f32_e32 v199, v6, v1
	v_fma_f32 v200, v5, v1, -v2
	v_add_f32_e32 v2, 0, v132
	s_delay_alu instid0(VALU_DEP_1) | instskip(NEXT) | instid1(VALU_DEP_1)
	v_add_f32_e32 v2, v2, v144
	v_add_f32_e32 v2, v2, v23
	s_delay_alu instid0(VALU_DEP_1) | instskip(NEXT) | instid1(VALU_DEP_1)
	v_add_f32_e32 v2, v2, v24
	;; [unrolled: 3-line block ×3, first 2 shown]
	v_dual_add_f32 v2, v2, v138 :: v_dual_mul_f32 v1, v8, v4
	s_delay_alu instid0(VALU_DEP_1) | instskip(NEXT) | instid1(VALU_DEP_2)
	v_add_f32_e32 v2, v2, v139
	v_fma_f32 v202, v7, v3, -v1
	s_delay_alu instid0(VALU_DEP_2) | instskip(NEXT) | instid1(VALU_DEP_1)
	v_dual_add_f32 v1, 0, v21 :: v_dual_add_f32 v2, v2, v15
	v_add_f32_e32 v1, v1, v22
	s_delay_alu instid0(VALU_DEP_2) | instskip(NEXT) | instid1(VALU_DEP_1)
	v_add_f32_e32 v2, v2, v18
	v_dual_add_f32 v1, v1, v134 :: v_dual_add_f32 v2, v2, v19
	s_delay_alu instid0(VALU_DEP_1) | instskip(SKIP_2) | instid1(VALU_DEP_1)
	v_dual_add_f32 v2, v2, v20 :: v_dual_add_f32 v1, v1, v135
	scratch_load_b64 v[134:135], off, off offset:416
	v_dual_add_f32 v2, v2, v147 :: v_dual_add_f32 v1, v1, v136
	v_dual_add_f32 v2, v2, v148 :: v_dual_add_f32 v1, v1, v137
	s_delay_alu instid0(VALU_DEP_1) | instskip(NEXT) | instid1(VALU_DEP_1)
	v_dual_add_f32 v2, v2, v151 :: v_dual_add_f32 v1, v1, v13
	v_dual_add_f32 v2, v2, v153 :: v_dual_add_f32 v1, v1, v14
	s_delay_alu instid0(VALU_DEP_1) | instskip(NEXT) | instid1(VALU_DEP_1)
	v_dual_add_f32 v2, v2, v155 :: v_dual_add_f32 v1, v1, v16
	v_add_f32_e32 v2, v2, v157
	s_delay_alu instid0(VALU_DEP_1) | instskip(NEXT) | instid1(VALU_DEP_1)
	v_dual_add_f32 v1, v1, v17 :: v_dual_add_f32 v2, v2, v159
	v_dual_add_f32 v1, v1, v140 :: v_dual_add_f32 v2, v2, v161
	s_delay_alu instid0(VALU_DEP_1) | instskip(NEXT) | instid1(VALU_DEP_1)
	v_dual_add_f32 v1, v1, v141 :: v_dual_add_f32 v2, v2, v163
	v_add_f32_e32 v1, v1, v149
	s_delay_alu instid0(VALU_DEP_1) | instskip(NEXT) | instid1(VALU_DEP_1)
	v_dual_add_f32 v2, v2, v165 :: v_dual_add_f32 v1, v1, v150
	v_add_f32_e32 v1, v1, v152
	s_delay_alu instid0(VALU_DEP_1) | instskip(NEXT) | instid1(VALU_DEP_1)
	v_add_f32_e32 v1, v1, v154
	v_add_f32_e32 v1, v1, v156
	s_delay_alu instid0(VALU_DEP_1) | instskip(NEXT) | instid1(VALU_DEP_1)
	v_add_f32_e32 v1, v1, v158
	;; [unrolled: 3-line block ×6, first 2 shown]
	v_add_f32_e32 v6, v1, v176
	v_dual_add_f32 v2, v2, v167 :: v_dual_mul_f32 v201, v7, v4
	s_delay_alu instid0(VALU_DEP_2) | instskip(NEXT) | instid1(VALU_DEP_2)
	v_add_f32_e32 v14, v6, v178
	v_dual_add_f32 v2, v2, v169 :: v_dual_fmac_f32 v201, v8, v3
	s_delay_alu instid0(VALU_DEP_2) | instskip(NEXT) | instid1(VALU_DEP_2)
	v_add_f32_e32 v14, v14, v180
	v_add_f32_e32 v2, v2, v171
	s_delay_alu instid0(VALU_DEP_2) | instskip(NEXT) | instid1(VALU_DEP_2)
	v_add_f32_e32 v17, v14, v182
	v_add_f32_e32 v5, v2, v173
	scratch_load_b128 v[1:4], off, off offset:352
	v_add_f32_e32 v17, v17, v184
	v_add_f32_e32 v13, v5, v175
	ds_load_b128 v[5:8], v131 offset:768
	v_add_f32_e32 v17, v17, v186
	v_add_f32_e32 v13, v13, v177
	s_delay_alu instid0(VALU_DEP_2) | instskip(NEXT) | instid1(VALU_DEP_2)
	v_add_f32_e32 v17, v17, v188
	v_add_f32_e32 v13, v13, v179
	s_delay_alu instid0(VALU_DEP_2) | instskip(NEXT) | instid1(VALU_DEP_2)
	v_add_f32_e32 v22, v17, v190
	v_add_f32_e32 v18, v13, v181
	ds_load_b128 v[13:16], v131 offset:784
	v_add_f32_e32 v22, v22, v192
	s_wait_loadcnt_dscnt 0x201
	v_mul_f32_e32 v132, v5, v10
	v_mul_f32_e32 v10, v6, v10
	;; [unrolled: 1-line block ×4, first 2 shown]
	v_add_f32_e32 v22, v22, v194
	v_fmac_f32_e32 v132, v6, v9
	v_fma_f32 v139, v5, v9, -v10
	v_fmac_f32_e32 v138, v8, v11
	v_fma_f32 v140, v7, v11, -v12
	scratch_load_b128 v[5:8], off, off offset:368
	v_add_f32_e32 v18, v18, v183
	scratch_load_b128 v[9:12], off, off offset:384
	v_add_f32_e32 v22, v22, v196
	v_add_f32_e32 v18, v18, v185
	s_delay_alu instid0(VALU_DEP_1) | instskip(SKIP_3) | instid1(VALU_DEP_1)
	v_add_f32_e32 v21, v18, v187
	scratch_load_b128 v[17:20], off, off offset:400
	s_wait_loadcnt_dscnt 0x300
	v_dual_add_f32 v21, v21, v189 :: v_dual_mul_f32 v144, v15, v4
	v_add_f32_e32 v21, v21, v191
	v_mul_f32_e32 v141, v13, v2
	v_mul_f32_e32 v2, v14, v2
	;; [unrolled: 1-line block ×3, first 2 shown]
	s_delay_alu instid0(VALU_DEP_4) | instskip(NEXT) | instid1(VALU_DEP_4)
	v_dual_fmac_f32 v144, v16, v3 :: v_dual_add_f32 v21, v21, v193
	v_fmac_f32_e32 v141, v14, v1
	s_delay_alu instid0(VALU_DEP_4)
	v_fma_f32 v145, v13, v1, -v2
	v_add_f32_e32 v14, v22, v198
	v_fma_f32 v146, v15, v3, -v4
	v_add_f32_e32 v13, v21, v195
	ds_load_b128 v[1:4], v131 offset:800
	v_dual_add_f32 v136, v14, v200 :: v_dual_add_f32 v21, v13, v197
	ds_load_b128 v[13:16], v131 offset:816
	v_add_f32_e32 v147, v136, v202
	v_add_f32_e32 v137, v21, v199
	ds_load_b128 v[21:24], v131 offset:832
	v_dual_add_f32 v139, v147, v139 :: v_dual_add_f32 v148, v137, v201
	ds_load_b64 v[136:137], v131 offset:848
	v_add_f32_e32 v139, v139, v140
	s_wait_loadcnt_dscnt 0x203
	v_dual_add_f32 v132, v148, v132 :: v_dual_mul_f32 v147, v1, v6
	v_mul_f32_e32 v6, v2, v6
	s_delay_alu instid0(VALU_DEP_2) | instskip(SKIP_2) | instid1(VALU_DEP_4)
	v_dual_add_f32 v132, v132, v138 :: v_dual_add_f32 v139, v139, v145
	v_mul_f32_e32 v138, v3, v8
	v_mul_f32_e32 v8, v4, v8
	v_fma_f32 v1, v1, v5, -v6
	s_delay_alu instid0(VALU_DEP_4) | instskip(SKIP_3) | instid1(VALU_DEP_3)
	v_dual_add_f32 v132, v132, v141 :: v_dual_add_f32 v139, v139, v146
	s_wait_loadcnt_dscnt 0x102
	v_dual_fmac_f32 v147, v2, v5 :: v_dual_mul_f32 v140, v13, v10
	v_fmac_f32_e32 v138, v4, v7
	v_add_f32_e32 v132, v132, v144
	v_fma_f32 v2, v3, v7, -v8
	v_mul_f32_e32 v3, v14, v10
	v_add_f32_e32 v1, v139, v1
	s_delay_alu instid0(VALU_DEP_4) | instskip(SKIP_1) | instid1(VALU_DEP_4)
	v_dual_mul_f32 v141, v15, v12 :: v_dual_add_f32 v4, v132, v147
	v_dual_mul_f32 v5, v16, v12 :: v_dual_fmac_f32 v140, v14, v9
	v_fma_f32 v3, v13, v9, -v3
	s_delay_alu instid0(VALU_DEP_4) | instskip(NEXT) | instid1(VALU_DEP_4)
	v_add_f32_e32 v1, v1, v2
	v_add_f32_e32 v2, v4, v138
	s_wait_loadcnt_dscnt 0x1
	v_mul_f32_e32 v145, v21, v18
	v_dual_mul_f32 v4, v22, v18 :: v_dual_fmac_f32 v141, v16, v11
	v_fma_f32 v5, v15, v11, -v5
	v_dual_add_f32 v1, v1, v3 :: v_dual_add_f32 v2, v2, v140
	v_mul_f32_e32 v146, v23, v20
	v_mul_f32_e32 v3, v24, v20
	v_fmac_f32_e32 v145, v22, v17
	v_fma_f32 v4, v21, v17, -v4
	v_add_f32_e32 v1, v1, v5
	v_add_f32_e32 v2, v2, v141
	s_wait_dscnt 0x0
	v_mul_f32_e32 v144, v136, v135
	v_mul_f32_e32 v5, v137, v135
	v_fmac_f32_e32 v146, v24, v19
	v_fma_f32 v3, v23, v19, -v3
	v_dual_add_f32 v1, v1, v4 :: v_dual_add_f32 v2, v2, v145
	v_fmac_f32_e32 v144, v137, v134
	v_fma_f32 v4, v136, v134, -v5
	s_delay_alu instid0(VALU_DEP_3) | instskip(NEXT) | instid1(VALU_DEP_1)
	v_dual_add_f32 v1, v1, v3 :: v_dual_add_f32 v2, v2, v146
	v_add_f32_e32 v1, v1, v4
	s_delay_alu instid0(VALU_DEP_2) | instskip(NEXT) | instid1(VALU_DEP_1)
	v_add_f32_e32 v2, v2, v144
	v_dual_sub_f32 v1, v142, v1 :: v_dual_sub_f32 v2, v143, v2
	scratch_store_b64 off, v[1:2], off offset:8
	v_cmpx_ne_u32_e32 0, v0
	s_cbranch_execz .LBB52_331
; %bb.330:
	scratch_load_b64 v[0:1], off, off
	v_mov_b32_e32 v132, v131
	scratch_store_b64 off, v[131:132], off
	s_wait_loadcnt 0x0
	ds_store_b64 v133, v[0:1]
.LBB52_331:
	s_wait_alu 0xfffe
	s_or_b32 exec_lo, exec_lo, s0
	s_wait_storecnt_dscnt 0x0
	s_barrier_signal -1
	s_barrier_wait -1
	global_inv scope:SCOPE_SE
	s_clause 0x6
	scratch_load_b128 v[0:3], off, off offset:8
	scratch_load_b128 v[4:7], off, off offset:24
	;; [unrolled: 1-line block ×7, first 2 shown]
	ds_load_2addr_b64 v[136:139], v131 offset0:55 offset1:56
	ds_load_2addr_b64 v[140:143], v131 offset0:57 offset1:58
	scratch_load_b64 v[144:145], off, off
	s_and_b32 vcc_lo, exec_lo, s18
	s_wait_loadcnt_dscnt 0x701
	v_mul_f32_e32 v24, v136, v1
	v_dual_mul_f32 v146, v138, v3 :: v_dual_mul_f32 v1, v137, v1
	s_delay_alu instid0(VALU_DEP_2) | instskip(NEXT) | instid1(VALU_DEP_2)
	v_dual_mul_f32 v3, v139, v3 :: v_dual_fmac_f32 v24, v137, v0
	v_fmac_f32_e32 v146, v139, v2
	s_delay_alu instid0(VALU_DEP_3) | instskip(NEXT) | instid1(VALU_DEP_3)
	v_fma_f32 v136, v136, v0, -v1
	v_fma_f32 v137, v138, v2, -v3
	ds_load_2addr_b64 v[0:3], v131 offset0:59 offset1:60
	s_wait_loadcnt_dscnt 0x601
	v_dual_mul_f32 v138, v140, v5 :: v_dual_mul_f32 v139, v142, v7
	v_mul_f32_e32 v5, v141, v5
	s_delay_alu instid0(VALU_DEP_2) | instskip(NEXT) | instid1(VALU_DEP_3)
	v_dual_mul_f32 v7, v143, v7 :: v_dual_fmac_f32 v138, v141, v4
	v_fmac_f32_e32 v139, v143, v6
	s_delay_alu instid0(VALU_DEP_3) | instskip(NEXT) | instid1(VALU_DEP_3)
	v_fma_f32 v140, v140, v4, -v5
	v_fma_f32 v141, v142, v6, -v7
	ds_load_2addr_b64 v[4:7], v131 offset0:61 offset1:62
	s_wait_loadcnt_dscnt 0x501
	v_dual_mul_f32 v142, v0, v9 :: v_dual_mul_f32 v143, v2, v11
	v_mul_f32_e32 v9, v1, v9
	s_delay_alu instid0(VALU_DEP_2) | instskip(NEXT) | instid1(VALU_DEP_3)
	v_dual_mul_f32 v11, v3, v11 :: v_dual_fmac_f32 v142, v1, v8
	v_fmac_f32_e32 v143, v3, v10
	s_delay_alu instid0(VALU_DEP_3) | instskip(NEXT) | instid1(VALU_DEP_3)
	v_fma_f32 v147, v0, v8, -v9
	v_fma_f32 v148, v2, v10, -v11
	ds_load_2addr_b64 v[0:3], v131 offset0:63 offset1:64
	s_wait_loadcnt_dscnt 0x401
	v_mul_f32_e32 v149, v4, v13
	v_dual_mul_f32 v8, v5, v13 :: v_dual_mul_f32 v13, v6, v15
	v_mul_f32_e32 v9, v7, v15
	s_delay_alu instid0(VALU_DEP_3) | instskip(NEXT) | instid1(VALU_DEP_3)
	v_fmac_f32_e32 v149, v5, v12
	v_fma_f32 v12, v4, v12, -v8
	s_delay_alu instid0(VALU_DEP_4) | instskip(NEXT) | instid1(VALU_DEP_4)
	v_fmac_f32_e32 v13, v7, v14
	v_fma_f32 v14, v6, v14, -v9
	ds_load_2addr_b64 v[4:7], v131 offset0:65 offset1:66
	s_wait_loadcnt_dscnt 0x301
	v_mul_f32_e32 v15, v0, v17
	v_dual_mul_f32 v8, v1, v17 :: v_dual_mul_f32 v17, v2, v19
	v_mul_f32_e32 v9, v3, v19
	s_delay_alu instid0(VALU_DEP_3) | instskip(NEXT) | instid1(VALU_DEP_3)
	v_fmac_f32_e32 v15, v1, v16
	v_fma_f32 v16, v0, v16, -v8
	s_delay_alu instid0(VALU_DEP_4) | instskip(NEXT) | instid1(VALU_DEP_4)
	v_fmac_f32_e32 v17, v3, v18
	;; [unrolled: 11-line block ×4, first 2 shown]
	v_fma_f32 v134, v2, v134, -v9
	s_clause 0x1
	scratch_load_b128 v[0:3], off, off offset:120
	scratch_load_b128 v[8:11], off, off offset:136
	s_wait_loadcnt_dscnt 0x100
	v_mul_f32_e32 v135, v4, v1
	v_mul_f32_e32 v1, v5, v1
	;; [unrolled: 1-line block ×3, first 2 shown]
	s_delay_alu instid0(VALU_DEP_3) | instskip(NEXT) | instid1(VALU_DEP_3)
	v_fmac_f32_e32 v135, v5, v0
	v_fma_f32 v150, v4, v0, -v1
	v_mul_f32_e32 v0, v7, v3
	s_delay_alu instid0(VALU_DEP_4) | instskip(NEXT) | instid1(VALU_DEP_2)
	v_fmac_f32_e32 v151, v7, v2
	v_fma_f32 v152, v6, v2, -v0
	ds_load_2addr_b64 v[0:3], v131 offset0:71 offset1:72
	ds_load_2addr_b64 v[4:7], v131 offset0:73 offset1:74
	s_wait_loadcnt_dscnt 0x1
	v_mul_f32_e32 v153, v0, v9
	v_mul_f32_e32 v155, v2, v11
	s_delay_alu instid0(VALU_DEP_2) | instskip(SKIP_1) | instid1(VALU_DEP_3)
	v_fmac_f32_e32 v153, v1, v8
	v_mul_f32_e32 v1, v1, v9
	v_fmac_f32_e32 v155, v3, v10
	s_delay_alu instid0(VALU_DEP_2) | instskip(SKIP_1) | instid1(VALU_DEP_1)
	v_fma_f32 v154, v0, v8, -v1
	v_mul_f32_e32 v0, v3, v11
	v_fma_f32 v156, v2, v10, -v0
	s_clause 0x1
	scratch_load_b128 v[0:3], off, off offset:152
	scratch_load_b128 v[8:11], off, off offset:168
	s_wait_loadcnt_dscnt 0x100
	v_mul_f32_e32 v157, v4, v1
	v_mul_f32_e32 v1, v5, v1
	;; [unrolled: 1-line block ×3, first 2 shown]
	s_delay_alu instid0(VALU_DEP_3) | instskip(NEXT) | instid1(VALU_DEP_3)
	v_fmac_f32_e32 v157, v5, v0
	v_fma_f32 v158, v4, v0, -v1
	v_mul_f32_e32 v0, v7, v3
	s_delay_alu instid0(VALU_DEP_1)
	v_fma_f32 v160, v6, v2, -v0
	v_fmac_f32_e32 v159, v7, v2
	ds_load_2addr_b64 v[0:3], v131 offset0:75 offset1:76
	ds_load_2addr_b64 v[4:7], v131 offset0:77 offset1:78
	s_wait_loadcnt_dscnt 0x1
	v_mul_f32_e32 v161, v0, v9
	s_delay_alu instid0(VALU_DEP_1) | instskip(SKIP_1) | instid1(VALU_DEP_1)
	v_fmac_f32_e32 v161, v1, v8
	v_mul_f32_e32 v1, v1, v9
	v_fma_f32 v162, v0, v8, -v1
	v_mul_f32_e32 v0, v3, v11
	s_delay_alu instid0(VALU_DEP_1) | instskip(SKIP_1) | instid1(VALU_DEP_1)
	v_fma_f32 v164, v2, v10, -v0
	v_mul_f32_e32 v163, v2, v11
	v_fmac_f32_e32 v163, v3, v10
	s_clause 0x1
	scratch_load_b128 v[0:3], off, off offset:184
	scratch_load_b128 v[8:11], off, off offset:200
	s_wait_loadcnt_dscnt 0x100
	v_mul_f32_e32 v165, v4, v1
	v_mul_f32_e32 v1, v5, v1
	;; [unrolled: 1-line block ×3, first 2 shown]
	s_delay_alu instid0(VALU_DEP_2) | instskip(NEXT) | instid1(VALU_DEP_4)
	v_fma_f32 v166, v4, v0, -v1
	v_dual_fmac_f32 v165, v5, v0 :: v_dual_mul_f32 v0, v7, v3
	s_delay_alu instid0(VALU_DEP_3) | instskip(NEXT) | instid1(VALU_DEP_2)
	v_fmac_f32_e32 v167, v7, v2
	v_fma_f32 v168, v6, v2, -v0
	ds_load_2addr_b64 v[0:3], v131 offset0:79 offset1:80
	ds_load_2addr_b64 v[4:7], v131 offset0:81 offset1:82
	s_wait_loadcnt_dscnt 0x1
	v_mul_f32_e32 v169, v0, v9
	v_mul_f32_e32 v171, v2, v11
	s_delay_alu instid0(VALU_DEP_2) | instskip(SKIP_1) | instid1(VALU_DEP_3)
	v_fmac_f32_e32 v169, v1, v8
	v_mul_f32_e32 v1, v1, v9
	v_fmac_f32_e32 v171, v3, v10
	s_delay_alu instid0(VALU_DEP_2) | instskip(SKIP_1) | instid1(VALU_DEP_1)
	v_fma_f32 v170, v0, v8, -v1
	v_mul_f32_e32 v0, v3, v11
	v_fma_f32 v172, v2, v10, -v0
	s_clause 0x1
	scratch_load_b128 v[0:3], off, off offset:216
	scratch_load_b128 v[8:11], off, off offset:232
	s_wait_loadcnt_dscnt 0x100
	v_mul_f32_e32 v173, v4, v1
	v_mul_f32_e32 v1, v5, v1
	v_mul_f32_e32 v175, v6, v3
	s_delay_alu instid0(VALU_DEP_3) | instskip(NEXT) | instid1(VALU_DEP_3)
	v_fmac_f32_e32 v173, v5, v0
	v_fma_f32 v174, v4, v0, -v1
	v_mul_f32_e32 v0, v7, v3
	s_delay_alu instid0(VALU_DEP_4) | instskip(NEXT) | instid1(VALU_DEP_2)
	v_fmac_f32_e32 v175, v7, v2
	v_fma_f32 v176, v6, v2, -v0
	ds_load_2addr_b64 v[0:3], v131 offset0:83 offset1:84
	ds_load_2addr_b64 v[4:7], v131 offset0:85 offset1:86
	s_wait_loadcnt_dscnt 0x1
	v_mul_f32_e32 v177, v0, v9
	v_mul_f32_e32 v179, v2, v11
	s_delay_alu instid0(VALU_DEP_2) | instskip(SKIP_1) | instid1(VALU_DEP_3)
	v_fmac_f32_e32 v177, v1, v8
	v_mul_f32_e32 v1, v1, v9
	v_fmac_f32_e32 v179, v3, v10
	s_delay_alu instid0(VALU_DEP_2) | instskip(SKIP_1) | instid1(VALU_DEP_1)
	v_fma_f32 v178, v0, v8, -v1
	v_mul_f32_e32 v0, v3, v11
	v_fma_f32 v180, v2, v10, -v0
	s_clause 0x1
	scratch_load_b128 v[0:3], off, off offset:248
	scratch_load_b128 v[8:11], off, off offset:264
	s_wait_loadcnt_dscnt 0x100
	v_mul_f32_e32 v181, v4, v1
	v_mul_f32_e32 v1, v5, v1
	v_mul_f32_e32 v183, v6, v3
	s_delay_alu instid0(VALU_DEP_3) | instskip(NEXT) | instid1(VALU_DEP_3)
	v_fmac_f32_e32 v181, v5, v0
	v_fma_f32 v182, v4, v0, -v1
	v_mul_f32_e32 v0, v7, v3
	s_delay_alu instid0(VALU_DEP_4) | instskip(NEXT) | instid1(VALU_DEP_2)
	;; [unrolled: 27-line block ×3, first 2 shown]
	v_fmac_f32_e32 v191, v7, v2
	v_fma_f32 v192, v6, v2, -v0
	ds_load_2addr_b64 v[0:3], v131 offset0:91 offset1:92
	ds_load_2addr_b64 v[4:7], v131 offset0:93 offset1:94
	s_wait_loadcnt_dscnt 0x1
	v_mul_f32_e32 v193, v0, v9
	v_mul_f32_e32 v195, v2, v11
	s_delay_alu instid0(VALU_DEP_2) | instskip(SKIP_1) | instid1(VALU_DEP_3)
	v_fmac_f32_e32 v193, v1, v8
	v_mul_f32_e32 v1, v1, v9
	v_fmac_f32_e32 v195, v3, v10
	s_delay_alu instid0(VALU_DEP_2) | instskip(SKIP_1) | instid1(VALU_DEP_1)
	v_fma_f32 v194, v0, v8, -v1
	v_mul_f32_e32 v0, v3, v11
	v_fma_f32 v196, v2, v10, -v0
	s_clause 0x1
	scratch_load_b128 v[0:3], off, off offset:312
	scratch_load_b128 v[8:11], off, off offset:328
	s_wait_loadcnt_dscnt 0x100
	v_mul_f32_e32 v197, v4, v1
	v_mul_f32_e32 v1, v5, v1
	;; [unrolled: 1-line block ×3, first 2 shown]
	s_delay_alu instid0(VALU_DEP_3) | instskip(NEXT) | instid1(VALU_DEP_3)
	v_fmac_f32_e32 v197, v5, v0
	v_fma_f32 v198, v4, v0, -v1
	v_dual_mul_f32 v0, v7, v3 :: v_dual_add_f32 v1, 0, v24
	s_delay_alu instid0(VALU_DEP_4) | instskip(NEXT) | instid1(VALU_DEP_2)
	v_fmac_f32_e32 v199, v7, v2
	v_fma_f32 v200, v6, v2, -v0
	s_delay_alu instid0(VALU_DEP_3) | instskip(NEXT) | instid1(VALU_DEP_1)
	v_dual_add_f32 v0, 0, v136 :: v_dual_add_f32 v1, v1, v146
	v_dual_add_f32 v0, v0, v137 :: v_dual_add_f32 v1, v1, v138
	s_delay_alu instid0(VALU_DEP_1) | instskip(NEXT) | instid1(VALU_DEP_1)
	v_dual_add_f32 v0, v0, v140 :: v_dual_add_f32 v1, v1, v139
	v_dual_add_f32 v0, v0, v141 :: v_dual_add_f32 v1, v1, v142
	s_delay_alu instid0(VALU_DEP_1) | instskip(NEXT) | instid1(VALU_DEP_1)
	v_add_f32_e32 v0, v0, v147
	v_dual_add_f32 v1, v1, v143 :: v_dual_add_f32 v0, v0, v148
	s_delay_alu instid0(VALU_DEP_1) | instskip(NEXT) | instid1(VALU_DEP_1)
	v_dual_add_f32 v1, v1, v149 :: v_dual_add_f32 v0, v0, v12
	v_dual_add_f32 v1, v1, v13 :: v_dual_add_f32 v0, v0, v14
	s_delay_alu instid0(VALU_DEP_1) | instskip(NEXT) | instid1(VALU_DEP_1)
	v_dual_add_f32 v1, v1, v15 :: v_dual_add_f32 v0, v0, v16
	;; [unrolled: 3-line block ×8, first 2 shown]
	v_add_f32_e32 v0, v0, v164
	s_delay_alu instid0(VALU_DEP_1) | instskip(NEXT) | instid1(VALU_DEP_1)
	v_add_f32_e32 v0, v0, v166
	v_dual_add_f32 v0, v0, v168 :: v_dual_add_f32 v1, v1, v163
	s_delay_alu instid0(VALU_DEP_1) | instskip(NEXT) | instid1(VALU_DEP_1)
	v_dual_add_f32 v0, v0, v170 :: v_dual_add_f32 v1, v1, v165
	v_add_f32_e32 v4, v0, v172
	s_delay_alu instid0(VALU_DEP_1) | instskip(NEXT) | instid1(VALU_DEP_1)
	v_add_f32_e32 v12, v4, v174
	v_dual_add_f32 v12, v12, v176 :: v_dual_add_f32 v1, v1, v167
	s_delay_alu instid0(VALU_DEP_1) | instskip(NEXT) | instid1(VALU_DEP_1)
	v_dual_add_f32 v12, v12, v178 :: v_dual_add_f32 v1, v1, v169
	v_add_f32_e32 v17, v12, v180
	s_delay_alu instid0(VALU_DEP_2)
	v_add_f32_e32 v5, v1, v171
	ds_load_2addr_b64 v[0:3], v131 offset0:95 offset1:96
	v_add_f32_e32 v17, v17, v182
	v_add_f32_e32 v13, v5, v173
	scratch_load_b128 v[4:7], off, off offset:344
	v_add_f32_e32 v17, v17, v184
	v_add_f32_e32 v13, v13, v175
	s_delay_alu instid0(VALU_DEP_2) | instskip(NEXT) | instid1(VALU_DEP_1)
	v_add_f32_e32 v17, v17, v186
	v_add_f32_e32 v20, v17, v188
	s_delay_alu instid0(VALU_DEP_1) | instskip(NEXT) | instid1(VALU_DEP_4)
	v_add_f32_e32 v132, v20, v190
	v_add_f32_e32 v16, v13, v177
	ds_load_2addr_b64 v[12:15], v131 offset0:97 offset1:98
	s_wait_loadcnt_dscnt 0x101
	v_mul_f32_e32 v24, v0, v9
	v_dual_mul_f32 v9, v1, v9 :: v_dual_mul_f32 v140, v2, v11
	v_dual_mul_f32 v11, v3, v11 :: v_dual_add_f32 v132, v132, v192
	s_delay_alu instid0(VALU_DEP_3) | instskip(NEXT) | instid1(VALU_DEP_3)
	v_fmac_f32_e32 v24, v1, v8
	v_fma_f32 v136, v0, v8, -v9
	s_delay_alu instid0(VALU_DEP_4) | instskip(NEXT) | instid1(VALU_DEP_4)
	v_fmac_f32_e32 v140, v3, v10
	v_fma_f32 v141, v2, v10, -v11
	scratch_load_b128 v[0:3], off, off offset:360
	v_add_f32_e32 v132, v132, v194
	scratch_load_b128 v[8:11], off, off offset:376
	s_wait_loadcnt_dscnt 0x200
	v_mul_f32_e32 v142, v12, v5
	v_mul_f32_e32 v5, v13, v5
	;; [unrolled: 1-line block ×3, first 2 shown]
	s_delay_alu instid0(VALU_DEP_3) | instskip(NEXT) | instid1(VALU_DEP_3)
	v_dual_mul_f32 v7, v15, v7 :: v_dual_fmac_f32 v142, v13, v4
	v_fma_f32 v146, v12, v4, -v5
	v_add_f32_e32 v12, v132, v196
	s_delay_alu instid0(VALU_DEP_4) | instskip(NEXT) | instid1(VALU_DEP_4)
	v_dual_add_f32 v16, v16, v179 :: v_dual_fmac_f32 v143, v15, v6
	v_fma_f32 v147, v14, v6, -v7
	ds_load_2addr_b64 v[4:7], v131 offset0:99 offset1:100
	v_add_f32_e32 v16, v16, v181
	s_delay_alu instid0(VALU_DEP_1) | instskip(NEXT) | instid1(VALU_DEP_1)
	v_add_f32_e32 v16, v16, v183
	v_add_f32_e32 v16, v16, v185
	s_delay_alu instid0(VALU_DEP_1) | instskip(SKIP_4) | instid1(VALU_DEP_1)
	v_add_f32_e32 v21, v16, v187
	scratch_load_b128 v[16:19], off, off offset:392
	v_add_f32_e32 v133, v21, v189
	scratch_load_b128 v[20:23], off, off offset:408
	v_add_f32_e32 v133, v133, v191
	v_add_f32_e32 v133, v133, v193
	s_delay_alu instid0(VALU_DEP_1) | instskip(SKIP_2) | instid1(VALU_DEP_1)
	v_dual_add_f32 v132, v133, v195 :: v_dual_add_f32 v133, v12, v198
	ds_load_2addr_b64 v[12:15], v131 offset0:101 offset1:102
	v_dual_add_f32 v132, v132, v197 :: v_dual_add_f32 v137, v133, v200
	v_dual_add_f32 v148, v132, v199 :: v_dual_add_f32 v149, v137, v136
	ds_load_2addr_b64 v[132:135], v131 offset0:103 offset1:104
	ds_load_2addr_b64 v[136:139], v131 offset0:105 offset1:106
	s_wait_loadcnt_dscnt 0x303
	v_mul_f32_e32 v131, v4, v1
	v_dual_add_f32 v24, v148, v24 :: v_dual_add_f32 v141, v149, v141
	v_dual_mul_f32 v1, v5, v1 :: v_dual_mul_f32 v148, v6, v3
	s_delay_alu instid0(VALU_DEP_2) | instskip(NEXT) | instid1(VALU_DEP_3)
	v_dual_mul_f32 v3, v7, v3 :: v_dual_add_f32 v24, v24, v140
	v_add_f32_e32 v140, v141, v146
	v_fmac_f32_e32 v131, v5, v0
	s_delay_alu instid0(VALU_DEP_4)
	v_fma_f32 v0, v4, v0, -v1
	s_wait_loadcnt_dscnt 0x202
	v_mul_f32_e32 v141, v12, v9
	v_add_f32_e32 v24, v24, v142
	v_add_f32_e32 v4, v140, v147
	v_fmac_f32_e32 v148, v7, v2
	v_fma_f32 v1, v6, v2, -v3
	v_mul_f32_e32 v7, v13, v9
	v_add_f32_e32 v5, v24, v143
	v_add_f32_e32 v0, v4, v0
	v_dual_mul_f32 v142, v14, v11 :: v_dual_fmac_f32 v141, v13, v8
	s_delay_alu instid0(VALU_DEP_4) | instskip(NEXT) | instid1(VALU_DEP_4)
	v_fma_f32 v7, v12, v8, -v7
	v_add_f32_e32 v4, v5, v131
	s_delay_alu instid0(VALU_DEP_4) | instskip(NEXT) | instid1(VALU_DEP_2)
	v_dual_mul_f32 v5, v15, v11 :: v_dual_add_f32 v0, v0, v1
	v_dual_fmac_f32 v142, v15, v10 :: v_dual_add_f32 v1, v4, v148
	s_delay_alu instid0(VALU_DEP_2) | instskip(NEXT) | instid1(VALU_DEP_2)
	v_fma_f32 v5, v14, v10, -v5
	v_dual_add_f32 v0, v0, v7 :: v_dual_add_f32 v1, v1, v141
	s_delay_alu instid0(VALU_DEP_1) | instskip(SKIP_3) | instid1(VALU_DEP_2)
	v_dual_add_f32 v0, v0, v5 :: v_dual_add_f32 v1, v1, v142
	s_wait_loadcnt_dscnt 0x101
	v_mul_f32_e32 v2, v132, v17
	v_dual_mul_f32 v4, v133, v17 :: v_dual_mul_f32 v3, v134, v19
	v_dual_mul_f32 v7, v135, v19 :: v_dual_fmac_f32 v2, v133, v16
	s_delay_alu instid0(VALU_DEP_2)
	v_fma_f32 v4, v132, v16, -v4
	s_wait_loadcnt_dscnt 0x0
	v_mul_f32_e32 v6, v136, v21
	v_mul_f32_e32 v5, v137, v21
	v_fmac_f32_e32 v3, v135, v18
	v_fma_f32 v7, v134, v18, -v7
	v_dual_add_f32 v0, v0, v4 :: v_dual_add_f32 v1, v1, v2
	v_mul_f32_e32 v9, v138, v23
	v_mul_f32_e32 v2, v139, v23
	v_fmac_f32_e32 v6, v137, v20
	v_fma_f32 v4, v136, v20, -v5
	v_add_f32_e32 v0, v0, v7
	v_add_f32_e32 v1, v1, v3
	v_fmac_f32_e32 v9, v139, v22
	v_fma_f32 v2, v138, v22, -v2
	s_delay_alu instid0(VALU_DEP_3) | instskip(NEXT) | instid1(VALU_DEP_1)
	v_dual_add_f32 v0, v0, v4 :: v_dual_add_f32 v1, v1, v6
	v_dual_add_f32 v0, v0, v2 :: v_dual_add_f32 v1, v1, v9
	s_delay_alu instid0(VALU_DEP_1)
	v_dual_sub_f32 v0, v144, v0 :: v_dual_sub_f32 v1, v145, v1
	scratch_store_b64 off, v[0:1], off
	s_wait_alu 0xfffe
	s_cbranch_vccz .LBB52_436
; %bb.332:
	v_mov_b32_e32 v0, 0
	global_load_b32 v1, v0, s[2:3] offset:204
	s_wait_loadcnt 0x0
	v_cmp_ne_u32_e32 vcc_lo, 52, v1
	s_cbranch_vccz .LBB52_334
; %bb.333:
	v_lshlrev_b32_e32 v1, 3, v1
	s_delay_alu instid0(VALU_DEP_1)
	v_mov_b32_e32 v5, v1
	scratch_load_b64 v[1:2], v5, off offset:-8
	scratch_load_b64 v[3:4], off, off offset:408
	s_wait_loadcnt 0x1
	scratch_store_b64 off, v[1:2], off offset:408
	s_wait_loadcnt 0x0
	scratch_store_b64 v5, v[3:4], off offset:-8
.LBB52_334:
	global_load_b32 v0, v0, s[2:3] offset:200
	s_wait_loadcnt 0x0
	v_cmp_eq_u32_e32 vcc_lo, 51, v0
	s_cbranch_vccnz .LBB52_336
; %bb.335:
	v_lshlrev_b32_e32 v0, 3, v0
	s_delay_alu instid0(VALU_DEP_1)
	v_mov_b32_e32 v4, v0
	scratch_load_b64 v[0:1], v4, off offset:-8
	scratch_load_b64 v[2:3], off, off offset:400
	s_wait_loadcnt 0x1
	scratch_store_b64 off, v[0:1], off offset:400
	s_wait_loadcnt 0x0
	scratch_store_b64 v4, v[2:3], off offset:-8
.LBB52_336:
	v_mov_b32_e32 v0, 0
	global_load_b32 v1, v0, s[2:3] offset:196
	s_wait_loadcnt 0x0
	v_cmp_eq_u32_e32 vcc_lo, 50, v1
	s_cbranch_vccnz .LBB52_338
; %bb.337:
	v_lshlrev_b32_e32 v1, 3, v1
	s_delay_alu instid0(VALU_DEP_1)
	v_mov_b32_e32 v5, v1
	scratch_load_b64 v[1:2], v5, off offset:-8
	scratch_load_b64 v[3:4], off, off offset:392
	s_wait_loadcnt 0x1
	scratch_store_b64 off, v[1:2], off offset:392
	s_wait_loadcnt 0x0
	scratch_store_b64 v5, v[3:4], off offset:-8
.LBB52_338:
	global_load_b32 v0, v0, s[2:3] offset:192
	s_wait_loadcnt 0x0
	v_cmp_eq_u32_e32 vcc_lo, 49, v0
	s_cbranch_vccnz .LBB52_340
; %bb.339:
	v_lshlrev_b32_e32 v0, 3, v0
	s_delay_alu instid0(VALU_DEP_1)
	v_mov_b32_e32 v4, v0
	scratch_load_b64 v[0:1], v4, off offset:-8
	scratch_load_b64 v[2:3], off, off offset:384
	s_wait_loadcnt 0x1
	scratch_store_b64 off, v[0:1], off offset:384
	s_wait_loadcnt 0x0
	scratch_store_b64 v4, v[2:3], off offset:-8
.LBB52_340:
	v_mov_b32_e32 v0, 0
	global_load_b32 v1, v0, s[2:3] offset:188
	s_wait_loadcnt 0x0
	v_cmp_eq_u32_e32 vcc_lo, 48, v1
	s_cbranch_vccnz .LBB52_342
; %bb.341:
	v_lshlrev_b32_e32 v1, 3, v1
	s_delay_alu instid0(VALU_DEP_1)
	v_mov_b32_e32 v5, v1
	scratch_load_b64 v[1:2], v5, off offset:-8
	scratch_load_b64 v[3:4], off, off offset:376
	s_wait_loadcnt 0x1
	scratch_store_b64 off, v[1:2], off offset:376
	s_wait_loadcnt 0x0
	scratch_store_b64 v5, v[3:4], off offset:-8
.LBB52_342:
	;; [unrolled: 31-line block ×25, first 2 shown]
	global_load_b32 v0, v0, s[2:3]
	s_wait_loadcnt 0x0
	v_cmp_eq_u32_e32 vcc_lo, 1, v0
	s_cbranch_vccnz .LBB52_436
; %bb.435:
	v_lshlrev_b32_e32 v0, 3, v0
	s_delay_alu instid0(VALU_DEP_1)
	v_mov_b32_e32 v4, v0
	scratch_load_b64 v[0:1], v4, off offset:-8
	scratch_load_b64 v[2:3], off, off
	s_wait_loadcnt 0x1
	scratch_store_b64 off, v[0:1], off
	s_wait_loadcnt 0x0
	scratch_store_b64 v4, v[2:3], off offset:-8
.LBB52_436:
	s_clause 0x1a
	scratch_load_b128 v[0:3], off, off
	scratch_load_b128 v[4:7], off, off offset:16
	scratch_load_b128 v[8:11], off, off offset:32
	;; [unrolled: 1-line block ×25, first 2 shown]
	scratch_load_b64 v[211:212], off, off offset:416
	s_wait_loadcnt 0x1a
	s_clause 0x1
	global_store_b64 v[25:26], v[0:1], off
	global_store_b64 v[27:28], v[2:3], off
	s_wait_loadcnt 0x19
	s_clause 0x1
	global_store_b64 v[29:30], v[4:5], off
	global_store_b64 v[31:32], v[6:7], off
	;; [unrolled: 4-line block ×26, first 2 shown]
	s_wait_loadcnt 0x0
	global_store_b64 v[129:130], v[211:212], off
	s_nop 0
	s_sendmsg sendmsg(MSG_DEALLOC_VGPRS)
	s_endpgm
	.section	.rodata,"a",@progbits
	.p2align	6, 0x0
	.amdhsa_kernel _ZN9rocsolver6v33100L18getri_kernel_smallILi53E19rocblas_complex_numIfEPS3_EEvT1_iilPiilS6_bb
		.amdhsa_group_segment_fixed_size 856
		.amdhsa_private_segment_fixed_size 432
		.amdhsa_kernarg_size 60
		.amdhsa_user_sgpr_count 2
		.amdhsa_user_sgpr_dispatch_ptr 0
		.amdhsa_user_sgpr_queue_ptr 0
		.amdhsa_user_sgpr_kernarg_segment_ptr 1
		.amdhsa_user_sgpr_dispatch_id 0
		.amdhsa_user_sgpr_private_segment_size 0
		.amdhsa_wavefront_size32 1
		.amdhsa_uses_dynamic_stack 0
		.amdhsa_enable_private_segment 1
		.amdhsa_system_sgpr_workgroup_id_x 1
		.amdhsa_system_sgpr_workgroup_id_y 0
		.amdhsa_system_sgpr_workgroup_id_z 0
		.amdhsa_system_sgpr_workgroup_info 0
		.amdhsa_system_vgpr_workitem_id 0
		.amdhsa_next_free_vgpr 250
		.amdhsa_next_free_sgpr 19
		.amdhsa_reserve_vcc 1
		.amdhsa_float_round_mode_32 0
		.amdhsa_float_round_mode_16_64 0
		.amdhsa_float_denorm_mode_32 3
		.amdhsa_float_denorm_mode_16_64 3
		.amdhsa_fp16_overflow 0
		.amdhsa_workgroup_processor_mode 1
		.amdhsa_memory_ordered 1
		.amdhsa_forward_progress 1
		.amdhsa_inst_pref_size 255
		.amdhsa_round_robin_scheduling 0
		.amdhsa_exception_fp_ieee_invalid_op 0
		.amdhsa_exception_fp_denorm_src 0
		.amdhsa_exception_fp_ieee_div_zero 0
		.amdhsa_exception_fp_ieee_overflow 0
		.amdhsa_exception_fp_ieee_underflow 0
		.amdhsa_exception_fp_ieee_inexact 0
		.amdhsa_exception_int_div_zero 0
	.end_amdhsa_kernel
	.section	.text._ZN9rocsolver6v33100L18getri_kernel_smallILi53E19rocblas_complex_numIfEPS3_EEvT1_iilPiilS6_bb,"axG",@progbits,_ZN9rocsolver6v33100L18getri_kernel_smallILi53E19rocblas_complex_numIfEPS3_EEvT1_iilPiilS6_bb,comdat
.Lfunc_end52:
	.size	_ZN9rocsolver6v33100L18getri_kernel_smallILi53E19rocblas_complex_numIfEPS3_EEvT1_iilPiilS6_bb, .Lfunc_end52-_ZN9rocsolver6v33100L18getri_kernel_smallILi53E19rocblas_complex_numIfEPS3_EEvT1_iilPiilS6_bb
                                        ; -- End function
	.set _ZN9rocsolver6v33100L18getri_kernel_smallILi53E19rocblas_complex_numIfEPS3_EEvT1_iilPiilS6_bb.num_vgpr, 250
	.set _ZN9rocsolver6v33100L18getri_kernel_smallILi53E19rocblas_complex_numIfEPS3_EEvT1_iilPiilS6_bb.num_agpr, 0
	.set _ZN9rocsolver6v33100L18getri_kernel_smallILi53E19rocblas_complex_numIfEPS3_EEvT1_iilPiilS6_bb.numbered_sgpr, 19
	.set _ZN9rocsolver6v33100L18getri_kernel_smallILi53E19rocblas_complex_numIfEPS3_EEvT1_iilPiilS6_bb.num_named_barrier, 0
	.set _ZN9rocsolver6v33100L18getri_kernel_smallILi53E19rocblas_complex_numIfEPS3_EEvT1_iilPiilS6_bb.private_seg_size, 432
	.set _ZN9rocsolver6v33100L18getri_kernel_smallILi53E19rocblas_complex_numIfEPS3_EEvT1_iilPiilS6_bb.uses_vcc, 1
	.set _ZN9rocsolver6v33100L18getri_kernel_smallILi53E19rocblas_complex_numIfEPS3_EEvT1_iilPiilS6_bb.uses_flat_scratch, 1
	.set _ZN9rocsolver6v33100L18getri_kernel_smallILi53E19rocblas_complex_numIfEPS3_EEvT1_iilPiilS6_bb.has_dyn_sized_stack, 0
	.set _ZN9rocsolver6v33100L18getri_kernel_smallILi53E19rocblas_complex_numIfEPS3_EEvT1_iilPiilS6_bb.has_recursion, 0
	.set _ZN9rocsolver6v33100L18getri_kernel_smallILi53E19rocblas_complex_numIfEPS3_EEvT1_iilPiilS6_bb.has_indirect_call, 0
	.section	.AMDGPU.csdata,"",@progbits
; Kernel info:
; codeLenInByte = 93916
; TotalNumSgprs: 21
; NumVgprs: 250
; ScratchSize: 432
; MemoryBound: 0
; FloatMode: 240
; IeeeMode: 1
; LDSByteSize: 856 bytes/workgroup (compile time only)
; SGPRBlocks: 0
; VGPRBlocks: 31
; NumSGPRsForWavesPerEU: 21
; NumVGPRsForWavesPerEU: 250
; Occupancy: 5
; WaveLimiterHint : 1
; COMPUTE_PGM_RSRC2:SCRATCH_EN: 1
; COMPUTE_PGM_RSRC2:USER_SGPR: 2
; COMPUTE_PGM_RSRC2:TRAP_HANDLER: 0
; COMPUTE_PGM_RSRC2:TGID_X_EN: 1
; COMPUTE_PGM_RSRC2:TGID_Y_EN: 0
; COMPUTE_PGM_RSRC2:TGID_Z_EN: 0
; COMPUTE_PGM_RSRC2:TIDIG_COMP_CNT: 0
	.section	.text._ZN9rocsolver6v33100L18getri_kernel_smallILi54E19rocblas_complex_numIfEPS3_EEvT1_iilPiilS6_bb,"axG",@progbits,_ZN9rocsolver6v33100L18getri_kernel_smallILi54E19rocblas_complex_numIfEPS3_EEvT1_iilPiilS6_bb,comdat
	.globl	_ZN9rocsolver6v33100L18getri_kernel_smallILi54E19rocblas_complex_numIfEPS3_EEvT1_iilPiilS6_bb ; -- Begin function _ZN9rocsolver6v33100L18getri_kernel_smallILi54E19rocblas_complex_numIfEPS3_EEvT1_iilPiilS6_bb
	.p2align	8
	.type	_ZN9rocsolver6v33100L18getri_kernel_smallILi54E19rocblas_complex_numIfEPS3_EEvT1_iilPiilS6_bb,@function
_ZN9rocsolver6v33100L18getri_kernel_smallILi54E19rocblas_complex_numIfEPS3_EEvT1_iilPiilS6_bb: ; @_ZN9rocsolver6v33100L18getri_kernel_smallILi54E19rocblas_complex_numIfEPS3_EEvT1_iilPiilS6_bb
; %bb.0:
	s_mov_b32 s2, exec_lo
	v_cmpx_gt_u32_e32 54, v0
	s_cbranch_execz .LBB53_230
; %bb.1:
	s_clause 0x2
	s_load_b32 s2, s[0:1], 0x38
	s_load_b128 s[12:15], s[0:1], 0x10
	s_load_b128 s[4:7], s[0:1], 0x28
	s_mov_b32 s16, ttmp9
	s_wait_kmcnt 0x0
	s_bitcmp1_b32 s2, 8
	s_cselect_b32 s18, -1, 0
	s_bfe_u32 s2, s2, 0x10008
	s_ashr_i32 s17, ttmp9, 31
	s_cmp_eq_u32 s2, 0
                                        ; implicit-def: $sgpr2_sgpr3
	s_cbranch_scc1 .LBB53_3
; %bb.2:
	s_load_b32 s2, s[0:1], 0x20
	s_mul_u64 s[4:5], s[4:5], s[16:17]
	s_delay_alu instid0(SALU_CYCLE_1) | instskip(NEXT) | instid1(SALU_CYCLE_1)
	s_lshl_b64 s[4:5], s[4:5], 2
	s_add_nc_u64 s[4:5], s[14:15], s[4:5]
	s_wait_kmcnt 0x0
	s_ashr_i32 s3, s2, 31
	s_delay_alu instid0(SALU_CYCLE_1) | instskip(NEXT) | instid1(SALU_CYCLE_1)
	s_lshl_b64 s[2:3], s[2:3], 2
	s_add_nc_u64 s[2:3], s[4:5], s[2:3]
.LBB53_3:
	s_clause 0x1
	s_load_b128 s[8:11], s[0:1], 0x0
	s_load_b32 s4, s[0:1], 0x38
	s_mul_u64 s[0:1], s[12:13], s[16:17]
	v_lshlrev_b32_e32 v13, 3, v0
	s_lshl_b64 s[0:1], s[0:1], 3
	s_wait_kmcnt 0x0
	v_add3_u32 v3, s11, s11, v0
	s_ashr_i32 s13, s10, 31
	s_mov_b32 s12, s10
	s_add_nc_u64 s[0:1], s[8:9], s[0:1]
	s_lshl_b64 s[12:13], s[12:13], 3
	v_add_nc_u32_e32 v5, s11, v3
	v_ashrrev_i32_e32 v4, 31, v3
	s_add_nc_u64 s[0:1], s[0:1], s[12:13]
	s_ashr_i32 s9, s11, 31
	v_add_co_u32 v32, s5, s0, v13
	v_add_nc_u32_e32 v7, s11, v5
	s_mov_b32 s8, s11
	v_lshlrev_b64_e32 v[3:4], 3, v[3:4]
	v_add_co_ci_u32_e64 v33, null, s1, 0, s5
	s_delay_alu instid0(VALU_DEP_3) | instskip(SKIP_3) | instid1(VALU_DEP_1)
	v_add_nc_u32_e32 v9, s11, v7
	s_lshl_b64 s[8:9], s[8:9], 3
	v_ashrrev_i32_e32 v6, 31, v5
	v_add_co_u32 v34, vcc_lo, v32, s8
	v_add_co_ci_u32_e64 v35, null, s9, v33, vcc_lo
	v_add_co_u32 v36, vcc_lo, s0, v3
	v_add_nc_u32_e32 v3, s11, v9
	v_lshlrev_b64_e32 v[5:6], 3, v[5:6]
	v_ashrrev_i32_e32 v8, 31, v7
	v_ashrrev_i32_e32 v10, 31, v9
	s_wait_alu 0xfffd
	v_add_co_ci_u32_e64 v37, null, s1, v4, vcc_lo
	v_add_nc_u32_e32 v11, s11, v3
	v_ashrrev_i32_e32 v4, 31, v3
	v_lshlrev_b64_e32 v[7:8], 3, v[7:8]
	v_add_co_u32 v38, vcc_lo, s0, v5
	s_wait_alu 0xfffd
	v_add_co_ci_u32_e64 v39, null, s1, v6, vcc_lo
	v_lshlrev_b64_e32 v[5:6], 3, v[9:10]
	v_add_nc_u32_e32 v16, s11, v11
	v_lshlrev_b64_e32 v[14:15], 3, v[3:4]
	v_ashrrev_i32_e32 v12, 31, v11
	v_add_co_u32 v40, vcc_lo, s0, v7
	s_delay_alu instid0(VALU_DEP_4)
	v_ashrrev_i32_e32 v17, 31, v16
	v_add_nc_u32_e32 v18, s11, v16
	s_wait_alu 0xfffd
	v_add_co_ci_u32_e64 v41, null, s1, v8, vcc_lo
	v_add_co_u32 v42, vcc_lo, s0, v5
	v_lshlrev_b64_e32 v[11:12], 3, v[11:12]
	s_wait_alu 0xfffd
	v_add_co_ci_u32_e64 v43, null, s1, v6, vcc_lo
	v_add_co_u32 v44, vcc_lo, s0, v14
	s_wait_alu 0xfffd
	v_add_co_ci_u32_e64 v45, null, s1, v15, vcc_lo
	v_lshlrev_b64_e32 v[14:15], 3, v[16:17]
	v_ashrrev_i32_e32 v19, 31, v18
	v_add_nc_u32_e32 v16, s11, v18
	v_add_co_u32 v46, vcc_lo, s0, v11
	s_wait_alu 0xfffd
	v_add_co_ci_u32_e64 v47, null, s1, v12, vcc_lo
	v_lshlrev_b64_e32 v[11:12], 3, v[18:19]
	v_ashrrev_i32_e32 v17, 31, v16
	v_add_nc_u32_e32 v18, s11, v16
	;; [unrolled: 6-line block ×24, first 2 shown]
	v_add_co_u32 v92, vcc_lo, s0, v14
	s_wait_alu 0xfffd
	v_add_co_ci_u32_e64 v93, null, s1, v15, vcc_lo
	v_lshlrev_b64_e32 v[14:15], 3, v[16:17]
	v_add_nc_u32_e32 v16, s11, v18
	v_ashrrev_i32_e32 v19, 31, v18
	v_add_co_u32 v94, vcc_lo, s0, v11
	s_wait_alu 0xfffd
	v_add_co_ci_u32_e64 v95, null, s1, v12, vcc_lo
	v_add_nc_u32_e32 v30, s11, v16
	v_lshlrev_b64_e32 v[11:12], 3, v[18:19]
	v_add_co_u32 v96, vcc_lo, s0, v14
	s_wait_alu 0xfffd
	v_add_co_ci_u32_e64 v97, null, s1, v15, vcc_lo
	v_ashrrev_i32_e32 v31, 31, v30
	s_delay_alu instid0(VALU_DEP_4) | instskip(SKIP_2) | instid1(VALU_DEP_3)
	v_add_co_u32 v98, vcc_lo, s0, v11
	s_wait_alu 0xfffd
	v_add_co_ci_u32_e64 v99, null, s1, v12, vcc_lo
	v_lshlrev_b64_e32 v[11:12], 3, v[30:31]
	v_add_nc_u32_e32 v30, s11, v30
	v_ashrrev_i32_e32 v17, 31, v16
	s_clause 0x4
	global_load_b64 v[1:2], v13, s[0:1]
	global_load_b64 v[3:4], v[34:35], off
	global_load_b64 v[5:6], v[36:37], off
	;; [unrolled: 1-line block ×4, first 2 shown]
	s_bitcmp0_b32 s4, 0
	v_add_nc_u32_e32 v106, s11, v30
	v_ashrrev_i32_e32 v31, 31, v30
	v_lshlrev_b64_e32 v[14:15], 3, v[16:17]
	s_delay_alu instid0(VALU_DEP_3) | instskip(NEXT) | instid1(VALU_DEP_3)
	v_add_nc_u32_e32 v108, s11, v106
	v_lshlrev_b64_e32 v[30:31], 3, v[30:31]
	v_ashrrev_i32_e32 v107, 31, v106
	s_delay_alu instid0(VALU_DEP_4)
	v_add_co_u32 v100, vcc_lo, s0, v14
	s_wait_alu 0xfffd
	v_add_co_ci_u32_e64 v101, null, s1, v15, vcc_lo
	v_add_co_u32 v102, vcc_lo, s0, v11
	v_add_nc_u32_e32 v110, s11, v108
	s_wait_alu 0xfffd
	v_add_co_ci_u32_e64 v103, null, s1, v12, vcc_lo
	v_add_co_u32 v104, vcc_lo, s0, v30
	s_wait_alu 0xfffd
	v_add_co_ci_u32_e64 v105, null, s1, v31, vcc_lo
	v_lshlrev_b64_e32 v[30:31], 3, v[106:107]
	v_ashrrev_i32_e32 v109, 31, v108
	v_add_nc_u32_e32 v112, s11, v110
	v_ashrrev_i32_e32 v111, 31, v110
	s_clause 0x13
	global_load_b64 v[11:12], v[42:43], off
	global_load_b64 v[14:15], v[44:45], off
	;; [unrolled: 1-line block ×20, first 2 shown]
	v_lshlrev_b64_e32 v[108:109], 3, v[108:109]
	v_add_co_u32 v106, vcc_lo, s0, v30
	v_ashrrev_i32_e32 v113, 31, v112
	s_wait_alu 0xfffd
	v_add_co_ci_u32_e64 v107, null, s1, v31, vcc_lo
	v_lshlrev_b64_e32 v[30:31], 3, v[110:111]
	v_add_nc_u32_e32 v115, s11, v112
	v_lshlrev_b64_e32 v[113:114], 3, v[112:113]
	v_add_co_u32 v108, vcc_lo, s0, v108
	s_wait_alu 0xfffd
	v_add_co_ci_u32_e64 v109, null, s1, v109, vcc_lo
	v_add_co_u32 v110, vcc_lo, s0, v30
	v_ashrrev_i32_e32 v116, 31, v115
	v_add_nc_u32_e32 v30, s11, v115
	s_wait_alu 0xfffd
	v_add_co_ci_u32_e64 v111, null, s1, v31, vcc_lo
	v_add_co_u32 v112, vcc_lo, s0, v113
	s_wait_alu 0xfffd
	v_add_co_ci_u32_e64 v113, null, s1, v114, vcc_lo
	v_lshlrev_b64_e32 v[114:115], 3, v[115:116]
	v_add_nc_u32_e32 v116, s11, v30
	v_ashrrev_i32_e32 v31, 31, v30
	s_clause 0xb
	global_load_b64 v[162:163], v[82:83], off
	global_load_b64 v[164:165], v[84:85], off
	;; [unrolled: 1-line block ×12, first 2 shown]
	v_add_nc_u32_e32 v118, s11, v116
	v_lshlrev_b64_e32 v[30:31], 3, v[30:31]
	v_ashrrev_i32_e32 v117, 31, v116
	v_add_co_u32 v114, vcc_lo, s0, v114
	s_delay_alu instid0(VALU_DEP_4)
	v_add_nc_u32_e32 v122, s11, v118
	v_ashrrev_i32_e32 v119, 31, v118
	s_wait_alu 0xfffd
	v_add_co_ci_u32_e64 v115, null, s1, v115, vcc_lo
	v_lshlrev_b64_e32 v[120:121], 3, v[116:117]
	v_add_co_u32 v116, vcc_lo, s0, v30
	v_add_nc_u32_e32 v124, s11, v122
	s_wait_alu 0xfffd
	v_add_co_ci_u32_e64 v117, null, s1, v31, vcc_lo
	v_lshlrev_b64_e32 v[30:31], 3, v[118:119]
	v_ashrrev_i32_e32 v123, 31, v122
	v_add_co_u32 v118, vcc_lo, s0, v120
	v_add_nc_u32_e32 v126, s11, v124
	s_wait_alu 0xfffd
	v_add_co_ci_u32_e64 v119, null, s1, v121, vcc_lo
	v_add_co_u32 v120, vcc_lo, s0, v30
	s_wait_alu 0xfffd
	v_add_co_ci_u32_e64 v121, null, s1, v31, vcc_lo
	v_lshlrev_b64_e32 v[30:31], 3, v[122:123]
	v_ashrrev_i32_e32 v125, 31, v124
	v_add_nc_u32_e32 v128, s11, v126
	v_ashrrev_i32_e32 v127, 31, v126
	s_clause 0x7
	global_load_b64 v[186:187], v[106:107], off
	global_load_b64 v[188:189], v[108:109], off
	;; [unrolled: 1-line block ×8, first 2 shown]
	v_lshlrev_b64_e32 v[124:125], 3, v[124:125]
	v_add_co_u32 v122, vcc_lo, s0, v30
	v_ashrrev_i32_e32 v129, 31, v128
	s_wait_alu 0xfffd
	v_add_co_ci_u32_e64 v123, null, s1, v31, vcc_lo
	v_lshlrev_b64_e32 v[30:31], 3, v[126:127]
	v_add_nc_u32_e32 v131, s11, v128
	v_lshlrev_b64_e32 v[129:130], 3, v[128:129]
	v_add_co_u32 v124, vcc_lo, s0, v124
	s_wait_alu 0xfffd
	v_add_co_ci_u32_e64 v125, null, s1, v125, vcc_lo
	v_add_co_u32 v126, vcc_lo, s0, v30
	v_ashrrev_i32_e32 v132, 31, v131
	v_add_nc_u32_e32 v30, s11, v131
	s_wait_alu 0xfffd
	v_add_co_ci_u32_e64 v127, null, s1, v31, vcc_lo
	v_add_co_u32 v128, vcc_lo, s0, v129
	s_wait_alu 0xfffd
	v_add_co_ci_u32_e64 v129, null, s1, v130, vcc_lo
	v_lshlrev_b64_e32 v[130:131], 3, v[131:132]
	v_add_nc_u32_e32 v132, s11, v30
	v_ashrrev_i32_e32 v31, 31, v30
	s_clause 0x3
	global_load_b64 v[202:203], v[122:123], off
	global_load_b64 v[204:205], v[124:125], off
	;; [unrolled: 1-line block ×4, first 2 shown]
	v_add_nc_u32_e32 v134, s11, v132
	v_lshlrev_b64_e32 v[30:31], 3, v[30:31]
	v_ashrrev_i32_e32 v133, 31, v132
	v_add_co_u32 v130, vcc_lo, s0, v130
	s_delay_alu instid0(VALU_DEP_4)
	v_add_nc_u32_e32 v138, s11, v134
	v_ashrrev_i32_e32 v135, 31, v134
	s_wait_alu 0xfffd
	v_add_co_ci_u32_e64 v131, null, s1, v131, vcc_lo
	v_lshlrev_b64_e32 v[136:137], 3, v[132:133]
	v_ashrrev_i32_e32 v139, 31, v138
	v_add_co_u32 v132, vcc_lo, s0, v30
	s_wait_alu 0xfffd
	v_add_co_ci_u32_e64 v133, null, s1, v31, vcc_lo
	v_lshlrev_b64_e32 v[30:31], 3, v[134:135]
	v_lshlrev_b64_e32 v[138:139], 3, v[138:139]
	v_add_co_u32 v134, vcc_lo, s0, v136
	s_wait_alu 0xfffd
	v_add_co_ci_u32_e64 v135, null, s1, v137, vcc_lo
	s_delay_alu instid0(VALU_DEP_4)
	v_add_co_u32 v136, vcc_lo, s0, v30
	s_wait_alu 0xfffd
	v_add_co_ci_u32_e64 v137, null, s1, v31, vcc_lo
	v_add_co_u32 v138, vcc_lo, s0, v138
	s_wait_alu 0xfffd
	v_add_co_ci_u32_e64 v139, null, s1, v139, vcc_lo
	s_clause 0x4
	global_load_b64 v[210:211], v[130:131], off
	global_load_b64 v[212:213], v[132:133], off
	;; [unrolled: 1-line block ×5, first 2 shown]
	s_mov_b32 s1, -1
	s_wait_loadcnt 0x34
	scratch_store_b128 off, v[1:4], off
	s_wait_loadcnt 0x32
	scratch_store_b128 off, v[5:8], off offset:16
	s_wait_loadcnt 0x30
	scratch_store_b128 off, v[9:12], off offset:32
	;; [unrolled: 2-line block ×26, first 2 shown]
	s_cbranch_scc1 .LBB53_228
; %bb.4:
	v_cmp_eq_u32_e64 s0, 0, v0
	s_and_saveexec_b32 s1, s0
; %bb.5:
	v_mov_b32_e32 v1, 0
	ds_store_b32 v1, v1 offset:864
; %bb.6:
	s_wait_alu 0xfffe
	s_or_b32 exec_lo, exec_lo, s1
	s_wait_storecnt_dscnt 0x0
	s_barrier_signal -1
	s_barrier_wait -1
	global_inv scope:SCOPE_SE
	scratch_load_b64 v[1:2], v13, off
	s_wait_loadcnt 0x0
	v_cmp_eq_f32_e32 vcc_lo, 0, v1
	v_cmp_eq_f32_e64 s1, 0, v2
	s_and_b32 s1, vcc_lo, s1
	s_wait_alu 0xfffe
	s_and_saveexec_b32 s4, s1
	s_cbranch_execz .LBB53_10
; %bb.7:
	v_mov_b32_e32 v1, 0
	s_mov_b32 s5, 0
	ds_load_b32 v2, v1 offset:864
	s_wait_dscnt 0x0
	v_readfirstlane_b32 s1, v2
	v_add_nc_u32_e32 v2, 1, v0
	s_cmp_eq_u32 s1, 0
	s_delay_alu instid0(VALU_DEP_1)
	v_cmp_gt_i32_e32 vcc_lo, s1, v2
	s_cselect_b32 s8, -1, 0
	s_wait_alu 0xfffe
	s_or_b32 s8, s8, vcc_lo
	s_wait_alu 0xfffe
	s_and_b32 exec_lo, exec_lo, s8
	s_cbranch_execz .LBB53_10
; %bb.8:
	v_mov_b32_e32 v3, s1
.LBB53_9:                               ; =>This Inner Loop Header: Depth=1
	ds_cmpstore_rtn_b32 v3, v1, v2, v3 offset:864
	s_wait_dscnt 0x0
	v_cmp_ne_u32_e32 vcc_lo, 0, v3
	v_cmp_le_i32_e64 s1, v3, v2
	s_and_b32 s1, vcc_lo, s1
	s_wait_alu 0xfffe
	s_and_b32 s1, exec_lo, s1
	s_wait_alu 0xfffe
	s_or_b32 s5, s1, s5
	s_wait_alu 0xfffe
	s_and_not1_b32 exec_lo, exec_lo, s5
	s_cbranch_execnz .LBB53_9
.LBB53_10:
	s_wait_alu 0xfffe
	s_or_b32 exec_lo, exec_lo, s4
	v_mov_b32_e32 v1, 0
	s_barrier_signal -1
	s_barrier_wait -1
	global_inv scope:SCOPE_SE
	ds_load_b32 v2, v1 offset:864
	s_and_saveexec_b32 s1, s0
	s_cbranch_execz .LBB53_12
; %bb.11:
	s_lshl_b64 s[4:5], s[16:17], 2
	s_wait_alu 0xfffe
	s_add_nc_u64 s[4:5], s[6:7], s[4:5]
	s_wait_dscnt 0x0
	global_store_b32 v1, v2, s[4:5]
.LBB53_12:
	s_wait_alu 0xfffe
	s_or_b32 exec_lo, exec_lo, s1
	s_wait_dscnt 0x0
	v_cmp_ne_u32_e32 vcc_lo, 0, v2
	s_mov_b32 s1, 0
	s_cbranch_vccnz .LBB53_228
; %bb.13:
	v_mov_b32_e32 v7, v13
                                        ; implicit-def: $vgpr3
                                        ; implicit-def: $vgpr5
	scratch_load_b64 v[1:2], v7, off
	s_wait_loadcnt 0x0
	v_cmp_ngt_f32_e64 s1, |v1|, |v2|
	s_wait_alu 0xfffe
	s_and_saveexec_b32 s4, s1
	s_wait_alu 0xfffe
	s_xor_b32 s1, exec_lo, s4
	s_cbranch_execz .LBB53_15
; %bb.14:
	v_div_scale_f32 v3, null, v2, v2, v1
	v_div_scale_f32 v6, vcc_lo, v1, v2, v1
	s_delay_alu instid0(VALU_DEP_2) | instskip(NEXT) | instid1(TRANS32_DEP_1)
	v_rcp_f32_e32 v4, v3
	v_fma_f32 v5, -v3, v4, 1.0
	s_delay_alu instid0(VALU_DEP_1) | instskip(NEXT) | instid1(VALU_DEP_1)
	v_fmac_f32_e32 v4, v5, v4
	v_mul_f32_e32 v5, v6, v4
	s_delay_alu instid0(VALU_DEP_1) | instskip(NEXT) | instid1(VALU_DEP_1)
	v_fma_f32 v8, -v3, v5, v6
	v_fmac_f32_e32 v5, v8, v4
	s_delay_alu instid0(VALU_DEP_1) | instskip(SKIP_1) | instid1(VALU_DEP_1)
	v_fma_f32 v3, -v3, v5, v6
	s_wait_alu 0xfffd
	v_div_fmas_f32 v3, v3, v4, v5
	s_delay_alu instid0(VALU_DEP_1) | instskip(NEXT) | instid1(VALU_DEP_1)
	v_div_fixup_f32 v3, v3, v2, v1
	v_fmac_f32_e32 v2, v1, v3
	s_delay_alu instid0(VALU_DEP_1) | instskip(NEXT) | instid1(VALU_DEP_1)
	v_div_scale_f32 v1, null, v2, v2, 1.0
	v_rcp_f32_e32 v4, v1
	s_delay_alu instid0(TRANS32_DEP_1) | instskip(NEXT) | instid1(VALU_DEP_1)
	v_fma_f32 v5, -v1, v4, 1.0
	v_fmac_f32_e32 v4, v5, v4
	v_div_scale_f32 v5, vcc_lo, 1.0, v2, 1.0
	s_delay_alu instid0(VALU_DEP_1) | instskip(NEXT) | instid1(VALU_DEP_1)
	v_mul_f32_e32 v6, v5, v4
	v_fma_f32 v8, -v1, v6, v5
	s_delay_alu instid0(VALU_DEP_1) | instskip(NEXT) | instid1(VALU_DEP_1)
	v_fmac_f32_e32 v6, v8, v4
	v_fma_f32 v1, -v1, v6, v5
	s_wait_alu 0xfffd
	s_delay_alu instid0(VALU_DEP_1) | instskip(NEXT) | instid1(VALU_DEP_1)
	v_div_fmas_f32 v1, v1, v4, v6
	v_div_fixup_f32 v1, v1, v2, 1.0
	s_delay_alu instid0(VALU_DEP_1) | instskip(SKIP_1) | instid1(VALU_DEP_2)
	v_mul_f32_e32 v3, v3, v1
	v_xor_b32_e32 v4, 0x80000000, v1
                                        ; implicit-def: $vgpr1_vgpr2
	v_xor_b32_e32 v5, 0x80000000, v3
.LBB53_15:
	s_wait_alu 0xfffe
	s_and_not1_saveexec_b32 s1, s1
	s_cbranch_execz .LBB53_17
; %bb.16:
	v_div_scale_f32 v3, null, v1, v1, v2
	v_div_scale_f32 v6, vcc_lo, v2, v1, v2
	s_delay_alu instid0(VALU_DEP_2) | instskip(NEXT) | instid1(TRANS32_DEP_1)
	v_rcp_f32_e32 v4, v3
	v_fma_f32 v5, -v3, v4, 1.0
	s_delay_alu instid0(VALU_DEP_1) | instskip(NEXT) | instid1(VALU_DEP_1)
	v_fmac_f32_e32 v4, v5, v4
	v_mul_f32_e32 v5, v6, v4
	s_delay_alu instid0(VALU_DEP_1) | instskip(NEXT) | instid1(VALU_DEP_1)
	v_fma_f32 v8, -v3, v5, v6
	v_fmac_f32_e32 v5, v8, v4
	s_delay_alu instid0(VALU_DEP_1) | instskip(SKIP_1) | instid1(VALU_DEP_1)
	v_fma_f32 v3, -v3, v5, v6
	s_wait_alu 0xfffd
	v_div_fmas_f32 v3, v3, v4, v5
	s_delay_alu instid0(VALU_DEP_1) | instskip(NEXT) | instid1(VALU_DEP_1)
	v_div_fixup_f32 v4, v3, v1, v2
	v_fmac_f32_e32 v1, v2, v4
	s_delay_alu instid0(VALU_DEP_1) | instskip(SKIP_1) | instid1(VALU_DEP_2)
	v_div_scale_f32 v2, null, v1, v1, 1.0
	v_div_scale_f32 v6, vcc_lo, 1.0, v1, 1.0
	v_rcp_f32_e32 v3, v2
	s_delay_alu instid0(TRANS32_DEP_1) | instskip(NEXT) | instid1(VALU_DEP_1)
	v_fma_f32 v5, -v2, v3, 1.0
	v_fmac_f32_e32 v3, v5, v3
	s_delay_alu instid0(VALU_DEP_1) | instskip(NEXT) | instid1(VALU_DEP_1)
	v_mul_f32_e32 v5, v6, v3
	v_fma_f32 v8, -v2, v5, v6
	s_delay_alu instid0(VALU_DEP_1) | instskip(NEXT) | instid1(VALU_DEP_1)
	v_fmac_f32_e32 v5, v8, v3
	v_fma_f32 v2, -v2, v5, v6
	s_wait_alu 0xfffd
	s_delay_alu instid0(VALU_DEP_1) | instskip(NEXT) | instid1(VALU_DEP_1)
	v_div_fmas_f32 v2, v2, v3, v5
	v_div_fixup_f32 v3, v2, v1, 1.0
	s_delay_alu instid0(VALU_DEP_1)
	v_xor_b32_e32 v5, 0x80000000, v3
	v_mul_f32_e64 v4, v4, -v3
.LBB53_17:
	s_wait_alu 0xfffe
	s_or_b32 exec_lo, exec_lo, s1
	scratch_store_b64 v7, v[3:4], off
	scratch_load_b64 v[2:3], off, off offset:8
	v_xor_b32_e32 v6, 0x80000000, v4
	v_add_nc_u32_e32 v1, 0x1b0, v13
	s_wait_loadcnt 0x0
	ds_store_2addr_b64 v13, v[5:6], v[2:3] offset1:54
	s_wait_storecnt_dscnt 0x0
	s_barrier_signal -1
	s_barrier_wait -1
	global_inv scope:SCOPE_SE
	s_and_saveexec_b32 s1, s0
	s_cbranch_execz .LBB53_19
; %bb.18:
	scratch_load_b64 v[2:3], v7, off
	ds_load_b64 v[4:5], v1
	v_mov_b32_e32 v6, 0
	ds_load_b64 v[8:9], v6 offset:8
	s_wait_loadcnt_dscnt 0x1
	v_mul_f32_e32 v6, v4, v3
	v_mul_f32_e32 v3, v5, v3
	s_delay_alu instid0(VALU_DEP_2) | instskip(NEXT) | instid1(VALU_DEP_2)
	v_fmac_f32_e32 v6, v5, v2
	v_fma_f32 v2, v4, v2, -v3
	s_delay_alu instid0(VALU_DEP_2) | instskip(SKIP_1) | instid1(VALU_DEP_1)
	v_add_f32_e32 v4, 0, v6
	s_wait_dscnt 0x0
	v_dual_add_f32 v2, 0, v2 :: v_dual_mul_f32 v5, v4, v9
	s_delay_alu instid0(VALU_DEP_1) | instskip(NEXT) | instid1(VALU_DEP_1)
	v_mul_f32_e32 v3, v2, v9
	v_fmac_f32_e32 v3, v4, v8
	s_delay_alu instid0(VALU_DEP_3)
	v_fma_f32 v2, v2, v8, -v5
	scratch_store_b64 off, v[2:3], off offset:8
.LBB53_19:
	s_wait_alu 0xfffe
	s_or_b32 exec_lo, exec_lo, s1
	s_wait_loadcnt 0x0
	s_wait_storecnt 0x0
	s_barrier_signal -1
	s_barrier_wait -1
	global_inv scope:SCOPE_SE
	scratch_load_b64 v[2:3], off, off offset:16
	s_mov_b32 s1, exec_lo
	s_wait_loadcnt 0x0
	ds_store_b64 v1, v[2:3]
	s_wait_dscnt 0x0
	s_barrier_signal -1
	s_barrier_wait -1
	global_inv scope:SCOPE_SE
	v_cmpx_gt_u32_e32 2, v0
	s_cbranch_execz .LBB53_23
; %bb.20:
	scratch_load_b64 v[2:3], v7, off
	ds_load_b64 v[4:5], v1
	s_wait_loadcnt_dscnt 0x0
	v_mul_f32_e32 v6, v5, v3
	v_mul_f32_e32 v8, v4, v3
	s_delay_alu instid0(VALU_DEP_2) | instskip(NEXT) | instid1(VALU_DEP_1)
	v_fma_f32 v3, v4, v2, -v6
	v_dual_fmac_f32 v8, v5, v2 :: v_dual_add_f32 v3, 0, v3
	s_delay_alu instid0(VALU_DEP_1)
	v_add_f32_e32 v2, 0, v8
	s_and_saveexec_b32 s4, s0
	s_cbranch_execz .LBB53_22
; %bb.21:
	scratch_load_b64 v[4:5], off, off offset:8
	v_mov_b32_e32 v6, 0
	ds_load_b64 v[8:9], v6 offset:440
	s_wait_loadcnt_dscnt 0x0
	v_mul_f32_e32 v6, v8, v5
	v_mul_f32_e32 v5, v9, v5
	s_delay_alu instid0(VALU_DEP_2) | instskip(NEXT) | instid1(VALU_DEP_2)
	v_fmac_f32_e32 v6, v9, v4
	v_fma_f32 v4, v8, v4, -v5
	s_delay_alu instid0(VALU_DEP_1)
	v_dual_add_f32 v2, v2, v6 :: v_dual_add_f32 v3, v3, v4
.LBB53_22:
	s_wait_alu 0xfffe
	s_or_b32 exec_lo, exec_lo, s4
	v_mov_b32_e32 v4, 0
	ds_load_b64 v[4:5], v4 offset:16
	s_wait_dscnt 0x0
	v_mul_f32_e32 v8, v2, v5
	v_mul_f32_e32 v6, v3, v5
	s_delay_alu instid0(VALU_DEP_2) | instskip(NEXT) | instid1(VALU_DEP_2)
	v_fma_f32 v5, v3, v4, -v8
	v_fmac_f32_e32 v6, v2, v4
	scratch_store_b64 off, v[5:6], off offset:16
.LBB53_23:
	s_wait_alu 0xfffe
	s_or_b32 exec_lo, exec_lo, s1
	s_wait_loadcnt 0x0
	s_wait_storecnt 0x0
	s_barrier_signal -1
	s_barrier_wait -1
	global_inv scope:SCOPE_SE
	scratch_load_b64 v[3:4], off, off offset:24
	v_add_nc_u32_e32 v2, -1, v0
	s_mov_b32 s0, exec_lo
	s_wait_loadcnt 0x0
	ds_store_b64 v1, v[3:4]
	s_wait_dscnt 0x0
	s_barrier_signal -1
	s_barrier_wait -1
	global_inv scope:SCOPE_SE
	v_cmpx_gt_u32_e32 3, v0
	s_cbranch_execz .LBB53_27
; %bb.24:
	v_dual_mov_b32 v3, 0 :: v_dual_add_nc_u32 v4, -1, v0
	v_dual_mov_b32 v6, v13 :: v_dual_add_nc_u32 v5, 0x1b0, v13
	v_mov_b32_e32 v8, 0
	s_mov_b32 s1, 0
.LBB53_25:                              ; =>This Inner Loop Header: Depth=1
	scratch_load_b64 v[9:10], v6, off
	ds_load_b64 v[11:12], v5
	v_add_nc_u32_e32 v6, 8, v6
	s_wait_loadcnt_dscnt 0x0
	v_dual_mul_f32 v14, v12, v10 :: v_dual_add_nc_u32 v5, 8, v5
	v_mul_f32_e32 v10, v11, v10
	s_delay_alu instid0(VALU_DEP_2) | instskip(NEXT) | instid1(VALU_DEP_2)
	v_fma_f32 v11, v11, v9, -v14
	v_fmac_f32_e32 v10, v12, v9
	v_add_nc_u32_e32 v4, 1, v4
	s_delay_alu instid0(VALU_DEP_2) | instskip(NEXT) | instid1(VALU_DEP_2)
	v_dual_add_f32 v8, v8, v11 :: v_dual_add_f32 v3, v3, v10
	v_cmp_lt_u32_e32 vcc_lo, 1, v4
	s_wait_alu 0xfffe
	s_or_b32 s1, vcc_lo, s1
	s_wait_alu 0xfffe
	s_and_not1_b32 exec_lo, exec_lo, s1
	s_cbranch_execnz .LBB53_25
; %bb.26:
	s_or_b32 exec_lo, exec_lo, s1
	v_mov_b32_e32 v4, 0
	ds_load_b64 v[4:5], v4 offset:24
	s_wait_dscnt 0x0
	v_mul_f32_e32 v9, v3, v5
	v_mul_f32_e32 v6, v8, v5
	s_delay_alu instid0(VALU_DEP_2) | instskip(NEXT) | instid1(VALU_DEP_2)
	v_fma_f32 v5, v8, v4, -v9
	v_fmac_f32_e32 v6, v3, v4
	scratch_store_b64 off, v[5:6], off offset:24
.LBB53_27:
	s_wait_alu 0xfffe
	s_or_b32 exec_lo, exec_lo, s0
	s_wait_loadcnt 0x0
	s_wait_storecnt 0x0
	s_barrier_signal -1
	s_barrier_wait -1
	global_inv scope:SCOPE_SE
	scratch_load_b64 v[3:4], off, off offset:32
	s_mov_b32 s0, exec_lo
	s_wait_loadcnt 0x0
	ds_store_b64 v1, v[3:4]
	s_wait_dscnt 0x0
	s_barrier_signal -1
	s_barrier_wait -1
	global_inv scope:SCOPE_SE
	v_cmpx_gt_u32_e32 4, v0
	s_cbranch_execz .LBB53_31
; %bb.28:
	v_dual_mov_b32 v3, 0 :: v_dual_add_nc_u32 v4, -1, v0
	v_dual_mov_b32 v6, v13 :: v_dual_add_nc_u32 v5, 0x1b0, v13
	v_mov_b32_e32 v8, 0
	s_mov_b32 s1, 0
.LBB53_29:                              ; =>This Inner Loop Header: Depth=1
	scratch_load_b64 v[9:10], v6, off
	ds_load_b64 v[11:12], v5
	v_add_nc_u32_e32 v6, 8, v6
	s_wait_loadcnt_dscnt 0x0
	v_dual_mul_f32 v14, v12, v10 :: v_dual_add_nc_u32 v5, 8, v5
	v_mul_f32_e32 v10, v11, v10
	s_delay_alu instid0(VALU_DEP_2) | instskip(NEXT) | instid1(VALU_DEP_2)
	v_fma_f32 v11, v11, v9, -v14
	v_fmac_f32_e32 v10, v12, v9
	v_add_nc_u32_e32 v4, 1, v4
	s_delay_alu instid0(VALU_DEP_2) | instskip(NEXT) | instid1(VALU_DEP_2)
	v_dual_add_f32 v8, v8, v11 :: v_dual_add_f32 v3, v3, v10
	v_cmp_lt_u32_e32 vcc_lo, 2, v4
	s_wait_alu 0xfffe
	s_or_b32 s1, vcc_lo, s1
	s_wait_alu 0xfffe
	s_and_not1_b32 exec_lo, exec_lo, s1
	s_cbranch_execnz .LBB53_29
; %bb.30:
	s_or_b32 exec_lo, exec_lo, s1
	v_mov_b32_e32 v4, 0
	ds_load_b64 v[4:5], v4 offset:32
	s_wait_dscnt 0x0
	v_mul_f32_e32 v9, v3, v5
	v_mul_f32_e32 v6, v8, v5
	s_delay_alu instid0(VALU_DEP_2) | instskip(NEXT) | instid1(VALU_DEP_2)
	v_fma_f32 v5, v8, v4, -v9
	v_fmac_f32_e32 v6, v3, v4
	scratch_store_b64 off, v[5:6], off offset:32
.LBB53_31:
	s_wait_alu 0xfffe
	s_or_b32 exec_lo, exec_lo, s0
	s_wait_loadcnt 0x0
	s_wait_storecnt 0x0
	s_barrier_signal -1
	s_barrier_wait -1
	global_inv scope:SCOPE_SE
	scratch_load_b64 v[3:4], off, off offset:40
	;; [unrolled: 53-line block ×19, first 2 shown]
	s_mov_b32 s0, exec_lo
	s_wait_loadcnt 0x0
	ds_store_b64 v1, v[3:4]
	s_wait_dscnt 0x0
	s_barrier_signal -1
	s_barrier_wait -1
	global_inv scope:SCOPE_SE
	v_cmpx_gt_u32_e32 22, v0
	s_cbranch_execz .LBB53_103
; %bb.100:
	v_dual_mov_b32 v3, 0 :: v_dual_add_nc_u32 v4, -1, v0
	v_dual_mov_b32 v6, v13 :: v_dual_add_nc_u32 v5, 0x1b0, v13
	v_mov_b32_e32 v8, 0
	s_mov_b32 s1, 0
.LBB53_101:                             ; =>This Inner Loop Header: Depth=1
	scratch_load_b64 v[9:10], v6, off
	ds_load_b64 v[11:12], v5
	v_add_nc_u32_e32 v6, 8, v6
	s_wait_loadcnt_dscnt 0x0
	v_dual_mul_f32 v14, v12, v10 :: v_dual_add_nc_u32 v5, 8, v5
	v_mul_f32_e32 v10, v11, v10
	s_delay_alu instid0(VALU_DEP_2) | instskip(NEXT) | instid1(VALU_DEP_2)
	v_fma_f32 v11, v11, v9, -v14
	v_fmac_f32_e32 v10, v12, v9
	v_add_nc_u32_e32 v4, 1, v4
	s_delay_alu instid0(VALU_DEP_2) | instskip(NEXT) | instid1(VALU_DEP_2)
	v_dual_add_f32 v8, v8, v11 :: v_dual_add_f32 v3, v3, v10
	v_cmp_lt_u32_e32 vcc_lo, 20, v4
	s_wait_alu 0xfffe
	s_or_b32 s1, vcc_lo, s1
	s_wait_alu 0xfffe
	s_and_not1_b32 exec_lo, exec_lo, s1
	s_cbranch_execnz .LBB53_101
; %bb.102:
	s_or_b32 exec_lo, exec_lo, s1
	v_mov_b32_e32 v4, 0
	ds_load_b64 v[4:5], v4 offset:176
	s_wait_dscnt 0x0
	v_mul_f32_e32 v9, v3, v5
	v_mul_f32_e32 v6, v8, v5
	s_delay_alu instid0(VALU_DEP_2) | instskip(NEXT) | instid1(VALU_DEP_2)
	v_fma_f32 v5, v8, v4, -v9
	v_fmac_f32_e32 v6, v3, v4
	scratch_store_b64 off, v[5:6], off offset:176
.LBB53_103:
	s_wait_alu 0xfffe
	s_or_b32 exec_lo, exec_lo, s0
	s_wait_loadcnt 0x0
	s_wait_storecnt 0x0
	s_barrier_signal -1
	s_barrier_wait -1
	global_inv scope:SCOPE_SE
	scratch_load_b64 v[3:4], off, off offset:184
	s_mov_b32 s0, exec_lo
	s_wait_loadcnt 0x0
	ds_store_b64 v1, v[3:4]
	s_wait_dscnt 0x0
	s_barrier_signal -1
	s_barrier_wait -1
	global_inv scope:SCOPE_SE
	v_cmpx_gt_u32_e32 23, v0
	s_cbranch_execz .LBB53_107
; %bb.104:
	v_dual_mov_b32 v3, 0 :: v_dual_add_nc_u32 v4, -1, v0
	v_dual_mov_b32 v6, v13 :: v_dual_add_nc_u32 v5, 0x1b0, v13
	v_mov_b32_e32 v8, 0
	s_mov_b32 s1, 0
.LBB53_105:                             ; =>This Inner Loop Header: Depth=1
	scratch_load_b64 v[9:10], v6, off
	ds_load_b64 v[11:12], v5
	v_add_nc_u32_e32 v6, 8, v6
	s_wait_loadcnt_dscnt 0x0
	v_dual_mul_f32 v14, v12, v10 :: v_dual_add_nc_u32 v5, 8, v5
	v_mul_f32_e32 v10, v11, v10
	s_delay_alu instid0(VALU_DEP_2) | instskip(NEXT) | instid1(VALU_DEP_2)
	v_fma_f32 v11, v11, v9, -v14
	v_fmac_f32_e32 v10, v12, v9
	v_add_nc_u32_e32 v4, 1, v4
	s_delay_alu instid0(VALU_DEP_2) | instskip(NEXT) | instid1(VALU_DEP_2)
	v_dual_add_f32 v8, v8, v11 :: v_dual_add_f32 v3, v3, v10
	v_cmp_lt_u32_e32 vcc_lo, 21, v4
	s_wait_alu 0xfffe
	s_or_b32 s1, vcc_lo, s1
	s_wait_alu 0xfffe
	s_and_not1_b32 exec_lo, exec_lo, s1
	s_cbranch_execnz .LBB53_105
; %bb.106:
	s_or_b32 exec_lo, exec_lo, s1
	v_mov_b32_e32 v4, 0
	ds_load_b64 v[4:5], v4 offset:184
	s_wait_dscnt 0x0
	v_mul_f32_e32 v9, v3, v5
	v_mul_f32_e32 v6, v8, v5
	s_delay_alu instid0(VALU_DEP_2) | instskip(NEXT) | instid1(VALU_DEP_2)
	v_fma_f32 v5, v8, v4, -v9
	v_fmac_f32_e32 v6, v3, v4
	scratch_store_b64 off, v[5:6], off offset:184
.LBB53_107:
	s_wait_alu 0xfffe
	s_or_b32 exec_lo, exec_lo, s0
	s_wait_loadcnt 0x0
	s_wait_storecnt 0x0
	s_barrier_signal -1
	s_barrier_wait -1
	global_inv scope:SCOPE_SE
	scratch_load_b64 v[3:4], off, off offset:192
	s_mov_b32 s0, exec_lo
	s_wait_loadcnt 0x0
	ds_store_b64 v1, v[3:4]
	s_wait_dscnt 0x0
	s_barrier_signal -1
	s_barrier_wait -1
	global_inv scope:SCOPE_SE
	v_cmpx_gt_u32_e32 24, v0
	s_cbranch_execz .LBB53_111
; %bb.108:
	v_dual_mov_b32 v3, 0 :: v_dual_add_nc_u32 v4, -1, v0
	v_dual_mov_b32 v6, v13 :: v_dual_add_nc_u32 v5, 0x1b0, v13
	v_mov_b32_e32 v8, 0
	s_mov_b32 s1, 0
.LBB53_109:                             ; =>This Inner Loop Header: Depth=1
	scratch_load_b64 v[9:10], v6, off
	ds_load_b64 v[11:12], v5
	v_add_nc_u32_e32 v6, 8, v6
	s_wait_loadcnt_dscnt 0x0
	v_dual_mul_f32 v14, v12, v10 :: v_dual_add_nc_u32 v5, 8, v5
	v_mul_f32_e32 v10, v11, v10
	s_delay_alu instid0(VALU_DEP_2) | instskip(NEXT) | instid1(VALU_DEP_2)
	v_fma_f32 v11, v11, v9, -v14
	v_fmac_f32_e32 v10, v12, v9
	v_add_nc_u32_e32 v4, 1, v4
	s_delay_alu instid0(VALU_DEP_2) | instskip(NEXT) | instid1(VALU_DEP_2)
	v_dual_add_f32 v8, v8, v11 :: v_dual_add_f32 v3, v3, v10
	v_cmp_lt_u32_e32 vcc_lo, 22, v4
	s_wait_alu 0xfffe
	s_or_b32 s1, vcc_lo, s1
	s_wait_alu 0xfffe
	s_and_not1_b32 exec_lo, exec_lo, s1
	s_cbranch_execnz .LBB53_109
; %bb.110:
	s_or_b32 exec_lo, exec_lo, s1
	v_mov_b32_e32 v4, 0
	ds_load_b64 v[4:5], v4 offset:192
	s_wait_dscnt 0x0
	v_mul_f32_e32 v9, v3, v5
	v_mul_f32_e32 v6, v8, v5
	s_delay_alu instid0(VALU_DEP_2) | instskip(NEXT) | instid1(VALU_DEP_2)
	v_fma_f32 v5, v8, v4, -v9
	v_fmac_f32_e32 v6, v3, v4
	scratch_store_b64 off, v[5:6], off offset:192
.LBB53_111:
	s_wait_alu 0xfffe
	s_or_b32 exec_lo, exec_lo, s0
	s_wait_loadcnt 0x0
	s_wait_storecnt 0x0
	s_barrier_signal -1
	s_barrier_wait -1
	global_inv scope:SCOPE_SE
	scratch_load_b64 v[3:4], off, off offset:200
	s_mov_b32 s0, exec_lo
	s_wait_loadcnt 0x0
	ds_store_b64 v1, v[3:4]
	s_wait_dscnt 0x0
	s_barrier_signal -1
	s_barrier_wait -1
	global_inv scope:SCOPE_SE
	v_cmpx_gt_u32_e32 25, v0
	s_cbranch_execz .LBB53_115
; %bb.112:
	v_dual_mov_b32 v3, 0 :: v_dual_add_nc_u32 v4, -1, v0
	v_dual_mov_b32 v6, v13 :: v_dual_add_nc_u32 v5, 0x1b0, v13
	v_mov_b32_e32 v8, 0
	s_mov_b32 s1, 0
.LBB53_113:                             ; =>This Inner Loop Header: Depth=1
	scratch_load_b64 v[9:10], v6, off
	ds_load_b64 v[11:12], v5
	v_add_nc_u32_e32 v6, 8, v6
	s_wait_loadcnt_dscnt 0x0
	v_dual_mul_f32 v14, v12, v10 :: v_dual_add_nc_u32 v5, 8, v5
	v_mul_f32_e32 v10, v11, v10
	s_delay_alu instid0(VALU_DEP_2) | instskip(NEXT) | instid1(VALU_DEP_2)
	v_fma_f32 v11, v11, v9, -v14
	v_fmac_f32_e32 v10, v12, v9
	v_add_nc_u32_e32 v4, 1, v4
	s_delay_alu instid0(VALU_DEP_2) | instskip(NEXT) | instid1(VALU_DEP_2)
	v_dual_add_f32 v8, v8, v11 :: v_dual_add_f32 v3, v3, v10
	v_cmp_lt_u32_e32 vcc_lo, 23, v4
	s_wait_alu 0xfffe
	s_or_b32 s1, vcc_lo, s1
	s_wait_alu 0xfffe
	s_and_not1_b32 exec_lo, exec_lo, s1
	s_cbranch_execnz .LBB53_113
; %bb.114:
	s_or_b32 exec_lo, exec_lo, s1
	v_mov_b32_e32 v4, 0
	ds_load_b64 v[4:5], v4 offset:200
	s_wait_dscnt 0x0
	v_mul_f32_e32 v9, v3, v5
	v_mul_f32_e32 v6, v8, v5
	s_delay_alu instid0(VALU_DEP_2) | instskip(NEXT) | instid1(VALU_DEP_2)
	v_fma_f32 v5, v8, v4, -v9
	v_fmac_f32_e32 v6, v3, v4
	scratch_store_b64 off, v[5:6], off offset:200
.LBB53_115:
	s_wait_alu 0xfffe
	s_or_b32 exec_lo, exec_lo, s0
	s_wait_loadcnt 0x0
	s_wait_storecnt 0x0
	s_barrier_signal -1
	s_barrier_wait -1
	global_inv scope:SCOPE_SE
	scratch_load_b64 v[3:4], off, off offset:208
	s_mov_b32 s0, exec_lo
	s_wait_loadcnt 0x0
	ds_store_b64 v1, v[3:4]
	s_wait_dscnt 0x0
	s_barrier_signal -1
	s_barrier_wait -1
	global_inv scope:SCOPE_SE
	v_cmpx_gt_u32_e32 26, v0
	s_cbranch_execz .LBB53_119
; %bb.116:
	v_dual_mov_b32 v3, 0 :: v_dual_add_nc_u32 v4, -1, v0
	v_dual_mov_b32 v6, v13 :: v_dual_add_nc_u32 v5, 0x1b0, v13
	v_mov_b32_e32 v8, 0
	s_mov_b32 s1, 0
.LBB53_117:                             ; =>This Inner Loop Header: Depth=1
	scratch_load_b64 v[9:10], v6, off
	ds_load_b64 v[11:12], v5
	v_add_nc_u32_e32 v6, 8, v6
	s_wait_loadcnt_dscnt 0x0
	v_dual_mul_f32 v14, v12, v10 :: v_dual_add_nc_u32 v5, 8, v5
	v_mul_f32_e32 v10, v11, v10
	s_delay_alu instid0(VALU_DEP_2) | instskip(NEXT) | instid1(VALU_DEP_2)
	v_fma_f32 v11, v11, v9, -v14
	v_fmac_f32_e32 v10, v12, v9
	v_add_nc_u32_e32 v4, 1, v4
	s_delay_alu instid0(VALU_DEP_2) | instskip(NEXT) | instid1(VALU_DEP_2)
	v_dual_add_f32 v8, v8, v11 :: v_dual_add_f32 v3, v3, v10
	v_cmp_lt_u32_e32 vcc_lo, 24, v4
	s_wait_alu 0xfffe
	s_or_b32 s1, vcc_lo, s1
	s_wait_alu 0xfffe
	s_and_not1_b32 exec_lo, exec_lo, s1
	s_cbranch_execnz .LBB53_117
; %bb.118:
	s_or_b32 exec_lo, exec_lo, s1
	v_mov_b32_e32 v4, 0
	ds_load_b64 v[4:5], v4 offset:208
	s_wait_dscnt 0x0
	v_mul_f32_e32 v9, v3, v5
	v_mul_f32_e32 v6, v8, v5
	s_delay_alu instid0(VALU_DEP_2) | instskip(NEXT) | instid1(VALU_DEP_2)
	v_fma_f32 v5, v8, v4, -v9
	v_fmac_f32_e32 v6, v3, v4
	scratch_store_b64 off, v[5:6], off offset:208
.LBB53_119:
	s_wait_alu 0xfffe
	s_or_b32 exec_lo, exec_lo, s0
	s_wait_loadcnt 0x0
	s_wait_storecnt 0x0
	s_barrier_signal -1
	s_barrier_wait -1
	global_inv scope:SCOPE_SE
	scratch_load_b64 v[3:4], off, off offset:216
	s_mov_b32 s0, exec_lo
	s_wait_loadcnt 0x0
	ds_store_b64 v1, v[3:4]
	s_wait_dscnt 0x0
	s_barrier_signal -1
	s_barrier_wait -1
	global_inv scope:SCOPE_SE
	v_cmpx_gt_u32_e32 27, v0
	s_cbranch_execz .LBB53_123
; %bb.120:
	v_dual_mov_b32 v3, 0 :: v_dual_add_nc_u32 v4, -1, v0
	v_dual_mov_b32 v6, v13 :: v_dual_add_nc_u32 v5, 0x1b0, v13
	v_mov_b32_e32 v8, 0
	s_mov_b32 s1, 0
.LBB53_121:                             ; =>This Inner Loop Header: Depth=1
	scratch_load_b64 v[9:10], v6, off
	ds_load_b64 v[11:12], v5
	v_add_nc_u32_e32 v6, 8, v6
	s_wait_loadcnt_dscnt 0x0
	v_dual_mul_f32 v14, v12, v10 :: v_dual_add_nc_u32 v5, 8, v5
	v_mul_f32_e32 v10, v11, v10
	s_delay_alu instid0(VALU_DEP_2) | instskip(NEXT) | instid1(VALU_DEP_2)
	v_fma_f32 v11, v11, v9, -v14
	v_fmac_f32_e32 v10, v12, v9
	v_add_nc_u32_e32 v4, 1, v4
	s_delay_alu instid0(VALU_DEP_2) | instskip(NEXT) | instid1(VALU_DEP_2)
	v_dual_add_f32 v8, v8, v11 :: v_dual_add_f32 v3, v3, v10
	v_cmp_lt_u32_e32 vcc_lo, 25, v4
	s_wait_alu 0xfffe
	s_or_b32 s1, vcc_lo, s1
	s_wait_alu 0xfffe
	s_and_not1_b32 exec_lo, exec_lo, s1
	s_cbranch_execnz .LBB53_121
; %bb.122:
	s_or_b32 exec_lo, exec_lo, s1
	v_mov_b32_e32 v4, 0
	ds_load_b64 v[4:5], v4 offset:216
	s_wait_dscnt 0x0
	v_mul_f32_e32 v9, v3, v5
	v_mul_f32_e32 v6, v8, v5
	s_delay_alu instid0(VALU_DEP_2) | instskip(NEXT) | instid1(VALU_DEP_2)
	v_fma_f32 v5, v8, v4, -v9
	v_fmac_f32_e32 v6, v3, v4
	scratch_store_b64 off, v[5:6], off offset:216
.LBB53_123:
	s_wait_alu 0xfffe
	s_or_b32 exec_lo, exec_lo, s0
	s_wait_loadcnt 0x0
	s_wait_storecnt 0x0
	s_barrier_signal -1
	s_barrier_wait -1
	global_inv scope:SCOPE_SE
	scratch_load_b64 v[3:4], off, off offset:224
	s_mov_b32 s0, exec_lo
	s_wait_loadcnt 0x0
	ds_store_b64 v1, v[3:4]
	s_wait_dscnt 0x0
	s_barrier_signal -1
	s_barrier_wait -1
	global_inv scope:SCOPE_SE
	v_cmpx_gt_u32_e32 28, v0
	s_cbranch_execz .LBB53_127
; %bb.124:
	v_dual_mov_b32 v3, 0 :: v_dual_add_nc_u32 v4, -1, v0
	v_dual_mov_b32 v6, v13 :: v_dual_add_nc_u32 v5, 0x1b0, v13
	v_mov_b32_e32 v8, 0
	s_mov_b32 s1, 0
.LBB53_125:                             ; =>This Inner Loop Header: Depth=1
	scratch_load_b64 v[9:10], v6, off
	ds_load_b64 v[11:12], v5
	v_add_nc_u32_e32 v6, 8, v6
	s_wait_loadcnt_dscnt 0x0
	v_dual_mul_f32 v14, v12, v10 :: v_dual_add_nc_u32 v5, 8, v5
	v_mul_f32_e32 v10, v11, v10
	s_delay_alu instid0(VALU_DEP_2) | instskip(NEXT) | instid1(VALU_DEP_2)
	v_fma_f32 v11, v11, v9, -v14
	v_fmac_f32_e32 v10, v12, v9
	v_add_nc_u32_e32 v4, 1, v4
	s_delay_alu instid0(VALU_DEP_2) | instskip(NEXT) | instid1(VALU_DEP_2)
	v_dual_add_f32 v8, v8, v11 :: v_dual_add_f32 v3, v3, v10
	v_cmp_lt_u32_e32 vcc_lo, 26, v4
	s_wait_alu 0xfffe
	s_or_b32 s1, vcc_lo, s1
	s_wait_alu 0xfffe
	s_and_not1_b32 exec_lo, exec_lo, s1
	s_cbranch_execnz .LBB53_125
; %bb.126:
	s_or_b32 exec_lo, exec_lo, s1
	v_mov_b32_e32 v4, 0
	ds_load_b64 v[4:5], v4 offset:224
	s_wait_dscnt 0x0
	v_mul_f32_e32 v9, v3, v5
	v_mul_f32_e32 v6, v8, v5
	s_delay_alu instid0(VALU_DEP_2) | instskip(NEXT) | instid1(VALU_DEP_2)
	v_fma_f32 v5, v8, v4, -v9
	v_fmac_f32_e32 v6, v3, v4
	scratch_store_b64 off, v[5:6], off offset:224
.LBB53_127:
	s_wait_alu 0xfffe
	s_or_b32 exec_lo, exec_lo, s0
	s_wait_loadcnt 0x0
	s_wait_storecnt 0x0
	s_barrier_signal -1
	s_barrier_wait -1
	global_inv scope:SCOPE_SE
	scratch_load_b64 v[3:4], off, off offset:232
	s_mov_b32 s0, exec_lo
	s_wait_loadcnt 0x0
	ds_store_b64 v1, v[3:4]
	s_wait_dscnt 0x0
	s_barrier_signal -1
	s_barrier_wait -1
	global_inv scope:SCOPE_SE
	v_cmpx_gt_u32_e32 29, v0
	s_cbranch_execz .LBB53_131
; %bb.128:
	v_dual_mov_b32 v3, 0 :: v_dual_add_nc_u32 v4, -1, v0
	v_dual_mov_b32 v6, v13 :: v_dual_add_nc_u32 v5, 0x1b0, v13
	v_mov_b32_e32 v8, 0
	s_mov_b32 s1, 0
.LBB53_129:                             ; =>This Inner Loop Header: Depth=1
	scratch_load_b64 v[9:10], v6, off
	ds_load_b64 v[11:12], v5
	v_add_nc_u32_e32 v6, 8, v6
	s_wait_loadcnt_dscnt 0x0
	v_dual_mul_f32 v14, v12, v10 :: v_dual_add_nc_u32 v5, 8, v5
	v_mul_f32_e32 v10, v11, v10
	s_delay_alu instid0(VALU_DEP_2) | instskip(NEXT) | instid1(VALU_DEP_2)
	v_fma_f32 v11, v11, v9, -v14
	v_fmac_f32_e32 v10, v12, v9
	v_add_nc_u32_e32 v4, 1, v4
	s_delay_alu instid0(VALU_DEP_2) | instskip(NEXT) | instid1(VALU_DEP_2)
	v_dual_add_f32 v8, v8, v11 :: v_dual_add_f32 v3, v3, v10
	v_cmp_lt_u32_e32 vcc_lo, 27, v4
	s_wait_alu 0xfffe
	s_or_b32 s1, vcc_lo, s1
	s_wait_alu 0xfffe
	s_and_not1_b32 exec_lo, exec_lo, s1
	s_cbranch_execnz .LBB53_129
; %bb.130:
	s_or_b32 exec_lo, exec_lo, s1
	v_mov_b32_e32 v4, 0
	ds_load_b64 v[4:5], v4 offset:232
	s_wait_dscnt 0x0
	v_mul_f32_e32 v9, v3, v5
	v_mul_f32_e32 v6, v8, v5
	s_delay_alu instid0(VALU_DEP_2) | instskip(NEXT) | instid1(VALU_DEP_2)
	v_fma_f32 v5, v8, v4, -v9
	v_fmac_f32_e32 v6, v3, v4
	scratch_store_b64 off, v[5:6], off offset:232
.LBB53_131:
	s_wait_alu 0xfffe
	s_or_b32 exec_lo, exec_lo, s0
	s_wait_loadcnt 0x0
	s_wait_storecnt 0x0
	s_barrier_signal -1
	s_barrier_wait -1
	global_inv scope:SCOPE_SE
	scratch_load_b64 v[3:4], off, off offset:240
	s_mov_b32 s0, exec_lo
	s_wait_loadcnt 0x0
	ds_store_b64 v1, v[3:4]
	s_wait_dscnt 0x0
	s_barrier_signal -1
	s_barrier_wait -1
	global_inv scope:SCOPE_SE
	v_cmpx_gt_u32_e32 30, v0
	s_cbranch_execz .LBB53_135
; %bb.132:
	v_dual_mov_b32 v3, 0 :: v_dual_add_nc_u32 v4, -1, v0
	v_dual_mov_b32 v6, v13 :: v_dual_add_nc_u32 v5, 0x1b0, v13
	v_mov_b32_e32 v8, 0
	s_mov_b32 s1, 0
.LBB53_133:                             ; =>This Inner Loop Header: Depth=1
	scratch_load_b64 v[9:10], v6, off
	ds_load_b64 v[11:12], v5
	v_add_nc_u32_e32 v6, 8, v6
	s_wait_loadcnt_dscnt 0x0
	v_dual_mul_f32 v14, v12, v10 :: v_dual_add_nc_u32 v5, 8, v5
	v_mul_f32_e32 v10, v11, v10
	s_delay_alu instid0(VALU_DEP_2) | instskip(NEXT) | instid1(VALU_DEP_2)
	v_fma_f32 v11, v11, v9, -v14
	v_fmac_f32_e32 v10, v12, v9
	v_add_nc_u32_e32 v4, 1, v4
	s_delay_alu instid0(VALU_DEP_2) | instskip(NEXT) | instid1(VALU_DEP_2)
	v_dual_add_f32 v8, v8, v11 :: v_dual_add_f32 v3, v3, v10
	v_cmp_lt_u32_e32 vcc_lo, 28, v4
	s_wait_alu 0xfffe
	s_or_b32 s1, vcc_lo, s1
	s_wait_alu 0xfffe
	s_and_not1_b32 exec_lo, exec_lo, s1
	s_cbranch_execnz .LBB53_133
; %bb.134:
	s_or_b32 exec_lo, exec_lo, s1
	v_mov_b32_e32 v4, 0
	ds_load_b64 v[4:5], v4 offset:240
	s_wait_dscnt 0x0
	v_mul_f32_e32 v9, v3, v5
	v_mul_f32_e32 v6, v8, v5
	s_delay_alu instid0(VALU_DEP_2) | instskip(NEXT) | instid1(VALU_DEP_2)
	v_fma_f32 v5, v8, v4, -v9
	v_fmac_f32_e32 v6, v3, v4
	scratch_store_b64 off, v[5:6], off offset:240
.LBB53_135:
	s_wait_alu 0xfffe
	s_or_b32 exec_lo, exec_lo, s0
	s_wait_loadcnt 0x0
	s_wait_storecnt 0x0
	s_barrier_signal -1
	s_barrier_wait -1
	global_inv scope:SCOPE_SE
	scratch_load_b64 v[3:4], off, off offset:248
	s_mov_b32 s0, exec_lo
	s_wait_loadcnt 0x0
	ds_store_b64 v1, v[3:4]
	s_wait_dscnt 0x0
	s_barrier_signal -1
	s_barrier_wait -1
	global_inv scope:SCOPE_SE
	v_cmpx_gt_u32_e32 31, v0
	s_cbranch_execz .LBB53_139
; %bb.136:
	v_dual_mov_b32 v3, 0 :: v_dual_add_nc_u32 v4, -1, v0
	v_dual_mov_b32 v6, v13 :: v_dual_add_nc_u32 v5, 0x1b0, v13
	v_mov_b32_e32 v8, 0
	s_mov_b32 s1, 0
.LBB53_137:                             ; =>This Inner Loop Header: Depth=1
	scratch_load_b64 v[9:10], v6, off
	ds_load_b64 v[11:12], v5
	v_add_nc_u32_e32 v6, 8, v6
	s_wait_loadcnt_dscnt 0x0
	v_dual_mul_f32 v14, v12, v10 :: v_dual_add_nc_u32 v5, 8, v5
	v_mul_f32_e32 v10, v11, v10
	s_delay_alu instid0(VALU_DEP_2) | instskip(NEXT) | instid1(VALU_DEP_2)
	v_fma_f32 v11, v11, v9, -v14
	v_fmac_f32_e32 v10, v12, v9
	v_add_nc_u32_e32 v4, 1, v4
	s_delay_alu instid0(VALU_DEP_2) | instskip(NEXT) | instid1(VALU_DEP_2)
	v_dual_add_f32 v8, v8, v11 :: v_dual_add_f32 v3, v3, v10
	v_cmp_lt_u32_e32 vcc_lo, 29, v4
	s_wait_alu 0xfffe
	s_or_b32 s1, vcc_lo, s1
	s_wait_alu 0xfffe
	s_and_not1_b32 exec_lo, exec_lo, s1
	s_cbranch_execnz .LBB53_137
; %bb.138:
	s_or_b32 exec_lo, exec_lo, s1
	v_mov_b32_e32 v4, 0
	ds_load_b64 v[4:5], v4 offset:248
	s_wait_dscnt 0x0
	v_mul_f32_e32 v9, v3, v5
	v_mul_f32_e32 v6, v8, v5
	s_delay_alu instid0(VALU_DEP_2) | instskip(NEXT) | instid1(VALU_DEP_2)
	v_fma_f32 v5, v8, v4, -v9
	v_fmac_f32_e32 v6, v3, v4
	scratch_store_b64 off, v[5:6], off offset:248
.LBB53_139:
	s_wait_alu 0xfffe
	s_or_b32 exec_lo, exec_lo, s0
	s_wait_loadcnt 0x0
	s_wait_storecnt 0x0
	s_barrier_signal -1
	s_barrier_wait -1
	global_inv scope:SCOPE_SE
	scratch_load_b64 v[3:4], off, off offset:256
	s_mov_b32 s0, exec_lo
	s_wait_loadcnt 0x0
	ds_store_b64 v1, v[3:4]
	s_wait_dscnt 0x0
	s_barrier_signal -1
	s_barrier_wait -1
	global_inv scope:SCOPE_SE
	v_cmpx_gt_u32_e32 32, v0
	s_cbranch_execz .LBB53_143
; %bb.140:
	v_dual_mov_b32 v3, 0 :: v_dual_add_nc_u32 v4, -1, v0
	v_dual_mov_b32 v6, v13 :: v_dual_add_nc_u32 v5, 0x1b0, v13
	v_mov_b32_e32 v8, 0
	s_mov_b32 s1, 0
.LBB53_141:                             ; =>This Inner Loop Header: Depth=1
	scratch_load_b64 v[9:10], v6, off
	ds_load_b64 v[11:12], v5
	v_add_nc_u32_e32 v6, 8, v6
	s_wait_loadcnt_dscnt 0x0
	v_dual_mul_f32 v14, v12, v10 :: v_dual_add_nc_u32 v5, 8, v5
	v_mul_f32_e32 v10, v11, v10
	s_delay_alu instid0(VALU_DEP_2) | instskip(NEXT) | instid1(VALU_DEP_2)
	v_fma_f32 v11, v11, v9, -v14
	v_fmac_f32_e32 v10, v12, v9
	v_add_nc_u32_e32 v4, 1, v4
	s_delay_alu instid0(VALU_DEP_2) | instskip(NEXT) | instid1(VALU_DEP_2)
	v_dual_add_f32 v8, v8, v11 :: v_dual_add_f32 v3, v3, v10
	v_cmp_lt_u32_e32 vcc_lo, 30, v4
	s_wait_alu 0xfffe
	s_or_b32 s1, vcc_lo, s1
	s_wait_alu 0xfffe
	s_and_not1_b32 exec_lo, exec_lo, s1
	s_cbranch_execnz .LBB53_141
; %bb.142:
	s_or_b32 exec_lo, exec_lo, s1
	v_mov_b32_e32 v4, 0
	ds_load_b64 v[4:5], v4 offset:256
	s_wait_dscnt 0x0
	v_mul_f32_e32 v9, v3, v5
	v_mul_f32_e32 v6, v8, v5
	s_delay_alu instid0(VALU_DEP_2) | instskip(NEXT) | instid1(VALU_DEP_2)
	v_fma_f32 v5, v8, v4, -v9
	v_fmac_f32_e32 v6, v3, v4
	scratch_store_b64 off, v[5:6], off offset:256
.LBB53_143:
	s_wait_alu 0xfffe
	s_or_b32 exec_lo, exec_lo, s0
	s_wait_loadcnt 0x0
	s_wait_storecnt 0x0
	s_barrier_signal -1
	s_barrier_wait -1
	global_inv scope:SCOPE_SE
	scratch_load_b64 v[3:4], off, off offset:264
	s_mov_b32 s0, exec_lo
	s_wait_loadcnt 0x0
	ds_store_b64 v1, v[3:4]
	s_wait_dscnt 0x0
	s_barrier_signal -1
	s_barrier_wait -1
	global_inv scope:SCOPE_SE
	v_cmpx_gt_u32_e32 33, v0
	s_cbranch_execz .LBB53_147
; %bb.144:
	v_dual_mov_b32 v3, 0 :: v_dual_add_nc_u32 v4, -1, v0
	v_dual_mov_b32 v6, v13 :: v_dual_add_nc_u32 v5, 0x1b0, v13
	v_mov_b32_e32 v8, 0
	s_mov_b32 s1, 0
.LBB53_145:                             ; =>This Inner Loop Header: Depth=1
	scratch_load_b64 v[9:10], v6, off
	ds_load_b64 v[11:12], v5
	v_add_nc_u32_e32 v6, 8, v6
	s_wait_loadcnt_dscnt 0x0
	v_dual_mul_f32 v14, v12, v10 :: v_dual_add_nc_u32 v5, 8, v5
	v_mul_f32_e32 v10, v11, v10
	s_delay_alu instid0(VALU_DEP_2) | instskip(NEXT) | instid1(VALU_DEP_2)
	v_fma_f32 v11, v11, v9, -v14
	v_fmac_f32_e32 v10, v12, v9
	v_add_nc_u32_e32 v4, 1, v4
	s_delay_alu instid0(VALU_DEP_2) | instskip(NEXT) | instid1(VALU_DEP_2)
	v_dual_add_f32 v8, v8, v11 :: v_dual_add_f32 v3, v3, v10
	v_cmp_lt_u32_e32 vcc_lo, 31, v4
	s_wait_alu 0xfffe
	s_or_b32 s1, vcc_lo, s1
	s_wait_alu 0xfffe
	s_and_not1_b32 exec_lo, exec_lo, s1
	s_cbranch_execnz .LBB53_145
; %bb.146:
	s_or_b32 exec_lo, exec_lo, s1
	v_mov_b32_e32 v4, 0
	ds_load_b64 v[4:5], v4 offset:264
	s_wait_dscnt 0x0
	v_mul_f32_e32 v9, v3, v5
	v_mul_f32_e32 v6, v8, v5
	s_delay_alu instid0(VALU_DEP_2) | instskip(NEXT) | instid1(VALU_DEP_2)
	v_fma_f32 v5, v8, v4, -v9
	v_fmac_f32_e32 v6, v3, v4
	scratch_store_b64 off, v[5:6], off offset:264
.LBB53_147:
	s_wait_alu 0xfffe
	s_or_b32 exec_lo, exec_lo, s0
	s_wait_loadcnt 0x0
	s_wait_storecnt 0x0
	s_barrier_signal -1
	s_barrier_wait -1
	global_inv scope:SCOPE_SE
	scratch_load_b64 v[3:4], off, off offset:272
	s_mov_b32 s0, exec_lo
	s_wait_loadcnt 0x0
	ds_store_b64 v1, v[3:4]
	s_wait_dscnt 0x0
	s_barrier_signal -1
	s_barrier_wait -1
	global_inv scope:SCOPE_SE
	v_cmpx_gt_u32_e32 34, v0
	s_cbranch_execz .LBB53_151
; %bb.148:
	v_dual_mov_b32 v3, 0 :: v_dual_add_nc_u32 v4, -1, v0
	v_dual_mov_b32 v6, v13 :: v_dual_add_nc_u32 v5, 0x1b0, v13
	v_mov_b32_e32 v8, 0
	s_mov_b32 s1, 0
.LBB53_149:                             ; =>This Inner Loop Header: Depth=1
	scratch_load_b64 v[9:10], v6, off
	ds_load_b64 v[11:12], v5
	v_add_nc_u32_e32 v6, 8, v6
	s_wait_loadcnt_dscnt 0x0
	v_dual_mul_f32 v14, v12, v10 :: v_dual_add_nc_u32 v5, 8, v5
	v_mul_f32_e32 v10, v11, v10
	s_delay_alu instid0(VALU_DEP_2) | instskip(NEXT) | instid1(VALU_DEP_2)
	v_fma_f32 v11, v11, v9, -v14
	v_fmac_f32_e32 v10, v12, v9
	v_add_nc_u32_e32 v4, 1, v4
	s_delay_alu instid0(VALU_DEP_2) | instskip(NEXT) | instid1(VALU_DEP_2)
	v_dual_add_f32 v8, v8, v11 :: v_dual_add_f32 v3, v3, v10
	v_cmp_lt_u32_e32 vcc_lo, 32, v4
	s_wait_alu 0xfffe
	s_or_b32 s1, vcc_lo, s1
	s_wait_alu 0xfffe
	s_and_not1_b32 exec_lo, exec_lo, s1
	s_cbranch_execnz .LBB53_149
; %bb.150:
	s_or_b32 exec_lo, exec_lo, s1
	v_mov_b32_e32 v4, 0
	ds_load_b64 v[4:5], v4 offset:272
	s_wait_dscnt 0x0
	v_mul_f32_e32 v9, v3, v5
	v_mul_f32_e32 v6, v8, v5
	s_delay_alu instid0(VALU_DEP_2) | instskip(NEXT) | instid1(VALU_DEP_2)
	v_fma_f32 v5, v8, v4, -v9
	v_fmac_f32_e32 v6, v3, v4
	scratch_store_b64 off, v[5:6], off offset:272
.LBB53_151:
	s_wait_alu 0xfffe
	s_or_b32 exec_lo, exec_lo, s0
	s_wait_loadcnt 0x0
	s_wait_storecnt 0x0
	s_barrier_signal -1
	s_barrier_wait -1
	global_inv scope:SCOPE_SE
	scratch_load_b64 v[3:4], off, off offset:280
	s_mov_b32 s0, exec_lo
	s_wait_loadcnt 0x0
	ds_store_b64 v1, v[3:4]
	s_wait_dscnt 0x0
	s_barrier_signal -1
	s_barrier_wait -1
	global_inv scope:SCOPE_SE
	v_cmpx_gt_u32_e32 35, v0
	s_cbranch_execz .LBB53_155
; %bb.152:
	v_dual_mov_b32 v3, 0 :: v_dual_add_nc_u32 v4, -1, v0
	v_dual_mov_b32 v6, v13 :: v_dual_add_nc_u32 v5, 0x1b0, v13
	v_mov_b32_e32 v8, 0
	s_mov_b32 s1, 0
.LBB53_153:                             ; =>This Inner Loop Header: Depth=1
	scratch_load_b64 v[9:10], v6, off
	ds_load_b64 v[11:12], v5
	v_add_nc_u32_e32 v6, 8, v6
	s_wait_loadcnt_dscnt 0x0
	v_dual_mul_f32 v14, v12, v10 :: v_dual_add_nc_u32 v5, 8, v5
	v_mul_f32_e32 v10, v11, v10
	s_delay_alu instid0(VALU_DEP_2) | instskip(NEXT) | instid1(VALU_DEP_2)
	v_fma_f32 v11, v11, v9, -v14
	v_fmac_f32_e32 v10, v12, v9
	v_add_nc_u32_e32 v4, 1, v4
	s_delay_alu instid0(VALU_DEP_2) | instskip(NEXT) | instid1(VALU_DEP_2)
	v_dual_add_f32 v8, v8, v11 :: v_dual_add_f32 v3, v3, v10
	v_cmp_lt_u32_e32 vcc_lo, 33, v4
	s_wait_alu 0xfffe
	s_or_b32 s1, vcc_lo, s1
	s_wait_alu 0xfffe
	s_and_not1_b32 exec_lo, exec_lo, s1
	s_cbranch_execnz .LBB53_153
; %bb.154:
	s_or_b32 exec_lo, exec_lo, s1
	v_mov_b32_e32 v4, 0
	ds_load_b64 v[4:5], v4 offset:280
	s_wait_dscnt 0x0
	v_mul_f32_e32 v9, v3, v5
	v_mul_f32_e32 v6, v8, v5
	s_delay_alu instid0(VALU_DEP_2) | instskip(NEXT) | instid1(VALU_DEP_2)
	v_fma_f32 v5, v8, v4, -v9
	v_fmac_f32_e32 v6, v3, v4
	scratch_store_b64 off, v[5:6], off offset:280
.LBB53_155:
	s_wait_alu 0xfffe
	s_or_b32 exec_lo, exec_lo, s0
	s_wait_loadcnt 0x0
	s_wait_storecnt 0x0
	s_barrier_signal -1
	s_barrier_wait -1
	global_inv scope:SCOPE_SE
	scratch_load_b64 v[3:4], off, off offset:288
	s_mov_b32 s0, exec_lo
	s_wait_loadcnt 0x0
	ds_store_b64 v1, v[3:4]
	s_wait_dscnt 0x0
	s_barrier_signal -1
	s_barrier_wait -1
	global_inv scope:SCOPE_SE
	v_cmpx_gt_u32_e32 36, v0
	s_cbranch_execz .LBB53_159
; %bb.156:
	v_dual_mov_b32 v3, 0 :: v_dual_add_nc_u32 v4, -1, v0
	v_dual_mov_b32 v6, v13 :: v_dual_add_nc_u32 v5, 0x1b0, v13
	v_mov_b32_e32 v8, 0
	s_mov_b32 s1, 0
.LBB53_157:                             ; =>This Inner Loop Header: Depth=1
	scratch_load_b64 v[9:10], v6, off
	ds_load_b64 v[11:12], v5
	v_add_nc_u32_e32 v6, 8, v6
	s_wait_loadcnt_dscnt 0x0
	v_dual_mul_f32 v14, v12, v10 :: v_dual_add_nc_u32 v5, 8, v5
	v_mul_f32_e32 v10, v11, v10
	s_delay_alu instid0(VALU_DEP_2) | instskip(NEXT) | instid1(VALU_DEP_2)
	v_fma_f32 v11, v11, v9, -v14
	v_fmac_f32_e32 v10, v12, v9
	v_add_nc_u32_e32 v4, 1, v4
	s_delay_alu instid0(VALU_DEP_2) | instskip(NEXT) | instid1(VALU_DEP_2)
	v_dual_add_f32 v8, v8, v11 :: v_dual_add_f32 v3, v3, v10
	v_cmp_lt_u32_e32 vcc_lo, 34, v4
	s_wait_alu 0xfffe
	s_or_b32 s1, vcc_lo, s1
	s_wait_alu 0xfffe
	s_and_not1_b32 exec_lo, exec_lo, s1
	s_cbranch_execnz .LBB53_157
; %bb.158:
	s_or_b32 exec_lo, exec_lo, s1
	v_mov_b32_e32 v4, 0
	ds_load_b64 v[4:5], v4 offset:288
	s_wait_dscnt 0x0
	v_mul_f32_e32 v9, v3, v5
	v_mul_f32_e32 v6, v8, v5
	s_delay_alu instid0(VALU_DEP_2) | instskip(NEXT) | instid1(VALU_DEP_2)
	v_fma_f32 v5, v8, v4, -v9
	v_fmac_f32_e32 v6, v3, v4
	scratch_store_b64 off, v[5:6], off offset:288
.LBB53_159:
	s_wait_alu 0xfffe
	s_or_b32 exec_lo, exec_lo, s0
	s_wait_loadcnt 0x0
	s_wait_storecnt 0x0
	s_barrier_signal -1
	s_barrier_wait -1
	global_inv scope:SCOPE_SE
	scratch_load_b64 v[3:4], off, off offset:296
	s_mov_b32 s0, exec_lo
	s_wait_loadcnt 0x0
	ds_store_b64 v1, v[3:4]
	s_wait_dscnt 0x0
	s_barrier_signal -1
	s_barrier_wait -1
	global_inv scope:SCOPE_SE
	v_cmpx_gt_u32_e32 37, v0
	s_cbranch_execz .LBB53_163
; %bb.160:
	v_dual_mov_b32 v3, 0 :: v_dual_add_nc_u32 v4, -1, v0
	v_dual_mov_b32 v6, v13 :: v_dual_add_nc_u32 v5, 0x1b0, v13
	v_mov_b32_e32 v8, 0
	s_mov_b32 s1, 0
.LBB53_161:                             ; =>This Inner Loop Header: Depth=1
	scratch_load_b64 v[9:10], v6, off
	ds_load_b64 v[11:12], v5
	v_add_nc_u32_e32 v6, 8, v6
	s_wait_loadcnt_dscnt 0x0
	v_dual_mul_f32 v14, v12, v10 :: v_dual_add_nc_u32 v5, 8, v5
	v_mul_f32_e32 v10, v11, v10
	s_delay_alu instid0(VALU_DEP_2) | instskip(NEXT) | instid1(VALU_DEP_2)
	v_fma_f32 v11, v11, v9, -v14
	v_fmac_f32_e32 v10, v12, v9
	v_add_nc_u32_e32 v4, 1, v4
	s_delay_alu instid0(VALU_DEP_2) | instskip(NEXT) | instid1(VALU_DEP_2)
	v_dual_add_f32 v8, v8, v11 :: v_dual_add_f32 v3, v3, v10
	v_cmp_lt_u32_e32 vcc_lo, 35, v4
	s_wait_alu 0xfffe
	s_or_b32 s1, vcc_lo, s1
	s_wait_alu 0xfffe
	s_and_not1_b32 exec_lo, exec_lo, s1
	s_cbranch_execnz .LBB53_161
; %bb.162:
	s_or_b32 exec_lo, exec_lo, s1
	v_mov_b32_e32 v4, 0
	ds_load_b64 v[4:5], v4 offset:296
	s_wait_dscnt 0x0
	v_mul_f32_e32 v9, v3, v5
	v_mul_f32_e32 v6, v8, v5
	s_delay_alu instid0(VALU_DEP_2) | instskip(NEXT) | instid1(VALU_DEP_2)
	v_fma_f32 v5, v8, v4, -v9
	v_fmac_f32_e32 v6, v3, v4
	scratch_store_b64 off, v[5:6], off offset:296
.LBB53_163:
	s_wait_alu 0xfffe
	s_or_b32 exec_lo, exec_lo, s0
	s_wait_loadcnt 0x0
	s_wait_storecnt 0x0
	s_barrier_signal -1
	s_barrier_wait -1
	global_inv scope:SCOPE_SE
	scratch_load_b64 v[3:4], off, off offset:304
	s_mov_b32 s0, exec_lo
	s_wait_loadcnt 0x0
	ds_store_b64 v1, v[3:4]
	s_wait_dscnt 0x0
	s_barrier_signal -1
	s_barrier_wait -1
	global_inv scope:SCOPE_SE
	v_cmpx_gt_u32_e32 38, v0
	s_cbranch_execz .LBB53_167
; %bb.164:
	v_dual_mov_b32 v3, 0 :: v_dual_add_nc_u32 v4, -1, v0
	v_dual_mov_b32 v6, v13 :: v_dual_add_nc_u32 v5, 0x1b0, v13
	v_mov_b32_e32 v8, 0
	s_mov_b32 s1, 0
.LBB53_165:                             ; =>This Inner Loop Header: Depth=1
	scratch_load_b64 v[9:10], v6, off
	ds_load_b64 v[11:12], v5
	v_add_nc_u32_e32 v6, 8, v6
	s_wait_loadcnt_dscnt 0x0
	v_dual_mul_f32 v14, v12, v10 :: v_dual_add_nc_u32 v5, 8, v5
	v_mul_f32_e32 v10, v11, v10
	s_delay_alu instid0(VALU_DEP_2) | instskip(NEXT) | instid1(VALU_DEP_2)
	v_fma_f32 v11, v11, v9, -v14
	v_fmac_f32_e32 v10, v12, v9
	v_add_nc_u32_e32 v4, 1, v4
	s_delay_alu instid0(VALU_DEP_2) | instskip(NEXT) | instid1(VALU_DEP_2)
	v_dual_add_f32 v8, v8, v11 :: v_dual_add_f32 v3, v3, v10
	v_cmp_lt_u32_e32 vcc_lo, 36, v4
	s_wait_alu 0xfffe
	s_or_b32 s1, vcc_lo, s1
	s_wait_alu 0xfffe
	s_and_not1_b32 exec_lo, exec_lo, s1
	s_cbranch_execnz .LBB53_165
; %bb.166:
	s_or_b32 exec_lo, exec_lo, s1
	v_mov_b32_e32 v4, 0
	ds_load_b64 v[4:5], v4 offset:304
	s_wait_dscnt 0x0
	v_mul_f32_e32 v9, v3, v5
	v_mul_f32_e32 v6, v8, v5
	s_delay_alu instid0(VALU_DEP_2) | instskip(NEXT) | instid1(VALU_DEP_2)
	v_fma_f32 v5, v8, v4, -v9
	v_fmac_f32_e32 v6, v3, v4
	scratch_store_b64 off, v[5:6], off offset:304
.LBB53_167:
	s_wait_alu 0xfffe
	s_or_b32 exec_lo, exec_lo, s0
	s_wait_loadcnt 0x0
	s_wait_storecnt 0x0
	s_barrier_signal -1
	s_barrier_wait -1
	global_inv scope:SCOPE_SE
	scratch_load_b64 v[3:4], off, off offset:312
	s_mov_b32 s0, exec_lo
	s_wait_loadcnt 0x0
	ds_store_b64 v1, v[3:4]
	s_wait_dscnt 0x0
	s_barrier_signal -1
	s_barrier_wait -1
	global_inv scope:SCOPE_SE
	v_cmpx_gt_u32_e32 39, v0
	s_cbranch_execz .LBB53_171
; %bb.168:
	v_dual_mov_b32 v3, 0 :: v_dual_add_nc_u32 v4, -1, v0
	v_dual_mov_b32 v6, v13 :: v_dual_add_nc_u32 v5, 0x1b0, v13
	v_mov_b32_e32 v8, 0
	s_mov_b32 s1, 0
.LBB53_169:                             ; =>This Inner Loop Header: Depth=1
	scratch_load_b64 v[9:10], v6, off
	ds_load_b64 v[11:12], v5
	v_add_nc_u32_e32 v6, 8, v6
	s_wait_loadcnt_dscnt 0x0
	v_dual_mul_f32 v14, v12, v10 :: v_dual_add_nc_u32 v5, 8, v5
	v_mul_f32_e32 v10, v11, v10
	s_delay_alu instid0(VALU_DEP_2) | instskip(NEXT) | instid1(VALU_DEP_2)
	v_fma_f32 v11, v11, v9, -v14
	v_fmac_f32_e32 v10, v12, v9
	v_add_nc_u32_e32 v4, 1, v4
	s_delay_alu instid0(VALU_DEP_2) | instskip(NEXT) | instid1(VALU_DEP_2)
	v_dual_add_f32 v8, v8, v11 :: v_dual_add_f32 v3, v3, v10
	v_cmp_lt_u32_e32 vcc_lo, 37, v4
	s_wait_alu 0xfffe
	s_or_b32 s1, vcc_lo, s1
	s_wait_alu 0xfffe
	s_and_not1_b32 exec_lo, exec_lo, s1
	s_cbranch_execnz .LBB53_169
; %bb.170:
	s_or_b32 exec_lo, exec_lo, s1
	v_mov_b32_e32 v4, 0
	ds_load_b64 v[4:5], v4 offset:312
	s_wait_dscnt 0x0
	v_mul_f32_e32 v9, v3, v5
	v_mul_f32_e32 v6, v8, v5
	s_delay_alu instid0(VALU_DEP_2) | instskip(NEXT) | instid1(VALU_DEP_2)
	v_fma_f32 v5, v8, v4, -v9
	v_fmac_f32_e32 v6, v3, v4
	scratch_store_b64 off, v[5:6], off offset:312
.LBB53_171:
	s_wait_alu 0xfffe
	s_or_b32 exec_lo, exec_lo, s0
	s_wait_loadcnt 0x0
	s_wait_storecnt 0x0
	s_barrier_signal -1
	s_barrier_wait -1
	global_inv scope:SCOPE_SE
	scratch_load_b64 v[3:4], off, off offset:320
	s_mov_b32 s0, exec_lo
	s_wait_loadcnt 0x0
	ds_store_b64 v1, v[3:4]
	s_wait_dscnt 0x0
	s_barrier_signal -1
	s_barrier_wait -1
	global_inv scope:SCOPE_SE
	v_cmpx_gt_u32_e32 40, v0
	s_cbranch_execz .LBB53_175
; %bb.172:
	v_dual_mov_b32 v3, 0 :: v_dual_add_nc_u32 v4, -1, v0
	v_dual_mov_b32 v6, v13 :: v_dual_add_nc_u32 v5, 0x1b0, v13
	v_mov_b32_e32 v8, 0
	s_mov_b32 s1, 0
.LBB53_173:                             ; =>This Inner Loop Header: Depth=1
	scratch_load_b64 v[9:10], v6, off
	ds_load_b64 v[11:12], v5
	v_add_nc_u32_e32 v6, 8, v6
	s_wait_loadcnt_dscnt 0x0
	v_dual_mul_f32 v14, v12, v10 :: v_dual_add_nc_u32 v5, 8, v5
	v_mul_f32_e32 v10, v11, v10
	s_delay_alu instid0(VALU_DEP_2) | instskip(NEXT) | instid1(VALU_DEP_2)
	v_fma_f32 v11, v11, v9, -v14
	v_fmac_f32_e32 v10, v12, v9
	v_add_nc_u32_e32 v4, 1, v4
	s_delay_alu instid0(VALU_DEP_2) | instskip(NEXT) | instid1(VALU_DEP_2)
	v_dual_add_f32 v8, v8, v11 :: v_dual_add_f32 v3, v3, v10
	v_cmp_lt_u32_e32 vcc_lo, 38, v4
	s_wait_alu 0xfffe
	s_or_b32 s1, vcc_lo, s1
	s_wait_alu 0xfffe
	s_and_not1_b32 exec_lo, exec_lo, s1
	s_cbranch_execnz .LBB53_173
; %bb.174:
	s_or_b32 exec_lo, exec_lo, s1
	v_mov_b32_e32 v4, 0
	ds_load_b64 v[4:5], v4 offset:320
	s_wait_dscnt 0x0
	v_mul_f32_e32 v9, v3, v5
	v_mul_f32_e32 v6, v8, v5
	s_delay_alu instid0(VALU_DEP_2) | instskip(NEXT) | instid1(VALU_DEP_2)
	v_fma_f32 v5, v8, v4, -v9
	v_fmac_f32_e32 v6, v3, v4
	scratch_store_b64 off, v[5:6], off offset:320
.LBB53_175:
	s_wait_alu 0xfffe
	s_or_b32 exec_lo, exec_lo, s0
	s_wait_loadcnt 0x0
	s_wait_storecnt 0x0
	s_barrier_signal -1
	s_barrier_wait -1
	global_inv scope:SCOPE_SE
	scratch_load_b64 v[3:4], off, off offset:328
	s_mov_b32 s0, exec_lo
	s_wait_loadcnt 0x0
	ds_store_b64 v1, v[3:4]
	s_wait_dscnt 0x0
	s_barrier_signal -1
	s_barrier_wait -1
	global_inv scope:SCOPE_SE
	v_cmpx_gt_u32_e32 41, v0
	s_cbranch_execz .LBB53_179
; %bb.176:
	v_dual_mov_b32 v3, 0 :: v_dual_add_nc_u32 v4, -1, v0
	v_dual_mov_b32 v6, v13 :: v_dual_add_nc_u32 v5, 0x1b0, v13
	v_mov_b32_e32 v8, 0
	s_mov_b32 s1, 0
.LBB53_177:                             ; =>This Inner Loop Header: Depth=1
	scratch_load_b64 v[9:10], v6, off
	ds_load_b64 v[11:12], v5
	v_add_nc_u32_e32 v6, 8, v6
	s_wait_loadcnt_dscnt 0x0
	v_dual_mul_f32 v14, v12, v10 :: v_dual_add_nc_u32 v5, 8, v5
	v_mul_f32_e32 v10, v11, v10
	s_delay_alu instid0(VALU_DEP_2) | instskip(NEXT) | instid1(VALU_DEP_2)
	v_fma_f32 v11, v11, v9, -v14
	v_fmac_f32_e32 v10, v12, v9
	v_add_nc_u32_e32 v4, 1, v4
	s_delay_alu instid0(VALU_DEP_2) | instskip(NEXT) | instid1(VALU_DEP_2)
	v_dual_add_f32 v8, v8, v11 :: v_dual_add_f32 v3, v3, v10
	v_cmp_lt_u32_e32 vcc_lo, 39, v4
	s_wait_alu 0xfffe
	s_or_b32 s1, vcc_lo, s1
	s_wait_alu 0xfffe
	s_and_not1_b32 exec_lo, exec_lo, s1
	s_cbranch_execnz .LBB53_177
; %bb.178:
	s_or_b32 exec_lo, exec_lo, s1
	v_mov_b32_e32 v4, 0
	ds_load_b64 v[4:5], v4 offset:328
	s_wait_dscnt 0x0
	v_mul_f32_e32 v9, v3, v5
	v_mul_f32_e32 v6, v8, v5
	s_delay_alu instid0(VALU_DEP_2) | instskip(NEXT) | instid1(VALU_DEP_2)
	v_fma_f32 v5, v8, v4, -v9
	v_fmac_f32_e32 v6, v3, v4
	scratch_store_b64 off, v[5:6], off offset:328
.LBB53_179:
	s_wait_alu 0xfffe
	s_or_b32 exec_lo, exec_lo, s0
	s_wait_loadcnt 0x0
	s_wait_storecnt 0x0
	s_barrier_signal -1
	s_barrier_wait -1
	global_inv scope:SCOPE_SE
	scratch_load_b64 v[3:4], off, off offset:336
	s_mov_b32 s0, exec_lo
	s_wait_loadcnt 0x0
	ds_store_b64 v1, v[3:4]
	s_wait_dscnt 0x0
	s_barrier_signal -1
	s_barrier_wait -1
	global_inv scope:SCOPE_SE
	v_cmpx_gt_u32_e32 42, v0
	s_cbranch_execz .LBB53_183
; %bb.180:
	v_dual_mov_b32 v3, 0 :: v_dual_add_nc_u32 v4, -1, v0
	v_dual_mov_b32 v6, v13 :: v_dual_add_nc_u32 v5, 0x1b0, v13
	v_mov_b32_e32 v8, 0
	s_mov_b32 s1, 0
.LBB53_181:                             ; =>This Inner Loop Header: Depth=1
	scratch_load_b64 v[9:10], v6, off
	ds_load_b64 v[11:12], v5
	v_add_nc_u32_e32 v6, 8, v6
	s_wait_loadcnt_dscnt 0x0
	v_dual_mul_f32 v14, v12, v10 :: v_dual_add_nc_u32 v5, 8, v5
	v_mul_f32_e32 v10, v11, v10
	s_delay_alu instid0(VALU_DEP_2) | instskip(NEXT) | instid1(VALU_DEP_2)
	v_fma_f32 v11, v11, v9, -v14
	v_fmac_f32_e32 v10, v12, v9
	v_add_nc_u32_e32 v4, 1, v4
	s_delay_alu instid0(VALU_DEP_2) | instskip(NEXT) | instid1(VALU_DEP_2)
	v_dual_add_f32 v8, v8, v11 :: v_dual_add_f32 v3, v3, v10
	v_cmp_lt_u32_e32 vcc_lo, 40, v4
	s_wait_alu 0xfffe
	s_or_b32 s1, vcc_lo, s1
	s_wait_alu 0xfffe
	s_and_not1_b32 exec_lo, exec_lo, s1
	s_cbranch_execnz .LBB53_181
; %bb.182:
	s_or_b32 exec_lo, exec_lo, s1
	v_mov_b32_e32 v4, 0
	ds_load_b64 v[4:5], v4 offset:336
	s_wait_dscnt 0x0
	v_mul_f32_e32 v9, v3, v5
	v_mul_f32_e32 v6, v8, v5
	s_delay_alu instid0(VALU_DEP_2) | instskip(NEXT) | instid1(VALU_DEP_2)
	v_fma_f32 v5, v8, v4, -v9
	v_fmac_f32_e32 v6, v3, v4
	scratch_store_b64 off, v[5:6], off offset:336
.LBB53_183:
	s_wait_alu 0xfffe
	s_or_b32 exec_lo, exec_lo, s0
	s_wait_loadcnt 0x0
	s_wait_storecnt 0x0
	s_barrier_signal -1
	s_barrier_wait -1
	global_inv scope:SCOPE_SE
	scratch_load_b64 v[3:4], off, off offset:344
	s_mov_b32 s0, exec_lo
	s_wait_loadcnt 0x0
	ds_store_b64 v1, v[3:4]
	s_wait_dscnt 0x0
	s_barrier_signal -1
	s_barrier_wait -1
	global_inv scope:SCOPE_SE
	v_cmpx_gt_u32_e32 43, v0
	s_cbranch_execz .LBB53_187
; %bb.184:
	v_dual_mov_b32 v3, 0 :: v_dual_add_nc_u32 v4, -1, v0
	v_dual_mov_b32 v6, v13 :: v_dual_add_nc_u32 v5, 0x1b0, v13
	v_mov_b32_e32 v8, 0
	s_mov_b32 s1, 0
.LBB53_185:                             ; =>This Inner Loop Header: Depth=1
	scratch_load_b64 v[9:10], v6, off
	ds_load_b64 v[11:12], v5
	v_add_nc_u32_e32 v6, 8, v6
	s_wait_loadcnt_dscnt 0x0
	v_dual_mul_f32 v14, v12, v10 :: v_dual_add_nc_u32 v5, 8, v5
	v_mul_f32_e32 v10, v11, v10
	s_delay_alu instid0(VALU_DEP_2) | instskip(NEXT) | instid1(VALU_DEP_2)
	v_fma_f32 v11, v11, v9, -v14
	v_fmac_f32_e32 v10, v12, v9
	v_add_nc_u32_e32 v4, 1, v4
	s_delay_alu instid0(VALU_DEP_2) | instskip(NEXT) | instid1(VALU_DEP_2)
	v_dual_add_f32 v8, v8, v11 :: v_dual_add_f32 v3, v3, v10
	v_cmp_lt_u32_e32 vcc_lo, 41, v4
	s_wait_alu 0xfffe
	s_or_b32 s1, vcc_lo, s1
	s_wait_alu 0xfffe
	s_and_not1_b32 exec_lo, exec_lo, s1
	s_cbranch_execnz .LBB53_185
; %bb.186:
	s_or_b32 exec_lo, exec_lo, s1
	v_mov_b32_e32 v4, 0
	ds_load_b64 v[4:5], v4 offset:344
	s_wait_dscnt 0x0
	v_mul_f32_e32 v9, v3, v5
	v_mul_f32_e32 v6, v8, v5
	s_delay_alu instid0(VALU_DEP_2) | instskip(NEXT) | instid1(VALU_DEP_2)
	v_fma_f32 v5, v8, v4, -v9
	v_fmac_f32_e32 v6, v3, v4
	scratch_store_b64 off, v[5:6], off offset:344
.LBB53_187:
	s_wait_alu 0xfffe
	s_or_b32 exec_lo, exec_lo, s0
	s_wait_loadcnt 0x0
	s_wait_storecnt 0x0
	s_barrier_signal -1
	s_barrier_wait -1
	global_inv scope:SCOPE_SE
	scratch_load_b64 v[3:4], off, off offset:352
	s_mov_b32 s0, exec_lo
	s_wait_loadcnt 0x0
	ds_store_b64 v1, v[3:4]
	s_wait_dscnt 0x0
	s_barrier_signal -1
	s_barrier_wait -1
	global_inv scope:SCOPE_SE
	v_cmpx_gt_u32_e32 44, v0
	s_cbranch_execz .LBB53_191
; %bb.188:
	v_dual_mov_b32 v3, 0 :: v_dual_add_nc_u32 v4, -1, v0
	v_dual_mov_b32 v6, v13 :: v_dual_add_nc_u32 v5, 0x1b0, v13
	v_mov_b32_e32 v8, 0
	s_mov_b32 s1, 0
.LBB53_189:                             ; =>This Inner Loop Header: Depth=1
	scratch_load_b64 v[9:10], v6, off
	ds_load_b64 v[11:12], v5
	v_add_nc_u32_e32 v6, 8, v6
	s_wait_loadcnt_dscnt 0x0
	v_dual_mul_f32 v14, v12, v10 :: v_dual_add_nc_u32 v5, 8, v5
	v_mul_f32_e32 v10, v11, v10
	s_delay_alu instid0(VALU_DEP_2) | instskip(NEXT) | instid1(VALU_DEP_2)
	v_fma_f32 v11, v11, v9, -v14
	v_fmac_f32_e32 v10, v12, v9
	v_add_nc_u32_e32 v4, 1, v4
	s_delay_alu instid0(VALU_DEP_2) | instskip(NEXT) | instid1(VALU_DEP_2)
	v_dual_add_f32 v8, v8, v11 :: v_dual_add_f32 v3, v3, v10
	v_cmp_lt_u32_e32 vcc_lo, 42, v4
	s_wait_alu 0xfffe
	s_or_b32 s1, vcc_lo, s1
	s_wait_alu 0xfffe
	s_and_not1_b32 exec_lo, exec_lo, s1
	s_cbranch_execnz .LBB53_189
; %bb.190:
	s_or_b32 exec_lo, exec_lo, s1
	v_mov_b32_e32 v4, 0
	ds_load_b64 v[4:5], v4 offset:352
	s_wait_dscnt 0x0
	v_mul_f32_e32 v9, v3, v5
	v_mul_f32_e32 v6, v8, v5
	s_delay_alu instid0(VALU_DEP_2) | instskip(NEXT) | instid1(VALU_DEP_2)
	v_fma_f32 v5, v8, v4, -v9
	v_fmac_f32_e32 v6, v3, v4
	scratch_store_b64 off, v[5:6], off offset:352
.LBB53_191:
	s_wait_alu 0xfffe
	s_or_b32 exec_lo, exec_lo, s0
	s_wait_loadcnt 0x0
	s_wait_storecnt 0x0
	s_barrier_signal -1
	s_barrier_wait -1
	global_inv scope:SCOPE_SE
	scratch_load_b64 v[3:4], off, off offset:360
	s_mov_b32 s0, exec_lo
	s_wait_loadcnt 0x0
	ds_store_b64 v1, v[3:4]
	s_wait_dscnt 0x0
	s_barrier_signal -1
	s_barrier_wait -1
	global_inv scope:SCOPE_SE
	v_cmpx_gt_u32_e32 45, v0
	s_cbranch_execz .LBB53_195
; %bb.192:
	v_dual_mov_b32 v3, 0 :: v_dual_add_nc_u32 v4, -1, v0
	v_dual_mov_b32 v6, v13 :: v_dual_add_nc_u32 v5, 0x1b0, v13
	v_mov_b32_e32 v8, 0
	s_mov_b32 s1, 0
.LBB53_193:                             ; =>This Inner Loop Header: Depth=1
	scratch_load_b64 v[9:10], v6, off
	ds_load_b64 v[11:12], v5
	v_add_nc_u32_e32 v6, 8, v6
	s_wait_loadcnt_dscnt 0x0
	v_dual_mul_f32 v14, v12, v10 :: v_dual_add_nc_u32 v5, 8, v5
	v_mul_f32_e32 v10, v11, v10
	s_delay_alu instid0(VALU_DEP_2) | instskip(NEXT) | instid1(VALU_DEP_2)
	v_fma_f32 v11, v11, v9, -v14
	v_fmac_f32_e32 v10, v12, v9
	v_add_nc_u32_e32 v4, 1, v4
	s_delay_alu instid0(VALU_DEP_2) | instskip(NEXT) | instid1(VALU_DEP_2)
	v_dual_add_f32 v8, v8, v11 :: v_dual_add_f32 v3, v3, v10
	v_cmp_lt_u32_e32 vcc_lo, 43, v4
	s_wait_alu 0xfffe
	s_or_b32 s1, vcc_lo, s1
	s_wait_alu 0xfffe
	s_and_not1_b32 exec_lo, exec_lo, s1
	s_cbranch_execnz .LBB53_193
; %bb.194:
	s_or_b32 exec_lo, exec_lo, s1
	v_mov_b32_e32 v4, 0
	ds_load_b64 v[4:5], v4 offset:360
	s_wait_dscnt 0x0
	v_mul_f32_e32 v9, v3, v5
	v_mul_f32_e32 v6, v8, v5
	s_delay_alu instid0(VALU_DEP_2) | instskip(NEXT) | instid1(VALU_DEP_2)
	v_fma_f32 v5, v8, v4, -v9
	v_fmac_f32_e32 v6, v3, v4
	scratch_store_b64 off, v[5:6], off offset:360
.LBB53_195:
	s_wait_alu 0xfffe
	s_or_b32 exec_lo, exec_lo, s0
	s_wait_loadcnt 0x0
	s_wait_storecnt 0x0
	s_barrier_signal -1
	s_barrier_wait -1
	global_inv scope:SCOPE_SE
	scratch_load_b64 v[3:4], off, off offset:368
	s_mov_b32 s0, exec_lo
	s_wait_loadcnt 0x0
	ds_store_b64 v1, v[3:4]
	s_wait_dscnt 0x0
	s_barrier_signal -1
	s_barrier_wait -1
	global_inv scope:SCOPE_SE
	v_cmpx_gt_u32_e32 46, v0
	s_cbranch_execz .LBB53_199
; %bb.196:
	v_dual_mov_b32 v3, 0 :: v_dual_add_nc_u32 v4, -1, v0
	v_dual_mov_b32 v6, v13 :: v_dual_add_nc_u32 v5, 0x1b0, v13
	v_mov_b32_e32 v8, 0
	s_mov_b32 s1, 0
.LBB53_197:                             ; =>This Inner Loop Header: Depth=1
	scratch_load_b64 v[9:10], v6, off
	ds_load_b64 v[11:12], v5
	v_add_nc_u32_e32 v6, 8, v6
	s_wait_loadcnt_dscnt 0x0
	v_dual_mul_f32 v14, v12, v10 :: v_dual_add_nc_u32 v5, 8, v5
	v_mul_f32_e32 v10, v11, v10
	s_delay_alu instid0(VALU_DEP_2) | instskip(NEXT) | instid1(VALU_DEP_2)
	v_fma_f32 v11, v11, v9, -v14
	v_fmac_f32_e32 v10, v12, v9
	v_add_nc_u32_e32 v4, 1, v4
	s_delay_alu instid0(VALU_DEP_2) | instskip(NEXT) | instid1(VALU_DEP_2)
	v_dual_add_f32 v8, v8, v11 :: v_dual_add_f32 v3, v3, v10
	v_cmp_lt_u32_e32 vcc_lo, 44, v4
	s_wait_alu 0xfffe
	s_or_b32 s1, vcc_lo, s1
	s_wait_alu 0xfffe
	s_and_not1_b32 exec_lo, exec_lo, s1
	s_cbranch_execnz .LBB53_197
; %bb.198:
	s_or_b32 exec_lo, exec_lo, s1
	v_mov_b32_e32 v4, 0
	ds_load_b64 v[4:5], v4 offset:368
	s_wait_dscnt 0x0
	v_mul_f32_e32 v9, v3, v5
	v_mul_f32_e32 v6, v8, v5
	s_delay_alu instid0(VALU_DEP_2) | instskip(NEXT) | instid1(VALU_DEP_2)
	v_fma_f32 v5, v8, v4, -v9
	v_fmac_f32_e32 v6, v3, v4
	scratch_store_b64 off, v[5:6], off offset:368
.LBB53_199:
	s_wait_alu 0xfffe
	s_or_b32 exec_lo, exec_lo, s0
	s_wait_loadcnt 0x0
	s_wait_storecnt 0x0
	s_barrier_signal -1
	s_barrier_wait -1
	global_inv scope:SCOPE_SE
	scratch_load_b64 v[3:4], off, off offset:376
	s_mov_b32 s0, exec_lo
	s_wait_loadcnt 0x0
	ds_store_b64 v1, v[3:4]
	s_wait_dscnt 0x0
	s_barrier_signal -1
	s_barrier_wait -1
	global_inv scope:SCOPE_SE
	v_cmpx_gt_u32_e32 47, v0
	s_cbranch_execz .LBB53_203
; %bb.200:
	v_dual_mov_b32 v3, 0 :: v_dual_add_nc_u32 v4, -1, v0
	v_dual_mov_b32 v6, v13 :: v_dual_add_nc_u32 v5, 0x1b0, v13
	v_mov_b32_e32 v8, 0
	s_mov_b32 s1, 0
.LBB53_201:                             ; =>This Inner Loop Header: Depth=1
	scratch_load_b64 v[9:10], v6, off
	ds_load_b64 v[11:12], v5
	v_add_nc_u32_e32 v6, 8, v6
	s_wait_loadcnt_dscnt 0x0
	v_dual_mul_f32 v14, v12, v10 :: v_dual_add_nc_u32 v5, 8, v5
	v_mul_f32_e32 v10, v11, v10
	s_delay_alu instid0(VALU_DEP_2) | instskip(NEXT) | instid1(VALU_DEP_2)
	v_fma_f32 v11, v11, v9, -v14
	v_fmac_f32_e32 v10, v12, v9
	v_add_nc_u32_e32 v4, 1, v4
	s_delay_alu instid0(VALU_DEP_2) | instskip(NEXT) | instid1(VALU_DEP_2)
	v_dual_add_f32 v8, v8, v11 :: v_dual_add_f32 v3, v3, v10
	v_cmp_lt_u32_e32 vcc_lo, 45, v4
	s_wait_alu 0xfffe
	s_or_b32 s1, vcc_lo, s1
	s_wait_alu 0xfffe
	s_and_not1_b32 exec_lo, exec_lo, s1
	s_cbranch_execnz .LBB53_201
; %bb.202:
	s_or_b32 exec_lo, exec_lo, s1
	v_mov_b32_e32 v4, 0
	ds_load_b64 v[4:5], v4 offset:376
	s_wait_dscnt 0x0
	v_mul_f32_e32 v9, v3, v5
	v_mul_f32_e32 v6, v8, v5
	s_delay_alu instid0(VALU_DEP_2) | instskip(NEXT) | instid1(VALU_DEP_2)
	v_fma_f32 v5, v8, v4, -v9
	v_fmac_f32_e32 v6, v3, v4
	scratch_store_b64 off, v[5:6], off offset:376
.LBB53_203:
	s_wait_alu 0xfffe
	s_or_b32 exec_lo, exec_lo, s0
	s_wait_loadcnt 0x0
	s_wait_storecnt 0x0
	s_barrier_signal -1
	s_barrier_wait -1
	global_inv scope:SCOPE_SE
	scratch_load_b64 v[3:4], off, off offset:384
	s_mov_b32 s0, exec_lo
	s_wait_loadcnt 0x0
	ds_store_b64 v1, v[3:4]
	s_wait_dscnt 0x0
	s_barrier_signal -1
	s_barrier_wait -1
	global_inv scope:SCOPE_SE
	v_cmpx_gt_u32_e32 48, v0
	s_cbranch_execz .LBB53_207
; %bb.204:
	v_dual_mov_b32 v3, 0 :: v_dual_add_nc_u32 v4, -1, v0
	v_dual_mov_b32 v6, v13 :: v_dual_add_nc_u32 v5, 0x1b0, v13
	v_mov_b32_e32 v8, 0
	s_mov_b32 s1, 0
.LBB53_205:                             ; =>This Inner Loop Header: Depth=1
	scratch_load_b64 v[9:10], v6, off
	ds_load_b64 v[11:12], v5
	v_add_nc_u32_e32 v6, 8, v6
	s_wait_loadcnt_dscnt 0x0
	v_dual_mul_f32 v14, v12, v10 :: v_dual_add_nc_u32 v5, 8, v5
	v_mul_f32_e32 v10, v11, v10
	s_delay_alu instid0(VALU_DEP_2) | instskip(NEXT) | instid1(VALU_DEP_2)
	v_fma_f32 v11, v11, v9, -v14
	v_fmac_f32_e32 v10, v12, v9
	v_add_nc_u32_e32 v4, 1, v4
	s_delay_alu instid0(VALU_DEP_2) | instskip(NEXT) | instid1(VALU_DEP_2)
	v_dual_add_f32 v8, v8, v11 :: v_dual_add_f32 v3, v3, v10
	v_cmp_lt_u32_e32 vcc_lo, 46, v4
	s_wait_alu 0xfffe
	s_or_b32 s1, vcc_lo, s1
	s_wait_alu 0xfffe
	s_and_not1_b32 exec_lo, exec_lo, s1
	s_cbranch_execnz .LBB53_205
; %bb.206:
	s_or_b32 exec_lo, exec_lo, s1
	v_mov_b32_e32 v4, 0
	ds_load_b64 v[4:5], v4 offset:384
	s_wait_dscnt 0x0
	v_mul_f32_e32 v9, v3, v5
	v_mul_f32_e32 v6, v8, v5
	s_delay_alu instid0(VALU_DEP_2) | instskip(NEXT) | instid1(VALU_DEP_2)
	v_fma_f32 v5, v8, v4, -v9
	v_fmac_f32_e32 v6, v3, v4
	scratch_store_b64 off, v[5:6], off offset:384
.LBB53_207:
	s_wait_alu 0xfffe
	s_or_b32 exec_lo, exec_lo, s0
	s_wait_loadcnt 0x0
	s_wait_storecnt 0x0
	s_barrier_signal -1
	s_barrier_wait -1
	global_inv scope:SCOPE_SE
	scratch_load_b64 v[3:4], off, off offset:392
	s_mov_b32 s0, exec_lo
	s_wait_loadcnt 0x0
	ds_store_b64 v1, v[3:4]
	s_wait_dscnt 0x0
	s_barrier_signal -1
	s_barrier_wait -1
	global_inv scope:SCOPE_SE
	v_cmpx_gt_u32_e32 49, v0
	s_cbranch_execz .LBB53_211
; %bb.208:
	v_dual_mov_b32 v3, 0 :: v_dual_add_nc_u32 v4, -1, v0
	v_dual_mov_b32 v6, v13 :: v_dual_add_nc_u32 v5, 0x1b0, v13
	v_mov_b32_e32 v8, 0
	s_mov_b32 s1, 0
.LBB53_209:                             ; =>This Inner Loop Header: Depth=1
	scratch_load_b64 v[9:10], v6, off
	ds_load_b64 v[11:12], v5
	v_add_nc_u32_e32 v6, 8, v6
	s_wait_loadcnt_dscnt 0x0
	v_dual_mul_f32 v14, v12, v10 :: v_dual_add_nc_u32 v5, 8, v5
	v_mul_f32_e32 v10, v11, v10
	s_delay_alu instid0(VALU_DEP_2) | instskip(NEXT) | instid1(VALU_DEP_2)
	v_fma_f32 v11, v11, v9, -v14
	v_fmac_f32_e32 v10, v12, v9
	v_add_nc_u32_e32 v4, 1, v4
	s_delay_alu instid0(VALU_DEP_2) | instskip(NEXT) | instid1(VALU_DEP_2)
	v_dual_add_f32 v8, v8, v11 :: v_dual_add_f32 v3, v3, v10
	v_cmp_lt_u32_e32 vcc_lo, 47, v4
	s_wait_alu 0xfffe
	s_or_b32 s1, vcc_lo, s1
	s_wait_alu 0xfffe
	s_and_not1_b32 exec_lo, exec_lo, s1
	s_cbranch_execnz .LBB53_209
; %bb.210:
	s_or_b32 exec_lo, exec_lo, s1
	v_mov_b32_e32 v4, 0
	ds_load_b64 v[4:5], v4 offset:392
	s_wait_dscnt 0x0
	v_mul_f32_e32 v9, v3, v5
	v_mul_f32_e32 v6, v8, v5
	s_delay_alu instid0(VALU_DEP_2) | instskip(NEXT) | instid1(VALU_DEP_2)
	v_fma_f32 v5, v8, v4, -v9
	v_fmac_f32_e32 v6, v3, v4
	scratch_store_b64 off, v[5:6], off offset:392
.LBB53_211:
	s_wait_alu 0xfffe
	s_or_b32 exec_lo, exec_lo, s0
	s_wait_loadcnt 0x0
	s_wait_storecnt 0x0
	s_barrier_signal -1
	s_barrier_wait -1
	global_inv scope:SCOPE_SE
	scratch_load_b64 v[3:4], off, off offset:400
	s_mov_b32 s0, exec_lo
	s_wait_loadcnt 0x0
	ds_store_b64 v1, v[3:4]
	s_wait_dscnt 0x0
	s_barrier_signal -1
	s_barrier_wait -1
	global_inv scope:SCOPE_SE
	v_cmpx_gt_u32_e32 50, v0
	s_cbranch_execz .LBB53_215
; %bb.212:
	v_dual_mov_b32 v3, 0 :: v_dual_add_nc_u32 v4, -1, v0
	v_dual_mov_b32 v6, v13 :: v_dual_add_nc_u32 v5, 0x1b0, v13
	v_mov_b32_e32 v8, 0
	s_mov_b32 s1, 0
.LBB53_213:                             ; =>This Inner Loop Header: Depth=1
	scratch_load_b64 v[9:10], v6, off
	ds_load_b64 v[11:12], v5
	v_add_nc_u32_e32 v6, 8, v6
	s_wait_loadcnt_dscnt 0x0
	v_dual_mul_f32 v14, v12, v10 :: v_dual_add_nc_u32 v5, 8, v5
	v_mul_f32_e32 v10, v11, v10
	s_delay_alu instid0(VALU_DEP_2) | instskip(NEXT) | instid1(VALU_DEP_2)
	v_fma_f32 v11, v11, v9, -v14
	v_fmac_f32_e32 v10, v12, v9
	v_add_nc_u32_e32 v4, 1, v4
	s_delay_alu instid0(VALU_DEP_2) | instskip(NEXT) | instid1(VALU_DEP_2)
	v_dual_add_f32 v8, v8, v11 :: v_dual_add_f32 v3, v3, v10
	v_cmp_lt_u32_e32 vcc_lo, 48, v4
	s_wait_alu 0xfffe
	s_or_b32 s1, vcc_lo, s1
	s_wait_alu 0xfffe
	s_and_not1_b32 exec_lo, exec_lo, s1
	s_cbranch_execnz .LBB53_213
; %bb.214:
	s_or_b32 exec_lo, exec_lo, s1
	v_mov_b32_e32 v4, 0
	ds_load_b64 v[4:5], v4 offset:400
	s_wait_dscnt 0x0
	v_mul_f32_e32 v9, v3, v5
	v_mul_f32_e32 v6, v8, v5
	s_delay_alu instid0(VALU_DEP_2) | instskip(NEXT) | instid1(VALU_DEP_2)
	v_fma_f32 v5, v8, v4, -v9
	v_fmac_f32_e32 v6, v3, v4
	scratch_store_b64 off, v[5:6], off offset:400
.LBB53_215:
	s_wait_alu 0xfffe
	s_or_b32 exec_lo, exec_lo, s0
	s_wait_loadcnt 0x0
	s_wait_storecnt 0x0
	s_barrier_signal -1
	s_barrier_wait -1
	global_inv scope:SCOPE_SE
	scratch_load_b64 v[3:4], off, off offset:408
	s_mov_b32 s0, exec_lo
	s_wait_loadcnt 0x0
	ds_store_b64 v1, v[3:4]
	s_wait_dscnt 0x0
	s_barrier_signal -1
	s_barrier_wait -1
	global_inv scope:SCOPE_SE
	v_cmpx_gt_u32_e32 51, v0
	s_cbranch_execz .LBB53_219
; %bb.216:
	v_dual_mov_b32 v3, 0 :: v_dual_add_nc_u32 v4, -1, v0
	v_dual_mov_b32 v6, v13 :: v_dual_add_nc_u32 v5, 0x1b0, v13
	v_mov_b32_e32 v8, 0
	s_mov_b32 s1, 0
.LBB53_217:                             ; =>This Inner Loop Header: Depth=1
	scratch_load_b64 v[9:10], v6, off
	ds_load_b64 v[11:12], v5
	v_add_nc_u32_e32 v6, 8, v6
	s_wait_loadcnt_dscnt 0x0
	v_dual_mul_f32 v14, v12, v10 :: v_dual_add_nc_u32 v5, 8, v5
	v_mul_f32_e32 v10, v11, v10
	s_delay_alu instid0(VALU_DEP_2) | instskip(NEXT) | instid1(VALU_DEP_2)
	v_fma_f32 v11, v11, v9, -v14
	v_fmac_f32_e32 v10, v12, v9
	v_add_nc_u32_e32 v4, 1, v4
	s_delay_alu instid0(VALU_DEP_2) | instskip(NEXT) | instid1(VALU_DEP_2)
	v_dual_add_f32 v8, v8, v11 :: v_dual_add_f32 v3, v3, v10
	v_cmp_lt_u32_e32 vcc_lo, 49, v4
	s_wait_alu 0xfffe
	s_or_b32 s1, vcc_lo, s1
	s_wait_alu 0xfffe
	s_and_not1_b32 exec_lo, exec_lo, s1
	s_cbranch_execnz .LBB53_217
; %bb.218:
	s_or_b32 exec_lo, exec_lo, s1
	v_mov_b32_e32 v4, 0
	ds_load_b64 v[4:5], v4 offset:408
	s_wait_dscnt 0x0
	v_mul_f32_e32 v9, v3, v5
	v_mul_f32_e32 v6, v8, v5
	s_delay_alu instid0(VALU_DEP_2) | instskip(NEXT) | instid1(VALU_DEP_2)
	v_fma_f32 v5, v8, v4, -v9
	v_fmac_f32_e32 v6, v3, v4
	scratch_store_b64 off, v[5:6], off offset:408
.LBB53_219:
	s_wait_alu 0xfffe
	s_or_b32 exec_lo, exec_lo, s0
	s_wait_loadcnt 0x0
	s_wait_storecnt 0x0
	s_barrier_signal -1
	s_barrier_wait -1
	global_inv scope:SCOPE_SE
	scratch_load_b64 v[3:4], off, off offset:416
	s_mov_b32 s0, exec_lo
	s_wait_loadcnt 0x0
	ds_store_b64 v1, v[3:4]
	s_wait_dscnt 0x0
	s_barrier_signal -1
	s_barrier_wait -1
	global_inv scope:SCOPE_SE
	v_cmpx_gt_u32_e32 52, v0
	s_cbranch_execz .LBB53_223
; %bb.220:
	v_dual_mov_b32 v3, 0 :: v_dual_add_nc_u32 v4, -1, v0
	v_dual_mov_b32 v6, v13 :: v_dual_add_nc_u32 v5, 0x1b0, v13
	v_mov_b32_e32 v8, 0
	s_mov_b32 s1, 0
.LBB53_221:                             ; =>This Inner Loop Header: Depth=1
	scratch_load_b64 v[9:10], v6, off
	ds_load_b64 v[11:12], v5
	v_add_nc_u32_e32 v6, 8, v6
	v_add_nc_u32_e32 v4, 1, v4
	;; [unrolled: 1-line block ×3, first 2 shown]
	s_delay_alu instid0(VALU_DEP_2)
	v_cmp_lt_u32_e32 vcc_lo, 50, v4
	s_wait_alu 0xfffe
	s_or_b32 s1, vcc_lo, s1
	s_wait_loadcnt_dscnt 0x0
	v_mul_f32_e32 v13, v12, v10
	v_mul_f32_e32 v10, v11, v10
	s_delay_alu instid0(VALU_DEP_2) | instskip(NEXT) | instid1(VALU_DEP_2)
	v_fma_f32 v11, v11, v9, -v13
	v_fmac_f32_e32 v10, v12, v9
	s_delay_alu instid0(VALU_DEP_1)
	v_dual_add_f32 v8, v8, v11 :: v_dual_add_f32 v3, v3, v10
	s_wait_alu 0xfffe
	s_and_not1_b32 exec_lo, exec_lo, s1
	s_cbranch_execnz .LBB53_221
; %bb.222:
	s_or_b32 exec_lo, exec_lo, s1
	v_mov_b32_e32 v4, 0
	ds_load_b64 v[4:5], v4 offset:416
	s_wait_dscnt 0x0
	v_mul_f32_e32 v9, v3, v5
	v_mul_f32_e32 v6, v8, v5
	s_delay_alu instid0(VALU_DEP_2) | instskip(NEXT) | instid1(VALU_DEP_2)
	v_fma_f32 v5, v8, v4, -v9
	v_fmac_f32_e32 v6, v3, v4
	scratch_store_b64 off, v[5:6], off offset:416
.LBB53_223:
	s_wait_alu 0xfffe
	s_or_b32 exec_lo, exec_lo, s0
	s_wait_loadcnt 0x0
	s_wait_storecnt 0x0
	s_barrier_signal -1
	s_barrier_wait -1
	global_inv scope:SCOPE_SE
	scratch_load_b64 v[3:4], off, off offset:424
	s_mov_b32 s0, exec_lo
	s_wait_loadcnt 0x0
	ds_store_b64 v1, v[3:4]
	s_wait_dscnt 0x0
	s_barrier_signal -1
	s_barrier_wait -1
	global_inv scope:SCOPE_SE
	v_cmpx_ne_u32_e32 53, v0
	s_cbranch_execz .LBB53_227
; %bb.224:
	v_dual_mov_b32 v3, 0 :: v_dual_mov_b32 v4, 0
	s_mov_b32 s1, 0
.LBB53_225:                             ; =>This Inner Loop Header: Depth=1
	scratch_load_b64 v[5:6], v7, off
	ds_load_b64 v[8:9], v1
	v_add_nc_u32_e32 v2, 1, v2
	v_add_nc_u32_e32 v1, 8, v1
	;; [unrolled: 1-line block ×3, first 2 shown]
	s_delay_alu instid0(VALU_DEP_3)
	v_cmp_lt_u32_e32 vcc_lo, 51, v2
	s_wait_alu 0xfffe
	s_or_b32 s1, vcc_lo, s1
	s_wait_loadcnt_dscnt 0x0
	v_mul_f32_e32 v10, v9, v6
	v_mul_f32_e32 v6, v8, v6
	s_delay_alu instid0(VALU_DEP_2) | instskip(NEXT) | instid1(VALU_DEP_2)
	v_fma_f32 v8, v8, v5, -v10
	v_fmac_f32_e32 v6, v9, v5
	s_delay_alu instid0(VALU_DEP_1)
	v_dual_add_f32 v4, v4, v8 :: v_dual_add_f32 v3, v3, v6
	s_wait_alu 0xfffe
	s_and_not1_b32 exec_lo, exec_lo, s1
	s_cbranch_execnz .LBB53_225
; %bb.226:
	s_or_b32 exec_lo, exec_lo, s1
	v_mov_b32_e32 v1, 0
	ds_load_b64 v[1:2], v1 offset:424
	s_wait_dscnt 0x0
	v_mul_f32_e32 v6, v3, v2
	v_mul_f32_e32 v5, v4, v2
	s_delay_alu instid0(VALU_DEP_2) | instskip(NEXT) | instid1(VALU_DEP_2)
	v_fma_f32 v4, v4, v1, -v6
	v_fmac_f32_e32 v5, v3, v1
	scratch_store_b64 off, v[4:5], off offset:424
.LBB53_227:
	s_wait_alu 0xfffe
	s_or_b32 exec_lo, exec_lo, s0
	s_mov_b32 s1, -1
	s_wait_loadcnt 0x0
	s_wait_storecnt 0x0
	s_barrier_signal -1
	s_barrier_wait -1
	global_inv scope:SCOPE_SE
.LBB53_228:
	s_wait_alu 0xfffe
	s_and_b32 vcc_lo, exec_lo, s1
	s_wait_alu 0xfffe
	s_cbranch_vccz .LBB53_230
; %bb.229:
	v_mov_b32_e32 v1, 0
	s_lshl_b64 s[0:1], s[16:17], 2
	s_wait_alu 0xfffe
	s_add_nc_u64 s[0:1], s[6:7], s[0:1]
	global_load_b32 v1, v1, s[0:1]
	s_wait_loadcnt 0x0
	v_cmp_ne_u32_e32 vcc_lo, 0, v1
	s_cbranch_vccz .LBB53_231
.LBB53_230:
	s_nop 0
	s_sendmsg sendmsg(MSG_DEALLOC_VGPRS)
	s_endpgm
.LBB53_231:
	v_lshl_add_u32 v27, v0, 3, 0x1b0
	s_mov_b32 s0, exec_lo
	v_cmpx_eq_u32_e32 53, v0
	s_cbranch_execz .LBB53_233
; %bb.232:
	scratch_load_b64 v[1:2], off, off offset:416
	v_mov_b32_e32 v3, 0
	s_delay_alu instid0(VALU_DEP_1)
	v_mov_b32_e32 v4, v3
	scratch_store_b64 off, v[3:4], off offset:416
	s_wait_loadcnt 0x0
	ds_store_b64 v27, v[1:2]
.LBB53_233:
	s_wait_alu 0xfffe
	s_or_b32 exec_lo, exec_lo, s0
	s_wait_storecnt_dscnt 0x0
	s_barrier_signal -1
	s_barrier_wait -1
	global_inv scope:SCOPE_SE
	s_clause 0x1
	scratch_load_b64 v[2:3], off, off offset:424
	scratch_load_b64 v[4:5], off, off offset:416
	v_mov_b32_e32 v1, 0
	s_mov_b32 s0, exec_lo
	ds_load_b64 v[6:7], v1 offset:856
	s_wait_loadcnt_dscnt 0x100
	v_mul_f32_e32 v8, v7, v3
	v_mul_f32_e32 v3, v6, v3
	s_delay_alu instid0(VALU_DEP_2) | instskip(NEXT) | instid1(VALU_DEP_2)
	v_fma_f32 v6, v6, v2, -v8
	v_fmac_f32_e32 v3, v7, v2
	s_delay_alu instid0(VALU_DEP_1) | instskip(SKIP_1) | instid1(VALU_DEP_1)
	v_dual_add_f32 v2, 0, v6 :: v_dual_add_f32 v3, 0, v3
	s_wait_loadcnt 0x0
	v_dual_sub_f32 v2, v4, v2 :: v_dual_sub_f32 v3, v5, v3
	scratch_store_b64 off, v[2:3], off offset:416
	v_cmpx_lt_u32_e32 51, v0
	s_cbranch_execz .LBB53_235
; %bb.234:
	scratch_load_b64 v[3:4], off, off offset:408
	v_mov_b32_e32 v2, v1
	scratch_store_b64 off, v[1:2], off offset:408
	s_wait_loadcnt 0x0
	ds_store_b64 v27, v[3:4]
.LBB53_235:
	s_wait_alu 0xfffe
	s_or_b32 exec_lo, exec_lo, s0
	s_wait_storecnt_dscnt 0x0
	s_barrier_signal -1
	s_barrier_wait -1
	global_inv scope:SCOPE_SE
	s_clause 0x1
	scratch_load_b128 v[2:5], off, off offset:416
	scratch_load_b64 v[10:11], off, off offset:408
	ds_load_b128 v[6:9], v1 offset:848
	s_mov_b32 s0, exec_lo
	s_wait_loadcnt_dscnt 0x100
	v_dual_mul_f32 v1, v7, v3 :: v_dual_mul_f32 v12, v8, v5
	v_mul_f32_e32 v3, v6, v3
	s_delay_alu instid0(VALU_DEP_2) | instskip(NEXT) | instid1(VALU_DEP_2)
	v_fma_f32 v1, v6, v2, -v1
	v_dual_fmac_f32 v12, v9, v4 :: v_dual_fmac_f32 v3, v7, v2
	s_delay_alu instid0(VALU_DEP_2) | instskip(NEXT) | instid1(VALU_DEP_2)
	v_add_f32_e32 v1, 0, v1
	v_add_f32_e32 v3, 0, v3
	v_mul_f32_e32 v5, v9, v5
	s_delay_alu instid0(VALU_DEP_1) | instskip(NEXT) | instid1(VALU_DEP_1)
	v_fma_f32 v2, v8, v4, -v5
	v_dual_add_f32 v1, v1, v2 :: v_dual_add_f32 v2, v3, v12
	s_wait_loadcnt 0x0
	s_delay_alu instid0(VALU_DEP_1)
	v_dual_sub_f32 v1, v10, v1 :: v_dual_sub_f32 v2, v11, v2
	scratch_store_b64 off, v[1:2], off offset:408
	v_cmpx_lt_u32_e32 50, v0
	s_cbranch_execz .LBB53_237
; %bb.236:
	scratch_load_b64 v[1:2], off, off offset:400
	v_mov_b32_e32 v3, 0
	s_delay_alu instid0(VALU_DEP_1)
	v_mov_b32_e32 v4, v3
	scratch_store_b64 off, v[3:4], off offset:400
	s_wait_loadcnt 0x0
	ds_store_b64 v27, v[1:2]
.LBB53_237:
	s_wait_alu 0xfffe
	s_or_b32 exec_lo, exec_lo, s0
	s_wait_storecnt_dscnt 0x0
	s_barrier_signal -1
	s_barrier_wait -1
	global_inv scope:SCOPE_SE
	s_clause 0x2
	scratch_load_b128 v[2:5], off, off offset:408
	scratch_load_b64 v[10:11], off, off offset:424
	scratch_load_b64 v[12:13], off, off offset:400
	v_mov_b32_e32 v1, 0
	ds_load_2addr_b64 v[6:9], v1 offset0:105 offset1:106
	ds_load_b64 v[14:15], v1 offset:856
	s_mov_b32 s0, exec_lo
	s_wait_loadcnt_dscnt 0x201
	v_dual_mul_f32 v16, v7, v3 :: v_dual_mul_f32 v17, v8, v5
	s_wait_loadcnt_dscnt 0x100
	v_mul_f32_e32 v18, v14, v11
	v_mul_f32_e32 v3, v6, v3
	;; [unrolled: 1-line block ×3, first 2 shown]
	v_fma_f32 v6, v6, v2, -v16
	s_delay_alu instid0(VALU_DEP_4) | instskip(NEXT) | instid1(VALU_DEP_4)
	v_fmac_f32_e32 v18, v15, v10
	v_fmac_f32_e32 v3, v7, v2
	v_mul_f32_e32 v2, v15, v11
	s_delay_alu instid0(VALU_DEP_1) | instskip(SKIP_3) | instid1(VALU_DEP_1)
	v_fma_f32 v2, v14, v10, -v2
	v_fmac_f32_e32 v17, v9, v4
	v_fma_f32 v4, v8, v4, -v5
	v_add_f32_e32 v5, 0, v6
	v_add_f32_e32 v4, v5, v4
	s_delay_alu instid0(VALU_DEP_1) | instskip(SKIP_1) | instid1(VALU_DEP_1)
	v_dual_add_f32 v2, v4, v2 :: v_dual_add_f32 v3, 0, v3
	s_wait_loadcnt 0x0
	v_dual_sub_f32 v2, v12, v2 :: v_dual_add_f32 v3, v3, v17
	s_delay_alu instid0(VALU_DEP_1) | instskip(NEXT) | instid1(VALU_DEP_1)
	v_add_f32_e32 v3, v3, v18
	v_sub_f32_e32 v3, v13, v3
	scratch_store_b64 off, v[2:3], off offset:400
	v_cmpx_lt_u32_e32 49, v0
	s_cbranch_execz .LBB53_239
; %bb.238:
	scratch_load_b64 v[3:4], off, off offset:392
	v_mov_b32_e32 v2, v1
	scratch_store_b64 off, v[1:2], off offset:392
	s_wait_loadcnt 0x0
	ds_store_b64 v27, v[3:4]
.LBB53_239:
	s_wait_alu 0xfffe
	s_or_b32 exec_lo, exec_lo, s0
	s_wait_storecnt_dscnt 0x0
	s_barrier_signal -1
	s_barrier_wait -1
	global_inv scope:SCOPE_SE
	s_clause 0x2
	scratch_load_b128 v[2:5], off, off offset:400
	scratch_load_b128 v[6:9], off, off offset:416
	scratch_load_b64 v[18:19], off, off offset:392
	ds_load_b128 v[10:13], v1 offset:832
	ds_load_b128 v[14:17], v1 offset:848
	s_mov_b32 s0, exec_lo
	s_wait_loadcnt_dscnt 0x201
	v_dual_mul_f32 v1, v10, v3 :: v_dual_mul_f32 v20, v12, v5
	s_wait_loadcnt_dscnt 0x100
	v_dual_mul_f32 v3, v11, v3 :: v_dual_mul_f32 v22, v16, v9
	v_mul_f32_e32 v5, v13, v5
	s_delay_alu instid0(VALU_DEP_3) | instskip(NEXT) | instid1(VALU_DEP_3)
	v_dual_mul_f32 v21, v14, v7 :: v_dual_fmac_f32 v20, v13, v4
	v_fma_f32 v3, v10, v2, -v3
	s_delay_alu instid0(VALU_DEP_4) | instskip(SKIP_2) | instid1(VALU_DEP_4)
	v_dual_fmac_f32 v1, v11, v2 :: v_dual_fmac_f32 v22, v17, v8
	v_mul_f32_e32 v2, v15, v7
	v_fma_f32 v4, v12, v4, -v5
	v_add_f32_e32 v3, 0, v3
	v_fmac_f32_e32 v21, v15, v6
	s_delay_alu instid0(VALU_DEP_4) | instskip(NEXT) | instid1(VALU_DEP_3)
	v_fma_f32 v2, v14, v6, -v2
	v_add_f32_e32 v3, v3, v4
	s_delay_alu instid0(VALU_DEP_1) | instskip(NEXT) | instid1(VALU_DEP_1)
	v_dual_add_f32 v1, 0, v1 :: v_dual_add_f32 v2, v3, v2
	v_add_f32_e32 v1, v1, v20
	s_delay_alu instid0(VALU_DEP_1) | instskip(NEXT) | instid1(VALU_DEP_1)
	v_add_f32_e32 v1, v1, v21
	v_add_f32_e32 v3, v1, v22
	v_mul_f32_e32 v5, v17, v9
	s_delay_alu instid0(VALU_DEP_1) | instskip(NEXT) | instid1(VALU_DEP_1)
	v_fma_f32 v4, v16, v8, -v5
	v_add_f32_e32 v2, v2, v4
	s_wait_loadcnt 0x0
	s_delay_alu instid0(VALU_DEP_1)
	v_dual_sub_f32 v1, v18, v2 :: v_dual_sub_f32 v2, v19, v3
	scratch_store_b64 off, v[1:2], off offset:392
	v_cmpx_lt_u32_e32 48, v0
	s_cbranch_execz .LBB53_241
; %bb.240:
	scratch_load_b64 v[1:2], off, off offset:384
	v_mov_b32_e32 v3, 0
	s_delay_alu instid0(VALU_DEP_1)
	v_mov_b32_e32 v4, v3
	scratch_store_b64 off, v[3:4], off offset:384
	s_wait_loadcnt 0x0
	ds_store_b64 v27, v[1:2]
.LBB53_241:
	s_wait_alu 0xfffe
	s_or_b32 exec_lo, exec_lo, s0
	s_wait_storecnt_dscnt 0x0
	s_barrier_signal -1
	s_barrier_wait -1
	global_inv scope:SCOPE_SE
	s_clause 0x3
	scratch_load_b128 v[2:5], off, off offset:392
	scratch_load_b128 v[6:9], off, off offset:408
	scratch_load_b64 v[18:19], off, off offset:424
	scratch_load_b64 v[20:21], off, off offset:384
	v_mov_b32_e32 v1, 0
	ds_load_2addr_b64 v[10:13], v1 offset0:103 offset1:104
	ds_load_2addr_b64 v[14:17], v1 offset0:105 offset1:106
	ds_load_b64 v[22:23], v1 offset:856
	s_mov_b32 s0, exec_lo
	s_wait_loadcnt_dscnt 0x302
	v_mul_f32_e32 v24, v10, v3
	s_wait_loadcnt_dscnt 0x201
	v_dual_mul_f32 v3, v11, v3 :: v_dual_mul_f32 v28, v16, v9
	v_dual_mul_f32 v25, v12, v5 :: v_dual_mul_f32 v26, v14, v7
	s_wait_loadcnt_dscnt 0x100
	v_dual_mul_f32 v29, v22, v19 :: v_dual_fmac_f32 v24, v11, v2
	v_mul_f32_e32 v5, v13, v5
	v_fma_f32 v3, v10, v2, -v3
	v_dual_mul_f32 v2, v15, v7 :: v_dual_fmac_f32 v25, v13, v4
	v_fmac_f32_e32 v26, v15, v6
	s_delay_alu instid0(VALU_DEP_4) | instskip(SKIP_1) | instid1(VALU_DEP_4)
	v_fma_f32 v4, v12, v4, -v5
	v_fmac_f32_e32 v29, v23, v18
	v_fma_f32 v2, v14, v6, -v2
	v_add_f32_e32 v5, 0, v24
	v_dual_add_f32 v3, 0, v3 :: v_dual_fmac_f32 v28, v17, v8
	s_delay_alu instid0(VALU_DEP_1) | instskip(NEXT) | instid1(VALU_DEP_1)
	v_add_f32_e32 v3, v3, v4
	v_dual_add_f32 v2, v3, v2 :: v_dual_mul_f32 v7, v17, v9
	s_delay_alu instid0(VALU_DEP_4) | instskip(NEXT) | instid1(VALU_DEP_2)
	v_dual_add_f32 v4, v5, v25 :: v_dual_mul_f32 v5, v23, v19
	v_fma_f32 v6, v16, v8, -v7
	s_delay_alu instid0(VALU_DEP_1) | instskip(NEXT) | instid1(VALU_DEP_3)
	v_add_f32_e32 v2, v2, v6
	v_add_f32_e32 v3, v4, v26
	s_delay_alu instid0(VALU_DEP_4) | instskip(NEXT) | instid1(VALU_DEP_1)
	v_fma_f32 v4, v22, v18, -v5
	v_add_f32_e32 v2, v2, v4
	s_wait_loadcnt 0x0
	s_delay_alu instid0(VALU_DEP_1) | instskip(NEXT) | instid1(VALU_DEP_1)
	v_dual_add_f32 v3, v3, v28 :: v_dual_sub_f32 v2, v20, v2
	v_add_f32_e32 v3, v3, v29
	s_delay_alu instid0(VALU_DEP_1)
	v_sub_f32_e32 v3, v21, v3
	scratch_store_b64 off, v[2:3], off offset:384
	v_cmpx_lt_u32_e32 47, v0
	s_cbranch_execz .LBB53_243
; %bb.242:
	scratch_load_b64 v[3:4], off, off offset:376
	v_mov_b32_e32 v2, v1
	scratch_store_b64 off, v[1:2], off offset:376
	s_wait_loadcnt 0x0
	ds_store_b64 v27, v[3:4]
.LBB53_243:
	s_wait_alu 0xfffe
	s_or_b32 exec_lo, exec_lo, s0
	s_wait_storecnt_dscnt 0x0
	s_barrier_signal -1
	s_barrier_wait -1
	global_inv scope:SCOPE_SE
	s_clause 0x3
	scratch_load_b128 v[2:5], off, off offset:384
	scratch_load_b128 v[6:9], off, off offset:400
	;; [unrolled: 1-line block ×3, first 2 shown]
	scratch_load_b64 v[28:29], off, off offset:376
	ds_load_b128 v[14:17], v1 offset:816
	ds_load_b128 v[18:21], v1 offset:832
	;; [unrolled: 1-line block ×3, first 2 shown]
	s_mov_b32 s0, exec_lo
	s_wait_loadcnt_dscnt 0x302
	v_dual_mul_f32 v1, v14, v3 :: v_dual_mul_f32 v26, v16, v5
	v_mul_f32_e32 v3, v15, v3
	s_wait_loadcnt_dscnt 0x201
	v_dual_mul_f32 v5, v17, v5 :: v_dual_mul_f32 v30, v18, v7
	s_delay_alu instid0(VALU_DEP_3) | instskip(NEXT) | instid1(VALU_DEP_3)
	v_dual_mul_f32 v31, v20, v9 :: v_dual_fmac_f32 v26, v17, v4
	v_fma_f32 v3, v14, v2, -v3
	v_fmac_f32_e32 v1, v15, v2
	v_mul_f32_e32 v2, v19, v7
	v_fma_f32 v4, v16, v4, -v5
	s_delay_alu instid0(VALU_DEP_4)
	v_dual_fmac_f32 v30, v19, v6 :: v_dual_add_f32 v3, 0, v3
	s_wait_loadcnt_dscnt 0x100
	v_dual_mul_f32 v140, v22, v11 :: v_dual_mul_f32 v141, v24, v13
	v_fma_f32 v2, v18, v6, -v2
	v_fmac_f32_e32 v31, v21, v8
	v_add_f32_e32 v3, v3, v4
	s_delay_alu instid0(VALU_DEP_4) | instskip(SKIP_1) | instid1(VALU_DEP_3)
	v_dual_mul_f32 v5, v21, v9 :: v_dual_fmac_f32 v140, v23, v10
	v_dual_fmac_f32 v141, v25, v12 :: v_dual_mul_f32 v4, v23, v11
	v_add_f32_e32 v2, v3, v2
	s_delay_alu instid0(VALU_DEP_3) | instskip(SKIP_1) | instid1(VALU_DEP_4)
	v_fma_f32 v5, v20, v8, -v5
	v_mul_f32_e32 v3, v25, v13
	v_fma_f32 v4, v22, v10, -v4
	s_delay_alu instid0(VALU_DEP_3) | instskip(SKIP_1) | instid1(VALU_DEP_4)
	v_add_f32_e32 v2, v2, v5
	v_add_f32_e32 v1, 0, v1
	v_fma_f32 v3, v24, v12, -v3
	s_delay_alu instid0(VALU_DEP_2) | instskip(NEXT) | instid1(VALU_DEP_1)
	v_dual_add_f32 v2, v2, v4 :: v_dual_add_f32 v1, v1, v26
	v_dual_add_f32 v2, v2, v3 :: v_dual_add_f32 v1, v1, v30
	s_delay_alu instid0(VALU_DEP_1) | instskip(NEXT) | instid1(VALU_DEP_1)
	v_add_f32_e32 v1, v1, v31
	v_add_f32_e32 v1, v1, v140
	s_delay_alu instid0(VALU_DEP_1) | instskip(SKIP_1) | instid1(VALU_DEP_1)
	v_add_f32_e32 v3, v1, v141
	s_wait_loadcnt 0x0
	v_dual_sub_f32 v1, v28, v2 :: v_dual_sub_f32 v2, v29, v3
	scratch_store_b64 off, v[1:2], off offset:376
	v_cmpx_lt_u32_e32 46, v0
	s_cbranch_execz .LBB53_245
; %bb.244:
	scratch_load_b64 v[1:2], off, off offset:368
	v_mov_b32_e32 v3, 0
	s_delay_alu instid0(VALU_DEP_1)
	v_mov_b32_e32 v4, v3
	scratch_store_b64 off, v[3:4], off offset:368
	s_wait_loadcnt 0x0
	ds_store_b64 v27, v[1:2]
.LBB53_245:
	s_wait_alu 0xfffe
	s_or_b32 exec_lo, exec_lo, s0
	s_wait_storecnt_dscnt 0x0
	s_barrier_signal -1
	s_barrier_wait -1
	global_inv scope:SCOPE_SE
	s_clause 0x4
	scratch_load_b128 v[2:5], off, off offset:376
	scratch_load_b128 v[6:9], off, off offset:392
	scratch_load_b128 v[10:13], off, off offset:408
	scratch_load_b64 v[28:29], off, off offset:424
	scratch_load_b64 v[30:31], off, off offset:368
	v_mov_b32_e32 v1, 0
	ds_load_2addr_b64 v[14:17], v1 offset0:101 offset1:102
	ds_load_2addr_b64 v[18:21], v1 offset0:103 offset1:104
	;; [unrolled: 1-line block ×3, first 2 shown]
	ds_load_b64 v[140:141], v1 offset:856
	s_mov_b32 s0, exec_lo
	s_wait_loadcnt_dscnt 0x403
	v_mul_f32_e32 v26, v14, v3
	s_wait_loadcnt_dscnt 0x302
	v_dual_mul_f32 v144, v20, v9 :: v_dual_mul_f32 v3, v15, v3
	v_dual_mul_f32 v142, v16, v5 :: v_dual_mul_f32 v143, v18, v7
	s_wait_loadcnt_dscnt 0x100
	v_dual_mul_f32 v147, v140, v29 :: v_dual_fmac_f32 v26, v15, v2
	v_mul_f32_e32 v5, v17, v5
	v_fma_f32 v3, v14, v2, -v3
	v_mul_f32_e32 v2, v19, v7
	v_dual_fmac_f32 v142, v17, v4 :: v_dual_fmac_f32 v143, v19, v6
	s_delay_alu instid0(VALU_DEP_4) | instskip(NEXT) | instid1(VALU_DEP_4)
	v_fma_f32 v4, v16, v4, -v5
	v_add_f32_e32 v3, 0, v3
	v_dual_add_f32 v5, 0, v26 :: v_dual_fmac_f32 v144, v21, v8
	v_fma_f32 v2, v18, v6, -v2
	v_dual_mul_f32 v145, v22, v11 :: v_dual_mul_f32 v146, v24, v13
	s_delay_alu instid0(VALU_DEP_3) | instskip(SKIP_1) | instid1(VALU_DEP_3)
	v_dual_add_f32 v3, v3, v4 :: v_dual_add_f32 v4, v5, v142
	v_mul_f32_e32 v7, v21, v9
	v_dual_fmac_f32 v145, v23, v10 :: v_dual_fmac_f32 v146, v25, v12
	s_delay_alu instid0(VALU_DEP_3) | instskip(NEXT) | instid1(VALU_DEP_3)
	v_dual_add_f32 v2, v3, v2 :: v_dual_add_f32 v3, v4, v143
	v_fma_f32 v6, v20, v8, -v7
	v_dual_mul_f32 v5, v23, v11 :: v_dual_mul_f32 v4, v25, v13
	s_delay_alu instid0(VALU_DEP_2) | instskip(NEXT) | instid1(VALU_DEP_2)
	v_add_f32_e32 v2, v2, v6
	v_fma_f32 v5, v22, v10, -v5
	v_dual_mul_f32 v6, v141, v29 :: v_dual_add_f32 v3, v3, v144
	s_delay_alu instid0(VALU_DEP_4) | instskip(NEXT) | instid1(VALU_DEP_3)
	v_fma_f32 v4, v24, v12, -v4
	v_add_f32_e32 v2, v2, v5
	s_delay_alu instid0(VALU_DEP_3) | instskip(NEXT) | instid1(VALU_DEP_2)
	v_fma_f32 v5, v140, v28, -v6
	v_dual_add_f32 v3, v3, v145 :: v_dual_add_f32 v2, v2, v4
	v_fmac_f32_e32 v147, v141, v28
	s_delay_alu instid0(VALU_DEP_2) | instskip(SKIP_1) | instid1(VALU_DEP_1)
	v_dual_add_f32 v3, v3, v146 :: v_dual_add_f32 v2, v2, v5
	s_wait_loadcnt 0x0
	v_dual_add_f32 v3, v3, v147 :: v_dual_sub_f32 v2, v30, v2
	s_delay_alu instid0(VALU_DEP_1)
	v_sub_f32_e32 v3, v31, v3
	scratch_store_b64 off, v[2:3], off offset:368
	v_cmpx_lt_u32_e32 45, v0
	s_cbranch_execz .LBB53_247
; %bb.246:
	scratch_load_b64 v[3:4], off, off offset:360
	v_mov_b32_e32 v2, v1
	scratch_store_b64 off, v[1:2], off offset:360
	s_wait_loadcnt 0x0
	ds_store_b64 v27, v[3:4]
.LBB53_247:
	s_wait_alu 0xfffe
	s_or_b32 exec_lo, exec_lo, s0
	s_wait_storecnt_dscnt 0x0
	s_barrier_signal -1
	s_barrier_wait -1
	global_inv scope:SCOPE_SE
	s_clause 0x4
	scratch_load_b128 v[2:5], off, off offset:368
	scratch_load_b128 v[6:9], off, off offset:384
	;; [unrolled: 1-line block ×4, first 2 shown]
	scratch_load_b64 v[144:145], off, off offset:360
	ds_load_b128 v[18:21], v1 offset:800
	ds_load_b128 v[22:25], v1 offset:816
	;; [unrolled: 1-line block ×4, first 2 shown]
	s_mov_b32 s0, exec_lo
	s_wait_loadcnt_dscnt 0x403
	v_dual_mul_f32 v1, v18, v3 :: v_dual_mul_f32 v26, v20, v5
	v_mul_f32_e32 v3, v19, v3
	s_wait_loadcnt_dscnt 0x302
	v_dual_mul_f32 v5, v21, v5 :: v_dual_mul_f32 v146, v22, v7
	s_delay_alu instid0(VALU_DEP_3) | instskip(NEXT) | instid1(VALU_DEP_3)
	v_dual_mul_f32 v147, v24, v9 :: v_dual_fmac_f32 v26, v21, v4
	v_fma_f32 v3, v18, v2, -v3
	v_fmac_f32_e32 v1, v19, v2
	v_mul_f32_e32 v2, v23, v7
	v_fma_f32 v4, v20, v4, -v5
	s_wait_loadcnt_dscnt 0x201
	v_dual_mul_f32 v148, v28, v11 :: v_dual_mul_f32 v149, v30, v13
	v_dual_add_f32 v3, 0, v3 :: v_dual_fmac_f32 v146, v23, v6
	v_fma_f32 v2, v22, v6, -v2
	s_delay_alu instid0(VALU_DEP_3)
	v_fmac_f32_e32 v148, v29, v10
	s_wait_loadcnt_dscnt 0x100
	v_dual_mul_f32 v150, v140, v15 :: v_dual_mul_f32 v151, v142, v17
	v_dual_add_f32 v3, v3, v4 :: v_dual_mul_f32 v4, v29, v11
	v_add_f32_e32 v1, 0, v1
	v_fmac_f32_e32 v147, v25, v8
	s_delay_alu instid0(VALU_DEP_4) | instskip(NEXT) | instid1(VALU_DEP_4)
	v_fmac_f32_e32 v150, v141, v14
	v_add_f32_e32 v2, v3, v2
	v_fma_f32 v4, v28, v10, -v4
	v_mul_f32_e32 v5, v25, v9
	v_mul_f32_e32 v3, v31, v13
	v_fmac_f32_e32 v151, v143, v16
	s_delay_alu instid0(VALU_DEP_3) | instskip(SKIP_1) | instid1(VALU_DEP_4)
	v_fma_f32 v5, v24, v8, -v5
	v_add_f32_e32 v1, v1, v26
	v_fma_f32 v3, v30, v12, -v3
	s_delay_alu instid0(VALU_DEP_3) | instskip(NEXT) | instid1(VALU_DEP_1)
	v_dual_add_f32 v2, v2, v5 :: v_dual_mul_f32 v5, v141, v15
	v_dual_add_f32 v2, v2, v4 :: v_dual_add_f32 v1, v1, v146
	v_mul_f32_e32 v4, v143, v17
	s_delay_alu instid0(VALU_DEP_3) | instskip(NEXT) | instid1(VALU_DEP_3)
	v_fma_f32 v5, v140, v14, -v5
	v_add_f32_e32 v2, v2, v3
	s_delay_alu instid0(VALU_DEP_4) | instskip(NEXT) | instid1(VALU_DEP_4)
	v_add_f32_e32 v1, v1, v147
	v_fma_f32 v3, v142, v16, -v4
	s_delay_alu instid0(VALU_DEP_3) | instskip(NEXT) | instid1(VALU_DEP_1)
	v_dual_add_f32 v2, v2, v5 :: v_dual_fmac_f32 v149, v31, v12
	v_dual_add_f32 v1, v1, v148 :: v_dual_add_f32 v2, v2, v3
	s_delay_alu instid0(VALU_DEP_1) | instskip(NEXT) | instid1(VALU_DEP_1)
	v_add_f32_e32 v1, v1, v149
	v_add_f32_e32 v1, v1, v150
	s_delay_alu instid0(VALU_DEP_1) | instskip(SKIP_1) | instid1(VALU_DEP_1)
	v_add_f32_e32 v3, v1, v151
	s_wait_loadcnt 0x0
	v_dual_sub_f32 v1, v144, v2 :: v_dual_sub_f32 v2, v145, v3
	scratch_store_b64 off, v[1:2], off offset:360
	v_cmpx_lt_u32_e32 44, v0
	s_cbranch_execz .LBB53_249
; %bb.248:
	scratch_load_b64 v[1:2], off, off offset:352
	v_mov_b32_e32 v3, 0
	s_delay_alu instid0(VALU_DEP_1)
	v_mov_b32_e32 v4, v3
	scratch_store_b64 off, v[3:4], off offset:352
	s_wait_loadcnt 0x0
	ds_store_b64 v27, v[1:2]
.LBB53_249:
	s_wait_alu 0xfffe
	s_or_b32 exec_lo, exec_lo, s0
	s_wait_storecnt_dscnt 0x0
	s_barrier_signal -1
	s_barrier_wait -1
	global_inv scope:SCOPE_SE
	s_clause 0x5
	scratch_load_b128 v[2:5], off, off offset:360
	scratch_load_b128 v[6:9], off, off offset:376
	;; [unrolled: 1-line block ×4, first 2 shown]
	scratch_load_b64 v[144:145], off, off offset:424
	scratch_load_b64 v[146:147], off, off offset:352
	v_mov_b32_e32 v1, 0
	ds_load_2addr_b64 v[18:21], v1 offset0:99 offset1:100
	ds_load_2addr_b64 v[22:25], v1 offset0:101 offset1:102
	;; [unrolled: 1-line block ×4, first 2 shown]
	ds_load_b64 v[148:149], v1 offset:856
	s_mov_b32 s0, exec_lo
	s_wait_loadcnt_dscnt 0x504
	v_mul_f32_e32 v26, v18, v3
	s_wait_loadcnt_dscnt 0x403
	v_dual_mul_f32 v152, v24, v9 :: v_dual_mul_f32 v3, v19, v3
	v_dual_mul_f32 v150, v20, v5 :: v_dual_mul_f32 v151, v22, v7
	s_wait_loadcnt_dscnt 0x100
	v_dual_mul_f32 v157, v148, v145 :: v_dual_fmac_f32 v26, v19, v2
	v_mul_f32_e32 v5, v21, v5
	v_fma_f32 v3, v18, v2, -v3
	v_mul_f32_e32 v2, v23, v7
	v_fmac_f32_e32 v150, v21, v4
	v_fmac_f32_e32 v152, v25, v8
	v_fma_f32 v4, v20, v4, -v5
	v_add_f32_e32 v3, 0, v3
	v_add_f32_e32 v5, 0, v26
	v_fma_f32 v2, v22, v6, -v2
	v_fmac_f32_e32 v151, v23, v6
	v_dual_mul_f32 v153, v28, v11 :: v_dual_mul_f32 v154, v30, v13
	s_delay_alu instid0(VALU_DEP_4) | instskip(SKIP_1) | instid1(VALU_DEP_3)
	v_dual_add_f32 v3, v3, v4 :: v_dual_add_f32 v4, v5, v150
	v_mul_f32_e32 v7, v25, v9
	v_dual_mul_f32 v5, v29, v11 :: v_dual_fmac_f32 v154, v31, v12
	s_delay_alu instid0(VALU_DEP_3) | instskip(SKIP_1) | instid1(VALU_DEP_4)
	v_dual_add_f32 v2, v3, v2 :: v_dual_mul_f32 v155, v140, v15
	v_mul_f32_e32 v156, v142, v17
	v_fma_f32 v6, v24, v8, -v7
	s_delay_alu instid0(VALU_DEP_2) | instskip(NEXT) | instid1(VALU_DEP_2)
	v_dual_fmac_f32 v155, v141, v14 :: v_dual_fmac_f32 v156, v143, v16
	v_add_f32_e32 v2, v2, v6
	v_mul_f32_e32 v6, v141, v15
	v_dual_add_f32 v3, v4, v151 :: v_dual_mul_f32 v4, v31, v13
	v_fma_f32 v5, v28, v10, -v5
	s_delay_alu instid0(VALU_DEP_3) | instskip(NEXT) | instid1(VALU_DEP_3)
	v_fma_f32 v6, v140, v14, -v6
	v_add_f32_e32 v3, v3, v152
	s_delay_alu instid0(VALU_DEP_3) | instskip(SKIP_1) | instid1(VALU_DEP_1)
	v_dual_fmac_f32 v153, v29, v10 :: v_dual_add_f32 v2, v2, v5
	v_fma_f32 v4, v30, v12, -v4
	v_dual_add_f32 v3, v3, v153 :: v_dual_add_f32 v2, v2, v4
	v_mul_f32_e32 v5, v143, v17
	s_delay_alu instid0(VALU_DEP_2) | instskip(NEXT) | instid1(VALU_DEP_3)
	v_dual_mul_f32 v4, v149, v145 :: v_dual_add_f32 v3, v3, v154
	v_add_f32_e32 v2, v2, v6
	s_delay_alu instid0(VALU_DEP_3) | instskip(NEXT) | instid1(VALU_DEP_3)
	v_fma_f32 v5, v142, v16, -v5
	v_fma_f32 v4, v148, v144, -v4
	s_delay_alu instid0(VALU_DEP_2) | instskip(NEXT) | instid1(VALU_DEP_1)
	v_dual_add_f32 v3, v3, v155 :: v_dual_add_f32 v2, v2, v5
	v_add_f32_e32 v3, v3, v156
	s_delay_alu instid0(VALU_DEP_2) | instskip(SKIP_1) | instid1(VALU_DEP_1)
	v_add_f32_e32 v2, v2, v4
	s_wait_loadcnt 0x0
	v_dual_fmac_f32 v157, v149, v144 :: v_dual_sub_f32 v2, v146, v2
	s_delay_alu instid0(VALU_DEP_1) | instskip(NEXT) | instid1(VALU_DEP_1)
	v_add_f32_e32 v3, v3, v157
	v_sub_f32_e32 v3, v147, v3
	scratch_store_b64 off, v[2:3], off offset:352
	v_cmpx_lt_u32_e32 43, v0
	s_cbranch_execz .LBB53_251
; %bb.250:
	scratch_load_b64 v[3:4], off, off offset:344
	v_mov_b32_e32 v2, v1
	scratch_store_b64 off, v[1:2], off offset:344
	s_wait_loadcnt 0x0
	ds_store_b64 v27, v[3:4]
.LBB53_251:
	s_wait_alu 0xfffe
	s_or_b32 exec_lo, exec_lo, s0
	s_wait_storecnt_dscnt 0x0
	s_barrier_signal -1
	s_barrier_wait -1
	global_inv scope:SCOPE_SE
	s_clause 0x5
	scratch_load_b128 v[2:5], off, off offset:352
	scratch_load_b128 v[6:9], off, off offset:368
	;; [unrolled: 1-line block ×5, first 2 shown]
	scratch_load_b64 v[152:153], off, off offset:344
	ds_load_b128 v[22:25], v1 offset:784
	ds_load_b128 v[28:31], v1 offset:800
	;; [unrolled: 1-line block ×5, first 2 shown]
	s_mov_b32 s0, exec_lo
	s_wait_loadcnt_dscnt 0x504
	v_dual_mul_f32 v1, v22, v3 :: v_dual_mul_f32 v26, v24, v5
	v_mul_f32_e32 v3, v23, v3
	s_wait_loadcnt_dscnt 0x403
	v_dual_mul_f32 v154, v28, v7 :: v_dual_mul_f32 v155, v30, v9
	s_delay_alu instid0(VALU_DEP_3) | instskip(NEXT) | instid1(VALU_DEP_3)
	v_dual_fmac_f32 v1, v23, v2 :: v_dual_fmac_f32 v26, v25, v4
	v_fma_f32 v3, v22, v2, -v3
	v_mul_f32_e32 v2, v29, v7
	s_wait_loadcnt_dscnt 0x302
	v_dual_mul_f32 v156, v140, v11 :: v_dual_mul_f32 v157, v142, v13
	s_delay_alu instid0(VALU_DEP_3) | instskip(NEXT) | instid1(VALU_DEP_3)
	v_dual_fmac_f32 v154, v29, v6 :: v_dual_add_f32 v3, 0, v3
	v_fma_f32 v2, v28, v6, -v2
	v_mul_f32_e32 v5, v25, v5
	s_delay_alu instid0(VALU_DEP_4) | instskip(SKIP_2) | instid1(VALU_DEP_3)
	v_dual_fmac_f32 v156, v141, v10 :: v_dual_add_f32 v1, 0, v1
	s_wait_loadcnt_dscnt 0x100
	v_dual_mul_f32 v160, v148, v19 :: v_dual_mul_f32 v161, v150, v21
	v_fma_f32 v4, v24, v4, -v5
	v_dual_mul_f32 v5, v31, v9 :: v_dual_mul_f32 v158, v144, v15
	s_delay_alu instid0(VALU_DEP_3) | instskip(SKIP_1) | instid1(VALU_DEP_3)
	v_dual_mul_f32 v159, v146, v17 :: v_dual_fmac_f32 v160, v149, v18
	v_fmac_f32_e32 v155, v31, v8
	v_fma_f32 v5, v30, v8, -v5
	v_dual_add_f32 v3, v3, v4 :: v_dual_mul_f32 v4, v141, v11
	s_delay_alu instid0(VALU_DEP_4) | instskip(SKIP_1) | instid1(VALU_DEP_3)
	v_dual_fmac_f32 v158, v145, v14 :: v_dual_fmac_f32 v159, v147, v16
	v_fmac_f32_e32 v161, v151, v20
	v_add_f32_e32 v2, v3, v2
	s_delay_alu instid0(VALU_DEP_4) | instskip(SKIP_1) | instid1(VALU_DEP_3)
	v_fma_f32 v4, v140, v10, -v4
	v_mul_f32_e32 v3, v143, v13
	v_dual_add_f32 v2, v2, v5 :: v_dual_add_f32 v1, v1, v26
	s_delay_alu instid0(VALU_DEP_2) | instskip(NEXT) | instid1(VALU_DEP_2)
	v_fma_f32 v3, v142, v12, -v3
	v_dual_add_f32 v2, v2, v4 :: v_dual_add_f32 v1, v1, v154
	v_mul_f32_e32 v4, v147, v17
	s_delay_alu instid0(VALU_DEP_2) | instskip(SKIP_1) | instid1(VALU_DEP_3)
	v_dual_fmac_f32 v157, v143, v12 :: v_dual_add_f32 v2, v2, v3
	v_mul_f32_e32 v3, v149, v19
	v_fma_f32 v4, v146, v16, -v4
	v_mul_f32_e32 v5, v145, v15
	s_delay_alu instid0(VALU_DEP_3) | instskip(NEXT) | instid1(VALU_DEP_2)
	v_fma_f32 v3, v148, v18, -v3
	v_fma_f32 v5, v144, v14, -v5
	s_delay_alu instid0(VALU_DEP_1) | instskip(NEXT) | instid1(VALU_DEP_1)
	v_dual_add_f32 v1, v1, v155 :: v_dual_add_f32 v2, v2, v5
	v_dual_mul_f32 v5, v151, v21 :: v_dual_add_f32 v2, v2, v4
	s_delay_alu instid0(VALU_DEP_2) | instskip(NEXT) | instid1(VALU_DEP_2)
	v_add_f32_e32 v1, v1, v156
	v_fma_f32 v4, v150, v20, -v5
	s_delay_alu instid0(VALU_DEP_2) | instskip(NEXT) | instid1(VALU_DEP_1)
	v_dual_add_f32 v2, v2, v3 :: v_dual_add_f32 v1, v1, v157
	v_dual_add_f32 v2, v2, v4 :: v_dual_add_f32 v1, v1, v158
	s_delay_alu instid0(VALU_DEP_1) | instskip(NEXT) | instid1(VALU_DEP_1)
	v_add_f32_e32 v1, v1, v159
	v_add_f32_e32 v1, v1, v160
	s_delay_alu instid0(VALU_DEP_1) | instskip(SKIP_1) | instid1(VALU_DEP_1)
	v_add_f32_e32 v3, v1, v161
	s_wait_loadcnt 0x0
	v_dual_sub_f32 v1, v152, v2 :: v_dual_sub_f32 v2, v153, v3
	scratch_store_b64 off, v[1:2], off offset:344
	v_cmpx_lt_u32_e32 42, v0
	s_cbranch_execz .LBB53_253
; %bb.252:
	scratch_load_b64 v[1:2], off, off offset:336
	v_mov_b32_e32 v3, 0
	s_delay_alu instid0(VALU_DEP_1)
	v_mov_b32_e32 v4, v3
	scratch_store_b64 off, v[3:4], off offset:336
	s_wait_loadcnt 0x0
	ds_store_b64 v27, v[1:2]
.LBB53_253:
	s_wait_alu 0xfffe
	s_or_b32 exec_lo, exec_lo, s0
	s_wait_storecnt_dscnt 0x0
	s_barrier_signal -1
	s_barrier_wait -1
	global_inv scope:SCOPE_SE
	s_clause 0x6
	scratch_load_b128 v[2:5], off, off offset:344
	scratch_load_b128 v[6:9], off, off offset:360
	;; [unrolled: 1-line block ×5, first 2 shown]
	scratch_load_b64 v[152:153], off, off offset:424
	scratch_load_b64 v[154:155], off, off offset:336
	v_mov_b32_e32 v1, 0
	ds_load_2addr_b64 v[22:25], v1 offset0:97 offset1:98
	ds_load_2addr_b64 v[28:31], v1 offset0:99 offset1:100
	;; [unrolled: 1-line block ×5, first 2 shown]
	ds_load_b64 v[156:157], v1 offset:856
	s_mov_b32 s0, exec_lo
	s_wait_loadcnt_dscnt 0x605
	v_mul_f32_e32 v26, v22, v3
	v_dual_mul_f32 v158, v24, v5 :: v_dual_mul_f32 v3, v23, v3
	s_wait_loadcnt_dscnt 0x504
	v_dual_mul_f32 v159, v28, v7 :: v_dual_mul_f32 v160, v30, v9
	v_mul_f32_e32 v5, v25, v5
	s_wait_loadcnt_dscnt 0x100
	v_dual_mul_f32 v167, v156, v153 :: v_dual_fmac_f32 v26, v23, v2
	v_fma_f32 v3, v22, v2, -v3
	v_mul_f32_e32 v2, v29, v7
	v_fmac_f32_e32 v158, v25, v4
	v_fmac_f32_e32 v160, v31, v8
	v_fma_f32 v4, v24, v4, -v5
	v_add_f32_e32 v3, 0, v3
	v_add_f32_e32 v5, 0, v26
	v_mul_f32_e32 v7, v31, v9
	v_fma_f32 v2, v28, v6, -v2
	v_fmac_f32_e32 v159, v29, v6
	s_delay_alu instid0(VALU_DEP_4) | instskip(SKIP_3) | instid1(VALU_DEP_4)
	v_dual_add_f32 v3, v3, v4 :: v_dual_add_f32 v4, v5, v158
	v_mul_f32_e32 v5, v141, v11
	v_fma_f32 v6, v30, v8, -v7
	v_dual_mul_f32 v161, v140, v11 :: v_dual_mul_f32 v162, v142, v13
	v_dual_add_f32 v2, v3, v2 :: v_dual_add_f32 v3, v4, v159
	v_mul_f32_e32 v4, v143, v13
	v_fma_f32 v5, v140, v10, -v5
	s_delay_alu instid0(VALU_DEP_4) | instskip(NEXT) | instid1(VALU_DEP_4)
	v_fmac_f32_e32 v162, v143, v12
	v_add_f32_e32 v2, v2, v6
	v_fmac_f32_e32 v161, v141, v10
	v_dual_add_f32 v3, v3, v160 :: v_dual_mul_f32 v6, v145, v15
	v_fma_f32 v4, v142, v12, -v4
	s_delay_alu instid0(VALU_DEP_4) | instskip(SKIP_1) | instid1(VALU_DEP_4)
	v_dual_add_f32 v2, v2, v5 :: v_dual_mul_f32 v163, v144, v15
	v_mul_f32_e32 v164, v146, v17
	v_add_f32_e32 v3, v3, v161
	v_mul_f32_e32 v5, v147, v17
	v_fma_f32 v6, v144, v14, -v6
	v_dual_add_f32 v2, v2, v4 :: v_dual_fmac_f32 v163, v145, v14
	v_fmac_f32_e32 v164, v147, v16
	v_mul_f32_e32 v4, v149, v19
	v_fma_f32 v5, v146, v16, -v5
	s_delay_alu instid0(VALU_DEP_4) | instskip(SKIP_4) | instid1(VALU_DEP_4)
	v_add_f32_e32 v2, v2, v6
	v_add_f32_e32 v3, v3, v162
	v_dual_mul_f32 v165, v148, v19 :: v_dual_mul_f32 v166, v150, v21
	v_mul_f32_e32 v6, v151, v21
	v_fma_f32 v4, v148, v18, -v4
	v_dual_add_f32 v2, v2, v5 :: v_dual_add_f32 v3, v3, v163
	s_delay_alu instid0(VALU_DEP_4) | instskip(SKIP_2) | instid1(VALU_DEP_4)
	v_fmac_f32_e32 v165, v149, v18
	v_dual_mul_f32 v5, v157, v153 :: v_dual_fmac_f32 v166, v151, v20
	v_fma_f32 v6, v150, v20, -v6
	v_add_f32_e32 v2, v2, v4
	v_add_f32_e32 v3, v3, v164
	s_delay_alu instid0(VALU_DEP_4) | instskip(NEXT) | instid1(VALU_DEP_2)
	v_fma_f32 v4, v156, v152, -v5
	v_dual_add_f32 v2, v2, v6 :: v_dual_add_f32 v3, v3, v165
	s_delay_alu instid0(VALU_DEP_1) | instskip(SKIP_1) | instid1(VALU_DEP_1)
	v_dual_add_f32 v2, v2, v4 :: v_dual_add_f32 v3, v3, v166
	s_wait_loadcnt 0x0
	v_dual_fmac_f32 v167, v157, v152 :: v_dual_sub_f32 v2, v154, v2
	s_delay_alu instid0(VALU_DEP_1) | instskip(NEXT) | instid1(VALU_DEP_1)
	v_add_f32_e32 v3, v3, v167
	v_sub_f32_e32 v3, v155, v3
	scratch_store_b64 off, v[2:3], off offset:336
	v_cmpx_lt_u32_e32 41, v0
	s_cbranch_execz .LBB53_255
; %bb.254:
	scratch_load_b64 v[3:4], off, off offset:328
	v_mov_b32_e32 v2, v1
	scratch_store_b64 off, v[1:2], off offset:328
	s_wait_loadcnt 0x0
	ds_store_b64 v27, v[3:4]
.LBB53_255:
	s_wait_alu 0xfffe
	s_or_b32 exec_lo, exec_lo, s0
	s_wait_storecnt_dscnt 0x0
	s_barrier_signal -1
	s_barrier_wait -1
	global_inv scope:SCOPE_SE
	s_clause 0x6
	scratch_load_b128 v[2:5], off, off offset:336
	scratch_load_b128 v[6:9], off, off offset:352
	;; [unrolled: 1-line block ×6, first 2 shown]
	scratch_load_b64 v[160:161], off, off offset:328
	ds_load_b128 v[28:31], v1 offset:768
	ds_load_b128 v[140:143], v1 offset:784
	;; [unrolled: 1-line block ×6, first 2 shown]
	s_mov_b32 s0, exec_lo
	s_wait_loadcnt_dscnt 0x605
	v_dual_mul_f32 v1, v28, v3 :: v_dual_mul_f32 v26, v30, v5
	v_mul_f32_e32 v3, v29, v3
	s_wait_loadcnt_dscnt 0x504
	v_dual_mul_f32 v5, v31, v5 :: v_dual_mul_f32 v162, v140, v7
	s_delay_alu instid0(VALU_DEP_3) | instskip(NEXT) | instid1(VALU_DEP_3)
	v_dual_mul_f32 v163, v142, v9 :: v_dual_fmac_f32 v26, v31, v4
	v_fma_f32 v3, v28, v2, -v3
	v_fmac_f32_e32 v1, v29, v2
	v_mul_f32_e32 v2, v141, v7
	v_fma_f32 v4, v30, v4, -v5
	s_wait_loadcnt_dscnt 0x403
	v_dual_mul_f32 v164, v144, v11 :: v_dual_mul_f32 v165, v146, v13
	v_dual_add_f32 v3, 0, v3 :: v_dual_fmac_f32 v162, v141, v6
	s_wait_loadcnt_dscnt 0x302
	v_dual_mul_f32 v166, v148, v15 :: v_dual_mul_f32 v167, v150, v17
	s_delay_alu instid0(VALU_DEP_3) | instskip(SKIP_1) | instid1(VALU_DEP_3)
	v_dual_mul_f32 v5, v143, v9 :: v_dual_fmac_f32 v164, v145, v10
	v_fma_f32 v2, v140, v6, -v2
	v_dual_add_f32 v3, v3, v4 :: v_dual_fmac_f32 v166, v149, v14
	s_delay_alu instid0(VALU_DEP_3)
	v_fma_f32 v5, v142, v8, -v5
	v_mul_f32_e32 v4, v145, v11
	s_wait_loadcnt_dscnt 0x201
	v_dual_mul_f32 v168, v152, v19 :: v_dual_mul_f32 v169, v154, v21
	v_add_f32_e32 v2, v3, v2
	v_mul_f32_e32 v3, v147, v13
	v_fma_f32 v4, v144, v10, -v4
	s_delay_alu instid0(VALU_DEP_4)
	v_fmac_f32_e32 v168, v153, v18
	s_wait_loadcnt_dscnt 0x100
	v_dual_mul_f32 v170, v156, v23 :: v_dual_mul_f32 v171, v158, v25
	v_add_f32_e32 v2, v2, v5
	v_add_f32_e32 v1, 0, v1
	v_fma_f32 v3, v146, v12, -v3
	v_fmac_f32_e32 v167, v151, v16
	v_fmac_f32_e32 v169, v155, v20
	s_delay_alu instid0(VALU_DEP_4) | instskip(SKIP_2) | instid1(VALU_DEP_3)
	v_dual_add_f32 v2, v2, v4 :: v_dual_add_f32 v1, v1, v26
	v_mul_f32_e32 v4, v151, v17
	v_fmac_f32_e32 v163, v143, v8
	v_dual_fmac_f32 v171, v159, v24 :: v_dual_add_f32 v2, v2, v3
	s_delay_alu instid0(VALU_DEP_4) | instskip(NEXT) | instid1(VALU_DEP_4)
	v_add_f32_e32 v1, v1, v162
	v_fma_f32 v4, v150, v16, -v4
	v_mul_f32_e32 v5, v149, v15
	v_fmac_f32_e32 v170, v157, v22
	s_delay_alu instid0(VALU_DEP_4) | instskip(NEXT) | instid1(VALU_DEP_3)
	v_add_f32_e32 v1, v1, v163
	v_fma_f32 v5, v148, v14, -v5
	s_delay_alu instid0(VALU_DEP_1) | instskip(NEXT) | instid1(VALU_DEP_1)
	v_dual_fmac_f32 v165, v147, v12 :: v_dual_add_f32 v2, v2, v5
	v_dual_mul_f32 v5, v155, v21 :: v_dual_add_f32 v2, v2, v4
	s_delay_alu instid0(VALU_DEP_1) | instskip(SKIP_2) | instid1(VALU_DEP_2)
	v_fma_f32 v5, v154, v20, -v5
	v_mul_f32_e32 v3, v153, v19
	v_mul_f32_e32 v4, v157, v23
	v_fma_f32 v3, v152, v18, -v3
	v_add_f32_e32 v1, v1, v164
	s_delay_alu instid0(VALU_DEP_3) | instskip(NEXT) | instid1(VALU_DEP_3)
	v_fma_f32 v4, v156, v22, -v4
	v_dual_add_f32 v2, v2, v3 :: v_dual_mul_f32 v3, v159, v25
	s_delay_alu instid0(VALU_DEP_1) | instskip(NEXT) | instid1(VALU_DEP_4)
	v_add_f32_e32 v2, v2, v5
	v_add_f32_e32 v1, v1, v165
	s_delay_alu instid0(VALU_DEP_3) | instskip(NEXT) | instid1(VALU_DEP_2)
	v_fma_f32 v3, v158, v24, -v3
	v_dual_add_f32 v2, v2, v4 :: v_dual_add_f32 v1, v1, v166
	s_delay_alu instid0(VALU_DEP_1) | instskip(NEXT) | instid1(VALU_DEP_2)
	v_add_f32_e32 v2, v2, v3
	v_add_f32_e32 v1, v1, v167
	s_delay_alu instid0(VALU_DEP_1) | instskip(NEXT) | instid1(VALU_DEP_1)
	v_add_f32_e32 v1, v1, v168
	v_add_f32_e32 v1, v1, v169
	s_delay_alu instid0(VALU_DEP_1) | instskip(NEXT) | instid1(VALU_DEP_1)
	v_add_f32_e32 v1, v1, v170
	v_add_f32_e32 v3, v1, v171
	s_wait_loadcnt 0x0
	s_delay_alu instid0(VALU_DEP_1)
	v_dual_sub_f32 v1, v160, v2 :: v_dual_sub_f32 v2, v161, v3
	scratch_store_b64 off, v[1:2], off offset:328
	v_cmpx_lt_u32_e32 40, v0
	s_cbranch_execz .LBB53_257
; %bb.256:
	scratch_load_b64 v[1:2], off, off offset:320
	v_mov_b32_e32 v3, 0
	s_delay_alu instid0(VALU_DEP_1)
	v_mov_b32_e32 v4, v3
	scratch_store_b64 off, v[3:4], off offset:320
	s_wait_loadcnt 0x0
	ds_store_b64 v27, v[1:2]
.LBB53_257:
	s_wait_alu 0xfffe
	s_or_b32 exec_lo, exec_lo, s0
	s_wait_storecnt_dscnt 0x0
	s_barrier_signal -1
	s_barrier_wait -1
	global_inv scope:SCOPE_SE
	s_clause 0x7
	scratch_load_b128 v[2:5], off, off offset:328
	scratch_load_b128 v[6:9], off, off offset:344
	;; [unrolled: 1-line block ×6, first 2 shown]
	scratch_load_b64 v[160:161], off, off offset:424
	scratch_load_b64 v[162:163], off, off offset:320
	v_mov_b32_e32 v1, 0
	ds_load_2addr_b64 v[28:31], v1 offset0:95 offset1:96
	ds_load_2addr_b64 v[140:143], v1 offset0:97 offset1:98
	;; [unrolled: 1-line block ×6, first 2 shown]
	ds_load_b64 v[164:165], v1 offset:856
	s_mov_b32 s0, exec_lo
	s_wait_loadcnt_dscnt 0x706
	v_mul_f32_e32 v26, v28, v3
	v_dual_mul_f32 v3, v29, v3 :: v_dual_mul_f32 v166, v30, v5
	s_wait_loadcnt_dscnt 0x302
	v_dual_mul_f32 v167, v140, v7 :: v_dual_mul_f32 v174, v154, v21
	v_mul_f32_e32 v5, v31, v5
	s_delay_alu instid0(VALU_DEP_3)
	v_fma_f32 v3, v28, v2, -v3
	v_dual_mul_f32 v168, v142, v9 :: v_dual_mul_f32 v169, v144, v11
	s_wait_loadcnt_dscnt 0x100
	v_dual_mul_f32 v177, v164, v161 :: v_dual_fmac_f32 v26, v29, v2
	v_mul_f32_e32 v2, v141, v7
	v_dual_fmac_f32 v166, v31, v4 :: v_dual_add_f32 v3, 0, v3
	v_fma_f32 v4, v30, v4, -v5
	s_delay_alu instid0(VALU_DEP_4) | instskip(SKIP_2) | instid1(VALU_DEP_4)
	v_dual_add_f32 v5, 0, v26 :: v_dual_fmac_f32 v168, v143, v8
	v_mul_f32_e32 v7, v143, v9
	v_fma_f32 v2, v140, v6, -v2
	v_add_f32_e32 v3, v3, v4
	v_fmac_f32_e32 v167, v141, v6
	v_add_f32_e32 v4, v5, v166
	v_mul_f32_e32 v5, v145, v11
	v_fma_f32 v6, v142, v8, -v7
	v_add_f32_e32 v2, v3, v2
	v_dual_mul_f32 v170, v146, v13 :: v_dual_mul_f32 v171, v148, v15
	v_dual_add_f32 v3, v4, v167 :: v_dual_mul_f32 v4, v147, v13
	v_fma_f32 v5, v144, v10, -v5
	s_delay_alu instid0(VALU_DEP_4)
	v_add_f32_e32 v2, v2, v6
	v_fmac_f32_e32 v169, v145, v10
	v_mul_f32_e32 v6, v149, v15
	v_fmac_f32_e32 v170, v147, v12
	v_add_f32_e32 v3, v3, v168
	v_fma_f32 v4, v146, v12, -v4
	v_add_f32_e32 v2, v2, v5
	v_dual_mul_f32 v172, v150, v17 :: v_dual_mul_f32 v173, v152, v19
	s_delay_alu instid0(VALU_DEP_4)
	v_add_f32_e32 v3, v3, v169
	v_mul_f32_e32 v5, v151, v17
	v_fma_f32 v6, v148, v14, -v6
	v_dual_add_f32 v2, v2, v4 :: v_dual_fmac_f32 v171, v149, v14
	v_fmac_f32_e32 v172, v151, v16
	v_mul_f32_e32 v4, v153, v19
	v_fma_f32 v5, v150, v16, -v5
	s_delay_alu instid0(VALU_DEP_4) | instskip(SKIP_3) | instid1(VALU_DEP_3)
	v_add_f32_e32 v2, v2, v6
	v_add_f32_e32 v3, v3, v170
	v_dual_mul_f32 v6, v155, v21 :: v_dual_fmac_f32 v173, v153, v18
	v_fma_f32 v4, v152, v18, -v4
	v_dual_add_f32 v2, v2, v5 :: v_dual_add_f32 v3, v3, v171
	s_delay_alu instid0(VALU_DEP_3) | instskip(SKIP_1) | instid1(VALU_DEP_3)
	v_fma_f32 v6, v154, v20, -v6
	v_dual_mul_f32 v175, v156, v23 :: v_dual_mul_f32 v176, v158, v25
	v_add_f32_e32 v2, v2, v4
	s_delay_alu instid0(VALU_DEP_4) | instskip(SKIP_1) | instid1(VALU_DEP_4)
	v_add_f32_e32 v3, v3, v172
	v_dual_mul_f32 v5, v157, v23 :: v_dual_fmac_f32 v174, v155, v20
	v_dual_mul_f32 v4, v159, v25 :: v_dual_fmac_f32 v175, v157, v22
	s_delay_alu instid0(VALU_DEP_3) | instskip(NEXT) | instid1(VALU_DEP_3)
	v_dual_add_f32 v2, v2, v6 :: v_dual_add_f32 v3, v3, v173
	v_fma_f32 v5, v156, v22, -v5
	v_mul_f32_e32 v6, v165, v161
	v_fmac_f32_e32 v176, v159, v24
	v_fma_f32 v4, v158, v24, -v4
	s_delay_alu instid0(VALU_DEP_4) | instskip(NEXT) | instid1(VALU_DEP_4)
	v_dual_add_f32 v3, v3, v174 :: v_dual_add_f32 v2, v2, v5
	v_fma_f32 v5, v164, v160, -v6
	s_delay_alu instid0(VALU_DEP_2) | instskip(NEXT) | instid1(VALU_DEP_1)
	v_add_f32_e32 v3, v3, v175
	v_add_f32_e32 v3, v3, v176
	s_delay_alu instid0(VALU_DEP_4) | instskip(NEXT) | instid1(VALU_DEP_1)
	v_add_f32_e32 v2, v2, v4
	v_dual_fmac_f32 v177, v165, v160 :: v_dual_add_f32 v2, v2, v5
	s_wait_loadcnt 0x0
	s_delay_alu instid0(VALU_DEP_1) | instskip(NEXT) | instid1(VALU_DEP_1)
	v_dual_sub_f32 v2, v162, v2 :: v_dual_add_f32 v3, v3, v177
	v_sub_f32_e32 v3, v163, v3
	scratch_store_b64 off, v[2:3], off offset:320
	v_cmpx_lt_u32_e32 39, v0
	s_cbranch_execz .LBB53_259
; %bb.258:
	scratch_load_b64 v[3:4], off, off offset:312
	v_mov_b32_e32 v2, v1
	scratch_store_b64 off, v[1:2], off offset:312
	s_wait_loadcnt 0x0
	ds_store_b64 v27, v[3:4]
.LBB53_259:
	s_wait_alu 0xfffe
	s_or_b32 exec_lo, exec_lo, s0
	s_wait_storecnt_dscnt 0x0
	s_barrier_signal -1
	s_barrier_wait -1
	global_inv scope:SCOPE_SE
	s_clause 0x7
	scratch_load_b128 v[2:5], off, off offset:320
	scratch_load_b128 v[6:9], off, off offset:336
	;; [unrolled: 1-line block ×7, first 2 shown]
	scratch_load_b64 v[168:169], off, off offset:312
	ds_load_b128 v[140:143], v1 offset:752
	ds_load_b128 v[144:147], v1 offset:768
	;; [unrolled: 1-line block ×7, first 2 shown]
	s_mov_b32 s0, exec_lo
	s_wait_loadcnt_dscnt 0x706
	v_dual_mul_f32 v1, v140, v3 :: v_dual_mul_f32 v26, v142, v5
	v_mul_f32_e32 v3, v141, v3
	s_wait_loadcnt_dscnt 0x605
	v_dual_mul_f32 v5, v143, v5 :: v_dual_mul_f32 v170, v144, v7
	v_mul_f32_e32 v171, v146, v9
	s_wait_loadcnt_dscnt 0x100
	v_mul_f32_e32 v180, v164, v29
	v_fma_f32 v3, v140, v2, -v3
	v_dual_mul_f32 v181, v166, v31 :: v_dual_fmac_f32 v26, v143, v4
	v_fmac_f32_e32 v1, v141, v2
	v_mul_f32_e32 v2, v145, v7
	v_fma_f32 v4, v142, v4, -v5
	v_dual_add_f32 v3, 0, v3 :: v_dual_fmac_f32 v170, v145, v6
	v_dual_mul_f32 v172, v148, v11 :: v_dual_mul_f32 v173, v150, v13
	v_dual_mul_f32 v174, v152, v15 :: v_dual_mul_f32 v175, v154, v17
	s_delay_alu instid0(VALU_DEP_2) | instskip(SKIP_1) | instid1(VALU_DEP_3)
	v_dual_mul_f32 v5, v147, v9 :: v_dual_fmac_f32 v172, v149, v10
	v_fma_f32 v2, v144, v6, -v2
	v_dual_add_f32 v3, v3, v4 :: v_dual_fmac_f32 v174, v153, v14
	s_delay_alu instid0(VALU_DEP_3) | instskip(SKIP_2) | instid1(VALU_DEP_4)
	v_fma_f32 v5, v146, v8, -v5
	v_mul_f32_e32 v4, v149, v11
	v_dual_mul_f32 v176, v156, v19 :: v_dual_mul_f32 v177, v158, v21
	v_add_f32_e32 v2, v3, v2
	v_mul_f32_e32 v3, v151, v13
	s_delay_alu instid0(VALU_DEP_4) | instskip(NEXT) | instid1(VALU_DEP_4)
	v_fma_f32 v4, v148, v10, -v4
	v_fmac_f32_e32 v176, v157, v18
	v_dual_mul_f32 v178, v160, v23 :: v_dual_mul_f32 v179, v162, v25
	v_add_f32_e32 v2, v2, v5
	v_add_f32_e32 v1, 0, v1
	v_fma_f32 v3, v150, v12, -v3
	v_fmac_f32_e32 v175, v155, v16
	v_fmac_f32_e32 v179, v163, v24
	s_delay_alu instid0(VALU_DEP_4) | instskip(SKIP_2) | instid1(VALU_DEP_3)
	v_dual_add_f32 v2, v2, v4 :: v_dual_add_f32 v1, v1, v26
	v_mul_f32_e32 v4, v155, v17
	v_fmac_f32_e32 v171, v147, v8
	v_dual_fmac_f32 v181, v167, v30 :: v_dual_add_f32 v2, v2, v3
	s_delay_alu instid0(VALU_DEP_4) | instskip(NEXT) | instid1(VALU_DEP_4)
	v_add_f32_e32 v1, v1, v170
	v_fma_f32 v4, v154, v16, -v4
	v_mul_f32_e32 v5, v153, v15
	v_fmac_f32_e32 v178, v161, v22
	v_fmac_f32_e32 v180, v165, v28
	v_add_f32_e32 v1, v1, v171
	s_delay_alu instid0(VALU_DEP_4) | instskip(NEXT) | instid1(VALU_DEP_1)
	v_fma_f32 v5, v152, v14, -v5
	v_dual_fmac_f32 v173, v151, v12 :: v_dual_add_f32 v2, v2, v5
	s_delay_alu instid0(VALU_DEP_1) | instskip(NEXT) | instid1(VALU_DEP_1)
	v_dual_mul_f32 v5, v159, v21 :: v_dual_add_f32 v2, v2, v4
	v_fma_f32 v5, v158, v20, -v5
	v_mul_f32_e32 v3, v157, v19
	v_mul_f32_e32 v4, v161, v23
	s_delay_alu instid0(VALU_DEP_2) | instskip(SKIP_1) | instid1(VALU_DEP_3)
	v_fma_f32 v3, v156, v18, -v3
	v_add_f32_e32 v1, v1, v172
	v_fma_f32 v4, v160, v22, -v4
	s_delay_alu instid0(VALU_DEP_3) | instskip(NEXT) | instid1(VALU_DEP_1)
	v_dual_add_f32 v2, v2, v3 :: v_dual_mul_f32 v3, v163, v25
	v_add_f32_e32 v2, v2, v5
	s_delay_alu instid0(VALU_DEP_4) | instskip(SKIP_1) | instid1(VALU_DEP_4)
	v_add_f32_e32 v1, v1, v173
	v_mul_f32_e32 v5, v165, v29
	v_fma_f32 v3, v162, v24, -v3
	s_delay_alu instid0(VALU_DEP_3) | instskip(SKIP_3) | instid1(VALU_DEP_4)
	v_dual_add_f32 v2, v2, v4 :: v_dual_add_f32 v1, v1, v174
	v_mul_f32_e32 v4, v167, v31
	v_fmac_f32_e32 v177, v159, v20
	v_fma_f32 v5, v164, v28, -v5
	v_add_f32_e32 v2, v2, v3
	v_add_f32_e32 v1, v1, v175
	v_fma_f32 v3, v166, v30, -v4
	s_delay_alu instid0(VALU_DEP_2) | instskip(NEXT) | instid1(VALU_DEP_1)
	v_dual_add_f32 v2, v2, v5 :: v_dual_add_f32 v1, v1, v176
	v_dual_add_f32 v2, v2, v3 :: v_dual_add_f32 v1, v1, v177
	s_delay_alu instid0(VALU_DEP_1) | instskip(NEXT) | instid1(VALU_DEP_1)
	v_add_f32_e32 v1, v1, v178
	v_add_f32_e32 v1, v1, v179
	s_delay_alu instid0(VALU_DEP_1) | instskip(NEXT) | instid1(VALU_DEP_1)
	v_add_f32_e32 v1, v1, v180
	v_add_f32_e32 v3, v1, v181
	s_wait_loadcnt 0x0
	s_delay_alu instid0(VALU_DEP_1)
	v_dual_sub_f32 v1, v168, v2 :: v_dual_sub_f32 v2, v169, v3
	scratch_store_b64 off, v[1:2], off offset:312
	v_cmpx_lt_u32_e32 38, v0
	s_cbranch_execz .LBB53_261
; %bb.260:
	scratch_load_b64 v[1:2], off, off offset:304
	v_mov_b32_e32 v3, 0
	s_delay_alu instid0(VALU_DEP_1)
	v_mov_b32_e32 v4, v3
	scratch_store_b64 off, v[3:4], off offset:304
	s_wait_loadcnt 0x0
	ds_store_b64 v27, v[1:2]
.LBB53_261:
	s_wait_alu 0xfffe
	s_or_b32 exec_lo, exec_lo, s0
	s_wait_storecnt_dscnt 0x0
	s_barrier_signal -1
	s_barrier_wait -1
	global_inv scope:SCOPE_SE
	s_clause 0x8
	scratch_load_b128 v[2:5], off, off offset:312
	scratch_load_b128 v[6:9], off, off offset:328
	;; [unrolled: 1-line block ×7, first 2 shown]
	scratch_load_b64 v[168:169], off, off offset:424
	scratch_load_b64 v[170:171], off, off offset:304
	v_mov_b32_e32 v1, 0
	ds_load_2addr_b64 v[140:143], v1 offset0:93 offset1:94
	ds_load_2addr_b64 v[144:147], v1 offset0:95 offset1:96
	;; [unrolled: 1-line block ×7, first 2 shown]
	ds_load_b64 v[172:173], v1 offset:856
	s_mov_b32 s0, exec_lo
	s_wait_loadcnt_dscnt 0x807
	v_mul_f32_e32 v26, v140, v3
	v_dual_mul_f32 v3, v141, v3 :: v_dual_mul_f32 v174, v142, v5
	s_wait_loadcnt_dscnt 0x706
	v_mul_f32_e32 v175, v144, v7
	v_mul_f32_e32 v5, v143, v5
	s_wait_loadcnt_dscnt 0x302
	v_mul_f32_e32 v184, v162, v25
	v_fma_f32 v3, v140, v2, -v3
	v_dual_mul_f32 v176, v146, v9 :: v_dual_mul_f32 v177, v148, v11
	s_wait_loadcnt_dscnt 0x100
	v_dual_mul_f32 v187, v172, v169 :: v_dual_fmac_f32 v26, v141, v2
	v_mul_f32_e32 v2, v145, v7
	v_dual_fmac_f32 v174, v143, v4 :: v_dual_add_f32 v3, 0, v3
	v_fma_f32 v4, v142, v4, -v5
	s_delay_alu instid0(VALU_DEP_4) | instskip(SKIP_2) | instid1(VALU_DEP_4)
	v_dual_add_f32 v5, 0, v26 :: v_dual_fmac_f32 v176, v147, v8
	v_mul_f32_e32 v7, v147, v9
	v_fma_f32 v2, v144, v6, -v2
	v_add_f32_e32 v3, v3, v4
	v_fmac_f32_e32 v175, v145, v6
	v_add_f32_e32 v4, v5, v174
	v_mul_f32_e32 v5, v149, v11
	v_fma_f32 v6, v146, v8, -v7
	v_add_f32_e32 v2, v3, v2
	v_dual_mul_f32 v178, v150, v13 :: v_dual_mul_f32 v179, v152, v15
	v_dual_add_f32 v3, v4, v175 :: v_dual_mul_f32 v4, v151, v13
	v_fma_f32 v5, v148, v10, -v5
	s_delay_alu instid0(VALU_DEP_4)
	v_add_f32_e32 v2, v2, v6
	v_fmac_f32_e32 v177, v149, v10
	v_mul_f32_e32 v6, v153, v15
	v_fmac_f32_e32 v178, v151, v12
	v_add_f32_e32 v3, v3, v176
	v_fma_f32 v4, v150, v12, -v4
	v_add_f32_e32 v2, v2, v5
	v_dual_mul_f32 v180, v154, v17 :: v_dual_mul_f32 v181, v156, v19
	s_delay_alu instid0(VALU_DEP_4)
	v_add_f32_e32 v3, v3, v177
	v_mul_f32_e32 v5, v155, v17
	v_fma_f32 v6, v152, v14, -v6
	v_dual_add_f32 v2, v2, v4 :: v_dual_fmac_f32 v179, v153, v14
	v_fmac_f32_e32 v180, v155, v16
	v_mul_f32_e32 v4, v157, v19
	v_fma_f32 v5, v154, v16, -v5
	s_delay_alu instid0(VALU_DEP_4) | instskip(SKIP_3) | instid1(VALU_DEP_3)
	v_add_f32_e32 v2, v2, v6
	v_add_f32_e32 v3, v3, v178
	v_dual_mul_f32 v6, v159, v21 :: v_dual_fmac_f32 v181, v157, v18
	v_fma_f32 v4, v156, v18, -v4
	v_dual_add_f32 v2, v2, v5 :: v_dual_add_f32 v3, v3, v179
	v_dual_mul_f32 v182, v158, v21 :: v_dual_mul_f32 v183, v160, v23
	s_delay_alu instid0(VALU_DEP_4) | instskip(NEXT) | instid1(VALU_DEP_3)
	v_fma_f32 v6, v158, v20, -v6
	v_add_f32_e32 v2, v2, v4
	s_delay_alu instid0(VALU_DEP_4) | instskip(NEXT) | instid1(VALU_DEP_4)
	v_add_f32_e32 v3, v3, v180
	v_dual_mul_f32 v5, v161, v23 :: v_dual_fmac_f32 v182, v159, v20
	v_dual_mul_f32 v4, v163, v25 :: v_dual_fmac_f32 v183, v161, v22
	s_delay_alu instid0(VALU_DEP_3) | instskip(NEXT) | instid1(VALU_DEP_3)
	v_dual_add_f32 v2, v2, v6 :: v_dual_add_f32 v3, v3, v181
	v_fma_f32 v5, v160, v22, -v5
	v_dual_mul_f32 v185, v164, v29 :: v_dual_mul_f32 v186, v166, v31
	s_delay_alu instid0(VALU_DEP_3) | instskip(SKIP_2) | instid1(VALU_DEP_4)
	v_dual_mul_f32 v6, v165, v29 :: v_dual_add_f32 v3, v3, v182
	v_fmac_f32_e32 v184, v163, v24
	v_fma_f32 v4, v162, v24, -v4
	v_dual_add_f32 v2, v2, v5 :: v_dual_fmac_f32 v185, v165, v28
	v_fmac_f32_e32 v186, v167, v30
	v_add_f32_e32 v3, v3, v183
	s_delay_alu instid0(VALU_DEP_3) | instskip(SKIP_1) | instid1(VALU_DEP_3)
	v_dual_mul_f32 v5, v167, v31 :: v_dual_add_f32 v2, v2, v4
	v_fma_f32 v6, v164, v28, -v6
	v_dual_mul_f32 v4, v173, v169 :: v_dual_add_f32 v3, v3, v184
	s_delay_alu instid0(VALU_DEP_3) | instskip(NEXT) | instid1(VALU_DEP_3)
	v_fma_f32 v5, v166, v30, -v5
	v_add_f32_e32 v2, v2, v6
	s_delay_alu instid0(VALU_DEP_3) | instskip(NEXT) | instid1(VALU_DEP_4)
	v_fma_f32 v4, v172, v168, -v4
	v_add_f32_e32 v3, v3, v185
	s_delay_alu instid0(VALU_DEP_3) | instskip(NEXT) | instid1(VALU_DEP_1)
	v_dual_fmac_f32 v187, v173, v168 :: v_dual_add_f32 v2, v2, v5
	v_dual_add_f32 v3, v3, v186 :: v_dual_add_f32 v2, v2, v4
	s_wait_loadcnt 0x0
	s_delay_alu instid0(VALU_DEP_1) | instskip(NEXT) | instid1(VALU_DEP_1)
	v_dual_add_f32 v3, v3, v187 :: v_dual_sub_f32 v2, v170, v2
	v_sub_f32_e32 v3, v171, v3
	scratch_store_b64 off, v[2:3], off offset:304
	v_cmpx_lt_u32_e32 37, v0
	s_cbranch_execz .LBB53_263
; %bb.262:
	scratch_load_b64 v[3:4], off, off offset:296
	v_mov_b32_e32 v2, v1
	scratch_store_b64 off, v[1:2], off offset:296
	s_wait_loadcnt 0x0
	ds_store_b64 v27, v[3:4]
.LBB53_263:
	s_wait_alu 0xfffe
	s_or_b32 exec_lo, exec_lo, s0
	s_wait_storecnt_dscnt 0x0
	s_barrier_signal -1
	s_barrier_wait -1
	global_inv scope:SCOPE_SE
	s_clause 0x8
	scratch_load_b128 v[2:5], off, off offset:304
	scratch_load_b128 v[6:9], off, off offset:320
	;; [unrolled: 1-line block ×8, first 2 shown]
	scratch_load_b64 v[176:177], off, off offset:296
	ds_load_b128 v[144:147], v1 offset:736
	ds_load_b128 v[148:151], v1 offset:752
	;; [unrolled: 1-line block ×8, first 2 shown]
	s_mov_b32 s0, exec_lo
	s_wait_loadcnt_dscnt 0x807
	v_dual_mul_f32 v1, v144, v3 :: v_dual_mul_f32 v26, v146, v5
	v_mul_f32_e32 v3, v145, v3
	s_wait_loadcnt_dscnt 0x706
	v_dual_mul_f32 v5, v147, v5 :: v_dual_mul_f32 v178, v148, v7
	v_mul_f32_e32 v179, v150, v9
	s_wait_loadcnt_dscnt 0x201
	v_mul_f32_e32 v188, v168, v29
	v_fma_f32 v3, v144, v2, -v3
	s_wait_loadcnt_dscnt 0x100
	v_dual_mul_f32 v191, v174, v143 :: v_dual_fmac_f32 v26, v147, v4
	v_fmac_f32_e32 v1, v145, v2
	v_mul_f32_e32 v2, v149, v7
	v_fma_f32 v4, v146, v4, -v5
	v_dual_add_f32 v3, 0, v3 :: v_dual_fmac_f32 v178, v149, v6
	v_dual_mul_f32 v180, v152, v11 :: v_dual_mul_f32 v181, v154, v13
	v_dual_mul_f32 v182, v156, v15 :: v_dual_mul_f32 v183, v158, v17
	s_delay_alu instid0(VALU_DEP_2) | instskip(SKIP_1) | instid1(VALU_DEP_3)
	v_dual_mul_f32 v5, v151, v9 :: v_dual_fmac_f32 v180, v153, v10
	v_fma_f32 v2, v148, v6, -v2
	v_dual_add_f32 v3, v3, v4 :: v_dual_fmac_f32 v182, v157, v14
	s_delay_alu instid0(VALU_DEP_3) | instskip(SKIP_1) | instid1(VALU_DEP_3)
	v_fma_f32 v5, v150, v8, -v5
	v_dual_mul_f32 v184, v160, v19 :: v_dual_mul_f32 v185, v162, v21
	v_add_f32_e32 v2, v3, v2
	v_dual_mul_f32 v4, v153, v11 :: v_dual_mul_f32 v3, v155, v13
	s_delay_alu instid0(VALU_DEP_3) | instskip(SKIP_1) | instid1(VALU_DEP_4)
	v_fmac_f32_e32 v184, v161, v18
	v_dual_mul_f32 v186, v164, v23 :: v_dual_mul_f32 v187, v166, v25
	v_add_f32_e32 v2, v2, v5
	v_add_f32_e32 v1, 0, v1
	v_fma_f32 v4, v152, v10, -v4
	v_fma_f32 v3, v154, v12, -v3
	v_fmac_f32_e32 v183, v159, v16
	v_fmac_f32_e32 v187, v167, v24
	s_delay_alu instid0(VALU_DEP_4) | instskip(SKIP_3) | instid1(VALU_DEP_4)
	v_dual_add_f32 v1, v1, v26 :: v_dual_add_f32 v2, v2, v4
	v_mul_f32_e32 v4, v159, v17
	v_fmac_f32_e32 v179, v151, v8
	v_dual_mul_f32 v189, v170, v31 :: v_dual_mul_f32 v190, v172, v141
	v_add_f32_e32 v1, v1, v178
	s_delay_alu instid0(VALU_DEP_4) | instskip(SKIP_1) | instid1(VALU_DEP_4)
	v_fma_f32 v4, v158, v16, -v4
	v_mul_f32_e32 v5, v157, v15
	v_dual_add_f32 v2, v2, v3 :: v_dual_fmac_f32 v189, v171, v30
	v_fmac_f32_e32 v190, v173, v140
	v_add_f32_e32 v1, v1, v179
	s_delay_alu instid0(VALU_DEP_4) | instskip(SKIP_2) | instid1(VALU_DEP_3)
	v_fma_f32 v5, v156, v14, -v5
	v_dual_fmac_f32 v181, v155, v12 :: v_dual_fmac_f32 v186, v165, v22
	v_dual_fmac_f32 v191, v175, v142 :: v_dual_fmac_f32 v188, v169, v28
	v_add_f32_e32 v2, v2, v5
	s_delay_alu instid0(VALU_DEP_1) | instskip(NEXT) | instid1(VALU_DEP_1)
	v_dual_mul_f32 v5, v163, v21 :: v_dual_add_f32 v2, v2, v4
	v_fma_f32 v5, v162, v20, -v5
	v_mul_f32_e32 v3, v161, v19
	v_mul_f32_e32 v4, v165, v23
	s_delay_alu instid0(VALU_DEP_2) | instskip(SKIP_1) | instid1(VALU_DEP_3)
	v_fma_f32 v3, v160, v18, -v3
	v_add_f32_e32 v1, v1, v180
	v_fma_f32 v4, v164, v22, -v4
	s_delay_alu instid0(VALU_DEP_3) | instskip(NEXT) | instid1(VALU_DEP_1)
	v_dual_add_f32 v2, v2, v3 :: v_dual_mul_f32 v3, v167, v25
	v_add_f32_e32 v2, v2, v5
	s_delay_alu instid0(VALU_DEP_4) | instskip(NEXT) | instid1(VALU_DEP_3)
	v_add_f32_e32 v1, v1, v181
	v_fma_f32 v3, v166, v24, -v3
	s_delay_alu instid0(VALU_DEP_2) | instskip(SKIP_1) | instid1(VALU_DEP_2)
	v_dual_add_f32 v2, v2, v4 :: v_dual_add_f32 v1, v1, v182
	v_mul_f32_e32 v4, v171, v31
	v_dual_fmac_f32 v185, v163, v20 :: v_dual_add_f32 v2, v2, v3
	v_mul_f32_e32 v3, v173, v141
	s_delay_alu instid0(VALU_DEP_3) | instskip(SKIP_1) | instid1(VALU_DEP_3)
	v_fma_f32 v4, v170, v30, -v4
	v_mul_f32_e32 v5, v169, v29
	v_fma_f32 v3, v172, v140, -v3
	s_delay_alu instid0(VALU_DEP_2) | instskip(NEXT) | instid1(VALU_DEP_1)
	v_fma_f32 v5, v168, v28, -v5
	v_dual_add_f32 v1, v1, v183 :: v_dual_add_f32 v2, v2, v5
	s_delay_alu instid0(VALU_DEP_1) | instskip(NEXT) | instid1(VALU_DEP_2)
	v_dual_mul_f32 v5, v175, v143 :: v_dual_add_f32 v2, v2, v4
	v_add_f32_e32 v1, v1, v184
	s_delay_alu instid0(VALU_DEP_2) | instskip(NEXT) | instid1(VALU_DEP_2)
	v_fma_f32 v4, v174, v142, -v5
	v_dual_add_f32 v2, v2, v3 :: v_dual_add_f32 v1, v1, v185
	s_delay_alu instid0(VALU_DEP_1) | instskip(NEXT) | instid1(VALU_DEP_1)
	v_dual_add_f32 v2, v2, v4 :: v_dual_add_f32 v1, v1, v186
	v_add_f32_e32 v1, v1, v187
	s_delay_alu instid0(VALU_DEP_1) | instskip(NEXT) | instid1(VALU_DEP_1)
	v_add_f32_e32 v1, v1, v188
	v_add_f32_e32 v1, v1, v189
	s_delay_alu instid0(VALU_DEP_1) | instskip(NEXT) | instid1(VALU_DEP_1)
	v_add_f32_e32 v1, v1, v190
	v_add_f32_e32 v3, v1, v191
	s_wait_loadcnt 0x0
	s_delay_alu instid0(VALU_DEP_1)
	v_dual_sub_f32 v1, v176, v2 :: v_dual_sub_f32 v2, v177, v3
	scratch_store_b64 off, v[1:2], off offset:296
	v_cmpx_lt_u32_e32 36, v0
	s_cbranch_execz .LBB53_265
; %bb.264:
	scratch_load_b64 v[1:2], off, off offset:288
	v_mov_b32_e32 v3, 0
	s_delay_alu instid0(VALU_DEP_1)
	v_mov_b32_e32 v4, v3
	scratch_store_b64 off, v[3:4], off offset:288
	s_wait_loadcnt 0x0
	ds_store_b64 v27, v[1:2]
.LBB53_265:
	s_wait_alu 0xfffe
	s_or_b32 exec_lo, exec_lo, s0
	s_wait_storecnt_dscnt 0x0
	s_barrier_signal -1
	s_barrier_wait -1
	global_inv scope:SCOPE_SE
	s_clause 0x9
	scratch_load_b128 v[2:5], off, off offset:296
	scratch_load_b128 v[6:9], off, off offset:312
	;; [unrolled: 1-line block ×8, first 2 shown]
	scratch_load_b64 v[176:177], off, off offset:424
	scratch_load_b64 v[178:179], off, off offset:288
	v_mov_b32_e32 v1, 0
	ds_load_2addr_b64 v[144:147], v1 offset0:91 offset1:92
	ds_load_2addr_b64 v[148:151], v1 offset0:93 offset1:94
	;; [unrolled: 1-line block ×8, first 2 shown]
	ds_load_b64 v[180:181], v1 offset:856
	s_mov_b32 s0, exec_lo
	s_wait_loadcnt_dscnt 0x908
	v_mul_f32_e32 v26, v144, v3
	v_dual_mul_f32 v3, v145, v3 :: v_dual_mul_f32 v182, v146, v5
	s_wait_loadcnt_dscnt 0x807
	v_mul_f32_e32 v183, v148, v7
	v_mul_f32_e32 v5, v147, v5
	s_wait_loadcnt_dscnt 0x403
	v_mul_f32_e32 v192, v166, v25
	v_fma_f32 v3, v144, v2, -v3
	v_dual_mul_f32 v184, v150, v9 :: v_dual_mul_f32 v185, v152, v11
	s_wait_loadcnt_dscnt 0x100
	v_dual_mul_f32 v197, v180, v177 :: v_dual_fmac_f32 v26, v145, v2
	v_mul_f32_e32 v2, v149, v7
	v_dual_fmac_f32 v182, v147, v4 :: v_dual_add_f32 v3, 0, v3
	v_fma_f32 v4, v146, v4, -v5
	s_delay_alu instid0(VALU_DEP_4) | instskip(SKIP_2) | instid1(VALU_DEP_4)
	v_dual_add_f32 v5, 0, v26 :: v_dual_fmac_f32 v184, v151, v8
	v_mul_f32_e32 v7, v151, v9
	v_fma_f32 v2, v148, v6, -v2
	v_add_f32_e32 v3, v3, v4
	v_fmac_f32_e32 v183, v149, v6
	v_add_f32_e32 v4, v5, v182
	v_mul_f32_e32 v5, v153, v11
	v_fma_f32 v6, v150, v8, -v7
	v_add_f32_e32 v2, v3, v2
	v_dual_mul_f32 v186, v154, v13 :: v_dual_mul_f32 v187, v156, v15
	v_dual_add_f32 v3, v4, v183 :: v_dual_mul_f32 v4, v155, v13
	v_fma_f32 v5, v152, v10, -v5
	s_delay_alu instid0(VALU_DEP_4)
	v_add_f32_e32 v2, v2, v6
	v_fmac_f32_e32 v185, v153, v10
	v_mul_f32_e32 v6, v157, v15
	v_fmac_f32_e32 v186, v155, v12
	v_add_f32_e32 v3, v3, v184
	v_fma_f32 v4, v154, v12, -v4
	v_add_f32_e32 v2, v2, v5
	v_dual_mul_f32 v188, v158, v17 :: v_dual_mul_f32 v189, v160, v19
	s_delay_alu instid0(VALU_DEP_4)
	v_add_f32_e32 v3, v3, v185
	v_mul_f32_e32 v5, v159, v17
	v_fma_f32 v6, v156, v14, -v6
	v_dual_add_f32 v2, v2, v4 :: v_dual_fmac_f32 v187, v157, v14
	v_fmac_f32_e32 v188, v159, v16
	v_mul_f32_e32 v4, v161, v19
	v_fma_f32 v5, v158, v16, -v5
	s_delay_alu instid0(VALU_DEP_4) | instskip(SKIP_3) | instid1(VALU_DEP_3)
	v_add_f32_e32 v2, v2, v6
	v_add_f32_e32 v3, v3, v186
	v_dual_mul_f32 v6, v163, v21 :: v_dual_fmac_f32 v189, v161, v18
	v_fma_f32 v4, v160, v18, -v4
	v_dual_add_f32 v2, v2, v5 :: v_dual_add_f32 v3, v3, v187
	v_dual_mul_f32 v190, v162, v21 :: v_dual_mul_f32 v191, v164, v23
	v_mul_f32_e32 v5, v165, v23
	v_fma_f32 v6, v162, v20, -v6
	s_delay_alu instid0(VALU_DEP_4) | instskip(SKIP_4) | instid1(VALU_DEP_4)
	v_add_f32_e32 v2, v2, v4
	v_add_f32_e32 v3, v3, v188
	v_fmac_f32_e32 v190, v163, v20
	v_dual_mul_f32 v4, v167, v25 :: v_dual_fmac_f32 v191, v165, v22
	v_fma_f32 v5, v164, v22, -v5
	v_dual_add_f32 v2, v2, v6 :: v_dual_add_f32 v3, v3, v189
	v_mul_f32_e32 v6, v169, v29
	s_delay_alu instid0(VALU_DEP_4) | instskip(SKIP_1) | instid1(VALU_DEP_4)
	v_fma_f32 v4, v166, v24, -v4
	v_dual_mul_f32 v193, v168, v29 :: v_dual_mul_f32 v194, v170, v31
	v_dual_add_f32 v3, v3, v190 :: v_dual_add_f32 v2, v2, v5
	s_delay_alu instid0(VALU_DEP_4) | instskip(SKIP_1) | instid1(VALU_DEP_4)
	v_fma_f32 v6, v168, v28, -v6
	v_fmac_f32_e32 v192, v167, v24
	v_dual_fmac_f32 v193, v169, v28 :: v_dual_fmac_f32 v194, v171, v30
	s_delay_alu instid0(VALU_DEP_4) | instskip(SKIP_3) | instid1(VALU_DEP_3)
	v_add_f32_e32 v3, v3, v191
	v_dual_mul_f32 v5, v171, v31 :: v_dual_add_f32 v2, v2, v4
	v_dual_mul_f32 v195, v172, v141 :: v_dual_mul_f32 v196, v174, v143
	v_mul_f32_e32 v4, v173, v141
	v_fma_f32 v5, v170, v30, -v5
	s_delay_alu instid0(VALU_DEP_4) | instskip(NEXT) | instid1(VALU_DEP_4)
	v_add_f32_e32 v2, v2, v6
	v_dual_mul_f32 v6, v175, v143 :: v_dual_fmac_f32 v195, v173, v140
	s_delay_alu instid0(VALU_DEP_4) | instskip(SKIP_1) | instid1(VALU_DEP_4)
	v_fma_f32 v4, v172, v140, -v4
	v_dual_fmac_f32 v196, v175, v142 :: v_dual_fmac_f32 v197, v181, v176
	v_add_f32_e32 v2, v2, v5
	v_mul_f32_e32 v5, v181, v177
	v_add_f32_e32 v3, v3, v192
	v_fma_f32 v6, v174, v142, -v6
	s_delay_alu instid0(VALU_DEP_2) | instskip(NEXT) | instid1(VALU_DEP_1)
	v_add_f32_e32 v3, v3, v193
	v_dual_add_f32 v3, v3, v194 :: v_dual_add_f32 v2, v2, v4
	v_fma_f32 v4, v180, v176, -v5
	s_delay_alu instid0(VALU_DEP_2) | instskip(NEXT) | instid1(VALU_DEP_1)
	v_dual_add_f32 v3, v3, v195 :: v_dual_add_f32 v2, v2, v6
	v_add_f32_e32 v3, v3, v196
	s_delay_alu instid0(VALU_DEP_1) | instskip(SKIP_1) | instid1(VALU_DEP_1)
	v_dual_add_f32 v2, v2, v4 :: v_dual_add_f32 v3, v3, v197
	s_wait_loadcnt 0x0
	v_dual_sub_f32 v2, v178, v2 :: v_dual_sub_f32 v3, v179, v3
	scratch_store_b64 off, v[2:3], off offset:288
	v_cmpx_lt_u32_e32 35, v0
	s_cbranch_execz .LBB53_267
; %bb.266:
	scratch_load_b64 v[3:4], off, off offset:280
	v_mov_b32_e32 v2, v1
	scratch_store_b64 off, v[1:2], off offset:280
	s_wait_loadcnt 0x0
	ds_store_b64 v27, v[3:4]
.LBB53_267:
	s_wait_alu 0xfffe
	s_or_b32 exec_lo, exec_lo, s0
	s_wait_storecnt_dscnt 0x0
	s_barrier_signal -1
	s_barrier_wait -1
	global_inv scope:SCOPE_SE
	s_clause 0x9
	scratch_load_b128 v[2:5], off, off offset:288
	scratch_load_b128 v[6:9], off, off offset:304
	;; [unrolled: 1-line block ×9, first 2 shown]
	scratch_load_b64 v[184:185], off, off offset:280
	ds_load_b128 v[148:151], v1 offset:720
	ds_load_b128 v[152:155], v1 offset:736
	;; [unrolled: 1-line block ×9, first 2 shown]
	s_mov_b32 s0, exec_lo
	s_wait_loadcnt_dscnt 0x908
	v_dual_mul_f32 v1, v148, v3 :: v_dual_mul_f32 v26, v150, v5
	v_mul_f32_e32 v5, v151, v5
	v_mul_f32_e32 v3, v149, v3
	s_wait_loadcnt_dscnt 0x807
	v_dual_mul_f32 v186, v152, v7 :: v_dual_mul_f32 v187, v154, v9
	s_wait_loadcnt_dscnt 0x201
	v_dual_fmac_f32 v1, v149, v2 :: v_dual_mul_f32 v198, v176, v141
	v_fma_f32 v3, v148, v2, -v3
	s_wait_loadcnt_dscnt 0x100
	v_dual_mul_f32 v201, v182, v147 :: v_dual_fmac_f32 v26, v151, v4
	v_mul_f32_e32 v2, v153, v7
	v_fma_f32 v4, v150, v4, -v5
	v_dual_add_f32 v3, 0, v3 :: v_dual_fmac_f32 v186, v153, v6
	v_dual_mul_f32 v188, v156, v11 :: v_dual_mul_f32 v189, v158, v13
	v_dual_mul_f32 v190, v160, v15 :: v_dual_mul_f32 v191, v162, v17
	s_delay_alu instid0(VALU_DEP_2) | instskip(SKIP_1) | instid1(VALU_DEP_3)
	v_dual_mul_f32 v5, v155, v9 :: v_dual_fmac_f32 v188, v157, v10
	v_fma_f32 v2, v152, v6, -v2
	v_dual_add_f32 v3, v3, v4 :: v_dual_fmac_f32 v190, v161, v14
	s_delay_alu instid0(VALU_DEP_3) | instskip(SKIP_1) | instid1(VALU_DEP_3)
	v_fma_f32 v5, v154, v8, -v5
	v_dual_mul_f32 v192, v164, v19 :: v_dual_mul_f32 v193, v166, v21
	v_add_f32_e32 v2, v3, v2
	v_dual_mul_f32 v4, v157, v11 :: v_dual_mul_f32 v3, v159, v13
	s_delay_alu instid0(VALU_DEP_3) | instskip(SKIP_1) | instid1(VALU_DEP_4)
	v_fmac_f32_e32 v192, v165, v18
	v_dual_mul_f32 v194, v168, v23 :: v_dual_mul_f32 v195, v170, v25
	v_add_f32_e32 v2, v2, v5
	v_add_f32_e32 v1, 0, v1
	v_fma_f32 v4, v156, v10, -v4
	v_fma_f32 v3, v158, v12, -v3
	v_dual_fmac_f32 v191, v163, v16 :: v_dual_mul_f32 v196, v172, v29
	v_mul_f32_e32 v197, v174, v31
	s_delay_alu instid0(VALU_DEP_4) | instskip(SKIP_3) | instid1(VALU_DEP_4)
	v_dual_add_f32 v1, v1, v26 :: v_dual_add_f32 v2, v2, v4
	v_mul_f32_e32 v4, v163, v17
	v_fmac_f32_e32 v187, v155, v8
	v_dual_mul_f32 v199, v178, v143 :: v_dual_mul_f32 v200, v180, v145
	v_add_f32_e32 v1, v1, v186
	s_delay_alu instid0(VALU_DEP_4) | instskip(SKIP_2) | instid1(VALU_DEP_4)
	v_fma_f32 v4, v162, v16, -v4
	v_mul_f32_e32 v5, v161, v15
	v_dual_add_f32 v2, v2, v3 :: v_dual_fmac_f32 v195, v171, v24
	v_add_f32_e32 v1, v1, v187
	v_dual_fmac_f32 v197, v175, v30 :: v_dual_fmac_f32 v198, v177, v140
	s_delay_alu instid0(VALU_DEP_4) | instskip(SKIP_2) | instid1(VALU_DEP_3)
	v_fma_f32 v5, v160, v14, -v5
	v_dual_fmac_f32 v189, v159, v12 :: v_dual_fmac_f32 v194, v169, v22
	v_dual_fmac_f32 v201, v183, v146 :: v_dual_fmac_f32 v196, v173, v28
	v_add_f32_e32 v2, v2, v5
	v_dual_mul_f32 v5, v167, v21 :: v_dual_fmac_f32 v200, v181, v144
	s_delay_alu instid0(VALU_DEP_2) | instskip(NEXT) | instid1(VALU_DEP_2)
	v_add_f32_e32 v2, v2, v4
	v_fma_f32 v5, v166, v20, -v5
	v_mul_f32_e32 v3, v165, v19
	v_mul_f32_e32 v4, v169, v23
	s_delay_alu instid0(VALU_DEP_2) | instskip(SKIP_1) | instid1(VALU_DEP_3)
	v_fma_f32 v3, v164, v18, -v3
	v_add_f32_e32 v1, v1, v188
	v_fma_f32 v4, v168, v22, -v4
	s_delay_alu instid0(VALU_DEP_3) | instskip(NEXT) | instid1(VALU_DEP_1)
	v_dual_add_f32 v2, v2, v3 :: v_dual_mul_f32 v3, v171, v25
	v_add_f32_e32 v2, v2, v5
	s_delay_alu instid0(VALU_DEP_4) | instskip(NEXT) | instid1(VALU_DEP_3)
	v_add_f32_e32 v1, v1, v189
	v_fma_f32 v3, v170, v24, -v3
	s_delay_alu instid0(VALU_DEP_2) | instskip(SKIP_1) | instid1(VALU_DEP_2)
	v_dual_add_f32 v2, v2, v4 :: v_dual_add_f32 v1, v1, v190
	v_mul_f32_e32 v4, v175, v31
	v_dual_fmac_f32 v193, v167, v20 :: v_dual_add_f32 v2, v2, v3
	v_mul_f32_e32 v3, v177, v141
	s_delay_alu instid0(VALU_DEP_3) | instskip(SKIP_1) | instid1(VALU_DEP_3)
	v_fma_f32 v4, v174, v30, -v4
	v_mul_f32_e32 v5, v173, v29
	v_fma_f32 v3, v176, v140, -v3
	s_delay_alu instid0(VALU_DEP_2) | instskip(NEXT) | instid1(VALU_DEP_1)
	v_fma_f32 v5, v172, v28, -v5
	v_dual_add_f32 v1, v1, v191 :: v_dual_add_f32 v2, v2, v5
	s_delay_alu instid0(VALU_DEP_1) | instskip(NEXT) | instid1(VALU_DEP_2)
	v_dual_mul_f32 v5, v179, v143 :: v_dual_add_f32 v2, v2, v4
	v_add_f32_e32 v1, v1, v192
	v_mul_f32_e32 v4, v181, v145
	s_delay_alu instid0(VALU_DEP_3) | instskip(NEXT) | instid1(VALU_DEP_4)
	v_fma_f32 v5, v178, v142, -v5
	v_dual_add_f32 v2, v2, v3 :: v_dual_fmac_f32 v199, v179, v142
	v_mul_f32_e32 v3, v183, v147
	s_delay_alu instid0(VALU_DEP_4) | instskip(NEXT) | instid1(VALU_DEP_3)
	v_fma_f32 v4, v180, v144, -v4
	v_add_f32_e32 v2, v2, v5
	v_add_f32_e32 v1, v1, v193
	s_delay_alu instid0(VALU_DEP_4) | instskip(NEXT) | instid1(VALU_DEP_2)
	v_fma_f32 v3, v182, v146, -v3
	v_dual_add_f32 v2, v2, v4 :: v_dual_add_f32 v1, v1, v194
	s_delay_alu instid0(VALU_DEP_1) | instskip(NEXT) | instid1(VALU_DEP_2)
	v_add_f32_e32 v2, v2, v3
	v_add_f32_e32 v1, v1, v195
	s_delay_alu instid0(VALU_DEP_1) | instskip(NEXT) | instid1(VALU_DEP_1)
	v_add_f32_e32 v1, v1, v196
	v_add_f32_e32 v1, v1, v197
	s_delay_alu instid0(VALU_DEP_1) | instskip(NEXT) | instid1(VALU_DEP_1)
	;; [unrolled: 3-line block ×3, first 2 shown]
	v_add_f32_e32 v1, v1, v200
	v_add_f32_e32 v3, v1, v201
	s_wait_loadcnt 0x0
	s_delay_alu instid0(VALU_DEP_1)
	v_dual_sub_f32 v1, v184, v2 :: v_dual_sub_f32 v2, v185, v3
	scratch_store_b64 off, v[1:2], off offset:280
	v_cmpx_lt_u32_e32 34, v0
	s_cbranch_execz .LBB53_269
; %bb.268:
	scratch_load_b64 v[1:2], off, off offset:272
	v_mov_b32_e32 v3, 0
	s_delay_alu instid0(VALU_DEP_1)
	v_mov_b32_e32 v4, v3
	scratch_store_b64 off, v[3:4], off offset:272
	s_wait_loadcnt 0x0
	ds_store_b64 v27, v[1:2]
.LBB53_269:
	s_wait_alu 0xfffe
	s_or_b32 exec_lo, exec_lo, s0
	s_wait_storecnt_dscnt 0x0
	s_barrier_signal -1
	s_barrier_wait -1
	global_inv scope:SCOPE_SE
	s_clause 0xa
	scratch_load_b128 v[2:5], off, off offset:280
	scratch_load_b128 v[6:9], off, off offset:296
	;; [unrolled: 1-line block ×9, first 2 shown]
	scratch_load_b64 v[184:185], off, off offset:424
	scratch_load_b64 v[186:187], off, off offset:272
	v_mov_b32_e32 v1, 0
	ds_load_2addr_b64 v[148:151], v1 offset0:89 offset1:90
	ds_load_2addr_b64 v[152:155], v1 offset0:91 offset1:92
	;; [unrolled: 1-line block ×9, first 2 shown]
	ds_load_b64 v[188:189], v1 offset:856
	s_mov_b32 s0, exec_lo
	s_wait_loadcnt_dscnt 0xa09
	v_mul_f32_e32 v26, v148, v3
	v_dual_mul_f32 v3, v149, v3 :: v_dual_mul_f32 v190, v150, v5
	s_wait_loadcnt_dscnt 0x908
	v_mul_f32_e32 v191, v152, v7
	v_mul_f32_e32 v5, v151, v5
	s_wait_loadcnt_dscnt 0x504
	v_mul_f32_e32 v200, v170, v25
	v_fma_f32 v3, v148, v2, -v3
	v_dual_mul_f32 v192, v154, v9 :: v_dual_mul_f32 v193, v156, v11
	s_wait_loadcnt_dscnt 0x100
	v_dual_mul_f32 v207, v188, v185 :: v_dual_fmac_f32 v26, v149, v2
	v_mul_f32_e32 v2, v153, v7
	v_dual_fmac_f32 v190, v151, v4 :: v_dual_add_f32 v3, 0, v3
	v_fma_f32 v4, v150, v4, -v5
	s_delay_alu instid0(VALU_DEP_4) | instskip(SKIP_2) | instid1(VALU_DEP_4)
	v_dual_add_f32 v5, 0, v26 :: v_dual_fmac_f32 v192, v155, v8
	v_mul_f32_e32 v7, v155, v9
	v_fma_f32 v2, v152, v6, -v2
	v_add_f32_e32 v3, v3, v4
	v_fmac_f32_e32 v191, v153, v6
	v_add_f32_e32 v4, v5, v190
	v_mul_f32_e32 v5, v157, v11
	v_fma_f32 v6, v154, v8, -v7
	v_add_f32_e32 v2, v3, v2
	v_dual_mul_f32 v194, v158, v13 :: v_dual_mul_f32 v195, v160, v15
	v_dual_add_f32 v3, v4, v191 :: v_dual_mul_f32 v4, v159, v13
	v_fma_f32 v5, v156, v10, -v5
	s_delay_alu instid0(VALU_DEP_4)
	v_add_f32_e32 v2, v2, v6
	v_fmac_f32_e32 v193, v157, v10
	v_mul_f32_e32 v6, v161, v15
	v_fmac_f32_e32 v194, v159, v12
	v_add_f32_e32 v3, v3, v192
	v_fma_f32 v4, v158, v12, -v4
	v_add_f32_e32 v2, v2, v5
	v_dual_mul_f32 v196, v162, v17 :: v_dual_mul_f32 v197, v164, v19
	s_delay_alu instid0(VALU_DEP_4)
	v_add_f32_e32 v3, v3, v193
	v_mul_f32_e32 v5, v163, v17
	v_fma_f32 v6, v160, v14, -v6
	v_dual_add_f32 v2, v2, v4 :: v_dual_fmac_f32 v195, v161, v14
	v_fmac_f32_e32 v196, v163, v16
	v_mul_f32_e32 v4, v165, v19
	v_fma_f32 v5, v162, v16, -v5
	s_delay_alu instid0(VALU_DEP_4) | instskip(SKIP_3) | instid1(VALU_DEP_3)
	v_add_f32_e32 v2, v2, v6
	v_add_f32_e32 v3, v3, v194
	v_dual_mul_f32 v6, v167, v21 :: v_dual_fmac_f32 v197, v165, v18
	v_fma_f32 v4, v164, v18, -v4
	v_dual_add_f32 v2, v2, v5 :: v_dual_add_f32 v3, v3, v195
	v_dual_mul_f32 v198, v166, v21 :: v_dual_mul_f32 v199, v168, v23
	v_mul_f32_e32 v5, v169, v23
	v_fma_f32 v6, v166, v20, -v6
	s_delay_alu instid0(VALU_DEP_4) | instskip(SKIP_4) | instid1(VALU_DEP_4)
	v_add_f32_e32 v2, v2, v4
	v_add_f32_e32 v3, v3, v196
	v_fmac_f32_e32 v198, v167, v20
	v_dual_mul_f32 v4, v171, v25 :: v_dual_fmac_f32 v199, v169, v22
	v_fma_f32 v5, v168, v22, -v5
	v_dual_add_f32 v2, v2, v6 :: v_dual_add_f32 v3, v3, v197
	v_mul_f32_e32 v6, v173, v29
	s_delay_alu instid0(VALU_DEP_4) | instskip(SKIP_1) | instid1(VALU_DEP_4)
	v_fma_f32 v4, v170, v24, -v4
	v_dual_mul_f32 v201, v172, v29 :: v_dual_mul_f32 v202, v174, v31
	v_dual_add_f32 v3, v3, v198 :: v_dual_add_f32 v2, v2, v5
	s_delay_alu instid0(VALU_DEP_4) | instskip(SKIP_1) | instid1(VALU_DEP_4)
	v_fma_f32 v6, v172, v28, -v6
	v_fmac_f32_e32 v200, v171, v24
	v_dual_fmac_f32 v201, v173, v28 :: v_dual_fmac_f32 v202, v175, v30
	s_delay_alu instid0(VALU_DEP_4) | instskip(SKIP_3) | instid1(VALU_DEP_3)
	v_add_f32_e32 v3, v3, v199
	v_dual_mul_f32 v5, v175, v31 :: v_dual_add_f32 v2, v2, v4
	v_dual_mul_f32 v203, v176, v141 :: v_dual_mul_f32 v204, v178, v143
	v_mul_f32_e32 v4, v177, v141
	v_fma_f32 v5, v174, v30, -v5
	s_delay_alu instid0(VALU_DEP_4) | instskip(NEXT) | instid1(VALU_DEP_4)
	v_add_f32_e32 v2, v2, v6
	v_dual_mul_f32 v6, v179, v143 :: v_dual_fmac_f32 v203, v177, v140
	s_delay_alu instid0(VALU_DEP_4) | instskip(SKIP_1) | instid1(VALU_DEP_4)
	v_fma_f32 v4, v176, v140, -v4
	v_dual_mul_f32 v205, v180, v145 :: v_dual_mul_f32 v206, v182, v147
	v_add_f32_e32 v2, v2, v5
	v_mul_f32_e32 v5, v181, v145
	v_add_f32_e32 v3, v3, v200
	s_delay_alu instid0(VALU_DEP_4) | instskip(SKIP_1) | instid1(VALU_DEP_4)
	v_dual_fmac_f32 v204, v179, v142 :: v_dual_fmac_f32 v205, v181, v144
	v_fma_f32 v6, v178, v142, -v6
	v_fma_f32 v5, v180, v144, -v5
	s_delay_alu instid0(VALU_DEP_4) | instskip(SKIP_1) | instid1(VALU_DEP_2)
	v_add_f32_e32 v3, v3, v201
	v_dual_fmac_f32 v206, v183, v146 :: v_dual_fmac_f32 v207, v189, v184
	v_dual_add_f32 v3, v3, v202 :: v_dual_add_f32 v2, v2, v4
	v_mul_f32_e32 v4, v183, v147
	s_delay_alu instid0(VALU_DEP_2) | instskip(NEXT) | instid1(VALU_DEP_2)
	v_dual_add_f32 v3, v3, v203 :: v_dual_add_f32 v2, v2, v6
	v_fma_f32 v4, v182, v146, -v4
	s_delay_alu instid0(VALU_DEP_2) | instskip(NEXT) | instid1(VALU_DEP_1)
	v_add_f32_e32 v3, v3, v204
	v_add_f32_e32 v3, v3, v205
	s_delay_alu instid0(VALU_DEP_1) | instskip(SKIP_1) | instid1(VALU_DEP_2)
	v_dual_mul_f32 v6, v189, v185 :: v_dual_add_f32 v3, v3, v206
	v_add_f32_e32 v2, v2, v5
	v_fma_f32 v5, v188, v184, -v6
	s_delay_alu instid0(VALU_DEP_2) | instskip(SKIP_1) | instid1(VALU_DEP_1)
	v_dual_add_f32 v3, v3, v207 :: v_dual_add_f32 v2, v2, v4
	s_wait_loadcnt 0x0
	v_dual_sub_f32 v3, v187, v3 :: v_dual_add_f32 v2, v2, v5
	s_delay_alu instid0(VALU_DEP_1)
	v_sub_f32_e32 v2, v186, v2
	scratch_store_b64 off, v[2:3], off offset:272
	v_cmpx_lt_u32_e32 33, v0
	s_cbranch_execz .LBB53_271
; %bb.270:
	scratch_load_b64 v[3:4], off, off offset:264
	v_mov_b32_e32 v2, v1
	scratch_store_b64 off, v[1:2], off offset:264
	s_wait_loadcnt 0x0
	ds_store_b64 v27, v[3:4]
.LBB53_271:
	s_wait_alu 0xfffe
	s_or_b32 exec_lo, exec_lo, s0
	s_wait_storecnt_dscnt 0x0
	s_barrier_signal -1
	s_barrier_wait -1
	global_inv scope:SCOPE_SE
	s_clause 0xa
	scratch_load_b128 v[2:5], off, off offset:272
	scratch_load_b128 v[6:9], off, off offset:288
	;; [unrolled: 1-line block ×10, first 2 shown]
	scratch_load_b64 v[192:193], off, off offset:264
	ds_load_b128 v[152:155], v1 offset:704
	ds_load_b128 v[156:159], v1 offset:720
	;; [unrolled: 1-line block ×10, first 2 shown]
	s_mov_b32 s0, exec_lo
	s_wait_loadcnt_dscnt 0xa09
	v_dual_mul_f32 v1, v152, v3 :: v_dual_mul_f32 v26, v154, v5
	s_wait_loadcnt_dscnt 0x908
	v_dual_mul_f32 v5, v155, v5 :: v_dual_mul_f32 v194, v156, v7
	v_mul_f32_e32 v195, v158, v9
	v_mul_f32_e32 v3, v153, v3
	v_dual_fmac_f32 v1, v153, v2 :: v_dual_fmac_f32 v26, v155, v4
	s_wait_loadcnt_dscnt 0x100
	v_dual_mul_f32 v208, v184, v145 :: v_dual_mul_f32 v211, v190, v151
	s_delay_alu instid0(VALU_DEP_3) | instskip(SKIP_3) | instid1(VALU_DEP_4)
	v_fma_f32 v3, v152, v2, -v3
	v_mul_f32_e32 v2, v157, v7
	v_fma_f32 v4, v154, v4, -v5
	v_dual_mul_f32 v196, v160, v11 :: v_dual_mul_f32 v197, v162, v13
	v_dual_add_f32 v3, 0, v3 :: v_dual_fmac_f32 v194, v157, v6
	v_dual_mul_f32 v198, v164, v15 :: v_dual_mul_f32 v199, v166, v17
	s_delay_alu instid0(VALU_DEP_3) | instskip(SKIP_1) | instid1(VALU_DEP_3)
	v_dual_mul_f32 v5, v159, v9 :: v_dual_fmac_f32 v196, v161, v10
	v_fma_f32 v2, v156, v6, -v2
	v_dual_add_f32 v3, v3, v4 :: v_dual_fmac_f32 v198, v165, v14
	s_delay_alu instid0(VALU_DEP_3) | instskip(SKIP_1) | instid1(VALU_DEP_3)
	v_fma_f32 v5, v158, v8, -v5
	v_dual_mul_f32 v200, v168, v19 :: v_dual_mul_f32 v201, v170, v21
	v_add_f32_e32 v2, v3, v2
	v_dual_mul_f32 v3, v163, v13 :: v_dual_mul_f32 v4, v161, v11
	s_delay_alu instid0(VALU_DEP_3) | instskip(SKIP_1) | instid1(VALU_DEP_4)
	v_fmac_f32_e32 v200, v169, v18
	v_dual_mul_f32 v202, v172, v23 :: v_dual_mul_f32 v203, v174, v25
	v_add_f32_e32 v2, v2, v5
	v_add_f32_e32 v1, 0, v1
	v_fma_f32 v4, v160, v10, -v4
	v_fma_f32 v3, v162, v12, -v3
	v_dual_fmac_f32 v199, v167, v16 :: v_dual_mul_f32 v204, v176, v29
	v_mul_f32_e32 v205, v178, v31
	s_delay_alu instid0(VALU_DEP_4) | instskip(SKIP_3) | instid1(VALU_DEP_4)
	v_dual_add_f32 v1, v1, v26 :: v_dual_add_f32 v2, v2, v4
	v_mul_f32_e32 v4, v167, v17
	v_dual_fmac_f32 v195, v159, v8 :: v_dual_mul_f32 v206, v180, v141
	v_mul_f32_e32 v207, v182, v143
	v_add_f32_e32 v1, v1, v194
	s_delay_alu instid0(VALU_DEP_4) | instskip(SKIP_2) | instid1(VALU_DEP_4)
	v_fma_f32 v4, v166, v16, -v4
	v_mul_f32_e32 v5, v165, v15
	v_dual_add_f32 v2, v2, v3 :: v_dual_fmac_f32 v203, v175, v24
	v_add_f32_e32 v1, v1, v195
	v_dual_mul_f32 v209, v186, v147 :: v_dual_mul_f32 v210, v188, v149
	s_delay_alu instid0(VALU_DEP_4) | instskip(SKIP_2) | instid1(VALU_DEP_3)
	v_fma_f32 v5, v164, v14, -v5
	v_dual_fmac_f32 v197, v163, v12 :: v_dual_fmac_f32 v202, v173, v22
	v_dual_fmac_f32 v205, v179, v30 :: v_dual_fmac_f32 v206, v181, v140
	v_add_f32_e32 v2, v2, v5
	v_mul_f32_e32 v5, v171, v21
	v_fmac_f32_e32 v209, v187, v146
	v_dual_fmac_f32 v211, v191, v150 :: v_dual_fmac_f32 v204, v177, v28
	s_delay_alu instid0(VALU_DEP_4) | instskip(NEXT) | instid1(VALU_DEP_4)
	v_add_f32_e32 v2, v2, v4
	v_fma_f32 v5, v170, v20, -v5
	v_mul_f32_e32 v3, v169, v19
	v_mul_f32_e32 v4, v173, v23
	v_fmac_f32_e32 v208, v185, v144
	v_fmac_f32_e32 v210, v189, v148
	s_delay_alu instid0(VALU_DEP_4) | instskip(SKIP_2) | instid1(VALU_DEP_3)
	v_fma_f32 v3, v168, v18, -v3
	v_add_f32_e32 v1, v1, v196
	v_fma_f32 v4, v172, v22, -v4
	v_dual_add_f32 v2, v2, v3 :: v_dual_mul_f32 v3, v175, v25
	s_delay_alu instid0(VALU_DEP_1) | instskip(NEXT) | instid1(VALU_DEP_4)
	v_add_f32_e32 v2, v2, v5
	v_add_f32_e32 v1, v1, v197
	s_delay_alu instid0(VALU_DEP_3) | instskip(NEXT) | instid1(VALU_DEP_2)
	v_fma_f32 v3, v174, v24, -v3
	v_dual_add_f32 v2, v2, v4 :: v_dual_add_f32 v1, v1, v198
	v_mul_f32_e32 v4, v179, v31
	s_delay_alu instid0(VALU_DEP_2) | instskip(SKIP_1) | instid1(VALU_DEP_3)
	v_dual_fmac_f32 v201, v171, v20 :: v_dual_add_f32 v2, v2, v3
	v_mul_f32_e32 v3, v181, v141
	v_fma_f32 v4, v178, v30, -v4
	v_mul_f32_e32 v5, v177, v29
	s_delay_alu instid0(VALU_DEP_3) | instskip(NEXT) | instid1(VALU_DEP_2)
	v_fma_f32 v3, v180, v140, -v3
	v_fma_f32 v5, v176, v28, -v5
	s_delay_alu instid0(VALU_DEP_1) | instskip(NEXT) | instid1(VALU_DEP_1)
	v_dual_add_f32 v1, v1, v199 :: v_dual_add_f32 v2, v2, v5
	v_dual_mul_f32 v5, v183, v143 :: v_dual_add_f32 v2, v2, v4
	s_delay_alu instid0(VALU_DEP_2) | instskip(SKIP_1) | instid1(VALU_DEP_3)
	v_add_f32_e32 v1, v1, v200
	v_mul_f32_e32 v4, v185, v145
	v_fma_f32 v5, v182, v142, -v5
	s_delay_alu instid0(VALU_DEP_4) | instskip(SKIP_1) | instid1(VALU_DEP_4)
	v_dual_add_f32 v2, v2, v3 :: v_dual_fmac_f32 v207, v183, v142
	v_mul_f32_e32 v3, v187, v147
	v_fma_f32 v4, v184, v144, -v4
	s_delay_alu instid0(VALU_DEP_3) | instskip(SKIP_1) | instid1(VALU_DEP_4)
	v_add_f32_e32 v2, v2, v5
	v_add_f32_e32 v1, v1, v201
	v_fma_f32 v3, v186, v146, -v3
	s_delay_alu instid0(VALU_DEP_2) | instskip(SKIP_1) | instid1(VALU_DEP_2)
	v_dual_add_f32 v2, v2, v4 :: v_dual_add_f32 v1, v1, v202
	v_dual_mul_f32 v4, v191, v151 :: v_dual_mul_f32 v5, v189, v149
	v_add_f32_e32 v2, v2, v3
	s_delay_alu instid0(VALU_DEP_2) | instskip(NEXT) | instid1(VALU_DEP_3)
	v_fma_f32 v3, v190, v150, -v4
	v_fma_f32 v5, v188, v148, -v5
	s_delay_alu instid0(VALU_DEP_1) | instskip(NEXT) | instid1(VALU_DEP_1)
	v_dual_add_f32 v1, v1, v203 :: v_dual_add_f32 v2, v2, v5
	v_dual_add_f32 v1, v1, v204 :: v_dual_add_f32 v2, v2, v3
	s_delay_alu instid0(VALU_DEP_1) | instskip(NEXT) | instid1(VALU_DEP_1)
	v_add_f32_e32 v1, v1, v205
	v_add_f32_e32 v1, v1, v206
	s_delay_alu instid0(VALU_DEP_1) | instskip(NEXT) | instid1(VALU_DEP_1)
	v_add_f32_e32 v1, v1, v207
	v_add_f32_e32 v1, v1, v208
	;; [unrolled: 3-line block ×3, first 2 shown]
	s_delay_alu instid0(VALU_DEP_1) | instskip(SKIP_1) | instid1(VALU_DEP_1)
	v_add_f32_e32 v3, v1, v211
	s_wait_loadcnt 0x0
	v_dual_sub_f32 v1, v192, v2 :: v_dual_sub_f32 v2, v193, v3
	scratch_store_b64 off, v[1:2], off offset:264
	v_cmpx_lt_u32_e32 32, v0
	s_cbranch_execz .LBB53_273
; %bb.272:
	scratch_load_b64 v[1:2], off, off offset:256
	v_mov_b32_e32 v3, 0
	s_delay_alu instid0(VALU_DEP_1)
	v_mov_b32_e32 v4, v3
	scratch_store_b64 off, v[3:4], off offset:256
	s_wait_loadcnt 0x0
	ds_store_b64 v27, v[1:2]
.LBB53_273:
	s_wait_alu 0xfffe
	s_or_b32 exec_lo, exec_lo, s0
	s_wait_storecnt_dscnt 0x0
	s_barrier_signal -1
	s_barrier_wait -1
	global_inv scope:SCOPE_SE
	s_clause 0xb
	scratch_load_b128 v[2:5], off, off offset:264
	scratch_load_b128 v[6:9], off, off offset:280
	;; [unrolled: 1-line block ×10, first 2 shown]
	scratch_load_b64 v[192:193], off, off offset:424
	scratch_load_b64 v[194:195], off, off offset:256
	v_mov_b32_e32 v1, 0
	ds_load_2addr_b64 v[152:155], v1 offset0:87 offset1:88
	ds_load_2addr_b64 v[156:159], v1 offset0:89 offset1:90
	;; [unrolled: 1-line block ×10, first 2 shown]
	ds_load_b64 v[196:197], v1 offset:856
	s_mov_b32 s0, exec_lo
	s_wait_loadcnt_dscnt 0xb0a
	v_mul_f32_e32 v26, v152, v3
	v_dual_mul_f32 v3, v153, v3 :: v_dual_mul_f32 v198, v154, v5
	s_wait_loadcnt_dscnt 0xa09
	v_mul_f32_e32 v199, v156, v7
	v_mul_f32_e32 v5, v155, v5
	s_wait_loadcnt_dscnt 0x605
	v_mul_f32_e32 v208, v174, v25
	v_fma_f32 v3, v152, v2, -v3
	v_dual_mul_f32 v200, v158, v9 :: v_dual_mul_f32 v201, v160, v11
	s_wait_loadcnt_dscnt 0x100
	v_dual_fmac_f32 v26, v153, v2 :: v_dual_mul_f32 v217, v196, v193
	v_mul_f32_e32 v2, v157, v7
	v_dual_fmac_f32 v198, v155, v4 :: v_dual_add_f32 v3, 0, v3
	v_fma_f32 v4, v154, v4, -v5
	s_delay_alu instid0(VALU_DEP_4) | instskip(SKIP_2) | instid1(VALU_DEP_4)
	v_dual_add_f32 v5, 0, v26 :: v_dual_fmac_f32 v200, v159, v8
	v_mul_f32_e32 v7, v159, v9
	v_fma_f32 v2, v156, v6, -v2
	v_add_f32_e32 v3, v3, v4
	v_fmac_f32_e32 v199, v157, v6
	v_add_f32_e32 v4, v5, v198
	v_mul_f32_e32 v5, v161, v11
	v_fma_f32 v6, v158, v8, -v7
	v_add_f32_e32 v2, v3, v2
	v_dual_mul_f32 v202, v162, v13 :: v_dual_mul_f32 v203, v164, v15
	v_dual_add_f32 v3, v4, v199 :: v_dual_mul_f32 v4, v163, v13
	v_fma_f32 v5, v160, v10, -v5
	s_delay_alu instid0(VALU_DEP_4)
	v_add_f32_e32 v2, v2, v6
	v_fmac_f32_e32 v201, v161, v10
	v_mul_f32_e32 v6, v165, v15
	v_fmac_f32_e32 v202, v163, v12
	v_add_f32_e32 v3, v3, v200
	v_fma_f32 v4, v162, v12, -v4
	v_add_f32_e32 v2, v2, v5
	v_dual_mul_f32 v204, v166, v17 :: v_dual_mul_f32 v205, v168, v19
	s_delay_alu instid0(VALU_DEP_4)
	v_add_f32_e32 v3, v3, v201
	v_mul_f32_e32 v5, v167, v17
	v_fma_f32 v6, v164, v14, -v6
	v_dual_add_f32 v2, v2, v4 :: v_dual_fmac_f32 v203, v165, v14
	v_fmac_f32_e32 v204, v167, v16
	v_mul_f32_e32 v4, v169, v19
	v_fma_f32 v5, v166, v16, -v5
	s_delay_alu instid0(VALU_DEP_4) | instskip(SKIP_3) | instid1(VALU_DEP_3)
	v_add_f32_e32 v2, v2, v6
	v_add_f32_e32 v3, v3, v202
	v_dual_mul_f32 v6, v171, v21 :: v_dual_fmac_f32 v205, v169, v18
	v_fma_f32 v4, v168, v18, -v4
	v_dual_add_f32 v2, v2, v5 :: v_dual_add_f32 v3, v3, v203
	v_dual_mul_f32 v206, v170, v21 :: v_dual_mul_f32 v207, v172, v23
	v_mul_f32_e32 v5, v173, v23
	v_fma_f32 v6, v170, v20, -v6
	s_delay_alu instid0(VALU_DEP_4) | instskip(SKIP_4) | instid1(VALU_DEP_4)
	v_add_f32_e32 v2, v2, v4
	v_add_f32_e32 v3, v3, v204
	v_fmac_f32_e32 v206, v171, v20
	v_dual_mul_f32 v4, v175, v25 :: v_dual_fmac_f32 v207, v173, v22
	v_fma_f32 v5, v172, v22, -v5
	v_dual_add_f32 v2, v2, v6 :: v_dual_add_f32 v3, v3, v205
	v_mul_f32_e32 v6, v177, v29
	s_delay_alu instid0(VALU_DEP_4) | instskip(SKIP_1) | instid1(VALU_DEP_4)
	v_fma_f32 v4, v174, v24, -v4
	v_dual_mul_f32 v209, v176, v29 :: v_dual_mul_f32 v210, v178, v31
	v_dual_add_f32 v3, v3, v206 :: v_dual_add_f32 v2, v2, v5
	s_delay_alu instid0(VALU_DEP_4) | instskip(SKIP_1) | instid1(VALU_DEP_4)
	v_fma_f32 v6, v176, v28, -v6
	v_fmac_f32_e32 v208, v175, v24
	v_dual_fmac_f32 v209, v177, v28 :: v_dual_fmac_f32 v210, v179, v30
	s_delay_alu instid0(VALU_DEP_4) | instskip(SKIP_3) | instid1(VALU_DEP_3)
	v_add_f32_e32 v3, v3, v207
	v_dual_mul_f32 v5, v179, v31 :: v_dual_add_f32 v2, v2, v4
	v_dual_mul_f32 v211, v180, v141 :: v_dual_mul_f32 v212, v182, v143
	v_mul_f32_e32 v4, v181, v141
	v_fma_f32 v5, v178, v30, -v5
	s_delay_alu instid0(VALU_DEP_4) | instskip(NEXT) | instid1(VALU_DEP_4)
	v_add_f32_e32 v2, v2, v6
	v_dual_mul_f32 v6, v183, v143 :: v_dual_fmac_f32 v211, v181, v140
	s_delay_alu instid0(VALU_DEP_4) | instskip(SKIP_1) | instid1(VALU_DEP_4)
	v_fma_f32 v4, v180, v140, -v4
	v_dual_mul_f32 v213, v184, v145 :: v_dual_mul_f32 v214, v186, v147
	v_add_f32_e32 v2, v2, v5
	v_mul_f32_e32 v5, v185, v145
	v_add_f32_e32 v3, v3, v208
	s_delay_alu instid0(VALU_DEP_4) | instskip(SKIP_2) | instid1(VALU_DEP_4)
	v_dual_fmac_f32 v212, v183, v142 :: v_dual_fmac_f32 v213, v185, v144
	v_fma_f32 v6, v182, v142, -v6
	v_dual_mul_f32 v215, v188, v149 :: v_dual_mul_f32 v216, v190, v151
	v_add_f32_e32 v3, v3, v209
	v_fma_f32 v5, v184, v144, -v5
	v_dual_fmac_f32 v214, v187, v146 :: v_dual_fmac_f32 v217, v197, v192
	s_delay_alu instid0(VALU_DEP_4) | instskip(NEXT) | instid1(VALU_DEP_4)
	v_fmac_f32_e32 v215, v189, v148
	v_dual_add_f32 v3, v3, v210 :: v_dual_add_f32 v2, v2, v4
	v_mul_f32_e32 v4, v187, v147
	v_fmac_f32_e32 v216, v191, v150
	s_delay_alu instid0(VALU_DEP_3) | instskip(NEXT) | instid1(VALU_DEP_3)
	v_dual_add_f32 v3, v3, v211 :: v_dual_add_f32 v2, v2, v6
	v_fma_f32 v4, v186, v146, -v4
	s_delay_alu instid0(VALU_DEP_2) | instskip(NEXT) | instid1(VALU_DEP_1)
	v_dual_mul_f32 v6, v189, v149 :: v_dual_add_f32 v3, v3, v212
	v_add_f32_e32 v3, v3, v213
	s_delay_alu instid0(VALU_DEP_4) | instskip(NEXT) | instid1(VALU_DEP_3)
	v_dual_add_f32 v2, v2, v5 :: v_dual_mul_f32 v5, v191, v151
	v_fma_f32 v6, v188, v148, -v6
	s_delay_alu instid0(VALU_DEP_2) | instskip(SKIP_1) | instid1(VALU_DEP_4)
	v_dual_add_f32 v3, v3, v214 :: v_dual_add_f32 v2, v2, v4
	v_mul_f32_e32 v4, v197, v193
	v_fma_f32 v5, v190, v150, -v5
	s_delay_alu instid0(VALU_DEP_3) | instskip(NEXT) | instid1(VALU_DEP_3)
	v_dual_add_f32 v3, v3, v215 :: v_dual_add_f32 v2, v2, v6
	v_fma_f32 v4, v196, v192, -v4
	s_delay_alu instid0(VALU_DEP_2) | instskip(NEXT) | instid1(VALU_DEP_1)
	v_add_f32_e32 v3, v3, v216
	v_add_f32_e32 v3, v3, v217
	s_wait_loadcnt 0x0
	s_delay_alu instid0(VALU_DEP_1) | instskip(NEXT) | instid1(VALU_DEP_1)
	v_dual_add_f32 v2, v2, v5 :: v_dual_sub_f32 v3, v195, v3
	v_add_f32_e32 v2, v2, v4
	s_delay_alu instid0(VALU_DEP_1)
	v_sub_f32_e32 v2, v194, v2
	scratch_store_b64 off, v[2:3], off offset:256
	v_cmpx_lt_u32_e32 31, v0
	s_cbranch_execz .LBB53_275
; %bb.274:
	scratch_load_b64 v[3:4], off, off offset:248
	v_mov_b32_e32 v2, v1
	scratch_store_b64 off, v[1:2], off offset:248
	s_wait_loadcnt 0x0
	ds_store_b64 v27, v[3:4]
.LBB53_275:
	s_wait_alu 0xfffe
	s_or_b32 exec_lo, exec_lo, s0
	s_wait_storecnt_dscnt 0x0
	s_barrier_signal -1
	s_barrier_wait -1
	global_inv scope:SCOPE_SE
	s_clause 0xb
	scratch_load_b128 v[2:5], off, off offset:256
	scratch_load_b128 v[6:9], off, off offset:272
	;; [unrolled: 1-line block ×11, first 2 shown]
	scratch_load_b64 v[200:201], off, off offset:248
	ds_load_b128 v[156:159], v1 offset:688
	ds_load_b128 v[160:163], v1 offset:704
	ds_load_b128 v[164:167], v1 offset:720
	ds_load_b128 v[168:171], v1 offset:736
	ds_load_b128 v[172:175], v1 offset:752
	ds_load_b128 v[176:179], v1 offset:768
	ds_load_b128 v[180:183], v1 offset:784
	ds_load_b128 v[184:187], v1 offset:800
	ds_load_b128 v[188:191], v1 offset:816
	ds_load_b128 v[192:195], v1 offset:832
	ds_load_b128 v[196:199], v1 offset:848
	s_mov_b32 s0, exec_lo
	s_wait_loadcnt_dscnt 0xb0a
	v_dual_mul_f32 v1, v156, v3 :: v_dual_mul_f32 v26, v158, v5
	s_wait_loadcnt_dscnt 0xa09
	v_dual_mul_f32 v5, v159, v5 :: v_dual_mul_f32 v202, v160, v7
	v_mul_f32_e32 v203, v162, v9
	v_mul_f32_e32 v3, v157, v3
	v_dual_fmac_f32 v1, v157, v2 :: v_dual_fmac_f32 v26, v159, v4
	s_wait_loadcnt_dscnt 0x908
	v_dual_mul_f32 v204, v164, v11 :: v_dual_mul_f32 v205, v166, v13
	s_wait_loadcnt_dscnt 0x201
	v_mul_f32_e32 v218, v192, v149
	v_fma_f32 v3, v156, v2, -v3
	s_wait_loadcnt_dscnt 0x100
	v_mul_f32_e32 v221, v198, v155
	v_mul_f32_e32 v2, v161, v7
	v_fma_f32 v4, v158, v4, -v5
	v_dual_mul_f32 v206, v168, v15 :: v_dual_mul_f32 v207, v170, v17
	v_dual_add_f32 v3, 0, v3 :: v_dual_fmac_f32 v202, v161, v6
	v_dual_mul_f32 v5, v163, v9 :: v_dual_fmac_f32 v204, v165, v10
	v_fma_f32 v2, v160, v6, -v2
	s_delay_alu instid0(VALU_DEP_3) | instskip(NEXT) | instid1(VALU_DEP_3)
	v_dual_add_f32 v3, v3, v4 :: v_dual_fmac_f32 v206, v169, v14
	v_fma_f32 v5, v162, v8, -v5
	v_dual_mul_f32 v208, v172, v19 :: v_dual_mul_f32 v209, v174, v21
	s_delay_alu instid0(VALU_DEP_3) | instskip(SKIP_2) | instid1(VALU_DEP_3)
	v_add_f32_e32 v2, v3, v2
	v_dual_mul_f32 v3, v167, v13 :: v_dual_mul_f32 v210, v176, v23
	v_dual_mul_f32 v211, v178, v25 :: v_dual_mul_f32 v4, v165, v11
	v_add_f32_e32 v2, v2, v5
	v_dual_add_f32 v1, 0, v1 :: v_dual_fmac_f32 v208, v173, v18
	s_delay_alu instid0(VALU_DEP_4) | instskip(NEXT) | instid1(VALU_DEP_4)
	v_fma_f32 v3, v166, v12, -v3
	v_fma_f32 v4, v164, v10, -v4
	v_fmac_f32_e32 v207, v171, v16
	s_delay_alu instid0(VALU_DEP_4) | instskip(SKIP_1) | instid1(VALU_DEP_4)
	v_dual_add_f32 v1, v1, v26 :: v_dual_mul_f32 v212, v180, v29
	v_mul_f32_e32 v213, v182, v31
	v_add_f32_e32 v2, v2, v4
	s_delay_alu instid0(VALU_DEP_3) | instskip(SKIP_2) | instid1(VALU_DEP_3)
	v_dual_mul_f32 v4, v171, v17 :: v_dual_add_f32 v1, v1, v202
	v_dual_fmac_f32 v203, v163, v8 :: v_dual_mul_f32 v216, v188, v145
	v_mul_f32_e32 v217, v190, v147
	v_fma_f32 v4, v170, v16, -v4
	v_mul_f32_e32 v5, v169, v15
	v_add_f32_e32 v2, v2, v3
	v_dual_add_f32 v1, v1, v203 :: v_dual_mul_f32 v214, v184, v141
	v_mul_f32_e32 v215, v186, v143
	s_delay_alu instid0(VALU_DEP_4) | instskip(SKIP_3) | instid1(VALU_DEP_4)
	v_fma_f32 v5, v168, v14, -v5
	v_dual_fmac_f32 v205, v167, v12 :: v_dual_fmac_f32 v210, v177, v22
	v_fmac_f32_e32 v211, v179, v24
	v_dual_fmac_f32 v213, v183, v30 :: v_dual_fmac_f32 v214, v185, v140
	v_add_f32_e32 v2, v2, v5
	v_mul_f32_e32 v5, v175, v21
	v_dual_mul_f32 v219, v194, v151 :: v_dual_mul_f32 v220, v196, v153
	s_delay_alu instid0(VALU_DEP_3) | instskip(NEXT) | instid1(VALU_DEP_3)
	v_dual_fmac_f32 v217, v191, v146 :: v_dual_add_f32 v2, v2, v4
	v_fma_f32 v5, v174, v20, -v5
	v_mul_f32_e32 v3, v173, v19
	v_mul_f32_e32 v4, v177, v23
	v_dual_fmac_f32 v220, v197, v152 :: v_dual_fmac_f32 v219, v195, v150
	v_fmac_f32_e32 v212, v181, v28
	s_delay_alu instid0(VALU_DEP_4) | instskip(SKIP_3) | instid1(VALU_DEP_4)
	v_fma_f32 v3, v172, v18, -v3
	v_add_f32_e32 v1, v1, v204
	v_fma_f32 v4, v176, v22, -v4
	v_dual_fmac_f32 v221, v199, v154 :: v_dual_fmac_f32 v216, v189, v144
	v_dual_add_f32 v2, v2, v3 :: v_dual_mul_f32 v3, v179, v25
	v_fmac_f32_e32 v218, v193, v148
	s_delay_alu instid0(VALU_DEP_2) | instskip(SKIP_1) | instid1(VALU_DEP_4)
	v_add_f32_e32 v2, v2, v5
	v_add_f32_e32 v1, v1, v205
	v_fma_f32 v3, v178, v24, -v3
	s_delay_alu instid0(VALU_DEP_2) | instskip(SKIP_1) | instid1(VALU_DEP_2)
	v_dual_add_f32 v2, v2, v4 :: v_dual_add_f32 v1, v1, v206
	v_mul_f32_e32 v4, v183, v31
	v_dual_fmac_f32 v209, v175, v20 :: v_dual_add_f32 v2, v2, v3
	v_mul_f32_e32 v3, v185, v141
	s_delay_alu instid0(VALU_DEP_3) | instskip(SKIP_1) | instid1(VALU_DEP_3)
	v_fma_f32 v4, v182, v30, -v4
	v_mul_f32_e32 v5, v181, v29
	v_fma_f32 v3, v184, v140, -v3
	s_delay_alu instid0(VALU_DEP_2) | instskip(NEXT) | instid1(VALU_DEP_1)
	v_fma_f32 v5, v180, v28, -v5
	v_dual_add_f32 v1, v1, v207 :: v_dual_add_f32 v2, v2, v5
	s_delay_alu instid0(VALU_DEP_1) | instskip(NEXT) | instid1(VALU_DEP_2)
	v_dual_mul_f32 v5, v187, v143 :: v_dual_add_f32 v2, v2, v4
	v_add_f32_e32 v1, v1, v208
	v_mul_f32_e32 v4, v189, v145
	s_delay_alu instid0(VALU_DEP_3) | instskip(NEXT) | instid1(VALU_DEP_4)
	v_fma_f32 v5, v186, v142, -v5
	v_dual_add_f32 v2, v2, v3 :: v_dual_fmac_f32 v215, v187, v142
	v_mul_f32_e32 v3, v191, v147
	s_delay_alu instid0(VALU_DEP_4) | instskip(NEXT) | instid1(VALU_DEP_3)
	v_fma_f32 v4, v188, v144, -v4
	v_add_f32_e32 v2, v2, v5
	v_add_f32_e32 v1, v1, v209
	s_delay_alu instid0(VALU_DEP_4) | instskip(NEXT) | instid1(VALU_DEP_3)
	v_fma_f32 v3, v190, v146, -v3
	v_dual_add_f32 v2, v2, v4 :: v_dual_mul_f32 v5, v193, v149
	s_delay_alu instid0(VALU_DEP_3) | instskip(NEXT) | instid1(VALU_DEP_2)
	v_dual_add_f32 v1, v1, v210 :: v_dual_mul_f32 v4, v195, v151
	v_add_f32_e32 v2, v2, v3
	s_delay_alu instid0(VALU_DEP_3) | instskip(NEXT) | instid1(VALU_DEP_3)
	v_fma_f32 v5, v192, v148, -v5
	v_add_f32_e32 v1, v1, v211
	v_mul_f32_e32 v3, v197, v153
	v_fma_f32 v4, v194, v150, -v4
	s_delay_alu instid0(VALU_DEP_4) | instskip(NEXT) | instid1(VALU_DEP_3)
	v_dual_add_f32 v2, v2, v5 :: v_dual_mul_f32 v5, v199, v155
	v_fma_f32 v3, v196, v152, -v3
	s_delay_alu instid0(VALU_DEP_2) | instskip(SKIP_1) | instid1(VALU_DEP_4)
	v_add_f32_e32 v2, v2, v4
	v_add_f32_e32 v1, v1, v212
	v_fma_f32 v4, v198, v154, -v5
	s_delay_alu instid0(VALU_DEP_2) | instskip(NEXT) | instid1(VALU_DEP_1)
	v_dual_add_f32 v2, v2, v3 :: v_dual_add_f32 v1, v1, v213
	v_dual_add_f32 v2, v2, v4 :: v_dual_add_f32 v1, v1, v214
	s_delay_alu instid0(VALU_DEP_1) | instskip(NEXT) | instid1(VALU_DEP_1)
	v_add_f32_e32 v1, v1, v215
	v_add_f32_e32 v1, v1, v216
	s_delay_alu instid0(VALU_DEP_1) | instskip(NEXT) | instid1(VALU_DEP_1)
	v_add_f32_e32 v1, v1, v217
	v_add_f32_e32 v1, v1, v218
	s_delay_alu instid0(VALU_DEP_1) | instskip(NEXT) | instid1(VALU_DEP_1)
	v_add_f32_e32 v1, v1, v219
	v_add_f32_e32 v1, v1, v220
	s_delay_alu instid0(VALU_DEP_1) | instskip(SKIP_1) | instid1(VALU_DEP_1)
	v_add_f32_e32 v3, v1, v221
	s_wait_loadcnt 0x0
	v_dual_sub_f32 v1, v200, v2 :: v_dual_sub_f32 v2, v201, v3
	scratch_store_b64 off, v[1:2], off offset:248
	v_cmpx_lt_u32_e32 30, v0
	s_cbranch_execz .LBB53_277
; %bb.276:
	scratch_load_b64 v[1:2], off, off offset:240
	v_mov_b32_e32 v3, 0
	s_delay_alu instid0(VALU_DEP_1)
	v_mov_b32_e32 v4, v3
	scratch_store_b64 off, v[3:4], off offset:240
	s_wait_loadcnt 0x0
	ds_store_b64 v27, v[1:2]
.LBB53_277:
	s_wait_alu 0xfffe
	s_or_b32 exec_lo, exec_lo, s0
	s_wait_storecnt_dscnt 0x0
	s_barrier_signal -1
	s_barrier_wait -1
	global_inv scope:SCOPE_SE
	s_clause 0xc
	scratch_load_b128 v[2:5], off, off offset:248
	scratch_load_b128 v[6:9], off, off offset:264
	;; [unrolled: 1-line block ×11, first 2 shown]
	scratch_load_b64 v[200:201], off, off offset:424
	scratch_load_b64 v[202:203], off, off offset:240
	v_mov_b32_e32 v1, 0
	ds_load_2addr_b64 v[156:159], v1 offset0:85 offset1:86
	ds_load_2addr_b64 v[160:163], v1 offset0:87 offset1:88
	;; [unrolled: 1-line block ×11, first 2 shown]
	ds_load_b64 v[204:205], v1 offset:856
	s_mov_b32 s0, exec_lo
	s_wait_loadcnt_dscnt 0xc0b
	v_mul_f32_e32 v26, v156, v3
	v_dual_mul_f32 v3, v157, v3 :: v_dual_mul_f32 v206, v158, v5
	s_wait_loadcnt_dscnt 0xb0a
	v_mul_f32_e32 v207, v160, v7
	v_mul_f32_e32 v5, v159, v5
	s_wait_loadcnt_dscnt 0x706
	v_mul_f32_e32 v216, v178, v25
	v_fma_f32 v3, v156, v2, -v3
	v_dual_mul_f32 v208, v162, v9 :: v_dual_mul_f32 v209, v164, v11
	v_fmac_f32_e32 v26, v157, v2
	s_wait_loadcnt_dscnt 0x100
	v_dual_mul_f32 v2, v161, v7 :: v_dual_mul_f32 v227, v204, v201
	v_dual_fmac_f32 v206, v159, v4 :: v_dual_add_f32 v3, 0, v3
	v_fma_f32 v4, v158, v4, -v5
	v_dual_add_f32 v5, 0, v26 :: v_dual_fmac_f32 v208, v163, v8
	v_mul_f32_e32 v7, v163, v9
	v_fma_f32 v2, v160, v6, -v2
	s_delay_alu instid0(VALU_DEP_4)
	v_add_f32_e32 v3, v3, v4
	v_fmac_f32_e32 v207, v161, v6
	v_add_f32_e32 v4, v5, v206
	v_mul_f32_e32 v5, v165, v11
	v_fma_f32 v6, v162, v8, -v7
	v_add_f32_e32 v2, v3, v2
	v_dual_mul_f32 v210, v166, v13 :: v_dual_mul_f32 v211, v168, v15
	v_dual_add_f32 v3, v4, v207 :: v_dual_mul_f32 v4, v167, v13
	v_fma_f32 v5, v164, v10, -v5
	s_delay_alu instid0(VALU_DEP_4)
	v_add_f32_e32 v2, v2, v6
	v_fmac_f32_e32 v209, v165, v10
	v_mul_f32_e32 v6, v169, v15
	v_fmac_f32_e32 v210, v167, v12
	v_add_f32_e32 v3, v3, v208
	v_fma_f32 v4, v166, v12, -v4
	v_add_f32_e32 v2, v2, v5
	v_dual_mul_f32 v212, v170, v17 :: v_dual_mul_f32 v213, v172, v19
	s_delay_alu instid0(VALU_DEP_4)
	v_add_f32_e32 v3, v3, v209
	v_mul_f32_e32 v5, v171, v17
	v_fma_f32 v6, v168, v14, -v6
	v_dual_add_f32 v2, v2, v4 :: v_dual_fmac_f32 v211, v169, v14
	v_fmac_f32_e32 v212, v171, v16
	v_mul_f32_e32 v4, v173, v19
	v_fma_f32 v5, v170, v16, -v5
	s_delay_alu instid0(VALU_DEP_4) | instskip(SKIP_3) | instid1(VALU_DEP_3)
	v_add_f32_e32 v2, v2, v6
	v_add_f32_e32 v3, v3, v210
	v_dual_mul_f32 v6, v175, v21 :: v_dual_fmac_f32 v213, v173, v18
	v_fma_f32 v4, v172, v18, -v4
	v_dual_add_f32 v2, v2, v5 :: v_dual_add_f32 v3, v3, v211
	v_dual_mul_f32 v214, v174, v21 :: v_dual_mul_f32 v215, v176, v23
	v_mul_f32_e32 v5, v177, v23
	v_fma_f32 v6, v174, v20, -v6
	s_delay_alu instid0(VALU_DEP_4) | instskip(SKIP_4) | instid1(VALU_DEP_4)
	v_add_f32_e32 v2, v2, v4
	v_add_f32_e32 v3, v3, v212
	v_fmac_f32_e32 v214, v175, v20
	v_dual_mul_f32 v4, v179, v25 :: v_dual_fmac_f32 v215, v177, v22
	v_fma_f32 v5, v176, v22, -v5
	v_dual_add_f32 v2, v2, v6 :: v_dual_add_f32 v3, v3, v213
	v_mul_f32_e32 v6, v181, v29
	s_delay_alu instid0(VALU_DEP_4) | instskip(SKIP_1) | instid1(VALU_DEP_4)
	v_fma_f32 v4, v178, v24, -v4
	v_dual_mul_f32 v217, v180, v29 :: v_dual_mul_f32 v218, v182, v31
	v_dual_add_f32 v3, v3, v214 :: v_dual_add_f32 v2, v2, v5
	s_delay_alu instid0(VALU_DEP_4) | instskip(SKIP_1) | instid1(VALU_DEP_4)
	v_fma_f32 v6, v180, v28, -v6
	v_fmac_f32_e32 v216, v179, v24
	v_dual_fmac_f32 v217, v181, v28 :: v_dual_fmac_f32 v218, v183, v30
	s_delay_alu instid0(VALU_DEP_4) | instskip(SKIP_3) | instid1(VALU_DEP_3)
	v_add_f32_e32 v3, v3, v215
	v_dual_mul_f32 v5, v183, v31 :: v_dual_add_f32 v2, v2, v4
	v_dual_mul_f32 v219, v184, v141 :: v_dual_mul_f32 v220, v186, v143
	v_mul_f32_e32 v4, v185, v141
	v_fma_f32 v5, v182, v30, -v5
	s_delay_alu instid0(VALU_DEP_4) | instskip(NEXT) | instid1(VALU_DEP_4)
	v_add_f32_e32 v2, v2, v6
	v_dual_mul_f32 v6, v187, v143 :: v_dual_fmac_f32 v219, v185, v140
	s_delay_alu instid0(VALU_DEP_4) | instskip(SKIP_1) | instid1(VALU_DEP_4)
	v_fma_f32 v4, v184, v140, -v4
	v_dual_mul_f32 v221, v188, v145 :: v_dual_mul_f32 v222, v190, v147
	v_add_f32_e32 v2, v2, v5
	v_mul_f32_e32 v5, v189, v145
	v_add_f32_e32 v3, v3, v216
	s_delay_alu instid0(VALU_DEP_4) | instskip(SKIP_2) | instid1(VALU_DEP_4)
	v_dual_fmac_f32 v220, v187, v142 :: v_dual_fmac_f32 v221, v189, v144
	v_fma_f32 v6, v186, v142, -v6
	v_dual_mul_f32 v223, v192, v149 :: v_dual_mul_f32 v224, v194, v151
	v_add_f32_e32 v3, v3, v217
	v_dual_mul_f32 v225, v196, v153 :: v_dual_mul_f32 v226, v198, v155
	v_fma_f32 v5, v188, v144, -v5
	v_fmac_f32_e32 v222, v191, v146
	s_delay_alu instid0(VALU_DEP_4) | instskip(SKIP_2) | instid1(VALU_DEP_3)
	v_dual_add_f32 v3, v3, v218 :: v_dual_add_f32 v2, v2, v4
	v_dual_mul_f32 v4, v191, v147 :: v_dual_fmac_f32 v223, v193, v148
	v_fmac_f32_e32 v225, v197, v152
	v_dual_add_f32 v3, v3, v219 :: v_dual_add_f32 v2, v2, v6
	v_mul_f32_e32 v6, v193, v149
	s_delay_alu instid0(VALU_DEP_4) | instskip(SKIP_1) | instid1(VALU_DEP_4)
	v_fma_f32 v4, v190, v146, -v4
	v_fmac_f32_e32 v224, v195, v150
	v_add_f32_e32 v3, v3, v220
	v_dual_fmac_f32 v226, v199, v154 :: v_dual_fmac_f32 v227, v205, v200
	s_delay_alu instid0(VALU_DEP_2) | instskip(SKIP_2) | instid1(VALU_DEP_2)
	v_add_f32_e32 v3, v3, v221
	v_dual_add_f32 v2, v2, v5 :: v_dual_mul_f32 v5, v195, v151
	v_fma_f32 v6, v192, v148, -v6
	v_dual_add_f32 v3, v3, v222 :: v_dual_add_f32 v2, v2, v4
	v_mul_f32_e32 v4, v197, v153
	s_delay_alu instid0(VALU_DEP_4) | instskip(NEXT) | instid1(VALU_DEP_3)
	v_fma_f32 v5, v194, v150, -v5
	v_dual_add_f32 v3, v3, v223 :: v_dual_add_f32 v2, v2, v6
	v_mul_f32_e32 v6, v199, v155
	s_delay_alu instid0(VALU_DEP_4) | instskip(NEXT) | instid1(VALU_DEP_3)
	v_fma_f32 v4, v196, v152, -v4
	v_add_f32_e32 v2, v2, v5
	v_mul_f32_e32 v5, v205, v201
	v_add_f32_e32 v3, v3, v224
	v_fma_f32 v6, v198, v154, -v6
	s_delay_alu instid0(VALU_DEP_2) | instskip(NEXT) | instid1(VALU_DEP_1)
	v_add_f32_e32 v3, v3, v225
	v_dual_add_f32 v3, v3, v226 :: v_dual_add_f32 v2, v2, v4
	v_fma_f32 v4, v204, v200, -v5
	s_delay_alu instid0(VALU_DEP_2) | instskip(SKIP_1) | instid1(VALU_DEP_1)
	v_dual_add_f32 v3, v3, v227 :: v_dual_add_f32 v2, v2, v6
	s_wait_loadcnt 0x0
	v_dual_sub_f32 v3, v203, v3 :: v_dual_add_f32 v2, v2, v4
	s_delay_alu instid0(VALU_DEP_1)
	v_sub_f32_e32 v2, v202, v2
	scratch_store_b64 off, v[2:3], off offset:240
	v_cmpx_lt_u32_e32 29, v0
	s_cbranch_execz .LBB53_279
; %bb.278:
	scratch_load_b64 v[3:4], off, off offset:232
	v_mov_b32_e32 v2, v1
	scratch_store_b64 off, v[1:2], off offset:232
	s_wait_loadcnt 0x0
	ds_store_b64 v27, v[3:4]
.LBB53_279:
	s_wait_alu 0xfffe
	s_or_b32 exec_lo, exec_lo, s0
	s_wait_storecnt_dscnt 0x0
	s_barrier_signal -1
	s_barrier_wait -1
	global_inv scope:SCOPE_SE
	s_clause 0xc
	scratch_load_b128 v[2:5], off, off offset:240
	scratch_load_b128 v[6:9], off, off offset:256
	;; [unrolled: 1-line block ×12, first 2 shown]
	scratch_load_b64 v[208:209], off, off offset:232
	ds_load_b128 v[160:163], v1 offset:672
	ds_load_b128 v[164:167], v1 offset:688
	;; [unrolled: 1-line block ×12, first 2 shown]
	s_mov_b32 s0, exec_lo
	s_wait_loadcnt_dscnt 0xc0b
	v_dual_mul_f32 v1, v160, v3 :: v_dual_mul_f32 v26, v162, v5
	s_wait_loadcnt_dscnt 0xb0a
	v_dual_mul_f32 v5, v163, v5 :: v_dual_mul_f32 v210, v164, v7
	v_mul_f32_e32 v211, v166, v9
	s_delay_alu instid0(VALU_DEP_3)
	v_fmac_f32_e32 v1, v161, v2
	v_dual_mul_f32 v3, v161, v3 :: v_dual_fmac_f32 v26, v163, v4
	s_wait_loadcnt_dscnt 0xa09
	v_dual_mul_f32 v212, v168, v11 :: v_dual_mul_f32 v213, v170, v13
	s_wait_loadcnt_dscnt 0x201
	v_mul_f32_e32 v228, v200, v153
	v_fma_f32 v3, v160, v2, -v3
	s_wait_loadcnt_dscnt 0x100
	v_mul_f32_e32 v231, v206, v159
	v_mul_f32_e32 v2, v165, v7
	v_fma_f32 v4, v162, v4, -v5
	v_dual_mul_f32 v214, v172, v15 :: v_dual_mul_f32 v215, v174, v17
	v_dual_add_f32 v3, 0, v3 :: v_dual_fmac_f32 v210, v165, v6
	v_dual_mul_f32 v5, v167, v9 :: v_dual_fmac_f32 v212, v169, v10
	v_fma_f32 v2, v164, v6, -v2
	s_delay_alu instid0(VALU_DEP_3) | instskip(NEXT) | instid1(VALU_DEP_3)
	v_dual_add_f32 v3, v3, v4 :: v_dual_fmac_f32 v214, v173, v14
	v_fma_f32 v5, v166, v8, -v5
	v_dual_mul_f32 v216, v176, v19 :: v_dual_mul_f32 v217, v178, v21
	s_delay_alu instid0(VALU_DEP_3) | instskip(SKIP_2) | instid1(VALU_DEP_3)
	v_add_f32_e32 v2, v3, v2
	v_dual_mul_f32 v3, v171, v13 :: v_dual_mul_f32 v218, v180, v23
	v_dual_mul_f32 v219, v182, v25 :: v_dual_mul_f32 v4, v169, v11
	v_add_f32_e32 v2, v2, v5
	v_dual_add_f32 v1, 0, v1 :: v_dual_fmac_f32 v216, v177, v18
	s_delay_alu instid0(VALU_DEP_4) | instskip(NEXT) | instid1(VALU_DEP_4)
	v_fma_f32 v3, v170, v12, -v3
	v_fma_f32 v4, v168, v10, -v4
	v_fmac_f32_e32 v215, v175, v16
	s_delay_alu instid0(VALU_DEP_4) | instskip(SKIP_1) | instid1(VALU_DEP_4)
	v_dual_add_f32 v1, v1, v26 :: v_dual_mul_f32 v220, v184, v29
	v_mul_f32_e32 v221, v186, v31
	v_add_f32_e32 v2, v2, v4
	s_delay_alu instid0(VALU_DEP_3) | instskip(SKIP_2) | instid1(VALU_DEP_3)
	v_dual_mul_f32 v4, v175, v17 :: v_dual_add_f32 v1, v1, v210
	v_dual_fmac_f32 v211, v167, v8 :: v_dual_mul_f32 v224, v192, v145
	v_mul_f32_e32 v225, v194, v147
	v_fma_f32 v4, v174, v16, -v4
	v_mul_f32_e32 v5, v173, v15
	v_add_f32_e32 v2, v2, v3
	v_dual_add_f32 v1, v1, v211 :: v_dual_mul_f32 v222, v188, v141
	v_mul_f32_e32 v223, v190, v143
	s_delay_alu instid0(VALU_DEP_4) | instskip(SKIP_3) | instid1(VALU_DEP_4)
	v_fma_f32 v5, v172, v14, -v5
	v_fmac_f32_e32 v213, v171, v12
	v_dual_fmac_f32 v219, v183, v24 :: v_dual_fmac_f32 v218, v181, v22
	v_dual_mul_f32 v226, v196, v149 :: v_dual_mul_f32 v227, v198, v151
	v_add_f32_e32 v2, v2, v5
	v_mul_f32_e32 v5, v179, v21
	v_dual_mul_f32 v229, v202, v155 :: v_dual_mul_f32 v230, v204, v157
	v_dual_fmac_f32 v221, v187, v30 :: v_dual_fmac_f32 v222, v189, v140
	s_delay_alu instid0(VALU_DEP_3) | instskip(SKIP_3) | instid1(VALU_DEP_3)
	v_fma_f32 v5, v178, v20, -v5
	v_dual_mul_f32 v3, v177, v19 :: v_dual_add_f32 v2, v2, v4
	v_dual_mul_f32 v4, v181, v23 :: v_dual_fmac_f32 v227, v199, v150
	v_dual_fmac_f32 v225, v195, v146 :: v_dual_fmac_f32 v228, v201, v152
	v_fma_f32 v3, v176, v18, -v3
	v_add_f32_e32 v1, v1, v212
	s_delay_alu instid0(VALU_DEP_4) | instskip(SKIP_1) | instid1(VALU_DEP_4)
	v_fma_f32 v4, v180, v22, -v4
	v_dual_fmac_f32 v220, v185, v28 :: v_dual_fmac_f32 v231, v207, v158
	v_dual_add_f32 v2, v2, v3 :: v_dual_mul_f32 v3, v183, v25
	v_fmac_f32_e32 v224, v193, v144
	v_fmac_f32_e32 v226, v197, v148
	;; [unrolled: 1-line block ×3, first 2 shown]
	s_delay_alu instid0(VALU_DEP_4) | instskip(SKIP_2) | instid1(VALU_DEP_2)
	v_add_f32_e32 v2, v2, v5
	v_add_f32_e32 v1, v1, v213
	v_fma_f32 v3, v182, v24, -v3
	v_dual_add_f32 v2, v2, v4 :: v_dual_add_f32 v1, v1, v214
	v_mul_f32_e32 v4, v187, v31
	s_delay_alu instid0(VALU_DEP_2) | instskip(SKIP_1) | instid1(VALU_DEP_3)
	v_dual_fmac_f32 v217, v179, v20 :: v_dual_add_f32 v2, v2, v3
	v_mul_f32_e32 v3, v189, v141
	v_fma_f32 v4, v186, v30, -v4
	v_mul_f32_e32 v5, v185, v29
	s_delay_alu instid0(VALU_DEP_3) | instskip(NEXT) | instid1(VALU_DEP_2)
	v_fma_f32 v3, v188, v140, -v3
	v_fma_f32 v5, v184, v28, -v5
	s_delay_alu instid0(VALU_DEP_1) | instskip(NEXT) | instid1(VALU_DEP_1)
	v_dual_add_f32 v1, v1, v215 :: v_dual_add_f32 v2, v2, v5
	v_dual_mul_f32 v5, v191, v143 :: v_dual_add_f32 v2, v2, v4
	s_delay_alu instid0(VALU_DEP_2) | instskip(SKIP_1) | instid1(VALU_DEP_3)
	v_add_f32_e32 v1, v1, v216
	v_mul_f32_e32 v4, v193, v145
	v_fma_f32 v5, v190, v142, -v5
	s_delay_alu instid0(VALU_DEP_4) | instskip(SKIP_1) | instid1(VALU_DEP_4)
	v_dual_add_f32 v2, v2, v3 :: v_dual_fmac_f32 v223, v191, v142
	v_mul_f32_e32 v3, v195, v147
	v_fma_f32 v4, v192, v144, -v4
	s_delay_alu instid0(VALU_DEP_3) | instskip(SKIP_1) | instid1(VALU_DEP_4)
	v_add_f32_e32 v2, v2, v5
	v_add_f32_e32 v1, v1, v217
	v_fma_f32 v3, v194, v146, -v3
	s_delay_alu instid0(VALU_DEP_3) | instskip(NEXT) | instid1(VALU_DEP_3)
	v_dual_add_f32 v2, v2, v4 :: v_dual_mul_f32 v5, v197, v149
	v_dual_add_f32 v1, v1, v218 :: v_dual_mul_f32 v4, v199, v151
	s_delay_alu instid0(VALU_DEP_2) | instskip(NEXT) | instid1(VALU_DEP_3)
	v_add_f32_e32 v2, v2, v3
	v_fma_f32 v5, v196, v148, -v5
	s_delay_alu instid0(VALU_DEP_3) | instskip(SKIP_2) | instid1(VALU_DEP_4)
	v_add_f32_e32 v1, v1, v219
	v_mul_f32_e32 v3, v201, v153
	v_fma_f32 v4, v198, v150, -v4
	v_dual_add_f32 v2, v2, v5 :: v_dual_mul_f32 v5, v203, v155
	s_delay_alu instid0(VALU_DEP_3) | instskip(NEXT) | instid1(VALU_DEP_2)
	v_fma_f32 v3, v200, v152, -v3
	v_add_f32_e32 v2, v2, v4
	v_add_f32_e32 v1, v1, v220
	v_mul_f32_e32 v4, v205, v157
	v_fma_f32 v5, v202, v154, -v5
	s_delay_alu instid0(VALU_DEP_4) | instskip(SKIP_1) | instid1(VALU_DEP_4)
	v_dual_add_f32 v2, v2, v3 :: v_dual_fmac_f32 v229, v203, v154
	v_mul_f32_e32 v3, v207, v159
	v_fma_f32 v4, v204, v156, -v4
	s_delay_alu instid0(VALU_DEP_3) | instskip(SKIP_1) | instid1(VALU_DEP_4)
	v_add_f32_e32 v2, v2, v5
	v_add_f32_e32 v1, v1, v221
	v_fma_f32 v3, v206, v158, -v3
	s_delay_alu instid0(VALU_DEP_2) | instskip(NEXT) | instid1(VALU_DEP_1)
	v_dual_add_f32 v2, v2, v4 :: v_dual_add_f32 v1, v1, v222
	v_add_f32_e32 v2, v2, v3
	s_delay_alu instid0(VALU_DEP_2) | instskip(NEXT) | instid1(VALU_DEP_1)
	v_add_f32_e32 v1, v1, v223
	v_add_f32_e32 v1, v1, v224
	s_delay_alu instid0(VALU_DEP_1) | instskip(NEXT) | instid1(VALU_DEP_1)
	v_add_f32_e32 v1, v1, v225
	v_add_f32_e32 v1, v1, v226
	s_delay_alu instid0(VALU_DEP_1) | instskip(NEXT) | instid1(VALU_DEP_1)
	v_add_f32_e32 v1, v1, v227
	v_add_f32_e32 v1, v1, v228
	s_delay_alu instid0(VALU_DEP_1) | instskip(NEXT) | instid1(VALU_DEP_1)
	v_add_f32_e32 v1, v1, v229
	v_add_f32_e32 v1, v1, v230
	s_delay_alu instid0(VALU_DEP_1) | instskip(SKIP_1) | instid1(VALU_DEP_1)
	v_add_f32_e32 v3, v1, v231
	s_wait_loadcnt 0x0
	v_dual_sub_f32 v1, v208, v2 :: v_dual_sub_f32 v2, v209, v3
	scratch_store_b64 off, v[1:2], off offset:232
	v_cmpx_lt_u32_e32 28, v0
	s_cbranch_execz .LBB53_281
; %bb.280:
	scratch_load_b64 v[1:2], off, off offset:224
	v_mov_b32_e32 v3, 0
	s_delay_alu instid0(VALU_DEP_1)
	v_mov_b32_e32 v4, v3
	scratch_store_b64 off, v[3:4], off offset:224
	s_wait_loadcnt 0x0
	ds_store_b64 v27, v[1:2]
.LBB53_281:
	s_wait_alu 0xfffe
	s_or_b32 exec_lo, exec_lo, s0
	s_wait_storecnt_dscnt 0x0
	s_barrier_signal -1
	s_barrier_wait -1
	global_inv scope:SCOPE_SE
	s_clause 0xd
	scratch_load_b128 v[2:5], off, off offset:232
	scratch_load_b128 v[6:9], off, off offset:248
	scratch_load_b128 v[10:13], off, off offset:264
	scratch_load_b128 v[14:17], off, off offset:280
	scratch_load_b128 v[18:21], off, off offset:296
	scratch_load_b128 v[22:25], off, off offset:312
	scratch_load_b128 v[28:31], off, off offset:328
	scratch_load_b128 v[140:143], off, off offset:344
	scratch_load_b128 v[144:147], off, off offset:360
	scratch_load_b128 v[148:151], off, off offset:376
	scratch_load_b128 v[152:155], off, off offset:392
	scratch_load_b128 v[156:159], off, off offset:408
	scratch_load_b64 v[208:209], off, off offset:424
	scratch_load_b64 v[210:211], off, off offset:224
	v_mov_b32_e32 v1, 0
	ds_load_2addr_b64 v[160:163], v1 offset0:83 offset1:84
	ds_load_2addr_b64 v[164:167], v1 offset0:85 offset1:86
	;; [unrolled: 1-line block ×12, first 2 shown]
	ds_load_b64 v[212:213], v1 offset:856
	s_mov_b32 s0, exec_lo
	s_wait_loadcnt_dscnt 0xd0c
	v_mul_f32_e32 v26, v160, v3
	v_dual_mul_f32 v3, v161, v3 :: v_dual_mul_f32 v214, v162, v5
	s_wait_loadcnt_dscnt 0xc0b
	v_mul_f32_e32 v215, v164, v7
	v_mul_f32_e32 v5, v163, v5
	s_wait_loadcnt_dscnt 0x807
	v_mul_f32_e32 v224, v182, v25
	v_fma_f32 v3, v160, v2, -v3
	v_dual_mul_f32 v216, v166, v9 :: v_dual_mul_f32 v217, v168, v11
	v_fmac_f32_e32 v26, v161, v2
	v_mul_f32_e32 v2, v165, v7
	s_delay_alu instid0(VALU_DEP_4)
	v_dual_fmac_f32 v214, v163, v4 :: v_dual_add_f32 v3, 0, v3
	s_wait_loadcnt_dscnt 0x100
	v_mul_f32_e32 v237, v212, v209
	v_fma_f32 v4, v162, v4, -v5
	v_dual_add_f32 v5, 0, v26 :: v_dual_fmac_f32 v216, v167, v8
	v_mul_f32_e32 v7, v167, v9
	v_fma_f32 v2, v164, v6, -v2
	s_delay_alu instid0(VALU_DEP_4)
	v_add_f32_e32 v3, v3, v4
	v_fmac_f32_e32 v215, v165, v6
	v_add_f32_e32 v4, v5, v214
	v_mul_f32_e32 v5, v169, v11
	v_fma_f32 v6, v166, v8, -v7
	v_add_f32_e32 v2, v3, v2
	v_dual_mul_f32 v218, v170, v13 :: v_dual_mul_f32 v219, v172, v15
	v_dual_add_f32 v3, v4, v215 :: v_dual_mul_f32 v4, v171, v13
	v_fma_f32 v5, v168, v10, -v5
	s_delay_alu instid0(VALU_DEP_4)
	v_add_f32_e32 v2, v2, v6
	v_fmac_f32_e32 v217, v169, v10
	v_mul_f32_e32 v6, v173, v15
	v_fmac_f32_e32 v218, v171, v12
	v_add_f32_e32 v3, v3, v216
	v_fma_f32 v4, v170, v12, -v4
	v_add_f32_e32 v2, v2, v5
	v_dual_mul_f32 v220, v174, v17 :: v_dual_mul_f32 v221, v176, v19
	s_delay_alu instid0(VALU_DEP_4)
	v_add_f32_e32 v3, v3, v217
	v_mul_f32_e32 v5, v175, v17
	v_fma_f32 v6, v172, v14, -v6
	v_dual_add_f32 v2, v2, v4 :: v_dual_fmac_f32 v219, v173, v14
	v_fmac_f32_e32 v220, v175, v16
	v_mul_f32_e32 v4, v177, v19
	v_fma_f32 v5, v174, v16, -v5
	s_delay_alu instid0(VALU_DEP_4) | instskip(SKIP_3) | instid1(VALU_DEP_3)
	v_add_f32_e32 v2, v2, v6
	v_add_f32_e32 v3, v3, v218
	v_dual_mul_f32 v6, v179, v21 :: v_dual_fmac_f32 v221, v177, v18
	v_fma_f32 v4, v176, v18, -v4
	v_dual_add_f32 v2, v2, v5 :: v_dual_add_f32 v3, v3, v219
	v_dual_mul_f32 v222, v178, v21 :: v_dual_mul_f32 v223, v180, v23
	v_mul_f32_e32 v5, v181, v23
	v_fma_f32 v6, v178, v20, -v6
	s_delay_alu instid0(VALU_DEP_4) | instskip(SKIP_4) | instid1(VALU_DEP_4)
	v_add_f32_e32 v2, v2, v4
	v_add_f32_e32 v3, v3, v220
	v_fmac_f32_e32 v222, v179, v20
	v_dual_mul_f32 v4, v183, v25 :: v_dual_fmac_f32 v223, v181, v22
	v_fma_f32 v5, v180, v22, -v5
	v_dual_add_f32 v2, v2, v6 :: v_dual_add_f32 v3, v3, v221
	v_mul_f32_e32 v6, v185, v29
	s_delay_alu instid0(VALU_DEP_4) | instskip(SKIP_1) | instid1(VALU_DEP_4)
	v_fma_f32 v4, v182, v24, -v4
	v_dual_mul_f32 v225, v184, v29 :: v_dual_mul_f32 v226, v186, v31
	v_dual_add_f32 v3, v3, v222 :: v_dual_add_f32 v2, v2, v5
	s_delay_alu instid0(VALU_DEP_4) | instskip(SKIP_1) | instid1(VALU_DEP_4)
	v_fma_f32 v6, v184, v28, -v6
	v_fmac_f32_e32 v224, v183, v24
	v_dual_fmac_f32 v225, v185, v28 :: v_dual_fmac_f32 v226, v187, v30
	s_delay_alu instid0(VALU_DEP_4) | instskip(SKIP_3) | instid1(VALU_DEP_3)
	v_add_f32_e32 v3, v3, v223
	v_dual_mul_f32 v5, v187, v31 :: v_dual_add_f32 v2, v2, v4
	v_dual_mul_f32 v227, v188, v141 :: v_dual_mul_f32 v228, v190, v143
	v_mul_f32_e32 v4, v189, v141
	v_fma_f32 v5, v186, v30, -v5
	s_delay_alu instid0(VALU_DEP_4) | instskip(NEXT) | instid1(VALU_DEP_4)
	v_add_f32_e32 v2, v2, v6
	v_dual_mul_f32 v6, v191, v143 :: v_dual_fmac_f32 v227, v189, v140
	s_delay_alu instid0(VALU_DEP_4) | instskip(SKIP_1) | instid1(VALU_DEP_4)
	v_fma_f32 v4, v188, v140, -v4
	v_dual_mul_f32 v229, v192, v145 :: v_dual_mul_f32 v230, v194, v147
	v_add_f32_e32 v2, v2, v5
	v_mul_f32_e32 v5, v193, v145
	v_add_f32_e32 v3, v3, v224
	s_delay_alu instid0(VALU_DEP_4) | instskip(SKIP_2) | instid1(VALU_DEP_4)
	v_dual_fmac_f32 v228, v191, v142 :: v_dual_fmac_f32 v229, v193, v144
	v_fma_f32 v6, v190, v142, -v6
	v_dual_mul_f32 v231, v196, v149 :: v_dual_mul_f32 v232, v198, v151
	v_add_f32_e32 v3, v3, v225
	v_dual_mul_f32 v233, v200, v153 :: v_dual_mul_f32 v234, v202, v155
	v_fma_f32 v5, v192, v144, -v5
	v_fmac_f32_e32 v230, v195, v146
	s_delay_alu instid0(VALU_DEP_4) | instskip(SKIP_2) | instid1(VALU_DEP_3)
	v_dual_add_f32 v3, v3, v226 :: v_dual_add_f32 v2, v2, v4
	v_dual_mul_f32 v4, v195, v147 :: v_dual_fmac_f32 v231, v197, v148
	v_fmac_f32_e32 v233, v201, v152
	v_dual_add_f32 v3, v3, v227 :: v_dual_add_f32 v2, v2, v6
	v_mul_f32_e32 v6, v197, v149
	s_delay_alu instid0(VALU_DEP_4) | instskip(SKIP_1) | instid1(VALU_DEP_4)
	v_fma_f32 v4, v194, v146, -v4
	v_fmac_f32_e32 v232, v199, v150
	v_add_f32_e32 v3, v3, v228
	v_dual_mul_f32 v235, v204, v157 :: v_dual_mul_f32 v236, v206, v159
	v_dual_fmac_f32 v234, v203, v154 :: v_dual_fmac_f32 v237, v213, v208
	s_delay_alu instid0(VALU_DEP_3) | instskip(SKIP_3) | instid1(VALU_DEP_3)
	v_add_f32_e32 v3, v3, v229
	v_dual_add_f32 v2, v2, v5 :: v_dual_mul_f32 v5, v199, v151
	v_fma_f32 v6, v196, v148, -v6
	v_fmac_f32_e32 v235, v205, v156
	v_dual_add_f32 v3, v3, v230 :: v_dual_add_f32 v2, v2, v4
	v_mul_f32_e32 v4, v201, v153
	v_fma_f32 v5, v198, v150, -v5
	v_fmac_f32_e32 v236, v207, v158
	s_delay_alu instid0(VALU_DEP_4) | instskip(SKIP_2) | instid1(VALU_DEP_3)
	v_dual_add_f32 v3, v3, v231 :: v_dual_add_f32 v2, v2, v6
	v_mul_f32_e32 v6, v203, v155
	v_fma_f32 v4, v200, v152, -v4
	v_add_f32_e32 v2, v2, v5
	v_mul_f32_e32 v5, v205, v157
	v_add_f32_e32 v3, v3, v232
	v_fma_f32 v6, v202, v154, -v6
	s_delay_alu instid0(VALU_DEP_3) | instskip(NEXT) | instid1(VALU_DEP_3)
	v_fma_f32 v5, v204, v156, -v5
	v_add_f32_e32 v3, v3, v233
	s_delay_alu instid0(VALU_DEP_1) | instskip(SKIP_1) | instid1(VALU_DEP_2)
	v_dual_add_f32 v3, v3, v234 :: v_dual_add_f32 v2, v2, v4
	v_mul_f32_e32 v4, v207, v159
	v_dual_add_f32 v3, v3, v235 :: v_dual_add_f32 v2, v2, v6
	v_mul_f32_e32 v6, v213, v209
	s_delay_alu instid0(VALU_DEP_3) | instskip(NEXT) | instid1(VALU_DEP_3)
	v_fma_f32 v4, v206, v158, -v4
	v_add_f32_e32 v3, v3, v236
	s_delay_alu instid0(VALU_DEP_1) | instskip(SKIP_3) | instid1(VALU_DEP_2)
	v_add_f32_e32 v3, v3, v237
	v_add_f32_e32 v2, v2, v5
	v_fma_f32 v5, v212, v208, -v6
	s_wait_loadcnt 0x0
	v_dual_sub_f32 v3, v211, v3 :: v_dual_add_f32 v2, v2, v4
	s_delay_alu instid0(VALU_DEP_1) | instskip(NEXT) | instid1(VALU_DEP_1)
	v_add_f32_e32 v2, v2, v5
	v_sub_f32_e32 v2, v210, v2
	scratch_store_b64 off, v[2:3], off offset:224
	v_cmpx_lt_u32_e32 27, v0
	s_cbranch_execz .LBB53_283
; %bb.282:
	scratch_load_b64 v[3:4], off, off offset:216
	v_mov_b32_e32 v2, v1
	scratch_store_b64 off, v[1:2], off offset:216
	s_wait_loadcnt 0x0
	ds_store_b64 v27, v[3:4]
.LBB53_283:
	s_wait_alu 0xfffe
	s_or_b32 exec_lo, exec_lo, s0
	s_wait_storecnt_dscnt 0x0
	s_barrier_signal -1
	s_barrier_wait -1
	global_inv scope:SCOPE_SE
	s_clause 0xd
	scratch_load_b128 v[2:5], off, off offset:224
	scratch_load_b128 v[6:9], off, off offset:240
	;; [unrolled: 1-line block ×13, first 2 shown]
	scratch_load_b64 v[216:217], off, off offset:216
	ds_load_b128 v[164:167], v1 offset:656
	ds_load_b128 v[168:171], v1 offset:672
	;; [unrolled: 1-line block ×13, first 2 shown]
	s_mov_b32 s0, exec_lo
	s_wait_loadcnt_dscnt 0xd0c
	v_dual_mul_f32 v1, v164, v3 :: v_dual_mul_f32 v26, v166, v5
	s_wait_loadcnt_dscnt 0xc0b
	v_dual_mul_f32 v5, v167, v5 :: v_dual_mul_f32 v218, v168, v7
	v_mul_f32_e32 v219, v170, v9
	s_wait_loadcnt_dscnt 0xb0a
	v_dual_fmac_f32 v1, v165, v2 :: v_dual_mul_f32 v220, v172, v11
	v_mul_f32_e32 v221, v174, v13
	v_dual_mul_f32 v3, v165, v3 :: v_dual_fmac_f32 v26, v167, v4
	s_wait_loadcnt_dscnt 0xa09
	v_dual_mul_f32 v222, v176, v15 :: v_dual_mul_f32 v223, v178, v17
	s_wait_loadcnt_dscnt 0x201
	v_mul_f32_e32 v238, v208, v157
	v_fma_f32 v3, v164, v2, -v3
	s_wait_loadcnt_dscnt 0x100
	v_mul_f32_e32 v241, v214, v163
	v_mul_f32_e32 v2, v169, v7
	v_fma_f32 v4, v166, v4, -v5
	v_dual_mul_f32 v5, v171, v9 :: v_dual_fmac_f32 v220, v173, v10
	v_dual_add_f32 v3, 0, v3 :: v_dual_fmac_f32 v218, v169, v6
	s_delay_alu instid0(VALU_DEP_4) | instskip(NEXT) | instid1(VALU_DEP_3)
	v_fma_f32 v2, v168, v6, -v2
	v_fma_f32 v5, v170, v8, -v5
	s_delay_alu instid0(VALU_DEP_3) | instskip(SKIP_2) | instid1(VALU_DEP_3)
	v_dual_fmac_f32 v222, v177, v14 :: v_dual_add_f32 v3, v3, v4
	v_dual_mul_f32 v224, v180, v19 :: v_dual_mul_f32 v225, v182, v21
	v_dual_mul_f32 v226, v184, v23 :: v_dual_mul_f32 v227, v186, v25
	v_add_f32_e32 v2, v3, v2
	s_delay_alu instid0(VALU_DEP_3) | instskip(SKIP_1) | instid1(VALU_DEP_3)
	v_dual_mul_f32 v3, v175, v13 :: v_dual_fmac_f32 v224, v181, v18
	v_dual_mul_f32 v4, v173, v11 :: v_dual_fmac_f32 v223, v179, v16
	v_add_f32_e32 v2, v2, v5
	v_add_f32_e32 v1, 0, v1
	s_delay_alu instid0(VALU_DEP_4) | instskip(NEXT) | instid1(VALU_DEP_4)
	v_fma_f32 v3, v174, v12, -v3
	v_fma_f32 v4, v172, v10, -v4
	v_dual_mul_f32 v228, v188, v29 :: v_dual_mul_f32 v229, v190, v31
	s_delay_alu instid0(VALU_DEP_4) | instskip(SKIP_1) | instid1(VALU_DEP_4)
	v_dual_add_f32 v1, v1, v26 :: v_dual_mul_f32 v232, v196, v145
	v_mul_f32_e32 v233, v198, v147
	v_add_f32_e32 v2, v2, v4
	s_delay_alu instid0(VALU_DEP_3) | instskip(SKIP_2) | instid1(VALU_DEP_3)
	v_dual_mul_f32 v4, v179, v17 :: v_dual_add_f32 v1, v1, v218
	v_dual_fmac_f32 v219, v171, v8 :: v_dual_mul_f32 v230, v192, v141
	v_mul_f32_e32 v231, v194, v143
	v_fma_f32 v4, v178, v16, -v4
	v_mul_f32_e32 v5, v177, v15
	v_add_f32_e32 v2, v2, v3
	v_add_f32_e32 v1, v1, v219
	v_dual_fmac_f32 v227, v187, v24 :: v_dual_mul_f32 v234, v200, v149
	v_mul_f32_e32 v235, v202, v151
	v_fma_f32 v5, v176, v14, -v5
	v_dual_fmac_f32 v221, v175, v12 :: v_dual_fmac_f32 v226, v185, v22
	v_dual_mul_f32 v236, v204, v153 :: v_dual_mul_f32 v237, v206, v155
	s_delay_alu instid0(VALU_DEP_3) | instskip(SKIP_2) | instid1(VALU_DEP_3)
	v_add_f32_e32 v2, v2, v5
	v_mul_f32_e32 v5, v183, v21
	v_dual_fmac_f32 v229, v191, v30 :: v_dual_fmac_f32 v230, v193, v140
	v_dual_fmac_f32 v235, v203, v150 :: v_dual_add_f32 v2, v2, v4
	s_delay_alu instid0(VALU_DEP_3) | instskip(SKIP_4) | instid1(VALU_DEP_4)
	v_fma_f32 v5, v182, v20, -v5
	v_mul_f32_e32 v3, v181, v19
	v_mul_f32_e32 v4, v185, v23
	v_dual_mul_f32 v239, v210, v159 :: v_dual_mul_f32 v240, v212, v161
	v_fmac_f32_e32 v228, v189, v28
	v_fma_f32 v3, v180, v18, -v3
	v_add_f32_e32 v1, v1, v220
	v_fma_f32 v4, v184, v22, -v4
	v_dual_fmac_f32 v233, v199, v146 :: v_dual_fmac_f32 v236, v205, v152
	s_delay_alu instid0(VALU_DEP_4) | instskip(SKIP_2) | instid1(VALU_DEP_3)
	v_dual_add_f32 v2, v2, v3 :: v_dual_mul_f32 v3, v187, v25
	v_fmac_f32_e32 v239, v211, v158
	v_dual_fmac_f32 v241, v215, v162 :: v_dual_fmac_f32 v232, v197, v144
	v_add_f32_e32 v2, v2, v5
	v_add_f32_e32 v1, v1, v221
	v_fma_f32 v3, v186, v24, -v3
	v_fmac_f32_e32 v234, v201, v148
	v_fmac_f32_e32 v238, v209, v156
	s_delay_alu instid0(VALU_DEP_4) | instskip(SKIP_3) | instid1(VALU_DEP_4)
	v_dual_add_f32 v2, v2, v4 :: v_dual_add_f32 v1, v1, v222
	v_mul_f32_e32 v4, v191, v31
	v_fmac_f32_e32 v225, v183, v20
	v_fmac_f32_e32 v240, v213, v160
	v_dual_add_f32 v2, v2, v3 :: v_dual_mul_f32 v3, v193, v141
	s_delay_alu instid0(VALU_DEP_4) | instskip(SKIP_1) | instid1(VALU_DEP_3)
	v_fma_f32 v4, v190, v30, -v4
	v_mul_f32_e32 v5, v189, v29
	v_fma_f32 v3, v192, v140, -v3
	s_delay_alu instid0(VALU_DEP_2) | instskip(NEXT) | instid1(VALU_DEP_1)
	v_fma_f32 v5, v188, v28, -v5
	v_dual_add_f32 v1, v1, v223 :: v_dual_add_f32 v2, v2, v5
	s_delay_alu instid0(VALU_DEP_1) | instskip(NEXT) | instid1(VALU_DEP_2)
	v_dual_mul_f32 v5, v195, v143 :: v_dual_add_f32 v2, v2, v4
	v_add_f32_e32 v1, v1, v224
	v_mul_f32_e32 v4, v197, v145
	s_delay_alu instid0(VALU_DEP_3) | instskip(NEXT) | instid1(VALU_DEP_4)
	v_fma_f32 v5, v194, v142, -v5
	v_dual_add_f32 v2, v2, v3 :: v_dual_fmac_f32 v231, v195, v142
	v_mul_f32_e32 v3, v199, v147
	s_delay_alu instid0(VALU_DEP_4) | instskip(NEXT) | instid1(VALU_DEP_3)
	v_fma_f32 v4, v196, v144, -v4
	v_add_f32_e32 v2, v2, v5
	v_add_f32_e32 v1, v1, v225
	s_delay_alu instid0(VALU_DEP_4) | instskip(NEXT) | instid1(VALU_DEP_3)
	v_fma_f32 v3, v198, v146, -v3
	v_dual_add_f32 v2, v2, v4 :: v_dual_mul_f32 v5, v201, v149
	s_delay_alu instid0(VALU_DEP_3) | instskip(NEXT) | instid1(VALU_DEP_2)
	v_dual_add_f32 v1, v1, v226 :: v_dual_mul_f32 v4, v203, v151
	v_add_f32_e32 v2, v2, v3
	s_delay_alu instid0(VALU_DEP_3) | instskip(NEXT) | instid1(VALU_DEP_3)
	v_fma_f32 v5, v200, v148, -v5
	v_add_f32_e32 v1, v1, v227
	v_mul_f32_e32 v3, v205, v153
	v_fma_f32 v4, v202, v150, -v4
	s_delay_alu instid0(VALU_DEP_4) | instskip(NEXT) | instid1(VALU_DEP_3)
	v_dual_add_f32 v2, v2, v5 :: v_dual_mul_f32 v5, v207, v155
	v_fma_f32 v3, v204, v152, -v3
	s_delay_alu instid0(VALU_DEP_2) | instskip(SKIP_3) | instid1(VALU_DEP_4)
	v_add_f32_e32 v2, v2, v4
	v_add_f32_e32 v1, v1, v228
	v_mul_f32_e32 v4, v209, v157
	v_fma_f32 v5, v206, v154, -v5
	v_dual_add_f32 v2, v2, v3 :: v_dual_fmac_f32 v237, v207, v154
	v_mul_f32_e32 v3, v211, v159
	s_delay_alu instid0(VALU_DEP_4) | instskip(NEXT) | instid1(VALU_DEP_3)
	v_fma_f32 v4, v208, v156, -v4
	v_add_f32_e32 v2, v2, v5
	v_add_f32_e32 v1, v1, v229
	s_delay_alu instid0(VALU_DEP_4) | instskip(NEXT) | instid1(VALU_DEP_2)
	v_fma_f32 v3, v210, v158, -v3
	v_dual_add_f32 v2, v2, v4 :: v_dual_add_f32 v1, v1, v230
	v_dual_mul_f32 v4, v215, v163 :: v_dual_mul_f32 v5, v213, v161
	s_delay_alu instid0(VALU_DEP_2) | instskip(NEXT) | instid1(VALU_DEP_2)
	v_add_f32_e32 v2, v2, v3
	v_fma_f32 v3, v214, v162, -v4
	s_delay_alu instid0(VALU_DEP_3) | instskip(NEXT) | instid1(VALU_DEP_1)
	v_fma_f32 v5, v212, v160, -v5
	v_dual_add_f32 v1, v1, v231 :: v_dual_add_f32 v2, v2, v5
	s_delay_alu instid0(VALU_DEP_1) | instskip(NEXT) | instid1(VALU_DEP_1)
	v_dual_add_f32 v1, v1, v232 :: v_dual_add_f32 v2, v2, v3
	v_add_f32_e32 v1, v1, v233
	s_delay_alu instid0(VALU_DEP_1) | instskip(NEXT) | instid1(VALU_DEP_1)
	v_add_f32_e32 v1, v1, v234
	v_add_f32_e32 v1, v1, v235
	s_delay_alu instid0(VALU_DEP_1) | instskip(NEXT) | instid1(VALU_DEP_1)
	v_add_f32_e32 v1, v1, v236
	;; [unrolled: 3-line block ×4, first 2 shown]
	v_add_f32_e32 v3, v1, v241
	s_wait_loadcnt 0x0
	s_delay_alu instid0(VALU_DEP_1)
	v_dual_sub_f32 v1, v216, v2 :: v_dual_sub_f32 v2, v217, v3
	scratch_store_b64 off, v[1:2], off offset:216
	v_cmpx_lt_u32_e32 26, v0
	s_cbranch_execz .LBB53_285
; %bb.284:
	scratch_load_b64 v[1:2], off, off offset:208
	v_mov_b32_e32 v3, 0
	s_delay_alu instid0(VALU_DEP_1)
	v_mov_b32_e32 v4, v3
	scratch_store_b64 off, v[3:4], off offset:208
	s_wait_loadcnt 0x0
	ds_store_b64 v27, v[1:2]
.LBB53_285:
	s_wait_alu 0xfffe
	s_or_b32 exec_lo, exec_lo, s0
	s_wait_storecnt_dscnt 0x0
	s_barrier_signal -1
	s_barrier_wait -1
	global_inv scope:SCOPE_SE
	s_clause 0xe
	scratch_load_b128 v[2:5], off, off offset:216
	scratch_load_b128 v[6:9], off, off offset:232
	;; [unrolled: 1-line block ×13, first 2 shown]
	scratch_load_b64 v[216:217], off, off offset:424
	scratch_load_b64 v[218:219], off, off offset:208
	v_mov_b32_e32 v1, 0
	ds_load_2addr_b64 v[164:167], v1 offset0:81 offset1:82
	ds_load_2addr_b64 v[168:171], v1 offset0:83 offset1:84
	;; [unrolled: 1-line block ×13, first 2 shown]
	ds_load_b64 v[220:221], v1 offset:856
	s_mov_b32 s0, exec_lo
	s_wait_loadcnt_dscnt 0xe0d
	v_mul_f32_e32 v26, v164, v3
	v_dual_mul_f32 v3, v165, v3 :: v_dual_mul_f32 v222, v166, v5
	s_wait_loadcnt_dscnt 0xd0c
	v_mul_f32_e32 v223, v168, v7
	v_mul_f32_e32 v5, v167, v5
	s_wait_loadcnt_dscnt 0x908
	v_mul_f32_e32 v232, v186, v25
	v_fma_f32 v3, v164, v2, -v3
	v_dual_mul_f32 v224, v170, v9 :: v_dual_mul_f32 v225, v172, v11
	v_fmac_f32_e32 v26, v165, v2
	v_mul_f32_e32 v2, v169, v7
	s_delay_alu instid0(VALU_DEP_4)
	v_dual_fmac_f32 v222, v167, v4 :: v_dual_add_f32 v3, 0, v3
	s_wait_loadcnt_dscnt 0x100
	v_mul_f32_e32 v247, v220, v217
	v_fma_f32 v4, v166, v4, -v5
	v_dual_add_f32 v5, 0, v26 :: v_dual_fmac_f32 v224, v171, v8
	v_mul_f32_e32 v7, v171, v9
	v_fma_f32 v2, v168, v6, -v2
	s_delay_alu instid0(VALU_DEP_4)
	v_add_f32_e32 v3, v3, v4
	v_fmac_f32_e32 v223, v169, v6
	v_add_f32_e32 v4, v5, v222
	v_mul_f32_e32 v5, v173, v11
	v_fma_f32 v6, v170, v8, -v7
	v_add_f32_e32 v2, v3, v2
	v_dual_mul_f32 v226, v174, v13 :: v_dual_mul_f32 v227, v176, v15
	v_dual_add_f32 v3, v4, v223 :: v_dual_mul_f32 v4, v175, v13
	v_fma_f32 v5, v172, v10, -v5
	s_delay_alu instid0(VALU_DEP_4)
	v_add_f32_e32 v2, v2, v6
	v_fmac_f32_e32 v225, v173, v10
	v_mul_f32_e32 v6, v177, v15
	v_fmac_f32_e32 v226, v175, v12
	v_add_f32_e32 v3, v3, v224
	v_fma_f32 v4, v174, v12, -v4
	v_add_f32_e32 v2, v2, v5
	v_dual_mul_f32 v228, v178, v17 :: v_dual_mul_f32 v229, v180, v19
	s_delay_alu instid0(VALU_DEP_4)
	v_add_f32_e32 v3, v3, v225
	v_mul_f32_e32 v5, v179, v17
	v_fma_f32 v6, v176, v14, -v6
	v_dual_add_f32 v2, v2, v4 :: v_dual_fmac_f32 v227, v177, v14
	v_fmac_f32_e32 v228, v179, v16
	v_mul_f32_e32 v4, v181, v19
	v_fma_f32 v5, v178, v16, -v5
	s_delay_alu instid0(VALU_DEP_4) | instskip(SKIP_3) | instid1(VALU_DEP_3)
	v_add_f32_e32 v2, v2, v6
	v_add_f32_e32 v3, v3, v226
	v_dual_mul_f32 v6, v183, v21 :: v_dual_fmac_f32 v229, v181, v18
	v_fma_f32 v4, v180, v18, -v4
	v_dual_add_f32 v2, v2, v5 :: v_dual_add_f32 v3, v3, v227
	v_dual_mul_f32 v230, v182, v21 :: v_dual_mul_f32 v231, v184, v23
	v_mul_f32_e32 v5, v185, v23
	v_fma_f32 v6, v182, v20, -v6
	s_delay_alu instid0(VALU_DEP_4) | instskip(SKIP_4) | instid1(VALU_DEP_4)
	v_add_f32_e32 v2, v2, v4
	v_add_f32_e32 v3, v3, v228
	v_fmac_f32_e32 v230, v183, v20
	v_dual_mul_f32 v4, v187, v25 :: v_dual_fmac_f32 v231, v185, v22
	v_fma_f32 v5, v184, v22, -v5
	v_dual_add_f32 v2, v2, v6 :: v_dual_add_f32 v3, v3, v229
	v_mul_f32_e32 v6, v189, v29
	s_delay_alu instid0(VALU_DEP_4) | instskip(SKIP_1) | instid1(VALU_DEP_4)
	v_fma_f32 v4, v186, v24, -v4
	v_dual_mul_f32 v233, v188, v29 :: v_dual_mul_f32 v234, v190, v31
	v_dual_add_f32 v3, v3, v230 :: v_dual_add_f32 v2, v2, v5
	s_delay_alu instid0(VALU_DEP_4) | instskip(SKIP_1) | instid1(VALU_DEP_4)
	v_fma_f32 v6, v188, v28, -v6
	v_fmac_f32_e32 v232, v187, v24
	v_dual_fmac_f32 v233, v189, v28 :: v_dual_fmac_f32 v234, v191, v30
	s_delay_alu instid0(VALU_DEP_4) | instskip(SKIP_3) | instid1(VALU_DEP_3)
	v_add_f32_e32 v3, v3, v231
	v_dual_mul_f32 v5, v191, v31 :: v_dual_add_f32 v2, v2, v4
	v_dual_mul_f32 v235, v192, v141 :: v_dual_mul_f32 v236, v194, v143
	v_mul_f32_e32 v4, v193, v141
	v_fma_f32 v5, v190, v30, -v5
	s_delay_alu instid0(VALU_DEP_4) | instskip(NEXT) | instid1(VALU_DEP_4)
	v_add_f32_e32 v2, v2, v6
	v_dual_mul_f32 v6, v195, v143 :: v_dual_fmac_f32 v235, v193, v140
	s_delay_alu instid0(VALU_DEP_4) | instskip(SKIP_1) | instid1(VALU_DEP_4)
	v_fma_f32 v4, v192, v140, -v4
	v_dual_mul_f32 v237, v196, v145 :: v_dual_mul_f32 v238, v198, v147
	v_add_f32_e32 v2, v2, v5
	v_mul_f32_e32 v5, v197, v145
	v_add_f32_e32 v3, v3, v232
	s_delay_alu instid0(VALU_DEP_4) | instskip(SKIP_2) | instid1(VALU_DEP_4)
	v_dual_fmac_f32 v236, v195, v142 :: v_dual_fmac_f32 v237, v197, v144
	v_fma_f32 v6, v194, v142, -v6
	v_dual_mul_f32 v239, v200, v149 :: v_dual_mul_f32 v240, v202, v151
	v_add_f32_e32 v3, v3, v233
	v_dual_mul_f32 v241, v204, v153 :: v_dual_mul_f32 v242, v206, v155
	v_fma_f32 v5, v196, v144, -v5
	v_fmac_f32_e32 v238, v199, v146
	s_delay_alu instid0(VALU_DEP_4) | instskip(SKIP_2) | instid1(VALU_DEP_3)
	v_dual_add_f32 v3, v3, v234 :: v_dual_add_f32 v2, v2, v4
	v_dual_mul_f32 v4, v199, v147 :: v_dual_fmac_f32 v239, v201, v148
	v_fmac_f32_e32 v241, v205, v152
	v_dual_add_f32 v3, v3, v235 :: v_dual_add_f32 v2, v2, v6
	v_mul_f32_e32 v6, v201, v149
	s_delay_alu instid0(VALU_DEP_4) | instskip(SKIP_1) | instid1(VALU_DEP_4)
	v_fma_f32 v4, v198, v146, -v4
	v_dual_mul_f32 v245, v212, v161 :: v_dual_mul_f32 v246, v214, v163
	v_add_f32_e32 v3, v3, v236
	v_dual_fmac_f32 v240, v203, v150 :: v_dual_mul_f32 v243, v208, v157
	v_mul_f32_e32 v244, v210, v159
	s_delay_alu instid0(VALU_DEP_4) | instskip(NEXT) | instid1(VALU_DEP_4)
	v_dual_fmac_f32 v242, v207, v154 :: v_dual_fmac_f32 v245, v213, v160
	v_add_f32_e32 v3, v3, v237
	v_dual_add_f32 v2, v2, v5 :: v_dual_mul_f32 v5, v203, v151
	v_fma_f32 v6, v200, v148, -v6
	v_fmac_f32_e32 v243, v209, v156
	s_delay_alu instid0(VALU_DEP_3) | instskip(SKIP_3) | instid1(VALU_DEP_4)
	v_dual_add_f32 v3, v3, v238 :: v_dual_add_f32 v2, v2, v4
	v_mul_f32_e32 v4, v205, v153
	v_fma_f32 v5, v202, v150, -v5
	v_fmac_f32_e32 v244, v211, v158
	v_dual_add_f32 v3, v3, v239 :: v_dual_add_f32 v2, v2, v6
	v_mul_f32_e32 v6, v207, v155
	v_fma_f32 v4, v204, v152, -v4
	v_dual_fmac_f32 v247, v221, v216 :: v_dual_fmac_f32 v246, v215, v162
	s_delay_alu instid0(VALU_DEP_4) | instskip(SKIP_3) | instid1(VALU_DEP_3)
	v_add_f32_e32 v2, v2, v5
	v_mul_f32_e32 v5, v209, v157
	v_add_f32_e32 v3, v3, v240
	v_fma_f32 v6, v206, v154, -v6
	v_fma_f32 v5, v208, v156, -v5
	s_delay_alu instid0(VALU_DEP_3) | instskip(NEXT) | instid1(VALU_DEP_1)
	v_add_f32_e32 v3, v3, v241
	v_dual_add_f32 v3, v3, v242 :: v_dual_add_f32 v2, v2, v4
	v_mul_f32_e32 v4, v211, v159
	s_delay_alu instid0(VALU_DEP_2) | instskip(SKIP_1) | instid1(VALU_DEP_3)
	v_dual_add_f32 v3, v3, v243 :: v_dual_add_f32 v2, v2, v6
	v_mul_f32_e32 v6, v213, v161
	v_fma_f32 v4, v210, v158, -v4
	s_delay_alu instid0(VALU_DEP_3) | instskip(SKIP_1) | instid1(VALU_DEP_4)
	v_dual_add_f32 v3, v3, v244 :: v_dual_add_f32 v2, v2, v5
	v_mul_f32_e32 v5, v215, v163
	v_fma_f32 v6, v212, v160, -v6
	s_delay_alu instid0(VALU_DEP_3) | instskip(SKIP_1) | instid1(VALU_DEP_4)
	v_dual_add_f32 v3, v3, v245 :: v_dual_add_f32 v2, v2, v4
	v_mul_f32_e32 v4, v221, v217
	v_fma_f32 v5, v214, v162, -v5
	s_delay_alu instid0(VALU_DEP_3) | instskip(NEXT) | instid1(VALU_DEP_4)
	v_add_f32_e32 v3, v3, v246
	v_add_f32_e32 v2, v2, v6
	s_delay_alu instid0(VALU_DEP_4) | instskip(NEXT) | instid1(VALU_DEP_2)
	v_fma_f32 v4, v220, v216, -v4
	v_dual_add_f32 v3, v3, v247 :: v_dual_add_f32 v2, v2, v5
	s_wait_loadcnt 0x0
	s_delay_alu instid0(VALU_DEP_1) | instskip(NEXT) | instid1(VALU_DEP_1)
	v_dual_sub_f32 v3, v219, v3 :: v_dual_add_f32 v2, v2, v4
	v_sub_f32_e32 v2, v218, v2
	scratch_store_b64 off, v[2:3], off offset:208
	v_cmpx_lt_u32_e32 25, v0
	s_cbranch_execz .LBB53_287
; %bb.286:
	scratch_load_b64 v[3:4], off, off offset:200
	v_mov_b32_e32 v2, v1
	scratch_store_b64 off, v[1:2], off offset:200
	s_wait_loadcnt 0x0
	ds_store_b64 v27, v[3:4]
.LBB53_287:
	s_wait_alu 0xfffe
	s_or_b32 exec_lo, exec_lo, s0
	s_wait_storecnt_dscnt 0x0
	s_barrier_signal -1
	s_barrier_wait -1
	global_inv scope:SCOPE_SE
	s_clause 0xe
	scratch_load_b128 v[2:5], off, off offset:208
	scratch_load_b128 v[6:9], off, off offset:224
	;; [unrolled: 1-line block ×14, first 2 shown]
	scratch_load_b64 v[224:225], off, off offset:200
	ds_load_b128 v[168:171], v1 offset:640
	ds_load_b128 v[172:175], v1 offset:656
	ds_load_b128 v[176:179], v1 offset:672
	ds_load_b128 v[180:183], v1 offset:688
	ds_load_b128 v[184:187], v1 offset:704
	ds_load_b128 v[188:191], v1 offset:720
	ds_load_b128 v[192:195], v1 offset:736
	ds_load_b128 v[196:199], v1 offset:752
	ds_load_b128 v[200:203], v1 offset:768
	ds_load_b128 v[204:207], v1 offset:784
	ds_load_b128 v[208:211], v1 offset:800
	ds_load_b128 v[212:215], v1 offset:816
	ds_load_b128 v[216:219], v1 offset:832
	ds_load_b128 v[220:223], v1 offset:848
	s_mov_b32 s0, exec_lo
	s_wait_loadcnt_dscnt 0xe0d
	v_dual_mul_f32 v1, v168, v3 :: v_dual_mul_f32 v26, v170, v5
	s_wait_loadcnt_dscnt 0xd0c
	v_dual_mul_f32 v5, v171, v5 :: v_dual_mul_f32 v226, v172, v7
	v_mul_f32_e32 v227, v174, v9
	s_wait_loadcnt_dscnt 0xc0b
	v_dual_fmac_f32 v1, v169, v2 :: v_dual_mul_f32 v228, v176, v11
	v_mul_f32_e32 v229, v178, v13
	v_dual_mul_f32 v3, v169, v3 :: v_dual_fmac_f32 v26, v171, v4
	s_wait_loadcnt_dscnt 0xb0a
	v_dual_mul_f32 v230, v180, v15 :: v_dual_mul_f32 v231, v182, v17
	s_wait_loadcnt_dscnt 0x201
	v_mul_f32_e32 v248, v216, v161
	v_fma_f32 v3, v168, v2, -v3
	s_wait_loadcnt_dscnt 0x100
	v_mul_f32_e32 v251, v222, v167
	v_mul_f32_e32 v2, v173, v7
	v_fma_f32 v4, v170, v4, -v5
	v_dual_mul_f32 v5, v175, v9 :: v_dual_fmac_f32 v228, v177, v10
	v_dual_add_f32 v3, 0, v3 :: v_dual_fmac_f32 v226, v173, v6
	s_delay_alu instid0(VALU_DEP_4) | instskip(NEXT) | instid1(VALU_DEP_3)
	v_fma_f32 v2, v172, v6, -v2
	v_fma_f32 v5, v174, v8, -v5
	s_delay_alu instid0(VALU_DEP_3) | instskip(SKIP_2) | instid1(VALU_DEP_3)
	v_dual_fmac_f32 v230, v181, v14 :: v_dual_add_f32 v3, v3, v4
	v_dual_mul_f32 v232, v184, v19 :: v_dual_mul_f32 v233, v186, v21
	v_dual_mul_f32 v234, v188, v23 :: v_dual_mul_f32 v235, v190, v25
	v_add_f32_e32 v2, v3, v2
	s_delay_alu instid0(VALU_DEP_3) | instskip(SKIP_1) | instid1(VALU_DEP_3)
	v_dual_mul_f32 v3, v179, v13 :: v_dual_fmac_f32 v232, v185, v18
	v_dual_fmac_f32 v231, v183, v16 :: v_dual_mul_f32 v4, v177, v11
	v_add_f32_e32 v2, v2, v5
	v_add_f32_e32 v1, 0, v1
	s_delay_alu instid0(VALU_DEP_4) | instskip(SKIP_2) | instid1(VALU_DEP_4)
	v_fma_f32 v3, v178, v12, -v3
	v_dual_mul_f32 v236, v192, v29 :: v_dual_mul_f32 v237, v194, v31
	v_fma_f32 v4, v176, v10, -v4
	v_dual_add_f32 v1, v1, v26 :: v_dual_mul_f32 v240, v200, v145
	v_dual_mul_f32 v241, v202, v147 :: v_dual_mul_f32 v238, v196, v141
	v_mul_f32_e32 v239, v198, v143
	s_delay_alu instid0(VALU_DEP_3) | instskip(SKIP_2) | instid1(VALU_DEP_3)
	v_dual_add_f32 v2, v2, v4 :: v_dual_add_f32 v1, v1, v226
	v_mul_f32_e32 v4, v183, v17
	v_fmac_f32_e32 v227, v175, v8
	v_dual_fmac_f32 v235, v191, v24 :: v_dual_add_f32 v2, v2, v3
	v_dual_mul_f32 v242, v204, v149 :: v_dual_mul_f32 v243, v206, v151
	s_delay_alu instid0(VALU_DEP_4) | instskip(SKIP_3) | instid1(VALU_DEP_3)
	v_fma_f32 v4, v182, v16, -v4
	v_mul_f32_e32 v5, v181, v15
	v_dual_add_f32 v1, v1, v227 :: v_dual_mul_f32 v246, v212, v157
	v_dual_mul_f32 v247, v214, v159 :: v_dual_fmac_f32 v234, v189, v22
	v_fma_f32 v5, v180, v14, -v5
	v_dual_fmac_f32 v229, v179, v12 :: v_dual_mul_f32 v244, v208, v153
	v_mul_f32_e32 v245, v210, v155
	s_delay_alu instid0(VALU_DEP_3) | instskip(SKIP_3) | instid1(VALU_DEP_3)
	v_dual_fmac_f32 v243, v207, v150 :: v_dual_add_f32 v2, v2, v5
	v_mul_f32_e32 v5, v187, v21
	v_dual_fmac_f32 v237, v195, v30 :: v_dual_fmac_f32 v238, v197, v140
	v_dual_fmac_f32 v241, v203, v146 :: v_dual_fmac_f32 v244, v209, v152
	v_fma_f32 v5, v186, v20, -v5
	v_dual_mul_f32 v3, v185, v19 :: v_dual_add_f32 v2, v2, v4
	v_mul_f32_e32 v4, v189, v23
	v_dual_fmac_f32 v236, v193, v28 :: v_dual_mul_f32 v249, v218, v163
	v_mul_f32_e32 v250, v220, v165
	s_delay_alu instid0(VALU_DEP_4) | instskip(SKIP_2) | instid1(VALU_DEP_4)
	v_fma_f32 v3, v184, v18, -v3
	v_add_f32_e32 v1, v1, v228
	v_fma_f32 v4, v188, v22, -v4
	v_dual_fmac_f32 v247, v215, v158 :: v_dual_fmac_f32 v250, v221, v164
	s_delay_alu instid0(VALU_DEP_4) | instskip(SKIP_2) | instid1(VALU_DEP_3)
	v_dual_add_f32 v2, v2, v3 :: v_dual_mul_f32 v3, v191, v25
	v_fmac_f32_e32 v249, v219, v162
	v_dual_fmac_f32 v251, v223, v166 :: v_dual_fmac_f32 v240, v201, v144
	v_add_f32_e32 v2, v2, v5
	v_add_f32_e32 v1, v1, v229
	v_fma_f32 v3, v190, v24, -v3
	v_fmac_f32_e32 v242, v205, v148
	v_fmac_f32_e32 v246, v213, v156
	s_delay_alu instid0(VALU_DEP_4) | instskip(SKIP_3) | instid1(VALU_DEP_4)
	v_dual_add_f32 v2, v2, v4 :: v_dual_add_f32 v1, v1, v230
	v_mul_f32_e32 v4, v195, v31
	v_fmac_f32_e32 v233, v187, v20
	v_fmac_f32_e32 v248, v217, v160
	v_dual_add_f32 v2, v2, v3 :: v_dual_mul_f32 v3, v197, v141
	s_delay_alu instid0(VALU_DEP_4) | instskip(SKIP_1) | instid1(VALU_DEP_3)
	v_fma_f32 v4, v194, v30, -v4
	v_mul_f32_e32 v5, v193, v29
	v_fma_f32 v3, v196, v140, -v3
	s_delay_alu instid0(VALU_DEP_2) | instskip(NEXT) | instid1(VALU_DEP_1)
	v_fma_f32 v5, v192, v28, -v5
	v_dual_add_f32 v1, v1, v231 :: v_dual_add_f32 v2, v2, v5
	s_delay_alu instid0(VALU_DEP_1) | instskip(NEXT) | instid1(VALU_DEP_2)
	v_dual_mul_f32 v5, v199, v143 :: v_dual_add_f32 v2, v2, v4
	v_add_f32_e32 v1, v1, v232
	v_mul_f32_e32 v4, v201, v145
	s_delay_alu instid0(VALU_DEP_3) | instskip(NEXT) | instid1(VALU_DEP_4)
	v_fma_f32 v5, v198, v142, -v5
	v_dual_add_f32 v2, v2, v3 :: v_dual_fmac_f32 v239, v199, v142
	v_mul_f32_e32 v3, v203, v147
	s_delay_alu instid0(VALU_DEP_4) | instskip(NEXT) | instid1(VALU_DEP_3)
	v_fma_f32 v4, v200, v144, -v4
	v_add_f32_e32 v2, v2, v5
	v_add_f32_e32 v1, v1, v233
	s_delay_alu instid0(VALU_DEP_4) | instskip(NEXT) | instid1(VALU_DEP_3)
	v_fma_f32 v3, v202, v146, -v3
	v_dual_add_f32 v2, v2, v4 :: v_dual_mul_f32 v5, v205, v149
	s_delay_alu instid0(VALU_DEP_3) | instskip(NEXT) | instid1(VALU_DEP_2)
	v_dual_add_f32 v1, v1, v234 :: v_dual_mul_f32 v4, v207, v151
	v_add_f32_e32 v2, v2, v3
	s_delay_alu instid0(VALU_DEP_3) | instskip(NEXT) | instid1(VALU_DEP_3)
	v_fma_f32 v5, v204, v148, -v5
	v_add_f32_e32 v1, v1, v235
	v_mul_f32_e32 v3, v209, v153
	v_fma_f32 v4, v206, v150, -v4
	s_delay_alu instid0(VALU_DEP_4) | instskip(NEXT) | instid1(VALU_DEP_3)
	v_dual_add_f32 v2, v2, v5 :: v_dual_mul_f32 v5, v211, v155
	v_fma_f32 v3, v208, v152, -v3
	s_delay_alu instid0(VALU_DEP_2) | instskip(SKIP_3) | instid1(VALU_DEP_4)
	v_add_f32_e32 v2, v2, v4
	v_add_f32_e32 v1, v1, v236
	v_mul_f32_e32 v4, v213, v157
	v_fma_f32 v5, v210, v154, -v5
	v_dual_add_f32 v2, v2, v3 :: v_dual_fmac_f32 v245, v211, v154
	v_mul_f32_e32 v3, v215, v159
	s_delay_alu instid0(VALU_DEP_4) | instskip(NEXT) | instid1(VALU_DEP_3)
	v_fma_f32 v4, v212, v156, -v4
	v_add_f32_e32 v2, v2, v5
	v_add_f32_e32 v1, v1, v237
	s_delay_alu instid0(VALU_DEP_4) | instskip(NEXT) | instid1(VALU_DEP_3)
	v_fma_f32 v3, v214, v158, -v3
	v_dual_add_f32 v2, v2, v4 :: v_dual_mul_f32 v5, v217, v161
	s_delay_alu instid0(VALU_DEP_3) | instskip(NEXT) | instid1(VALU_DEP_2)
	v_dual_add_f32 v1, v1, v238 :: v_dual_mul_f32 v4, v219, v163
	v_add_f32_e32 v2, v2, v3
	s_delay_alu instid0(VALU_DEP_3) | instskip(NEXT) | instid1(VALU_DEP_3)
	v_fma_f32 v5, v216, v160, -v5
	v_add_f32_e32 v1, v1, v239
	v_mul_f32_e32 v3, v221, v165
	v_fma_f32 v4, v218, v162, -v4
	s_delay_alu instid0(VALU_DEP_4) | instskip(NEXT) | instid1(VALU_DEP_3)
	v_dual_add_f32 v2, v2, v5 :: v_dual_mul_f32 v5, v223, v167
	v_fma_f32 v3, v220, v164, -v3
	s_delay_alu instid0(VALU_DEP_2) | instskip(SKIP_1) | instid1(VALU_DEP_4)
	v_add_f32_e32 v2, v2, v4
	v_add_f32_e32 v1, v1, v240
	v_fma_f32 v4, v222, v166, -v5
	s_delay_alu instid0(VALU_DEP_2) | instskip(NEXT) | instid1(VALU_DEP_1)
	v_dual_add_f32 v2, v2, v3 :: v_dual_add_f32 v1, v1, v241
	v_dual_add_f32 v2, v2, v4 :: v_dual_add_f32 v1, v1, v242
	s_delay_alu instid0(VALU_DEP_1) | instskip(NEXT) | instid1(VALU_DEP_1)
	v_add_f32_e32 v1, v1, v243
	v_add_f32_e32 v1, v1, v244
	s_delay_alu instid0(VALU_DEP_1) | instskip(NEXT) | instid1(VALU_DEP_1)
	v_add_f32_e32 v1, v1, v245
	v_add_f32_e32 v1, v1, v246
	;; [unrolled: 3-line block ×4, first 2 shown]
	s_delay_alu instid0(VALU_DEP_1) | instskip(SKIP_1) | instid1(VALU_DEP_1)
	v_add_f32_e32 v3, v1, v251
	s_wait_loadcnt 0x0
	v_dual_sub_f32 v1, v224, v2 :: v_dual_sub_f32 v2, v225, v3
	scratch_store_b64 off, v[1:2], off offset:200
	v_cmpx_lt_u32_e32 24, v0
	s_cbranch_execz .LBB53_289
; %bb.288:
	scratch_load_b64 v[1:2], off, off offset:192
	v_mov_b32_e32 v3, 0
	s_delay_alu instid0(VALU_DEP_1)
	v_mov_b32_e32 v4, v3
	scratch_store_b64 off, v[3:4], off offset:192
	s_wait_loadcnt 0x0
	ds_store_b64 v27, v[1:2]
.LBB53_289:
	s_wait_alu 0xfffe
	s_or_b32 exec_lo, exec_lo, s0
	s_wait_storecnt_dscnt 0x0
	s_barrier_signal -1
	s_barrier_wait -1
	global_inv scope:SCOPE_SE
	s_clause 0x4
	scratch_load_b128 v[2:5], off, off offset:200
	scratch_load_b128 v[6:9], off, off offset:216
	scratch_load_b128 v[10:13], off, off offset:232
	scratch_load_b128 v[14:17], off, off offset:248
	scratch_load_b128 v[18:21], off, off offset:264
	v_mov_b32_e32 v1, 0
	ds_load_2addr_b64 v[22:25], v1 offset0:79 offset1:80
	ds_load_2addr_b64 v[28:31], v1 offset0:81 offset1:82
	ds_load_2addr_b64 v[140:143], v1 offset0:83 offset1:84
	scratch_load_b64 v[144:145], off, off offset:192
	s_mov_b32 s0, exec_lo
	s_wait_loadcnt_dscnt 0x502
	v_mul_f32_e32 v26, v23, v3
	v_dual_mul_f32 v146, v22, v3 :: v_dual_mul_f32 v147, v24, v5
	v_mul_f32_e32 v3, v25, v5
	s_wait_loadcnt_dscnt 0x300
	v_mul_f32_e32 v148, v142, v13
	v_fma_f32 v22, v22, v2, -v26
	v_dual_fmac_f32 v146, v23, v2 :: v_dual_fmac_f32 v147, v25, v4
	v_fma_f32 v23, v24, v4, -v3
	ds_load_2addr_b64 v[2:5], v1 offset0:85 offset1:86
	v_mul_f32_e32 v24, v28, v7
	v_mul_f32_e32 v7, v29, v7
	v_dual_mul_f32 v25, v30, v9 :: v_dual_mul_f32 v26, v140, v11
	s_delay_alu instid0(VALU_DEP_3) | instskip(SKIP_2) | instid1(VALU_DEP_4)
	v_dual_mul_f32 v9, v31, v9 :: v_dual_fmac_f32 v24, v29, v6
	v_dual_mul_f32 v11, v141, v11 :: v_dual_fmac_f32 v148, v143, v12
	v_mul_f32_e32 v13, v143, v13
	v_dual_fmac_f32 v25, v31, v8 :: v_dual_fmac_f32 v26, v141, v10
	s_delay_alu instid0(VALU_DEP_4) | instskip(NEXT) | instid1(VALU_DEP_4)
	v_fma_f32 v29, v30, v8, -v9
	v_fma_f32 v30, v140, v10, -v11
	s_delay_alu instid0(VALU_DEP_4)
	v_fma_f32 v31, v142, v12, -v13
	ds_load_2addr_b64 v[10:13], v1 offset0:87 offset1:88
	v_fma_f32 v28, v28, v6, -v7
	scratch_load_b128 v[6:9], off, off offset:280
	s_wait_loadcnt_dscnt 0x301
	v_mul_f32_e32 v140, v2, v15
	v_mul_f32_e32 v15, v3, v15
	;; [unrolled: 1-line block ×3, first 2 shown]
	s_delay_alu instid0(VALU_DEP_3) | instskip(NEXT) | instid1(VALU_DEP_3)
	v_dual_mul_f32 v17, v5, v17 :: v_dual_fmac_f32 v140, v3, v14
	v_fma_f32 v14, v2, v14, -v15
	s_delay_alu instid0(VALU_DEP_3) | instskip(NEXT) | instid1(VALU_DEP_3)
	v_fmac_f32_e32 v141, v5, v16
	v_fma_f32 v15, v4, v16, -v17
	ds_load_2addr_b64 v[2:5], v1 offset0:89 offset1:90
	s_wait_loadcnt_dscnt 0x201
	v_mul_f32_e32 v16, v10, v19
	v_mul_f32_e32 v17, v11, v19
	;; [unrolled: 1-line block ×3, first 2 shown]
	s_delay_alu instid0(VALU_DEP_3) | instskip(NEXT) | instid1(VALU_DEP_3)
	v_dual_mul_f32 v21, v13, v21 :: v_dual_fmac_f32 v16, v11, v18
	v_fma_f32 v17, v10, v18, -v17
	s_delay_alu instid0(VALU_DEP_3) | instskip(NEXT) | instid1(VALU_DEP_3)
	v_fmac_f32_e32 v19, v13, v20
	v_fma_f32 v18, v12, v20, -v21
	scratch_load_b128 v[10:13], off, off offset:296
	s_wait_loadcnt_dscnt 0x100
	v_mul_f32_e32 v20, v2, v7
	v_mul_f32_e32 v7, v3, v7
	;; [unrolled: 1-line block ×3, first 2 shown]
	s_delay_alu instid0(VALU_DEP_3) | instskip(NEXT) | instid1(VALU_DEP_3)
	v_dual_mul_f32 v9, v5, v9 :: v_dual_fmac_f32 v20, v3, v6
	v_fma_f32 v142, v2, v6, -v7
	s_delay_alu instid0(VALU_DEP_3) | instskip(NEXT) | instid1(VALU_DEP_3)
	v_fmac_f32_e32 v21, v5, v8
	v_fma_f32 v143, v4, v8, -v9
	ds_load_2addr_b64 v[2:5], v1 offset0:91 offset1:92
	ds_load_2addr_b64 v[6:9], v1 offset0:93 offset1:94
	s_wait_loadcnt_dscnt 0x1
	v_mul_f32_e32 v149, v2, v11
	v_dual_mul_f32 v11, v3, v11 :: v_dual_mul_f32 v150, v4, v13
	s_delay_alu instid0(VALU_DEP_2) | instskip(NEXT) | instid1(VALU_DEP_2)
	v_fmac_f32_e32 v149, v3, v10
	v_fma_f32 v151, v2, v10, -v11
	v_mul_f32_e32 v2, v5, v13
	s_delay_alu instid0(VALU_DEP_4) | instskip(NEXT) | instid1(VALU_DEP_2)
	v_fmac_f32_e32 v150, v5, v12
	v_fma_f32 v152, v4, v12, -v2
	s_clause 0x1
	scratch_load_b128 v[2:5], off, off offset:312
	scratch_load_b128 v[10:13], off, off offset:328
	s_wait_loadcnt_dscnt 0x100
	v_mul_f32_e32 v153, v6, v3
	v_mul_f32_e32 v3, v7, v3
	v_mul_f32_e32 v155, v8, v5
	s_delay_alu instid0(VALU_DEP_3) | instskip(NEXT) | instid1(VALU_DEP_3)
	v_fmac_f32_e32 v153, v7, v2
	v_fma_f32 v154, v6, v2, -v3
	v_mul_f32_e32 v2, v9, v5
	s_delay_alu instid0(VALU_DEP_4) | instskip(NEXT) | instid1(VALU_DEP_2)
	v_fmac_f32_e32 v155, v9, v4
	v_fma_f32 v156, v8, v4, -v2
	ds_load_2addr_b64 v[2:5], v1 offset0:95 offset1:96
	ds_load_2addr_b64 v[6:9], v1 offset0:97 offset1:98
	s_wait_loadcnt_dscnt 0x1
	v_mul_f32_e32 v157, v2, v11
	v_mul_f32_e32 v159, v4, v13
	s_delay_alu instid0(VALU_DEP_2) | instskip(SKIP_1) | instid1(VALU_DEP_3)
	v_fmac_f32_e32 v157, v3, v10
	v_mul_f32_e32 v3, v3, v11
	v_fmac_f32_e32 v159, v5, v12
	s_delay_alu instid0(VALU_DEP_2) | instskip(SKIP_1) | instid1(VALU_DEP_1)
	v_fma_f32 v158, v2, v10, -v3
	v_mul_f32_e32 v2, v5, v13
	v_fma_f32 v160, v4, v12, -v2
	s_clause 0x1
	scratch_load_b128 v[2:5], off, off offset:344
	scratch_load_b128 v[10:13], off, off offset:360
	s_wait_loadcnt_dscnt 0x100
	v_mul_f32_e32 v161, v6, v3
	v_mul_f32_e32 v3, v7, v3
	s_delay_alu instid0(VALU_DEP_2) | instskip(NEXT) | instid1(VALU_DEP_2)
	v_fmac_f32_e32 v161, v7, v2
	v_fma_f32 v162, v6, v2, -v3
	v_dual_mul_f32 v2, v9, v5 :: v_dual_add_f32 v3, 0, v146
	s_delay_alu instid0(VALU_DEP_1) | instskip(NEXT) | instid1(VALU_DEP_2)
	v_fma_f32 v164, v8, v4, -v2
	v_dual_add_f32 v2, 0, v22 :: v_dual_add_f32 v3, v3, v147
	s_delay_alu instid0(VALU_DEP_1) | instskip(NEXT) | instid1(VALU_DEP_1)
	v_add_f32_e32 v2, v2, v23
	v_add_f32_e32 v2, v2, v28
	s_delay_alu instid0(VALU_DEP_1) | instskip(SKIP_2) | instid1(VALU_DEP_1)
	v_add_f32_e32 v2, v2, v29
	scratch_load_b64 v[28:29], off, off offset:424
	v_add_f32_e32 v2, v2, v30
	v_add_f32_e32 v7, v2, v31
	s_delay_alu instid0(VALU_DEP_1) | instskip(NEXT) | instid1(VALU_DEP_1)
	v_add_f32_e32 v7, v7, v14
	v_add_f32_e32 v14, v7, v15
	s_delay_alu instid0(VALU_DEP_1) | instskip(NEXT) | instid1(VALU_DEP_1)
	v_dual_add_f32 v3, v3, v24 :: v_dual_add_f32 v14, v14, v17
	v_dual_add_f32 v3, v3, v25 :: v_dual_add_f32 v14, v14, v18
	s_delay_alu instid0(VALU_DEP_1) | instskip(NEXT) | instid1(VALU_DEP_2)
	v_add_f32_e32 v6, v3, v26
	v_add_f32_e32 v14, v14, v142
	s_delay_alu instid0(VALU_DEP_2) | instskip(NEXT) | instid1(VALU_DEP_1)
	v_add_f32_e32 v6, v6, v148
	v_add_f32_e32 v6, v6, v140
	s_delay_alu instid0(VALU_DEP_1) | instskip(NEXT) | instid1(VALU_DEP_1)
	v_add_f32_e32 v15, v6, v141
	v_add_f32_e32 v15, v15, v16
	s_delay_alu instid0(VALU_DEP_1) | instskip(NEXT) | instid1(VALU_DEP_1)
	v_add_f32_e32 v15, v15, v19
	v_dual_mul_f32 v163, v8, v5 :: v_dual_add_f32 v18, v15, v20
	s_delay_alu instid0(VALU_DEP_1)
	v_dual_add_f32 v18, v18, v21 :: v_dual_fmac_f32 v163, v9, v4
	ds_load_2addr_b64 v[2:5], v1 offset0:99 offset1:100
	ds_load_2addr_b64 v[6:9], v1 offset0:101 offset1:102
	v_add_f32_e32 v19, v14, v143
	v_add_f32_e32 v18, v18, v149
	scratch_load_b128 v[14:17], off, off offset:408
	v_add_f32_e32 v18, v18, v150
	s_delay_alu instid0(VALU_DEP_1) | instskip(NEXT) | instid1(VALU_DEP_1)
	v_add_f32_e32 v18, v18, v153
	v_add_f32_e32 v22, v18, v155
	s_wait_loadcnt_dscnt 0x201
	v_mul_f32_e32 v26, v2, v11
	v_mul_f32_e32 v140, v4, v13
	s_delay_alu instid0(VALU_DEP_3) | instskip(SKIP_3) | instid1(VALU_DEP_1)
	v_add_f32_e32 v31, v22, v157
	ds_load_2addr_b64 v[22:25], v1 offset0:105 offset1:106
	v_fmac_f32_e32 v26, v3, v10
	v_dual_fmac_f32 v140, v5, v12 :: v_dual_add_f32 v143, v31, v159
	v_add_f32_e32 v143, v143, v161
	s_delay_alu instid0(VALU_DEP_1) | instskip(NEXT) | instid1(VALU_DEP_1)
	v_add_f32_e32 v143, v143, v163
	v_add_f32_e32 v26, v143, v26
	s_delay_alu instid0(VALU_DEP_1) | instskip(NEXT) | instid1(VALU_DEP_1)
	v_dual_add_f32 v19, v19, v151 :: v_dual_add_f32 v26, v26, v140
	v_add_f32_e32 v19, v19, v152
	s_delay_alu instid0(VALU_DEP_1) | instskip(NEXT) | instid1(VALU_DEP_1)
	v_add_f32_e32 v19, v19, v154
	v_add_f32_e32 v19, v19, v156
	s_delay_alu instid0(VALU_DEP_1) | instskip(SKIP_3) | instid1(VALU_DEP_2)
	v_add_f32_e32 v30, v19, v158
	ds_load_2addr_b64 v[18:21], v1 offset0:103 offset1:104
	v_dual_mul_f32 v13, v5, v13 :: v_dual_add_f32 v142, v30, v160
	v_mul_f32_e32 v11, v3, v11
	v_fma_f32 v146, v4, v12, -v13
	ds_load_b64 v[30:31], v1 offset:856
	v_add_f32_e32 v142, v142, v162
	v_fma_f32 v141, v2, v10, -v11
	s_clause 0x1
	scratch_load_b128 v[2:5], off, off offset:376
	scratch_load_b128 v[10:13], off, off offset:392
	v_add_f32_e32 v142, v142, v164
	s_wait_loadcnt_dscnt 0x300
	v_mul_f32_e32 v140, v30, v29
	s_delay_alu instid0(VALU_DEP_1) | instskip(SKIP_1) | instid1(VALU_DEP_1)
	v_dual_add_f32 v141, v142, v141 :: v_dual_fmac_f32 v140, v31, v28
	s_wait_loadcnt 0x2
	v_dual_add_f32 v141, v141, v146 :: v_dual_mul_f32 v146, v24, v17
	s_delay_alu instid0(VALU_DEP_1)
	v_dual_mul_f32 v149, v22, v15 :: v_dual_fmac_f32 v146, v25, v16
	s_wait_loadcnt 0x1
	v_mul_f32_e32 v148, v8, v5
	s_wait_loadcnt 0x0
	v_mul_f32_e32 v142, v18, v11
	v_mul_f32_e32 v147, v6, v3
	s_delay_alu instid0(VALU_DEP_3) | instskip(NEXT) | instid1(VALU_DEP_3)
	v_dual_mul_f32 v3, v7, v3 :: v_dual_fmac_f32 v148, v9, v4
	v_fmac_f32_e32 v142, v19, v10
	s_delay_alu instid0(VALU_DEP_3) | instskip(NEXT) | instid1(VALU_DEP_3)
	v_fmac_f32_e32 v147, v7, v2
	v_fma_f32 v3, v6, v2, -v3
	v_mul_f32_e32 v6, v21, v13
	s_delay_alu instid0(VALU_DEP_2) | instskip(SKIP_1) | instid1(VALU_DEP_3)
	v_add_f32_e32 v3, v141, v3
	v_mul_f32_e32 v5, v9, v5
	v_fma_f32 v6, v20, v12, -v6
	s_delay_alu instid0(VALU_DEP_2) | instskip(SKIP_1) | instid1(VALU_DEP_2)
	v_fma_f32 v2, v8, v4, -v5
	v_mul_f32_e32 v4, v19, v11
	v_dual_add_f32 v5, v26, v147 :: v_dual_add_f32 v2, v3, v2
	s_delay_alu instid0(VALU_DEP_2) | instskip(NEXT) | instid1(VALU_DEP_2)
	v_fma_f32 v4, v18, v10, -v4
	v_add_f32_e32 v3, v5, v148
	s_delay_alu instid0(VALU_DEP_2) | instskip(SKIP_1) | instid1(VALU_DEP_2)
	v_dual_mul_f32 v5, v23, v15 :: v_dual_add_f32 v2, v2, v4
	v_mul_f32_e32 v4, v25, v17
	v_fma_f32 v5, v22, v14, -v5
	s_delay_alu instid0(VALU_DEP_4) | instskip(NEXT) | instid1(VALU_DEP_4)
	v_add_f32_e32 v3, v3, v142
	v_add_f32_e32 v2, v2, v6
	s_delay_alu instid0(VALU_DEP_4) | instskip(SKIP_1) | instid1(VALU_DEP_3)
	v_fma_f32 v4, v24, v16, -v4
	v_mul_f32_e32 v6, v31, v29
	v_dual_fmac_f32 v149, v23, v14 :: v_dual_add_f32 v2, v2, v5
	v_mul_f32_e32 v143, v20, v13
	s_delay_alu instid0(VALU_DEP_3) | instskip(NEXT) | instid1(VALU_DEP_3)
	v_fma_f32 v5, v30, v28, -v6
	v_add_f32_e32 v2, v2, v4
	s_delay_alu instid0(VALU_DEP_1) | instskip(NEXT) | instid1(VALU_DEP_1)
	v_dual_fmac_f32 v143, v21, v12 :: v_dual_add_f32 v2, v2, v5
	v_dual_add_f32 v3, v3, v143 :: v_dual_sub_f32 v2, v144, v2
	s_delay_alu instid0(VALU_DEP_1) | instskip(NEXT) | instid1(VALU_DEP_1)
	v_add_f32_e32 v3, v3, v149
	v_add_f32_e32 v3, v3, v146
	s_delay_alu instid0(VALU_DEP_1) | instskip(NEXT) | instid1(VALU_DEP_1)
	v_add_f32_e32 v3, v3, v140
	v_sub_f32_e32 v3, v145, v3
	scratch_store_b64 off, v[2:3], off offset:192
	v_cmpx_lt_u32_e32 23, v0
	s_cbranch_execz .LBB53_291
; %bb.290:
	scratch_load_b64 v[3:4], off, off offset:184
	v_mov_b32_e32 v2, v1
	scratch_store_b64 off, v[1:2], off offset:184
	s_wait_loadcnt 0x0
	ds_store_b64 v27, v[3:4]
.LBB53_291:
	s_wait_alu 0xfffe
	s_or_b32 exec_lo, exec_lo, s0
	s_wait_storecnt_dscnt 0x0
	s_barrier_signal -1
	s_barrier_wait -1
	global_inv scope:SCOPE_SE
	s_clause 0x4
	scratch_load_b128 v[2:5], off, off offset:192
	scratch_load_b128 v[6:9], off, off offset:208
	;; [unrolled: 1-line block ×5, first 2 shown]
	ds_load_b128 v[22:25], v1 offset:624
	ds_load_b128 v[28:31], v1 offset:640
	;; [unrolled: 1-line block ×3, first 2 shown]
	scratch_load_b64 v[144:145], off, off offset:184
	s_mov_b32 s0, exec_lo
	s_wait_loadcnt_dscnt 0x502
	v_dual_mul_f32 v26, v23, v3 :: v_dual_mul_f32 v147, v24, v5
	v_dual_mul_f32 v146, v22, v3 :: v_dual_mul_f32 v3, v25, v5
	s_wait_loadcnt_dscnt 0x300
	v_mul_f32_e32 v148, v142, v13
	s_delay_alu instid0(VALU_DEP_3) | instskip(NEXT) | instid1(VALU_DEP_3)
	v_fma_f32 v22, v22, v2, -v26
	v_dual_fmac_f32 v147, v25, v4 :: v_dual_fmac_f32 v146, v23, v2
	v_fma_f32 v23, v24, v4, -v3
	ds_load_b128 v[2:5], v1 offset:672
	v_dual_mul_f32 v24, v28, v7 :: v_dual_mul_f32 v25, v30, v9
	v_mul_f32_e32 v7, v29, v7
	v_dual_mul_f32 v9, v31, v9 :: v_dual_mul_f32 v26, v140, v11
	v_dual_mul_f32 v11, v141, v11 :: v_dual_fmac_f32 v148, v143, v12
	s_delay_alu instid0(VALU_DEP_4) | instskip(SKIP_1) | instid1(VALU_DEP_4)
	v_dual_mul_f32 v13, v143, v13 :: v_dual_fmac_f32 v24, v29, v6
	v_fmac_f32_e32 v25, v31, v8
	v_fma_f32 v29, v30, v8, -v9
	v_fmac_f32_e32 v26, v141, v10
	v_fma_f32 v30, v140, v10, -v11
	v_fma_f32 v31, v142, v12, -v13
	ds_load_b128 v[10:13], v1 offset:688
	v_fma_f32 v28, v28, v6, -v7
	scratch_load_b128 v[6:9], off, off offset:272
	s_wait_loadcnt_dscnt 0x301
	v_dual_mul_f32 v140, v2, v15 :: v_dual_mul_f32 v141, v4, v17
	v_mul_f32_e32 v15, v3, v15
	s_delay_alu instid0(VALU_DEP_2) | instskip(NEXT) | instid1(VALU_DEP_3)
	v_dual_mul_f32 v17, v5, v17 :: v_dual_fmac_f32 v140, v3, v14
	v_fmac_f32_e32 v141, v5, v16
	s_delay_alu instid0(VALU_DEP_3) | instskip(NEXT) | instid1(VALU_DEP_3)
	v_fma_f32 v14, v2, v14, -v15
	v_fma_f32 v15, v4, v16, -v17
	ds_load_b128 v[2:5], v1 offset:704
	s_wait_loadcnt_dscnt 0x201
	v_mul_f32_e32 v16, v10, v19
	v_mul_f32_e32 v17, v11, v19
	;; [unrolled: 1-line block ×3, first 2 shown]
	s_delay_alu instid0(VALU_DEP_3) | instskip(NEXT) | instid1(VALU_DEP_3)
	v_dual_mul_f32 v21, v13, v21 :: v_dual_fmac_f32 v16, v11, v18
	v_fma_f32 v17, v10, v18, -v17
	s_delay_alu instid0(VALU_DEP_3) | instskip(NEXT) | instid1(VALU_DEP_3)
	v_fmac_f32_e32 v19, v13, v20
	v_fma_f32 v18, v12, v20, -v21
	scratch_load_b128 v[10:13], off, off offset:288
	s_wait_loadcnt_dscnt 0x100
	v_mul_f32_e32 v20, v2, v7
	v_mul_f32_e32 v7, v3, v7
	;; [unrolled: 1-line block ×3, first 2 shown]
	s_delay_alu instid0(VALU_DEP_3) | instskip(NEXT) | instid1(VALU_DEP_3)
	v_dual_mul_f32 v9, v5, v9 :: v_dual_fmac_f32 v20, v3, v6
	v_fma_f32 v142, v2, v6, -v7
	s_delay_alu instid0(VALU_DEP_3) | instskip(NEXT) | instid1(VALU_DEP_3)
	v_fmac_f32_e32 v21, v5, v8
	v_fma_f32 v143, v4, v8, -v9
	ds_load_b128 v[2:5], v1 offset:720
	ds_load_b128 v[6:9], v1 offset:736
	s_wait_loadcnt_dscnt 0x1
	v_mul_f32_e32 v149, v2, v11
	v_dual_mul_f32 v11, v3, v11 :: v_dual_mul_f32 v150, v4, v13
	s_delay_alu instid0(VALU_DEP_2) | instskip(NEXT) | instid1(VALU_DEP_2)
	v_fmac_f32_e32 v149, v3, v10
	v_fma_f32 v151, v2, v10, -v11
	v_mul_f32_e32 v2, v5, v13
	s_delay_alu instid0(VALU_DEP_4) | instskip(NEXT) | instid1(VALU_DEP_2)
	v_fmac_f32_e32 v150, v5, v12
	v_fma_f32 v152, v4, v12, -v2
	s_clause 0x1
	scratch_load_b128 v[2:5], off, off offset:304
	scratch_load_b128 v[10:13], off, off offset:320
	s_wait_loadcnt_dscnt 0x100
	v_mul_f32_e32 v153, v6, v3
	v_mul_f32_e32 v3, v7, v3
	;; [unrolled: 1-line block ×3, first 2 shown]
	s_delay_alu instid0(VALU_DEP_3) | instskip(NEXT) | instid1(VALU_DEP_3)
	v_fmac_f32_e32 v153, v7, v2
	v_fma_f32 v154, v6, v2, -v3
	v_mul_f32_e32 v2, v9, v5
	s_delay_alu instid0(VALU_DEP_4) | instskip(NEXT) | instid1(VALU_DEP_2)
	v_fmac_f32_e32 v155, v9, v4
	v_fma_f32 v156, v8, v4, -v2
	ds_load_b128 v[2:5], v1 offset:752
	ds_load_b128 v[6:9], v1 offset:768
	s_wait_loadcnt_dscnt 0x1
	v_mul_f32_e32 v157, v2, v11
	v_mul_f32_e32 v159, v4, v13
	s_delay_alu instid0(VALU_DEP_2) | instskip(SKIP_1) | instid1(VALU_DEP_3)
	v_fmac_f32_e32 v157, v3, v10
	v_mul_f32_e32 v3, v3, v11
	v_fmac_f32_e32 v159, v5, v12
	s_delay_alu instid0(VALU_DEP_2) | instskip(SKIP_1) | instid1(VALU_DEP_1)
	v_fma_f32 v158, v2, v10, -v3
	v_mul_f32_e32 v2, v5, v13
	v_fma_f32 v160, v4, v12, -v2
	s_clause 0x1
	scratch_load_b128 v[2:5], off, off offset:336
	scratch_load_b128 v[10:13], off, off offset:352
	s_wait_loadcnt_dscnt 0x100
	v_mul_f32_e32 v161, v6, v3
	v_mul_f32_e32 v3, v7, v3
	v_mul_f32_e32 v163, v8, v5
	s_delay_alu instid0(VALU_DEP_3) | instskip(NEXT) | instid1(VALU_DEP_3)
	v_fmac_f32_e32 v161, v7, v2
	v_fma_f32 v162, v6, v2, -v3
	v_dual_mul_f32 v2, v9, v5 :: v_dual_add_f32 v3, 0, v146
	s_delay_alu instid0(VALU_DEP_1) | instskip(NEXT) | instid1(VALU_DEP_2)
	v_fma_f32 v164, v8, v4, -v2
	v_dual_add_f32 v2, 0, v22 :: v_dual_add_f32 v3, v3, v147
	s_delay_alu instid0(VALU_DEP_1) | instskip(NEXT) | instid1(VALU_DEP_1)
	v_add_f32_e32 v2, v2, v23
	v_add_f32_e32 v2, v2, v28
	s_delay_alu instid0(VALU_DEP_1) | instskip(NEXT) | instid1(VALU_DEP_1)
	v_dual_add_f32 v3, v3, v24 :: v_dual_add_f32 v2, v2, v29
	v_dual_add_f32 v3, v3, v25 :: v_dual_add_f32 v2, v2, v30
	s_delay_alu instid0(VALU_DEP_1) | instskip(NEXT) | instid1(VALU_DEP_1)
	v_dual_add_f32 v3, v3, v26 :: v_dual_add_f32 v2, v2, v31
	v_dual_add_f32 v6, v3, v148 :: v_dual_add_f32 v7, v2, v14
	s_delay_alu instid0(VALU_DEP_1) | instskip(NEXT) | instid1(VALU_DEP_1)
	v_dual_add_f32 v14, v6, v140 :: v_dual_add_f32 v15, v7, v15
	v_add_f32_e32 v14, v14, v141
	s_delay_alu instid0(VALU_DEP_1) | instskip(NEXT) | instid1(VALU_DEP_1)
	v_dual_add_f32 v15, v15, v17 :: v_dual_add_f32 v14, v14, v16
	v_add_f32_e32 v18, v15, v18
	s_delay_alu instid0(VALU_DEP_1) | instskip(NEXT) | instid1(VALU_DEP_1)
	v_add_f32_e32 v18, v18, v142
	v_dual_add_f32 v18, v18, v143 :: v_dual_fmac_f32 v163, v9, v4
	scratch_load_b128 v[6:9], off, off offset:368
	ds_load_b128 v[2:5], v1 offset:784
	v_add_f32_e32 v18, v18, v151
	s_delay_alu instid0(VALU_DEP_1) | instskip(NEXT) | instid1(VALU_DEP_1)
	v_add_f32_e32 v23, v18, v152
	v_add_f32_e32 v23, v23, v154
	s_delay_alu instid0(VALU_DEP_1)
	v_add_f32_e32 v23, v23, v156
	v_add_f32_e32 v19, v14, v19
	ds_load_b128 v[14:17], v1 offset:800
	s_wait_loadcnt_dscnt 0x101
	v_mul_f32_e32 v26, v2, v11
	v_dual_mul_f32 v11, v3, v11 :: v_dual_mul_f32 v28, v4, v13
	s_delay_alu instid0(VALU_DEP_2) | instskip(NEXT) | instid1(VALU_DEP_2)
	v_dual_mul_f32 v13, v5, v13 :: v_dual_fmac_f32 v26, v3, v10
	v_fma_f32 v29, v2, v10, -v11
	s_delay_alu instid0(VALU_DEP_3) | instskip(NEXT) | instid1(VALU_DEP_3)
	v_fmac_f32_e32 v28, v5, v12
	v_fma_f32 v30, v4, v12, -v13
	s_clause 0x1
	scratch_load_b128 v[10:13], off, off offset:400
	scratch_load_b128 v[2:5], off, off offset:384
	s_wait_loadcnt_dscnt 0x200
	v_dual_mul_f32 v31, v14, v7 :: v_dual_mul_f32 v140, v16, v9
	v_mul_f32_e32 v7, v15, v7
	s_delay_alu instid0(VALU_DEP_2) | instskip(SKIP_1) | instid1(VALU_DEP_4)
	v_fmac_f32_e32 v31, v15, v6
	v_add_f32_e32 v19, v19, v20
	v_fmac_f32_e32 v140, v17, v8
	s_delay_alu instid0(VALU_DEP_4) | instskip(NEXT) | instid1(VALU_DEP_3)
	v_fma_f32 v141, v14, v6, -v7
	v_add_f32_e32 v19, v19, v21
	s_delay_alu instid0(VALU_DEP_1) | instskip(SKIP_2) | instid1(VALU_DEP_1)
	v_add_f32_e32 v22, v19, v149
	scratch_load_b128 v[18:21], off, off offset:416
	v_dual_mul_f32 v9, v17, v9 :: v_dual_add_f32 v22, v22, v150
	v_fma_f32 v142, v16, v8, -v9
	ds_load_b128 v[6:9], v1 offset:816
	v_add_f32_e32 v22, v22, v153
	s_delay_alu instid0(VALU_DEP_1) | instskip(NEXT) | instid1(VALU_DEP_1)
	v_add_f32_e32 v14, v22, v155
	v_dual_add_f32 v22, v23, v158 :: v_dual_add_f32 v23, v14, v157
	ds_load_b128 v[14:17], v1 offset:832
	v_dual_add_f32 v143, v22, v160 :: v_dual_add_f32 v146, v23, v159
	ds_load_b128 v[22:25], v1 offset:848
	s_wait_loadcnt_dscnt 0x201
	v_mul_f32_e32 v147, v16, v13
	s_delay_alu instid0(VALU_DEP_1)
	v_fmac_f32_e32 v147, v17, v12
	v_add_f32_e32 v1, v143, v162
	v_add_f32_e32 v143, v146, v161
	s_wait_loadcnt 0x1
	v_mul_f32_e32 v146, v6, v3
	v_mul_f32_e32 v3, v7, v3
	v_add_f32_e32 v1, v1, v164
	v_add_f32_e32 v143, v143, v163
	s_delay_alu instid0(VALU_DEP_4) | instskip(NEXT) | instid1(VALU_DEP_4)
	v_fmac_f32_e32 v146, v7, v2
	v_fma_f32 v3, v6, v2, -v3
	s_delay_alu instid0(VALU_DEP_4) | instskip(NEXT) | instid1(VALU_DEP_4)
	v_dual_mul_f32 v6, v15, v11 :: v_dual_add_f32 v1, v1, v29
	v_dual_add_f32 v26, v143, v26 :: v_dual_mul_f32 v29, v8, v5
	v_mul_f32_e32 v5, v9, v5
	v_mul_f32_e32 v143, v14, v11
	s_delay_alu instid0(VALU_DEP_3) | instskip(NEXT) | instid1(VALU_DEP_4)
	v_dual_add_f32 v1, v1, v30 :: v_dual_add_f32 v26, v26, v28
	v_fmac_f32_e32 v29, v9, v4
	s_delay_alu instid0(VALU_DEP_4) | instskip(NEXT) | instid1(VALU_DEP_4)
	v_fma_f32 v4, v8, v4, -v5
	v_fmac_f32_e32 v143, v15, v10
	s_delay_alu instid0(VALU_DEP_4) | instskip(SKIP_1) | instid1(VALU_DEP_2)
	v_dual_add_f32 v1, v1, v141 :: v_dual_add_f32 v26, v26, v31
	v_fma_f32 v5, v14, v10, -v6
	v_dual_add_f32 v1, v1, v142 :: v_dual_add_f32 v2, v26, v140
	s_delay_alu instid0(VALU_DEP_1) | instskip(SKIP_1) | instid1(VALU_DEP_2)
	v_dual_add_f32 v1, v1, v3 :: v_dual_add_f32 v2, v2, v146
	v_mul_f32_e32 v3, v17, v13
	v_dual_add_f32 v1, v1, v4 :: v_dual_add_f32 v2, v2, v29
	s_delay_alu instid0(VALU_DEP_2) | instskip(NEXT) | instid1(VALU_DEP_2)
	v_fma_f32 v3, v16, v12, -v3
	v_dual_add_f32 v1, v1, v5 :: v_dual_add_f32 v2, v2, v143
	s_delay_alu instid0(VALU_DEP_1) | instskip(NEXT) | instid1(VALU_DEP_2)
	v_add_f32_e32 v1, v1, v3
	v_add_f32_e32 v2, v2, v147
	s_wait_loadcnt_dscnt 0x0
	v_mul_f32_e32 v28, v22, v19
	v_mul_f32_e32 v4, v23, v19
	;; [unrolled: 1-line block ×3, first 2 shown]
	s_delay_alu instid0(VALU_DEP_3) | instskip(NEXT) | instid1(VALU_DEP_3)
	v_dual_mul_f32 v5, v25, v21 :: v_dual_fmac_f32 v28, v23, v18
	v_fma_f32 v4, v22, v18, -v4
	s_delay_alu instid0(VALU_DEP_3) | instskip(NEXT) | instid1(VALU_DEP_3)
	v_fmac_f32_e32 v30, v25, v20
	v_fma_f32 v3, v24, v20, -v5
	s_delay_alu instid0(VALU_DEP_4) | instskip(NEXT) | instid1(VALU_DEP_1)
	v_add_f32_e32 v2, v2, v28
	v_dual_add_f32 v1, v1, v4 :: v_dual_add_f32 v2, v2, v30
	s_delay_alu instid0(VALU_DEP_1) | instskip(NEXT) | instid1(VALU_DEP_1)
	v_add_f32_e32 v1, v1, v3
	v_dual_sub_f32 v2, v145, v2 :: v_dual_sub_f32 v1, v144, v1
	scratch_store_b64 off, v[1:2], off offset:184
	v_cmpx_lt_u32_e32 22, v0
	s_cbranch_execz .LBB53_293
; %bb.292:
	scratch_load_b64 v[1:2], off, off offset:176
	v_mov_b32_e32 v3, 0
	s_delay_alu instid0(VALU_DEP_1)
	v_mov_b32_e32 v4, v3
	scratch_store_b64 off, v[3:4], off offset:176
	s_wait_loadcnt 0x0
	ds_store_b64 v27, v[1:2]
.LBB53_293:
	s_wait_alu 0xfffe
	s_or_b32 exec_lo, exec_lo, s0
	s_wait_storecnt_dscnt 0x0
	s_barrier_signal -1
	s_barrier_wait -1
	global_inv scope:SCOPE_SE
	s_clause 0x4
	scratch_load_b128 v[5:8], off, off offset:184
	scratch_load_b128 v[1:4], off, off offset:200
	;; [unrolled: 1-line block ×5, first 2 shown]
	v_mov_b32_e32 v21, 0
	ds_load_2addr_b64 v[22:25], v21 offset0:77 offset1:78
	ds_load_2addr_b64 v[28:31], v21 offset0:79 offset1:80
	;; [unrolled: 1-line block ×3, first 2 shown]
	scratch_load_b64 v[144:145], off, off offset:176
	s_mov_b32 s0, exec_lo
	s_wait_loadcnt_dscnt 0x502
	v_dual_mul_f32 v146, v22, v6 :: v_dual_mul_f32 v147, v24, v8
	v_mul_f32_e32 v26, v23, v6
	v_mul_f32_e32 v6, v25, v8
	s_wait_loadcnt_dscnt 0x300
	v_mul_f32_e32 v148, v142, v12
	v_dual_fmac_f32 v146, v23, v5 :: v_dual_fmac_f32 v147, v25, v7
	v_mul_f32_e32 v25, v30, v4
	v_fma_f32 v22, v22, v5, -v26
	v_mul_f32_e32 v26, v140, v10
	v_mul_f32_e32 v4, v31, v4
	s_delay_alu instid0(VALU_DEP_4)
	v_dual_mul_f32 v10, v141, v10 :: v_dual_fmac_f32 v25, v31, v3
	v_fma_f32 v23, v24, v7, -v6
	ds_load_2addr_b64 v[5:8], v21 offset0:83 offset1:84
	v_mul_f32_e32 v24, v28, v2
	v_mul_f32_e32 v12, v143, v12
	;; [unrolled: 1-line block ×3, first 2 shown]
	v_fmac_f32_e32 v26, v141, v9
	v_fmac_f32_e32 v148, v143, v11
	;; [unrolled: 1-line block ×3, first 2 shown]
	v_fma_f32 v29, v30, v3, -v4
	v_fma_f32 v30, v140, v9, -v10
	;; [unrolled: 1-line block ×3, first 2 shown]
	ds_load_2addr_b64 v[9:12], v21 offset0:85 offset1:86
	s_wait_loadcnt_dscnt 0x201
	v_dual_mul_f32 v141, v7, v16 :: v_dual_mul_f32 v140, v5, v14
	v_mul_f32_e32 v14, v6, v14
	v_mul_f32_e32 v16, v8, v16
	s_delay_alu instid0(VALU_DEP_3)
	v_fmac_f32_e32 v141, v8, v15
	v_fma_f32 v28, v28, v1, -v2
	scratch_load_b128 v[1:4], off, off offset:264
	v_fmac_f32_e32 v140, v6, v13
	v_fma_f32 v13, v5, v13, -v14
	v_fma_f32 v14, v7, v15, -v16
	s_wait_loadcnt_dscnt 0x200
	v_mul_f32_e32 v15, v9, v18
	v_mul_f32_e32 v16, v10, v18
	v_mul_f32_e32 v18, v11, v20
	v_mul_f32_e32 v20, v12, v20
	ds_load_2addr_b64 v[5:8], v21 offset0:87 offset1:88
	v_fmac_f32_e32 v15, v10, v17
	v_fma_f32 v16, v9, v17, -v16
	v_fmac_f32_e32 v18, v12, v19
	v_fma_f32 v17, v11, v19, -v20
	scratch_load_b128 v[9:12], off, off offset:280
	s_wait_loadcnt_dscnt 0x100
	v_mul_f32_e32 v19, v5, v2
	v_mul_f32_e32 v2, v6, v2
	;; [unrolled: 1-line block ×3, first 2 shown]
	s_delay_alu instid0(VALU_DEP_3) | instskip(NEXT) | instid1(VALU_DEP_3)
	v_dual_mul_f32 v4, v8, v4 :: v_dual_fmac_f32 v19, v6, v1
	v_fma_f32 v142, v5, v1, -v2
	s_delay_alu instid0(VALU_DEP_3) | instskip(NEXT) | instid1(VALU_DEP_3)
	v_fmac_f32_e32 v20, v8, v3
	v_fma_f32 v143, v7, v3, -v4
	ds_load_2addr_b64 v[1:4], v21 offset0:89 offset1:90
	ds_load_2addr_b64 v[5:8], v21 offset0:91 offset1:92
	s_wait_loadcnt_dscnt 0x1
	v_mul_f32_e32 v149, v1, v10
	v_mul_f32_e32 v10, v2, v10
	s_delay_alu instid0(VALU_DEP_2) | instskip(NEXT) | instid1(VALU_DEP_2)
	v_dual_mul_f32 v150, v3, v12 :: v_dual_fmac_f32 v149, v2, v9
	v_fma_f32 v151, v1, v9, -v10
	v_mul_f32_e32 v1, v4, v12
	s_delay_alu instid0(VALU_DEP_3) | instskip(NEXT) | instid1(VALU_DEP_2)
	v_fmac_f32_e32 v150, v4, v11
	v_fma_f32 v152, v3, v11, -v1
	s_clause 0x1
	scratch_load_b128 v[1:4], off, off offset:296
	scratch_load_b128 v[9:12], off, off offset:312
	s_wait_loadcnt_dscnt 0x100
	v_mul_f32_e32 v153, v5, v2
	v_dual_mul_f32 v2, v6, v2 :: v_dual_mul_f32 v155, v7, v4
	s_delay_alu instid0(VALU_DEP_2) | instskip(NEXT) | instid1(VALU_DEP_2)
	v_fmac_f32_e32 v153, v6, v1
	v_fma_f32 v154, v5, v1, -v2
	v_mul_f32_e32 v1, v8, v4
	s_delay_alu instid0(VALU_DEP_4) | instskip(NEXT) | instid1(VALU_DEP_2)
	v_fmac_f32_e32 v155, v8, v3
	v_fma_f32 v156, v7, v3, -v1
	ds_load_2addr_b64 v[1:4], v21 offset0:93 offset1:94
	ds_load_2addr_b64 v[5:8], v21 offset0:95 offset1:96
	s_wait_loadcnt_dscnt 0x1
	v_mul_f32_e32 v157, v1, v10
	v_mul_f32_e32 v159, v3, v12
	s_delay_alu instid0(VALU_DEP_2) | instskip(NEXT) | instid1(VALU_DEP_2)
	v_fmac_f32_e32 v157, v2, v9
	v_dual_mul_f32 v2, v2, v10 :: v_dual_fmac_f32 v159, v4, v11
	s_delay_alu instid0(VALU_DEP_1) | instskip(SKIP_1) | instid1(VALU_DEP_1)
	v_fma_f32 v158, v1, v9, -v2
	v_mul_f32_e32 v1, v4, v12
	v_fma_f32 v160, v3, v11, -v1
	s_clause 0x1
	scratch_load_b128 v[1:4], off, off offset:328
	scratch_load_b128 v[9:12], off, off offset:344
	s_wait_loadcnt_dscnt 0x100
	v_mul_f32_e32 v161, v5, v2
	v_dual_mul_f32 v2, v6, v2 :: v_dual_mul_f32 v163, v7, v4
	s_delay_alu instid0(VALU_DEP_2) | instskip(NEXT) | instid1(VALU_DEP_2)
	v_fmac_f32_e32 v161, v6, v1
	v_fma_f32 v162, v5, v1, -v2
	v_mul_f32_e32 v1, v8, v4
	s_delay_alu instid0(VALU_DEP_4) | instskip(NEXT) | instid1(VALU_DEP_2)
	v_fmac_f32_e32 v163, v8, v3
	v_fma_f32 v164, v7, v3, -v1
	v_add_f32_e32 v1, 0, v22
	s_delay_alu instid0(VALU_DEP_1) | instskip(NEXT) | instid1(VALU_DEP_1)
	v_add_f32_e32 v1, v1, v23
	v_dual_add_f32 v1, v1, v28 :: v_dual_add_f32 v2, 0, v146
	s_delay_alu instid0(VALU_DEP_1) | instskip(SKIP_2) | instid1(VALU_DEP_1)
	v_dual_add_f32 v1, v1, v29 :: v_dual_add_f32 v2, v2, v147
	scratch_load_b64 v[28:29], off, off offset:424
	v_dual_add_f32 v1, v1, v30 :: v_dual_add_f32 v2, v2, v24
	v_dual_add_f32 v1, v1, v31 :: v_dual_add_f32 v2, v2, v25
	s_delay_alu instid0(VALU_DEP_1) | instskip(NEXT) | instid1(VALU_DEP_2)
	v_add_f32_e32 v6, v1, v13
	v_add_f32_e32 v2, v2, v26
	s_delay_alu instid0(VALU_DEP_1) | instskip(SKIP_2) | instid1(VALU_DEP_1)
	v_add_f32_e32 v5, v2, v148
	scratch_load_b128 v[1:4], off, off offset:360
	v_add_f32_e32 v13, v5, v140
	v_dual_add_f32 v13, v13, v141 :: v_dual_add_f32 v14, v6, v14
	ds_load_2addr_b64 v[5:8], v21 offset0:97 offset1:98
	v_dual_add_f32 v13, v13, v15 :: v_dual_add_f32 v14, v14, v16
	s_delay_alu instid0(VALU_DEP_1) | instskip(SKIP_3) | instid1(VALU_DEP_1)
	v_dual_add_f32 v18, v13, v18 :: v_dual_add_f32 v17, v14, v17
	ds_load_2addr_b64 v[13:16], v21 offset0:99 offset1:100
	v_add_f32_e32 v17, v17, v142
	s_wait_loadcnt_dscnt 0x201
	v_dual_add_f32 v17, v17, v143 :: v_dual_mul_f32 v140, v7, v12
	s_delay_alu instid0(VALU_DEP_1) | instskip(SKIP_1) | instid1(VALU_DEP_2)
	v_dual_mul_f32 v12, v8, v12 :: v_dual_add_f32 v17, v17, v151
	v_add_f32_e32 v18, v18, v19
	v_fma_f32 v142, v7, v11, -v12
	s_delay_alu instid0(VALU_DEP_3) | instskip(NEXT) | instid1(VALU_DEP_1)
	v_dual_add_f32 v23, v17, v152 :: v_dual_fmac_f32 v140, v8, v11
	v_add_f32_e32 v23, v23, v154
	v_mul_f32_e32 v26, v5, v10
	s_delay_alu instid0(VALU_DEP_2) | instskip(NEXT) | instid1(VALU_DEP_2)
	v_dual_mul_f32 v10, v6, v10 :: v_dual_add_f32 v23, v23, v156
	v_fmac_f32_e32 v26, v6, v9
	s_delay_alu instid0(VALU_DEP_2)
	v_fma_f32 v141, v5, v9, -v10
	s_clause 0x1
	scratch_load_b128 v[5:8], off, off offset:376
	scratch_load_b128 v[9:12], off, off offset:392
	v_dual_add_f32 v18, v18, v20 :: v_dual_add_f32 v23, v23, v158
	s_wait_loadcnt_dscnt 0x200
	v_dual_mul_f32 v143, v13, v2 :: v_dual_mul_f32 v146, v15, v4
	s_delay_alu instid0(VALU_DEP_1) | instskip(NEXT) | instid1(VALU_DEP_2)
	v_dual_mul_f32 v4, v16, v4 :: v_dual_fmac_f32 v143, v14, v1
	v_fmac_f32_e32 v146, v16, v3
	s_delay_alu instid0(VALU_DEP_2) | instskip(SKIP_2) | instid1(VALU_DEP_2)
	v_fma_f32 v148, v15, v3, -v4
	v_mul_f32_e32 v2, v14, v2
	v_add_f32_e32 v14, v23, v160
	v_fma_f32 v147, v13, v1, -v2
	ds_load_2addr_b64 v[1:4], v21 offset0:101 offset1:102
	v_add_f32_e32 v22, v18, v149
	scratch_load_b128 v[17:20], off, off offset:408
	v_add_f32_e32 v30, v14, v162
	s_delay_alu instid0(VALU_DEP_1) | instskip(NEXT) | instid1(VALU_DEP_1)
	v_add_f32_e32 v149, v30, v164
	v_add_f32_e32 v141, v149, v141
	s_delay_alu instid0(VALU_DEP_1) | instskip(NEXT) | instid1(VALU_DEP_1)
	v_add_f32_e32 v141, v141, v142
	v_dual_add_f32 v22, v22, v150 :: v_dual_add_f32 v141, v141, v147
	s_delay_alu instid0(VALU_DEP_1) | instskip(NEXT) | instid1(VALU_DEP_1)
	v_dual_add_f32 v22, v22, v153 :: v_dual_add_f32 v141, v141, v148
	v_add_f32_e32 v22, v22, v155
	s_delay_alu instid0(VALU_DEP_1) | instskip(NEXT) | instid1(VALU_DEP_1)
	v_add_f32_e32 v13, v22, v157
	v_add_f32_e32 v22, v13, v159
	ds_load_2addr_b64 v[13:16], v21 offset0:103 offset1:104
	s_wait_loadcnt_dscnt 0x201
	v_mul_f32_e32 v149, v1, v6
	v_mul_f32_e32 v6, v2, v6
	s_delay_alu instid0(VALU_DEP_2)
	v_fmac_f32_e32 v149, v2, v5
	v_add_f32_e32 v31, v22, v161
	ds_load_2addr_b64 v[22:25], v21 offset0:105 offset1:106
	v_fma_f32 v1, v1, v5, -v6
	v_add_f32_e32 v150, v31, v163
	ds_load_b64 v[30:31], v21 offset:856
	v_dual_add_f32 v1, v141, v1 :: v_dual_add_f32 v26, v150, v26
	s_wait_loadcnt_dscnt 0x102
	v_mul_f32_e32 v5, v16, v12
	s_delay_alu instid0(VALU_DEP_2) | instskip(SKIP_2) | instid1(VALU_DEP_4)
	v_add_f32_e32 v26, v26, v140
	v_mul_f32_e32 v140, v3, v8
	v_mul_f32_e32 v8, v4, v8
	v_fma_f32 v5, v15, v11, -v5
	s_delay_alu instid0(VALU_DEP_2) | instskip(SKIP_1) | instid1(VALU_DEP_2)
	v_fma_f32 v2, v3, v7, -v8
	v_mul_f32_e32 v3, v14, v10
	v_dual_add_f32 v1, v1, v2 :: v_dual_add_f32 v26, v26, v143
	s_delay_alu instid0(VALU_DEP_2) | instskip(SKIP_1) | instid1(VALU_DEP_2)
	v_fma_f32 v3, v13, v9, -v3
	v_mul_f32_e32 v143, v15, v12
	v_add_f32_e32 v1, v1, v3
	s_delay_alu instid0(VALU_DEP_2) | instskip(NEXT) | instid1(VALU_DEP_2)
	v_fmac_f32_e32 v143, v16, v11
	v_add_f32_e32 v1, v1, v5
	s_wait_dscnt 0x0
	v_mul_f32_e32 v5, v31, v29
	s_wait_loadcnt 0x0
	v_dual_mul_f32 v3, v25, v20 :: v_dual_add_f32 v26, v26, v146
	v_mul_f32_e32 v147, v22, v18
	v_mul_f32_e32 v142, v13, v10
	;; [unrolled: 1-line block ×3, first 2 shown]
	v_fmac_f32_e32 v140, v4, v7
	v_fma_f32 v3, v24, v19, -v3
	v_add_f32_e32 v4, v26, v149
	v_fmac_f32_e32 v147, v23, v17
	v_fmac_f32_e32 v142, v14, v9
	;; [unrolled: 1-line block ×3, first 2 shown]
	s_delay_alu instid0(VALU_DEP_4) | instskip(SKIP_1) | instid1(VALU_DEP_2)
	v_add_f32_e32 v2, v4, v140
	v_mul_f32_e32 v4, v23, v18
	v_add_f32_e32 v2, v2, v142
	s_delay_alu instid0(VALU_DEP_2) | instskip(SKIP_1) | instid1(VALU_DEP_2)
	v_fma_f32 v4, v22, v17, -v4
	v_mul_f32_e32 v146, v30, v29
	v_dual_add_f32 v2, v2, v143 :: v_dual_add_f32 v1, v1, v4
	s_delay_alu instid0(VALU_DEP_2) | instskip(SKIP_1) | instid1(VALU_DEP_3)
	v_fmac_f32_e32 v146, v31, v28
	v_fma_f32 v4, v30, v28, -v5
	v_add_f32_e32 v2, v2, v147
	s_delay_alu instid0(VALU_DEP_1) | instskip(NEXT) | instid1(VALU_DEP_1)
	v_dual_add_f32 v1, v1, v3 :: v_dual_add_f32 v2, v2, v148
	v_dual_add_f32 v1, v1, v4 :: v_dual_add_f32 v2, v2, v146
	s_delay_alu instid0(VALU_DEP_1)
	v_dual_sub_f32 v1, v144, v1 :: v_dual_sub_f32 v2, v145, v2
	scratch_store_b64 off, v[1:2], off offset:176
	v_cmpx_lt_u32_e32 21, v0
	s_cbranch_execz .LBB53_295
; %bb.294:
	scratch_load_b64 v[1:2], off, off offset:168
	v_mov_b32_e32 v22, v21
	scratch_store_b64 off, v[21:22], off offset:168
	s_wait_loadcnt 0x0
	ds_store_b64 v27, v[1:2]
.LBB53_295:
	s_wait_alu 0xfffe
	s_or_b32 exec_lo, exec_lo, s0
	s_wait_storecnt_dscnt 0x0
	s_barrier_signal -1
	s_barrier_wait -1
	global_inv scope:SCOPE_SE
	s_clause 0x4
	scratch_load_b128 v[5:8], off, off offset:176
	scratch_load_b128 v[1:4], off, off offset:192
	;; [unrolled: 1-line block ×5, first 2 shown]
	ds_load_b128 v[22:25], v21 offset:608
	ds_load_b128 v[28:31], v21 offset:624
	;; [unrolled: 1-line block ×3, first 2 shown]
	scratch_load_b64 v[144:145], off, off offset:168
	s_mov_b32 s0, exec_lo
	s_wait_loadcnt_dscnt 0x502
	v_dual_mul_f32 v26, v23, v6 :: v_dual_mul_f32 v147, v24, v8
	v_mul_f32_e32 v146, v22, v6
	v_mul_f32_e32 v6, v25, v8
	s_wait_loadcnt_dscnt 0x300
	v_mul_f32_e32 v148, v142, v12
	v_fma_f32 v22, v22, v5, -v26
	v_dual_fmac_f32 v147, v25, v7 :: v_dual_fmac_f32 v146, v23, v5
	v_mul_f32_e32 v25, v30, v4
	v_mul_f32_e32 v4, v31, v4
	;; [unrolled: 1-line block ×5, first 2 shown]
	v_fmac_f32_e32 v25, v31, v3
	v_fma_f32 v23, v24, v7, -v6
	ds_load_b128 v[5:8], v21 offset:656
	v_mul_f32_e32 v24, v28, v2
	v_mul_f32_e32 v2, v29, v2
	v_fmac_f32_e32 v26, v141, v9
	v_fmac_f32_e32 v148, v143, v11
	v_fma_f32 v31, v142, v11, -v12
	v_fmac_f32_e32 v24, v29, v1
	v_fma_f32 v29, v30, v3, -v4
	v_fma_f32 v30, v140, v9, -v10
	ds_load_b128 v[9:12], v21 offset:672
	s_wait_loadcnt_dscnt 0x201
	v_dual_mul_f32 v141, v7, v16 :: v_dual_mul_f32 v140, v5, v14
	v_mul_f32_e32 v14, v6, v14
	v_mul_f32_e32 v16, v8, v16
	s_delay_alu instid0(VALU_DEP_3)
	v_fmac_f32_e32 v141, v8, v15
	v_fma_f32 v28, v28, v1, -v2
	scratch_load_b128 v[1:4], off, off offset:256
	v_fmac_f32_e32 v140, v6, v13
	v_fma_f32 v13, v5, v13, -v14
	v_fma_f32 v14, v7, v15, -v16
	s_wait_loadcnt_dscnt 0x200
	v_mul_f32_e32 v15, v9, v18
	v_mul_f32_e32 v16, v10, v18
	;; [unrolled: 1-line block ×4, first 2 shown]
	ds_load_b128 v[5:8], v21 offset:688
	v_fmac_f32_e32 v15, v10, v17
	v_fma_f32 v16, v9, v17, -v16
	v_fmac_f32_e32 v18, v12, v19
	v_fma_f32 v17, v11, v19, -v20
	scratch_load_b128 v[9:12], off, off offset:272
	s_wait_loadcnt_dscnt 0x100
	v_mul_f32_e32 v19, v5, v2
	v_mul_f32_e32 v2, v6, v2
	;; [unrolled: 1-line block ×3, first 2 shown]
	s_delay_alu instid0(VALU_DEP_3) | instskip(NEXT) | instid1(VALU_DEP_3)
	v_dual_mul_f32 v4, v8, v4 :: v_dual_fmac_f32 v19, v6, v1
	v_fma_f32 v142, v5, v1, -v2
	s_delay_alu instid0(VALU_DEP_3) | instskip(NEXT) | instid1(VALU_DEP_3)
	v_fmac_f32_e32 v20, v8, v3
	v_fma_f32 v143, v7, v3, -v4
	ds_load_b128 v[1:4], v21 offset:704
	ds_load_b128 v[5:8], v21 offset:720
	s_wait_loadcnt_dscnt 0x1
	v_mul_f32_e32 v149, v1, v10
	v_mul_f32_e32 v10, v2, v10
	s_delay_alu instid0(VALU_DEP_2) | instskip(NEXT) | instid1(VALU_DEP_2)
	v_dual_mul_f32 v150, v3, v12 :: v_dual_fmac_f32 v149, v2, v9
	v_fma_f32 v151, v1, v9, -v10
	v_mul_f32_e32 v1, v4, v12
	s_delay_alu instid0(VALU_DEP_3) | instskip(NEXT) | instid1(VALU_DEP_2)
	v_fmac_f32_e32 v150, v4, v11
	v_fma_f32 v152, v3, v11, -v1
	s_clause 0x1
	scratch_load_b128 v[1:4], off, off offset:288
	scratch_load_b128 v[9:12], off, off offset:304
	s_wait_loadcnt_dscnt 0x100
	v_mul_f32_e32 v153, v5, v2
	v_dual_mul_f32 v2, v6, v2 :: v_dual_mul_f32 v155, v7, v4
	s_delay_alu instid0(VALU_DEP_2) | instskip(NEXT) | instid1(VALU_DEP_2)
	v_fmac_f32_e32 v153, v6, v1
	v_fma_f32 v154, v5, v1, -v2
	v_mul_f32_e32 v1, v8, v4
	s_delay_alu instid0(VALU_DEP_4) | instskip(NEXT) | instid1(VALU_DEP_2)
	v_fmac_f32_e32 v155, v8, v3
	v_fma_f32 v156, v7, v3, -v1
	ds_load_b128 v[1:4], v21 offset:736
	ds_load_b128 v[5:8], v21 offset:752
	s_wait_loadcnt_dscnt 0x1
	v_mul_f32_e32 v157, v1, v10
	v_mul_f32_e32 v159, v3, v12
	s_delay_alu instid0(VALU_DEP_2) | instskip(NEXT) | instid1(VALU_DEP_2)
	v_fmac_f32_e32 v157, v2, v9
	v_dual_mul_f32 v2, v2, v10 :: v_dual_fmac_f32 v159, v4, v11
	s_delay_alu instid0(VALU_DEP_1) | instskip(SKIP_1) | instid1(VALU_DEP_1)
	v_fma_f32 v158, v1, v9, -v2
	v_mul_f32_e32 v1, v4, v12
	v_fma_f32 v160, v3, v11, -v1
	s_clause 0x1
	scratch_load_b128 v[1:4], off, off offset:320
	scratch_load_b128 v[9:12], off, off offset:336
	s_wait_loadcnt_dscnt 0x100
	v_mul_f32_e32 v161, v5, v2
	v_dual_mul_f32 v2, v6, v2 :: v_dual_mul_f32 v163, v7, v4
	s_delay_alu instid0(VALU_DEP_2) | instskip(NEXT) | instid1(VALU_DEP_2)
	v_fmac_f32_e32 v161, v6, v1
	v_fma_f32 v162, v5, v1, -v2
	v_mul_f32_e32 v1, v8, v4
	s_delay_alu instid0(VALU_DEP_4) | instskip(NEXT) | instid1(VALU_DEP_2)
	v_fmac_f32_e32 v163, v8, v3
	v_fma_f32 v164, v7, v3, -v1
	ds_load_b128 v[1:4], v21 offset:768
	ds_load_b128 v[5:8], v21 offset:784
	s_wait_loadcnt_dscnt 0x1
	v_mul_f32_e32 v165, v1, v10
	v_mul_f32_e32 v167, v3, v12
	s_delay_alu instid0(VALU_DEP_2) | instskip(NEXT) | instid1(VALU_DEP_2)
	v_fmac_f32_e32 v165, v2, v9
	v_dual_mul_f32 v2, v2, v10 :: v_dual_fmac_f32 v167, v4, v11
	s_delay_alu instid0(VALU_DEP_1) | instskip(SKIP_1) | instid1(VALU_DEP_1)
	v_fma_f32 v166, v1, v9, -v2
	v_mul_f32_e32 v1, v4, v12
	v_fma_f32 v168, v3, v11, -v1
	s_clause 0x1
	scratch_load_b128 v[1:4], off, off offset:352
	scratch_load_b128 v[9:12], off, off offset:368
	s_wait_loadcnt_dscnt 0x100
	v_mul_f32_e32 v169, v5, v2
	v_dual_mul_f32 v2, v6, v2 :: v_dual_mul_f32 v171, v7, v4
	s_delay_alu instid0(VALU_DEP_1) | instskip(NEXT) | instid1(VALU_DEP_2)
	v_fma_f32 v170, v5, v1, -v2
	v_dual_fmac_f32 v171, v8, v3 :: v_dual_add_f32 v2, 0, v146
	s_delay_alu instid0(VALU_DEP_1) | instskip(NEXT) | instid1(VALU_DEP_1)
	v_add_f32_e32 v2, v2, v147
	v_add_f32_e32 v2, v2, v24
	s_delay_alu instid0(VALU_DEP_1) | instskip(NEXT) | instid1(VALU_DEP_1)
	v_add_f32_e32 v2, v2, v25
	v_add_f32_e32 v2, v2, v26
	s_delay_alu instid0(VALU_DEP_1) | instskip(NEXT) | instid1(VALU_DEP_1)
	v_add_f32_e32 v2, v2, v148
	v_add_f32_e32 v2, v2, v140
	s_delay_alu instid0(VALU_DEP_1) | instskip(NEXT) | instid1(VALU_DEP_1)
	v_add_f32_e32 v2, v2, v141
	v_add_f32_e32 v5, v2, v15
	s_delay_alu instid0(VALU_DEP_1) | instskip(NEXT) | instid1(VALU_DEP_1)
	v_add_f32_e32 v5, v5, v18
	v_add_f32_e32 v5, v5, v19
	v_fmac_f32_e32 v169, v6, v1
	v_mul_f32_e32 v1, v8, v4
	s_delay_alu instid0(VALU_DEP_1) | instskip(SKIP_1) | instid1(VALU_DEP_1)
	v_fma_f32 v172, v7, v3, -v1
	v_add_f32_e32 v1, 0, v22
	v_add_f32_e32 v1, v1, v23
	s_delay_alu instid0(VALU_DEP_1) | instskip(NEXT) | instid1(VALU_DEP_1)
	v_add_f32_e32 v1, v1, v28
	v_add_f32_e32 v1, v1, v29
	s_delay_alu instid0(VALU_DEP_1) | instskip(NEXT) | instid1(VALU_DEP_1)
	;; [unrolled: 3-line block ×3, first 2 shown]
	v_add_f32_e32 v1, v1, v13
	v_add_f32_e32 v1, v1, v14
	;; [unrolled: 1-line block ×3, first 2 shown]
	s_delay_alu instid0(VALU_DEP_1) | instskip(NEXT) | instid1(VALU_DEP_1)
	v_dual_add_f32 v1, v1, v16 :: v_dual_add_f32 v14, v14, v149
	v_add_f32_e32 v6, v1, v17
	ds_load_b128 v[1:4], v21 offset:800
	v_add_f32_e32 v14, v14, v150
	v_add_f32_e32 v6, v6, v142
	s_delay_alu instid0(VALU_DEP_2) | instskip(NEXT) | instid1(VALU_DEP_2)
	v_add_f32_e32 v17, v14, v153
	v_add_f32_e32 v13, v6, v143
	ds_load_b128 v[5:8], v21 offset:816
	s_wait_loadcnt_dscnt 0x1
	v_dual_mul_f32 v26, v3, v12 :: v_dual_mul_f32 v25, v1, v10
	v_mul_f32_e32 v10, v2, v10
	v_mul_f32_e32 v12, v4, v12
	s_delay_alu instid0(VALU_DEP_3) | instskip(NEXT) | instid1(VALU_DEP_3)
	v_dual_fmac_f32 v26, v4, v11 :: v_dual_fmac_f32 v25, v2, v9
	v_fma_f32 v28, v1, v9, -v10
	s_delay_alu instid0(VALU_DEP_3)
	v_fma_f32 v29, v3, v11, -v12
	s_clause 0x1
	scratch_load_b128 v[1:4], off, off offset:384
	scratch_load_b128 v[9:12], off, off offset:400
	s_wait_loadcnt_dscnt 0x100
	v_mul_f32_e32 v140, v5, v2
	v_add_f32_e32 v13, v13, v151
	v_dual_mul_f32 v141, v7, v4 :: v_dual_mul_f32 v2, v6, v2
	v_mul_f32_e32 v4, v8, v4
	s_delay_alu instid0(VALU_DEP_3) | instskip(NEXT) | instid1(VALU_DEP_3)
	v_dual_fmac_f32 v140, v6, v1 :: v_dual_add_f32 v13, v13, v152
	v_fma_f32 v2, v5, v1, -v2
	s_delay_alu instid0(VALU_DEP_2) | instskip(NEXT) | instid1(VALU_DEP_1)
	v_add_f32_e32 v13, v13, v154
	v_add_f32_e32 v18, v13, v156
	scratch_load_b128 v[13:16], off, off offset:416
	v_add_f32_e32 v18, v18, v158
	s_delay_alu instid0(VALU_DEP_1) | instskip(NEXT) | instid1(VALU_DEP_1)
	v_add_f32_e32 v18, v18, v160
	v_dual_add_f32 v22, v18, v162 :: v_dual_add_f32 v17, v17, v155
	s_delay_alu instid0(VALU_DEP_1) | instskip(NEXT) | instid1(VALU_DEP_1)
	v_dual_add_f32 v30, v22, v164 :: v_dual_add_f32 v17, v17, v157
	v_dual_add_f32 v30, v30, v166 :: v_dual_add_f32 v17, v17, v159
	s_delay_alu instid0(VALU_DEP_1) | instskip(SKIP_4) | instid1(VALU_DEP_1)
	v_dual_add_f32 v30, v30, v168 :: v_dual_add_f32 v23, v17, v161
	ds_load_b128 v[17:20], v21 offset:832
	v_dual_add_f32 v30, v30, v170 :: v_dual_add_f32 v31, v23, v163
	ds_load_b128 v[21:24], v21 offset:848
	v_add_f32_e32 v30, v30, v172
	v_add_f32_e32 v28, v30, v28
	s_wait_loadcnt_dscnt 0x101
	s_delay_alu instid0(VALU_DEP_1) | instskip(SKIP_4) | instid1(VALU_DEP_4)
	v_dual_add_f32 v1, v28, v29 :: v_dual_mul_f32 v142, v17, v10
	v_add_f32_e32 v31, v31, v165
	v_fmac_f32_e32 v141, v8, v3
	v_fma_f32 v3, v7, v3, -v4
	v_mul_f32_e32 v4, v20, v12
	v_dual_fmac_f32 v142, v18, v9 :: v_dual_add_f32 v31, v31, v167
	v_dual_mul_f32 v143, v19, v12 :: v_dual_mul_f32 v6, v18, v10
	s_delay_alu instid0(VALU_DEP_3) | instskip(SKIP_1) | instid1(VALU_DEP_4)
	v_fma_f32 v4, v19, v11, -v4
	v_add_f32_e32 v1, v1, v2
	v_add_f32_e32 v31, v31, v169
	s_delay_alu instid0(VALU_DEP_1) | instskip(NEXT) | instid1(VALU_DEP_1)
	v_add_f32_e32 v31, v31, v171
	v_add_f32_e32 v25, v31, v25
	s_delay_alu instid0(VALU_DEP_1) | instskip(NEXT) | instid1(VALU_DEP_1)
	v_add_f32_e32 v5, v25, v26
	v_add_f32_e32 v2, v5, v140
	v_fma_f32 v5, v17, v9, -v6
	s_delay_alu instid0(VALU_DEP_2) | instskip(NEXT) | instid1(VALU_DEP_1)
	v_dual_add_f32 v2, v2, v141 :: v_dual_add_f32 v1, v1, v3
	v_add_f32_e32 v2, v2, v142
	s_wait_loadcnt_dscnt 0x0
	v_mul_f32_e32 v30, v23, v16
	v_dual_mul_f32 v146, v21, v14 :: v_dual_fmac_f32 v143, v20, v11
	s_delay_alu instid0(VALU_DEP_2) | instskip(NEXT) | instid1(VALU_DEP_2)
	v_dual_mul_f32 v3, v22, v14 :: v_dual_fmac_f32 v30, v24, v15
	v_fmac_f32_e32 v146, v22, v13
	s_delay_alu instid0(VALU_DEP_3) | instskip(SKIP_1) | instid1(VALU_DEP_4)
	v_dual_add_f32 v1, v1, v5 :: v_dual_add_f32 v2, v2, v143
	v_mul_f32_e32 v5, v24, v16
	v_fma_f32 v3, v21, v13, -v3
	s_delay_alu instid0(VALU_DEP_3) | instskip(NEXT) | instid1(VALU_DEP_3)
	v_dual_add_f32 v2, v2, v146 :: v_dual_add_f32 v1, v1, v4
	v_fma_f32 v4, v23, v15, -v5
	s_delay_alu instid0(VALU_DEP_2) | instskip(NEXT) | instid1(VALU_DEP_1)
	v_dual_add_f32 v2, v2, v30 :: v_dual_add_f32 v1, v1, v3
	v_sub_f32_e32 v2, v145, v2
	s_delay_alu instid0(VALU_DEP_2) | instskip(NEXT) | instid1(VALU_DEP_1)
	v_add_f32_e32 v1, v1, v4
	v_sub_f32_e32 v1, v144, v1
	scratch_store_b64 off, v[1:2], off offset:168
	v_cmpx_lt_u32_e32 20, v0
	s_cbranch_execz .LBB53_297
; %bb.296:
	scratch_load_b64 v[1:2], off, off offset:160
	v_mov_b32_e32 v3, 0
	s_delay_alu instid0(VALU_DEP_1)
	v_mov_b32_e32 v4, v3
	scratch_store_b64 off, v[3:4], off offset:160
	s_wait_loadcnt 0x0
	ds_store_b64 v27, v[1:2]
.LBB53_297:
	s_wait_alu 0xfffe
	s_or_b32 exec_lo, exec_lo, s0
	s_wait_storecnt_dscnt 0x0
	s_barrier_signal -1
	s_barrier_wait -1
	global_inv scope:SCOPE_SE
	s_clause 0x4
	scratch_load_b128 v[5:8], off, off offset:168
	scratch_load_b128 v[1:4], off, off offset:184
	;; [unrolled: 1-line block ×5, first 2 shown]
	v_mov_b32_e32 v21, 0
	ds_load_2addr_b64 v[22:25], v21 offset0:75 offset1:76
	ds_load_2addr_b64 v[28:31], v21 offset0:77 offset1:78
	;; [unrolled: 1-line block ×3, first 2 shown]
	scratch_load_b64 v[144:145], off, off offset:160
	s_mov_b32 s0, exec_lo
	s_wait_loadcnt_dscnt 0x502
	v_dual_mul_f32 v146, v22, v6 :: v_dual_mul_f32 v147, v24, v8
	v_mul_f32_e32 v26, v23, v6
	v_mul_f32_e32 v6, v25, v8
	s_wait_loadcnt_dscnt 0x300
	v_mul_f32_e32 v148, v142, v12
	v_dual_fmac_f32 v146, v23, v5 :: v_dual_fmac_f32 v147, v25, v7
	v_mul_f32_e32 v25, v30, v4
	v_fma_f32 v22, v22, v5, -v26
	v_mul_f32_e32 v26, v140, v10
	v_mul_f32_e32 v4, v31, v4
	s_delay_alu instid0(VALU_DEP_4)
	v_dual_mul_f32 v10, v141, v10 :: v_dual_fmac_f32 v25, v31, v3
	v_fma_f32 v23, v24, v7, -v6
	ds_load_2addr_b64 v[5:8], v21 offset0:81 offset1:82
	v_mul_f32_e32 v24, v28, v2
	v_mul_f32_e32 v12, v143, v12
	;; [unrolled: 1-line block ×3, first 2 shown]
	v_fmac_f32_e32 v26, v141, v9
	v_fmac_f32_e32 v148, v143, v11
	v_fmac_f32_e32 v24, v29, v1
	v_fma_f32 v29, v30, v3, -v4
	v_fma_f32 v30, v140, v9, -v10
	;; [unrolled: 1-line block ×3, first 2 shown]
	ds_load_2addr_b64 v[9:12], v21 offset0:83 offset1:84
	s_wait_loadcnt_dscnt 0x201
	v_dual_mul_f32 v141, v7, v16 :: v_dual_mul_f32 v140, v5, v14
	v_mul_f32_e32 v14, v6, v14
	v_mul_f32_e32 v16, v8, v16
	s_delay_alu instid0(VALU_DEP_3)
	v_fmac_f32_e32 v141, v8, v15
	v_fma_f32 v28, v28, v1, -v2
	scratch_load_b128 v[1:4], off, off offset:248
	v_fmac_f32_e32 v140, v6, v13
	v_fma_f32 v13, v5, v13, -v14
	v_fma_f32 v14, v7, v15, -v16
	s_wait_loadcnt_dscnt 0x200
	v_mul_f32_e32 v15, v9, v18
	v_mul_f32_e32 v16, v10, v18
	;; [unrolled: 1-line block ×4, first 2 shown]
	ds_load_2addr_b64 v[5:8], v21 offset0:85 offset1:86
	v_fmac_f32_e32 v15, v10, v17
	v_fma_f32 v16, v9, v17, -v16
	v_fmac_f32_e32 v18, v12, v19
	v_fma_f32 v17, v11, v19, -v20
	scratch_load_b128 v[9:12], off, off offset:264
	s_wait_loadcnt_dscnt 0x100
	v_mul_f32_e32 v19, v5, v2
	v_mul_f32_e32 v2, v6, v2
	v_mul_f32_e32 v20, v7, v4
	s_delay_alu instid0(VALU_DEP_3) | instskip(NEXT) | instid1(VALU_DEP_3)
	v_dual_mul_f32 v4, v8, v4 :: v_dual_fmac_f32 v19, v6, v1
	v_fma_f32 v142, v5, v1, -v2
	s_delay_alu instid0(VALU_DEP_3) | instskip(NEXT) | instid1(VALU_DEP_3)
	v_fmac_f32_e32 v20, v8, v3
	v_fma_f32 v143, v7, v3, -v4
	ds_load_2addr_b64 v[1:4], v21 offset0:87 offset1:88
	ds_load_2addr_b64 v[5:8], v21 offset0:89 offset1:90
	s_wait_loadcnt_dscnt 0x1
	v_mul_f32_e32 v149, v1, v10
	v_mul_f32_e32 v10, v2, v10
	s_delay_alu instid0(VALU_DEP_2) | instskip(NEXT) | instid1(VALU_DEP_2)
	v_dual_mul_f32 v150, v3, v12 :: v_dual_fmac_f32 v149, v2, v9
	v_fma_f32 v151, v1, v9, -v10
	v_mul_f32_e32 v1, v4, v12
	s_delay_alu instid0(VALU_DEP_3) | instskip(NEXT) | instid1(VALU_DEP_2)
	v_fmac_f32_e32 v150, v4, v11
	v_fma_f32 v152, v3, v11, -v1
	s_clause 0x1
	scratch_load_b128 v[1:4], off, off offset:280
	scratch_load_b128 v[9:12], off, off offset:296
	s_wait_loadcnt_dscnt 0x100
	v_mul_f32_e32 v153, v5, v2
	v_dual_mul_f32 v2, v6, v2 :: v_dual_mul_f32 v155, v7, v4
	s_delay_alu instid0(VALU_DEP_2) | instskip(NEXT) | instid1(VALU_DEP_2)
	v_fmac_f32_e32 v153, v6, v1
	v_fma_f32 v154, v5, v1, -v2
	v_mul_f32_e32 v1, v8, v4
	s_delay_alu instid0(VALU_DEP_4) | instskip(NEXT) | instid1(VALU_DEP_2)
	v_fmac_f32_e32 v155, v8, v3
	v_fma_f32 v156, v7, v3, -v1
	ds_load_2addr_b64 v[1:4], v21 offset0:91 offset1:92
	ds_load_2addr_b64 v[5:8], v21 offset0:93 offset1:94
	s_wait_loadcnt_dscnt 0x1
	v_mul_f32_e32 v157, v1, v10
	v_mul_f32_e32 v159, v3, v12
	s_delay_alu instid0(VALU_DEP_2) | instskip(NEXT) | instid1(VALU_DEP_2)
	v_fmac_f32_e32 v157, v2, v9
	v_dual_mul_f32 v2, v2, v10 :: v_dual_fmac_f32 v159, v4, v11
	s_delay_alu instid0(VALU_DEP_1) | instskip(SKIP_1) | instid1(VALU_DEP_1)
	v_fma_f32 v158, v1, v9, -v2
	v_mul_f32_e32 v1, v4, v12
	v_fma_f32 v160, v3, v11, -v1
	s_clause 0x1
	scratch_load_b128 v[1:4], off, off offset:312
	scratch_load_b128 v[9:12], off, off offset:328
	s_wait_loadcnt_dscnt 0x100
	v_mul_f32_e32 v161, v5, v2
	v_dual_mul_f32 v2, v6, v2 :: v_dual_mul_f32 v163, v7, v4
	s_delay_alu instid0(VALU_DEP_2) | instskip(NEXT) | instid1(VALU_DEP_2)
	v_fmac_f32_e32 v161, v6, v1
	v_fma_f32 v162, v5, v1, -v2
	v_mul_f32_e32 v1, v8, v4
	s_delay_alu instid0(VALU_DEP_4) | instskip(NEXT) | instid1(VALU_DEP_2)
	v_fmac_f32_e32 v163, v8, v3
	v_fma_f32 v164, v7, v3, -v1
	ds_load_2addr_b64 v[1:4], v21 offset0:95 offset1:96
	ds_load_2addr_b64 v[5:8], v21 offset0:97 offset1:98
	s_wait_loadcnt_dscnt 0x1
	v_mul_f32_e32 v165, v1, v10
	v_mul_f32_e32 v167, v3, v12
	s_delay_alu instid0(VALU_DEP_2) | instskip(NEXT) | instid1(VALU_DEP_2)
	v_fmac_f32_e32 v165, v2, v9
	v_dual_mul_f32 v2, v2, v10 :: v_dual_fmac_f32 v167, v4, v11
	s_delay_alu instid0(VALU_DEP_1) | instskip(SKIP_1) | instid1(VALU_DEP_1)
	v_fma_f32 v166, v1, v9, -v2
	v_mul_f32_e32 v1, v4, v12
	v_fma_f32 v168, v3, v11, -v1
	s_clause 0x1
	scratch_load_b128 v[1:4], off, off offset:344
	scratch_load_b128 v[9:12], off, off offset:360
	s_wait_loadcnt_dscnt 0x100
	v_mul_f32_e32 v169, v5, v2
	v_dual_mul_f32 v2, v6, v2 :: v_dual_mul_f32 v171, v7, v4
	s_delay_alu instid0(VALU_DEP_1) | instskip(SKIP_1) | instid1(VALU_DEP_1)
	v_fma_f32 v170, v5, v1, -v2
	v_add_f32_e32 v2, 0, v146
	v_add_f32_e32 v2, v2, v147
	s_delay_alu instid0(VALU_DEP_1) | instskip(NEXT) | instid1(VALU_DEP_1)
	v_dual_fmac_f32 v171, v8, v3 :: v_dual_add_f32 v2, v2, v24
	v_add_f32_e32 v2, v2, v25
	s_delay_alu instid0(VALU_DEP_1) | instskip(NEXT) | instid1(VALU_DEP_1)
	v_add_f32_e32 v2, v2, v26
	v_add_f32_e32 v2, v2, v148
	s_delay_alu instid0(VALU_DEP_1) | instskip(NEXT) | instid1(VALU_DEP_1)
	v_add_f32_e32 v2, v2, v140
	;; [unrolled: 3-line block ×3, first 2 shown]
	v_add_f32_e32 v5, v5, v18
	s_delay_alu instid0(VALU_DEP_1) | instskip(SKIP_2) | instid1(VALU_DEP_1)
	v_add_f32_e32 v5, v5, v19
	v_fmac_f32_e32 v169, v6, v1
	v_mul_f32_e32 v1, v8, v4
	v_fma_f32 v172, v7, v3, -v1
	v_add_f32_e32 v1, 0, v22
	s_delay_alu instid0(VALU_DEP_1) | instskip(NEXT) | instid1(VALU_DEP_1)
	v_add_f32_e32 v1, v1, v23
	v_add_f32_e32 v1, v1, v28
	s_delay_alu instid0(VALU_DEP_1) | instskip(SKIP_2) | instid1(VALU_DEP_1)
	v_add_f32_e32 v1, v1, v29
	scratch_load_b64 v[28:29], off, off offset:424
	v_add_f32_e32 v1, v1, v30
	v_add_f32_e32 v1, v1, v31
	s_delay_alu instid0(VALU_DEP_1) | instskip(NEXT) | instid1(VALU_DEP_1)
	v_add_f32_e32 v1, v1, v13
	v_add_f32_e32 v1, v1, v14
	;; [unrolled: 1-line block ×3, first 2 shown]
	s_delay_alu instid0(VALU_DEP_1) | instskip(NEXT) | instid1(VALU_DEP_1)
	v_dual_add_f32 v1, v1, v16 :: v_dual_add_f32 v14, v14, v149
	v_add_f32_e32 v6, v1, v17
	ds_load_2addr_b64 v[1:4], v21 offset0:99 offset1:100
	v_add_f32_e32 v14, v14, v150
	v_add_f32_e32 v6, v6, v142
	s_delay_alu instid0(VALU_DEP_1)
	v_add_f32_e32 v13, v6, v143
	ds_load_2addr_b64 v[5:8], v21 offset0:101 offset1:102
	s_wait_loadcnt_dscnt 0x101
	v_mul_f32_e32 v26, v1, v10
	v_dual_add_f32 v13, v13, v151 :: v_dual_mul_f32 v10, v2, v10
	v_mul_f32_e32 v140, v3, v12
	v_mul_f32_e32 v12, v4, v12
	s_delay_alu instid0(VALU_DEP_3) | instskip(NEXT) | instid1(VALU_DEP_4)
	v_dual_fmac_f32 v26, v2, v9 :: v_dual_add_f32 v13, v13, v152
	v_fma_f32 v141, v1, v9, -v10
	s_delay_alu instid0(VALU_DEP_4) | instskip(NEXT) | instid1(VALU_DEP_4)
	v_fmac_f32_e32 v140, v4, v11
	v_fma_f32 v142, v3, v11, -v12
	s_clause 0x1
	scratch_load_b128 v[1:4], off, off offset:376
	scratch_load_b128 v[9:12], off, off offset:392
	v_add_f32_e32 v13, v13, v154
	s_delay_alu instid0(VALU_DEP_1) | instskip(SKIP_2) | instid1(VALU_DEP_1)
	v_dual_add_f32 v17, v14, v153 :: v_dual_add_f32 v18, v13, v156
	scratch_load_b128 v[13:16], off, off offset:408
	v_add_f32_e32 v18, v18, v158
	v_dual_add_f32 v18, v18, v160 :: v_dual_add_f32 v17, v17, v155
	s_delay_alu instid0(VALU_DEP_1) | instskip(NEXT) | instid1(VALU_DEP_1)
	v_dual_add_f32 v18, v18, v162 :: v_dual_add_f32 v17, v17, v157
	v_dual_add_f32 v18, v18, v164 :: v_dual_add_f32 v17, v17, v159
	s_delay_alu instid0(VALU_DEP_1) | instskip(NEXT) | instid1(VALU_DEP_1)
	v_dual_add_f32 v30, v18, v166 :: v_dual_add_f32 v17, v17, v161
	v_dual_add_f32 v143, v30, v168 :: v_dual_add_f32 v22, v17, v163
	ds_load_2addr_b64 v[17:20], v21 offset0:103 offset1:104
	v_add_f32_e32 v31, v22, v165
	ds_load_2addr_b64 v[22:25], v21 offset0:105 offset1:106
	s_wait_loadcnt_dscnt 0x202
	v_mul_f32_e32 v148, v7, v4
	v_add_f32_e32 v146, v31, v167
	v_add_f32_e32 v143, v143, v170
	ds_load_b64 v[30:31], v21 offset:856
	v_fmac_f32_e32 v148, v8, v3
	v_dual_add_f32 v146, v146, v169 :: v_dual_mul_f32 v147, v5, v2
	v_dual_add_f32 v143, v143, v172 :: v_dual_mul_f32 v2, v6, v2
	v_mul_f32_e32 v4, v8, v4
	s_delay_alu instid0(VALU_DEP_3) | instskip(NEXT) | instid1(VALU_DEP_4)
	v_add_f32_e32 v146, v146, v171
	v_fmac_f32_e32 v147, v6, v1
	s_delay_alu instid0(VALU_DEP_4)
	v_add_f32_e32 v141, v143, v141
	v_fma_f32 v2, v5, v1, -v2
	s_wait_loadcnt_dscnt 0x102
	v_dual_mul_f32 v5, v20, v12 :: v_dual_add_f32 v26, v146, v26
	v_dual_mul_f32 v143, v17, v10 :: v_dual_mul_f32 v146, v19, v12
	v_add_f32_e32 v141, v141, v142
	v_fma_f32 v1, v7, v3, -v4
	s_delay_alu instid0(VALU_DEP_4) | instskip(NEXT) | instid1(VALU_DEP_4)
	v_add_f32_e32 v26, v26, v140
	v_fmac_f32_e32 v143, v18, v9
	v_fma_f32 v5, v19, v11, -v5
	v_add_f32_e32 v2, v141, v2
	s_wait_loadcnt_dscnt 0x1
	v_dual_mul_f32 v149, v22, v14 :: v_dual_mul_f32 v142, v24, v16
	v_add_f32_e32 v4, v26, v147
	v_mul_f32_e32 v3, v18, v10
	v_dual_add_f32 v1, v2, v1 :: v_dual_fmac_f32 v146, v20, v11
	s_delay_alu instid0(VALU_DEP_3) | instskip(NEXT) | instid1(VALU_DEP_3)
	v_dual_fmac_f32 v149, v23, v13 :: v_dual_add_f32 v2, v4, v148
	v_fma_f32 v3, v17, v9, -v3
	v_mul_f32_e32 v4, v23, v14
	s_wait_dscnt 0x0
	s_delay_alu instid0(VALU_DEP_2) | instskip(SKIP_1) | instid1(VALU_DEP_3)
	v_dual_mul_f32 v140, v30, v29 :: v_dual_add_f32 v1, v1, v3
	v_dual_add_f32 v2, v2, v143 :: v_dual_mul_f32 v3, v25, v16
	v_fma_f32 v4, v22, v13, -v4
	s_delay_alu instid0(VALU_DEP_2) | instskip(SKIP_1) | instid1(VALU_DEP_4)
	v_dual_add_f32 v1, v1, v5 :: v_dual_add_f32 v2, v2, v146
	v_mul_f32_e32 v5, v31, v29
	v_fma_f32 v3, v24, v15, -v3
	s_delay_alu instid0(VALU_DEP_3) | instskip(SKIP_1) | instid1(VALU_DEP_4)
	v_dual_add_f32 v1, v1, v4 :: v_dual_add_f32 v2, v2, v149
	v_fmac_f32_e32 v140, v31, v28
	v_fma_f32 v4, v30, v28, -v5
	s_delay_alu instid0(VALU_DEP_3) | instskip(NEXT) | instid1(VALU_DEP_1)
	v_add_f32_e32 v1, v1, v3
	v_add_f32_e32 v1, v1, v4
	s_delay_alu instid0(VALU_DEP_1) | instskip(NEXT) | instid1(VALU_DEP_1)
	v_dual_fmac_f32 v142, v25, v15 :: v_dual_sub_f32 v1, v144, v1
	v_add_f32_e32 v2, v2, v142
	s_delay_alu instid0(VALU_DEP_1) | instskip(NEXT) | instid1(VALU_DEP_1)
	v_add_f32_e32 v2, v2, v140
	v_sub_f32_e32 v2, v145, v2
	scratch_store_b64 off, v[1:2], off offset:160
	v_cmpx_lt_u32_e32 19, v0
	s_cbranch_execz .LBB53_299
; %bb.298:
	scratch_load_b64 v[1:2], off, off offset:152
	v_mov_b32_e32 v22, v21
	scratch_store_b64 off, v[21:22], off offset:152
	s_wait_loadcnt 0x0
	ds_store_b64 v27, v[1:2]
.LBB53_299:
	s_wait_alu 0xfffe
	s_or_b32 exec_lo, exec_lo, s0
	s_wait_storecnt_dscnt 0x0
	s_barrier_signal -1
	s_barrier_wait -1
	global_inv scope:SCOPE_SE
	s_clause 0x4
	scratch_load_b128 v[5:8], off, off offset:160
	scratch_load_b128 v[1:4], off, off offset:176
	;; [unrolled: 1-line block ×5, first 2 shown]
	ds_load_b128 v[22:25], v21 offset:592
	ds_load_b128 v[28:31], v21 offset:608
	;; [unrolled: 1-line block ×3, first 2 shown]
	scratch_load_b64 v[144:145], off, off offset:152
	s_mov_b32 s0, exec_lo
	s_wait_loadcnt_dscnt 0x502
	v_dual_mul_f32 v26, v23, v6 :: v_dual_mul_f32 v147, v24, v8
	v_mul_f32_e32 v146, v22, v6
	v_mul_f32_e32 v6, v25, v8
	s_wait_loadcnt_dscnt 0x300
	v_mul_f32_e32 v148, v142, v12
	v_fma_f32 v22, v22, v5, -v26
	v_dual_fmac_f32 v147, v25, v7 :: v_dual_fmac_f32 v146, v23, v5
	v_mul_f32_e32 v25, v30, v4
	v_mul_f32_e32 v4, v31, v4
	;; [unrolled: 1-line block ×5, first 2 shown]
	v_fmac_f32_e32 v25, v31, v3
	v_fma_f32 v23, v24, v7, -v6
	ds_load_b128 v[5:8], v21 offset:640
	v_mul_f32_e32 v24, v28, v2
	v_mul_f32_e32 v2, v29, v2
	v_fmac_f32_e32 v26, v141, v9
	v_fmac_f32_e32 v148, v143, v11
	v_fma_f32 v31, v142, v11, -v12
	v_fmac_f32_e32 v24, v29, v1
	v_fma_f32 v29, v30, v3, -v4
	v_fma_f32 v30, v140, v9, -v10
	ds_load_b128 v[9:12], v21 offset:656
	s_wait_loadcnt_dscnt 0x201
	v_dual_mul_f32 v141, v7, v16 :: v_dual_mul_f32 v140, v5, v14
	v_mul_f32_e32 v14, v6, v14
	v_mul_f32_e32 v16, v8, v16
	s_delay_alu instid0(VALU_DEP_3)
	v_fmac_f32_e32 v141, v8, v15
	v_fma_f32 v28, v28, v1, -v2
	scratch_load_b128 v[1:4], off, off offset:240
	v_fmac_f32_e32 v140, v6, v13
	v_fma_f32 v13, v5, v13, -v14
	v_fma_f32 v14, v7, v15, -v16
	s_wait_loadcnt_dscnt 0x200
	v_mul_f32_e32 v15, v9, v18
	v_mul_f32_e32 v16, v10, v18
	;; [unrolled: 1-line block ×4, first 2 shown]
	ds_load_b128 v[5:8], v21 offset:672
	v_fmac_f32_e32 v15, v10, v17
	v_fma_f32 v16, v9, v17, -v16
	v_fmac_f32_e32 v18, v12, v19
	v_fma_f32 v17, v11, v19, -v20
	scratch_load_b128 v[9:12], off, off offset:256
	s_wait_loadcnt_dscnt 0x100
	v_mul_f32_e32 v19, v5, v2
	v_mul_f32_e32 v2, v6, v2
	;; [unrolled: 1-line block ×3, first 2 shown]
	s_delay_alu instid0(VALU_DEP_3) | instskip(NEXT) | instid1(VALU_DEP_3)
	v_dual_mul_f32 v4, v8, v4 :: v_dual_fmac_f32 v19, v6, v1
	v_fma_f32 v142, v5, v1, -v2
	s_delay_alu instid0(VALU_DEP_3) | instskip(NEXT) | instid1(VALU_DEP_3)
	v_fmac_f32_e32 v20, v8, v3
	v_fma_f32 v143, v7, v3, -v4
	ds_load_b128 v[1:4], v21 offset:688
	ds_load_b128 v[5:8], v21 offset:704
	s_wait_loadcnt_dscnt 0x1
	v_mul_f32_e32 v149, v1, v10
	v_mul_f32_e32 v10, v2, v10
	s_delay_alu instid0(VALU_DEP_2) | instskip(NEXT) | instid1(VALU_DEP_2)
	v_dual_mul_f32 v150, v3, v12 :: v_dual_fmac_f32 v149, v2, v9
	v_fma_f32 v151, v1, v9, -v10
	v_mul_f32_e32 v1, v4, v12
	s_delay_alu instid0(VALU_DEP_3) | instskip(NEXT) | instid1(VALU_DEP_2)
	v_fmac_f32_e32 v150, v4, v11
	v_fma_f32 v152, v3, v11, -v1
	s_clause 0x1
	scratch_load_b128 v[1:4], off, off offset:272
	scratch_load_b128 v[9:12], off, off offset:288
	s_wait_loadcnt_dscnt 0x100
	v_mul_f32_e32 v153, v5, v2
	v_dual_mul_f32 v2, v6, v2 :: v_dual_mul_f32 v155, v7, v4
	s_delay_alu instid0(VALU_DEP_2) | instskip(NEXT) | instid1(VALU_DEP_2)
	v_fmac_f32_e32 v153, v6, v1
	v_fma_f32 v154, v5, v1, -v2
	v_mul_f32_e32 v1, v8, v4
	s_delay_alu instid0(VALU_DEP_4) | instskip(NEXT) | instid1(VALU_DEP_2)
	v_fmac_f32_e32 v155, v8, v3
	v_fma_f32 v156, v7, v3, -v1
	ds_load_b128 v[1:4], v21 offset:720
	ds_load_b128 v[5:8], v21 offset:736
	s_wait_loadcnt_dscnt 0x1
	v_mul_f32_e32 v157, v1, v10
	v_mul_f32_e32 v159, v3, v12
	s_delay_alu instid0(VALU_DEP_2) | instskip(NEXT) | instid1(VALU_DEP_2)
	v_fmac_f32_e32 v157, v2, v9
	v_dual_mul_f32 v2, v2, v10 :: v_dual_fmac_f32 v159, v4, v11
	s_delay_alu instid0(VALU_DEP_1) | instskip(SKIP_1) | instid1(VALU_DEP_1)
	v_fma_f32 v158, v1, v9, -v2
	v_mul_f32_e32 v1, v4, v12
	v_fma_f32 v160, v3, v11, -v1
	s_clause 0x1
	scratch_load_b128 v[1:4], off, off offset:304
	scratch_load_b128 v[9:12], off, off offset:320
	s_wait_loadcnt_dscnt 0x100
	v_mul_f32_e32 v161, v5, v2
	v_dual_mul_f32 v2, v6, v2 :: v_dual_mul_f32 v163, v7, v4
	s_delay_alu instid0(VALU_DEP_2) | instskip(NEXT) | instid1(VALU_DEP_2)
	v_fmac_f32_e32 v161, v6, v1
	v_fma_f32 v162, v5, v1, -v2
	v_mul_f32_e32 v1, v8, v4
	s_delay_alu instid0(VALU_DEP_4) | instskip(NEXT) | instid1(VALU_DEP_2)
	v_fmac_f32_e32 v163, v8, v3
	v_fma_f32 v164, v7, v3, -v1
	ds_load_b128 v[1:4], v21 offset:752
	ds_load_b128 v[5:8], v21 offset:768
	s_wait_loadcnt_dscnt 0x1
	v_mul_f32_e32 v165, v1, v10
	v_mul_f32_e32 v167, v3, v12
	s_delay_alu instid0(VALU_DEP_2) | instskip(NEXT) | instid1(VALU_DEP_2)
	v_fmac_f32_e32 v165, v2, v9
	v_dual_mul_f32 v2, v2, v10 :: v_dual_fmac_f32 v167, v4, v11
	s_delay_alu instid0(VALU_DEP_1) | instskip(SKIP_1) | instid1(VALU_DEP_1)
	v_fma_f32 v166, v1, v9, -v2
	v_mul_f32_e32 v1, v4, v12
	v_fma_f32 v168, v3, v11, -v1
	s_clause 0x1
	scratch_load_b128 v[1:4], off, off offset:336
	scratch_load_b128 v[9:12], off, off offset:352
	s_wait_loadcnt_dscnt 0x100
	v_mul_f32_e32 v169, v5, v2
	v_dual_mul_f32 v2, v6, v2 :: v_dual_mul_f32 v171, v7, v4
	s_delay_alu instid0(VALU_DEP_1) | instskip(NEXT) | instid1(VALU_DEP_2)
	v_fma_f32 v170, v5, v1, -v2
	v_dual_fmac_f32 v171, v8, v3 :: v_dual_add_f32 v2, 0, v146
	s_delay_alu instid0(VALU_DEP_1) | instskip(SKIP_1) | instid1(VALU_DEP_2)
	v_add_f32_e32 v2, v2, v147
	v_fmac_f32_e32 v169, v6, v1
	v_add_f32_e32 v2, v2, v24
	s_delay_alu instid0(VALU_DEP_1) | instskip(NEXT) | instid1(VALU_DEP_1)
	v_dual_mul_f32 v1, v8, v4 :: v_dual_add_f32 v2, v2, v25
	v_fma_f32 v172, v7, v3, -v1
	s_delay_alu instid0(VALU_DEP_2) | instskip(NEXT) | instid1(VALU_DEP_1)
	v_add_f32_e32 v2, v2, v26
	v_dual_add_f32 v1, 0, v22 :: v_dual_add_f32 v2, v2, v148
	s_delay_alu instid0(VALU_DEP_1) | instskip(NEXT) | instid1(VALU_DEP_1)
	v_dual_add_f32 v1, v1, v23 :: v_dual_add_f32 v2, v2, v140
	v_dual_add_f32 v1, v1, v28 :: v_dual_add_f32 v2, v2, v141
	s_delay_alu instid0(VALU_DEP_1) | instskip(NEXT) | instid1(VALU_DEP_1)
	v_dual_add_f32 v1, v1, v29 :: v_dual_add_f32 v2, v2, v15
	v_add_f32_e32 v1, v1, v30
	s_delay_alu instid0(VALU_DEP_2) | instskip(NEXT) | instid1(VALU_DEP_2)
	v_add_f32_e32 v5, v2, v18
	v_add_f32_e32 v1, v1, v31
	s_delay_alu instid0(VALU_DEP_1) | instskip(NEXT) | instid1(VALU_DEP_3)
	v_add_f32_e32 v1, v1, v13
	v_add_f32_e32 v13, v5, v19
	s_delay_alu instid0(VALU_DEP_2) | instskip(NEXT) | instid1(VALU_DEP_1)
	v_add_f32_e32 v1, v1, v14
	v_add_f32_e32 v1, v1, v16
	s_delay_alu instid0(VALU_DEP_1) | instskip(NEXT) | instid1(VALU_DEP_1)
	v_add_f32_e32 v1, v1, v17
	v_add_f32_e32 v6, v1, v142
	ds_load_b128 v[1:4], v21 offset:784
	v_dual_add_f32 v13, v13, v20 :: v_dual_add_f32 v14, v6, v143
	scratch_load_b128 v[5:8], off, off offset:368
	v_dual_add_f32 v13, v13, v149 :: v_dual_add_f32 v14, v14, v151
	s_delay_alu instid0(VALU_DEP_1) | instskip(SKIP_4) | instid1(VALU_DEP_2)
	v_dual_add_f32 v18, v13, v150 :: v_dual_add_f32 v17, v14, v152
	ds_load_b128 v[13:16], v21 offset:800
	v_add_f32_e32 v18, v18, v153
	s_wait_loadcnt_dscnt 0x101
	v_mul_f32_e32 v26, v3, v12
	v_dual_add_f32 v18, v18, v155 :: v_dual_add_f32 v17, v17, v154
	v_mul_f32_e32 v12, v4, v12
	s_delay_alu instid0(VALU_DEP_3) | instskip(NEXT) | instid1(VALU_DEP_3)
	v_fmac_f32_e32 v26, v4, v11
	v_dual_add_f32 v22, v18, v157 :: v_dual_mul_f32 v25, v1, v10
	v_mul_f32_e32 v10, v2, v10
	s_delay_alu instid0(VALU_DEP_4) | instskip(NEXT) | instid1(VALU_DEP_3)
	v_fma_f32 v29, v3, v11, -v12
	v_add_f32_e32 v22, v22, v159
	s_delay_alu instid0(VALU_DEP_4) | instskip(NEXT) | instid1(VALU_DEP_4)
	v_fmac_f32_e32 v25, v2, v9
	v_fma_f32 v28, v1, v9, -v10
	scratch_load_b128 v[1:4], off, off offset:384
	v_add_f32_e32 v17, v17, v156
	scratch_load_b128 v[9:12], off, off offset:400
	v_add_f32_e32 v22, v22, v161
	s_wait_loadcnt_dscnt 0x200
	v_mul_f32_e32 v30, v13, v6
	v_mul_f32_e32 v6, v14, v6
	v_add_f32_e32 v17, v17, v158
	v_mul_f32_e32 v31, v15, v8
	v_mul_f32_e32 v8, v16, v8
	v_fmac_f32_e32 v30, v14, v5
	v_fma_f32 v140, v13, v5, -v6
	v_add_f32_e32 v23, v17, v160
	scratch_load_b128 v[17:20], off, off offset:416
	v_fma_f32 v141, v15, v7, -v8
	v_add_f32_e32 v23, v23, v162
	s_delay_alu instid0(VALU_DEP_1) | instskip(NEXT) | instid1(VALU_DEP_1)
	v_add_f32_e32 v23, v23, v164
	v_dual_add_f32 v13, v22, v163 :: v_dual_add_f32 v22, v23, v166
	s_delay_alu instid0(VALU_DEP_1) | instskip(NEXT) | instid1(VALU_DEP_1)
	v_dual_add_f32 v23, v13, v165 :: v_dual_add_f32 v142, v22, v168
	v_dual_add_f32 v142, v142, v170 :: v_dual_fmac_f32 v31, v16, v7
	ds_load_b128 v[5:8], v21 offset:816
	ds_load_b128 v[13:16], v21 offset:832
	v_dual_add_f32 v142, v142, v172 :: v_dual_add_f32 v143, v23, v167
	ds_load_b128 v[21:24], v21 offset:848
	v_dual_add_f32 v28, v142, v28 :: v_dual_add_f32 v143, v143, v169
	s_delay_alu instid0(VALU_DEP_1) | instskip(SKIP_1) | instid1(VALU_DEP_1)
	v_dual_add_f32 v28, v28, v29 :: v_dual_add_f32 v143, v143, v171
	s_wait_loadcnt_dscnt 0x202
	v_dual_add_f32 v25, v143, v25 :: v_dual_mul_f32 v146, v5, v2
	v_mul_f32_e32 v2, v6, v2
	s_wait_loadcnt_dscnt 0x101
	v_dual_mul_f32 v142, v7, v4 :: v_dual_mul_f32 v143, v13, v10
	s_delay_alu instid0(VALU_DEP_3) | instskip(SKIP_2) | instid1(VALU_DEP_3)
	v_dual_add_f32 v25, v25, v26 :: v_dual_mul_f32 v4, v8, v4
	v_add_f32_e32 v28, v28, v140
	v_dual_mul_f32 v147, v15, v12 :: v_dual_fmac_f32 v146, v6, v1
	v_add_f32_e32 v25, v25, v30
	v_fma_f32 v2, v5, v1, -v2
	v_fmac_f32_e32 v142, v8, v3
	v_fma_f32 v3, v7, v3, -v4
	s_delay_alu instid0(VALU_DEP_4) | instskip(SKIP_3) | instid1(VALU_DEP_4)
	v_dual_mul_f32 v4, v16, v12 :: v_dual_add_f32 v5, v25, v31
	v_add_f32_e32 v1, v28, v141
	v_fmac_f32_e32 v143, v14, v9
	v_mul_f32_e32 v6, v14, v10
	v_fma_f32 v4, v15, v11, -v4
	s_delay_alu instid0(VALU_DEP_4) | instskip(SKIP_1) | instid1(VALU_DEP_4)
	v_add_f32_e32 v1, v1, v2
	v_add_f32_e32 v2, v5, v146
	v_fma_f32 v5, v13, v9, -v6
	s_delay_alu instid0(VALU_DEP_2) | instskip(NEXT) | instid1(VALU_DEP_1)
	v_dual_add_f32 v1, v1, v3 :: v_dual_add_f32 v2, v2, v142
	v_dual_add_f32 v1, v1, v5 :: v_dual_add_f32 v2, v2, v143
	s_wait_loadcnt_dscnt 0x0
	v_dual_mul_f32 v29, v23, v20 :: v_dual_mul_f32 v26, v21, v18
	v_mul_f32_e32 v3, v22, v18
	v_fmac_f32_e32 v147, v16, v11
	s_delay_alu instid0(VALU_DEP_3) | instskip(NEXT) | instid1(VALU_DEP_2)
	v_dual_fmac_f32 v29, v24, v19 :: v_dual_fmac_f32 v26, v22, v17
	v_dual_mul_f32 v5, v24, v20 :: v_dual_add_f32 v2, v2, v147
	s_delay_alu instid0(VALU_DEP_4) | instskip(SKIP_1) | instid1(VALU_DEP_3)
	v_fma_f32 v3, v21, v17, -v3
	v_add_f32_e32 v1, v1, v4
	v_fma_f32 v4, v23, v19, -v5
	s_delay_alu instid0(VALU_DEP_2) | instskip(NEXT) | instid1(VALU_DEP_1)
	v_dual_add_f32 v2, v2, v26 :: v_dual_add_f32 v1, v1, v3
	v_dual_add_f32 v2, v2, v29 :: v_dual_add_f32 v1, v1, v4
	s_delay_alu instid0(VALU_DEP_1)
	v_dual_sub_f32 v2, v145, v2 :: v_dual_sub_f32 v1, v144, v1
	scratch_store_b64 off, v[1:2], off offset:152
	v_cmpx_lt_u32_e32 18, v0
	s_cbranch_execz .LBB53_301
; %bb.300:
	scratch_load_b64 v[1:2], off, off offset:144
	v_mov_b32_e32 v3, 0
	s_delay_alu instid0(VALU_DEP_1)
	v_mov_b32_e32 v4, v3
	scratch_store_b64 off, v[3:4], off offset:144
	s_wait_loadcnt 0x0
	ds_store_b64 v27, v[1:2]
.LBB53_301:
	s_wait_alu 0xfffe
	s_or_b32 exec_lo, exec_lo, s0
	s_wait_storecnt_dscnt 0x0
	s_barrier_signal -1
	s_barrier_wait -1
	global_inv scope:SCOPE_SE
	s_clause 0x4
	scratch_load_b128 v[5:8], off, off offset:152
	scratch_load_b128 v[1:4], off, off offset:168
	;; [unrolled: 1-line block ×5, first 2 shown]
	v_mov_b32_e32 v21, 0
	ds_load_2addr_b64 v[22:25], v21 offset0:73 offset1:74
	ds_load_2addr_b64 v[28:31], v21 offset0:75 offset1:76
	;; [unrolled: 1-line block ×3, first 2 shown]
	scratch_load_b64 v[144:145], off, off offset:144
	s_mov_b32 s0, exec_lo
	s_wait_loadcnt_dscnt 0x502
	v_dual_mul_f32 v146, v22, v6 :: v_dual_mul_f32 v147, v24, v8
	v_mul_f32_e32 v26, v23, v6
	v_mul_f32_e32 v6, v25, v8
	s_wait_loadcnt_dscnt 0x300
	v_mul_f32_e32 v148, v142, v12
	v_dual_fmac_f32 v146, v23, v5 :: v_dual_fmac_f32 v147, v25, v7
	v_mul_f32_e32 v25, v30, v4
	v_fma_f32 v22, v22, v5, -v26
	v_mul_f32_e32 v26, v140, v10
	v_mul_f32_e32 v4, v31, v4
	s_delay_alu instid0(VALU_DEP_4)
	v_dual_mul_f32 v10, v141, v10 :: v_dual_fmac_f32 v25, v31, v3
	v_fma_f32 v23, v24, v7, -v6
	ds_load_2addr_b64 v[5:8], v21 offset0:79 offset1:80
	v_mul_f32_e32 v24, v28, v2
	v_mul_f32_e32 v12, v143, v12
	;; [unrolled: 1-line block ×3, first 2 shown]
	v_fmac_f32_e32 v26, v141, v9
	v_fmac_f32_e32 v148, v143, v11
	;; [unrolled: 1-line block ×3, first 2 shown]
	v_fma_f32 v29, v30, v3, -v4
	v_fma_f32 v30, v140, v9, -v10
	;; [unrolled: 1-line block ×3, first 2 shown]
	ds_load_2addr_b64 v[9:12], v21 offset0:81 offset1:82
	s_wait_loadcnt_dscnt 0x201
	v_dual_mul_f32 v141, v7, v16 :: v_dual_mul_f32 v140, v5, v14
	v_mul_f32_e32 v14, v6, v14
	v_mul_f32_e32 v16, v8, v16
	s_delay_alu instid0(VALU_DEP_3)
	v_fmac_f32_e32 v141, v8, v15
	v_fma_f32 v28, v28, v1, -v2
	scratch_load_b128 v[1:4], off, off offset:232
	v_fmac_f32_e32 v140, v6, v13
	v_fma_f32 v13, v5, v13, -v14
	v_fma_f32 v14, v7, v15, -v16
	s_wait_loadcnt_dscnt 0x200
	v_mul_f32_e32 v15, v9, v18
	v_mul_f32_e32 v16, v10, v18
	;; [unrolled: 1-line block ×4, first 2 shown]
	ds_load_2addr_b64 v[5:8], v21 offset0:83 offset1:84
	v_fmac_f32_e32 v15, v10, v17
	v_fma_f32 v16, v9, v17, -v16
	v_fmac_f32_e32 v18, v12, v19
	v_fma_f32 v17, v11, v19, -v20
	scratch_load_b128 v[9:12], off, off offset:248
	s_wait_loadcnt_dscnt 0x100
	v_mul_f32_e32 v19, v5, v2
	v_mul_f32_e32 v2, v6, v2
	;; [unrolled: 1-line block ×3, first 2 shown]
	s_delay_alu instid0(VALU_DEP_3) | instskip(NEXT) | instid1(VALU_DEP_3)
	v_dual_mul_f32 v4, v8, v4 :: v_dual_fmac_f32 v19, v6, v1
	v_fma_f32 v142, v5, v1, -v2
	s_delay_alu instid0(VALU_DEP_3) | instskip(NEXT) | instid1(VALU_DEP_3)
	v_fmac_f32_e32 v20, v8, v3
	v_fma_f32 v143, v7, v3, -v4
	ds_load_2addr_b64 v[1:4], v21 offset0:85 offset1:86
	ds_load_2addr_b64 v[5:8], v21 offset0:87 offset1:88
	s_wait_loadcnt_dscnt 0x1
	v_mul_f32_e32 v149, v1, v10
	v_mul_f32_e32 v10, v2, v10
	s_delay_alu instid0(VALU_DEP_2) | instskip(NEXT) | instid1(VALU_DEP_2)
	v_dual_mul_f32 v150, v3, v12 :: v_dual_fmac_f32 v149, v2, v9
	v_fma_f32 v151, v1, v9, -v10
	v_mul_f32_e32 v1, v4, v12
	s_delay_alu instid0(VALU_DEP_3) | instskip(NEXT) | instid1(VALU_DEP_2)
	v_fmac_f32_e32 v150, v4, v11
	v_fma_f32 v152, v3, v11, -v1
	s_clause 0x1
	scratch_load_b128 v[1:4], off, off offset:264
	scratch_load_b128 v[9:12], off, off offset:280
	s_wait_loadcnt_dscnt 0x100
	v_mul_f32_e32 v153, v5, v2
	v_dual_mul_f32 v2, v6, v2 :: v_dual_mul_f32 v155, v7, v4
	s_delay_alu instid0(VALU_DEP_2) | instskip(NEXT) | instid1(VALU_DEP_2)
	v_fmac_f32_e32 v153, v6, v1
	v_fma_f32 v154, v5, v1, -v2
	v_mul_f32_e32 v1, v8, v4
	s_delay_alu instid0(VALU_DEP_4) | instskip(NEXT) | instid1(VALU_DEP_2)
	v_fmac_f32_e32 v155, v8, v3
	v_fma_f32 v156, v7, v3, -v1
	ds_load_2addr_b64 v[1:4], v21 offset0:89 offset1:90
	ds_load_2addr_b64 v[5:8], v21 offset0:91 offset1:92
	s_wait_loadcnt_dscnt 0x1
	v_mul_f32_e32 v157, v1, v10
	v_mul_f32_e32 v159, v3, v12
	s_delay_alu instid0(VALU_DEP_2) | instskip(NEXT) | instid1(VALU_DEP_2)
	v_fmac_f32_e32 v157, v2, v9
	v_dual_mul_f32 v2, v2, v10 :: v_dual_fmac_f32 v159, v4, v11
	s_delay_alu instid0(VALU_DEP_1) | instskip(SKIP_1) | instid1(VALU_DEP_1)
	v_fma_f32 v158, v1, v9, -v2
	v_mul_f32_e32 v1, v4, v12
	v_fma_f32 v160, v3, v11, -v1
	s_clause 0x1
	scratch_load_b128 v[1:4], off, off offset:296
	scratch_load_b128 v[9:12], off, off offset:312
	s_wait_loadcnt_dscnt 0x100
	v_mul_f32_e32 v161, v5, v2
	v_dual_mul_f32 v2, v6, v2 :: v_dual_mul_f32 v163, v7, v4
	s_delay_alu instid0(VALU_DEP_2) | instskip(NEXT) | instid1(VALU_DEP_2)
	v_fmac_f32_e32 v161, v6, v1
	v_fma_f32 v162, v5, v1, -v2
	v_mul_f32_e32 v1, v8, v4
	s_delay_alu instid0(VALU_DEP_4) | instskip(NEXT) | instid1(VALU_DEP_2)
	v_fmac_f32_e32 v163, v8, v3
	v_fma_f32 v164, v7, v3, -v1
	ds_load_2addr_b64 v[1:4], v21 offset0:93 offset1:94
	ds_load_2addr_b64 v[5:8], v21 offset0:95 offset1:96
	s_wait_loadcnt_dscnt 0x1
	v_mul_f32_e32 v165, v1, v10
	v_mul_f32_e32 v167, v3, v12
	s_delay_alu instid0(VALU_DEP_2) | instskip(NEXT) | instid1(VALU_DEP_2)
	v_fmac_f32_e32 v165, v2, v9
	v_dual_mul_f32 v2, v2, v10 :: v_dual_fmac_f32 v167, v4, v11
	s_delay_alu instid0(VALU_DEP_1) | instskip(SKIP_1) | instid1(VALU_DEP_1)
	v_fma_f32 v166, v1, v9, -v2
	v_mul_f32_e32 v1, v4, v12
	v_fma_f32 v168, v3, v11, -v1
	s_clause 0x1
	scratch_load_b128 v[1:4], off, off offset:328
	scratch_load_b128 v[9:12], off, off offset:344
	s_wait_loadcnt_dscnt 0x100
	v_mul_f32_e32 v169, v5, v2
	v_dual_mul_f32 v2, v6, v2 :: v_dual_mul_f32 v171, v7, v4
	s_delay_alu instid0(VALU_DEP_1) | instskip(SKIP_1) | instid1(VALU_DEP_1)
	v_fma_f32 v170, v5, v1, -v2
	v_add_f32_e32 v2, 0, v146
	v_add_f32_e32 v2, v2, v147
	s_delay_alu instid0(VALU_DEP_4) | instskip(SKIP_1) | instid1(VALU_DEP_3)
	v_fmac_f32_e32 v171, v8, v3
	v_fmac_f32_e32 v169, v6, v1
	v_add_f32_e32 v2, v2, v24
	s_delay_alu instid0(VALU_DEP_1) | instskip(NEXT) | instid1(VALU_DEP_1)
	v_dual_mul_f32 v1, v8, v4 :: v_dual_add_f32 v2, v2, v25
	v_fma_f32 v172, v7, v3, -v1
	s_delay_alu instid0(VALU_DEP_2) | instskip(NEXT) | instid1(VALU_DEP_1)
	v_add_f32_e32 v2, v2, v26
	v_dual_add_f32 v1, 0, v22 :: v_dual_add_f32 v2, v2, v148
	s_delay_alu instid0(VALU_DEP_1) | instskip(NEXT) | instid1(VALU_DEP_1)
	v_dual_add_f32 v1, v1, v23 :: v_dual_add_f32 v2, v2, v140
	v_dual_add_f32 v1, v1, v28 :: v_dual_add_f32 v2, v2, v141
	s_delay_alu instid0(VALU_DEP_1) | instskip(SKIP_2) | instid1(VALU_DEP_1)
	v_add_f32_e32 v1, v1, v29
	scratch_load_b64 v[28:29], off, off offset:424
	v_dual_add_f32 v2, v2, v15 :: v_dual_add_f32 v1, v1, v30
	v_add_f32_e32 v5, v2, v18
	s_delay_alu instid0(VALU_DEP_2) | instskip(NEXT) | instid1(VALU_DEP_1)
	v_add_f32_e32 v1, v1, v31
	v_add_f32_e32 v1, v1, v13
	s_delay_alu instid0(VALU_DEP_3) | instskip(NEXT) | instid1(VALU_DEP_1)
	v_add_f32_e32 v13, v5, v19
	v_add_f32_e32 v13, v13, v20
	s_delay_alu instid0(VALU_DEP_1) | instskip(NEXT) | instid1(VALU_DEP_1)
	v_add_f32_e32 v13, v13, v149
	v_add_f32_e32 v18, v13, v150
	s_delay_alu instid0(VALU_DEP_1) | instskip(NEXT) | instid1(VALU_DEP_1)
	v_dual_add_f32 v1, v1, v14 :: v_dual_add_f32 v18, v18, v153
	v_dual_add_f32 v1, v1, v16 :: v_dual_add_f32 v18, v18, v155
	s_delay_alu instid0(VALU_DEP_1) | instskip(NEXT) | instid1(VALU_DEP_2)
	v_add_f32_e32 v1, v1, v17
	v_add_f32_e32 v22, v18, v157
	s_delay_alu instid0(VALU_DEP_2)
	v_add_f32_e32 v6, v1, v142
	scratch_load_b128 v[1:4], off, off offset:360
	v_add_f32_e32 v22, v22, v159
	v_add_f32_e32 v14, v6, v143
	ds_load_2addr_b64 v[5:8], v21 offset0:97 offset1:98
	v_add_f32_e32 v22, v22, v161
	v_add_f32_e32 v14, v14, v151
	s_delay_alu instid0(VALU_DEP_2) | instskip(NEXT) | instid1(VALU_DEP_2)
	v_add_f32_e32 v22, v22, v163
	v_add_f32_e32 v17, v14, v152
	ds_load_2addr_b64 v[13:16], v21 offset0:99 offset1:100
	s_wait_loadcnt_dscnt 0x201
	v_mul_f32_e32 v26, v5, v10
	v_mul_f32_e32 v10, v6, v10
	;; [unrolled: 1-line block ×3, first 2 shown]
	v_dual_mul_f32 v12, v8, v12 :: v_dual_add_f32 v17, v17, v154
	s_delay_alu instid0(VALU_DEP_4) | instskip(NEXT) | instid1(VALU_DEP_4)
	v_fmac_f32_e32 v26, v6, v9
	v_fma_f32 v141, v5, v9, -v10
	s_delay_alu instid0(VALU_DEP_4) | instskip(NEXT) | instid1(VALU_DEP_4)
	v_fmac_f32_e32 v140, v8, v11
	v_fma_f32 v142, v7, v11, -v12
	scratch_load_b128 v[5:8], off, off offset:376
	v_add_f32_e32 v17, v17, v156
	scratch_load_b128 v[9:12], off, off offset:392
	v_add_f32_e32 v17, v17, v158
	s_delay_alu instid0(VALU_DEP_1)
	v_add_f32_e32 v23, v17, v160
	scratch_load_b128 v[17:20], off, off offset:408
	s_wait_loadcnt_dscnt 0x300
	v_dual_mul_f32 v143, v13, v2 :: v_dual_mul_f32 v146, v15, v4
	v_mul_f32_e32 v2, v14, v2
	v_dual_add_f32 v23, v23, v162 :: v_dual_mul_f32 v4, v16, v4
	s_delay_alu instid0(VALU_DEP_3) | instskip(NEXT) | instid1(VALU_DEP_3)
	v_dual_fmac_f32 v143, v14, v1 :: v_dual_fmac_f32 v146, v16, v3
	v_fma_f32 v147, v13, v1, -v2
	s_delay_alu instid0(VALU_DEP_3) | instskip(NEXT) | instid1(VALU_DEP_4)
	v_add_f32_e32 v23, v23, v164
	v_fma_f32 v148, v15, v3, -v4
	ds_load_2addr_b64 v[1:4], v21 offset0:101 offset1:102
	v_add_f32_e32 v23, v23, v166
	s_delay_alu instid0(VALU_DEP_1) | instskip(NEXT) | instid1(VALU_DEP_1)
	v_dual_add_f32 v13, v22, v165 :: v_dual_add_f32 v14, v23, v168
	v_add_f32_e32 v30, v14, v170
	s_delay_alu instid0(VALU_DEP_2)
	v_add_f32_e32 v22, v13, v167
	ds_load_2addr_b64 v[13:16], v21 offset0:103 offset1:104
	v_add_f32_e32 v149, v30, v172
	v_add_f32_e32 v31, v22, v169
	ds_load_2addr_b64 v[22:25], v21 offset0:105 offset1:106
	v_dual_add_f32 v141, v149, v141 :: v_dual_add_f32 v150, v31, v171
	s_wait_loadcnt_dscnt 0x202
	v_mul_f32_e32 v149, v1, v6
	ds_load_b64 v[30:31], v21 offset:856
	v_mul_f32_e32 v6, v2, v6
	v_add_f32_e32 v141, v141, v142
	v_add_f32_e32 v26, v150, v26
	v_fmac_f32_e32 v149, v2, v5
	s_delay_alu instid0(VALU_DEP_2)
	v_dual_add_f32 v141, v141, v147 :: v_dual_add_f32 v26, v26, v140
	v_mul_f32_e32 v140, v3, v8
	v_mul_f32_e32 v8, v4, v8
	s_wait_loadcnt_dscnt 0x102
	v_mul_f32_e32 v142, v13, v10
	v_dual_add_f32 v141, v141, v148 :: v_dual_add_f32 v26, v26, v143
	v_mul_f32_e32 v143, v15, v12
	v_fma_f32 v1, v1, v5, -v6
	s_wait_loadcnt_dscnt 0x1
	v_dual_mul_f32 v147, v22, v18 :: v_dual_mul_f32 v148, v24, v20
	v_add_f32_e32 v26, v26, v146
	v_fma_f32 v2, v3, v7, -v8
	v_mul_f32_e32 v3, v14, v10
	v_add_f32_e32 v1, v141, v1
	s_wait_dscnt 0x0
	v_dual_mul_f32 v146, v30, v29 :: v_dual_mul_f32 v5, v16, v12
	v_fmac_f32_e32 v140, v4, v7
	v_dual_add_f32 v4, v26, v149 :: v_dual_fmac_f32 v143, v16, v11
	v_fma_f32 v3, v13, v9, -v3
	v_dual_add_f32 v1, v1, v2 :: v_dual_fmac_f32 v142, v14, v9
	s_delay_alu instid0(VALU_DEP_3) | instskip(SKIP_2) | instid1(VALU_DEP_3)
	v_dual_add_f32 v2, v4, v140 :: v_dual_fmac_f32 v147, v23, v17
	v_mul_f32_e32 v4, v23, v18
	v_fma_f32 v5, v15, v11, -v5
	v_dual_add_f32 v1, v1, v3 :: v_dual_add_f32 v2, v2, v142
	v_mul_f32_e32 v3, v25, v20
	s_delay_alu instid0(VALU_DEP_4) | instskip(NEXT) | instid1(VALU_DEP_3)
	v_fma_f32 v4, v22, v17, -v4
	v_dual_add_f32 v1, v1, v5 :: v_dual_add_f32 v2, v2, v143
	v_mul_f32_e32 v5, v31, v29
	s_delay_alu instid0(VALU_DEP_4) | instskip(NEXT) | instid1(VALU_DEP_3)
	v_fma_f32 v3, v24, v19, -v3
	v_dual_add_f32 v1, v1, v4 :: v_dual_add_f32 v2, v2, v147
	v_fmac_f32_e32 v146, v31, v28
	s_delay_alu instid0(VALU_DEP_4) | instskip(NEXT) | instid1(VALU_DEP_3)
	v_fma_f32 v4, v30, v28, -v5
	v_add_f32_e32 v1, v1, v3
	s_delay_alu instid0(VALU_DEP_1) | instskip(NEXT) | instid1(VALU_DEP_1)
	v_add_f32_e32 v1, v1, v4
	v_dual_fmac_f32 v148, v25, v19 :: v_dual_sub_f32 v1, v144, v1
	s_delay_alu instid0(VALU_DEP_1) | instskip(NEXT) | instid1(VALU_DEP_1)
	v_add_f32_e32 v2, v2, v148
	v_add_f32_e32 v2, v2, v146
	s_delay_alu instid0(VALU_DEP_1)
	v_sub_f32_e32 v2, v145, v2
	scratch_store_b64 off, v[1:2], off offset:144
	v_cmpx_lt_u32_e32 17, v0
	s_cbranch_execz .LBB53_303
; %bb.302:
	scratch_load_b64 v[1:2], off, off offset:136
	v_mov_b32_e32 v22, v21
	scratch_store_b64 off, v[21:22], off offset:136
	s_wait_loadcnt 0x0
	ds_store_b64 v27, v[1:2]
.LBB53_303:
	s_wait_alu 0xfffe
	s_or_b32 exec_lo, exec_lo, s0
	s_wait_storecnt_dscnt 0x0
	s_barrier_signal -1
	s_barrier_wait -1
	global_inv scope:SCOPE_SE
	s_clause 0x4
	scratch_load_b128 v[5:8], off, off offset:144
	scratch_load_b128 v[1:4], off, off offset:160
	;; [unrolled: 1-line block ×5, first 2 shown]
	ds_load_b128 v[22:25], v21 offset:576
	ds_load_b128 v[28:31], v21 offset:592
	;; [unrolled: 1-line block ×3, first 2 shown]
	scratch_load_b64 v[144:145], off, off offset:136
	s_mov_b32 s0, exec_lo
	s_wait_loadcnt_dscnt 0x502
	v_dual_mul_f32 v26, v23, v6 :: v_dual_mul_f32 v147, v24, v8
	v_mul_f32_e32 v146, v22, v6
	v_mul_f32_e32 v6, v25, v8
	s_wait_loadcnt_dscnt 0x300
	v_mul_f32_e32 v148, v142, v12
	v_fma_f32 v22, v22, v5, -v26
	v_dual_fmac_f32 v147, v25, v7 :: v_dual_fmac_f32 v146, v23, v5
	v_mul_f32_e32 v25, v30, v4
	v_mul_f32_e32 v4, v31, v4
	v_mul_f32_e32 v26, v140, v10
	v_mul_f32_e32 v10, v141, v10
	v_mul_f32_e32 v12, v143, v12
	v_fmac_f32_e32 v25, v31, v3
	v_fma_f32 v23, v24, v7, -v6
	ds_load_b128 v[5:8], v21 offset:624
	v_mul_f32_e32 v24, v28, v2
	v_mul_f32_e32 v2, v29, v2
	v_fmac_f32_e32 v26, v141, v9
	v_fmac_f32_e32 v148, v143, v11
	v_fma_f32 v31, v142, v11, -v12
	v_fmac_f32_e32 v24, v29, v1
	v_fma_f32 v29, v30, v3, -v4
	v_fma_f32 v30, v140, v9, -v10
	ds_load_b128 v[9:12], v21 offset:640
	s_wait_loadcnt_dscnt 0x201
	v_dual_mul_f32 v141, v7, v16 :: v_dual_mul_f32 v140, v5, v14
	v_mul_f32_e32 v14, v6, v14
	v_mul_f32_e32 v16, v8, v16
	s_delay_alu instid0(VALU_DEP_3)
	v_fmac_f32_e32 v141, v8, v15
	v_fma_f32 v28, v28, v1, -v2
	scratch_load_b128 v[1:4], off, off offset:224
	v_fmac_f32_e32 v140, v6, v13
	v_fma_f32 v13, v5, v13, -v14
	v_fma_f32 v14, v7, v15, -v16
	s_wait_loadcnt_dscnt 0x200
	v_mul_f32_e32 v15, v9, v18
	v_mul_f32_e32 v16, v10, v18
	;; [unrolled: 1-line block ×4, first 2 shown]
	ds_load_b128 v[5:8], v21 offset:656
	v_fmac_f32_e32 v15, v10, v17
	v_fma_f32 v16, v9, v17, -v16
	v_fmac_f32_e32 v18, v12, v19
	v_fma_f32 v17, v11, v19, -v20
	scratch_load_b128 v[9:12], off, off offset:240
	s_wait_loadcnt_dscnt 0x100
	v_mul_f32_e32 v19, v5, v2
	v_mul_f32_e32 v2, v6, v2
	v_mul_f32_e32 v20, v7, v4
	s_delay_alu instid0(VALU_DEP_3) | instskip(NEXT) | instid1(VALU_DEP_3)
	v_dual_mul_f32 v4, v8, v4 :: v_dual_fmac_f32 v19, v6, v1
	v_fma_f32 v142, v5, v1, -v2
	s_delay_alu instid0(VALU_DEP_3) | instskip(NEXT) | instid1(VALU_DEP_3)
	v_fmac_f32_e32 v20, v8, v3
	v_fma_f32 v143, v7, v3, -v4
	ds_load_b128 v[1:4], v21 offset:672
	ds_load_b128 v[5:8], v21 offset:688
	s_wait_loadcnt_dscnt 0x1
	v_mul_f32_e32 v149, v1, v10
	v_mul_f32_e32 v10, v2, v10
	s_delay_alu instid0(VALU_DEP_2) | instskip(NEXT) | instid1(VALU_DEP_2)
	v_dual_mul_f32 v150, v3, v12 :: v_dual_fmac_f32 v149, v2, v9
	v_fma_f32 v151, v1, v9, -v10
	v_mul_f32_e32 v1, v4, v12
	s_delay_alu instid0(VALU_DEP_3) | instskip(NEXT) | instid1(VALU_DEP_2)
	v_fmac_f32_e32 v150, v4, v11
	v_fma_f32 v152, v3, v11, -v1
	s_clause 0x1
	scratch_load_b128 v[1:4], off, off offset:256
	scratch_load_b128 v[9:12], off, off offset:272
	s_wait_loadcnt_dscnt 0x100
	v_mul_f32_e32 v153, v5, v2
	v_dual_mul_f32 v2, v6, v2 :: v_dual_mul_f32 v155, v7, v4
	s_delay_alu instid0(VALU_DEP_2) | instskip(NEXT) | instid1(VALU_DEP_2)
	v_fmac_f32_e32 v153, v6, v1
	v_fma_f32 v154, v5, v1, -v2
	v_mul_f32_e32 v1, v8, v4
	s_delay_alu instid0(VALU_DEP_4) | instskip(NEXT) | instid1(VALU_DEP_2)
	v_fmac_f32_e32 v155, v8, v3
	v_fma_f32 v156, v7, v3, -v1
	ds_load_b128 v[1:4], v21 offset:704
	ds_load_b128 v[5:8], v21 offset:720
	s_wait_loadcnt_dscnt 0x1
	v_mul_f32_e32 v157, v1, v10
	v_mul_f32_e32 v159, v3, v12
	s_delay_alu instid0(VALU_DEP_2) | instskip(NEXT) | instid1(VALU_DEP_2)
	v_fmac_f32_e32 v157, v2, v9
	v_dual_mul_f32 v2, v2, v10 :: v_dual_fmac_f32 v159, v4, v11
	s_delay_alu instid0(VALU_DEP_1) | instskip(SKIP_1) | instid1(VALU_DEP_1)
	v_fma_f32 v158, v1, v9, -v2
	v_mul_f32_e32 v1, v4, v12
	v_fma_f32 v160, v3, v11, -v1
	s_clause 0x1
	scratch_load_b128 v[1:4], off, off offset:288
	scratch_load_b128 v[9:12], off, off offset:304
	s_wait_loadcnt_dscnt 0x100
	v_mul_f32_e32 v161, v5, v2
	v_dual_mul_f32 v2, v6, v2 :: v_dual_mul_f32 v163, v7, v4
	s_delay_alu instid0(VALU_DEP_2) | instskip(NEXT) | instid1(VALU_DEP_2)
	v_fmac_f32_e32 v161, v6, v1
	v_fma_f32 v162, v5, v1, -v2
	v_mul_f32_e32 v1, v8, v4
	s_delay_alu instid0(VALU_DEP_4) | instskip(NEXT) | instid1(VALU_DEP_2)
	v_fmac_f32_e32 v163, v8, v3
	v_fma_f32 v164, v7, v3, -v1
	ds_load_b128 v[1:4], v21 offset:736
	ds_load_b128 v[5:8], v21 offset:752
	s_wait_loadcnt_dscnt 0x1
	v_mul_f32_e32 v165, v1, v10
	v_mul_f32_e32 v167, v3, v12
	s_delay_alu instid0(VALU_DEP_2) | instskip(NEXT) | instid1(VALU_DEP_2)
	v_fmac_f32_e32 v165, v2, v9
	v_dual_mul_f32 v2, v2, v10 :: v_dual_fmac_f32 v167, v4, v11
	s_delay_alu instid0(VALU_DEP_1) | instskip(SKIP_1) | instid1(VALU_DEP_1)
	v_fma_f32 v166, v1, v9, -v2
	v_mul_f32_e32 v1, v4, v12
	v_fma_f32 v168, v3, v11, -v1
	s_clause 0x1
	scratch_load_b128 v[1:4], off, off offset:320
	scratch_load_b128 v[9:12], off, off offset:336
	s_wait_loadcnt_dscnt 0x100
	v_mul_f32_e32 v169, v5, v2
	v_dual_mul_f32 v2, v6, v2 :: v_dual_mul_f32 v171, v7, v4
	s_delay_alu instid0(VALU_DEP_2) | instskip(NEXT) | instid1(VALU_DEP_2)
	v_fmac_f32_e32 v169, v6, v1
	v_fma_f32 v170, v5, v1, -v2
	v_mul_f32_e32 v1, v8, v4
	s_delay_alu instid0(VALU_DEP_4) | instskip(NEXT) | instid1(VALU_DEP_2)
	v_fmac_f32_e32 v171, v8, v3
	v_fma_f32 v172, v7, v3, -v1
	ds_load_b128 v[1:4], v21 offset:768
	ds_load_b128 v[5:8], v21 offset:784
	s_wait_loadcnt_dscnt 0x1
	v_mul_f32_e32 v173, v1, v10
	v_mul_f32_e32 v175, v3, v12
	s_delay_alu instid0(VALU_DEP_2) | instskip(NEXT) | instid1(VALU_DEP_2)
	v_fmac_f32_e32 v173, v2, v9
	v_dual_mul_f32 v2, v2, v10 :: v_dual_fmac_f32 v175, v4, v11
	s_delay_alu instid0(VALU_DEP_1) | instskip(SKIP_1) | instid1(VALU_DEP_1)
	v_fma_f32 v174, v1, v9, -v2
	v_mul_f32_e32 v1, v4, v12
	v_fma_f32 v176, v3, v11, -v1
	s_clause 0x1
	scratch_load_b128 v[1:4], off, off offset:352
	scratch_load_b128 v[9:12], off, off offset:368
	s_wait_loadcnt_dscnt 0x100
	v_mul_f32_e32 v177, v5, v2
	v_mul_f32_e32 v2, v6, v2
	s_delay_alu instid0(VALU_DEP_1) | instskip(SKIP_1) | instid1(VALU_DEP_1)
	v_fma_f32 v178, v5, v1, -v2
	v_add_f32_e32 v2, 0, v146
	v_add_f32_e32 v2, v2, v147
	s_delay_alu instid0(VALU_DEP_1) | instskip(NEXT) | instid1(VALU_DEP_1)
	v_add_f32_e32 v2, v2, v24
	v_add_f32_e32 v2, v2, v25
	s_delay_alu instid0(VALU_DEP_1) | instskip(NEXT) | instid1(VALU_DEP_1)
	;; [unrolled: 3-line block ×3, first 2 shown]
	v_add_f32_e32 v2, v2, v140
	v_dual_add_f32 v2, v2, v141 :: v_dual_mul_f32 v179, v7, v4
	s_delay_alu instid0(VALU_DEP_1) | instskip(NEXT) | instid1(VALU_DEP_1)
	v_add_f32_e32 v2, v2, v15
	v_dual_fmac_f32 v179, v8, v3 :: v_dual_add_f32 v2, v2, v18
	s_delay_alu instid0(VALU_DEP_1) | instskip(NEXT) | instid1(VALU_DEP_1)
	v_add_f32_e32 v2, v2, v19
	v_add_f32_e32 v2, v2, v20
	s_delay_alu instid0(VALU_DEP_1) | instskip(NEXT) | instid1(VALU_DEP_1)
	v_add_f32_e32 v5, v2, v149
	v_add_f32_e32 v5, v5, v150
	s_delay_alu instid0(VALU_DEP_1) | instskip(SKIP_2) | instid1(VALU_DEP_1)
	v_add_f32_e32 v5, v5, v153
	v_fmac_f32_e32 v177, v6, v1
	v_mul_f32_e32 v1, v8, v4
	v_fma_f32 v180, v7, v3, -v1
	v_add_f32_e32 v1, 0, v22
	s_delay_alu instid0(VALU_DEP_1) | instskip(NEXT) | instid1(VALU_DEP_1)
	v_add_f32_e32 v1, v1, v23
	v_add_f32_e32 v1, v1, v28
	s_delay_alu instid0(VALU_DEP_1) | instskip(NEXT) | instid1(VALU_DEP_1)
	v_add_f32_e32 v1, v1, v29
	;; [unrolled: 3-line block ×6, first 2 shown]
	v_add_f32_e32 v1, v1, v151
	s_delay_alu instid0(VALU_DEP_1) | instskip(SKIP_2) | instid1(VALU_DEP_1)
	v_add_f32_e32 v6, v1, v152
	ds_load_b128 v[1:4], v21 offset:800
	v_add_f32_e32 v6, v6, v154
	v_add_f32_e32 v13, v6, v156
	s_delay_alu instid0(VALU_DEP_1) | instskip(NEXT) | instid1(VALU_DEP_1)
	v_add_f32_e32 v13, v13, v158
	v_add_f32_e32 v13, v13, v160
	s_delay_alu instid0(VALU_DEP_1) | instskip(NEXT) | instid1(VALU_DEP_1)
	;; [unrolled: 3-line block ×5, first 2 shown]
	v_add_f32_e32 v30, v30, v174
	v_add_f32_e32 v30, v30, v176
	;; [unrolled: 1-line block ×3, first 2 shown]
	ds_load_b128 v[5:8], v21 offset:816
	s_wait_loadcnt_dscnt 0x1
	v_dual_mul_f32 v25, v1, v10 :: v_dual_mul_f32 v26, v3, v12
	v_mul_f32_e32 v10, v2, v10
	v_add_f32_e32 v14, v14, v157
	v_mul_f32_e32 v12, v4, v12
	v_add_f32_e32 v30, v30, v178
	v_fmac_f32_e32 v26, v4, v11
	v_fma_f32 v28, v1, v9, -v10
	v_add_f32_e32 v14, v14, v159
	v_fma_f32 v29, v3, v11, -v12
	v_add_f32_e32 v30, v30, v180
	s_delay_alu instid0(VALU_DEP_3) | instskip(SKIP_2) | instid1(VALU_DEP_1)
	v_add_f32_e32 v17, v14, v161
	scratch_load_b128 v[13:16], off, off offset:416
	v_dual_add_f32 v28, v30, v28 :: v_dual_add_f32 v17, v17, v163
	v_add_f32_e32 v17, v17, v165
	s_delay_alu instid0(VALU_DEP_1) | instskip(NEXT) | instid1(VALU_DEP_1)
	v_add_f32_e32 v17, v17, v167
	v_add_f32_e32 v23, v17, v169
	ds_load_b128 v[17:20], v21 offset:832
	v_fmac_f32_e32 v25, v2, v9
	s_clause 0x1
	scratch_load_b128 v[1:4], off, off offset:384
	scratch_load_b128 v[9:12], off, off offset:400
	s_wait_loadcnt_dscnt 0x101
	v_mul_f32_e32 v140, v5, v2
	v_mul_f32_e32 v2, v6, v2
	s_wait_loadcnt_dscnt 0x0
	v_mul_f32_e32 v142, v17, v10
	s_delay_alu instid0(VALU_DEP_3)
	v_fmac_f32_e32 v140, v6, v1
	v_dual_mul_f32 v6, v18, v10 :: v_dual_add_f32 v31, v23, v171
	ds_load_b128 v[21:24], v21 offset:848
	v_fmac_f32_e32 v142, v18, v9
	v_fma_f32 v2, v5, v1, -v2
	s_wait_dscnt 0x0
	v_dual_add_f32 v31, v31, v173 :: v_dual_mul_f32 v146, v21, v14
	v_mul_f32_e32 v141, v7, v4
	v_mul_f32_e32 v4, v8, v4
	;; [unrolled: 1-line block ×3, first 2 shown]
	s_delay_alu instid0(VALU_DEP_3) | instskip(NEXT) | instid1(VALU_DEP_3)
	v_dual_fmac_f32 v146, v22, v13 :: v_dual_fmac_f32 v141, v8, v3
	v_fma_f32 v3, v7, v3, -v4
	v_dual_mul_f32 v4, v20, v12 :: v_dual_add_f32 v31, v31, v175
	s_delay_alu instid0(VALU_DEP_4) | instskip(SKIP_1) | instid1(VALU_DEP_3)
	v_fmac_f32_e32 v30, v24, v15
	v_add_f32_e32 v1, v28, v29
	v_fma_f32 v4, v19, v11, -v4
	s_delay_alu instid0(VALU_DEP_4) | instskip(NEXT) | instid1(VALU_DEP_3)
	v_add_f32_e32 v31, v31, v177
	v_add_f32_e32 v1, v1, v2
	s_delay_alu instid0(VALU_DEP_2) | instskip(NEXT) | instid1(VALU_DEP_2)
	v_add_f32_e32 v31, v31, v179
	v_add_f32_e32 v1, v1, v3
	v_mul_f32_e32 v3, v22, v14
	s_delay_alu instid0(VALU_DEP_3) | instskip(NEXT) | instid1(VALU_DEP_2)
	v_add_f32_e32 v25, v31, v25
	v_fma_f32 v3, v21, v13, -v3
	s_delay_alu instid0(VALU_DEP_2) | instskip(NEXT) | instid1(VALU_DEP_1)
	v_add_f32_e32 v5, v25, v26
	v_add_f32_e32 v2, v5, v140
	v_mul_f32_e32 v143, v19, v12
	v_fma_f32 v5, v17, v9, -v6
	s_delay_alu instid0(VALU_DEP_2) | instskip(NEXT) | instid1(VALU_DEP_2)
	v_dual_add_f32 v2, v2, v141 :: v_dual_fmac_f32 v143, v20, v11
	v_add_f32_e32 v1, v1, v5
	s_delay_alu instid0(VALU_DEP_2) | instskip(NEXT) | instid1(VALU_DEP_2)
	v_dual_mul_f32 v5, v24, v16 :: v_dual_add_f32 v2, v2, v142
	v_add_f32_e32 v1, v1, v4
	s_delay_alu instid0(VALU_DEP_2) | instskip(NEXT) | instid1(VALU_DEP_3)
	v_fma_f32 v4, v23, v15, -v5
	v_add_f32_e32 v2, v2, v143
	s_delay_alu instid0(VALU_DEP_1) | instskip(NEXT) | instid1(VALU_DEP_1)
	v_dual_add_f32 v1, v1, v3 :: v_dual_add_f32 v2, v2, v146
	v_dual_add_f32 v1, v1, v4 :: v_dual_add_f32 v2, v2, v30
	s_delay_alu instid0(VALU_DEP_1)
	v_dual_sub_f32 v1, v144, v1 :: v_dual_sub_f32 v2, v145, v2
	scratch_store_b64 off, v[1:2], off offset:136
	v_cmpx_lt_u32_e32 16, v0
	s_cbranch_execz .LBB53_305
; %bb.304:
	scratch_load_b64 v[1:2], off, off offset:128
	v_mov_b32_e32 v3, 0
	s_delay_alu instid0(VALU_DEP_1)
	v_mov_b32_e32 v4, v3
	scratch_store_b64 off, v[3:4], off offset:128
	s_wait_loadcnt 0x0
	ds_store_b64 v27, v[1:2]
.LBB53_305:
	s_wait_alu 0xfffe
	s_or_b32 exec_lo, exec_lo, s0
	s_wait_storecnt_dscnt 0x0
	s_barrier_signal -1
	s_barrier_wait -1
	global_inv scope:SCOPE_SE
	s_clause 0x4
	scratch_load_b128 v[5:8], off, off offset:136
	scratch_load_b128 v[1:4], off, off offset:152
	;; [unrolled: 1-line block ×5, first 2 shown]
	v_mov_b32_e32 v21, 0
	ds_load_2addr_b64 v[22:25], v21 offset0:71 offset1:72
	ds_load_2addr_b64 v[28:31], v21 offset0:73 offset1:74
	;; [unrolled: 1-line block ×3, first 2 shown]
	scratch_load_b64 v[144:145], off, off offset:128
	s_mov_b32 s0, exec_lo
	s_wait_loadcnt_dscnt 0x502
	v_dual_mul_f32 v146, v22, v6 :: v_dual_mul_f32 v147, v24, v8
	v_mul_f32_e32 v26, v23, v6
	v_mul_f32_e32 v6, v25, v8
	s_wait_loadcnt_dscnt 0x300
	v_mul_f32_e32 v148, v142, v12
	v_dual_fmac_f32 v146, v23, v5 :: v_dual_fmac_f32 v147, v25, v7
	v_mul_f32_e32 v25, v30, v4
	v_fma_f32 v22, v22, v5, -v26
	v_mul_f32_e32 v26, v140, v10
	v_mul_f32_e32 v4, v31, v4
	s_delay_alu instid0(VALU_DEP_4)
	v_dual_mul_f32 v10, v141, v10 :: v_dual_fmac_f32 v25, v31, v3
	v_fma_f32 v23, v24, v7, -v6
	ds_load_2addr_b64 v[5:8], v21 offset0:77 offset1:78
	v_mul_f32_e32 v24, v28, v2
	v_mul_f32_e32 v12, v143, v12
	;; [unrolled: 1-line block ×3, first 2 shown]
	v_fmac_f32_e32 v26, v141, v9
	v_fmac_f32_e32 v148, v143, v11
	v_fmac_f32_e32 v24, v29, v1
	v_fma_f32 v29, v30, v3, -v4
	v_fma_f32 v30, v140, v9, -v10
	;; [unrolled: 1-line block ×3, first 2 shown]
	ds_load_2addr_b64 v[9:12], v21 offset0:79 offset1:80
	s_wait_loadcnt_dscnt 0x201
	v_dual_mul_f32 v141, v7, v16 :: v_dual_mul_f32 v140, v5, v14
	v_mul_f32_e32 v14, v6, v14
	v_mul_f32_e32 v16, v8, v16
	s_delay_alu instid0(VALU_DEP_3)
	v_fmac_f32_e32 v141, v8, v15
	v_fma_f32 v28, v28, v1, -v2
	scratch_load_b128 v[1:4], off, off offset:216
	v_fmac_f32_e32 v140, v6, v13
	v_fma_f32 v13, v5, v13, -v14
	v_fma_f32 v14, v7, v15, -v16
	s_wait_loadcnt_dscnt 0x200
	v_mul_f32_e32 v15, v9, v18
	v_mul_f32_e32 v16, v10, v18
	;; [unrolled: 1-line block ×4, first 2 shown]
	ds_load_2addr_b64 v[5:8], v21 offset0:81 offset1:82
	v_fmac_f32_e32 v15, v10, v17
	v_fma_f32 v16, v9, v17, -v16
	v_fmac_f32_e32 v18, v12, v19
	v_fma_f32 v17, v11, v19, -v20
	scratch_load_b128 v[9:12], off, off offset:232
	s_wait_loadcnt_dscnt 0x100
	v_mul_f32_e32 v19, v5, v2
	v_mul_f32_e32 v2, v6, v2
	;; [unrolled: 1-line block ×3, first 2 shown]
	s_delay_alu instid0(VALU_DEP_3) | instskip(NEXT) | instid1(VALU_DEP_3)
	v_dual_mul_f32 v4, v8, v4 :: v_dual_fmac_f32 v19, v6, v1
	v_fma_f32 v142, v5, v1, -v2
	s_delay_alu instid0(VALU_DEP_3) | instskip(NEXT) | instid1(VALU_DEP_3)
	v_fmac_f32_e32 v20, v8, v3
	v_fma_f32 v143, v7, v3, -v4
	ds_load_2addr_b64 v[1:4], v21 offset0:83 offset1:84
	ds_load_2addr_b64 v[5:8], v21 offset0:85 offset1:86
	s_wait_loadcnt_dscnt 0x1
	v_mul_f32_e32 v149, v1, v10
	v_mul_f32_e32 v10, v2, v10
	s_delay_alu instid0(VALU_DEP_2) | instskip(NEXT) | instid1(VALU_DEP_2)
	v_dual_mul_f32 v150, v3, v12 :: v_dual_fmac_f32 v149, v2, v9
	v_fma_f32 v151, v1, v9, -v10
	v_mul_f32_e32 v1, v4, v12
	s_delay_alu instid0(VALU_DEP_3) | instskip(NEXT) | instid1(VALU_DEP_2)
	v_fmac_f32_e32 v150, v4, v11
	v_fma_f32 v152, v3, v11, -v1
	s_clause 0x1
	scratch_load_b128 v[1:4], off, off offset:248
	scratch_load_b128 v[9:12], off, off offset:264
	s_wait_loadcnt_dscnt 0x100
	v_mul_f32_e32 v153, v5, v2
	v_dual_mul_f32 v2, v6, v2 :: v_dual_mul_f32 v155, v7, v4
	s_delay_alu instid0(VALU_DEP_2) | instskip(NEXT) | instid1(VALU_DEP_2)
	v_fmac_f32_e32 v153, v6, v1
	v_fma_f32 v154, v5, v1, -v2
	v_mul_f32_e32 v1, v8, v4
	s_delay_alu instid0(VALU_DEP_4) | instskip(NEXT) | instid1(VALU_DEP_2)
	v_fmac_f32_e32 v155, v8, v3
	v_fma_f32 v156, v7, v3, -v1
	ds_load_2addr_b64 v[1:4], v21 offset0:87 offset1:88
	ds_load_2addr_b64 v[5:8], v21 offset0:89 offset1:90
	s_wait_loadcnt_dscnt 0x1
	v_mul_f32_e32 v157, v1, v10
	v_mul_f32_e32 v159, v3, v12
	s_delay_alu instid0(VALU_DEP_2) | instskip(NEXT) | instid1(VALU_DEP_2)
	v_fmac_f32_e32 v157, v2, v9
	v_dual_mul_f32 v2, v2, v10 :: v_dual_fmac_f32 v159, v4, v11
	s_delay_alu instid0(VALU_DEP_1) | instskip(SKIP_1) | instid1(VALU_DEP_1)
	v_fma_f32 v158, v1, v9, -v2
	v_mul_f32_e32 v1, v4, v12
	v_fma_f32 v160, v3, v11, -v1
	s_clause 0x1
	scratch_load_b128 v[1:4], off, off offset:280
	scratch_load_b128 v[9:12], off, off offset:296
	s_wait_loadcnt_dscnt 0x100
	v_mul_f32_e32 v161, v5, v2
	v_dual_mul_f32 v2, v6, v2 :: v_dual_mul_f32 v163, v7, v4
	s_delay_alu instid0(VALU_DEP_2) | instskip(NEXT) | instid1(VALU_DEP_2)
	v_fmac_f32_e32 v161, v6, v1
	v_fma_f32 v162, v5, v1, -v2
	v_mul_f32_e32 v1, v8, v4
	s_delay_alu instid0(VALU_DEP_4) | instskip(NEXT) | instid1(VALU_DEP_2)
	v_fmac_f32_e32 v163, v8, v3
	v_fma_f32 v164, v7, v3, -v1
	ds_load_2addr_b64 v[1:4], v21 offset0:91 offset1:92
	ds_load_2addr_b64 v[5:8], v21 offset0:93 offset1:94
	s_wait_loadcnt_dscnt 0x1
	v_mul_f32_e32 v165, v1, v10
	v_mul_f32_e32 v167, v3, v12
	s_delay_alu instid0(VALU_DEP_2) | instskip(NEXT) | instid1(VALU_DEP_2)
	v_fmac_f32_e32 v165, v2, v9
	v_dual_mul_f32 v2, v2, v10 :: v_dual_fmac_f32 v167, v4, v11
	s_delay_alu instid0(VALU_DEP_1) | instskip(SKIP_1) | instid1(VALU_DEP_1)
	v_fma_f32 v166, v1, v9, -v2
	v_mul_f32_e32 v1, v4, v12
	;; [unrolled: 25-line block ×3, first 2 shown]
	v_fma_f32 v176, v3, v11, -v1
	s_clause 0x1
	scratch_load_b128 v[1:4], off, off offset:344
	scratch_load_b128 v[9:12], off, off offset:360
	s_wait_loadcnt_dscnt 0x100
	v_mul_f32_e32 v177, v5, v2
	v_mul_f32_e32 v2, v6, v2
	s_delay_alu instid0(VALU_DEP_1) | instskip(SKIP_1) | instid1(VALU_DEP_1)
	v_fma_f32 v178, v5, v1, -v2
	v_add_f32_e32 v2, 0, v146
	v_add_f32_e32 v2, v2, v147
	s_delay_alu instid0(VALU_DEP_1) | instskip(NEXT) | instid1(VALU_DEP_1)
	v_add_f32_e32 v2, v2, v24
	v_add_f32_e32 v2, v2, v25
	s_delay_alu instid0(VALU_DEP_1) | instskip(NEXT) | instid1(VALU_DEP_1)
	v_add_f32_e32 v2, v2, v26
	v_add_f32_e32 v2, v2, v148
	v_fmac_f32_e32 v177, v6, v1
	s_delay_alu instid0(VALU_DEP_2) | instskip(NEXT) | instid1(VALU_DEP_1)
	v_add_f32_e32 v2, v2, v140
	v_dual_add_f32 v2, v2, v141 :: v_dual_mul_f32 v179, v7, v4
	s_delay_alu instid0(VALU_DEP_1) | instskip(NEXT) | instid1(VALU_DEP_1)
	v_add_f32_e32 v2, v2, v15
	v_dual_fmac_f32 v179, v8, v3 :: v_dual_add_f32 v2, v2, v18
	s_delay_alu instid0(VALU_DEP_1) | instskip(NEXT) | instid1(VALU_DEP_1)
	v_dual_mul_f32 v1, v8, v4 :: v_dual_add_f32 v2, v2, v19
	v_fma_f32 v180, v7, v3, -v1
	s_delay_alu instid0(VALU_DEP_2) | instskip(NEXT) | instid1(VALU_DEP_1)
	v_dual_add_f32 v1, 0, v22 :: v_dual_add_f32 v2, v2, v20
	v_add_f32_e32 v1, v1, v23
	s_delay_alu instid0(VALU_DEP_2) | instskip(NEXT) | instid1(VALU_DEP_2)
	v_add_f32_e32 v5, v2, v149
	v_add_f32_e32 v1, v1, v28
	s_delay_alu instid0(VALU_DEP_2) | instskip(NEXT) | instid1(VALU_DEP_2)
	v_add_f32_e32 v5, v5, v150
	v_add_f32_e32 v1, v1, v29
	scratch_load_b64 v[28:29], off, off offset:424
	v_add_f32_e32 v5, v5, v153
	v_add_f32_e32 v1, v1, v30
	s_delay_alu instid0(VALU_DEP_1) | instskip(NEXT) | instid1(VALU_DEP_1)
	v_add_f32_e32 v1, v1, v31
	v_add_f32_e32 v1, v1, v13
	s_delay_alu instid0(VALU_DEP_1) | instskip(SKIP_1) | instid1(VALU_DEP_1)
	v_add_f32_e32 v1, v1, v14
	v_add_f32_e32 v14, v5, v155
	v_dual_add_f32 v1, v1, v16 :: v_dual_add_f32 v14, v14, v157
	s_delay_alu instid0(VALU_DEP_1) | instskip(NEXT) | instid1(VALU_DEP_1)
	v_dual_add_f32 v1, v1, v17 :: v_dual_add_f32 v14, v14, v159
	v_add_f32_e32 v1, v1, v142
	s_delay_alu instid0(VALU_DEP_2) | instskip(NEXT) | instid1(VALU_DEP_2)
	v_add_f32_e32 v17, v14, v161
	v_add_f32_e32 v1, v1, v143
	s_delay_alu instid0(VALU_DEP_2) | instskip(NEXT) | instid1(VALU_DEP_2)
	v_add_f32_e32 v17, v17, v163
	v_add_f32_e32 v1, v1, v151
	s_delay_alu instid0(VALU_DEP_2) | instskip(NEXT) | instid1(VALU_DEP_2)
	v_add_f32_e32 v17, v17, v165
	v_add_f32_e32 v6, v1, v152
	ds_load_2addr_b64 v[1:4], v21 offset0:99 offset1:100
	v_dual_add_f32 v17, v17, v167 :: v_dual_add_f32 v6, v6, v154
	s_delay_alu instid0(VALU_DEP_1) | instskip(NEXT) | instid1(VALU_DEP_2)
	v_add_f32_e32 v17, v17, v169
	v_add_f32_e32 v13, v6, v156
	ds_load_2addr_b64 v[5:8], v21 offset0:101 offset1:102
	v_add_f32_e32 v22, v17, v171
	s_delay_alu instid0(VALU_DEP_1)
	v_add_f32_e32 v31, v22, v173
	v_add_f32_e32 v13, v13, v158
	ds_load_2addr_b64 v[22:25], v21 offset0:105 offset1:106
	s_wait_loadcnt_dscnt 0x102
	v_mul_f32_e32 v26, v1, v10
	v_mul_f32_e32 v10, v2, v10
	;; [unrolled: 1-line block ×4, first 2 shown]
	v_add_f32_e32 v146, v31, v175
	v_fmac_f32_e32 v26, v2, v9
	v_fma_f32 v141, v1, v9, -v10
	v_fmac_f32_e32 v140, v4, v11
	v_fma_f32 v142, v3, v11, -v12
	s_clause 0x1
	scratch_load_b128 v[1:4], off, off offset:376
	scratch_load_b128 v[9:12], off, off offset:392
	v_dual_add_f32 v13, v13, v160 :: v_dual_add_f32 v146, v146, v177
	s_delay_alu instid0(VALU_DEP_1) | instskip(NEXT) | instid1(VALU_DEP_1)
	v_dual_add_f32 v13, v13, v162 :: v_dual_add_f32 v146, v146, v179
	v_add_f32_e32 v18, v13, v164
	scratch_load_b128 v[13:16], off, off offset:408
	v_add_f32_e32 v26, v146, v26
	v_add_f32_e32 v18, v18, v166
	s_delay_alu instid0(VALU_DEP_2) | instskip(NEXT) | instid1(VALU_DEP_2)
	v_add_f32_e32 v26, v26, v140
	v_add_f32_e32 v18, v18, v168
	s_delay_alu instid0(VALU_DEP_1) | instskip(NEXT) | instid1(VALU_DEP_1)
	v_add_f32_e32 v18, v18, v170
	v_add_f32_e32 v18, v18, v172
	s_delay_alu instid0(VALU_DEP_1)
	v_add_f32_e32 v30, v18, v174
	ds_load_2addr_b64 v[17:20], v21 offset0:103 offset1:104
	s_wait_loadcnt_dscnt 0x202
	v_mul_f32_e32 v148, v7, v4
	v_add_f32_e32 v143, v30, v176
	ds_load_b64 v[30:31], v21 offset:856
	v_mul_f32_e32 v147, v5, v2
	v_mul_f32_e32 v2, v6, v2
	v_dual_fmac_f32 v148, v8, v3 :: v_dual_add_f32 v143, v143, v178
	v_mul_f32_e32 v4, v8, v4
	s_wait_loadcnt_dscnt 0x101
	v_mul_f32_e32 v146, v19, v12
	v_fma_f32 v2, v5, v1, -v2
	v_add_f32_e32 v143, v143, v180
	s_wait_loadcnt 0x0
	s_delay_alu instid0(VALU_DEP_3)
	v_dual_mul_f32 v149, v22, v14 :: v_dual_fmac_f32 v146, v20, v11
	s_wait_dscnt 0x0
	v_mul_f32_e32 v140, v30, v29
	v_fmac_f32_e32 v147, v6, v1
	v_add_f32_e32 v141, v143, v141
	v_fma_f32 v1, v7, v3, -v4
	s_delay_alu instid0(VALU_DEP_4) | instskip(NEXT) | instid1(VALU_DEP_3)
	v_fmac_f32_e32 v140, v31, v28
	v_dual_add_f32 v4, v26, v147 :: v_dual_add_f32 v141, v141, v142
	v_dual_mul_f32 v143, v17, v10 :: v_dual_mul_f32 v142, v24, v16
	v_mul_f32_e32 v3, v18, v10
	s_delay_alu instid0(VALU_DEP_3) | instskip(NEXT) | instid1(VALU_DEP_3)
	v_add_f32_e32 v2, v141, v2
	v_dual_fmac_f32 v142, v25, v15 :: v_dual_fmac_f32 v149, v23, v13
	s_delay_alu instid0(VALU_DEP_3) | instskip(NEXT) | instid1(VALU_DEP_3)
	v_fma_f32 v3, v17, v9, -v3
	v_dual_add_f32 v1, v2, v1 :: v_dual_add_f32 v2, v4, v148
	v_dual_fmac_f32 v143, v18, v9 :: v_dual_mul_f32 v4, v23, v14
	s_delay_alu instid0(VALU_DEP_1) | instskip(NEXT) | instid1(VALU_DEP_2)
	v_dual_add_f32 v2, v2, v143 :: v_dual_mul_f32 v5, v20, v12
	v_fma_f32 v4, v22, v13, -v4
	s_delay_alu instid0(VALU_DEP_2) | instskip(NEXT) | instid1(VALU_DEP_3)
	v_add_f32_e32 v2, v2, v146
	v_fma_f32 v5, v19, v11, -v5
	s_delay_alu instid0(VALU_DEP_2) | instskip(NEXT) | instid1(VALU_DEP_1)
	v_add_f32_e32 v2, v2, v149
	v_add_f32_e32 v2, v2, v142
	s_delay_alu instid0(VALU_DEP_1) | instskip(NEXT) | instid1(VALU_DEP_1)
	v_add_f32_e32 v2, v2, v140
	v_sub_f32_e32 v2, v145, v2
	v_add_f32_e32 v1, v1, v3
	v_mul_f32_e32 v3, v25, v16
	s_delay_alu instid0(VALU_DEP_2) | instskip(SKIP_1) | instid1(VALU_DEP_3)
	v_add_f32_e32 v1, v1, v5
	v_mul_f32_e32 v5, v31, v29
	v_fma_f32 v3, v24, v15, -v3
	s_delay_alu instid0(VALU_DEP_3) | instskip(NEXT) | instid1(VALU_DEP_3)
	v_add_f32_e32 v1, v1, v4
	v_fma_f32 v4, v30, v28, -v5
	s_delay_alu instid0(VALU_DEP_2) | instskip(NEXT) | instid1(VALU_DEP_1)
	v_add_f32_e32 v1, v1, v3
	v_add_f32_e32 v1, v1, v4
	s_delay_alu instid0(VALU_DEP_1)
	v_sub_f32_e32 v1, v144, v1
	scratch_store_b64 off, v[1:2], off offset:128
	v_cmpx_lt_u32_e32 15, v0
	s_cbranch_execz .LBB53_307
; %bb.306:
	scratch_load_b64 v[1:2], off, off offset:120
	v_mov_b32_e32 v22, v21
	scratch_store_b64 off, v[21:22], off offset:120
	s_wait_loadcnt 0x0
	ds_store_b64 v27, v[1:2]
.LBB53_307:
	s_wait_alu 0xfffe
	s_or_b32 exec_lo, exec_lo, s0
	s_wait_storecnt_dscnt 0x0
	s_barrier_signal -1
	s_barrier_wait -1
	global_inv scope:SCOPE_SE
	s_clause 0x4
	scratch_load_b128 v[5:8], off, off offset:128
	scratch_load_b128 v[1:4], off, off offset:144
	;; [unrolled: 1-line block ×5, first 2 shown]
	ds_load_b128 v[22:25], v21 offset:560
	ds_load_b128 v[28:31], v21 offset:576
	;; [unrolled: 1-line block ×3, first 2 shown]
	scratch_load_b64 v[144:145], off, off offset:120
	s_mov_b32 s0, exec_lo
	s_wait_loadcnt_dscnt 0x502
	v_dual_mul_f32 v26, v23, v6 :: v_dual_mul_f32 v147, v24, v8
	v_mul_f32_e32 v146, v22, v6
	v_mul_f32_e32 v6, v25, v8
	s_wait_loadcnt_dscnt 0x300
	v_mul_f32_e32 v148, v142, v12
	v_fma_f32 v22, v22, v5, -v26
	v_dual_fmac_f32 v147, v25, v7 :: v_dual_fmac_f32 v146, v23, v5
	v_mul_f32_e32 v25, v30, v4
	v_mul_f32_e32 v4, v31, v4
	v_mul_f32_e32 v26, v140, v10
	v_mul_f32_e32 v10, v141, v10
	v_mul_f32_e32 v12, v143, v12
	v_fmac_f32_e32 v25, v31, v3
	v_fma_f32 v23, v24, v7, -v6
	ds_load_b128 v[5:8], v21 offset:608
	v_mul_f32_e32 v24, v28, v2
	v_mul_f32_e32 v2, v29, v2
	v_fmac_f32_e32 v26, v141, v9
	v_fmac_f32_e32 v148, v143, v11
	v_fma_f32 v31, v142, v11, -v12
	v_fmac_f32_e32 v24, v29, v1
	v_fma_f32 v29, v30, v3, -v4
	v_fma_f32 v30, v140, v9, -v10
	ds_load_b128 v[9:12], v21 offset:624
	s_wait_loadcnt_dscnt 0x201
	v_dual_mul_f32 v141, v7, v16 :: v_dual_mul_f32 v140, v5, v14
	v_mul_f32_e32 v14, v6, v14
	v_mul_f32_e32 v16, v8, v16
	s_delay_alu instid0(VALU_DEP_3)
	v_fmac_f32_e32 v141, v8, v15
	v_fma_f32 v28, v28, v1, -v2
	scratch_load_b128 v[1:4], off, off offset:208
	v_fmac_f32_e32 v140, v6, v13
	v_fma_f32 v13, v5, v13, -v14
	v_fma_f32 v14, v7, v15, -v16
	s_wait_loadcnt_dscnt 0x200
	v_mul_f32_e32 v15, v9, v18
	v_mul_f32_e32 v16, v10, v18
	;; [unrolled: 1-line block ×4, first 2 shown]
	ds_load_b128 v[5:8], v21 offset:640
	v_fmac_f32_e32 v15, v10, v17
	v_fma_f32 v16, v9, v17, -v16
	v_fmac_f32_e32 v18, v12, v19
	v_fma_f32 v17, v11, v19, -v20
	scratch_load_b128 v[9:12], off, off offset:224
	s_wait_loadcnt_dscnt 0x100
	v_mul_f32_e32 v19, v5, v2
	v_mul_f32_e32 v2, v6, v2
	;; [unrolled: 1-line block ×3, first 2 shown]
	s_delay_alu instid0(VALU_DEP_3) | instskip(NEXT) | instid1(VALU_DEP_3)
	v_dual_mul_f32 v4, v8, v4 :: v_dual_fmac_f32 v19, v6, v1
	v_fma_f32 v142, v5, v1, -v2
	s_delay_alu instid0(VALU_DEP_3) | instskip(NEXT) | instid1(VALU_DEP_3)
	v_fmac_f32_e32 v20, v8, v3
	v_fma_f32 v143, v7, v3, -v4
	ds_load_b128 v[1:4], v21 offset:656
	ds_load_b128 v[5:8], v21 offset:672
	s_wait_loadcnt_dscnt 0x1
	v_mul_f32_e32 v149, v1, v10
	v_mul_f32_e32 v10, v2, v10
	s_delay_alu instid0(VALU_DEP_2) | instskip(NEXT) | instid1(VALU_DEP_2)
	v_dual_mul_f32 v150, v3, v12 :: v_dual_fmac_f32 v149, v2, v9
	v_fma_f32 v151, v1, v9, -v10
	v_mul_f32_e32 v1, v4, v12
	s_delay_alu instid0(VALU_DEP_3) | instskip(NEXT) | instid1(VALU_DEP_2)
	v_fmac_f32_e32 v150, v4, v11
	v_fma_f32 v152, v3, v11, -v1
	s_clause 0x1
	scratch_load_b128 v[1:4], off, off offset:240
	scratch_load_b128 v[9:12], off, off offset:256
	s_wait_loadcnt_dscnt 0x100
	v_mul_f32_e32 v153, v5, v2
	v_dual_mul_f32 v2, v6, v2 :: v_dual_mul_f32 v155, v7, v4
	s_delay_alu instid0(VALU_DEP_2) | instskip(NEXT) | instid1(VALU_DEP_2)
	v_fmac_f32_e32 v153, v6, v1
	v_fma_f32 v154, v5, v1, -v2
	v_mul_f32_e32 v1, v8, v4
	s_delay_alu instid0(VALU_DEP_4) | instskip(NEXT) | instid1(VALU_DEP_2)
	v_fmac_f32_e32 v155, v8, v3
	v_fma_f32 v156, v7, v3, -v1
	ds_load_b128 v[1:4], v21 offset:688
	ds_load_b128 v[5:8], v21 offset:704
	s_wait_loadcnt_dscnt 0x1
	v_mul_f32_e32 v157, v1, v10
	v_mul_f32_e32 v159, v3, v12
	s_delay_alu instid0(VALU_DEP_2) | instskip(NEXT) | instid1(VALU_DEP_2)
	v_fmac_f32_e32 v157, v2, v9
	v_dual_mul_f32 v2, v2, v10 :: v_dual_fmac_f32 v159, v4, v11
	s_delay_alu instid0(VALU_DEP_1) | instskip(SKIP_1) | instid1(VALU_DEP_1)
	v_fma_f32 v158, v1, v9, -v2
	v_mul_f32_e32 v1, v4, v12
	v_fma_f32 v160, v3, v11, -v1
	s_clause 0x1
	scratch_load_b128 v[1:4], off, off offset:272
	scratch_load_b128 v[9:12], off, off offset:288
	s_wait_loadcnt_dscnt 0x100
	v_mul_f32_e32 v161, v5, v2
	v_dual_mul_f32 v2, v6, v2 :: v_dual_mul_f32 v163, v7, v4
	s_delay_alu instid0(VALU_DEP_2) | instskip(NEXT) | instid1(VALU_DEP_2)
	v_fmac_f32_e32 v161, v6, v1
	v_fma_f32 v162, v5, v1, -v2
	v_mul_f32_e32 v1, v8, v4
	s_delay_alu instid0(VALU_DEP_4) | instskip(NEXT) | instid1(VALU_DEP_2)
	v_fmac_f32_e32 v163, v8, v3
	v_fma_f32 v164, v7, v3, -v1
	ds_load_b128 v[1:4], v21 offset:720
	ds_load_b128 v[5:8], v21 offset:736
	s_wait_loadcnt_dscnt 0x1
	v_mul_f32_e32 v165, v1, v10
	v_mul_f32_e32 v167, v3, v12
	s_delay_alu instid0(VALU_DEP_2) | instskip(NEXT) | instid1(VALU_DEP_2)
	v_fmac_f32_e32 v165, v2, v9
	v_dual_mul_f32 v2, v2, v10 :: v_dual_fmac_f32 v167, v4, v11
	s_delay_alu instid0(VALU_DEP_1) | instskip(SKIP_1) | instid1(VALU_DEP_1)
	v_fma_f32 v166, v1, v9, -v2
	v_mul_f32_e32 v1, v4, v12
	v_fma_f32 v168, v3, v11, -v1
	s_clause 0x1
	scratch_load_b128 v[1:4], off, off offset:304
	scratch_load_b128 v[9:12], off, off offset:320
	s_wait_loadcnt_dscnt 0x100
	v_mul_f32_e32 v169, v5, v2
	v_dual_mul_f32 v2, v6, v2 :: v_dual_mul_f32 v171, v7, v4
	s_delay_alu instid0(VALU_DEP_2) | instskip(NEXT) | instid1(VALU_DEP_2)
	v_fmac_f32_e32 v169, v6, v1
	v_fma_f32 v170, v5, v1, -v2
	v_mul_f32_e32 v1, v8, v4
	s_delay_alu instid0(VALU_DEP_4) | instskip(NEXT) | instid1(VALU_DEP_2)
	v_fmac_f32_e32 v171, v8, v3
	v_fma_f32 v172, v7, v3, -v1
	ds_load_b128 v[1:4], v21 offset:752
	ds_load_b128 v[5:8], v21 offset:768
	s_wait_loadcnt_dscnt 0x1
	v_mul_f32_e32 v173, v1, v10
	v_mul_f32_e32 v175, v3, v12
	s_delay_alu instid0(VALU_DEP_2) | instskip(NEXT) | instid1(VALU_DEP_2)
	v_fmac_f32_e32 v173, v2, v9
	v_dual_mul_f32 v2, v2, v10 :: v_dual_fmac_f32 v175, v4, v11
	s_delay_alu instid0(VALU_DEP_1) | instskip(SKIP_1) | instid1(VALU_DEP_1)
	v_fma_f32 v174, v1, v9, -v2
	v_mul_f32_e32 v1, v4, v12
	v_fma_f32 v176, v3, v11, -v1
	s_clause 0x1
	scratch_load_b128 v[1:4], off, off offset:336
	scratch_load_b128 v[9:12], off, off offset:352
	s_wait_loadcnt_dscnt 0x100
	v_mul_f32_e32 v177, v5, v2
	v_mul_f32_e32 v2, v6, v2
	s_delay_alu instid0(VALU_DEP_1) | instskip(SKIP_1) | instid1(VALU_DEP_1)
	v_fma_f32 v178, v5, v1, -v2
	v_add_f32_e32 v2, 0, v146
	v_add_f32_e32 v2, v2, v147
	s_delay_alu instid0(VALU_DEP_1) | instskip(NEXT) | instid1(VALU_DEP_1)
	v_add_f32_e32 v2, v2, v24
	v_add_f32_e32 v2, v2, v25
	s_delay_alu instid0(VALU_DEP_1) | instskip(NEXT) | instid1(VALU_DEP_1)
	v_add_f32_e32 v2, v2, v26
	v_add_f32_e32 v2, v2, v148
	v_fmac_f32_e32 v177, v6, v1
	s_delay_alu instid0(VALU_DEP_2) | instskip(NEXT) | instid1(VALU_DEP_1)
	v_add_f32_e32 v2, v2, v140
	v_dual_add_f32 v2, v2, v141 :: v_dual_mul_f32 v179, v7, v4
	s_delay_alu instid0(VALU_DEP_1) | instskip(NEXT) | instid1(VALU_DEP_1)
	v_add_f32_e32 v2, v2, v15
	v_dual_fmac_f32 v179, v8, v3 :: v_dual_add_f32 v2, v2, v18
	s_delay_alu instid0(VALU_DEP_1) | instskip(NEXT) | instid1(VALU_DEP_1)
	v_dual_mul_f32 v1, v8, v4 :: v_dual_add_f32 v2, v2, v19
	v_fma_f32 v180, v7, v3, -v1
	s_delay_alu instid0(VALU_DEP_2) | instskip(NEXT) | instid1(VALU_DEP_1)
	v_dual_add_f32 v1, 0, v22 :: v_dual_add_f32 v2, v2, v20
	v_dual_add_f32 v1, v1, v23 :: v_dual_add_f32 v2, v2, v149
	s_delay_alu instid0(VALU_DEP_1) | instskip(NEXT) | instid1(VALU_DEP_2)
	v_add_f32_e32 v1, v1, v28
	v_add_f32_e32 v5, v2, v150
	s_delay_alu instid0(VALU_DEP_2) | instskip(NEXT) | instid1(VALU_DEP_1)
	v_add_f32_e32 v1, v1, v29
	v_add_f32_e32 v1, v1, v30
	s_delay_alu instid0(VALU_DEP_1) | instskip(NEXT) | instid1(VALU_DEP_1)
	v_add_f32_e32 v1, v1, v31
	v_add_f32_e32 v1, v1, v13
	;; [unrolled: 1-line block ×3, first 2 shown]
	s_delay_alu instid0(VALU_DEP_2) | instskip(NEXT) | instid1(VALU_DEP_2)
	v_add_f32_e32 v1, v1, v14
	v_add_f32_e32 v13, v13, v155
	s_delay_alu instid0(VALU_DEP_2) | instskip(NEXT) | instid1(VALU_DEP_2)
	v_add_f32_e32 v1, v1, v16
	v_add_f32_e32 v13, v13, v157
	;; [unrolled: 3-line block ×3, first 2 shown]
	s_delay_alu instid0(VALU_DEP_1) | instskip(NEXT) | instid1(VALU_DEP_1)
	v_dual_add_f32 v18, v18, v161 :: v_dual_add_f32 v1, v1, v142
	v_add_f32_e32 v18, v18, v163
	s_delay_alu instid0(VALU_DEP_1) | instskip(NEXT) | instid1(VALU_DEP_1)
	v_dual_add_f32 v1, v1, v143 :: v_dual_add_f32 v22, v18, v165
	v_add_f32_e32 v1, v1, v151
	;; [unrolled: 3-line block ×3, first 2 shown]
	s_delay_alu instid0(VALU_DEP_2) | instskip(SKIP_4) | instid1(VALU_DEP_1)
	v_add_f32_e32 v6, v1, v154
	ds_load_b128 v[1:4], v21 offset:784
	v_add_f32_e32 v14, v6, v156
	scratch_load_b128 v[5:8], off, off offset:368
	v_add_f32_e32 v14, v14, v158
	v_add_f32_e32 v17, v14, v160
	ds_load_b128 v[13:16], v21 offset:800
	s_wait_loadcnt_dscnt 0x101
	v_mul_f32_e32 v25, v1, v10
	v_mul_f32_e32 v10, v2, v10
	;; [unrolled: 1-line block ×3, first 2 shown]
	s_delay_alu instid0(VALU_DEP_3) | instskip(NEXT) | instid1(VALU_DEP_3)
	v_dual_mul_f32 v12, v4, v12 :: v_dual_fmac_f32 v25, v2, v9
	v_fma_f32 v28, v1, v9, -v10
	s_delay_alu instid0(VALU_DEP_3) | instskip(NEXT) | instid1(VALU_DEP_3)
	v_fmac_f32_e32 v26, v4, v11
	v_fma_f32 v29, v3, v11, -v12
	s_clause 0x1
	scratch_load_b128 v[1:4], off, off offset:384
	scratch_load_b128 v[9:12], off, off offset:400
	s_wait_loadcnt_dscnt 0x200
	v_mul_f32_e32 v30, v13, v6
	v_add_f32_e32 v17, v17, v162
	v_mul_f32_e32 v6, v14, v6
	s_delay_alu instid0(VALU_DEP_2) | instskip(NEXT) | instid1(VALU_DEP_2)
	v_dual_fmac_f32 v30, v14, v5 :: v_dual_add_f32 v17, v17, v164
	v_fma_f32 v140, v13, v5, -v6
	s_delay_alu instid0(VALU_DEP_2) | instskip(NEXT) | instid1(VALU_DEP_1)
	v_add_f32_e32 v17, v17, v166
	v_add_f32_e32 v23, v17, v168
	scratch_load_b128 v[17:20], off, off offset:416
	v_mul_f32_e32 v31, v15, v8
	v_mul_f32_e32 v8, v16, v8
	s_delay_alu instid0(VALU_DEP_2) | instskip(NEXT) | instid1(VALU_DEP_2)
	v_fmac_f32_e32 v31, v16, v7
	v_fma_f32 v141, v15, v7, -v8
	ds_load_b128 v[5:8], v21 offset:816
	v_add_f32_e32 v23, v23, v170
	v_add_f32_e32 v13, v22, v171
	s_delay_alu instid0(VALU_DEP_2) | instskip(NEXT) | instid1(VALU_DEP_1)
	v_add_f32_e32 v23, v23, v172
	v_add_f32_e32 v22, v23, v174
	s_delay_alu instid0(VALU_DEP_1) | instskip(NEXT) | instid1(VALU_DEP_1)
	v_add_f32_e32 v142, v22, v176
	v_add_f32_e32 v142, v142, v178
	s_delay_alu instid0(VALU_DEP_1) | instskip(NEXT) | instid1(VALU_DEP_1)
	v_add_f32_e32 v142, v142, v180
	v_add_f32_e32 v28, v142, v28
	s_delay_alu instid0(VALU_DEP_1)
	v_add_f32_e32 v28, v28, v29
	v_add_f32_e32 v23, v13, v173
	ds_load_b128 v[13:16], v21 offset:832
	s_wait_loadcnt_dscnt 0x201
	v_mul_f32_e32 v146, v5, v2
	v_mul_f32_e32 v142, v7, v4
	v_dual_add_f32 v28, v28, v140 :: v_dual_add_f32 v143, v23, v175
	v_mul_f32_e32 v2, v6, v2
	s_delay_alu instid0(VALU_DEP_4) | instskip(NEXT) | instid1(VALU_DEP_4)
	v_fmac_f32_e32 v146, v6, v1
	v_fmac_f32_e32 v142, v8, v3
	ds_load_b128 v[21:24], v21 offset:848
	v_mul_f32_e32 v4, v8, v4
	v_fma_f32 v2, v5, v1, -v2
	v_add_f32_e32 v1, v28, v141
	s_delay_alu instid0(VALU_DEP_3) | instskip(NEXT) | instid1(VALU_DEP_2)
	v_fma_f32 v3, v7, v3, -v4
	v_add_f32_e32 v1, v1, v2
	s_wait_loadcnt_dscnt 0x101
	v_dual_mul_f32 v6, v14, v10 :: v_dual_add_f32 v143, v143, v177
	s_delay_alu instid0(VALU_DEP_2) | instskip(NEXT) | instid1(VALU_DEP_2)
	v_dual_mul_f32 v4, v16, v12 :: v_dual_add_f32 v1, v1, v3
	v_add_f32_e32 v143, v143, v179
	s_delay_alu instid0(VALU_DEP_2) | instskip(NEXT) | instid1(VALU_DEP_2)
	v_fma_f32 v4, v15, v11, -v4
	v_add_f32_e32 v25, v143, v25
	s_delay_alu instid0(VALU_DEP_1) | instskip(NEXT) | instid1(VALU_DEP_1)
	v_add_f32_e32 v25, v25, v26
	v_add_f32_e32 v25, v25, v30
	s_delay_alu instid0(VALU_DEP_1) | instskip(NEXT) | instid1(VALU_DEP_1)
	v_add_f32_e32 v5, v25, v31
	v_dual_add_f32 v2, v5, v146 :: v_dual_mul_f32 v147, v15, v12
	v_fma_f32 v5, v13, v9, -v6
	s_delay_alu instid0(VALU_DEP_2) | instskip(NEXT) | instid1(VALU_DEP_2)
	v_dual_add_f32 v2, v2, v142 :: v_dual_fmac_f32 v147, v16, v11
	v_add_f32_e32 v1, v1, v5
	s_delay_alu instid0(VALU_DEP_1) | instskip(SKIP_4) | instid1(VALU_DEP_3)
	v_add_f32_e32 v1, v1, v4
	s_wait_loadcnt_dscnt 0x0
	v_mul_f32_e32 v26, v21, v18
	v_mul_f32_e32 v143, v13, v10
	;; [unrolled: 1-line block ×3, first 2 shown]
	v_dual_mul_f32 v5, v24, v20 :: v_dual_fmac_f32 v26, v22, v17
	s_delay_alu instid0(VALU_DEP_3) | instskip(NEXT) | instid1(VALU_DEP_3)
	v_fmac_f32_e32 v143, v14, v9
	v_fma_f32 v3, v21, v17, -v3
	s_delay_alu instid0(VALU_DEP_3) | instskip(NEXT) | instid1(VALU_DEP_3)
	v_fma_f32 v4, v23, v19, -v5
	v_add_f32_e32 v2, v2, v143
	s_delay_alu instid0(VALU_DEP_3) | instskip(NEXT) | instid1(VALU_DEP_2)
	v_add_f32_e32 v1, v1, v3
	v_dual_add_f32 v2, v2, v147 :: v_dual_mul_f32 v29, v23, v20
	s_delay_alu instid0(VALU_DEP_1) | instskip(NEXT) | instid1(VALU_DEP_2)
	v_dual_add_f32 v1, v1, v4 :: v_dual_add_f32 v2, v2, v26
	v_fmac_f32_e32 v29, v24, v19
	s_delay_alu instid0(VALU_DEP_2) | instskip(NEXT) | instid1(VALU_DEP_2)
	v_sub_f32_e32 v1, v144, v1
	v_add_f32_e32 v2, v2, v29
	s_delay_alu instid0(VALU_DEP_1)
	v_sub_f32_e32 v2, v145, v2
	scratch_store_b64 off, v[1:2], off offset:120
	v_cmpx_lt_u32_e32 14, v0
	s_cbranch_execz .LBB53_309
; %bb.308:
	scratch_load_b64 v[1:2], off, off offset:112
	v_mov_b32_e32 v3, 0
	s_delay_alu instid0(VALU_DEP_1)
	v_mov_b32_e32 v4, v3
	scratch_store_b64 off, v[3:4], off offset:112
	s_wait_loadcnt 0x0
	ds_store_b64 v27, v[1:2]
.LBB53_309:
	s_wait_alu 0xfffe
	s_or_b32 exec_lo, exec_lo, s0
	s_wait_storecnt_dscnt 0x0
	s_barrier_signal -1
	s_barrier_wait -1
	global_inv scope:SCOPE_SE
	s_clause 0x4
	scratch_load_b128 v[5:8], off, off offset:120
	scratch_load_b128 v[1:4], off, off offset:136
	;; [unrolled: 1-line block ×5, first 2 shown]
	v_mov_b32_e32 v21, 0
	ds_load_2addr_b64 v[22:25], v21 offset0:69 offset1:70
	ds_load_2addr_b64 v[28:31], v21 offset0:71 offset1:72
	;; [unrolled: 1-line block ×3, first 2 shown]
	scratch_load_b64 v[144:145], off, off offset:112
	s_mov_b32 s0, exec_lo
	s_wait_loadcnt_dscnt 0x502
	v_dual_mul_f32 v146, v22, v6 :: v_dual_mul_f32 v147, v24, v8
	v_mul_f32_e32 v26, v23, v6
	v_mul_f32_e32 v6, v25, v8
	s_wait_loadcnt_dscnt 0x300
	v_mul_f32_e32 v148, v142, v12
	v_dual_fmac_f32 v146, v23, v5 :: v_dual_fmac_f32 v147, v25, v7
	v_mul_f32_e32 v25, v30, v4
	v_fma_f32 v22, v22, v5, -v26
	v_mul_f32_e32 v26, v140, v10
	v_mul_f32_e32 v4, v31, v4
	s_delay_alu instid0(VALU_DEP_4)
	v_dual_mul_f32 v10, v141, v10 :: v_dual_fmac_f32 v25, v31, v3
	v_fma_f32 v23, v24, v7, -v6
	ds_load_2addr_b64 v[5:8], v21 offset0:75 offset1:76
	v_mul_f32_e32 v24, v28, v2
	v_mul_f32_e32 v12, v143, v12
	;; [unrolled: 1-line block ×3, first 2 shown]
	v_fmac_f32_e32 v26, v141, v9
	v_fmac_f32_e32 v148, v143, v11
	v_fmac_f32_e32 v24, v29, v1
	v_fma_f32 v29, v30, v3, -v4
	v_fma_f32 v30, v140, v9, -v10
	;; [unrolled: 1-line block ×3, first 2 shown]
	ds_load_2addr_b64 v[9:12], v21 offset0:77 offset1:78
	s_wait_loadcnt_dscnt 0x201
	v_dual_mul_f32 v141, v7, v16 :: v_dual_mul_f32 v140, v5, v14
	v_mul_f32_e32 v14, v6, v14
	v_mul_f32_e32 v16, v8, v16
	s_delay_alu instid0(VALU_DEP_3)
	v_fmac_f32_e32 v141, v8, v15
	v_fma_f32 v28, v28, v1, -v2
	scratch_load_b128 v[1:4], off, off offset:200
	v_fmac_f32_e32 v140, v6, v13
	v_fma_f32 v13, v5, v13, -v14
	v_fma_f32 v14, v7, v15, -v16
	s_wait_loadcnt_dscnt 0x200
	v_mul_f32_e32 v15, v9, v18
	v_mul_f32_e32 v16, v10, v18
	;; [unrolled: 1-line block ×4, first 2 shown]
	ds_load_2addr_b64 v[5:8], v21 offset0:79 offset1:80
	v_fmac_f32_e32 v15, v10, v17
	v_fma_f32 v16, v9, v17, -v16
	v_fmac_f32_e32 v18, v12, v19
	v_fma_f32 v17, v11, v19, -v20
	scratch_load_b128 v[9:12], off, off offset:216
	s_wait_loadcnt_dscnt 0x100
	v_mul_f32_e32 v19, v5, v2
	v_mul_f32_e32 v2, v6, v2
	;; [unrolled: 1-line block ×3, first 2 shown]
	s_delay_alu instid0(VALU_DEP_3) | instskip(NEXT) | instid1(VALU_DEP_3)
	v_dual_mul_f32 v4, v8, v4 :: v_dual_fmac_f32 v19, v6, v1
	v_fma_f32 v142, v5, v1, -v2
	s_delay_alu instid0(VALU_DEP_3) | instskip(NEXT) | instid1(VALU_DEP_3)
	v_fmac_f32_e32 v20, v8, v3
	v_fma_f32 v143, v7, v3, -v4
	ds_load_2addr_b64 v[1:4], v21 offset0:81 offset1:82
	ds_load_2addr_b64 v[5:8], v21 offset0:83 offset1:84
	s_wait_loadcnt_dscnt 0x1
	v_mul_f32_e32 v149, v1, v10
	v_mul_f32_e32 v10, v2, v10
	s_delay_alu instid0(VALU_DEP_2) | instskip(NEXT) | instid1(VALU_DEP_2)
	v_dual_mul_f32 v150, v3, v12 :: v_dual_fmac_f32 v149, v2, v9
	v_fma_f32 v151, v1, v9, -v10
	v_mul_f32_e32 v1, v4, v12
	s_delay_alu instid0(VALU_DEP_3) | instskip(NEXT) | instid1(VALU_DEP_2)
	v_fmac_f32_e32 v150, v4, v11
	v_fma_f32 v152, v3, v11, -v1
	s_clause 0x1
	scratch_load_b128 v[1:4], off, off offset:232
	scratch_load_b128 v[9:12], off, off offset:248
	s_wait_loadcnt_dscnt 0x100
	v_mul_f32_e32 v153, v5, v2
	v_dual_mul_f32 v2, v6, v2 :: v_dual_mul_f32 v155, v7, v4
	s_delay_alu instid0(VALU_DEP_2) | instskip(NEXT) | instid1(VALU_DEP_2)
	v_fmac_f32_e32 v153, v6, v1
	v_fma_f32 v154, v5, v1, -v2
	v_mul_f32_e32 v1, v8, v4
	s_delay_alu instid0(VALU_DEP_4) | instskip(NEXT) | instid1(VALU_DEP_2)
	v_fmac_f32_e32 v155, v8, v3
	v_fma_f32 v156, v7, v3, -v1
	ds_load_2addr_b64 v[1:4], v21 offset0:85 offset1:86
	ds_load_2addr_b64 v[5:8], v21 offset0:87 offset1:88
	s_wait_loadcnt_dscnt 0x1
	v_mul_f32_e32 v157, v1, v10
	v_mul_f32_e32 v159, v3, v12
	s_delay_alu instid0(VALU_DEP_2) | instskip(NEXT) | instid1(VALU_DEP_2)
	v_fmac_f32_e32 v157, v2, v9
	v_dual_mul_f32 v2, v2, v10 :: v_dual_fmac_f32 v159, v4, v11
	s_delay_alu instid0(VALU_DEP_1) | instskip(SKIP_1) | instid1(VALU_DEP_1)
	v_fma_f32 v158, v1, v9, -v2
	v_mul_f32_e32 v1, v4, v12
	v_fma_f32 v160, v3, v11, -v1
	s_clause 0x1
	scratch_load_b128 v[1:4], off, off offset:264
	scratch_load_b128 v[9:12], off, off offset:280
	s_wait_loadcnt_dscnt 0x100
	v_mul_f32_e32 v161, v5, v2
	v_dual_mul_f32 v2, v6, v2 :: v_dual_mul_f32 v163, v7, v4
	s_delay_alu instid0(VALU_DEP_2) | instskip(NEXT) | instid1(VALU_DEP_2)
	v_fmac_f32_e32 v161, v6, v1
	v_fma_f32 v162, v5, v1, -v2
	v_mul_f32_e32 v1, v8, v4
	s_delay_alu instid0(VALU_DEP_4) | instskip(NEXT) | instid1(VALU_DEP_2)
	v_fmac_f32_e32 v163, v8, v3
	v_fma_f32 v164, v7, v3, -v1
	ds_load_2addr_b64 v[1:4], v21 offset0:89 offset1:90
	ds_load_2addr_b64 v[5:8], v21 offset0:91 offset1:92
	s_wait_loadcnt_dscnt 0x1
	v_mul_f32_e32 v165, v1, v10
	v_mul_f32_e32 v167, v3, v12
	s_delay_alu instid0(VALU_DEP_2) | instskip(NEXT) | instid1(VALU_DEP_2)
	v_fmac_f32_e32 v165, v2, v9
	v_dual_mul_f32 v2, v2, v10 :: v_dual_fmac_f32 v167, v4, v11
	s_delay_alu instid0(VALU_DEP_1) | instskip(SKIP_1) | instid1(VALU_DEP_1)
	v_fma_f32 v166, v1, v9, -v2
	v_mul_f32_e32 v1, v4, v12
	;; [unrolled: 25-line block ×3, first 2 shown]
	v_fma_f32 v176, v3, v11, -v1
	s_clause 0x1
	scratch_load_b128 v[1:4], off, off offset:328
	scratch_load_b128 v[9:12], off, off offset:344
	s_wait_loadcnt_dscnt 0x100
	v_mul_f32_e32 v177, v5, v2
	v_mul_f32_e32 v2, v6, v2
	s_delay_alu instid0(VALU_DEP_1) | instskip(SKIP_1) | instid1(VALU_DEP_1)
	v_fma_f32 v178, v5, v1, -v2
	v_add_f32_e32 v2, 0, v146
	v_add_f32_e32 v2, v2, v147
	s_delay_alu instid0(VALU_DEP_1) | instskip(NEXT) | instid1(VALU_DEP_1)
	v_add_f32_e32 v2, v2, v24
	v_add_f32_e32 v2, v2, v25
	s_delay_alu instid0(VALU_DEP_1) | instskip(NEXT) | instid1(VALU_DEP_1)
	v_add_f32_e32 v2, v2, v26
	v_add_f32_e32 v2, v2, v148
	v_fmac_f32_e32 v177, v6, v1
	s_delay_alu instid0(VALU_DEP_2) | instskip(NEXT) | instid1(VALU_DEP_1)
	v_add_f32_e32 v2, v2, v140
	v_dual_add_f32 v2, v2, v141 :: v_dual_mul_f32 v179, v7, v4
	s_delay_alu instid0(VALU_DEP_1) | instskip(NEXT) | instid1(VALU_DEP_1)
	v_add_f32_e32 v2, v2, v15
	v_dual_fmac_f32 v179, v8, v3 :: v_dual_add_f32 v2, v2, v18
	s_delay_alu instid0(VALU_DEP_1) | instskip(NEXT) | instid1(VALU_DEP_1)
	v_dual_mul_f32 v1, v8, v4 :: v_dual_add_f32 v2, v2, v19
	v_fma_f32 v180, v7, v3, -v1
	s_delay_alu instid0(VALU_DEP_2) | instskip(NEXT) | instid1(VALU_DEP_1)
	v_dual_add_f32 v1, 0, v22 :: v_dual_add_f32 v2, v2, v20
	v_dual_add_f32 v1, v1, v23 :: v_dual_add_f32 v2, v2, v149
	s_delay_alu instid0(VALU_DEP_1) | instskip(NEXT) | instid1(VALU_DEP_2)
	v_add_f32_e32 v1, v1, v28
	v_add_f32_e32 v5, v2, v150
	s_delay_alu instid0(VALU_DEP_2) | instskip(SKIP_2) | instid1(VALU_DEP_1)
	v_add_f32_e32 v1, v1, v29
	scratch_load_b64 v[28:29], off, off offset:424
	v_add_f32_e32 v1, v1, v30
	v_add_f32_e32 v1, v1, v31
	s_delay_alu instid0(VALU_DEP_1) | instskip(SKIP_1) | instid1(VALU_DEP_2)
	v_add_f32_e32 v1, v1, v13
	v_add_f32_e32 v13, v5, v153
	;; [unrolled: 1-line block ×3, first 2 shown]
	s_delay_alu instid0(VALU_DEP_2) | instskip(NEXT) | instid1(VALU_DEP_2)
	v_add_f32_e32 v13, v13, v155
	v_add_f32_e32 v1, v1, v16
	s_delay_alu instid0(VALU_DEP_2) | instskip(NEXT) | instid1(VALU_DEP_2)
	v_add_f32_e32 v13, v13, v157
	v_add_f32_e32 v1, v1, v17
	s_delay_alu instid0(VALU_DEP_2) | instskip(NEXT) | instid1(VALU_DEP_1)
	v_add_f32_e32 v18, v13, v159
	v_dual_add_f32 v1, v1, v142 :: v_dual_add_f32 v18, v18, v161
	s_delay_alu instid0(VALU_DEP_1) | instskip(NEXT) | instid1(VALU_DEP_1)
	v_add_f32_e32 v18, v18, v163
	v_dual_add_f32 v1, v1, v143 :: v_dual_add_f32 v22, v18, v165
	s_delay_alu instid0(VALU_DEP_1) | instskip(NEXT) | instid1(VALU_DEP_2)
	v_add_f32_e32 v22, v22, v167
	v_add_f32_e32 v1, v1, v151
	s_delay_alu instid0(VALU_DEP_1) | instskip(NEXT) | instid1(VALU_DEP_1)
	v_add_f32_e32 v1, v1, v152
	v_add_f32_e32 v6, v1, v154
	scratch_load_b128 v[1:4], off, off offset:360
	v_add_f32_e32 v22, v22, v169
	v_add_f32_e32 v14, v6, v156
	ds_load_2addr_b64 v[5:8], v21 offset0:97 offset1:98
	v_add_f32_e32 v22, v22, v171
	v_add_f32_e32 v14, v14, v158
	s_delay_alu instid0(VALU_DEP_1)
	v_add_f32_e32 v17, v14, v160
	ds_load_2addr_b64 v[13:16], v21 offset0:99 offset1:100
	s_wait_loadcnt_dscnt 0x201
	v_mul_f32_e32 v26, v5, v10
	v_mul_f32_e32 v10, v6, v10
	;; [unrolled: 1-line block ×4, first 2 shown]
	s_delay_alu instid0(VALU_DEP_4) | instskip(NEXT) | instid1(VALU_DEP_4)
	v_fmac_f32_e32 v26, v6, v9
	v_fma_f32 v141, v5, v9, -v10
	s_delay_alu instid0(VALU_DEP_4) | instskip(NEXT) | instid1(VALU_DEP_4)
	v_fmac_f32_e32 v140, v8, v11
	v_fma_f32 v142, v7, v11, -v12
	s_clause 0x1
	scratch_load_b128 v[5:8], off, off offset:376
	scratch_load_b128 v[9:12], off, off offset:392
	s_wait_loadcnt_dscnt 0x200
	v_dual_mul_f32 v146, v15, v4 :: v_dual_mul_f32 v143, v13, v2
	v_mul_f32_e32 v2, v14, v2
	v_mul_f32_e32 v4, v16, v4
	s_delay_alu instid0(VALU_DEP_3) | instskip(NEXT) | instid1(VALU_DEP_3)
	v_dual_fmac_f32 v146, v16, v3 :: v_dual_add_f32 v17, v17, v162
	v_fma_f32 v147, v13, v1, -v2
	v_add_f32_e32 v13, v22, v173
	v_fmac_f32_e32 v143, v14, v1
	v_fma_f32 v148, v15, v3, -v4
	v_add_f32_e32 v17, v17, v164
	ds_load_2addr_b64 v[1:4], v21 offset0:101 offset1:102
	v_add_f32_e32 v22, v13, v175
	v_add_f32_e32 v17, v17, v166
	s_delay_alu instid0(VALU_DEP_2) | instskip(NEXT) | instid1(VALU_DEP_2)
	v_add_f32_e32 v31, v22, v177
	v_add_f32_e32 v23, v17, v168
	scratch_load_b128 v[17:20], off, off offset:408
	v_add_f32_e32 v150, v31, v179
	s_delay_alu instid0(VALU_DEP_1) | instskip(NEXT) | instid1(VALU_DEP_1)
	v_add_f32_e32 v26, v150, v26
	v_dual_add_f32 v23, v23, v170 :: v_dual_add_f32 v26, v26, v140
	s_delay_alu instid0(VALU_DEP_1) | instskip(NEXT) | instid1(VALU_DEP_1)
	v_dual_add_f32 v23, v23, v172 :: v_dual_add_f32 v26, v26, v143
	v_add_f32_e32 v23, v23, v174
	s_delay_alu instid0(VALU_DEP_2) | instskip(NEXT) | instid1(VALU_DEP_2)
	v_add_f32_e32 v26, v26, v146
	v_add_f32_e32 v14, v23, v176
	ds_load_2addr_b64 v[22:25], v21 offset0:105 offset1:106
	v_add_f32_e32 v30, v14, v178
	ds_load_2addr_b64 v[13:16], v21 offset0:103 offset1:104
	s_wait_loadcnt_dscnt 0x202
	v_mul_f32_e32 v140, v3, v8
	v_mul_f32_e32 v8, v4, v8
	v_add_f32_e32 v149, v30, v180
	ds_load_b64 v[30:31], v21 offset:856
	v_dual_fmac_f32 v140, v4, v7 :: v_dual_add_f32 v141, v149, v141
	v_mul_f32_e32 v149, v1, v6
	v_mul_f32_e32 v6, v2, v6
	s_delay_alu instid0(VALU_DEP_1)
	v_fma_f32 v1, v1, v5, -v6
	s_wait_loadcnt_dscnt 0x100
	v_dual_mul_f32 v143, v15, v12 :: v_dual_mul_f32 v146, v30, v29
	v_fmac_f32_e32 v149, v2, v5
	v_add_f32_e32 v141, v141, v142
	v_mul_f32_e32 v142, v13, v10
	v_fma_f32 v2, v3, v7, -v8
	v_dual_fmac_f32 v143, v16, v11 :: v_dual_fmac_f32 v146, v31, v28
	s_delay_alu instid0(VALU_DEP_4) | instskip(NEXT) | instid1(VALU_DEP_1)
	v_dual_add_f32 v4, v26, v149 :: v_dual_add_f32 v141, v141, v147
	v_dual_fmac_f32 v142, v14, v9 :: v_dual_add_f32 v141, v141, v148
	s_delay_alu instid0(VALU_DEP_1) | instskip(NEXT) | instid1(VALU_DEP_1)
	v_add_f32_e32 v1, v141, v1
	v_dual_add_f32 v1, v1, v2 :: v_dual_add_f32 v2, v4, v140
	s_delay_alu instid0(VALU_DEP_1) | instskip(NEXT) | instid1(VALU_DEP_1)
	v_dual_add_f32 v2, v2, v142 :: v_dual_mul_f32 v5, v16, v12
	v_add_f32_e32 v2, v2, v143
	s_delay_alu instid0(VALU_DEP_2) | instskip(SKIP_4) | instid1(VALU_DEP_3)
	v_fma_f32 v5, v15, v11, -v5
	s_wait_loadcnt 0x0
	v_dual_mul_f32 v147, v22, v18 :: v_dual_mul_f32 v148, v24, v20
	v_mul_f32_e32 v3, v14, v10
	v_mul_f32_e32 v4, v23, v18
	v_dual_fmac_f32 v147, v23, v17 :: v_dual_fmac_f32 v148, v25, v19
	s_delay_alu instid0(VALU_DEP_3) | instskip(NEXT) | instid1(VALU_DEP_3)
	v_fma_f32 v3, v13, v9, -v3
	v_fma_f32 v4, v22, v17, -v4
	s_delay_alu instid0(VALU_DEP_3) | instskip(NEXT) | instid1(VALU_DEP_1)
	v_add_f32_e32 v2, v2, v147
	v_dual_add_f32 v1, v1, v3 :: v_dual_add_f32 v2, v2, v148
	v_mul_f32_e32 v3, v25, v20
	s_delay_alu instid0(VALU_DEP_2) | instskip(NEXT) | instid1(VALU_DEP_3)
	v_add_f32_e32 v1, v1, v5
	v_dual_mul_f32 v5, v31, v29 :: v_dual_add_f32 v2, v2, v146
	s_delay_alu instid0(VALU_DEP_3) | instskip(NEXT) | instid1(VALU_DEP_3)
	v_fma_f32 v3, v24, v19, -v3
	v_add_f32_e32 v1, v1, v4
	s_delay_alu instid0(VALU_DEP_3) | instskip(NEXT) | instid1(VALU_DEP_4)
	v_fma_f32 v4, v30, v28, -v5
	v_sub_f32_e32 v2, v145, v2
	s_delay_alu instid0(VALU_DEP_3) | instskip(NEXT) | instid1(VALU_DEP_1)
	v_add_f32_e32 v1, v1, v3
	v_add_f32_e32 v1, v1, v4
	s_delay_alu instid0(VALU_DEP_1)
	v_sub_f32_e32 v1, v144, v1
	scratch_store_b64 off, v[1:2], off offset:112
	v_cmpx_lt_u32_e32 13, v0
	s_cbranch_execz .LBB53_311
; %bb.310:
	scratch_load_b64 v[1:2], off, off offset:104
	v_mov_b32_e32 v22, v21
	scratch_store_b64 off, v[21:22], off offset:104
	s_wait_loadcnt 0x0
	ds_store_b64 v27, v[1:2]
.LBB53_311:
	s_wait_alu 0xfffe
	s_or_b32 exec_lo, exec_lo, s0
	s_wait_storecnt_dscnt 0x0
	s_barrier_signal -1
	s_barrier_wait -1
	global_inv scope:SCOPE_SE
	s_clause 0x4
	scratch_load_b128 v[5:8], off, off offset:112
	scratch_load_b128 v[1:4], off, off offset:128
	;; [unrolled: 1-line block ×5, first 2 shown]
	ds_load_b128 v[22:25], v21 offset:544
	ds_load_b128 v[28:31], v21 offset:560
	;; [unrolled: 1-line block ×3, first 2 shown]
	scratch_load_b64 v[144:145], off, off offset:104
	s_mov_b32 s0, exec_lo
	s_wait_loadcnt_dscnt 0x502
	v_dual_mul_f32 v26, v23, v6 :: v_dual_mul_f32 v147, v24, v8
	v_mul_f32_e32 v146, v22, v6
	v_mul_f32_e32 v6, v25, v8
	s_wait_loadcnt_dscnt 0x300
	v_mul_f32_e32 v148, v142, v12
	v_fma_f32 v22, v22, v5, -v26
	v_dual_fmac_f32 v147, v25, v7 :: v_dual_fmac_f32 v146, v23, v5
	v_mul_f32_e32 v25, v30, v4
	v_mul_f32_e32 v4, v31, v4
	;; [unrolled: 1-line block ×5, first 2 shown]
	v_fmac_f32_e32 v25, v31, v3
	v_fma_f32 v23, v24, v7, -v6
	ds_load_b128 v[5:8], v21 offset:592
	v_mul_f32_e32 v24, v28, v2
	v_mul_f32_e32 v2, v29, v2
	v_fmac_f32_e32 v26, v141, v9
	v_fmac_f32_e32 v148, v143, v11
	v_fma_f32 v31, v142, v11, -v12
	v_fmac_f32_e32 v24, v29, v1
	v_fma_f32 v29, v30, v3, -v4
	v_fma_f32 v30, v140, v9, -v10
	ds_load_b128 v[9:12], v21 offset:608
	s_wait_loadcnt_dscnt 0x201
	v_dual_mul_f32 v141, v7, v16 :: v_dual_mul_f32 v140, v5, v14
	v_mul_f32_e32 v14, v6, v14
	v_mul_f32_e32 v16, v8, v16
	s_delay_alu instid0(VALU_DEP_3)
	v_fmac_f32_e32 v141, v8, v15
	v_fma_f32 v28, v28, v1, -v2
	scratch_load_b128 v[1:4], off, off offset:192
	v_fmac_f32_e32 v140, v6, v13
	v_fma_f32 v13, v5, v13, -v14
	v_fma_f32 v14, v7, v15, -v16
	s_wait_loadcnt_dscnt 0x200
	v_mul_f32_e32 v15, v9, v18
	v_mul_f32_e32 v16, v10, v18
	v_mul_f32_e32 v18, v11, v20
	v_mul_f32_e32 v20, v12, v20
	ds_load_b128 v[5:8], v21 offset:624
	v_fmac_f32_e32 v15, v10, v17
	v_fma_f32 v16, v9, v17, -v16
	v_fmac_f32_e32 v18, v12, v19
	v_fma_f32 v17, v11, v19, -v20
	scratch_load_b128 v[9:12], off, off offset:208
	s_wait_loadcnt_dscnt 0x100
	v_mul_f32_e32 v19, v5, v2
	v_mul_f32_e32 v2, v6, v2
	;; [unrolled: 1-line block ×3, first 2 shown]
	s_delay_alu instid0(VALU_DEP_3) | instskip(NEXT) | instid1(VALU_DEP_3)
	v_dual_mul_f32 v4, v8, v4 :: v_dual_fmac_f32 v19, v6, v1
	v_fma_f32 v142, v5, v1, -v2
	s_delay_alu instid0(VALU_DEP_3) | instskip(NEXT) | instid1(VALU_DEP_3)
	v_fmac_f32_e32 v20, v8, v3
	v_fma_f32 v143, v7, v3, -v4
	ds_load_b128 v[1:4], v21 offset:640
	ds_load_b128 v[5:8], v21 offset:656
	s_wait_loadcnt_dscnt 0x1
	v_mul_f32_e32 v149, v1, v10
	v_mul_f32_e32 v10, v2, v10
	s_delay_alu instid0(VALU_DEP_2) | instskip(NEXT) | instid1(VALU_DEP_2)
	v_dual_mul_f32 v150, v3, v12 :: v_dual_fmac_f32 v149, v2, v9
	v_fma_f32 v151, v1, v9, -v10
	v_mul_f32_e32 v1, v4, v12
	s_delay_alu instid0(VALU_DEP_3) | instskip(NEXT) | instid1(VALU_DEP_2)
	v_fmac_f32_e32 v150, v4, v11
	v_fma_f32 v152, v3, v11, -v1
	s_clause 0x1
	scratch_load_b128 v[1:4], off, off offset:224
	scratch_load_b128 v[9:12], off, off offset:240
	s_wait_loadcnt_dscnt 0x100
	v_mul_f32_e32 v153, v5, v2
	v_dual_mul_f32 v2, v6, v2 :: v_dual_mul_f32 v155, v7, v4
	s_delay_alu instid0(VALU_DEP_2) | instskip(NEXT) | instid1(VALU_DEP_2)
	v_fmac_f32_e32 v153, v6, v1
	v_fma_f32 v154, v5, v1, -v2
	v_mul_f32_e32 v1, v8, v4
	s_delay_alu instid0(VALU_DEP_4) | instskip(NEXT) | instid1(VALU_DEP_2)
	v_fmac_f32_e32 v155, v8, v3
	v_fma_f32 v156, v7, v3, -v1
	ds_load_b128 v[1:4], v21 offset:672
	ds_load_b128 v[5:8], v21 offset:688
	s_wait_loadcnt_dscnt 0x1
	v_mul_f32_e32 v157, v1, v10
	v_mul_f32_e32 v159, v3, v12
	s_delay_alu instid0(VALU_DEP_2) | instskip(NEXT) | instid1(VALU_DEP_2)
	v_fmac_f32_e32 v157, v2, v9
	v_dual_mul_f32 v2, v2, v10 :: v_dual_fmac_f32 v159, v4, v11
	s_delay_alu instid0(VALU_DEP_1) | instskip(SKIP_1) | instid1(VALU_DEP_1)
	v_fma_f32 v158, v1, v9, -v2
	v_mul_f32_e32 v1, v4, v12
	v_fma_f32 v160, v3, v11, -v1
	s_clause 0x1
	scratch_load_b128 v[1:4], off, off offset:256
	scratch_load_b128 v[9:12], off, off offset:272
	s_wait_loadcnt_dscnt 0x100
	v_mul_f32_e32 v161, v5, v2
	v_dual_mul_f32 v2, v6, v2 :: v_dual_mul_f32 v163, v7, v4
	s_delay_alu instid0(VALU_DEP_2) | instskip(NEXT) | instid1(VALU_DEP_2)
	v_fmac_f32_e32 v161, v6, v1
	v_fma_f32 v162, v5, v1, -v2
	v_mul_f32_e32 v1, v8, v4
	s_delay_alu instid0(VALU_DEP_4) | instskip(NEXT) | instid1(VALU_DEP_2)
	v_fmac_f32_e32 v163, v8, v3
	v_fma_f32 v164, v7, v3, -v1
	ds_load_b128 v[1:4], v21 offset:704
	ds_load_b128 v[5:8], v21 offset:720
	s_wait_loadcnt_dscnt 0x1
	v_mul_f32_e32 v165, v1, v10
	v_mul_f32_e32 v167, v3, v12
	s_delay_alu instid0(VALU_DEP_2) | instskip(NEXT) | instid1(VALU_DEP_2)
	v_fmac_f32_e32 v165, v2, v9
	v_dual_mul_f32 v2, v2, v10 :: v_dual_fmac_f32 v167, v4, v11
	s_delay_alu instid0(VALU_DEP_1) | instskip(SKIP_1) | instid1(VALU_DEP_1)
	v_fma_f32 v166, v1, v9, -v2
	v_mul_f32_e32 v1, v4, v12
	v_fma_f32 v168, v3, v11, -v1
	s_clause 0x1
	scratch_load_b128 v[1:4], off, off offset:288
	scratch_load_b128 v[9:12], off, off offset:304
	s_wait_loadcnt_dscnt 0x100
	v_mul_f32_e32 v169, v5, v2
	v_dual_mul_f32 v2, v6, v2 :: v_dual_mul_f32 v171, v7, v4
	s_delay_alu instid0(VALU_DEP_2) | instskip(NEXT) | instid1(VALU_DEP_2)
	v_fmac_f32_e32 v169, v6, v1
	v_fma_f32 v170, v5, v1, -v2
	v_mul_f32_e32 v1, v8, v4
	s_delay_alu instid0(VALU_DEP_4) | instskip(NEXT) | instid1(VALU_DEP_2)
	v_fmac_f32_e32 v171, v8, v3
	v_fma_f32 v172, v7, v3, -v1
	ds_load_b128 v[1:4], v21 offset:736
	ds_load_b128 v[5:8], v21 offset:752
	s_wait_loadcnt_dscnt 0x1
	v_mul_f32_e32 v173, v1, v10
	v_mul_f32_e32 v175, v3, v12
	s_delay_alu instid0(VALU_DEP_2) | instskip(NEXT) | instid1(VALU_DEP_2)
	v_fmac_f32_e32 v173, v2, v9
	v_dual_mul_f32 v2, v2, v10 :: v_dual_fmac_f32 v175, v4, v11
	s_delay_alu instid0(VALU_DEP_1) | instskip(SKIP_1) | instid1(VALU_DEP_1)
	v_fma_f32 v174, v1, v9, -v2
	v_mul_f32_e32 v1, v4, v12
	v_fma_f32 v176, v3, v11, -v1
	s_clause 0x1
	scratch_load_b128 v[1:4], off, off offset:320
	scratch_load_b128 v[9:12], off, off offset:336
	s_wait_loadcnt_dscnt 0x100
	v_mul_f32_e32 v177, v5, v2
	v_dual_mul_f32 v2, v6, v2 :: v_dual_mul_f32 v179, v7, v4
	s_delay_alu instid0(VALU_DEP_2) | instskip(NEXT) | instid1(VALU_DEP_2)
	v_fmac_f32_e32 v177, v6, v1
	v_fma_f32 v178, v5, v1, -v2
	v_mul_f32_e32 v1, v8, v4
	s_delay_alu instid0(VALU_DEP_4) | instskip(NEXT) | instid1(VALU_DEP_2)
	v_fmac_f32_e32 v179, v8, v3
	v_fma_f32 v180, v7, v3, -v1
	ds_load_b128 v[1:4], v21 offset:768
	ds_load_b128 v[5:8], v21 offset:784
	s_wait_loadcnt_dscnt 0x1
	v_mul_f32_e32 v181, v1, v10
	v_mul_f32_e32 v183, v3, v12
	s_delay_alu instid0(VALU_DEP_2) | instskip(NEXT) | instid1(VALU_DEP_2)
	v_fmac_f32_e32 v181, v2, v9
	v_dual_mul_f32 v2, v2, v10 :: v_dual_fmac_f32 v183, v4, v11
	s_delay_alu instid0(VALU_DEP_1) | instskip(SKIP_1) | instid1(VALU_DEP_1)
	v_fma_f32 v182, v1, v9, -v2
	v_mul_f32_e32 v1, v4, v12
	v_fma_f32 v184, v3, v11, -v1
	s_clause 0x1
	scratch_load_b128 v[1:4], off, off offset:352
	scratch_load_b128 v[9:12], off, off offset:368
	s_wait_loadcnt_dscnt 0x100
	v_mul_f32_e32 v185, v5, v2
	v_mul_f32_e32 v2, v6, v2
	s_delay_alu instid0(VALU_DEP_1) | instskip(SKIP_1) | instid1(VALU_DEP_1)
	v_fma_f32 v186, v5, v1, -v2
	v_add_f32_e32 v2, 0, v146
	v_add_f32_e32 v2, v2, v147
	s_delay_alu instid0(VALU_DEP_1) | instskip(NEXT) | instid1(VALU_DEP_1)
	v_add_f32_e32 v2, v2, v24
	v_add_f32_e32 v2, v2, v25
	s_delay_alu instid0(VALU_DEP_1) | instskip(NEXT) | instid1(VALU_DEP_1)
	;; [unrolled: 3-line block ×5, first 2 shown]
	v_add_f32_e32 v2, v2, v19
	v_add_f32_e32 v2, v2, v20
	s_delay_alu instid0(VALU_DEP_1) | instskip(SKIP_1) | instid1(VALU_DEP_2)
	v_dual_add_f32 v2, v2, v149 :: v_dual_mul_f32 v187, v7, v4
	v_fmac_f32_e32 v185, v6, v1
	v_dual_add_f32 v2, v2, v150 :: v_dual_fmac_f32 v187, v8, v3
	s_delay_alu instid0(VALU_DEP_1) | instskip(NEXT) | instid1(VALU_DEP_1)
	v_dual_add_f32 v2, v2, v153 :: v_dual_mul_f32 v1, v8, v4
	v_add_f32_e32 v2, v2, v155
	s_delay_alu instid0(VALU_DEP_2) | instskip(SKIP_1) | instid1(VALU_DEP_1)
	v_fma_f32 v188, v7, v3, -v1
	v_add_f32_e32 v1, 0, v22
	v_add_f32_e32 v1, v1, v23
	s_delay_alu instid0(VALU_DEP_1) | instskip(NEXT) | instid1(VALU_DEP_1)
	v_add_f32_e32 v1, v1, v28
	v_add_f32_e32 v1, v1, v29
	s_delay_alu instid0(VALU_DEP_1) | instskip(NEXT) | instid1(VALU_DEP_1)
	;; [unrolled: 3-line block ×10, first 2 shown]
	v_add_f32_e32 v13, v13, v166
	v_add_f32_e32 v13, v13, v168
	s_delay_alu instid0(VALU_DEP_1) | instskip(SKIP_3) | instid1(VALU_DEP_1)
	v_add_f32_e32 v13, v13, v170
	v_add_f32_e32 v5, v2, v157
	ds_load_b128 v[1:4], v21 offset:800
	v_add_f32_e32 v18, v13, v172
	v_dual_add_f32 v5, v5, v159 :: v_dual_add_f32 v18, v18, v174
	s_delay_alu instid0(VALU_DEP_1) | instskip(NEXT) | instid1(VALU_DEP_1)
	v_dual_add_f32 v5, v5, v161 :: v_dual_add_f32 v18, v18, v176
	v_add_f32_e32 v14, v5, v163
	ds_load_b128 v[5:8], v21 offset:816
	v_add_f32_e32 v22, v18, v178
	v_add_f32_e32 v14, v14, v165
	s_wait_loadcnt_dscnt 0x1
	v_mul_f32_e32 v26, v3, v12
	v_mul_f32_e32 v12, v4, v12
	v_add_f32_e32 v30, v22, v180
	v_add_f32_e32 v14, v14, v167
	s_delay_alu instid0(VALU_DEP_4) | instskip(NEXT) | instid1(VALU_DEP_4)
	v_fmac_f32_e32 v26, v4, v11
	v_fma_f32 v29, v3, v11, -v12
	s_delay_alu instid0(VALU_DEP_4) | instskip(NEXT) | instid1(VALU_DEP_4)
	v_add_f32_e32 v30, v30, v182
	v_add_f32_e32 v17, v14, v169
	scratch_load_b128 v[13:16], off, off offset:416
	v_dual_add_f32 v30, v30, v184 :: v_dual_add_f32 v17, v17, v171
	s_delay_alu instid0(VALU_DEP_1) | instskip(NEXT) | instid1(VALU_DEP_1)
	v_dual_add_f32 v30, v30, v186 :: v_dual_add_f32 v17, v17, v173
	v_dual_add_f32 v30, v30, v188 :: v_dual_add_f32 v17, v17, v175
	s_delay_alu instid0(VALU_DEP_1) | instskip(SKIP_3) | instid1(VALU_DEP_2)
	v_add_f32_e32 v23, v17, v177
	ds_load_b128 v[17:20], v21 offset:832
	v_mul_f32_e32 v25, v1, v10
	v_mul_f32_e32 v10, v2, v10
	v_fmac_f32_e32 v25, v2, v9
	s_delay_alu instid0(VALU_DEP_2)
	v_fma_f32 v28, v1, v9, -v10
	s_clause 0x1
	scratch_load_b128 v[1:4], off, off offset:384
	scratch_load_b128 v[9:12], off, off offset:400
	v_add_f32_e32 v28, v30, v28
	s_wait_loadcnt_dscnt 0x101
	v_mul_f32_e32 v140, v5, v2
	s_wait_loadcnt_dscnt 0x0
	v_mul_f32_e32 v142, v17, v10
	v_dual_mul_f32 v2, v6, v2 :: v_dual_mul_f32 v141, v7, v4
	v_mul_f32_e32 v4, v8, v4
	v_dual_fmac_f32 v140, v6, v1 :: v_dual_add_f32 v31, v23, v179
	ds_load_b128 v[21:24], v21 offset:848
	v_fma_f32 v2, v5, v1, -v2
	v_dual_add_f32 v1, v28, v29 :: v_dual_mul_f32 v6, v18, v10
	v_fmac_f32_e32 v141, v8, v3
	v_fma_f32 v3, v7, v3, -v4
	v_mul_f32_e32 v143, v19, v12
	s_delay_alu instid0(VALU_DEP_4) | instskip(NEXT) | instid1(VALU_DEP_2)
	v_dual_add_f32 v1, v1, v2 :: v_dual_mul_f32 v4, v20, v12
	v_dual_fmac_f32 v142, v18, v9 :: v_dual_fmac_f32 v143, v20, v11
	s_delay_alu instid0(VALU_DEP_2) | instskip(NEXT) | instid1(VALU_DEP_3)
	v_add_f32_e32 v1, v1, v3
	v_fma_f32 v4, v19, v11, -v4
	s_wait_dscnt 0x0
	v_mul_f32_e32 v30, v23, v16
	v_mul_f32_e32 v146, v21, v14
	s_delay_alu instid0(VALU_DEP_2) | instskip(SKIP_1) | instid1(VALU_DEP_3)
	v_dual_mul_f32 v3, v22, v14 :: v_dual_fmac_f32 v30, v24, v15
	v_add_f32_e32 v31, v31, v181
	v_fmac_f32_e32 v146, v22, v13
	s_delay_alu instid0(VALU_DEP_3) | instskip(NEXT) | instid1(VALU_DEP_3)
	v_fma_f32 v3, v21, v13, -v3
	v_add_f32_e32 v31, v31, v183
	s_delay_alu instid0(VALU_DEP_1) | instskip(NEXT) | instid1(VALU_DEP_1)
	v_add_f32_e32 v31, v31, v185
	v_add_f32_e32 v31, v31, v187
	s_delay_alu instid0(VALU_DEP_1) | instskip(NEXT) | instid1(VALU_DEP_1)
	v_add_f32_e32 v25, v31, v25
	v_add_f32_e32 v5, v25, v26
	s_delay_alu instid0(VALU_DEP_1) | instskip(SKIP_1) | instid1(VALU_DEP_2)
	v_add_f32_e32 v2, v5, v140
	v_fma_f32 v5, v17, v9, -v6
	v_add_f32_e32 v2, v2, v141
	s_delay_alu instid0(VALU_DEP_2) | instskip(NEXT) | instid1(VALU_DEP_2)
	v_add_f32_e32 v1, v1, v5
	v_dual_mul_f32 v5, v24, v16 :: v_dual_add_f32 v2, v2, v142
	s_delay_alu instid0(VALU_DEP_2) | instskip(NEXT) | instid1(VALU_DEP_2)
	v_add_f32_e32 v1, v1, v4
	v_fma_f32 v4, v23, v15, -v5
	s_delay_alu instid0(VALU_DEP_3) | instskip(NEXT) | instid1(VALU_DEP_1)
	v_add_f32_e32 v2, v2, v143
	v_dual_add_f32 v1, v1, v3 :: v_dual_add_f32 v2, v2, v146
	s_delay_alu instid0(VALU_DEP_1) | instskip(NEXT) | instid1(VALU_DEP_1)
	v_dual_add_f32 v1, v1, v4 :: v_dual_add_f32 v2, v2, v30
	v_dual_sub_f32 v1, v144, v1 :: v_dual_sub_f32 v2, v145, v2
	scratch_store_b64 off, v[1:2], off offset:104
	v_cmpx_lt_u32_e32 12, v0
	s_cbranch_execz .LBB53_313
; %bb.312:
	scratch_load_b64 v[1:2], off, off offset:96
	v_mov_b32_e32 v3, 0
	s_delay_alu instid0(VALU_DEP_1)
	v_mov_b32_e32 v4, v3
	scratch_store_b64 off, v[3:4], off offset:96
	s_wait_loadcnt 0x0
	ds_store_b64 v27, v[1:2]
.LBB53_313:
	s_wait_alu 0xfffe
	s_or_b32 exec_lo, exec_lo, s0
	s_wait_storecnt_dscnt 0x0
	s_barrier_signal -1
	s_barrier_wait -1
	global_inv scope:SCOPE_SE
	s_clause 0x4
	scratch_load_b128 v[5:8], off, off offset:104
	scratch_load_b128 v[1:4], off, off offset:120
	scratch_load_b128 v[9:12], off, off offset:136
	scratch_load_b128 v[13:16], off, off offset:152
	scratch_load_b128 v[17:20], off, off offset:168
	v_mov_b32_e32 v21, 0
	ds_load_2addr_b64 v[22:25], v21 offset0:67 offset1:68
	ds_load_2addr_b64 v[28:31], v21 offset0:69 offset1:70
	;; [unrolled: 1-line block ×3, first 2 shown]
	scratch_load_b64 v[144:145], off, off offset:96
	s_mov_b32 s0, exec_lo
	s_wait_loadcnt_dscnt 0x502
	v_dual_mul_f32 v146, v22, v6 :: v_dual_mul_f32 v147, v24, v8
	v_mul_f32_e32 v26, v23, v6
	v_mul_f32_e32 v6, v25, v8
	s_wait_loadcnt_dscnt 0x300
	v_mul_f32_e32 v148, v142, v12
	v_dual_fmac_f32 v146, v23, v5 :: v_dual_fmac_f32 v147, v25, v7
	v_mul_f32_e32 v25, v30, v4
	v_fma_f32 v22, v22, v5, -v26
	v_mul_f32_e32 v26, v140, v10
	v_mul_f32_e32 v4, v31, v4
	s_delay_alu instid0(VALU_DEP_4)
	v_dual_mul_f32 v10, v141, v10 :: v_dual_fmac_f32 v25, v31, v3
	v_fma_f32 v23, v24, v7, -v6
	ds_load_2addr_b64 v[5:8], v21 offset0:73 offset1:74
	v_mul_f32_e32 v24, v28, v2
	v_mul_f32_e32 v12, v143, v12
	;; [unrolled: 1-line block ×3, first 2 shown]
	v_fmac_f32_e32 v26, v141, v9
	v_fmac_f32_e32 v148, v143, v11
	;; [unrolled: 1-line block ×3, first 2 shown]
	v_fma_f32 v29, v30, v3, -v4
	v_fma_f32 v30, v140, v9, -v10
	;; [unrolled: 1-line block ×3, first 2 shown]
	ds_load_2addr_b64 v[9:12], v21 offset0:75 offset1:76
	s_wait_loadcnt_dscnt 0x201
	v_dual_mul_f32 v141, v7, v16 :: v_dual_mul_f32 v140, v5, v14
	v_mul_f32_e32 v14, v6, v14
	v_mul_f32_e32 v16, v8, v16
	s_delay_alu instid0(VALU_DEP_3)
	v_fmac_f32_e32 v141, v8, v15
	v_fma_f32 v28, v28, v1, -v2
	scratch_load_b128 v[1:4], off, off offset:184
	v_fmac_f32_e32 v140, v6, v13
	v_fma_f32 v13, v5, v13, -v14
	v_fma_f32 v14, v7, v15, -v16
	s_wait_loadcnt_dscnt 0x200
	v_mul_f32_e32 v15, v9, v18
	v_mul_f32_e32 v16, v10, v18
	;; [unrolled: 1-line block ×4, first 2 shown]
	ds_load_2addr_b64 v[5:8], v21 offset0:77 offset1:78
	v_fmac_f32_e32 v15, v10, v17
	v_fma_f32 v16, v9, v17, -v16
	v_fmac_f32_e32 v18, v12, v19
	v_fma_f32 v17, v11, v19, -v20
	scratch_load_b128 v[9:12], off, off offset:200
	s_wait_loadcnt_dscnt 0x100
	v_mul_f32_e32 v19, v5, v2
	v_mul_f32_e32 v2, v6, v2
	;; [unrolled: 1-line block ×3, first 2 shown]
	s_delay_alu instid0(VALU_DEP_3) | instskip(NEXT) | instid1(VALU_DEP_3)
	v_dual_mul_f32 v4, v8, v4 :: v_dual_fmac_f32 v19, v6, v1
	v_fma_f32 v142, v5, v1, -v2
	s_delay_alu instid0(VALU_DEP_3) | instskip(NEXT) | instid1(VALU_DEP_3)
	v_fmac_f32_e32 v20, v8, v3
	v_fma_f32 v143, v7, v3, -v4
	ds_load_2addr_b64 v[1:4], v21 offset0:79 offset1:80
	ds_load_2addr_b64 v[5:8], v21 offset0:81 offset1:82
	s_wait_loadcnt_dscnt 0x1
	v_mul_f32_e32 v149, v1, v10
	v_mul_f32_e32 v10, v2, v10
	s_delay_alu instid0(VALU_DEP_2) | instskip(NEXT) | instid1(VALU_DEP_2)
	v_dual_mul_f32 v150, v3, v12 :: v_dual_fmac_f32 v149, v2, v9
	v_fma_f32 v151, v1, v9, -v10
	v_mul_f32_e32 v1, v4, v12
	s_delay_alu instid0(VALU_DEP_3) | instskip(NEXT) | instid1(VALU_DEP_2)
	v_fmac_f32_e32 v150, v4, v11
	v_fma_f32 v152, v3, v11, -v1
	s_clause 0x1
	scratch_load_b128 v[1:4], off, off offset:216
	scratch_load_b128 v[9:12], off, off offset:232
	s_wait_loadcnt_dscnt 0x100
	v_mul_f32_e32 v153, v5, v2
	v_dual_mul_f32 v2, v6, v2 :: v_dual_mul_f32 v155, v7, v4
	s_delay_alu instid0(VALU_DEP_2) | instskip(NEXT) | instid1(VALU_DEP_2)
	v_fmac_f32_e32 v153, v6, v1
	v_fma_f32 v154, v5, v1, -v2
	v_mul_f32_e32 v1, v8, v4
	s_delay_alu instid0(VALU_DEP_4) | instskip(NEXT) | instid1(VALU_DEP_2)
	v_fmac_f32_e32 v155, v8, v3
	v_fma_f32 v156, v7, v3, -v1
	ds_load_2addr_b64 v[1:4], v21 offset0:83 offset1:84
	ds_load_2addr_b64 v[5:8], v21 offset0:85 offset1:86
	s_wait_loadcnt_dscnt 0x1
	v_mul_f32_e32 v157, v1, v10
	v_mul_f32_e32 v159, v3, v12
	s_delay_alu instid0(VALU_DEP_2) | instskip(NEXT) | instid1(VALU_DEP_2)
	v_fmac_f32_e32 v157, v2, v9
	v_dual_mul_f32 v2, v2, v10 :: v_dual_fmac_f32 v159, v4, v11
	s_delay_alu instid0(VALU_DEP_1) | instskip(SKIP_1) | instid1(VALU_DEP_1)
	v_fma_f32 v158, v1, v9, -v2
	v_mul_f32_e32 v1, v4, v12
	v_fma_f32 v160, v3, v11, -v1
	s_clause 0x1
	scratch_load_b128 v[1:4], off, off offset:248
	scratch_load_b128 v[9:12], off, off offset:264
	s_wait_loadcnt_dscnt 0x100
	v_mul_f32_e32 v161, v5, v2
	v_dual_mul_f32 v2, v6, v2 :: v_dual_mul_f32 v163, v7, v4
	s_delay_alu instid0(VALU_DEP_2) | instskip(NEXT) | instid1(VALU_DEP_2)
	v_fmac_f32_e32 v161, v6, v1
	v_fma_f32 v162, v5, v1, -v2
	v_mul_f32_e32 v1, v8, v4
	s_delay_alu instid0(VALU_DEP_4) | instskip(NEXT) | instid1(VALU_DEP_2)
	v_fmac_f32_e32 v163, v8, v3
	v_fma_f32 v164, v7, v3, -v1
	ds_load_2addr_b64 v[1:4], v21 offset0:87 offset1:88
	ds_load_2addr_b64 v[5:8], v21 offset0:89 offset1:90
	s_wait_loadcnt_dscnt 0x1
	v_mul_f32_e32 v165, v1, v10
	v_mul_f32_e32 v167, v3, v12
	s_delay_alu instid0(VALU_DEP_2) | instskip(NEXT) | instid1(VALU_DEP_2)
	v_fmac_f32_e32 v165, v2, v9
	v_dual_mul_f32 v2, v2, v10 :: v_dual_fmac_f32 v167, v4, v11
	s_delay_alu instid0(VALU_DEP_1) | instskip(SKIP_1) | instid1(VALU_DEP_1)
	v_fma_f32 v166, v1, v9, -v2
	v_mul_f32_e32 v1, v4, v12
	;; [unrolled: 25-line block ×4, first 2 shown]
	v_fma_f32 v184, v3, v11, -v1
	s_clause 0x1
	scratch_load_b128 v[1:4], off, off offset:344
	scratch_load_b128 v[9:12], off, off offset:360
	s_wait_loadcnt_dscnt 0x100
	v_mul_f32_e32 v185, v5, v2
	v_mul_f32_e32 v2, v6, v2
	s_delay_alu instid0(VALU_DEP_1) | instskip(SKIP_1) | instid1(VALU_DEP_1)
	v_fma_f32 v186, v5, v1, -v2
	v_add_f32_e32 v2, 0, v146
	v_add_f32_e32 v2, v2, v147
	s_delay_alu instid0(VALU_DEP_1) | instskip(NEXT) | instid1(VALU_DEP_1)
	v_add_f32_e32 v2, v2, v24
	v_add_f32_e32 v2, v2, v25
	s_delay_alu instid0(VALU_DEP_1) | instskip(NEXT) | instid1(VALU_DEP_1)
	;; [unrolled: 3-line block ×5, first 2 shown]
	v_add_f32_e32 v2, v2, v19
	v_add_f32_e32 v2, v2, v20
	s_delay_alu instid0(VALU_DEP_1) | instskip(SKIP_1) | instid1(VALU_DEP_2)
	v_dual_add_f32 v2, v2, v149 :: v_dual_mul_f32 v187, v7, v4
	v_fmac_f32_e32 v185, v6, v1
	v_dual_add_f32 v2, v2, v150 :: v_dual_fmac_f32 v187, v8, v3
	s_delay_alu instid0(VALU_DEP_1) | instskip(NEXT) | instid1(VALU_DEP_1)
	v_dual_add_f32 v2, v2, v153 :: v_dual_mul_f32 v1, v8, v4
	v_add_f32_e32 v2, v2, v155
	s_delay_alu instid0(VALU_DEP_2) | instskip(SKIP_1) | instid1(VALU_DEP_1)
	v_fma_f32 v188, v7, v3, -v1
	v_add_f32_e32 v1, 0, v22
	v_add_f32_e32 v1, v1, v23
	s_delay_alu instid0(VALU_DEP_1) | instskip(NEXT) | instid1(VALU_DEP_1)
	v_add_f32_e32 v1, v1, v28
	v_add_f32_e32 v1, v1, v29
	scratch_load_b64 v[28:29], off, off offset:424
	v_add_f32_e32 v1, v1, v30
	s_delay_alu instid0(VALU_DEP_1) | instskip(NEXT) | instid1(VALU_DEP_1)
	v_add_f32_e32 v1, v1, v31
	v_add_f32_e32 v1, v1, v13
	s_delay_alu instid0(VALU_DEP_1) | instskip(NEXT) | instid1(VALU_DEP_1)
	v_add_f32_e32 v1, v1, v14
	;; [unrolled: 3-line block ×9, first 2 shown]
	v_add_f32_e32 v13, v13, v170
	v_add_f32_e32 v5, v2, v157
	ds_load_2addr_b64 v[1:4], v21 offset0:99 offset1:100
	v_add_f32_e32 v18, v13, v172
	s_delay_alu instid0(VALU_DEP_1) | instskip(NEXT) | instid1(VALU_DEP_1)
	v_dual_add_f32 v5, v5, v159 :: v_dual_add_f32 v18, v18, v174
	v_dual_add_f32 v5, v5, v161 :: v_dual_add_f32 v18, v18, v176
	s_delay_alu instid0(VALU_DEP_1)
	v_add_f32_e32 v14, v5, v163
	ds_load_2addr_b64 v[5:8], v21 offset0:101 offset1:102
	v_add_f32_e32 v18, v18, v178
	v_add_f32_e32 v14, v14, v165
	s_wait_loadcnt_dscnt 0x101
	v_mul_f32_e32 v26, v1, v10
	v_mul_f32_e32 v10, v2, v10
	;; [unrolled: 1-line block ×4, first 2 shown]
	v_add_f32_e32 v14, v14, v167
	v_fmac_f32_e32 v26, v2, v9
	v_fma_f32 v141, v1, v9, -v10
	v_fmac_f32_e32 v140, v4, v11
	v_fma_f32 v142, v3, v11, -v12
	s_clause 0x1
	scratch_load_b128 v[1:4], off, off offset:376
	scratch_load_b128 v[9:12], off, off offset:392
	v_add_f32_e32 v18, v18, v180
	s_delay_alu instid0(VALU_DEP_1)
	v_add_f32_e32 v30, v18, v182
	s_wait_loadcnt_dscnt 0x100
	v_dual_mul_f32 v148, v7, v4 :: v_dual_add_f32 v17, v14, v169
	scratch_load_b128 v[13:16], off, off offset:408
	v_mul_f32_e32 v147, v5, v2
	v_dual_add_f32 v143, v30, v184 :: v_dual_fmac_f32 v148, v8, v3
	v_dual_add_f32 v17, v17, v171 :: v_dual_mul_f32 v2, v6, v2
	s_delay_alu instid0(VALU_DEP_3) | instskip(NEXT) | instid1(VALU_DEP_3)
	v_fmac_f32_e32 v147, v6, v1
	v_dual_add_f32 v143, v143, v186 :: v_dual_mul_f32 v4, v8, v4
	s_delay_alu instid0(VALU_DEP_3) | instskip(NEXT) | instid1(VALU_DEP_4)
	v_add_f32_e32 v17, v17, v173
	v_fma_f32 v2, v5, v1, -v2
	s_delay_alu instid0(VALU_DEP_3) | instskip(NEXT) | instid1(VALU_DEP_4)
	v_add_f32_e32 v143, v143, v188
	v_fma_f32 v1, v7, v3, -v4
	s_delay_alu instid0(VALU_DEP_4) | instskip(NEXT) | instid1(VALU_DEP_3)
	v_add_f32_e32 v17, v17, v175
	v_add_f32_e32 v141, v143, v141
	s_delay_alu instid0(VALU_DEP_2) | instskip(NEXT) | instid1(VALU_DEP_2)
	v_add_f32_e32 v17, v17, v177
	v_add_f32_e32 v141, v141, v142
	s_delay_alu instid0(VALU_DEP_2)
	v_add_f32_e32 v22, v17, v179
	ds_load_2addr_b64 v[17:20], v21 offset0:103 offset1:104
	v_dual_add_f32 v2, v141, v2 :: v_dual_add_f32 v31, v22, v181
	ds_load_2addr_b64 v[22:25], v21 offset0:105 offset1:106
	v_dual_add_f32 v1, v2, v1 :: v_dual_add_f32 v146, v31, v183
	ds_load_b64 v[30:31], v21 offset:856
	v_add_f32_e32 v146, v146, v185
	s_delay_alu instid0(VALU_DEP_1) | instskip(SKIP_2) | instid1(VALU_DEP_2)
	v_add_f32_e32 v146, v146, v187
	s_wait_loadcnt_dscnt 0x102
	v_mul_f32_e32 v3, v18, v10
	v_dual_mul_f32 v5, v20, v12 :: v_dual_add_f32 v26, v146, v26
	v_mul_f32_e32 v146, v19, v12
	s_delay_alu instid0(VALU_DEP_3) | instskip(NEXT) | instid1(VALU_DEP_3)
	v_fma_f32 v3, v17, v9, -v3
	v_fma_f32 v5, v19, v11, -v5
	s_delay_alu instid0(VALU_DEP_4) | instskip(NEXT) | instid1(VALU_DEP_4)
	v_add_f32_e32 v26, v26, v140
	v_fmac_f32_e32 v146, v20, v11
	s_wait_dscnt 0x0
	v_dual_add_f32 v1, v1, v3 :: v_dual_mul_f32 v140, v30, v29
	s_delay_alu instid0(VALU_DEP_3) | instskip(NEXT) | instid1(VALU_DEP_2)
	v_dual_mul_f32 v143, v17, v10 :: v_dual_add_f32 v4, v26, v147
	v_add_f32_e32 v1, v1, v5
	v_mul_f32_e32 v5, v31, v29
	s_delay_alu instid0(VALU_DEP_3) | instskip(NEXT) | instid1(VALU_DEP_4)
	v_dual_fmac_f32 v140, v31, v28 :: v_dual_fmac_f32 v143, v18, v9
	v_add_f32_e32 v2, v4, v148
	s_delay_alu instid0(VALU_DEP_1) | instskip(NEXT) | instid1(VALU_DEP_1)
	v_add_f32_e32 v2, v2, v143
	v_add_f32_e32 v2, v2, v146
	s_wait_loadcnt 0x0
	v_mul_f32_e32 v149, v22, v14
	v_mul_f32_e32 v4, v23, v14
	;; [unrolled: 1-line block ×4, first 2 shown]
	s_delay_alu instid0(VALU_DEP_4) | instskip(NEXT) | instid1(VALU_DEP_4)
	v_fmac_f32_e32 v149, v23, v13
	v_fma_f32 v4, v22, v13, -v4
	s_delay_alu instid0(VALU_DEP_4) | instskip(NEXT) | instid1(VALU_DEP_4)
	v_fmac_f32_e32 v142, v25, v15
	v_fma_f32 v3, v24, v15, -v3
	s_delay_alu instid0(VALU_DEP_3) | instskip(SKIP_1) | instid1(VALU_DEP_2)
	v_dual_add_f32 v2, v2, v149 :: v_dual_add_f32 v1, v1, v4
	v_fma_f32 v4, v30, v28, -v5
	v_dual_add_f32 v2, v2, v142 :: v_dual_add_f32 v1, v1, v3
	s_delay_alu instid0(VALU_DEP_1) | instskip(NEXT) | instid1(VALU_DEP_2)
	v_add_f32_e32 v2, v2, v140
	v_add_f32_e32 v1, v1, v4
	s_delay_alu instid0(VALU_DEP_1)
	v_dual_sub_f32 v2, v145, v2 :: v_dual_sub_f32 v1, v144, v1
	scratch_store_b64 off, v[1:2], off offset:96
	v_cmpx_lt_u32_e32 11, v0
	s_cbranch_execz .LBB53_315
; %bb.314:
	scratch_load_b64 v[1:2], off, off offset:88
	v_mov_b32_e32 v22, v21
	scratch_store_b64 off, v[21:22], off offset:88
	s_wait_loadcnt 0x0
	ds_store_b64 v27, v[1:2]
.LBB53_315:
	s_wait_alu 0xfffe
	s_or_b32 exec_lo, exec_lo, s0
	s_wait_storecnt_dscnt 0x0
	s_barrier_signal -1
	s_barrier_wait -1
	global_inv scope:SCOPE_SE
	s_clause 0x4
	scratch_load_b128 v[5:8], off, off offset:96
	scratch_load_b128 v[1:4], off, off offset:112
	;; [unrolled: 1-line block ×5, first 2 shown]
	ds_load_b128 v[22:25], v21 offset:528
	ds_load_b128 v[28:31], v21 offset:544
	;; [unrolled: 1-line block ×3, first 2 shown]
	scratch_load_b64 v[144:145], off, off offset:88
	s_mov_b32 s0, exec_lo
	s_wait_loadcnt_dscnt 0x502
	v_dual_mul_f32 v26, v23, v6 :: v_dual_mul_f32 v147, v24, v8
	v_mul_f32_e32 v146, v22, v6
	v_mul_f32_e32 v6, v25, v8
	s_wait_loadcnt_dscnt 0x300
	v_mul_f32_e32 v148, v142, v12
	v_fma_f32 v22, v22, v5, -v26
	v_dual_fmac_f32 v147, v25, v7 :: v_dual_fmac_f32 v146, v23, v5
	v_mul_f32_e32 v25, v30, v4
	v_mul_f32_e32 v4, v31, v4
	;; [unrolled: 1-line block ×5, first 2 shown]
	v_fmac_f32_e32 v25, v31, v3
	v_fma_f32 v23, v24, v7, -v6
	ds_load_b128 v[5:8], v21 offset:576
	v_mul_f32_e32 v24, v28, v2
	v_mul_f32_e32 v2, v29, v2
	v_fmac_f32_e32 v26, v141, v9
	v_fmac_f32_e32 v148, v143, v11
	v_fma_f32 v31, v142, v11, -v12
	v_fmac_f32_e32 v24, v29, v1
	v_fma_f32 v29, v30, v3, -v4
	v_fma_f32 v30, v140, v9, -v10
	ds_load_b128 v[9:12], v21 offset:592
	s_wait_loadcnt_dscnt 0x201
	v_dual_mul_f32 v141, v7, v16 :: v_dual_mul_f32 v140, v5, v14
	v_mul_f32_e32 v14, v6, v14
	v_mul_f32_e32 v16, v8, v16
	s_delay_alu instid0(VALU_DEP_3)
	v_fmac_f32_e32 v141, v8, v15
	v_fma_f32 v28, v28, v1, -v2
	scratch_load_b128 v[1:4], off, off offset:176
	v_fmac_f32_e32 v140, v6, v13
	v_fma_f32 v13, v5, v13, -v14
	v_fma_f32 v14, v7, v15, -v16
	s_wait_loadcnt_dscnt 0x200
	v_mul_f32_e32 v15, v9, v18
	v_mul_f32_e32 v16, v10, v18
	;; [unrolled: 1-line block ×4, first 2 shown]
	ds_load_b128 v[5:8], v21 offset:608
	v_fmac_f32_e32 v15, v10, v17
	v_fma_f32 v16, v9, v17, -v16
	v_fmac_f32_e32 v18, v12, v19
	v_fma_f32 v17, v11, v19, -v20
	scratch_load_b128 v[9:12], off, off offset:192
	s_wait_loadcnt_dscnt 0x100
	v_mul_f32_e32 v19, v5, v2
	v_mul_f32_e32 v2, v6, v2
	;; [unrolled: 1-line block ×3, first 2 shown]
	s_delay_alu instid0(VALU_DEP_3) | instskip(NEXT) | instid1(VALU_DEP_3)
	v_dual_mul_f32 v4, v8, v4 :: v_dual_fmac_f32 v19, v6, v1
	v_fma_f32 v142, v5, v1, -v2
	s_delay_alu instid0(VALU_DEP_3) | instskip(NEXT) | instid1(VALU_DEP_3)
	v_fmac_f32_e32 v20, v8, v3
	v_fma_f32 v143, v7, v3, -v4
	ds_load_b128 v[1:4], v21 offset:624
	ds_load_b128 v[5:8], v21 offset:640
	s_wait_loadcnt_dscnt 0x1
	v_mul_f32_e32 v149, v1, v10
	v_mul_f32_e32 v10, v2, v10
	s_delay_alu instid0(VALU_DEP_2) | instskip(NEXT) | instid1(VALU_DEP_2)
	v_dual_mul_f32 v150, v3, v12 :: v_dual_fmac_f32 v149, v2, v9
	v_fma_f32 v151, v1, v9, -v10
	v_mul_f32_e32 v1, v4, v12
	s_delay_alu instid0(VALU_DEP_3) | instskip(NEXT) | instid1(VALU_DEP_2)
	v_fmac_f32_e32 v150, v4, v11
	v_fma_f32 v152, v3, v11, -v1
	s_clause 0x1
	scratch_load_b128 v[1:4], off, off offset:208
	scratch_load_b128 v[9:12], off, off offset:224
	s_wait_loadcnt_dscnt 0x100
	v_mul_f32_e32 v153, v5, v2
	v_dual_mul_f32 v2, v6, v2 :: v_dual_mul_f32 v155, v7, v4
	s_delay_alu instid0(VALU_DEP_2) | instskip(NEXT) | instid1(VALU_DEP_2)
	v_fmac_f32_e32 v153, v6, v1
	v_fma_f32 v154, v5, v1, -v2
	v_mul_f32_e32 v1, v8, v4
	s_delay_alu instid0(VALU_DEP_4) | instskip(NEXT) | instid1(VALU_DEP_2)
	v_fmac_f32_e32 v155, v8, v3
	v_fma_f32 v156, v7, v3, -v1
	ds_load_b128 v[1:4], v21 offset:656
	ds_load_b128 v[5:8], v21 offset:672
	s_wait_loadcnt_dscnt 0x1
	v_mul_f32_e32 v157, v1, v10
	v_mul_f32_e32 v159, v3, v12
	s_delay_alu instid0(VALU_DEP_2) | instskip(NEXT) | instid1(VALU_DEP_2)
	v_fmac_f32_e32 v157, v2, v9
	v_dual_mul_f32 v2, v2, v10 :: v_dual_fmac_f32 v159, v4, v11
	s_delay_alu instid0(VALU_DEP_1) | instskip(SKIP_1) | instid1(VALU_DEP_1)
	v_fma_f32 v158, v1, v9, -v2
	v_mul_f32_e32 v1, v4, v12
	v_fma_f32 v160, v3, v11, -v1
	s_clause 0x1
	scratch_load_b128 v[1:4], off, off offset:240
	scratch_load_b128 v[9:12], off, off offset:256
	s_wait_loadcnt_dscnt 0x100
	v_mul_f32_e32 v161, v5, v2
	v_dual_mul_f32 v2, v6, v2 :: v_dual_mul_f32 v163, v7, v4
	s_delay_alu instid0(VALU_DEP_2) | instskip(NEXT) | instid1(VALU_DEP_2)
	v_fmac_f32_e32 v161, v6, v1
	v_fma_f32 v162, v5, v1, -v2
	v_mul_f32_e32 v1, v8, v4
	s_delay_alu instid0(VALU_DEP_4) | instskip(NEXT) | instid1(VALU_DEP_2)
	v_fmac_f32_e32 v163, v8, v3
	v_fma_f32 v164, v7, v3, -v1
	ds_load_b128 v[1:4], v21 offset:688
	ds_load_b128 v[5:8], v21 offset:704
	s_wait_loadcnt_dscnt 0x1
	v_mul_f32_e32 v165, v1, v10
	v_mul_f32_e32 v167, v3, v12
	s_delay_alu instid0(VALU_DEP_2) | instskip(NEXT) | instid1(VALU_DEP_2)
	v_fmac_f32_e32 v165, v2, v9
	v_dual_mul_f32 v2, v2, v10 :: v_dual_fmac_f32 v167, v4, v11
	s_delay_alu instid0(VALU_DEP_1) | instskip(SKIP_1) | instid1(VALU_DEP_1)
	v_fma_f32 v166, v1, v9, -v2
	v_mul_f32_e32 v1, v4, v12
	;; [unrolled: 25-line block ×4, first 2 shown]
	v_fma_f32 v184, v3, v11, -v1
	s_clause 0x1
	scratch_load_b128 v[1:4], off, off offset:336
	scratch_load_b128 v[9:12], off, off offset:352
	s_wait_loadcnt_dscnt 0x100
	v_mul_f32_e32 v185, v5, v2
	v_mul_f32_e32 v2, v6, v2
	s_delay_alu instid0(VALU_DEP_1) | instskip(SKIP_1) | instid1(VALU_DEP_1)
	v_fma_f32 v186, v5, v1, -v2
	v_add_f32_e32 v2, 0, v146
	v_add_f32_e32 v2, v2, v147
	s_delay_alu instid0(VALU_DEP_1) | instskip(NEXT) | instid1(VALU_DEP_1)
	v_add_f32_e32 v2, v2, v24
	v_add_f32_e32 v2, v2, v25
	s_delay_alu instid0(VALU_DEP_1) | instskip(NEXT) | instid1(VALU_DEP_1)
	;; [unrolled: 3-line block ×5, first 2 shown]
	v_add_f32_e32 v2, v2, v19
	v_add_f32_e32 v2, v2, v20
	s_delay_alu instid0(VALU_DEP_1) | instskip(SKIP_1) | instid1(VALU_DEP_2)
	v_dual_add_f32 v2, v2, v149 :: v_dual_mul_f32 v187, v7, v4
	v_fmac_f32_e32 v185, v6, v1
	v_dual_add_f32 v2, v2, v150 :: v_dual_fmac_f32 v187, v8, v3
	s_delay_alu instid0(VALU_DEP_1) | instskip(NEXT) | instid1(VALU_DEP_1)
	v_dual_add_f32 v2, v2, v153 :: v_dual_mul_f32 v1, v8, v4
	v_add_f32_e32 v2, v2, v155
	s_delay_alu instid0(VALU_DEP_2) | instskip(NEXT) | instid1(VALU_DEP_2)
	v_fma_f32 v188, v7, v3, -v1
	v_dual_add_f32 v1, 0, v22 :: v_dual_add_f32 v2, v2, v157
	s_delay_alu instid0(VALU_DEP_1) | instskip(NEXT) | instid1(VALU_DEP_2)
	v_add_f32_e32 v1, v1, v23
	v_add_f32_e32 v5, v2, v159
	s_delay_alu instid0(VALU_DEP_2) | instskip(NEXT) | instid1(VALU_DEP_1)
	v_add_f32_e32 v1, v1, v28
	v_add_f32_e32 v1, v1, v29
	s_delay_alu instid0(VALU_DEP_1) | instskip(NEXT) | instid1(VALU_DEP_1)
	v_add_f32_e32 v1, v1, v30
	v_add_f32_e32 v1, v1, v31
	s_delay_alu instid0(VALU_DEP_1) | instskip(SKIP_1) | instid1(VALU_DEP_1)
	v_add_f32_e32 v1, v1, v13
	v_add_f32_e32 v13, v5, v161
	;; [unrolled: 1-line block ×3, first 2 shown]
	s_delay_alu instid0(VALU_DEP_1) | instskip(NEXT) | instid1(VALU_DEP_1)
	v_add_f32_e32 v13, v13, v165
	v_add_f32_e32 v18, v13, v167
	s_delay_alu instid0(VALU_DEP_1) | instskip(NEXT) | instid1(VALU_DEP_1)
	v_dual_add_f32 v18, v18, v169 :: v_dual_add_f32 v1, v1, v14
	v_dual_add_f32 v18, v18, v171 :: v_dual_add_f32 v1, v1, v16
	s_delay_alu instid0(VALU_DEP_1) | instskip(NEXT) | instid1(VALU_DEP_1)
	v_add_f32_e32 v1, v1, v17
	v_add_f32_e32 v1, v1, v142
	s_delay_alu instid0(VALU_DEP_1) | instskip(NEXT) | instid1(VALU_DEP_1)
	v_add_f32_e32 v1, v1, v143
	v_add_f32_e32 v1, v1, v151
	s_delay_alu instid0(VALU_DEP_1) | instskip(NEXT) | instid1(VALU_DEP_1)
	v_add_f32_e32 v1, v1, v152
	v_add_f32_e32 v1, v1, v154
	s_delay_alu instid0(VALU_DEP_1) | instskip(NEXT) | instid1(VALU_DEP_1)
	v_add_f32_e32 v1, v1, v156
	v_add_f32_e32 v1, v1, v158
	s_delay_alu instid0(VALU_DEP_1) | instskip(NEXT) | instid1(VALU_DEP_1)
	v_add_f32_e32 v1, v1, v160
	v_add_f32_e32 v6, v1, v162
	ds_load_b128 v[1:4], v21 offset:784
	v_add_f32_e32 v22, v18, v173
	v_add_f32_e32 v14, v6, v164
	scratch_load_b128 v[5:8], off, off offset:368
	v_add_f32_e32 v22, v22, v175
	v_add_f32_e32 v14, v14, v166
	s_delay_alu instid0(VALU_DEP_2) | instskip(NEXT) | instid1(VALU_DEP_2)
	v_add_f32_e32 v22, v22, v177
	v_add_f32_e32 v17, v14, v168
	ds_load_b128 v[13:16], v21 offset:800
	s_wait_loadcnt_dscnt 0x101
	v_mul_f32_e32 v25, v1, v10
	v_mul_f32_e32 v10, v2, v10
	;; [unrolled: 1-line block ×3, first 2 shown]
	s_delay_alu instid0(VALU_DEP_3) | instskip(NEXT) | instid1(VALU_DEP_3)
	v_dual_mul_f32 v12, v4, v12 :: v_dual_fmac_f32 v25, v2, v9
	v_fma_f32 v28, v1, v9, -v10
	s_delay_alu instid0(VALU_DEP_3) | instskip(NEXT) | instid1(VALU_DEP_3)
	v_fmac_f32_e32 v26, v4, v11
	v_fma_f32 v29, v3, v11, -v12
	s_clause 0x1
	scratch_load_b128 v[1:4], off, off offset:384
	scratch_load_b128 v[9:12], off, off offset:400
	s_wait_loadcnt_dscnt 0x200
	v_mul_f32_e32 v30, v13, v6
	v_dual_mul_f32 v6, v14, v6 :: v_dual_mul_f32 v31, v15, v8
	v_mul_f32_e32 v8, v16, v8
	s_delay_alu instid0(VALU_DEP_3) | instskip(NEXT) | instid1(VALU_DEP_3)
	v_fmac_f32_e32 v30, v14, v5
	v_fma_f32 v140, v13, v5, -v6
	s_delay_alu instid0(VALU_DEP_4) | instskip(NEXT) | instid1(VALU_DEP_4)
	v_fmac_f32_e32 v31, v16, v7
	v_fma_f32 v141, v15, v7, -v8
	ds_load_b128 v[5:8], v21 offset:816
	v_add_f32_e32 v17, v17, v170
	v_add_f32_e32 v13, v22, v179
	s_delay_alu instid0(VALU_DEP_2) | instskip(NEXT) | instid1(VALU_DEP_1)
	v_add_f32_e32 v17, v17, v172
	v_add_f32_e32 v17, v17, v174
	s_delay_alu instid0(VALU_DEP_1) | instskip(SKIP_2) | instid1(VALU_DEP_1)
	v_add_f32_e32 v23, v17, v176
	scratch_load_b128 v[17:20], off, off offset:416
	v_add_f32_e32 v23, v23, v178
	v_add_f32_e32 v23, v23, v180
	s_delay_alu instid0(VALU_DEP_1)
	v_dual_add_f32 v22, v23, v182 :: v_dual_add_f32 v23, v13, v181
	ds_load_b128 v[13:16], v21 offset:832
	s_wait_loadcnt_dscnt 0x201
	v_mul_f32_e32 v146, v5, v2
	v_mul_f32_e32 v2, v6, v2
	v_dual_add_f32 v142, v22, v184 :: v_dual_add_f32 v143, v23, v183
	ds_load_b128 v[21:24], v21 offset:848
	v_fmac_f32_e32 v146, v6, v1
	v_fma_f32 v2, v5, v1, -v2
	v_add_f32_e32 v142, v142, v186
	s_delay_alu instid0(VALU_DEP_1) | instskip(NEXT) | instid1(VALU_DEP_1)
	v_add_f32_e32 v142, v142, v188
	v_add_f32_e32 v28, v142, v28
	v_mul_f32_e32 v142, v7, v4
	s_wait_loadcnt_dscnt 0x101
	v_mul_f32_e32 v147, v15, v12
	v_mul_f32_e32 v4, v8, v4
	;; [unrolled: 1-line block ×3, first 2 shown]
	v_add_f32_e32 v28, v28, v29
	v_fmac_f32_e32 v142, v8, v3
	v_fmac_f32_e32 v147, v16, v11
	v_add_f32_e32 v143, v143, v185
	v_fma_f32 v3, v7, v3, -v4
	v_add_f32_e32 v28, v28, v140
	v_mul_f32_e32 v4, v16, v12
	s_delay_alu instid0(VALU_DEP_2) | instskip(NEXT) | instid1(VALU_DEP_2)
	v_add_f32_e32 v1, v28, v141
	v_fma_f32 v4, v15, v11, -v4
	s_delay_alu instid0(VALU_DEP_2) | instskip(NEXT) | instid1(VALU_DEP_1)
	v_add_f32_e32 v1, v1, v2
	v_add_f32_e32 v1, v1, v3
	s_wait_loadcnt_dscnt 0x0
	v_mul_f32_e32 v29, v23, v20
	v_mul_f32_e32 v3, v22, v18
	s_delay_alu instid0(VALU_DEP_2) | instskip(SKIP_1) | instid1(VALU_DEP_3)
	v_fmac_f32_e32 v29, v24, v19
	v_add_f32_e32 v143, v143, v187
	v_fma_f32 v3, v21, v17, -v3
	s_delay_alu instid0(VALU_DEP_2) | instskip(SKIP_1) | instid1(VALU_DEP_2)
	v_add_f32_e32 v25, v143, v25
	v_mul_f32_e32 v143, v13, v10
	v_add_f32_e32 v25, v25, v26
	s_delay_alu instid0(VALU_DEP_2) | instskip(NEXT) | instid1(VALU_DEP_1)
	v_dual_mul_f32 v26, v21, v18 :: v_dual_fmac_f32 v143, v14, v9
	v_dual_add_f32 v25, v25, v30 :: v_dual_fmac_f32 v26, v22, v17
	s_delay_alu instid0(VALU_DEP_1) | instskip(NEXT) | instid1(VALU_DEP_1)
	v_add_f32_e32 v5, v25, v31
	v_add_f32_e32 v2, v5, v146
	v_fma_f32 v5, v13, v9, -v6
	s_delay_alu instid0(VALU_DEP_1) | instskip(NEXT) | instid1(VALU_DEP_1)
	v_dual_add_f32 v2, v2, v142 :: v_dual_add_f32 v1, v1, v5
	v_dual_mul_f32 v5, v24, v20 :: v_dual_add_f32 v2, v2, v143
	s_delay_alu instid0(VALU_DEP_2) | instskip(NEXT) | instid1(VALU_DEP_2)
	v_add_f32_e32 v1, v1, v4
	v_fma_f32 v4, v23, v19, -v5
	s_delay_alu instid0(VALU_DEP_3) | instskip(NEXT) | instid1(VALU_DEP_1)
	v_add_f32_e32 v2, v2, v147
	v_dual_add_f32 v1, v1, v3 :: v_dual_add_f32 v2, v2, v26
	s_delay_alu instid0(VALU_DEP_1) | instskip(NEXT) | instid1(VALU_DEP_1)
	v_dual_add_f32 v1, v1, v4 :: v_dual_add_f32 v2, v2, v29
	v_dual_sub_f32 v1, v144, v1 :: v_dual_sub_f32 v2, v145, v2
	scratch_store_b64 off, v[1:2], off offset:88
	v_cmpx_lt_u32_e32 10, v0
	s_cbranch_execz .LBB53_317
; %bb.316:
	scratch_load_b64 v[1:2], off, off offset:80
	v_mov_b32_e32 v3, 0
	s_delay_alu instid0(VALU_DEP_1)
	v_mov_b32_e32 v4, v3
	scratch_store_b64 off, v[3:4], off offset:80
	s_wait_loadcnt 0x0
	ds_store_b64 v27, v[1:2]
.LBB53_317:
	s_wait_alu 0xfffe
	s_or_b32 exec_lo, exec_lo, s0
	s_wait_storecnt_dscnt 0x0
	s_barrier_signal -1
	s_barrier_wait -1
	global_inv scope:SCOPE_SE
	s_clause 0x4
	scratch_load_b128 v[5:8], off, off offset:88
	scratch_load_b128 v[1:4], off, off offset:104
	;; [unrolled: 1-line block ×5, first 2 shown]
	v_mov_b32_e32 v21, 0
	ds_load_2addr_b64 v[22:25], v21 offset0:65 offset1:66
	ds_load_2addr_b64 v[28:31], v21 offset0:67 offset1:68
	;; [unrolled: 1-line block ×3, first 2 shown]
	scratch_load_b64 v[144:145], off, off offset:80
	s_mov_b32 s0, exec_lo
	s_wait_loadcnt_dscnt 0x502
	v_dual_mul_f32 v146, v22, v6 :: v_dual_mul_f32 v147, v24, v8
	v_mul_f32_e32 v26, v23, v6
	v_mul_f32_e32 v6, v25, v8
	s_wait_loadcnt_dscnt 0x300
	v_mul_f32_e32 v148, v142, v12
	v_dual_fmac_f32 v146, v23, v5 :: v_dual_fmac_f32 v147, v25, v7
	v_mul_f32_e32 v25, v30, v4
	v_fma_f32 v22, v22, v5, -v26
	v_mul_f32_e32 v26, v140, v10
	v_mul_f32_e32 v4, v31, v4
	s_delay_alu instid0(VALU_DEP_4)
	v_dual_mul_f32 v10, v141, v10 :: v_dual_fmac_f32 v25, v31, v3
	v_fma_f32 v23, v24, v7, -v6
	ds_load_2addr_b64 v[5:8], v21 offset0:71 offset1:72
	v_mul_f32_e32 v24, v28, v2
	v_mul_f32_e32 v12, v143, v12
	;; [unrolled: 1-line block ×3, first 2 shown]
	v_fmac_f32_e32 v26, v141, v9
	v_fmac_f32_e32 v148, v143, v11
	;; [unrolled: 1-line block ×3, first 2 shown]
	v_fma_f32 v29, v30, v3, -v4
	v_fma_f32 v30, v140, v9, -v10
	v_fma_f32 v31, v142, v11, -v12
	ds_load_2addr_b64 v[9:12], v21 offset0:73 offset1:74
	s_wait_loadcnt_dscnt 0x201
	v_dual_mul_f32 v141, v7, v16 :: v_dual_mul_f32 v140, v5, v14
	v_mul_f32_e32 v14, v6, v14
	v_mul_f32_e32 v16, v8, v16
	s_delay_alu instid0(VALU_DEP_3)
	v_fmac_f32_e32 v141, v8, v15
	v_fma_f32 v28, v28, v1, -v2
	scratch_load_b128 v[1:4], off, off offset:168
	v_fmac_f32_e32 v140, v6, v13
	v_fma_f32 v13, v5, v13, -v14
	v_fma_f32 v14, v7, v15, -v16
	s_wait_loadcnt_dscnt 0x200
	v_mul_f32_e32 v15, v9, v18
	v_mul_f32_e32 v16, v10, v18
	;; [unrolled: 1-line block ×4, first 2 shown]
	ds_load_2addr_b64 v[5:8], v21 offset0:75 offset1:76
	v_fmac_f32_e32 v15, v10, v17
	v_fma_f32 v16, v9, v17, -v16
	v_fmac_f32_e32 v18, v12, v19
	v_fma_f32 v17, v11, v19, -v20
	scratch_load_b128 v[9:12], off, off offset:184
	s_wait_loadcnt_dscnt 0x100
	v_mul_f32_e32 v19, v5, v2
	v_mul_f32_e32 v2, v6, v2
	;; [unrolled: 1-line block ×3, first 2 shown]
	s_delay_alu instid0(VALU_DEP_3) | instskip(NEXT) | instid1(VALU_DEP_3)
	v_dual_mul_f32 v4, v8, v4 :: v_dual_fmac_f32 v19, v6, v1
	v_fma_f32 v142, v5, v1, -v2
	s_delay_alu instid0(VALU_DEP_3) | instskip(NEXT) | instid1(VALU_DEP_3)
	v_fmac_f32_e32 v20, v8, v3
	v_fma_f32 v143, v7, v3, -v4
	ds_load_2addr_b64 v[1:4], v21 offset0:77 offset1:78
	ds_load_2addr_b64 v[5:8], v21 offset0:79 offset1:80
	s_wait_loadcnt_dscnt 0x1
	v_mul_f32_e32 v149, v1, v10
	v_mul_f32_e32 v10, v2, v10
	s_delay_alu instid0(VALU_DEP_2) | instskip(NEXT) | instid1(VALU_DEP_2)
	v_dual_mul_f32 v150, v3, v12 :: v_dual_fmac_f32 v149, v2, v9
	v_fma_f32 v151, v1, v9, -v10
	v_mul_f32_e32 v1, v4, v12
	s_delay_alu instid0(VALU_DEP_3) | instskip(NEXT) | instid1(VALU_DEP_2)
	v_fmac_f32_e32 v150, v4, v11
	v_fma_f32 v152, v3, v11, -v1
	s_clause 0x1
	scratch_load_b128 v[1:4], off, off offset:200
	scratch_load_b128 v[9:12], off, off offset:216
	s_wait_loadcnt_dscnt 0x100
	v_mul_f32_e32 v153, v5, v2
	v_dual_mul_f32 v2, v6, v2 :: v_dual_mul_f32 v155, v7, v4
	s_delay_alu instid0(VALU_DEP_2) | instskip(NEXT) | instid1(VALU_DEP_2)
	v_fmac_f32_e32 v153, v6, v1
	v_fma_f32 v154, v5, v1, -v2
	v_mul_f32_e32 v1, v8, v4
	s_delay_alu instid0(VALU_DEP_4) | instskip(NEXT) | instid1(VALU_DEP_2)
	v_fmac_f32_e32 v155, v8, v3
	v_fma_f32 v156, v7, v3, -v1
	ds_load_2addr_b64 v[1:4], v21 offset0:81 offset1:82
	ds_load_2addr_b64 v[5:8], v21 offset0:83 offset1:84
	s_wait_loadcnt_dscnt 0x1
	v_mul_f32_e32 v157, v1, v10
	v_mul_f32_e32 v159, v3, v12
	s_delay_alu instid0(VALU_DEP_2) | instskip(NEXT) | instid1(VALU_DEP_2)
	v_fmac_f32_e32 v157, v2, v9
	v_dual_mul_f32 v2, v2, v10 :: v_dual_fmac_f32 v159, v4, v11
	s_delay_alu instid0(VALU_DEP_1) | instskip(SKIP_1) | instid1(VALU_DEP_1)
	v_fma_f32 v158, v1, v9, -v2
	v_mul_f32_e32 v1, v4, v12
	v_fma_f32 v160, v3, v11, -v1
	s_clause 0x1
	scratch_load_b128 v[1:4], off, off offset:232
	scratch_load_b128 v[9:12], off, off offset:248
	s_wait_loadcnt_dscnt 0x100
	v_mul_f32_e32 v161, v5, v2
	v_dual_mul_f32 v2, v6, v2 :: v_dual_mul_f32 v163, v7, v4
	s_delay_alu instid0(VALU_DEP_2) | instskip(NEXT) | instid1(VALU_DEP_2)
	v_fmac_f32_e32 v161, v6, v1
	v_fma_f32 v162, v5, v1, -v2
	v_mul_f32_e32 v1, v8, v4
	s_delay_alu instid0(VALU_DEP_4) | instskip(NEXT) | instid1(VALU_DEP_2)
	v_fmac_f32_e32 v163, v8, v3
	v_fma_f32 v164, v7, v3, -v1
	ds_load_2addr_b64 v[1:4], v21 offset0:85 offset1:86
	ds_load_2addr_b64 v[5:8], v21 offset0:87 offset1:88
	s_wait_loadcnt_dscnt 0x1
	v_mul_f32_e32 v165, v1, v10
	v_mul_f32_e32 v167, v3, v12
	s_delay_alu instid0(VALU_DEP_2) | instskip(NEXT) | instid1(VALU_DEP_2)
	v_fmac_f32_e32 v165, v2, v9
	v_dual_mul_f32 v2, v2, v10 :: v_dual_fmac_f32 v167, v4, v11
	s_delay_alu instid0(VALU_DEP_1) | instskip(SKIP_1) | instid1(VALU_DEP_1)
	v_fma_f32 v166, v1, v9, -v2
	v_mul_f32_e32 v1, v4, v12
	;; [unrolled: 25-line block ×4, first 2 shown]
	v_fma_f32 v184, v3, v11, -v1
	s_clause 0x1
	scratch_load_b128 v[1:4], off, off offset:328
	scratch_load_b128 v[9:12], off, off offset:344
	s_wait_loadcnt_dscnt 0x100
	v_mul_f32_e32 v185, v5, v2
	v_mul_f32_e32 v2, v6, v2
	s_delay_alu instid0(VALU_DEP_1) | instskip(SKIP_1) | instid1(VALU_DEP_1)
	v_fma_f32 v186, v5, v1, -v2
	v_add_f32_e32 v2, 0, v146
	v_add_f32_e32 v2, v2, v147
	s_delay_alu instid0(VALU_DEP_1) | instskip(NEXT) | instid1(VALU_DEP_1)
	v_add_f32_e32 v2, v2, v24
	v_add_f32_e32 v2, v2, v25
	s_delay_alu instid0(VALU_DEP_1) | instskip(NEXT) | instid1(VALU_DEP_1)
	;; [unrolled: 3-line block ×5, first 2 shown]
	v_add_f32_e32 v2, v2, v19
	v_add_f32_e32 v2, v2, v20
	s_delay_alu instid0(VALU_DEP_1) | instskip(SKIP_1) | instid1(VALU_DEP_2)
	v_dual_add_f32 v2, v2, v149 :: v_dual_mul_f32 v187, v7, v4
	v_fmac_f32_e32 v185, v6, v1
	v_dual_add_f32 v2, v2, v150 :: v_dual_fmac_f32 v187, v8, v3
	s_delay_alu instid0(VALU_DEP_1) | instskip(NEXT) | instid1(VALU_DEP_1)
	v_dual_add_f32 v2, v2, v153 :: v_dual_mul_f32 v1, v8, v4
	v_add_f32_e32 v2, v2, v155
	s_delay_alu instid0(VALU_DEP_2) | instskip(NEXT) | instid1(VALU_DEP_2)
	v_fma_f32 v188, v7, v3, -v1
	v_dual_add_f32 v1, 0, v22 :: v_dual_add_f32 v2, v2, v157
	s_delay_alu instid0(VALU_DEP_1) | instskip(NEXT) | instid1(VALU_DEP_2)
	v_add_f32_e32 v1, v1, v23
	v_add_f32_e32 v5, v2, v159
	s_delay_alu instid0(VALU_DEP_2) | instskip(NEXT) | instid1(VALU_DEP_1)
	v_add_f32_e32 v1, v1, v28
	v_add_f32_e32 v1, v1, v29
	scratch_load_b64 v[28:29], off, off offset:424
	v_add_f32_e32 v1, v1, v30
	s_delay_alu instid0(VALU_DEP_1) | instskip(NEXT) | instid1(VALU_DEP_1)
	v_add_f32_e32 v1, v1, v31
	v_add_f32_e32 v1, v1, v13
	;; [unrolled: 1-line block ×3, first 2 shown]
	s_delay_alu instid0(VALU_DEP_2) | instskip(NEXT) | instid1(VALU_DEP_2)
	v_add_f32_e32 v1, v1, v14
	v_add_f32_e32 v13, v13, v163
	s_delay_alu instid0(VALU_DEP_1) | instskip(NEXT) | instid1(VALU_DEP_1)
	v_add_f32_e32 v13, v13, v165
	v_add_f32_e32 v18, v13, v167
	s_delay_alu instid0(VALU_DEP_4) | instskip(NEXT) | instid1(VALU_DEP_1)
	v_add_f32_e32 v1, v1, v16
	v_add_f32_e32 v1, v1, v17
	s_delay_alu instid0(VALU_DEP_1) | instskip(NEXT) | instid1(VALU_DEP_1)
	v_add_f32_e32 v1, v1, v142
	v_add_f32_e32 v1, v1, v143
	s_delay_alu instid0(VALU_DEP_1) | instskip(NEXT) | instid1(VALU_DEP_1)
	;; [unrolled: 3-line block ×4, first 2 shown]
	v_add_f32_e32 v1, v1, v158
	v_add_f32_e32 v1, v1, v160
	s_delay_alu instid0(VALU_DEP_1)
	v_add_f32_e32 v6, v1, v162
	scratch_load_b128 v[1:4], off, off offset:360
	v_add_f32_e32 v18, v18, v169
	v_add_f32_e32 v14, v6, v164
	ds_load_2addr_b64 v[5:8], v21 offset0:97 offset1:98
	v_add_f32_e32 v18, v18, v171
	v_add_f32_e32 v14, v14, v166
	s_delay_alu instid0(VALU_DEP_2) | instskip(NEXT) | instid1(VALU_DEP_2)
	v_add_f32_e32 v22, v18, v173
	v_add_f32_e32 v17, v14, v168
	ds_load_2addr_b64 v[13:16], v21 offset0:99 offset1:100
	v_add_f32_e32 v22, v22, v175
	s_wait_loadcnt_dscnt 0x201
	v_mul_f32_e32 v26, v5, v10
	v_mul_f32_e32 v10, v6, v10
	;; [unrolled: 1-line block ×4, first 2 shown]
	v_add_f32_e32 v22, v22, v177
	v_fmac_f32_e32 v26, v6, v9
	v_fma_f32 v141, v5, v9, -v10
	v_fmac_f32_e32 v140, v8, v11
	v_fma_f32 v142, v7, v11, -v12
	scratch_load_b128 v[5:8], off, off offset:376
	v_add_f32_e32 v22, v22, v179
	scratch_load_b128 v[9:12], off, off offset:392
	s_wait_loadcnt_dscnt 0x200
	v_mul_f32_e32 v143, v13, v2
	v_mul_f32_e32 v2, v14, v2
	;; [unrolled: 1-line block ×3, first 2 shown]
	s_delay_alu instid0(VALU_DEP_3) | instskip(NEXT) | instid1(VALU_DEP_3)
	v_dual_mul_f32 v4, v16, v4 :: v_dual_fmac_f32 v143, v14, v1
	v_fma_f32 v147, v13, v1, -v2
	s_delay_alu instid0(VALU_DEP_3) | instskip(NEXT) | instid1(VALU_DEP_3)
	v_dual_add_f32 v13, v22, v181 :: v_dual_fmac_f32 v146, v16, v3
	v_fma_f32 v148, v15, v3, -v4
	ds_load_2addr_b64 v[1:4], v21 offset0:101 offset1:102
	v_add_f32_e32 v22, v13, v183
	s_delay_alu instid0(VALU_DEP_1) | instskip(NEXT) | instid1(VALU_DEP_1)
	v_add_f32_e32 v31, v22, v185
	v_add_f32_e32 v150, v31, v187
	s_delay_alu instid0(VALU_DEP_1) | instskip(NEXT) | instid1(VALU_DEP_1)
	v_add_f32_e32 v26, v150, v26
	v_dual_add_f32 v17, v17, v170 :: v_dual_add_f32 v26, v26, v140
	s_delay_alu instid0(VALU_DEP_1) | instskip(NEXT) | instid1(VALU_DEP_1)
	v_dual_add_f32 v17, v17, v172 :: v_dual_add_f32 v26, v26, v143
	v_add_f32_e32 v17, v17, v174
	s_delay_alu instid0(VALU_DEP_1) | instskip(SKIP_2) | instid1(VALU_DEP_1)
	v_dual_add_f32 v26, v26, v146 :: v_dual_add_f32 v23, v17, v176
	scratch_load_b128 v[17:20], off, off offset:408
	v_add_f32_e32 v23, v23, v178
	v_add_f32_e32 v23, v23, v180
	s_delay_alu instid0(VALU_DEP_1) | instskip(NEXT) | instid1(VALU_DEP_1)
	v_add_f32_e32 v23, v23, v182
	v_add_f32_e32 v14, v23, v184
	ds_load_2addr_b64 v[22:25], v21 offset0:105 offset1:106
	v_add_f32_e32 v30, v14, v186
	ds_load_2addr_b64 v[13:16], v21 offset0:103 offset1:104
	s_wait_loadcnt_dscnt 0x202
	v_mul_f32_e32 v140, v3, v8
	v_mul_f32_e32 v8, v4, v8
	v_add_f32_e32 v149, v30, v188
	ds_load_b64 v[30:31], v21 offset:856
	v_dual_fmac_f32 v140, v4, v7 :: v_dual_add_f32 v141, v149, v141
	s_delay_alu instid0(VALU_DEP_1) | instskip(SKIP_4) | instid1(VALU_DEP_3)
	v_add_f32_e32 v141, v141, v142
	s_wait_loadcnt_dscnt 0x101
	v_mul_f32_e32 v142, v13, v10
	v_mul_f32_e32 v149, v1, v6
	;; [unrolled: 1-line block ×3, first 2 shown]
	v_fmac_f32_e32 v142, v14, v9
	s_delay_alu instid0(VALU_DEP_3)
	v_fmac_f32_e32 v149, v2, v5
	s_wait_dscnt 0x0
	v_mul_f32_e32 v146, v30, v29
	v_fma_f32 v1, v1, v5, -v6
	v_fma_f32 v2, v3, v7, -v8
	v_mul_f32_e32 v3, v14, v10
	v_dual_add_f32 v4, v26, v149 :: v_dual_add_f32 v141, v141, v147
	v_fmac_f32_e32 v146, v31, v28
	s_delay_alu instid0(VALU_DEP_3) | instskip(SKIP_2) | instid1(VALU_DEP_1)
	v_fma_f32 v3, v13, v9, -v3
	s_wait_loadcnt 0x0
	v_mul_f32_e32 v147, v22, v18
	v_fmac_f32_e32 v147, v23, v17
	v_mul_f32_e32 v143, v15, v12
	s_delay_alu instid0(VALU_DEP_1) | instskip(SKIP_2) | instid1(VALU_DEP_1)
	v_fmac_f32_e32 v143, v16, v11
	v_add_f32_e32 v141, v141, v148
	v_mul_f32_e32 v148, v24, v20
	v_fmac_f32_e32 v148, v25, v19
	s_delay_alu instid0(VALU_DEP_3) | instskip(NEXT) | instid1(VALU_DEP_1)
	v_add_f32_e32 v1, v141, v1
	v_dual_add_f32 v1, v1, v2 :: v_dual_add_f32 v2, v4, v140
	s_delay_alu instid0(VALU_DEP_1) | instskip(NEXT) | instid1(VALU_DEP_2)
	v_dual_mul_f32 v4, v23, v18 :: v_dual_add_f32 v1, v1, v3
	v_dual_add_f32 v2, v2, v142 :: v_dual_mul_f32 v3, v25, v20
	s_delay_alu instid0(VALU_DEP_2) | instskip(NEXT) | instid1(VALU_DEP_2)
	v_fma_f32 v4, v22, v17, -v4
	v_add_f32_e32 v2, v2, v143
	s_delay_alu instid0(VALU_DEP_3) | instskip(NEXT) | instid1(VALU_DEP_2)
	v_fma_f32 v3, v24, v19, -v3
	v_add_f32_e32 v2, v2, v147
	s_delay_alu instid0(VALU_DEP_1) | instskip(NEXT) | instid1(VALU_DEP_1)
	v_add_f32_e32 v2, v2, v148
	v_dual_mul_f32 v5, v16, v12 :: v_dual_add_f32 v2, v2, v146
	s_delay_alu instid0(VALU_DEP_1) | instskip(NEXT) | instid1(VALU_DEP_2)
	v_fma_f32 v5, v15, v11, -v5
	v_sub_f32_e32 v2, v145, v2
	s_delay_alu instid0(VALU_DEP_2) | instskip(SKIP_1) | instid1(VALU_DEP_2)
	v_add_f32_e32 v1, v1, v5
	v_mul_f32_e32 v5, v31, v29
	v_add_f32_e32 v1, v1, v4
	s_delay_alu instid0(VALU_DEP_2) | instskip(NEXT) | instid1(VALU_DEP_2)
	v_fma_f32 v4, v30, v28, -v5
	v_add_f32_e32 v1, v1, v3
	s_delay_alu instid0(VALU_DEP_1) | instskip(NEXT) | instid1(VALU_DEP_1)
	v_add_f32_e32 v1, v1, v4
	v_sub_f32_e32 v1, v144, v1
	scratch_store_b64 off, v[1:2], off offset:80
	v_cmpx_lt_u32_e32 9, v0
	s_cbranch_execz .LBB53_319
; %bb.318:
	scratch_load_b64 v[1:2], off, off offset:72
	v_mov_b32_e32 v22, v21
	scratch_store_b64 off, v[21:22], off offset:72
	s_wait_loadcnt 0x0
	ds_store_b64 v27, v[1:2]
.LBB53_319:
	s_wait_alu 0xfffe
	s_or_b32 exec_lo, exec_lo, s0
	s_wait_storecnt_dscnt 0x0
	s_barrier_signal -1
	s_barrier_wait -1
	global_inv scope:SCOPE_SE
	s_clause 0x4
	scratch_load_b128 v[5:8], off, off offset:80
	scratch_load_b128 v[1:4], off, off offset:96
	scratch_load_b128 v[9:12], off, off offset:112
	scratch_load_b128 v[13:16], off, off offset:128
	scratch_load_b128 v[17:20], off, off offset:144
	ds_load_b128 v[22:25], v21 offset:512
	ds_load_b128 v[28:31], v21 offset:528
	;; [unrolled: 1-line block ×3, first 2 shown]
	scratch_load_b64 v[144:145], off, off offset:72
	s_mov_b32 s0, exec_lo
	s_wait_loadcnt_dscnt 0x502
	v_dual_mul_f32 v26, v23, v6 :: v_dual_mul_f32 v147, v24, v8
	v_mul_f32_e32 v146, v22, v6
	v_mul_f32_e32 v6, v25, v8
	s_wait_loadcnt_dscnt 0x300
	v_mul_f32_e32 v148, v142, v12
	v_fma_f32 v22, v22, v5, -v26
	v_dual_fmac_f32 v147, v25, v7 :: v_dual_fmac_f32 v146, v23, v5
	v_mul_f32_e32 v25, v30, v4
	v_mul_f32_e32 v4, v31, v4
	;; [unrolled: 1-line block ×5, first 2 shown]
	v_fmac_f32_e32 v25, v31, v3
	v_fma_f32 v23, v24, v7, -v6
	ds_load_b128 v[5:8], v21 offset:560
	v_mul_f32_e32 v24, v28, v2
	v_mul_f32_e32 v2, v29, v2
	v_fmac_f32_e32 v26, v141, v9
	v_fmac_f32_e32 v148, v143, v11
	v_fma_f32 v31, v142, v11, -v12
	v_fmac_f32_e32 v24, v29, v1
	v_fma_f32 v29, v30, v3, -v4
	v_fma_f32 v30, v140, v9, -v10
	ds_load_b128 v[9:12], v21 offset:576
	s_wait_loadcnt_dscnt 0x201
	v_dual_mul_f32 v141, v7, v16 :: v_dual_mul_f32 v140, v5, v14
	v_mul_f32_e32 v14, v6, v14
	v_mul_f32_e32 v16, v8, v16
	s_delay_alu instid0(VALU_DEP_3)
	v_fmac_f32_e32 v141, v8, v15
	v_fma_f32 v28, v28, v1, -v2
	scratch_load_b128 v[1:4], off, off offset:160
	v_fmac_f32_e32 v140, v6, v13
	v_fma_f32 v13, v5, v13, -v14
	v_fma_f32 v14, v7, v15, -v16
	s_wait_loadcnt_dscnt 0x200
	v_mul_f32_e32 v15, v9, v18
	v_mul_f32_e32 v16, v10, v18
	;; [unrolled: 1-line block ×4, first 2 shown]
	ds_load_b128 v[5:8], v21 offset:592
	v_fmac_f32_e32 v15, v10, v17
	v_fma_f32 v16, v9, v17, -v16
	v_fmac_f32_e32 v18, v12, v19
	v_fma_f32 v17, v11, v19, -v20
	scratch_load_b128 v[9:12], off, off offset:176
	s_wait_loadcnt_dscnt 0x100
	v_mul_f32_e32 v19, v5, v2
	v_mul_f32_e32 v2, v6, v2
	;; [unrolled: 1-line block ×3, first 2 shown]
	s_delay_alu instid0(VALU_DEP_3) | instskip(NEXT) | instid1(VALU_DEP_3)
	v_dual_mul_f32 v4, v8, v4 :: v_dual_fmac_f32 v19, v6, v1
	v_fma_f32 v142, v5, v1, -v2
	s_delay_alu instid0(VALU_DEP_3) | instskip(NEXT) | instid1(VALU_DEP_3)
	v_fmac_f32_e32 v20, v8, v3
	v_fma_f32 v143, v7, v3, -v4
	ds_load_b128 v[1:4], v21 offset:608
	ds_load_b128 v[5:8], v21 offset:624
	s_wait_loadcnt_dscnt 0x1
	v_mul_f32_e32 v149, v1, v10
	v_mul_f32_e32 v10, v2, v10
	s_delay_alu instid0(VALU_DEP_2) | instskip(NEXT) | instid1(VALU_DEP_2)
	v_dual_mul_f32 v150, v3, v12 :: v_dual_fmac_f32 v149, v2, v9
	v_fma_f32 v151, v1, v9, -v10
	v_mul_f32_e32 v1, v4, v12
	s_delay_alu instid0(VALU_DEP_3) | instskip(NEXT) | instid1(VALU_DEP_2)
	v_fmac_f32_e32 v150, v4, v11
	v_fma_f32 v152, v3, v11, -v1
	s_clause 0x1
	scratch_load_b128 v[1:4], off, off offset:192
	scratch_load_b128 v[9:12], off, off offset:208
	s_wait_loadcnt_dscnt 0x100
	v_mul_f32_e32 v153, v5, v2
	v_dual_mul_f32 v2, v6, v2 :: v_dual_mul_f32 v155, v7, v4
	s_delay_alu instid0(VALU_DEP_2) | instskip(NEXT) | instid1(VALU_DEP_2)
	v_fmac_f32_e32 v153, v6, v1
	v_fma_f32 v154, v5, v1, -v2
	v_mul_f32_e32 v1, v8, v4
	s_delay_alu instid0(VALU_DEP_4) | instskip(NEXT) | instid1(VALU_DEP_2)
	v_fmac_f32_e32 v155, v8, v3
	v_fma_f32 v156, v7, v3, -v1
	ds_load_b128 v[1:4], v21 offset:640
	ds_load_b128 v[5:8], v21 offset:656
	s_wait_loadcnt_dscnt 0x1
	v_mul_f32_e32 v157, v1, v10
	v_mul_f32_e32 v159, v3, v12
	s_delay_alu instid0(VALU_DEP_2) | instskip(NEXT) | instid1(VALU_DEP_2)
	v_fmac_f32_e32 v157, v2, v9
	v_dual_mul_f32 v2, v2, v10 :: v_dual_fmac_f32 v159, v4, v11
	s_delay_alu instid0(VALU_DEP_1) | instskip(SKIP_1) | instid1(VALU_DEP_1)
	v_fma_f32 v158, v1, v9, -v2
	v_mul_f32_e32 v1, v4, v12
	v_fma_f32 v160, v3, v11, -v1
	s_clause 0x1
	scratch_load_b128 v[1:4], off, off offset:224
	scratch_load_b128 v[9:12], off, off offset:240
	s_wait_loadcnt_dscnt 0x100
	v_mul_f32_e32 v161, v5, v2
	v_dual_mul_f32 v2, v6, v2 :: v_dual_mul_f32 v163, v7, v4
	s_delay_alu instid0(VALU_DEP_2) | instskip(NEXT) | instid1(VALU_DEP_2)
	v_fmac_f32_e32 v161, v6, v1
	v_fma_f32 v162, v5, v1, -v2
	v_mul_f32_e32 v1, v8, v4
	s_delay_alu instid0(VALU_DEP_4) | instskip(NEXT) | instid1(VALU_DEP_2)
	v_fmac_f32_e32 v163, v8, v3
	v_fma_f32 v164, v7, v3, -v1
	ds_load_b128 v[1:4], v21 offset:672
	ds_load_b128 v[5:8], v21 offset:688
	s_wait_loadcnt_dscnt 0x1
	v_mul_f32_e32 v165, v1, v10
	v_mul_f32_e32 v167, v3, v12
	s_delay_alu instid0(VALU_DEP_2) | instskip(NEXT) | instid1(VALU_DEP_2)
	v_fmac_f32_e32 v165, v2, v9
	v_dual_mul_f32 v2, v2, v10 :: v_dual_fmac_f32 v167, v4, v11
	s_delay_alu instid0(VALU_DEP_1) | instskip(SKIP_1) | instid1(VALU_DEP_1)
	v_fma_f32 v166, v1, v9, -v2
	v_mul_f32_e32 v1, v4, v12
	;; [unrolled: 25-line block ×5, first 2 shown]
	v_fma_f32 v192, v3, v11, -v1
	s_clause 0x1
	scratch_load_b128 v[1:4], off, off offset:352
	scratch_load_b128 v[9:12], off, off offset:368
	s_wait_loadcnt_dscnt 0x100
	v_mul_f32_e32 v193, v5, v2
	v_mul_f32_e32 v2, v6, v2
	s_delay_alu instid0(VALU_DEP_1) | instskip(SKIP_1) | instid1(VALU_DEP_1)
	v_fma_f32 v194, v5, v1, -v2
	v_add_f32_e32 v2, 0, v146
	v_add_f32_e32 v2, v2, v147
	s_delay_alu instid0(VALU_DEP_1) | instskip(NEXT) | instid1(VALU_DEP_1)
	v_add_f32_e32 v2, v2, v24
	v_add_f32_e32 v2, v2, v25
	s_delay_alu instid0(VALU_DEP_1) | instskip(NEXT) | instid1(VALU_DEP_1)
	;; [unrolled: 3-line block ×8, first 2 shown]
	v_add_f32_e32 v2, v2, v157
	v_add_f32_e32 v2, v2, v159
	s_delay_alu instid0(VALU_DEP_1) | instskip(SKIP_2) | instid1(VALU_DEP_3)
	v_add_f32_e32 v2, v2, v161
	v_fmac_f32_e32 v193, v6, v1
	v_mul_f32_e32 v1, v8, v4
	v_dual_mul_f32 v195, v7, v4 :: v_dual_add_f32 v2, v2, v163
	s_delay_alu instid0(VALU_DEP_2) | instskip(SKIP_1) | instid1(VALU_DEP_3)
	v_fma_f32 v196, v7, v3, -v1
	v_add_f32_e32 v1, 0, v22
	v_add_f32_e32 v5, v2, v165
	s_delay_alu instid0(VALU_DEP_2) | instskip(NEXT) | instid1(VALU_DEP_2)
	v_add_f32_e32 v1, v1, v23
	v_add_f32_e32 v5, v5, v167
	s_delay_alu instid0(VALU_DEP_2) | instskip(NEXT) | instid1(VALU_DEP_2)
	v_add_f32_e32 v1, v1, v28
	v_add_f32_e32 v5, v5, v169
	s_delay_alu instid0(VALU_DEP_2) | instskip(NEXT) | instid1(VALU_DEP_1)
	v_add_f32_e32 v1, v1, v29
	v_add_f32_e32 v1, v1, v30
	s_delay_alu instid0(VALU_DEP_1) | instskip(NEXT) | instid1(VALU_DEP_1)
	v_add_f32_e32 v1, v1, v31
	v_add_f32_e32 v1, v1, v13
	s_delay_alu instid0(VALU_DEP_1) | instskip(SKIP_1) | instid1(VALU_DEP_2)
	v_add_f32_e32 v1, v1, v14
	v_add_f32_e32 v14, v5, v171
	;; [unrolled: 1-line block ×3, first 2 shown]
	s_delay_alu instid0(VALU_DEP_1) | instskip(NEXT) | instid1(VALU_DEP_1)
	v_add_f32_e32 v1, v1, v17
	v_add_f32_e32 v1, v1, v142
	s_delay_alu instid0(VALU_DEP_1) | instskip(NEXT) | instid1(VALU_DEP_1)
	v_add_f32_e32 v1, v1, v143
	v_add_f32_e32 v1, v1, v151
	;; [unrolled: 3-line block ×6, first 2 shown]
	s_delay_alu instid0(VALU_DEP_1) | instskip(SKIP_3) | instid1(VALU_DEP_2)
	v_dual_add_f32 v6, v1, v168 :: v_dual_fmac_f32 v195, v8, v3
	ds_load_b128 v[1:4], v21 offset:800
	v_add_f32_e32 v14, v14, v173
	v_add_f32_e32 v6, v6, v170
	;; [unrolled: 1-line block ×3, first 2 shown]
	s_delay_alu instid0(VALU_DEP_2) | instskip(SKIP_4) | instid1(VALU_DEP_2)
	v_add_f32_e32 v13, v6, v172
	ds_load_b128 v[5:8], v21 offset:816
	s_wait_loadcnt_dscnt 0x1
	v_dual_mul_f32 v25, v1, v10 :: v_dual_mul_f32 v26, v3, v12
	v_mul_f32_e32 v10, v2, v10
	v_dual_mul_f32 v12, v4, v12 :: v_dual_fmac_f32 v25, v2, v9
	s_delay_alu instid0(VALU_DEP_3) | instskip(NEXT) | instid1(VALU_DEP_3)
	v_fmac_f32_e32 v26, v4, v11
	v_fma_f32 v28, v1, v9, -v10
	s_delay_alu instid0(VALU_DEP_3)
	v_fma_f32 v29, v3, v11, -v12
	s_clause 0x1
	scratch_load_b128 v[1:4], off, off offset:384
	scratch_load_b128 v[9:12], off, off offset:400
	s_wait_loadcnt_dscnt 0x100
	v_mul_f32_e32 v140, v5, v2
	v_add_f32_e32 v13, v13, v174
	v_dual_mul_f32 v2, v6, v2 :: v_dual_mul_f32 v141, v7, v4
	v_mul_f32_e32 v4, v8, v4
	s_delay_alu instid0(VALU_DEP_3) | instskip(SKIP_1) | instid1(VALU_DEP_4)
	v_dual_fmac_f32 v140, v6, v1 :: v_dual_add_f32 v13, v13, v176
	v_add_f32_e32 v17, v14, v177
	v_fma_f32 v2, v5, v1, -v2
	v_fmac_f32_e32 v141, v8, v3
	v_fma_f32 v3, v7, v3, -v4
	v_add_f32_e32 v13, v13, v178
	v_add_f32_e32 v17, v17, v179
	s_delay_alu instid0(VALU_DEP_2) | instskip(SKIP_2) | instid1(VALU_DEP_1)
	v_add_f32_e32 v18, v13, v180
	scratch_load_b128 v[13:16], off, off offset:416
	v_dual_add_f32 v17, v17, v181 :: v_dual_add_f32 v18, v18, v182
	v_dual_add_f32 v17, v17, v183 :: v_dual_add_f32 v18, v18, v184
	s_delay_alu instid0(VALU_DEP_1) | instskip(SKIP_4) | instid1(VALU_DEP_1)
	v_dual_add_f32 v23, v17, v185 :: v_dual_add_f32 v22, v18, v186
	ds_load_b128 v[17:20], v21 offset:832
	v_dual_add_f32 v31, v23, v187 :: v_dual_add_f32 v30, v22, v188
	ds_load_b128 v[21:24], v21 offset:848
	v_dual_add_f32 v31, v31, v189 :: v_dual_add_f32 v30, v30, v190
	v_dual_add_f32 v31, v31, v191 :: v_dual_add_f32 v30, v30, v192
	s_delay_alu instid0(VALU_DEP_1) | instskip(SKIP_1) | instid1(VALU_DEP_1)
	v_dual_add_f32 v31, v31, v193 :: v_dual_add_f32 v30, v30, v194
	s_wait_loadcnt_dscnt 0x101
	v_dual_mul_f32 v142, v17, v10 :: v_dual_add_f32 v31, v31, v195
	v_dual_mul_f32 v6, v18, v10 :: v_dual_mul_f32 v143, v19, v12
	s_delay_alu instid0(VALU_DEP_3) | instskip(SKIP_1) | instid1(VALU_DEP_3)
	v_add_f32_e32 v30, v30, v196
	v_mul_f32_e32 v4, v20, v12
	v_dual_fmac_f32 v142, v18, v9 :: v_dual_fmac_f32 v143, v20, v11
	s_delay_alu instid0(VALU_DEP_3) | instskip(NEXT) | instid1(VALU_DEP_3)
	v_add_f32_e32 v28, v30, v28
	v_fma_f32 v4, v19, v11, -v4
	s_delay_alu instid0(VALU_DEP_2) | instskip(NEXT) | instid1(VALU_DEP_1)
	v_add_f32_e32 v1, v28, v29
	v_add_f32_e32 v1, v1, v2
	s_delay_alu instid0(VALU_DEP_1) | instskip(SKIP_3) | instid1(VALU_DEP_2)
	v_add_f32_e32 v1, v1, v3
	s_wait_loadcnt_dscnt 0x0
	v_dual_mul_f32 v146, v21, v14 :: v_dual_add_f32 v25, v31, v25
	v_dual_mul_f32 v3, v22, v14 :: v_dual_mul_f32 v30, v23, v16
	v_dual_fmac_f32 v146, v22, v13 :: v_dual_add_f32 v5, v25, v26
	s_delay_alu instid0(VALU_DEP_2) | instskip(NEXT) | instid1(VALU_DEP_3)
	v_fma_f32 v3, v21, v13, -v3
	v_fmac_f32_e32 v30, v24, v15
	s_delay_alu instid0(VALU_DEP_3) | instskip(SKIP_1) | instid1(VALU_DEP_2)
	v_add_f32_e32 v2, v5, v140
	v_fma_f32 v5, v17, v9, -v6
	v_add_f32_e32 v2, v2, v141
	s_delay_alu instid0(VALU_DEP_2) | instskip(NEXT) | instid1(VALU_DEP_2)
	v_add_f32_e32 v1, v1, v5
	v_dual_mul_f32 v5, v24, v16 :: v_dual_add_f32 v2, v2, v142
	s_delay_alu instid0(VALU_DEP_2) | instskip(NEXT) | instid1(VALU_DEP_2)
	v_add_f32_e32 v1, v1, v4
	v_fma_f32 v4, v23, v15, -v5
	s_delay_alu instid0(VALU_DEP_3) | instskip(NEXT) | instid1(VALU_DEP_1)
	v_add_f32_e32 v2, v2, v143
	v_dual_add_f32 v1, v1, v3 :: v_dual_add_f32 v2, v2, v146
	s_delay_alu instid0(VALU_DEP_1) | instskip(NEXT) | instid1(VALU_DEP_1)
	v_dual_add_f32 v1, v1, v4 :: v_dual_add_f32 v2, v2, v30
	v_dual_sub_f32 v1, v144, v1 :: v_dual_sub_f32 v2, v145, v2
	scratch_store_b64 off, v[1:2], off offset:72
	v_cmpx_lt_u32_e32 8, v0
	s_cbranch_execz .LBB53_321
; %bb.320:
	scratch_load_b64 v[1:2], off, off offset:64
	v_mov_b32_e32 v3, 0
	s_delay_alu instid0(VALU_DEP_1)
	v_mov_b32_e32 v4, v3
	scratch_store_b64 off, v[3:4], off offset:64
	s_wait_loadcnt 0x0
	ds_store_b64 v27, v[1:2]
.LBB53_321:
	s_wait_alu 0xfffe
	s_or_b32 exec_lo, exec_lo, s0
	s_wait_storecnt_dscnt 0x0
	s_barrier_signal -1
	s_barrier_wait -1
	global_inv scope:SCOPE_SE
	s_clause 0x4
	scratch_load_b128 v[5:8], off, off offset:72
	scratch_load_b128 v[1:4], off, off offset:88
	;; [unrolled: 1-line block ×5, first 2 shown]
	v_mov_b32_e32 v21, 0
	ds_load_2addr_b64 v[22:25], v21 offset0:63 offset1:64
	ds_load_2addr_b64 v[28:31], v21 offset0:65 offset1:66
	;; [unrolled: 1-line block ×3, first 2 shown]
	scratch_load_b64 v[144:145], off, off offset:64
	s_mov_b32 s0, exec_lo
	s_wait_loadcnt_dscnt 0x502
	v_dual_mul_f32 v146, v22, v6 :: v_dual_mul_f32 v147, v24, v8
	v_mul_f32_e32 v26, v23, v6
	v_mul_f32_e32 v6, v25, v8
	s_wait_loadcnt_dscnt 0x300
	v_mul_f32_e32 v148, v142, v12
	v_dual_fmac_f32 v146, v23, v5 :: v_dual_fmac_f32 v147, v25, v7
	v_mul_f32_e32 v25, v30, v4
	v_fma_f32 v22, v22, v5, -v26
	v_mul_f32_e32 v26, v140, v10
	v_mul_f32_e32 v4, v31, v4
	s_delay_alu instid0(VALU_DEP_4)
	v_dual_mul_f32 v10, v141, v10 :: v_dual_fmac_f32 v25, v31, v3
	v_fma_f32 v23, v24, v7, -v6
	ds_load_2addr_b64 v[5:8], v21 offset0:69 offset1:70
	v_mul_f32_e32 v24, v28, v2
	v_mul_f32_e32 v12, v143, v12
	;; [unrolled: 1-line block ×3, first 2 shown]
	v_fmac_f32_e32 v26, v141, v9
	v_fmac_f32_e32 v148, v143, v11
	v_fmac_f32_e32 v24, v29, v1
	v_fma_f32 v29, v30, v3, -v4
	v_fma_f32 v30, v140, v9, -v10
	;; [unrolled: 1-line block ×3, first 2 shown]
	ds_load_2addr_b64 v[9:12], v21 offset0:71 offset1:72
	s_wait_loadcnt_dscnt 0x201
	v_dual_mul_f32 v141, v7, v16 :: v_dual_mul_f32 v140, v5, v14
	v_mul_f32_e32 v14, v6, v14
	v_mul_f32_e32 v16, v8, v16
	s_delay_alu instid0(VALU_DEP_3)
	v_fmac_f32_e32 v141, v8, v15
	v_fma_f32 v28, v28, v1, -v2
	scratch_load_b128 v[1:4], off, off offset:152
	v_fmac_f32_e32 v140, v6, v13
	v_fma_f32 v13, v5, v13, -v14
	v_fma_f32 v14, v7, v15, -v16
	s_wait_loadcnt_dscnt 0x200
	v_mul_f32_e32 v15, v9, v18
	v_mul_f32_e32 v16, v10, v18
	;; [unrolled: 1-line block ×4, first 2 shown]
	ds_load_2addr_b64 v[5:8], v21 offset0:73 offset1:74
	v_fmac_f32_e32 v15, v10, v17
	v_fma_f32 v16, v9, v17, -v16
	v_fmac_f32_e32 v18, v12, v19
	v_fma_f32 v17, v11, v19, -v20
	scratch_load_b128 v[9:12], off, off offset:168
	s_wait_loadcnt_dscnt 0x100
	v_mul_f32_e32 v19, v5, v2
	v_mul_f32_e32 v2, v6, v2
	;; [unrolled: 1-line block ×3, first 2 shown]
	s_delay_alu instid0(VALU_DEP_3) | instskip(NEXT) | instid1(VALU_DEP_3)
	v_dual_mul_f32 v4, v8, v4 :: v_dual_fmac_f32 v19, v6, v1
	v_fma_f32 v142, v5, v1, -v2
	s_delay_alu instid0(VALU_DEP_3) | instskip(NEXT) | instid1(VALU_DEP_3)
	v_fmac_f32_e32 v20, v8, v3
	v_fma_f32 v143, v7, v3, -v4
	ds_load_2addr_b64 v[1:4], v21 offset0:75 offset1:76
	ds_load_2addr_b64 v[5:8], v21 offset0:77 offset1:78
	s_wait_loadcnt_dscnt 0x1
	v_mul_f32_e32 v149, v1, v10
	v_mul_f32_e32 v10, v2, v10
	s_delay_alu instid0(VALU_DEP_2) | instskip(NEXT) | instid1(VALU_DEP_2)
	v_dual_mul_f32 v150, v3, v12 :: v_dual_fmac_f32 v149, v2, v9
	v_fma_f32 v151, v1, v9, -v10
	v_mul_f32_e32 v1, v4, v12
	s_delay_alu instid0(VALU_DEP_3) | instskip(NEXT) | instid1(VALU_DEP_2)
	v_fmac_f32_e32 v150, v4, v11
	v_fma_f32 v152, v3, v11, -v1
	s_clause 0x1
	scratch_load_b128 v[1:4], off, off offset:184
	scratch_load_b128 v[9:12], off, off offset:200
	s_wait_loadcnt_dscnt 0x100
	v_mul_f32_e32 v153, v5, v2
	v_dual_mul_f32 v2, v6, v2 :: v_dual_mul_f32 v155, v7, v4
	s_delay_alu instid0(VALU_DEP_2) | instskip(NEXT) | instid1(VALU_DEP_2)
	v_fmac_f32_e32 v153, v6, v1
	v_fma_f32 v154, v5, v1, -v2
	v_mul_f32_e32 v1, v8, v4
	s_delay_alu instid0(VALU_DEP_4) | instskip(NEXT) | instid1(VALU_DEP_2)
	v_fmac_f32_e32 v155, v8, v3
	v_fma_f32 v156, v7, v3, -v1
	ds_load_2addr_b64 v[1:4], v21 offset0:79 offset1:80
	ds_load_2addr_b64 v[5:8], v21 offset0:81 offset1:82
	s_wait_loadcnt_dscnt 0x1
	v_mul_f32_e32 v157, v1, v10
	v_mul_f32_e32 v159, v3, v12
	s_delay_alu instid0(VALU_DEP_2) | instskip(NEXT) | instid1(VALU_DEP_2)
	v_fmac_f32_e32 v157, v2, v9
	v_dual_mul_f32 v2, v2, v10 :: v_dual_fmac_f32 v159, v4, v11
	s_delay_alu instid0(VALU_DEP_1) | instskip(SKIP_1) | instid1(VALU_DEP_1)
	v_fma_f32 v158, v1, v9, -v2
	v_mul_f32_e32 v1, v4, v12
	v_fma_f32 v160, v3, v11, -v1
	s_clause 0x1
	scratch_load_b128 v[1:4], off, off offset:216
	scratch_load_b128 v[9:12], off, off offset:232
	s_wait_loadcnt_dscnt 0x100
	v_mul_f32_e32 v161, v5, v2
	v_dual_mul_f32 v2, v6, v2 :: v_dual_mul_f32 v163, v7, v4
	s_delay_alu instid0(VALU_DEP_2) | instskip(NEXT) | instid1(VALU_DEP_2)
	v_fmac_f32_e32 v161, v6, v1
	v_fma_f32 v162, v5, v1, -v2
	v_mul_f32_e32 v1, v8, v4
	s_delay_alu instid0(VALU_DEP_4) | instskip(NEXT) | instid1(VALU_DEP_2)
	v_fmac_f32_e32 v163, v8, v3
	v_fma_f32 v164, v7, v3, -v1
	ds_load_2addr_b64 v[1:4], v21 offset0:83 offset1:84
	ds_load_2addr_b64 v[5:8], v21 offset0:85 offset1:86
	s_wait_loadcnt_dscnt 0x1
	v_mul_f32_e32 v165, v1, v10
	v_mul_f32_e32 v167, v3, v12
	s_delay_alu instid0(VALU_DEP_2) | instskip(NEXT) | instid1(VALU_DEP_2)
	v_fmac_f32_e32 v165, v2, v9
	v_dual_mul_f32 v2, v2, v10 :: v_dual_fmac_f32 v167, v4, v11
	s_delay_alu instid0(VALU_DEP_1) | instskip(SKIP_1) | instid1(VALU_DEP_1)
	v_fma_f32 v166, v1, v9, -v2
	v_mul_f32_e32 v1, v4, v12
	;; [unrolled: 25-line block ×5, first 2 shown]
	v_fma_f32 v192, v3, v11, -v1
	s_clause 0x1
	scratch_load_b128 v[1:4], off, off offset:344
	scratch_load_b128 v[9:12], off, off offset:360
	s_wait_loadcnt_dscnt 0x100
	v_mul_f32_e32 v193, v5, v2
	v_mul_f32_e32 v2, v6, v2
	s_delay_alu instid0(VALU_DEP_1) | instskip(SKIP_1) | instid1(VALU_DEP_1)
	v_fma_f32 v194, v5, v1, -v2
	v_add_f32_e32 v2, 0, v146
	v_add_f32_e32 v2, v2, v147
	s_delay_alu instid0(VALU_DEP_1) | instskip(NEXT) | instid1(VALU_DEP_1)
	v_add_f32_e32 v2, v2, v24
	v_add_f32_e32 v2, v2, v25
	s_delay_alu instid0(VALU_DEP_1) | instskip(NEXT) | instid1(VALU_DEP_1)
	;; [unrolled: 3-line block ×8, first 2 shown]
	v_add_f32_e32 v2, v2, v157
	v_add_f32_e32 v2, v2, v159
	s_delay_alu instid0(VALU_DEP_1) | instskip(SKIP_2) | instid1(VALU_DEP_3)
	v_add_f32_e32 v2, v2, v161
	v_fmac_f32_e32 v193, v6, v1
	v_mul_f32_e32 v1, v8, v4
	v_dual_mul_f32 v195, v7, v4 :: v_dual_add_f32 v2, v2, v163
	s_delay_alu instid0(VALU_DEP_2) | instskip(SKIP_1) | instid1(VALU_DEP_3)
	v_fma_f32 v196, v7, v3, -v1
	v_add_f32_e32 v1, 0, v22
	v_add_f32_e32 v5, v2, v165
	s_delay_alu instid0(VALU_DEP_2) | instskip(NEXT) | instid1(VALU_DEP_2)
	v_add_f32_e32 v1, v1, v23
	v_add_f32_e32 v5, v5, v167
	s_delay_alu instid0(VALU_DEP_2) | instskip(NEXT) | instid1(VALU_DEP_1)
	v_add_f32_e32 v1, v1, v28
	v_add_f32_e32 v1, v1, v29
	scratch_load_b64 v[28:29], off, off offset:424
	v_add_f32_e32 v1, v1, v30
	s_delay_alu instid0(VALU_DEP_1) | instskip(NEXT) | instid1(VALU_DEP_1)
	v_add_f32_e32 v1, v1, v31
	v_add_f32_e32 v1, v1, v13
	s_delay_alu instid0(VALU_DEP_1) | instskip(NEXT) | instid1(VALU_DEP_1)
	v_add_f32_e32 v1, v1, v14
	;; [unrolled: 3-line block ×8, first 2 shown]
	v_add_f32_e32 v1, v1, v166
	s_delay_alu instid0(VALU_DEP_1) | instskip(SKIP_2) | instid1(VALU_DEP_1)
	v_dual_add_f32 v6, v1, v168 :: v_dual_fmac_f32 v195, v8, v3
	ds_load_2addr_b64 v[1:4], v21 offset0:99 offset1:100
	v_dual_add_f32 v5, v5, v169 :: v_dual_add_f32 v6, v6, v170
	v_dual_add_f32 v14, v5, v171 :: v_dual_add_f32 v13, v6, v172
	ds_load_2addr_b64 v[5:8], v21 offset0:101 offset1:102
	v_add_f32_e32 v14, v14, v173
	s_delay_alu instid0(VALU_DEP_1)
	v_add_f32_e32 v14, v14, v175
	s_wait_loadcnt_dscnt 0x101
	v_mul_f32_e32 v26, v1, v10
	v_mul_f32_e32 v10, v2, v10
	;; [unrolled: 1-line block ×3, first 2 shown]
	v_dual_mul_f32 v12, v4, v12 :: v_dual_add_f32 v17, v14, v177
	s_delay_alu instid0(VALU_DEP_4) | instskip(NEXT) | instid1(VALU_DEP_4)
	v_fmac_f32_e32 v26, v2, v9
	v_fma_f32 v141, v1, v9, -v10
	s_delay_alu instid0(VALU_DEP_4) | instskip(NEXT) | instid1(VALU_DEP_4)
	v_fmac_f32_e32 v140, v4, v11
	v_fma_f32 v142, v3, v11, -v12
	s_clause 0x1
	scratch_load_b128 v[1:4], off, off offset:376
	scratch_load_b128 v[9:12], off, off offset:392
	v_add_f32_e32 v13, v13, v174
	v_add_f32_e32 v17, v17, v179
	s_delay_alu instid0(VALU_DEP_2) | instskip(NEXT) | instid1(VALU_DEP_2)
	v_add_f32_e32 v13, v13, v176
	v_add_f32_e32 v17, v17, v181
	s_delay_alu instid0(VALU_DEP_2) | instskip(NEXT) | instid1(VALU_DEP_2)
	v_add_f32_e32 v13, v13, v178
	v_add_f32_e32 v17, v17, v183
	s_delay_alu instid0(VALU_DEP_2) | instskip(SKIP_2) | instid1(VALU_DEP_1)
	v_add_f32_e32 v18, v13, v180
	scratch_load_b128 v[13:16], off, off offset:408
	v_dual_add_f32 v17, v17, v185 :: v_dual_add_f32 v18, v18, v182
	v_add_f32_e32 v22, v17, v187
	s_delay_alu instid0(VALU_DEP_2) | instskip(NEXT) | instid1(VALU_DEP_2)
	v_add_f32_e32 v18, v18, v184
	v_add_f32_e32 v31, v22, v189
	ds_load_2addr_b64 v[22:25], v21 offset0:105 offset1:106
	v_add_f32_e32 v18, v18, v186
	v_add_f32_e32 v146, v31, v191
	s_delay_alu instid0(VALU_DEP_2) | instskip(NEXT) | instid1(VALU_DEP_2)
	v_add_f32_e32 v18, v18, v188
	v_add_f32_e32 v146, v146, v193
	s_delay_alu instid0(VALU_DEP_2)
	v_add_f32_e32 v30, v18, v190
	ds_load_2addr_b64 v[17:20], v21 offset0:103 offset1:104
	v_add_f32_e32 v146, v146, v195
	v_add_f32_e32 v143, v30, v192
	ds_load_b64 v[30:31], v21 offset:856
	v_add_f32_e32 v26, v146, v26
	s_delay_alu instid0(VALU_DEP_1) | instskip(NEXT) | instid1(VALU_DEP_1)
	v_dual_add_f32 v143, v143, v194 :: v_dual_add_f32 v26, v26, v140
	v_add_f32_e32 v143, v143, v196
	s_delay_alu instid0(VALU_DEP_1) | instskip(SKIP_1) | instid1(VALU_DEP_1)
	v_add_f32_e32 v141, v143, v141
	s_wait_loadcnt_dscnt 0x300
	v_dual_add_f32 v141, v141, v142 :: v_dual_mul_f32 v140, v30, v29
	s_wait_loadcnt 0x2
	s_delay_alu instid0(VALU_DEP_1)
	v_dual_fmac_f32 v140, v31, v28 :: v_dual_mul_f32 v147, v5, v2
	v_mul_f32_e32 v2, v6, v2
	v_mul_f32_e32 v148, v7, v4
	s_wait_loadcnt 0x1
	v_dual_mul_f32 v4, v8, v4 :: v_dual_mul_f32 v143, v17, v10
	v_fmac_f32_e32 v147, v6, v1
	v_fma_f32 v2, v5, v1, -v2
	v_fmac_f32_e32 v148, v8, v3
	s_delay_alu instid0(VALU_DEP_4)
	v_fma_f32 v1, v7, v3, -v4
	v_mul_f32_e32 v3, v18, v10
	v_add_f32_e32 v4, v26, v147
	v_add_f32_e32 v2, v141, v2
	v_mul_f32_e32 v146, v19, v12
	v_mul_f32_e32 v5, v20, v12
	v_fmac_f32_e32 v143, v18, v9
	v_fma_f32 v3, v17, v9, -v3
	v_dual_add_f32 v1, v2, v1 :: v_dual_add_f32 v2, v4, v148
	s_wait_loadcnt 0x0
	v_mul_f32_e32 v149, v22, v14
	v_mul_f32_e32 v4, v23, v14
	v_fmac_f32_e32 v146, v20, v11
	v_fma_f32 v5, v19, v11, -v5
	v_add_f32_e32 v1, v1, v3
	v_add_f32_e32 v2, v2, v143
	v_mul_f32_e32 v142, v24, v16
	v_mul_f32_e32 v3, v25, v16
	v_fmac_f32_e32 v149, v23, v13
	v_fma_f32 v4, v22, v13, -v4
	v_dual_add_f32 v1, v1, v5 :: v_dual_add_f32 v2, v2, v146
	v_dual_mul_f32 v5, v31, v29 :: v_dual_fmac_f32 v142, v25, v15
	v_fma_f32 v3, v24, v15, -v3
	s_delay_alu instid0(VALU_DEP_3) | instskip(NEXT) | instid1(VALU_DEP_3)
	v_dual_add_f32 v1, v1, v4 :: v_dual_add_f32 v2, v2, v149
	v_fma_f32 v4, v30, v28, -v5
	s_delay_alu instid0(VALU_DEP_2) | instskip(NEXT) | instid1(VALU_DEP_1)
	v_dual_add_f32 v1, v1, v3 :: v_dual_add_f32 v2, v2, v142
	v_add_f32_e32 v1, v1, v4
	s_delay_alu instid0(VALU_DEP_1) | instskip(NEXT) | instid1(VALU_DEP_1)
	v_dual_add_f32 v2, v2, v140 :: v_dual_sub_f32 v1, v144, v1
	v_sub_f32_e32 v2, v145, v2
	scratch_store_b64 off, v[1:2], off offset:64
	v_cmpx_lt_u32_e32 7, v0
	s_cbranch_execz .LBB53_323
; %bb.322:
	scratch_load_b64 v[1:2], off, off offset:56
	v_mov_b32_e32 v22, v21
	scratch_store_b64 off, v[21:22], off offset:56
	s_wait_loadcnt 0x0
	ds_store_b64 v27, v[1:2]
.LBB53_323:
	s_wait_alu 0xfffe
	s_or_b32 exec_lo, exec_lo, s0
	s_wait_storecnt_dscnt 0x0
	s_barrier_signal -1
	s_barrier_wait -1
	global_inv scope:SCOPE_SE
	s_clause 0x4
	scratch_load_b128 v[5:8], off, off offset:64
	scratch_load_b128 v[1:4], off, off offset:80
	;; [unrolled: 1-line block ×5, first 2 shown]
	ds_load_b128 v[22:25], v21 offset:496
	ds_load_b128 v[28:31], v21 offset:512
	;; [unrolled: 1-line block ×3, first 2 shown]
	scratch_load_b64 v[144:145], off, off offset:56
	s_mov_b32 s0, exec_lo
	s_wait_loadcnt_dscnt 0x502
	v_dual_mul_f32 v26, v23, v6 :: v_dual_mul_f32 v147, v24, v8
	v_mul_f32_e32 v146, v22, v6
	v_mul_f32_e32 v6, v25, v8
	s_wait_loadcnt_dscnt 0x300
	v_mul_f32_e32 v148, v142, v12
	v_fma_f32 v22, v22, v5, -v26
	v_dual_fmac_f32 v147, v25, v7 :: v_dual_fmac_f32 v146, v23, v5
	v_mul_f32_e32 v25, v30, v4
	v_mul_f32_e32 v4, v31, v4
	;; [unrolled: 1-line block ×5, first 2 shown]
	v_fmac_f32_e32 v25, v31, v3
	v_fma_f32 v23, v24, v7, -v6
	ds_load_b128 v[5:8], v21 offset:544
	v_mul_f32_e32 v24, v28, v2
	v_mul_f32_e32 v2, v29, v2
	v_fmac_f32_e32 v26, v141, v9
	v_fmac_f32_e32 v148, v143, v11
	v_fma_f32 v31, v142, v11, -v12
	v_fmac_f32_e32 v24, v29, v1
	v_fma_f32 v29, v30, v3, -v4
	v_fma_f32 v30, v140, v9, -v10
	ds_load_b128 v[9:12], v21 offset:560
	s_wait_loadcnt_dscnt 0x201
	v_dual_mul_f32 v141, v7, v16 :: v_dual_mul_f32 v140, v5, v14
	v_mul_f32_e32 v14, v6, v14
	v_mul_f32_e32 v16, v8, v16
	s_delay_alu instid0(VALU_DEP_3)
	v_fmac_f32_e32 v141, v8, v15
	v_fma_f32 v28, v28, v1, -v2
	scratch_load_b128 v[1:4], off, off offset:144
	v_fmac_f32_e32 v140, v6, v13
	v_fma_f32 v13, v5, v13, -v14
	v_fma_f32 v14, v7, v15, -v16
	s_wait_loadcnt_dscnt 0x200
	v_mul_f32_e32 v15, v9, v18
	v_mul_f32_e32 v16, v10, v18
	;; [unrolled: 1-line block ×4, first 2 shown]
	ds_load_b128 v[5:8], v21 offset:576
	v_fmac_f32_e32 v15, v10, v17
	v_fma_f32 v16, v9, v17, -v16
	v_fmac_f32_e32 v18, v12, v19
	v_fma_f32 v17, v11, v19, -v20
	scratch_load_b128 v[9:12], off, off offset:160
	s_wait_loadcnt_dscnt 0x100
	v_mul_f32_e32 v19, v5, v2
	v_mul_f32_e32 v2, v6, v2
	;; [unrolled: 1-line block ×3, first 2 shown]
	s_delay_alu instid0(VALU_DEP_3) | instskip(NEXT) | instid1(VALU_DEP_3)
	v_dual_mul_f32 v4, v8, v4 :: v_dual_fmac_f32 v19, v6, v1
	v_fma_f32 v142, v5, v1, -v2
	s_delay_alu instid0(VALU_DEP_3) | instskip(NEXT) | instid1(VALU_DEP_3)
	v_fmac_f32_e32 v20, v8, v3
	v_fma_f32 v143, v7, v3, -v4
	ds_load_b128 v[1:4], v21 offset:592
	ds_load_b128 v[5:8], v21 offset:608
	s_wait_loadcnt_dscnt 0x1
	v_mul_f32_e32 v149, v1, v10
	v_mul_f32_e32 v10, v2, v10
	s_delay_alu instid0(VALU_DEP_2) | instskip(NEXT) | instid1(VALU_DEP_2)
	v_dual_mul_f32 v150, v3, v12 :: v_dual_fmac_f32 v149, v2, v9
	v_fma_f32 v151, v1, v9, -v10
	v_mul_f32_e32 v1, v4, v12
	s_delay_alu instid0(VALU_DEP_3) | instskip(NEXT) | instid1(VALU_DEP_2)
	v_fmac_f32_e32 v150, v4, v11
	v_fma_f32 v152, v3, v11, -v1
	s_clause 0x1
	scratch_load_b128 v[1:4], off, off offset:176
	scratch_load_b128 v[9:12], off, off offset:192
	s_wait_loadcnt_dscnt 0x100
	v_mul_f32_e32 v153, v5, v2
	v_dual_mul_f32 v2, v6, v2 :: v_dual_mul_f32 v155, v7, v4
	s_delay_alu instid0(VALU_DEP_2) | instskip(NEXT) | instid1(VALU_DEP_2)
	v_fmac_f32_e32 v153, v6, v1
	v_fma_f32 v154, v5, v1, -v2
	v_mul_f32_e32 v1, v8, v4
	s_delay_alu instid0(VALU_DEP_4) | instskip(NEXT) | instid1(VALU_DEP_2)
	v_fmac_f32_e32 v155, v8, v3
	v_fma_f32 v156, v7, v3, -v1
	ds_load_b128 v[1:4], v21 offset:624
	ds_load_b128 v[5:8], v21 offset:640
	s_wait_loadcnt_dscnt 0x1
	v_mul_f32_e32 v157, v1, v10
	v_mul_f32_e32 v159, v3, v12
	s_delay_alu instid0(VALU_DEP_2) | instskip(NEXT) | instid1(VALU_DEP_2)
	v_fmac_f32_e32 v157, v2, v9
	v_dual_mul_f32 v2, v2, v10 :: v_dual_fmac_f32 v159, v4, v11
	s_delay_alu instid0(VALU_DEP_1) | instskip(SKIP_1) | instid1(VALU_DEP_1)
	v_fma_f32 v158, v1, v9, -v2
	v_mul_f32_e32 v1, v4, v12
	v_fma_f32 v160, v3, v11, -v1
	s_clause 0x1
	scratch_load_b128 v[1:4], off, off offset:208
	scratch_load_b128 v[9:12], off, off offset:224
	s_wait_loadcnt_dscnt 0x100
	v_mul_f32_e32 v161, v5, v2
	v_dual_mul_f32 v2, v6, v2 :: v_dual_mul_f32 v163, v7, v4
	s_delay_alu instid0(VALU_DEP_2) | instskip(NEXT) | instid1(VALU_DEP_2)
	v_fmac_f32_e32 v161, v6, v1
	v_fma_f32 v162, v5, v1, -v2
	v_mul_f32_e32 v1, v8, v4
	s_delay_alu instid0(VALU_DEP_4) | instskip(NEXT) | instid1(VALU_DEP_2)
	v_fmac_f32_e32 v163, v8, v3
	v_fma_f32 v164, v7, v3, -v1
	ds_load_b128 v[1:4], v21 offset:656
	ds_load_b128 v[5:8], v21 offset:672
	s_wait_loadcnt_dscnt 0x1
	v_mul_f32_e32 v165, v1, v10
	v_mul_f32_e32 v167, v3, v12
	s_delay_alu instid0(VALU_DEP_2) | instskip(NEXT) | instid1(VALU_DEP_2)
	v_fmac_f32_e32 v165, v2, v9
	v_dual_mul_f32 v2, v2, v10 :: v_dual_fmac_f32 v167, v4, v11
	s_delay_alu instid0(VALU_DEP_1) | instskip(SKIP_1) | instid1(VALU_DEP_1)
	v_fma_f32 v166, v1, v9, -v2
	v_mul_f32_e32 v1, v4, v12
	;; [unrolled: 25-line block ×5, first 2 shown]
	v_fma_f32 v192, v3, v11, -v1
	s_clause 0x1
	scratch_load_b128 v[1:4], off, off offset:336
	scratch_load_b128 v[9:12], off, off offset:352
	s_wait_loadcnt_dscnt 0x100
	v_mul_f32_e32 v193, v5, v2
	v_mul_f32_e32 v2, v6, v2
	s_delay_alu instid0(VALU_DEP_1) | instskip(SKIP_1) | instid1(VALU_DEP_1)
	v_fma_f32 v194, v5, v1, -v2
	v_add_f32_e32 v2, 0, v146
	v_add_f32_e32 v2, v2, v147
	s_delay_alu instid0(VALU_DEP_1) | instskip(NEXT) | instid1(VALU_DEP_1)
	v_add_f32_e32 v2, v2, v24
	v_add_f32_e32 v2, v2, v25
	s_delay_alu instid0(VALU_DEP_1) | instskip(NEXT) | instid1(VALU_DEP_1)
	;; [unrolled: 3-line block ×8, first 2 shown]
	v_add_f32_e32 v2, v2, v157
	v_add_f32_e32 v2, v2, v159
	s_delay_alu instid0(VALU_DEP_1) | instskip(SKIP_2) | instid1(VALU_DEP_3)
	v_add_f32_e32 v2, v2, v161
	v_fmac_f32_e32 v193, v6, v1
	v_mul_f32_e32 v1, v8, v4
	v_dual_mul_f32 v195, v7, v4 :: v_dual_add_f32 v2, v2, v163
	s_delay_alu instid0(VALU_DEP_2) | instskip(SKIP_1) | instid1(VALU_DEP_3)
	v_fma_f32 v196, v7, v3, -v1
	v_add_f32_e32 v1, 0, v22
	v_dual_fmac_f32 v195, v8, v3 :: v_dual_add_f32 v2, v2, v165
	s_delay_alu instid0(VALU_DEP_2) | instskip(NEXT) | instid1(VALU_DEP_2)
	v_add_f32_e32 v1, v1, v23
	v_add_f32_e32 v5, v2, v167
	s_delay_alu instid0(VALU_DEP_2) | instskip(NEXT) | instid1(VALU_DEP_1)
	v_add_f32_e32 v1, v1, v28
	v_add_f32_e32 v1, v1, v29
	s_delay_alu instid0(VALU_DEP_1) | instskip(NEXT) | instid1(VALU_DEP_1)
	v_add_f32_e32 v1, v1, v30
	v_add_f32_e32 v1, v1, v31
	s_delay_alu instid0(VALU_DEP_1) | instskip(SKIP_1) | instid1(VALU_DEP_2)
	v_add_f32_e32 v1, v1, v13
	v_add_f32_e32 v13, v5, v169
	;; [unrolled: 1-line block ×3, first 2 shown]
	s_delay_alu instid0(VALU_DEP_2) | instskip(NEXT) | instid1(VALU_DEP_2)
	v_add_f32_e32 v13, v13, v171
	v_add_f32_e32 v1, v1, v16
	s_delay_alu instid0(VALU_DEP_1) | instskip(NEXT) | instid1(VALU_DEP_1)
	v_add_f32_e32 v1, v1, v17
	v_add_f32_e32 v1, v1, v142
	s_delay_alu instid0(VALU_DEP_1) | instskip(NEXT) | instid1(VALU_DEP_1)
	;; [unrolled: 3-line block ×7, first 2 shown]
	v_add_f32_e32 v1, v1, v168
	v_add_f32_e32 v6, v1, v170
	ds_load_b128 v[1:4], v21 offset:784
	v_dual_add_f32 v13, v13, v173 :: v_dual_add_f32 v14, v6, v172
	scratch_load_b128 v[5:8], off, off offset:368
	v_add_f32_e32 v18, v13, v175
	v_add_f32_e32 v14, v14, v174
	s_delay_alu instid0(VALU_DEP_2) | instskip(NEXT) | instid1(VALU_DEP_2)
	v_add_f32_e32 v18, v18, v177
	v_add_f32_e32 v17, v14, v176
	ds_load_b128 v[13:16], v21 offset:800
	v_dual_add_f32 v18, v18, v179 :: v_dual_add_f32 v17, v17, v178
	s_wait_loadcnt_dscnt 0x101
	v_mul_f32_e32 v25, v1, v10
	v_mul_f32_e32 v10, v2, v10
	;; [unrolled: 1-line block ×4, first 2 shown]
	v_add_f32_e32 v17, v17, v180
	v_fmac_f32_e32 v25, v2, v9
	v_fma_f32 v28, v1, v9, -v10
	v_fmac_f32_e32 v26, v4, v11
	v_fma_f32 v29, v3, v11, -v12
	s_clause 0x1
	scratch_load_b128 v[1:4], off, off offset:384
	scratch_load_b128 v[9:12], off, off offset:400
	v_dual_add_f32 v17, v17, v182 :: v_dual_add_f32 v22, v18, v181
	s_delay_alu instid0(VALU_DEP_1) | instskip(SKIP_2) | instid1(VALU_DEP_1)
	v_add_f32_e32 v23, v17, v184
	scratch_load_b128 v[17:20], off, off offset:416
	v_dual_add_f32 v22, v22, v183 :: v_dual_add_f32 v23, v23, v186
	v_dual_add_f32 v22, v22, v185 :: v_dual_add_f32 v23, v23, v188
	s_wait_loadcnt_dscnt 0x300
	v_mul_f32_e32 v30, v13, v6
	v_dual_mul_f32 v6, v14, v6 :: v_dual_mul_f32 v31, v15, v8
	v_mul_f32_e32 v8, v16, v8
	s_delay_alu instid0(VALU_DEP_3) | instskip(NEXT) | instid1(VALU_DEP_3)
	v_fmac_f32_e32 v30, v14, v5
	v_fma_f32 v140, v13, v5, -v6
	v_dual_add_f32 v13, v22, v187 :: v_dual_add_f32 v22, v23, v190
	v_fmac_f32_e32 v31, v16, v7
	v_fma_f32 v141, v15, v7, -v8
	ds_load_b128 v[5:8], v21 offset:816
	v_dual_add_f32 v23, v13, v189 :: v_dual_add_f32 v142, v22, v192
	ds_load_b128 v[13:16], v21 offset:832
	v_dual_add_f32 v143, v23, v191 :: v_dual_add_f32 v142, v142, v194
	;; [unrolled: 2-line block ×3, first 2 shown]
	s_delay_alu instid0(VALU_DEP_1) | instskip(SKIP_1) | instid1(VALU_DEP_1)
	v_dual_add_f32 v143, v143, v195 :: v_dual_add_f32 v28, v142, v28
	s_wait_loadcnt_dscnt 0x202
	v_dual_mul_f32 v146, v5, v2 :: v_dual_add_f32 v25, v143, v25
	s_delay_alu instid0(VALU_DEP_2) | instskip(SKIP_2) | instid1(VALU_DEP_4)
	v_add_f32_e32 v28, v28, v29
	v_mul_f32_e32 v2, v6, v2
	v_mul_f32_e32 v142, v7, v4
	v_dual_mul_f32 v4, v8, v4 :: v_dual_add_f32 v25, v25, v26
	s_delay_alu instid0(VALU_DEP_4) | instskip(NEXT) | instid1(VALU_DEP_4)
	v_add_f32_e32 v28, v28, v140
	v_fma_f32 v2, v5, v1, -v2
	s_wait_loadcnt_dscnt 0x101
	v_dual_fmac_f32 v146, v6, v1 :: v_dual_mul_f32 v143, v13, v10
	v_add_f32_e32 v25, v25, v30
	v_dual_add_f32 v1, v28, v141 :: v_dual_mul_f32 v6, v14, v10
	v_fmac_f32_e32 v142, v8, v3
	v_fma_f32 v3, v7, v3, -v4
	s_delay_alu instid0(VALU_DEP_4) | instskip(NEXT) | instid1(VALU_DEP_4)
	v_add_f32_e32 v5, v25, v31
	v_add_f32_e32 v1, v1, v2
	v_mul_f32_e32 v147, v15, v12
	v_dual_mul_f32 v4, v16, v12 :: v_dual_fmac_f32 v143, v14, v9
	s_delay_alu instid0(VALU_DEP_4)
	v_add_f32_e32 v2, v5, v146
	v_fma_f32 v5, v13, v9, -v6
	v_add_f32_e32 v1, v1, v3
	s_wait_loadcnt_dscnt 0x0
	v_mul_f32_e32 v26, v21, v18
	v_mul_f32_e32 v3, v22, v18
	v_dual_add_f32 v2, v2, v142 :: v_dual_fmac_f32 v147, v16, v11
	v_fma_f32 v4, v15, v11, -v4
	v_add_f32_e32 v1, v1, v5
	s_delay_alu instid0(VALU_DEP_3) | instskip(SKIP_2) | instid1(VALU_DEP_3)
	v_dual_mul_f32 v29, v23, v20 :: v_dual_add_f32 v2, v2, v143
	v_dual_mul_f32 v5, v24, v20 :: v_dual_fmac_f32 v26, v22, v17
	v_fma_f32 v3, v21, v17, -v3
	v_dual_add_f32 v1, v1, v4 :: v_dual_add_f32 v2, v2, v147
	s_delay_alu instid0(VALU_DEP_4) | instskip(NEXT) | instid1(VALU_DEP_4)
	v_fmac_f32_e32 v29, v24, v19
	v_fma_f32 v4, v23, v19, -v5
	s_delay_alu instid0(VALU_DEP_3) | instskip(NEXT) | instid1(VALU_DEP_1)
	v_dual_add_f32 v1, v1, v3 :: v_dual_add_f32 v2, v2, v26
	v_dual_add_f32 v1, v1, v4 :: v_dual_add_f32 v2, v2, v29
	s_delay_alu instid0(VALU_DEP_1)
	v_dual_sub_f32 v1, v144, v1 :: v_dual_sub_f32 v2, v145, v2
	scratch_store_b64 off, v[1:2], off offset:56
	v_cmpx_lt_u32_e32 6, v0
	s_cbranch_execz .LBB53_325
; %bb.324:
	scratch_load_b64 v[1:2], off, off offset:48
	v_mov_b32_e32 v3, 0
	s_delay_alu instid0(VALU_DEP_1)
	v_mov_b32_e32 v4, v3
	scratch_store_b64 off, v[3:4], off offset:48
	s_wait_loadcnt 0x0
	ds_store_b64 v27, v[1:2]
.LBB53_325:
	s_wait_alu 0xfffe
	s_or_b32 exec_lo, exec_lo, s0
	s_wait_storecnt_dscnt 0x0
	s_barrier_signal -1
	s_barrier_wait -1
	global_inv scope:SCOPE_SE
	s_clause 0x4
	scratch_load_b128 v[5:8], off, off offset:56
	scratch_load_b128 v[1:4], off, off offset:72
	;; [unrolled: 1-line block ×5, first 2 shown]
	v_mov_b32_e32 v21, 0
	ds_load_2addr_b64 v[22:25], v21 offset0:61 offset1:62
	ds_load_2addr_b64 v[28:31], v21 offset0:63 offset1:64
	;; [unrolled: 1-line block ×3, first 2 shown]
	scratch_load_b64 v[144:145], off, off offset:48
	s_mov_b32 s0, exec_lo
	s_wait_loadcnt_dscnt 0x502
	v_dual_mul_f32 v146, v22, v6 :: v_dual_mul_f32 v147, v24, v8
	v_mul_f32_e32 v26, v23, v6
	v_mul_f32_e32 v6, v25, v8
	s_wait_loadcnt_dscnt 0x300
	v_mul_f32_e32 v148, v142, v12
	v_dual_fmac_f32 v146, v23, v5 :: v_dual_fmac_f32 v147, v25, v7
	v_mul_f32_e32 v25, v30, v4
	v_fma_f32 v22, v22, v5, -v26
	v_mul_f32_e32 v26, v140, v10
	v_mul_f32_e32 v4, v31, v4
	s_delay_alu instid0(VALU_DEP_4)
	v_dual_mul_f32 v10, v141, v10 :: v_dual_fmac_f32 v25, v31, v3
	v_fma_f32 v23, v24, v7, -v6
	ds_load_2addr_b64 v[5:8], v21 offset0:67 offset1:68
	v_mul_f32_e32 v24, v28, v2
	v_mul_f32_e32 v12, v143, v12
	;; [unrolled: 1-line block ×3, first 2 shown]
	v_fmac_f32_e32 v26, v141, v9
	v_fmac_f32_e32 v148, v143, v11
	;; [unrolled: 1-line block ×3, first 2 shown]
	v_fma_f32 v29, v30, v3, -v4
	v_fma_f32 v30, v140, v9, -v10
	;; [unrolled: 1-line block ×3, first 2 shown]
	ds_load_2addr_b64 v[9:12], v21 offset0:69 offset1:70
	s_wait_loadcnt_dscnt 0x201
	v_dual_mul_f32 v141, v7, v16 :: v_dual_mul_f32 v140, v5, v14
	v_mul_f32_e32 v14, v6, v14
	v_mul_f32_e32 v16, v8, v16
	s_delay_alu instid0(VALU_DEP_3)
	v_fmac_f32_e32 v141, v8, v15
	v_fma_f32 v28, v28, v1, -v2
	scratch_load_b128 v[1:4], off, off offset:136
	v_fmac_f32_e32 v140, v6, v13
	v_fma_f32 v13, v5, v13, -v14
	v_fma_f32 v14, v7, v15, -v16
	s_wait_loadcnt_dscnt 0x200
	v_mul_f32_e32 v15, v9, v18
	v_mul_f32_e32 v16, v10, v18
	;; [unrolled: 1-line block ×4, first 2 shown]
	ds_load_2addr_b64 v[5:8], v21 offset0:71 offset1:72
	v_fmac_f32_e32 v15, v10, v17
	v_fma_f32 v16, v9, v17, -v16
	v_fmac_f32_e32 v18, v12, v19
	v_fma_f32 v17, v11, v19, -v20
	scratch_load_b128 v[9:12], off, off offset:152
	s_wait_loadcnt_dscnt 0x100
	v_mul_f32_e32 v19, v5, v2
	v_mul_f32_e32 v2, v6, v2
	;; [unrolled: 1-line block ×3, first 2 shown]
	s_delay_alu instid0(VALU_DEP_3) | instskip(NEXT) | instid1(VALU_DEP_3)
	v_dual_mul_f32 v4, v8, v4 :: v_dual_fmac_f32 v19, v6, v1
	v_fma_f32 v142, v5, v1, -v2
	s_delay_alu instid0(VALU_DEP_3) | instskip(NEXT) | instid1(VALU_DEP_3)
	v_fmac_f32_e32 v20, v8, v3
	v_fma_f32 v143, v7, v3, -v4
	ds_load_2addr_b64 v[1:4], v21 offset0:73 offset1:74
	ds_load_2addr_b64 v[5:8], v21 offset0:75 offset1:76
	s_wait_loadcnt_dscnt 0x1
	v_mul_f32_e32 v149, v1, v10
	v_mul_f32_e32 v10, v2, v10
	s_delay_alu instid0(VALU_DEP_2) | instskip(NEXT) | instid1(VALU_DEP_2)
	v_dual_mul_f32 v150, v3, v12 :: v_dual_fmac_f32 v149, v2, v9
	v_fma_f32 v151, v1, v9, -v10
	v_mul_f32_e32 v1, v4, v12
	s_delay_alu instid0(VALU_DEP_3) | instskip(NEXT) | instid1(VALU_DEP_2)
	v_fmac_f32_e32 v150, v4, v11
	v_fma_f32 v152, v3, v11, -v1
	s_clause 0x1
	scratch_load_b128 v[1:4], off, off offset:168
	scratch_load_b128 v[9:12], off, off offset:184
	s_wait_loadcnt_dscnt 0x100
	v_mul_f32_e32 v153, v5, v2
	v_dual_mul_f32 v2, v6, v2 :: v_dual_mul_f32 v155, v7, v4
	s_delay_alu instid0(VALU_DEP_2) | instskip(NEXT) | instid1(VALU_DEP_2)
	v_fmac_f32_e32 v153, v6, v1
	v_fma_f32 v154, v5, v1, -v2
	v_mul_f32_e32 v1, v8, v4
	s_delay_alu instid0(VALU_DEP_4) | instskip(NEXT) | instid1(VALU_DEP_2)
	v_fmac_f32_e32 v155, v8, v3
	v_fma_f32 v156, v7, v3, -v1
	ds_load_2addr_b64 v[1:4], v21 offset0:77 offset1:78
	ds_load_2addr_b64 v[5:8], v21 offset0:79 offset1:80
	s_wait_loadcnt_dscnt 0x1
	v_mul_f32_e32 v157, v1, v10
	v_mul_f32_e32 v159, v3, v12
	s_delay_alu instid0(VALU_DEP_2) | instskip(NEXT) | instid1(VALU_DEP_2)
	v_fmac_f32_e32 v157, v2, v9
	v_dual_mul_f32 v2, v2, v10 :: v_dual_fmac_f32 v159, v4, v11
	s_delay_alu instid0(VALU_DEP_1) | instskip(SKIP_1) | instid1(VALU_DEP_1)
	v_fma_f32 v158, v1, v9, -v2
	v_mul_f32_e32 v1, v4, v12
	v_fma_f32 v160, v3, v11, -v1
	s_clause 0x1
	scratch_load_b128 v[1:4], off, off offset:200
	scratch_load_b128 v[9:12], off, off offset:216
	s_wait_loadcnt_dscnt 0x100
	v_mul_f32_e32 v161, v5, v2
	v_dual_mul_f32 v2, v6, v2 :: v_dual_mul_f32 v163, v7, v4
	s_delay_alu instid0(VALU_DEP_2) | instskip(NEXT) | instid1(VALU_DEP_2)
	v_fmac_f32_e32 v161, v6, v1
	v_fma_f32 v162, v5, v1, -v2
	v_mul_f32_e32 v1, v8, v4
	s_delay_alu instid0(VALU_DEP_4) | instskip(NEXT) | instid1(VALU_DEP_2)
	v_fmac_f32_e32 v163, v8, v3
	v_fma_f32 v164, v7, v3, -v1
	ds_load_2addr_b64 v[1:4], v21 offset0:81 offset1:82
	ds_load_2addr_b64 v[5:8], v21 offset0:83 offset1:84
	s_wait_loadcnt_dscnt 0x1
	v_mul_f32_e32 v165, v1, v10
	v_mul_f32_e32 v167, v3, v12
	s_delay_alu instid0(VALU_DEP_2) | instskip(NEXT) | instid1(VALU_DEP_2)
	v_fmac_f32_e32 v165, v2, v9
	v_dual_mul_f32 v2, v2, v10 :: v_dual_fmac_f32 v167, v4, v11
	s_delay_alu instid0(VALU_DEP_1) | instskip(SKIP_1) | instid1(VALU_DEP_1)
	v_fma_f32 v166, v1, v9, -v2
	v_mul_f32_e32 v1, v4, v12
	v_fma_f32 v168, v3, v11, -v1
	s_clause 0x1
	scratch_load_b128 v[1:4], off, off offset:232
	scratch_load_b128 v[9:12], off, off offset:248
	s_wait_loadcnt_dscnt 0x100
	v_mul_f32_e32 v169, v5, v2
	v_dual_mul_f32 v2, v6, v2 :: v_dual_mul_f32 v171, v7, v4
	s_delay_alu instid0(VALU_DEP_1) | instskip(NEXT) | instid1(VALU_DEP_3)
	v_fma_f32 v170, v5, v1, -v2
	v_fmac_f32_e32 v169, v6, v1
	v_mul_f32_e32 v1, v8, v4
	s_delay_alu instid0(VALU_DEP_4) | instskip(NEXT) | instid1(VALU_DEP_2)
	v_fmac_f32_e32 v171, v8, v3
	v_fma_f32 v172, v7, v3, -v1
	ds_load_2addr_b64 v[1:4], v21 offset0:85 offset1:86
	ds_load_2addr_b64 v[5:8], v21 offset0:87 offset1:88
	s_wait_loadcnt_dscnt 0x1
	v_mul_f32_e32 v173, v1, v10
	v_mul_f32_e32 v175, v3, v12
	s_delay_alu instid0(VALU_DEP_1) | instskip(NEXT) | instid1(VALU_DEP_3)
	v_fmac_f32_e32 v175, v4, v11
	v_fmac_f32_e32 v173, v2, v9
	v_mul_f32_e32 v2, v2, v10
	s_delay_alu instid0(VALU_DEP_1) | instskip(SKIP_1) | instid1(VALU_DEP_1)
	v_fma_f32 v174, v1, v9, -v2
	v_mul_f32_e32 v1, v4, v12
	v_fma_f32 v176, v3, v11, -v1
	s_clause 0x1
	scratch_load_b128 v[1:4], off, off offset:264
	scratch_load_b128 v[9:12], off, off offset:280
	s_wait_loadcnt_dscnt 0x100
	v_mul_f32_e32 v177, v5, v2
	v_dual_mul_f32 v2, v6, v2 :: v_dual_mul_f32 v179, v7, v4
	s_delay_alu instid0(VALU_DEP_2) | instskip(NEXT) | instid1(VALU_DEP_2)
	v_fmac_f32_e32 v177, v6, v1
	v_fma_f32 v178, v5, v1, -v2
	v_mul_f32_e32 v1, v8, v4
	s_delay_alu instid0(VALU_DEP_4) | instskip(NEXT) | instid1(VALU_DEP_2)
	v_fmac_f32_e32 v179, v8, v3
	v_fma_f32 v180, v7, v3, -v1
	ds_load_2addr_b64 v[1:4], v21 offset0:89 offset1:90
	ds_load_2addr_b64 v[5:8], v21 offset0:91 offset1:92
	s_wait_loadcnt_dscnt 0x1
	v_mul_f32_e32 v181, v1, v10
	v_mul_f32_e32 v183, v3, v12
	s_delay_alu instid0(VALU_DEP_2) | instskip(NEXT) | instid1(VALU_DEP_2)
	v_fmac_f32_e32 v181, v2, v9
	v_dual_mul_f32 v2, v2, v10 :: v_dual_fmac_f32 v183, v4, v11
	s_delay_alu instid0(VALU_DEP_1) | instskip(SKIP_1) | instid1(VALU_DEP_1)
	v_fma_f32 v182, v1, v9, -v2
	v_mul_f32_e32 v1, v4, v12
	v_fma_f32 v184, v3, v11, -v1
	s_clause 0x1
	scratch_load_b128 v[1:4], off, off offset:296
	scratch_load_b128 v[9:12], off, off offset:312
	s_wait_loadcnt_dscnt 0x100
	v_mul_f32_e32 v185, v5, v2
	v_dual_mul_f32 v2, v6, v2 :: v_dual_mul_f32 v187, v7, v4
	s_delay_alu instid0(VALU_DEP_2) | instskip(NEXT) | instid1(VALU_DEP_2)
	v_fmac_f32_e32 v185, v6, v1
	v_fma_f32 v186, v5, v1, -v2
	v_mul_f32_e32 v1, v8, v4
	s_delay_alu instid0(VALU_DEP_4) | instskip(NEXT) | instid1(VALU_DEP_2)
	v_fmac_f32_e32 v187, v8, v3
	v_fma_f32 v188, v7, v3, -v1
	ds_load_2addr_b64 v[1:4], v21 offset0:93 offset1:94
	ds_load_2addr_b64 v[5:8], v21 offset0:95 offset1:96
	s_wait_loadcnt_dscnt 0x1
	v_mul_f32_e32 v189, v1, v10
	v_mul_f32_e32 v191, v3, v12
	s_delay_alu instid0(VALU_DEP_2) | instskip(NEXT) | instid1(VALU_DEP_2)
	v_fmac_f32_e32 v189, v2, v9
	v_dual_mul_f32 v2, v2, v10 :: v_dual_fmac_f32 v191, v4, v11
	s_delay_alu instid0(VALU_DEP_1) | instskip(SKIP_1) | instid1(VALU_DEP_1)
	v_fma_f32 v190, v1, v9, -v2
	v_mul_f32_e32 v1, v4, v12
	v_fma_f32 v192, v3, v11, -v1
	s_clause 0x1
	scratch_load_b128 v[1:4], off, off offset:328
	scratch_load_b128 v[9:12], off, off offset:344
	s_wait_loadcnt_dscnt 0x100
	v_mul_f32_e32 v193, v5, v2
	v_mul_f32_e32 v2, v6, v2
	s_delay_alu instid0(VALU_DEP_1) | instskip(SKIP_1) | instid1(VALU_DEP_1)
	v_fma_f32 v194, v5, v1, -v2
	v_add_f32_e32 v2, 0, v146
	v_add_f32_e32 v2, v2, v147
	s_delay_alu instid0(VALU_DEP_1) | instskip(NEXT) | instid1(VALU_DEP_1)
	v_add_f32_e32 v2, v2, v24
	v_add_f32_e32 v2, v2, v25
	s_delay_alu instid0(VALU_DEP_1) | instskip(NEXT) | instid1(VALU_DEP_1)
	;; [unrolled: 3-line block ×8, first 2 shown]
	v_add_f32_e32 v2, v2, v157
	v_add_f32_e32 v2, v2, v159
	s_delay_alu instid0(VALU_DEP_1) | instskip(SKIP_2) | instid1(VALU_DEP_3)
	v_add_f32_e32 v2, v2, v161
	v_fmac_f32_e32 v193, v6, v1
	v_mul_f32_e32 v1, v8, v4
	v_dual_mul_f32 v195, v7, v4 :: v_dual_add_f32 v2, v2, v163
	s_delay_alu instid0(VALU_DEP_2) | instskip(SKIP_1) | instid1(VALU_DEP_3)
	v_fma_f32 v196, v7, v3, -v1
	v_add_f32_e32 v1, 0, v22
	v_dual_fmac_f32 v195, v8, v3 :: v_dual_add_f32 v2, v2, v165
	s_delay_alu instid0(VALU_DEP_2) | instskip(NEXT) | instid1(VALU_DEP_2)
	v_add_f32_e32 v1, v1, v23
	v_add_f32_e32 v5, v2, v167
	s_delay_alu instid0(VALU_DEP_2) | instskip(NEXT) | instid1(VALU_DEP_1)
	v_add_f32_e32 v1, v1, v28
	v_add_f32_e32 v1, v1, v29
	scratch_load_b64 v[28:29], off, off offset:424
	v_add_f32_e32 v1, v1, v30
	s_delay_alu instid0(VALU_DEP_1) | instskip(NEXT) | instid1(VALU_DEP_1)
	v_add_f32_e32 v1, v1, v31
	v_add_f32_e32 v1, v1, v13
	s_delay_alu instid0(VALU_DEP_1) | instskip(NEXT) | instid1(VALU_DEP_1)
	v_add_f32_e32 v1, v1, v14
	;; [unrolled: 3-line block ×9, first 2 shown]
	v_add_f32_e32 v6, v1, v170
	scratch_load_b128 v[1:4], off, off offset:360
	v_dual_add_f32 v13, v5, v169 :: v_dual_add_f32 v14, v6, v172
	ds_load_2addr_b64 v[5:8], v21 offset0:97 offset1:98
	v_dual_add_f32 v13, v13, v171 :: v_dual_add_f32 v14, v14, v174
	s_delay_alu instid0(VALU_DEP_1) | instskip(NEXT) | instid1(VALU_DEP_1)
	v_add_f32_e32 v13, v13, v173
	v_dual_add_f32 v17, v14, v176 :: v_dual_add_f32 v18, v13, v175
	ds_load_2addr_b64 v[13:16], v21 offset0:99 offset1:100
	s_wait_loadcnt_dscnt 0x201
	v_mul_f32_e32 v26, v5, v10
	v_add_f32_e32 v18, v18, v177
	v_mul_f32_e32 v140, v7, v12
	v_mul_f32_e32 v10, v6, v10
	;; [unrolled: 1-line block ×3, first 2 shown]
	v_fmac_f32_e32 v26, v6, v9
	v_add_f32_e32 v18, v18, v179
	v_fmac_f32_e32 v140, v8, v11
	v_fma_f32 v141, v5, v9, -v10
	v_fma_f32 v142, v7, v11, -v12
	scratch_load_b128 v[5:8], off, off offset:376
	v_add_f32_e32 v22, v18, v181
	scratch_load_b128 v[9:12], off, off offset:392
	v_add_f32_e32 v22, v22, v183
	s_delay_alu instid0(VALU_DEP_1) | instskip(SKIP_1) | instid1(VALU_DEP_1)
	v_add_f32_e32 v22, v22, v185
	s_wait_loadcnt_dscnt 0x200
	v_dual_add_f32 v22, v22, v187 :: v_dual_mul_f32 v143, v13, v2
	v_mul_f32_e32 v2, v14, v2
	v_mul_f32_e32 v146, v15, v4
	s_delay_alu instid0(VALU_DEP_3) | instskip(NEXT) | instid1(VALU_DEP_3)
	v_dual_mul_f32 v4, v16, v4 :: v_dual_fmac_f32 v143, v14, v1
	v_fma_f32 v147, v13, v1, -v2
	s_delay_alu instid0(VALU_DEP_3) | instskip(NEXT) | instid1(VALU_DEP_3)
	v_dual_add_f32 v13, v22, v189 :: v_dual_fmac_f32 v146, v16, v3
	v_fma_f32 v148, v15, v3, -v4
	ds_load_2addr_b64 v[1:4], v21 offset0:101 offset1:102
	v_add_f32_e32 v22, v13, v191
	s_delay_alu instid0(VALU_DEP_1) | instskip(NEXT) | instid1(VALU_DEP_1)
	v_add_f32_e32 v31, v22, v193
	v_add_f32_e32 v150, v31, v195
	s_delay_alu instid0(VALU_DEP_1) | instskip(NEXT) | instid1(VALU_DEP_1)
	v_add_f32_e32 v26, v150, v26
	;; [unrolled: 3-line block ×3, first 2 shown]
	v_add_f32_e32 v26, v26, v146
	v_add_f32_e32 v17, v17, v178
	s_delay_alu instid0(VALU_DEP_1) | instskip(NEXT) | instid1(VALU_DEP_1)
	v_add_f32_e32 v17, v17, v180
	v_add_f32_e32 v17, v17, v182
	s_delay_alu instid0(VALU_DEP_1) | instskip(SKIP_2) | instid1(VALU_DEP_1)
	v_add_f32_e32 v23, v17, v184
	scratch_load_b128 v[17:20], off, off offset:408
	v_add_f32_e32 v23, v23, v186
	v_add_f32_e32 v23, v23, v188
	s_delay_alu instid0(VALU_DEP_1) | instskip(NEXT) | instid1(VALU_DEP_1)
	v_add_f32_e32 v23, v23, v190
	v_add_f32_e32 v14, v23, v192
	ds_load_2addr_b64 v[22:25], v21 offset0:105 offset1:106
	v_add_f32_e32 v30, v14, v194
	ds_load_2addr_b64 v[13:16], v21 offset0:103 offset1:104
	s_wait_loadcnt_dscnt 0x202
	v_mul_f32_e32 v140, v3, v8
	v_mul_f32_e32 v8, v4, v8
	v_add_f32_e32 v149, v30, v196
	ds_load_b64 v[30:31], v21 offset:856
	s_wait_loadcnt_dscnt 0x101
	v_dual_fmac_f32 v140, v4, v7 :: v_dual_mul_f32 v143, v15, v12
	s_wait_dscnt 0x0
	s_delay_alu instid0(VALU_DEP_1) | instskip(NEXT) | instid1(VALU_DEP_1)
	v_dual_mul_f32 v146, v30, v29 :: v_dual_fmac_f32 v143, v16, v11
	v_dual_fmac_f32 v146, v31, v28 :: v_dual_add_f32 v141, v149, v141
	v_mul_f32_e32 v149, v1, v6
	v_mul_f32_e32 v6, v2, v6
	s_delay_alu instid0(VALU_DEP_3) | instskip(NEXT) | instid1(VALU_DEP_3)
	v_add_f32_e32 v141, v141, v142
	v_fmac_f32_e32 v149, v2, v5
	s_delay_alu instid0(VALU_DEP_3)
	v_fma_f32 v1, v1, v5, -v6
	v_mul_f32_e32 v142, v13, v10
	v_fma_f32 v2, v3, v7, -v8
	v_add_f32_e32 v141, v141, v147
	v_mul_f32_e32 v3, v14, v10
	v_dual_add_f32 v4, v26, v149 :: v_dual_mul_f32 v5, v16, v12
	s_delay_alu instid0(VALU_DEP_3) | instskip(NEXT) | instid1(VALU_DEP_3)
	v_dual_fmac_f32 v142, v14, v9 :: v_dual_add_f32 v141, v141, v148
	v_fma_f32 v3, v13, v9, -v3
	s_delay_alu instid0(VALU_DEP_3) | instskip(NEXT) | instid1(VALU_DEP_3)
	v_fma_f32 v5, v15, v11, -v5
	v_add_f32_e32 v1, v141, v1
	s_delay_alu instid0(VALU_DEP_1) | instskip(NEXT) | instid1(VALU_DEP_1)
	v_dual_add_f32 v1, v1, v2 :: v_dual_add_f32 v2, v4, v140
	v_dual_add_f32 v1, v1, v3 :: v_dual_add_f32 v2, v2, v142
	s_delay_alu instid0(VALU_DEP_1)
	v_dual_add_f32 v1, v1, v5 :: v_dual_add_f32 v2, v2, v143
	v_mul_f32_e32 v5, v31, v29
	s_wait_loadcnt 0x0
	v_mul_f32_e32 v147, v22, v18
	v_mul_f32_e32 v4, v23, v18
	;; [unrolled: 1-line block ×4, first 2 shown]
	s_delay_alu instid0(VALU_DEP_4) | instskip(NEXT) | instid1(VALU_DEP_4)
	v_fmac_f32_e32 v147, v23, v17
	v_fma_f32 v4, v22, v17, -v4
	s_delay_alu instid0(VALU_DEP_4) | instskip(NEXT) | instid1(VALU_DEP_4)
	v_fmac_f32_e32 v148, v25, v19
	v_fma_f32 v3, v24, v19, -v3
	s_delay_alu instid0(VALU_DEP_3) | instskip(SKIP_1) | instid1(VALU_DEP_2)
	v_dual_add_f32 v2, v2, v147 :: v_dual_add_f32 v1, v1, v4
	v_fma_f32 v4, v30, v28, -v5
	v_dual_add_f32 v2, v2, v148 :: v_dual_add_f32 v1, v1, v3
	s_delay_alu instid0(VALU_DEP_1) | instskip(NEXT) | instid1(VALU_DEP_1)
	v_dual_add_f32 v2, v2, v146 :: v_dual_add_f32 v1, v1, v4
	v_dual_sub_f32 v2, v145, v2 :: v_dual_sub_f32 v1, v144, v1
	scratch_store_b64 off, v[1:2], off offset:48
	v_cmpx_lt_u32_e32 5, v0
	s_cbranch_execz .LBB53_327
; %bb.326:
	scratch_load_b64 v[1:2], off, off offset:40
	v_mov_b32_e32 v22, v21
	scratch_store_b64 off, v[21:22], off offset:40
	s_wait_loadcnt 0x0
	ds_store_b64 v27, v[1:2]
.LBB53_327:
	s_wait_alu 0xfffe
	s_or_b32 exec_lo, exec_lo, s0
	s_wait_storecnt_dscnt 0x0
	s_barrier_signal -1
	s_barrier_wait -1
	global_inv scope:SCOPE_SE
	s_clause 0x4
	scratch_load_b128 v[5:8], off, off offset:48
	scratch_load_b128 v[1:4], off, off offset:64
	;; [unrolled: 1-line block ×5, first 2 shown]
	ds_load_b128 v[22:25], v21 offset:480
	ds_load_b128 v[28:31], v21 offset:496
	;; [unrolled: 1-line block ×3, first 2 shown]
	scratch_load_b64 v[144:145], off, off offset:40
	s_mov_b32 s0, exec_lo
	s_wait_loadcnt_dscnt 0x502
	v_dual_mul_f32 v26, v23, v6 :: v_dual_mul_f32 v147, v24, v8
	v_mul_f32_e32 v146, v22, v6
	v_mul_f32_e32 v6, v25, v8
	s_wait_loadcnt_dscnt 0x300
	v_mul_f32_e32 v148, v142, v12
	v_fma_f32 v22, v22, v5, -v26
	v_dual_fmac_f32 v147, v25, v7 :: v_dual_fmac_f32 v146, v23, v5
	v_mul_f32_e32 v25, v30, v4
	v_mul_f32_e32 v4, v31, v4
	;; [unrolled: 1-line block ×5, first 2 shown]
	v_fmac_f32_e32 v25, v31, v3
	v_fma_f32 v23, v24, v7, -v6
	ds_load_b128 v[5:8], v21 offset:528
	v_mul_f32_e32 v24, v28, v2
	v_mul_f32_e32 v2, v29, v2
	v_fmac_f32_e32 v26, v141, v9
	v_fmac_f32_e32 v148, v143, v11
	v_fma_f32 v31, v142, v11, -v12
	v_fmac_f32_e32 v24, v29, v1
	v_fma_f32 v29, v30, v3, -v4
	v_fma_f32 v30, v140, v9, -v10
	ds_load_b128 v[9:12], v21 offset:544
	s_wait_loadcnt_dscnt 0x201
	v_dual_mul_f32 v141, v7, v16 :: v_dual_mul_f32 v140, v5, v14
	v_mul_f32_e32 v14, v6, v14
	v_mul_f32_e32 v16, v8, v16
	s_delay_alu instid0(VALU_DEP_3)
	v_fmac_f32_e32 v141, v8, v15
	v_fma_f32 v28, v28, v1, -v2
	scratch_load_b128 v[1:4], off, off offset:128
	v_fmac_f32_e32 v140, v6, v13
	v_fma_f32 v13, v5, v13, -v14
	v_fma_f32 v14, v7, v15, -v16
	s_wait_loadcnt_dscnt 0x200
	v_mul_f32_e32 v15, v9, v18
	v_mul_f32_e32 v16, v10, v18
	;; [unrolled: 1-line block ×4, first 2 shown]
	ds_load_b128 v[5:8], v21 offset:560
	v_fmac_f32_e32 v15, v10, v17
	v_fma_f32 v16, v9, v17, -v16
	v_fmac_f32_e32 v18, v12, v19
	v_fma_f32 v17, v11, v19, -v20
	scratch_load_b128 v[9:12], off, off offset:144
	s_wait_loadcnt_dscnt 0x100
	v_mul_f32_e32 v19, v5, v2
	v_mul_f32_e32 v2, v6, v2
	;; [unrolled: 1-line block ×3, first 2 shown]
	s_delay_alu instid0(VALU_DEP_3) | instskip(NEXT) | instid1(VALU_DEP_3)
	v_dual_mul_f32 v4, v8, v4 :: v_dual_fmac_f32 v19, v6, v1
	v_fma_f32 v142, v5, v1, -v2
	s_delay_alu instid0(VALU_DEP_3) | instskip(NEXT) | instid1(VALU_DEP_3)
	v_fmac_f32_e32 v20, v8, v3
	v_fma_f32 v143, v7, v3, -v4
	ds_load_b128 v[1:4], v21 offset:576
	ds_load_b128 v[5:8], v21 offset:592
	s_wait_loadcnt_dscnt 0x1
	v_mul_f32_e32 v149, v1, v10
	v_mul_f32_e32 v10, v2, v10
	s_delay_alu instid0(VALU_DEP_2) | instskip(NEXT) | instid1(VALU_DEP_2)
	v_dual_mul_f32 v150, v3, v12 :: v_dual_fmac_f32 v149, v2, v9
	v_fma_f32 v151, v1, v9, -v10
	v_mul_f32_e32 v1, v4, v12
	s_delay_alu instid0(VALU_DEP_3) | instskip(NEXT) | instid1(VALU_DEP_2)
	v_fmac_f32_e32 v150, v4, v11
	v_fma_f32 v152, v3, v11, -v1
	s_clause 0x1
	scratch_load_b128 v[1:4], off, off offset:160
	scratch_load_b128 v[9:12], off, off offset:176
	s_wait_loadcnt_dscnt 0x100
	v_mul_f32_e32 v153, v5, v2
	v_dual_mul_f32 v2, v6, v2 :: v_dual_mul_f32 v155, v7, v4
	s_delay_alu instid0(VALU_DEP_2) | instskip(NEXT) | instid1(VALU_DEP_2)
	v_fmac_f32_e32 v153, v6, v1
	v_fma_f32 v154, v5, v1, -v2
	v_mul_f32_e32 v1, v8, v4
	s_delay_alu instid0(VALU_DEP_4) | instskip(NEXT) | instid1(VALU_DEP_2)
	v_fmac_f32_e32 v155, v8, v3
	v_fma_f32 v156, v7, v3, -v1
	ds_load_b128 v[1:4], v21 offset:608
	ds_load_b128 v[5:8], v21 offset:624
	s_wait_loadcnt_dscnt 0x1
	v_mul_f32_e32 v157, v1, v10
	v_mul_f32_e32 v159, v3, v12
	s_delay_alu instid0(VALU_DEP_2) | instskip(NEXT) | instid1(VALU_DEP_2)
	v_fmac_f32_e32 v157, v2, v9
	v_dual_mul_f32 v2, v2, v10 :: v_dual_fmac_f32 v159, v4, v11
	s_delay_alu instid0(VALU_DEP_1) | instskip(SKIP_1) | instid1(VALU_DEP_1)
	v_fma_f32 v158, v1, v9, -v2
	v_mul_f32_e32 v1, v4, v12
	v_fma_f32 v160, v3, v11, -v1
	s_clause 0x1
	scratch_load_b128 v[1:4], off, off offset:192
	scratch_load_b128 v[9:12], off, off offset:208
	s_wait_loadcnt_dscnt 0x100
	v_mul_f32_e32 v161, v5, v2
	v_dual_mul_f32 v2, v6, v2 :: v_dual_mul_f32 v163, v7, v4
	s_delay_alu instid0(VALU_DEP_2) | instskip(NEXT) | instid1(VALU_DEP_2)
	v_fmac_f32_e32 v161, v6, v1
	v_fma_f32 v162, v5, v1, -v2
	v_mul_f32_e32 v1, v8, v4
	s_delay_alu instid0(VALU_DEP_4) | instskip(NEXT) | instid1(VALU_DEP_2)
	v_fmac_f32_e32 v163, v8, v3
	v_fma_f32 v164, v7, v3, -v1
	ds_load_b128 v[1:4], v21 offset:640
	ds_load_b128 v[5:8], v21 offset:656
	s_wait_loadcnt_dscnt 0x1
	v_mul_f32_e32 v165, v1, v10
	v_mul_f32_e32 v167, v3, v12
	s_delay_alu instid0(VALU_DEP_2) | instskip(NEXT) | instid1(VALU_DEP_2)
	v_fmac_f32_e32 v165, v2, v9
	v_dual_mul_f32 v2, v2, v10 :: v_dual_fmac_f32 v167, v4, v11
	s_delay_alu instid0(VALU_DEP_1) | instskip(SKIP_1) | instid1(VALU_DEP_1)
	v_fma_f32 v166, v1, v9, -v2
	v_mul_f32_e32 v1, v4, v12
	;; [unrolled: 25-line block ×3, first 2 shown]
	v_fma_f32 v176, v3, v11, -v1
	s_clause 0x1
	scratch_load_b128 v[1:4], off, off offset:256
	scratch_load_b128 v[9:12], off, off offset:272
	s_wait_loadcnt_dscnt 0x100
	v_mul_f32_e32 v177, v5, v2
	v_dual_mul_f32 v2, v6, v2 :: v_dual_mul_f32 v179, v7, v4
	s_delay_alu instid0(VALU_DEP_1) | instskip(NEXT) | instid1(VALU_DEP_2)
	v_fma_f32 v178, v5, v1, -v2
	v_fmac_f32_e32 v179, v8, v3
	s_delay_alu instid0(VALU_DEP_4) | instskip(SKIP_1) | instid1(VALU_DEP_1)
	v_fmac_f32_e32 v177, v6, v1
	v_mul_f32_e32 v1, v8, v4
	v_fma_f32 v180, v7, v3, -v1
	ds_load_b128 v[1:4], v21 offset:704
	ds_load_b128 v[5:8], v21 offset:720
	s_wait_loadcnt_dscnt 0x1
	v_mul_f32_e32 v181, v1, v10
	v_mul_f32_e32 v183, v3, v12
	s_delay_alu instid0(VALU_DEP_2) | instskip(NEXT) | instid1(VALU_DEP_2)
	v_fmac_f32_e32 v181, v2, v9
	v_dual_mul_f32 v2, v2, v10 :: v_dual_fmac_f32 v183, v4, v11
	s_delay_alu instid0(VALU_DEP_1) | instskip(SKIP_1) | instid1(VALU_DEP_1)
	v_fma_f32 v182, v1, v9, -v2
	v_mul_f32_e32 v1, v4, v12
	v_fma_f32 v184, v3, v11, -v1
	s_clause 0x1
	scratch_load_b128 v[1:4], off, off offset:288
	scratch_load_b128 v[9:12], off, off offset:304
	s_wait_loadcnt_dscnt 0x100
	v_mul_f32_e32 v185, v5, v2
	v_dual_mul_f32 v2, v6, v2 :: v_dual_mul_f32 v187, v7, v4
	s_delay_alu instid0(VALU_DEP_2) | instskip(NEXT) | instid1(VALU_DEP_2)
	v_fmac_f32_e32 v185, v6, v1
	v_fma_f32 v186, v5, v1, -v2
	v_mul_f32_e32 v1, v8, v4
	s_delay_alu instid0(VALU_DEP_4) | instskip(NEXT) | instid1(VALU_DEP_2)
	v_fmac_f32_e32 v187, v8, v3
	v_fma_f32 v188, v7, v3, -v1
	ds_load_b128 v[1:4], v21 offset:736
	ds_load_b128 v[5:8], v21 offset:752
	s_wait_loadcnt_dscnt 0x1
	v_mul_f32_e32 v189, v1, v10
	v_mul_f32_e32 v191, v3, v12
	s_delay_alu instid0(VALU_DEP_2) | instskip(NEXT) | instid1(VALU_DEP_2)
	v_fmac_f32_e32 v189, v2, v9
	v_dual_mul_f32 v2, v2, v10 :: v_dual_fmac_f32 v191, v4, v11
	s_delay_alu instid0(VALU_DEP_1) | instskip(SKIP_1) | instid1(VALU_DEP_1)
	v_fma_f32 v190, v1, v9, -v2
	v_mul_f32_e32 v1, v4, v12
	v_fma_f32 v192, v3, v11, -v1
	s_clause 0x1
	scratch_load_b128 v[1:4], off, off offset:320
	scratch_load_b128 v[9:12], off, off offset:336
	s_wait_loadcnt_dscnt 0x100
	v_mul_f32_e32 v193, v5, v2
	v_dual_mul_f32 v2, v6, v2 :: v_dual_mul_f32 v195, v7, v4
	s_delay_alu instid0(VALU_DEP_2) | instskip(NEXT) | instid1(VALU_DEP_2)
	v_fmac_f32_e32 v193, v6, v1
	v_fma_f32 v194, v5, v1, -v2
	v_mul_f32_e32 v1, v8, v4
	s_delay_alu instid0(VALU_DEP_4) | instskip(NEXT) | instid1(VALU_DEP_2)
	v_fmac_f32_e32 v195, v8, v3
	v_fma_f32 v196, v7, v3, -v1
	ds_load_b128 v[1:4], v21 offset:768
	ds_load_b128 v[5:8], v21 offset:784
	s_wait_loadcnt_dscnt 0x1
	v_mul_f32_e32 v197, v1, v10
	v_mul_f32_e32 v199, v3, v12
	s_delay_alu instid0(VALU_DEP_2) | instskip(NEXT) | instid1(VALU_DEP_2)
	v_fmac_f32_e32 v197, v2, v9
	v_dual_mul_f32 v2, v2, v10 :: v_dual_fmac_f32 v199, v4, v11
	s_delay_alu instid0(VALU_DEP_1) | instskip(SKIP_1) | instid1(VALU_DEP_1)
	v_fma_f32 v198, v1, v9, -v2
	v_mul_f32_e32 v1, v4, v12
	v_fma_f32 v200, v3, v11, -v1
	s_clause 0x1
	scratch_load_b128 v[1:4], off, off offset:352
	scratch_load_b128 v[9:12], off, off offset:368
	s_wait_loadcnt_dscnt 0x100
	v_mul_f32_e32 v201, v5, v2
	v_mul_f32_e32 v2, v6, v2
	s_delay_alu instid0(VALU_DEP_2) | instskip(NEXT) | instid1(VALU_DEP_2)
	v_fmac_f32_e32 v201, v6, v1
	v_fma_f32 v202, v5, v1, -v2
	v_add_f32_e32 v2, 0, v146
	s_delay_alu instid0(VALU_DEP_1) | instskip(NEXT) | instid1(VALU_DEP_1)
	v_add_f32_e32 v2, v2, v147
	v_add_f32_e32 v2, v2, v24
	s_delay_alu instid0(VALU_DEP_1) | instskip(NEXT) | instid1(VALU_DEP_1)
	v_add_f32_e32 v2, v2, v25
	;; [unrolled: 3-line block ×3, first 2 shown]
	v_add_f32_e32 v2, v2, v140
	s_delay_alu instid0(VALU_DEP_1) | instskip(NEXT) | instid1(VALU_DEP_1)
	v_dual_mul_f32 v1, v8, v4 :: v_dual_add_f32 v2, v2, v141
	v_fma_f32 v204, v7, v3, -v1
	s_delay_alu instid0(VALU_DEP_2) | instskip(NEXT) | instid1(VALU_DEP_1)
	v_dual_add_f32 v1, 0, v22 :: v_dual_add_f32 v2, v2, v15
	v_dual_add_f32 v1, v1, v23 :: v_dual_add_f32 v2, v2, v18
	s_delay_alu instid0(VALU_DEP_1) | instskip(NEXT) | instid1(VALU_DEP_1)
	v_dual_add_f32 v1, v1, v28 :: v_dual_add_f32 v2, v2, v19
	v_dual_add_f32 v1, v1, v29 :: v_dual_add_f32 v2, v2, v20
	s_delay_alu instid0(VALU_DEP_1) | instskip(NEXT) | instid1(VALU_DEP_1)
	;; [unrolled: 3-line block ×3, first 2 shown]
	v_add_f32_e32 v1, v1, v13
	v_dual_add_f32 v2, v2, v153 :: v_dual_add_f32 v1, v1, v14
	s_delay_alu instid0(VALU_DEP_1) | instskip(NEXT) | instid1(VALU_DEP_1)
	v_dual_add_f32 v2, v2, v155 :: v_dual_add_f32 v1, v1, v16
	v_add_f32_e32 v2, v2, v157
	s_delay_alu instid0(VALU_DEP_1) | instskip(NEXT) | instid1(VALU_DEP_1)
	v_dual_add_f32 v1, v1, v17 :: v_dual_add_f32 v2, v2, v159
	v_dual_add_f32 v1, v1, v142 :: v_dual_add_f32 v2, v2, v161
	s_delay_alu instid0(VALU_DEP_1) | instskip(NEXT) | instid1(VALU_DEP_2)
	v_add_f32_e32 v1, v1, v143
	v_add_f32_e32 v2, v2, v163
	s_delay_alu instid0(VALU_DEP_1) | instskip(NEXT) | instid1(VALU_DEP_1)
	v_dual_add_f32 v1, v1, v151 :: v_dual_add_f32 v2, v2, v165
	v_dual_add_f32 v1, v1, v152 :: v_dual_add_f32 v2, v2, v167
	s_delay_alu instid0(VALU_DEP_1) | instskip(NEXT) | instid1(VALU_DEP_1)
	v_dual_add_f32 v1, v1, v154 :: v_dual_add_f32 v2, v2, v169
	v_dual_add_f32 v1, v1, v156 :: v_dual_add_f32 v2, v2, v171
	s_delay_alu instid0(VALU_DEP_1) | instskip(NEXT) | instid1(VALU_DEP_1)
	v_add_f32_e32 v1, v1, v158
	v_add_f32_e32 v1, v1, v160
	s_delay_alu instid0(VALU_DEP_1) | instskip(NEXT) | instid1(VALU_DEP_1)
	v_add_f32_e32 v1, v1, v162
	v_add_f32_e32 v1, v1, v164
	;; [unrolled: 3-line block ×5, first 2 shown]
	v_mul_f32_e32 v203, v7, v4
	v_add_f32_e32 v5, v2, v173
	s_delay_alu instid0(VALU_DEP_2) | instskip(SKIP_3) | instid1(VALU_DEP_2)
	v_dual_add_f32 v6, v6, v178 :: v_dual_fmac_f32 v203, v8, v3
	ds_load_b128 v[1:4], v21 offset:800
	v_add_f32_e32 v5, v5, v175
	v_add_f32_e32 v13, v6, v180
	;; [unrolled: 1-line block ×3, first 2 shown]
	s_delay_alu instid0(VALU_DEP_2) | instskip(NEXT) | instid1(VALU_DEP_2)
	v_add_f32_e32 v13, v13, v182
	v_add_f32_e32 v14, v5, v179
	ds_load_b128 v[5:8], v21 offset:816
	v_add_f32_e32 v13, v13, v184
	s_delay_alu instid0(VALU_DEP_1)
	v_add_f32_e32 v13, v13, v186
	s_wait_loadcnt_dscnt 0x1
	v_dual_mul_f32 v25, v1, v10 :: v_dual_mul_f32 v26, v3, v12
	v_mul_f32_e32 v10, v2, v10
	v_mul_f32_e32 v12, v4, v12
	v_add_f32_e32 v14, v14, v181
	s_delay_alu instid0(VALU_DEP_4) | instskip(NEXT) | instid1(VALU_DEP_4)
	v_dual_fmac_f32 v25, v2, v9 :: v_dual_fmac_f32 v26, v4, v11
	v_fma_f32 v28, v1, v9, -v10
	s_delay_alu instid0(VALU_DEP_4) | instskip(SKIP_4) | instid1(VALU_DEP_1)
	v_fma_f32 v29, v3, v11, -v12
	s_clause 0x1
	scratch_load_b128 v[1:4], off, off offset:384
	scratch_load_b128 v[9:12], off, off offset:400
	v_add_f32_e32 v14, v14, v183
	v_dual_add_f32 v18, v13, v188 :: v_dual_add_f32 v17, v14, v185
	scratch_load_b128 v[13:16], off, off offset:416
	v_dual_add_f32 v18, v18, v190 :: v_dual_add_f32 v17, v17, v187
	s_delay_alu instid0(VALU_DEP_1) | instskip(NEXT) | instid1(VALU_DEP_1)
	v_dual_add_f32 v18, v18, v192 :: v_dual_add_f32 v17, v17, v189
	v_dual_add_f32 v22, v18, v194 :: v_dual_add_f32 v17, v17, v191
	s_delay_alu instid0(VALU_DEP_1) | instskip(SKIP_4) | instid1(VALU_DEP_1)
	v_dual_add_f32 v30, v22, v196 :: v_dual_add_f32 v23, v17, v193
	ds_load_b128 v[17:20], v21 offset:832
	v_dual_add_f32 v30, v30, v198 :: v_dual_add_f32 v31, v23, v195
	ds_load_b128 v[21:24], v21 offset:848
	v_add_f32_e32 v30, v30, v200
	v_add_f32_e32 v30, v30, v202
	s_delay_alu instid0(VALU_DEP_1) | instskip(NEXT) | instid1(VALU_DEP_1)
	v_add_f32_e32 v30, v30, v204
	v_add_f32_e32 v28, v30, v28
	s_wait_loadcnt_dscnt 0x202
	v_dual_mul_f32 v140, v5, v2 :: v_dual_add_f32 v31, v31, v197
	s_wait_loadcnt_dscnt 0x101
	v_mul_f32_e32 v142, v17, v10
	v_dual_mul_f32 v2, v6, v2 :: v_dual_mul_f32 v141, v7, v4
	s_delay_alu instid0(VALU_DEP_3) | instskip(SKIP_1) | instid1(VALU_DEP_3)
	v_dual_mul_f32 v4, v8, v4 :: v_dual_add_f32 v31, v31, v199
	v_fmac_f32_e32 v140, v6, v1
	v_fma_f32 v2, v5, v1, -v2
	v_dual_add_f32 v1, v28, v29 :: v_dual_mul_f32 v6, v18, v10
	s_delay_alu instid0(VALU_DEP_4) | instskip(SKIP_2) | instid1(VALU_DEP_4)
	v_add_f32_e32 v31, v31, v201
	v_fmac_f32_e32 v141, v8, v3
	v_fma_f32 v3, v7, v3, -v4
	v_add_f32_e32 v1, v1, v2
	v_mul_f32_e32 v143, v19, v12
	v_dual_add_f32 v31, v31, v203 :: v_dual_mul_f32 v4, v20, v12
	s_delay_alu instid0(VALU_DEP_3) | instskip(SKIP_1) | instid1(VALU_DEP_2)
	v_dual_fmac_f32 v142, v18, v9 :: v_dual_add_f32 v1, v1, v3
	s_wait_loadcnt_dscnt 0x0
	v_dual_mul_f32 v146, v21, v14 :: v_dual_add_f32 v25, v31, v25
	v_mul_f32_e32 v3, v22, v14
	v_fmac_f32_e32 v143, v20, v11
	v_fma_f32 v4, v19, v11, -v4
	s_delay_alu instid0(VALU_DEP_4) | instskip(SKIP_2) | instid1(VALU_DEP_3)
	v_dual_mul_f32 v30, v23, v16 :: v_dual_add_f32 v5, v25, v26
	v_fmac_f32_e32 v146, v22, v13
	v_fma_f32 v3, v21, v13, -v3
	v_fmac_f32_e32 v30, v24, v15
	s_delay_alu instid0(VALU_DEP_4) | instskip(SKIP_1) | instid1(VALU_DEP_2)
	v_add_f32_e32 v2, v5, v140
	v_fma_f32 v5, v17, v9, -v6
	v_add_f32_e32 v2, v2, v141
	s_delay_alu instid0(VALU_DEP_2) | instskip(NEXT) | instid1(VALU_DEP_2)
	v_add_f32_e32 v1, v1, v5
	v_dual_mul_f32 v5, v24, v16 :: v_dual_add_f32 v2, v2, v142
	s_delay_alu instid0(VALU_DEP_2) | instskip(NEXT) | instid1(VALU_DEP_2)
	v_add_f32_e32 v1, v1, v4
	v_fma_f32 v4, v23, v15, -v5
	s_delay_alu instid0(VALU_DEP_3) | instskip(NEXT) | instid1(VALU_DEP_1)
	v_add_f32_e32 v2, v2, v143
	v_dual_add_f32 v1, v1, v3 :: v_dual_add_f32 v2, v2, v146
	s_delay_alu instid0(VALU_DEP_1) | instskip(NEXT) | instid1(VALU_DEP_1)
	v_dual_add_f32 v1, v1, v4 :: v_dual_add_f32 v2, v2, v30
	v_dual_sub_f32 v1, v144, v1 :: v_dual_sub_f32 v2, v145, v2
	scratch_store_b64 off, v[1:2], off offset:40
	v_cmpx_lt_u32_e32 4, v0
	s_cbranch_execz .LBB53_329
; %bb.328:
	scratch_load_b64 v[1:2], off, off offset:32
	v_mov_b32_e32 v3, 0
	s_delay_alu instid0(VALU_DEP_1)
	v_mov_b32_e32 v4, v3
	scratch_store_b64 off, v[3:4], off offset:32
	s_wait_loadcnt 0x0
	ds_store_b64 v27, v[1:2]
.LBB53_329:
	s_wait_alu 0xfffe
	s_or_b32 exec_lo, exec_lo, s0
	s_wait_storecnt_dscnt 0x0
	s_barrier_signal -1
	s_barrier_wait -1
	global_inv scope:SCOPE_SE
	s_clause 0x4
	scratch_load_b128 v[5:8], off, off offset:40
	scratch_load_b128 v[1:4], off, off offset:56
	;; [unrolled: 1-line block ×5, first 2 shown]
	v_mov_b32_e32 v25, 0
	ds_load_2addr_b64 v[21:24], v25 offset0:59 offset1:60
	ds_load_2addr_b64 v[28:31], v25 offset0:61 offset1:62
	;; [unrolled: 1-line block ×3, first 2 shown]
	scratch_load_b64 v[144:145], off, off offset:32
	s_mov_b32 s0, exec_lo
	s_wait_loadcnt_dscnt 0x502
	v_mul_f32_e32 v26, v22, v6
	v_dual_mul_f32 v146, v21, v6 :: v_dual_mul_f32 v147, v23, v8
	v_mul_f32_e32 v6, v24, v8
	s_wait_loadcnt_dscnt 0x300
	v_mul_f32_e32 v148, v142, v12
	v_fma_f32 v21, v21, v5, -v26
	v_dual_fmac_f32 v146, v22, v5 :: v_dual_fmac_f32 v147, v24, v7
	v_fma_f32 v22, v23, v7, -v6
	ds_load_2addr_b64 v[5:8], v25 offset0:65 offset1:66
	v_dual_mul_f32 v23, v28, v2 :: v_dual_mul_f32 v24, v30, v4
	v_mul_f32_e32 v4, v31, v4
	v_mul_f32_e32 v26, v140, v10
	v_mul_f32_e32 v10, v141, v10
	v_mul_f32_e32 v12, v143, v12
	v_mul_f32_e32 v2, v29, v2
	v_dual_fmac_f32 v23, v29, v1 :: v_dual_fmac_f32 v24, v31, v3
	v_fma_f32 v29, v30, v3, -v4
	v_fmac_f32_e32 v26, v141, v9
	v_fma_f32 v30, v140, v9, -v10
	v_fmac_f32_e32 v148, v143, v11
	v_fma_f32 v31, v142, v11, -v12
	ds_load_2addr_b64 v[9:12], v25 offset0:67 offset1:68
	s_wait_loadcnt_dscnt 0x201
	v_mul_f32_e32 v141, v7, v16
	v_fma_f32 v28, v28, v1, -v2
	scratch_load_b128 v[1:4], off, off offset:120
	v_mul_f32_e32 v140, v5, v14
	v_mul_f32_e32 v14, v6, v14
	;; [unrolled: 1-line block ×3, first 2 shown]
	s_delay_alu instid0(VALU_DEP_3) | instskip(NEXT) | instid1(VALU_DEP_3)
	v_dual_fmac_f32 v141, v8, v15 :: v_dual_fmac_f32 v140, v6, v13
	v_fma_f32 v13, v5, v13, -v14
	s_delay_alu instid0(VALU_DEP_3)
	v_fma_f32 v14, v7, v15, -v16
	ds_load_2addr_b64 v[5:8], v25 offset0:69 offset1:70
	s_wait_loadcnt_dscnt 0x201
	v_mul_f32_e32 v15, v9, v18
	v_mul_f32_e32 v16, v10, v18
	;; [unrolled: 1-line block ×3, first 2 shown]
	s_delay_alu instid0(VALU_DEP_3) | instskip(NEXT) | instid1(VALU_DEP_3)
	v_dual_mul_f32 v20, v12, v20 :: v_dual_fmac_f32 v15, v10, v17
	v_fma_f32 v16, v9, v17, -v16
	s_delay_alu instid0(VALU_DEP_3) | instskip(NEXT) | instid1(VALU_DEP_3)
	v_fmac_f32_e32 v18, v12, v19
	v_fma_f32 v17, v11, v19, -v20
	scratch_load_b128 v[9:12], off, off offset:136
	s_wait_loadcnt_dscnt 0x100
	v_mul_f32_e32 v19, v5, v2
	v_mul_f32_e32 v2, v6, v2
	;; [unrolled: 1-line block ×3, first 2 shown]
	s_delay_alu instid0(VALU_DEP_3) | instskip(NEXT) | instid1(VALU_DEP_3)
	v_dual_mul_f32 v4, v8, v4 :: v_dual_fmac_f32 v19, v6, v1
	v_fma_f32 v142, v5, v1, -v2
	s_delay_alu instid0(VALU_DEP_3) | instskip(NEXT) | instid1(VALU_DEP_3)
	v_fmac_f32_e32 v20, v8, v3
	v_fma_f32 v143, v7, v3, -v4
	ds_load_2addr_b64 v[1:4], v25 offset0:71 offset1:72
	ds_load_2addr_b64 v[5:8], v25 offset0:73 offset1:74
	s_wait_loadcnt_dscnt 0x1
	v_mul_f32_e32 v149, v1, v10
	v_mul_f32_e32 v10, v2, v10
	s_delay_alu instid0(VALU_DEP_2) | instskip(NEXT) | instid1(VALU_DEP_2)
	v_dual_mul_f32 v150, v3, v12 :: v_dual_fmac_f32 v149, v2, v9
	v_fma_f32 v151, v1, v9, -v10
	v_mul_f32_e32 v1, v4, v12
	s_delay_alu instid0(VALU_DEP_3) | instskip(NEXT) | instid1(VALU_DEP_2)
	v_fmac_f32_e32 v150, v4, v11
	v_fma_f32 v152, v3, v11, -v1
	s_clause 0x1
	scratch_load_b128 v[1:4], off, off offset:152
	scratch_load_b128 v[9:12], off, off offset:168
	s_wait_loadcnt_dscnt 0x100
	v_mul_f32_e32 v153, v5, v2
	v_dual_mul_f32 v2, v6, v2 :: v_dual_mul_f32 v155, v7, v4
	s_delay_alu instid0(VALU_DEP_2) | instskip(NEXT) | instid1(VALU_DEP_2)
	v_fmac_f32_e32 v153, v6, v1
	v_fma_f32 v154, v5, v1, -v2
	v_mul_f32_e32 v1, v8, v4
	s_delay_alu instid0(VALU_DEP_4) | instskip(NEXT) | instid1(VALU_DEP_2)
	v_fmac_f32_e32 v155, v8, v3
	v_fma_f32 v156, v7, v3, -v1
	ds_load_2addr_b64 v[1:4], v25 offset0:75 offset1:76
	ds_load_2addr_b64 v[5:8], v25 offset0:77 offset1:78
	s_wait_loadcnt_dscnt 0x1
	v_mul_f32_e32 v157, v1, v10
	v_mul_f32_e32 v159, v3, v12
	s_delay_alu instid0(VALU_DEP_2) | instskip(NEXT) | instid1(VALU_DEP_2)
	v_fmac_f32_e32 v157, v2, v9
	v_dual_mul_f32 v2, v2, v10 :: v_dual_fmac_f32 v159, v4, v11
	s_delay_alu instid0(VALU_DEP_1) | instskip(SKIP_1) | instid1(VALU_DEP_1)
	v_fma_f32 v158, v1, v9, -v2
	v_mul_f32_e32 v1, v4, v12
	v_fma_f32 v160, v3, v11, -v1
	s_clause 0x1
	scratch_load_b128 v[1:4], off, off offset:184
	scratch_load_b128 v[9:12], off, off offset:200
	s_wait_loadcnt_dscnt 0x100
	v_mul_f32_e32 v161, v5, v2
	v_dual_mul_f32 v2, v6, v2 :: v_dual_mul_f32 v163, v7, v4
	s_delay_alu instid0(VALU_DEP_2) | instskip(NEXT) | instid1(VALU_DEP_2)
	v_fmac_f32_e32 v161, v6, v1
	v_fma_f32 v162, v5, v1, -v2
	v_mul_f32_e32 v1, v8, v4
	s_delay_alu instid0(VALU_DEP_4) | instskip(NEXT) | instid1(VALU_DEP_2)
	v_fmac_f32_e32 v163, v8, v3
	v_fma_f32 v164, v7, v3, -v1
	ds_load_2addr_b64 v[1:4], v25 offset0:79 offset1:80
	ds_load_2addr_b64 v[5:8], v25 offset0:81 offset1:82
	s_wait_loadcnt_dscnt 0x1
	v_mul_f32_e32 v165, v1, v10
	v_mul_f32_e32 v167, v3, v12
	s_delay_alu instid0(VALU_DEP_2) | instskip(NEXT) | instid1(VALU_DEP_2)
	v_fmac_f32_e32 v165, v2, v9
	v_dual_mul_f32 v2, v2, v10 :: v_dual_fmac_f32 v167, v4, v11
	s_delay_alu instid0(VALU_DEP_1) | instskip(SKIP_1) | instid1(VALU_DEP_1)
	v_fma_f32 v166, v1, v9, -v2
	v_mul_f32_e32 v1, v4, v12
	;; [unrolled: 25-line block ×5, first 2 shown]
	v_fma_f32 v192, v3, v11, -v1
	s_clause 0x1
	scratch_load_b128 v[1:4], off, off offset:312
	scratch_load_b128 v[9:12], off, off offset:328
	s_wait_loadcnt_dscnt 0x100
	v_mul_f32_e32 v193, v5, v2
	v_dual_mul_f32 v2, v6, v2 :: v_dual_mul_f32 v195, v7, v4
	s_delay_alu instid0(VALU_DEP_2) | instskip(NEXT) | instid1(VALU_DEP_2)
	v_fmac_f32_e32 v193, v6, v1
	v_fma_f32 v194, v5, v1, -v2
	v_mul_f32_e32 v1, v8, v4
	s_delay_alu instid0(VALU_DEP_4) | instskip(NEXT) | instid1(VALU_DEP_2)
	v_fmac_f32_e32 v195, v8, v3
	v_fma_f32 v196, v7, v3, -v1
	ds_load_2addr_b64 v[1:4], v25 offset0:95 offset1:96
	ds_load_2addr_b64 v[5:8], v25 offset0:97 offset1:98
	s_wait_loadcnt_dscnt 0x1
	v_mul_f32_e32 v197, v1, v10
	v_mul_f32_e32 v199, v3, v12
	s_delay_alu instid0(VALU_DEP_1) | instskip(NEXT) | instid1(VALU_DEP_3)
	v_fmac_f32_e32 v199, v4, v11
	v_fmac_f32_e32 v197, v2, v9
	v_mul_f32_e32 v2, v2, v10
	s_delay_alu instid0(VALU_DEP_1) | instskip(SKIP_1) | instid1(VALU_DEP_1)
	v_fma_f32 v198, v1, v9, -v2
	v_mul_f32_e32 v1, v4, v12
	v_fma_f32 v200, v3, v11, -v1
	s_clause 0x1
	scratch_load_b128 v[1:4], off, off offset:344
	scratch_load_b128 v[9:12], off, off offset:360
	s_wait_loadcnt_dscnt 0x100
	v_mul_f32_e32 v201, v5, v2
	v_mul_f32_e32 v2, v6, v2
	s_delay_alu instid0(VALU_DEP_2) | instskip(NEXT) | instid1(VALU_DEP_2)
	v_fmac_f32_e32 v201, v6, v1
	v_fma_f32 v202, v5, v1, -v2
	v_dual_add_f32 v2, 0, v146 :: v_dual_mul_f32 v1, v8, v4
	s_delay_alu instid0(VALU_DEP_1) | instskip(NEXT) | instid1(VALU_DEP_2)
	v_add_f32_e32 v2, v2, v147
	v_fma_f32 v204, v7, v3, -v1
	s_delay_alu instid0(VALU_DEP_2) | instskip(NEXT) | instid1(VALU_DEP_1)
	v_add_f32_e32 v2, v2, v23
	v_add_f32_e32 v2, v2, v24
	s_delay_alu instid0(VALU_DEP_1) | instskip(NEXT) | instid1(VALU_DEP_1)
	v_add_f32_e32 v2, v2, v26
	v_add_f32_e32 v2, v2, v148
	s_delay_alu instid0(VALU_DEP_1) | instskip(NEXT) | instid1(VALU_DEP_1)
	v_dual_add_f32 v2, v2, v140 :: v_dual_add_f32 v1, 0, v21
	v_dual_add_f32 v2, v2, v141 :: v_dual_add_f32 v1, v1, v22
	s_delay_alu instid0(VALU_DEP_1) | instskip(NEXT) | instid1(VALU_DEP_1)
	v_dual_add_f32 v2, v2, v15 :: v_dual_add_f32 v1, v1, v28
	v_dual_add_f32 v2, v2, v18 :: v_dual_add_f32 v1, v1, v29
	scratch_load_b64 v[28:29], off, off offset:424
	v_dual_add_f32 v2, v2, v19 :: v_dual_add_f32 v1, v1, v30
	s_delay_alu instid0(VALU_DEP_1) | instskip(NEXT) | instid1(VALU_DEP_1)
	v_dual_add_f32 v2, v2, v20 :: v_dual_add_f32 v1, v1, v31
	v_add_f32_e32 v2, v2, v149
	s_delay_alu instid0(VALU_DEP_1) | instskip(NEXT) | instid1(VALU_DEP_1)
	v_dual_add_f32 v1, v1, v13 :: v_dual_add_f32 v2, v2, v150
	v_dual_add_f32 v1, v1, v14 :: v_dual_add_f32 v2, v2, v153
	s_delay_alu instid0(VALU_DEP_1) | instskip(NEXT) | instid1(VALU_DEP_1)
	v_dual_add_f32 v1, v1, v16 :: v_dual_add_f32 v2, v2, v155
	v_add_f32_e32 v1, v1, v17
	s_delay_alu instid0(VALU_DEP_1) | instskip(NEXT) | instid1(VALU_DEP_1)
	v_dual_add_f32 v2, v2, v157 :: v_dual_add_f32 v1, v1, v142
	v_add_f32_e32 v2, v2, v159
	;; [unrolled: 3-line block ×3, first 2 shown]
	s_delay_alu instid0(VALU_DEP_1) | instskip(NEXT) | instid1(VALU_DEP_1)
	v_dual_add_f32 v2, v2, v163 :: v_dual_add_f32 v1, v1, v152
	v_dual_add_f32 v2, v2, v165 :: v_dual_add_f32 v1, v1, v154
	s_delay_alu instid0(VALU_DEP_1) | instskip(NEXT) | instid1(VALU_DEP_1)
	v_dual_add_f32 v2, v2, v167 :: v_dual_add_f32 v1, v1, v156
	v_add_f32_e32 v1, v1, v158
	s_delay_alu instid0(VALU_DEP_1) | instskip(NEXT) | instid1(VALU_DEP_1)
	v_add_f32_e32 v1, v1, v160
	v_add_f32_e32 v1, v1, v162
	s_delay_alu instid0(VALU_DEP_1) | instskip(NEXT) | instid1(VALU_DEP_1)
	v_add_f32_e32 v1, v1, v164
	;; [unrolled: 3-line block ×4, first 2 shown]
	v_add_f32_e32 v1, v1, v174
	s_delay_alu instid0(VALU_DEP_1) | instskip(SKIP_1) | instid1(VALU_DEP_2)
	v_add_f32_e32 v6, v1, v176
	v_dual_add_f32 v2, v2, v169 :: v_dual_mul_f32 v203, v7, v4
	v_add_f32_e32 v6, v6, v178
	s_delay_alu instid0(VALU_DEP_2) | instskip(NEXT) | instid1(VALU_DEP_3)
	v_add_f32_e32 v2, v2, v171
	v_fmac_f32_e32 v203, v8, v3
	s_delay_alu instid0(VALU_DEP_3) | instskip(NEXT) | instid1(VALU_DEP_3)
	v_add_f32_e32 v13, v6, v180
	v_add_f32_e32 v5, v2, v173
	ds_load_2addr_b64 v[1:4], v25 offset0:99 offset1:100
	v_add_f32_e32 v13, v13, v182
	v_add_f32_e32 v5, v5, v175
	s_delay_alu instid0(VALU_DEP_2) | instskip(NEXT) | instid1(VALU_DEP_2)
	v_add_f32_e32 v13, v13, v184
	v_add_f32_e32 v5, v5, v177
	s_delay_alu instid0(VALU_DEP_2) | instskip(NEXT) | instid1(VALU_DEP_2)
	v_add_f32_e32 v13, v13, v186
	v_add_f32_e32 v14, v5, v179
	ds_load_2addr_b64 v[5:8], v25 offset0:101 offset1:102
	v_add_f32_e32 v18, v13, v188
	s_wait_loadcnt_dscnt 0x101
	v_mul_f32_e32 v26, v1, v10
	v_mul_f32_e32 v10, v2, v10
	;; [unrolled: 1-line block ×4, first 2 shown]
	v_add_f32_e32 v14, v14, v181
	v_fmac_f32_e32 v26, v2, v9
	v_fma_f32 v141, v1, v9, -v10
	v_fmac_f32_e32 v140, v4, v11
	v_fma_f32 v142, v3, v11, -v12
	s_clause 0x1
	scratch_load_b128 v[1:4], off, off offset:376
	scratch_load_b128 v[9:12], off, off offset:392
	v_add_f32_e32 v14, v14, v183
	v_add_f32_e32 v18, v18, v190
	s_delay_alu instid0(VALU_DEP_2) | instskip(SKIP_2) | instid1(VALU_DEP_1)
	v_add_f32_e32 v17, v14, v185
	scratch_load_b128 v[13:16], off, off offset:408
	v_dual_add_f32 v18, v18, v192 :: v_dual_add_f32 v17, v17, v187
	v_dual_add_f32 v18, v18, v194 :: v_dual_add_f32 v17, v17, v189
	s_delay_alu instid0(VALU_DEP_1) | instskip(NEXT) | instid1(VALU_DEP_1)
	v_dual_add_f32 v18, v18, v196 :: v_dual_add_f32 v17, v17, v191
	v_dual_add_f32 v30, v18, v198 :: v_dual_add_f32 v17, v17, v193
	s_delay_alu instid0(VALU_DEP_1) | instskip(NEXT) | instid1(VALU_DEP_2)
	v_add_f32_e32 v143, v30, v200
	v_add_f32_e32 v21, v17, v195
	ds_load_2addr_b64 v[17:20], v25 offset0:103 offset1:104
	v_add_f32_e32 v143, v143, v202
	v_add_f32_e32 v31, v21, v197
	ds_load_2addr_b64 v[21:24], v25 offset0:105 offset1:106
	v_add_f32_e32 v143, v143, v204
	v_add_f32_e32 v146, v31, v199
	ds_load_b64 v[30:31], v25 offset:856
	v_add_f32_e32 v141, v143, v141
	s_wait_loadcnt_dscnt 0x203
	s_delay_alu instid0(VALU_DEP_1) | instskip(SKIP_4) | instid1(VALU_DEP_3)
	v_dual_add_f32 v141, v141, v142 :: v_dual_mul_f32 v148, v7, v4
	v_dual_add_f32 v146, v146, v201 :: v_dual_mul_f32 v147, v5, v2
	v_mul_f32_e32 v2, v6, v2
	s_wait_loadcnt_dscnt 0x102
	v_dual_mul_f32 v4, v8, v4 :: v_dual_mul_f32 v143, v17, v10
	v_add_f32_e32 v146, v146, v203
	v_fmac_f32_e32 v147, v6, v1
	v_fma_f32 v2, v5, v1, -v2
	v_fmac_f32_e32 v148, v8, v3
	v_fma_f32 v1, v7, v3, -v4
	v_add_f32_e32 v26, v146, v26
	v_mul_f32_e32 v3, v18, v10
	v_add_f32_e32 v2, v141, v2
	v_mul_f32_e32 v146, v19, v12
	v_mul_f32_e32 v5, v20, v12
	v_add_f32_e32 v26, v26, v140
	v_fmac_f32_e32 v143, v18, v9
	v_fma_f32 v3, v17, v9, -v3
	v_add_f32_e32 v1, v2, v1
	s_wait_loadcnt_dscnt 0x1
	v_dual_mul_f32 v149, v21, v14 :: v_dual_add_f32 v4, v26, v147
	v_fmac_f32_e32 v146, v20, v11
	v_fma_f32 v5, v19, v11, -v5
	v_dual_add_f32 v1, v1, v3 :: v_dual_mul_f32 v142, v23, v16
	s_delay_alu instid0(VALU_DEP_4) | instskip(SKIP_2) | instid1(VALU_DEP_3)
	v_add_f32_e32 v2, v4, v148
	v_dual_mul_f32 v4, v22, v14 :: v_dual_mul_f32 v3, v24, v16
	v_fmac_f32_e32 v149, v22, v13
	v_dual_add_f32 v1, v1, v5 :: v_dual_add_f32 v2, v2, v143
	s_delay_alu instid0(VALU_DEP_3)
	v_fma_f32 v4, v21, v13, -v4
	s_wait_dscnt 0x0
	v_mul_f32_e32 v140, v30, v29
	v_dual_mul_f32 v5, v31, v29 :: v_dual_fmac_f32 v142, v24, v15
	v_add_f32_e32 v2, v2, v146
	v_fma_f32 v3, v23, v15, -v3
	v_add_f32_e32 v1, v1, v4
	v_fmac_f32_e32 v140, v31, v28
	v_fma_f32 v4, v30, v28, -v5
	s_delay_alu instid0(VALU_DEP_3) | instskip(NEXT) | instid1(VALU_DEP_1)
	v_dual_add_f32 v2, v2, v149 :: v_dual_add_f32 v1, v1, v3
	v_dual_add_f32 v2, v2, v142 :: v_dual_add_f32 v1, v1, v4
	s_delay_alu instid0(VALU_DEP_1) | instskip(NEXT) | instid1(VALU_DEP_1)
	v_dual_add_f32 v2, v2, v140 :: v_dual_sub_f32 v1, v144, v1
	v_sub_f32_e32 v2, v145, v2
	scratch_store_b64 off, v[1:2], off offset:32
	v_cmpx_lt_u32_e32 3, v0
	s_cbranch_execz .LBB53_331
; %bb.330:
	scratch_load_b64 v[1:2], off, off offset:24
	v_mov_b32_e32 v26, v25
	scratch_store_b64 off, v[25:26], off offset:24
	s_wait_loadcnt 0x0
	ds_store_b64 v27, v[1:2]
.LBB53_331:
	s_wait_alu 0xfffe
	s_or_b32 exec_lo, exec_lo, s0
	s_wait_storecnt_dscnt 0x0
	s_barrier_signal -1
	s_barrier_wait -1
	global_inv scope:SCOPE_SE
	s_clause 0x4
	scratch_load_b128 v[5:8], off, off offset:32
	scratch_load_b128 v[1:4], off, off offset:48
	;; [unrolled: 1-line block ×5, first 2 shown]
	ds_load_b128 v[21:24], v25 offset:464
	ds_load_b128 v[28:31], v25 offset:480
	;; [unrolled: 1-line block ×3, first 2 shown]
	scratch_load_b64 v[144:145], off, off offset:24
	s_mov_b32 s0, exec_lo
	s_wait_loadcnt_dscnt 0x502
	v_mul_f32_e32 v26, v21, v6
	s_wait_loadcnt_dscnt 0x300
	v_dual_mul_f32 v146, v23, v8 :: v_dual_mul_f32 v147, v140, v10
	v_mul_f32_e32 v8, v24, v8
	v_mul_f32_e32 v6, v22, v6
	v_fmac_f32_e32 v26, v22, v5
	v_mul_f32_e32 v10, v141, v10
	v_fmac_f32_e32 v147, v141, v9
	v_fma_f32 v22, v23, v7, -v8
	v_mul_f32_e32 v23, v28, v2
	v_fmac_f32_e32 v146, v24, v7
	v_mul_f32_e32 v24, v30, v4
	v_mul_f32_e32 v4, v31, v4
	s_delay_alu instid0(VALU_DEP_4)
	v_dual_mul_f32 v148, v142, v12 :: v_dual_fmac_f32 v23, v29, v1
	v_fma_f32 v21, v21, v5, -v6
	ds_load_b128 v[5:8], v25 offset:512
	v_mul_f32_e32 v12, v143, v12
	v_mul_f32_e32 v2, v29, v2
	v_fmac_f32_e32 v24, v31, v3
	v_fma_f32 v29, v30, v3, -v4
	v_fma_f32 v30, v140, v9, -v10
	v_fmac_f32_e32 v148, v143, v11
	v_fma_f32 v31, v142, v11, -v12
	ds_load_b128 v[9:12], v25 offset:528
	s_wait_loadcnt_dscnt 0x201
	v_dual_mul_f32 v141, v7, v16 :: v_dual_mul_f32 v140, v5, v14
	v_mul_f32_e32 v14, v6, v14
	v_mul_f32_e32 v16, v8, v16
	s_delay_alu instid0(VALU_DEP_3)
	v_fmac_f32_e32 v141, v8, v15
	v_fma_f32 v28, v28, v1, -v2
	scratch_load_b128 v[1:4], off, off offset:112
	v_fmac_f32_e32 v140, v6, v13
	v_fma_f32 v13, v5, v13, -v14
	v_fma_f32 v14, v7, v15, -v16
	s_wait_loadcnt_dscnt 0x200
	v_mul_f32_e32 v15, v9, v18
	v_mul_f32_e32 v16, v10, v18
	;; [unrolled: 1-line block ×4, first 2 shown]
	ds_load_b128 v[5:8], v25 offset:544
	v_fmac_f32_e32 v15, v10, v17
	v_fma_f32 v16, v9, v17, -v16
	v_fmac_f32_e32 v18, v12, v19
	v_fma_f32 v17, v11, v19, -v20
	scratch_load_b128 v[9:12], off, off offset:128
	s_wait_loadcnt_dscnt 0x100
	v_mul_f32_e32 v19, v5, v2
	v_mul_f32_e32 v2, v6, v2
	v_mul_f32_e32 v20, v7, v4
	s_delay_alu instid0(VALU_DEP_3) | instskip(NEXT) | instid1(VALU_DEP_3)
	v_dual_mul_f32 v4, v8, v4 :: v_dual_fmac_f32 v19, v6, v1
	v_fma_f32 v142, v5, v1, -v2
	s_delay_alu instid0(VALU_DEP_3) | instskip(NEXT) | instid1(VALU_DEP_3)
	v_fmac_f32_e32 v20, v8, v3
	v_fma_f32 v143, v7, v3, -v4
	ds_load_b128 v[1:4], v25 offset:560
	ds_load_b128 v[5:8], v25 offset:576
	s_wait_loadcnt_dscnt 0x1
	v_mul_f32_e32 v149, v1, v10
	v_mul_f32_e32 v10, v2, v10
	s_delay_alu instid0(VALU_DEP_2) | instskip(NEXT) | instid1(VALU_DEP_2)
	v_dual_mul_f32 v150, v3, v12 :: v_dual_fmac_f32 v149, v2, v9
	v_fma_f32 v151, v1, v9, -v10
	v_mul_f32_e32 v1, v4, v12
	s_delay_alu instid0(VALU_DEP_3) | instskip(NEXT) | instid1(VALU_DEP_2)
	v_fmac_f32_e32 v150, v4, v11
	v_fma_f32 v152, v3, v11, -v1
	s_clause 0x1
	scratch_load_b128 v[1:4], off, off offset:144
	scratch_load_b128 v[9:12], off, off offset:160
	s_wait_loadcnt_dscnt 0x100
	v_mul_f32_e32 v153, v5, v2
	v_dual_mul_f32 v2, v6, v2 :: v_dual_mul_f32 v155, v7, v4
	s_delay_alu instid0(VALU_DEP_2) | instskip(NEXT) | instid1(VALU_DEP_2)
	v_fmac_f32_e32 v153, v6, v1
	v_fma_f32 v154, v5, v1, -v2
	v_mul_f32_e32 v1, v8, v4
	s_delay_alu instid0(VALU_DEP_4) | instskip(NEXT) | instid1(VALU_DEP_2)
	v_fmac_f32_e32 v155, v8, v3
	v_fma_f32 v156, v7, v3, -v1
	ds_load_b128 v[1:4], v25 offset:592
	ds_load_b128 v[5:8], v25 offset:608
	s_wait_loadcnt_dscnt 0x1
	v_mul_f32_e32 v157, v1, v10
	v_mul_f32_e32 v159, v3, v12
	s_delay_alu instid0(VALU_DEP_2) | instskip(NEXT) | instid1(VALU_DEP_2)
	v_fmac_f32_e32 v157, v2, v9
	v_dual_mul_f32 v2, v2, v10 :: v_dual_fmac_f32 v159, v4, v11
	s_delay_alu instid0(VALU_DEP_1) | instskip(SKIP_1) | instid1(VALU_DEP_1)
	v_fma_f32 v158, v1, v9, -v2
	v_mul_f32_e32 v1, v4, v12
	v_fma_f32 v160, v3, v11, -v1
	s_clause 0x1
	scratch_load_b128 v[1:4], off, off offset:176
	scratch_load_b128 v[9:12], off, off offset:192
	s_wait_loadcnt_dscnt 0x100
	v_mul_f32_e32 v161, v5, v2
	v_dual_mul_f32 v2, v6, v2 :: v_dual_mul_f32 v163, v7, v4
	s_delay_alu instid0(VALU_DEP_2) | instskip(NEXT) | instid1(VALU_DEP_2)
	v_fmac_f32_e32 v161, v6, v1
	v_fma_f32 v162, v5, v1, -v2
	v_mul_f32_e32 v1, v8, v4
	s_delay_alu instid0(VALU_DEP_4) | instskip(NEXT) | instid1(VALU_DEP_2)
	v_fmac_f32_e32 v163, v8, v3
	v_fma_f32 v164, v7, v3, -v1
	ds_load_b128 v[1:4], v25 offset:624
	ds_load_b128 v[5:8], v25 offset:640
	s_wait_loadcnt_dscnt 0x1
	v_mul_f32_e32 v165, v1, v10
	v_mul_f32_e32 v167, v3, v12
	s_delay_alu instid0(VALU_DEP_2) | instskip(NEXT) | instid1(VALU_DEP_2)
	v_fmac_f32_e32 v165, v2, v9
	v_dual_mul_f32 v2, v2, v10 :: v_dual_fmac_f32 v167, v4, v11
	s_delay_alu instid0(VALU_DEP_1) | instskip(SKIP_1) | instid1(VALU_DEP_1)
	v_fma_f32 v166, v1, v9, -v2
	v_mul_f32_e32 v1, v4, v12
	;; [unrolled: 25-line block ×6, first 2 shown]
	v_fma_f32 v200, v3, v11, -v1
	s_clause 0x1
	scratch_load_b128 v[1:4], off, off offset:336
	scratch_load_b128 v[9:12], off, off offset:352
	s_wait_loadcnt_dscnt 0x100
	v_mul_f32_e32 v201, v5, v2
	v_mul_f32_e32 v2, v6, v2
	s_delay_alu instid0(VALU_DEP_2) | instskip(NEXT) | instid1(VALU_DEP_2)
	v_fmac_f32_e32 v201, v6, v1
	v_fma_f32 v202, v5, v1, -v2
	v_dual_add_f32 v2, 0, v26 :: v_dual_mul_f32 v1, v8, v4
	s_delay_alu instid0(VALU_DEP_1) | instskip(NEXT) | instid1(VALU_DEP_2)
	v_add_f32_e32 v2, v2, v146
	v_fma_f32 v204, v7, v3, -v1
	s_delay_alu instid0(VALU_DEP_2) | instskip(NEXT) | instid1(VALU_DEP_1)
	v_dual_add_f32 v1, 0, v21 :: v_dual_add_f32 v2, v2, v23
	v_dual_add_f32 v1, v1, v22 :: v_dual_add_f32 v2, v2, v24
	s_delay_alu instid0(VALU_DEP_1) | instskip(NEXT) | instid1(VALU_DEP_1)
	v_add_f32_e32 v2, v2, v147
	v_add_f32_e32 v2, v2, v148
	s_delay_alu instid0(VALU_DEP_1) | instskip(NEXT) | instid1(VALU_DEP_1)
	v_add_f32_e32 v2, v2, v140
	v_add_f32_e32 v2, v2, v141
	;; [unrolled: 3-line block ×4, first 2 shown]
	s_delay_alu instid0(VALU_DEP_1) | instskip(NEXT) | instid1(VALU_DEP_1)
	v_dual_add_f32 v1, v1, v28 :: v_dual_add_f32 v2, v2, v149
	v_dual_add_f32 v1, v1, v29 :: v_dual_add_f32 v2, v2, v150
	s_delay_alu instid0(VALU_DEP_1) | instskip(NEXT) | instid1(VALU_DEP_1)
	v_dual_add_f32 v1, v1, v30 :: v_dual_add_f32 v2, v2, v153
	v_add_f32_e32 v1, v1, v31
	s_delay_alu instid0(VALU_DEP_1) | instskip(NEXT) | instid1(VALU_DEP_1)
	v_dual_add_f32 v2, v2, v155 :: v_dual_add_f32 v1, v1, v13
	v_dual_add_f32 v2, v2, v157 :: v_dual_add_f32 v1, v1, v14
	s_delay_alu instid0(VALU_DEP_1) | instskip(NEXT) | instid1(VALU_DEP_1)
	v_add_f32_e32 v2, v2, v159
	v_add_f32_e32 v2, v2, v161
	s_delay_alu instid0(VALU_DEP_1) | instskip(NEXT) | instid1(VALU_DEP_1)
	v_add_f32_e32 v2, v2, v163
	v_add_f32_e32 v2, v2, v165
	s_delay_alu instid0(VALU_DEP_1) | instskip(NEXT) | instid1(VALU_DEP_1)
	v_add_f32_e32 v2, v2, v167
	v_dual_add_f32 v2, v2, v169 :: v_dual_add_f32 v1, v1, v16
	s_delay_alu instid0(VALU_DEP_1) | instskip(NEXT) | instid1(VALU_DEP_1)
	v_dual_add_f32 v2, v2, v171 :: v_dual_add_f32 v1, v1, v17
	v_add_f32_e32 v1, v1, v142
	s_delay_alu instid0(VALU_DEP_1) | instskip(NEXT) | instid1(VALU_DEP_1)
	v_add_f32_e32 v1, v1, v143
	v_add_f32_e32 v1, v1, v151
	s_delay_alu instid0(VALU_DEP_1) | instskip(NEXT) | instid1(VALU_DEP_1)
	v_add_f32_e32 v1, v1, v152
	;; [unrolled: 3-line block ×8, first 2 shown]
	v_add_f32_e32 v6, v1, v178
	v_add_f32_e32 v2, v2, v173
	s_delay_alu instid0(VALU_DEP_2) | instskip(NEXT) | instid1(VALU_DEP_1)
	v_add_f32_e32 v14, v6, v180
	v_dual_mul_f32 v203, v7, v4 :: v_dual_add_f32 v14, v14, v182
	s_delay_alu instid0(VALU_DEP_1) | instskip(NEXT) | instid1(VALU_DEP_2)
	v_fmac_f32_e32 v203, v8, v3
	v_add_f32_e32 v17, v14, v184
	s_delay_alu instid0(VALU_DEP_1) | instskip(NEXT) | instid1(VALU_DEP_1)
	v_add_f32_e32 v17, v17, v186
	v_add_f32_e32 v17, v17, v188
	s_delay_alu instid0(VALU_DEP_1) | instskip(NEXT) | instid1(VALU_DEP_1)
	v_add_f32_e32 v17, v17, v190
	v_dual_add_f32 v22, v17, v192 :: v_dual_add_f32 v5, v2, v175
	ds_load_b128 v[1:4], v25 offset:784
	v_dual_add_f32 v22, v22, v194 :: v_dual_add_f32 v13, v5, v177
	scratch_load_b128 v[5:8], off, off offset:368
	v_dual_add_f32 v22, v22, v196 :: v_dual_add_f32 v13, v13, v179
	s_delay_alu instid0(VALU_DEP_1) | instskip(NEXT) | instid1(VALU_DEP_1)
	v_add_f32_e32 v13, v13, v181
	v_add_f32_e32 v18, v13, v183
	ds_load_b128 v[13:16], v25 offset:800
	s_wait_loadcnt_dscnt 0x101
	v_mul_f32_e32 v28, v3, v12
	v_mul_f32_e32 v26, v1, v10
	;; [unrolled: 1-line block ×3, first 2 shown]
	v_add_f32_e32 v18, v18, v185
	v_mul_f32_e32 v12, v4, v12
	v_fmac_f32_e32 v28, v4, v11
	v_fmac_f32_e32 v26, v2, v9
	v_fma_f32 v29, v1, v9, -v10
	v_add_f32_e32 v18, v18, v187
	v_fma_f32 v30, v3, v11, -v12
	s_clause 0x1
	scratch_load_b128 v[1:4], off, off offset:384
	scratch_load_b128 v[9:12], off, off offset:400
	v_add_f32_e32 v21, v18, v189
	scratch_load_b128 v[17:20], off, off offset:416
	v_add_f32_e32 v21, v21, v191
	s_delay_alu instid0(VALU_DEP_1)
	v_add_f32_e32 v21, v21, v193
	s_wait_loadcnt_dscnt 0x300
	v_mul_f32_e32 v31, v13, v6
	v_mul_f32_e32 v6, v14, v6
	;; [unrolled: 1-line block ×4, first 2 shown]
	s_delay_alu instid0(VALU_DEP_3) | instskip(SKIP_1) | instid1(VALU_DEP_4)
	v_fma_f32 v141, v13, v5, -v6
	v_add_f32_e32 v13, v21, v195
	v_dual_add_f32 v21, v22, v198 :: v_dual_fmac_f32 v140, v16, v7
	s_delay_alu instid0(VALU_DEP_4) | instskip(NEXT) | instid1(VALU_DEP_3)
	v_fma_f32 v142, v15, v7, -v8
	v_add_f32_e32 v22, v13, v197
	s_delay_alu instid0(VALU_DEP_1)
	v_dual_add_f32 v143, v21, v200 :: v_dual_add_f32 v146, v22, v199
	ds_load_b128 v[21:24], v25 offset:848
	v_fmac_f32_e32 v31, v14, v5
	ds_load_b128 v[5:8], v25 offset:816
	ds_load_b128 v[13:16], v25 offset:832
	v_add_f32_e32 v25, v143, v202
	v_add_f32_e32 v143, v146, v201
	s_delay_alu instid0(VALU_DEP_2) | instskip(NEXT) | instid1(VALU_DEP_2)
	v_add_f32_e32 v25, v25, v204
	v_add_f32_e32 v143, v143, v203
	s_delay_alu instid0(VALU_DEP_1) | instskip(NEXT) | instid1(VALU_DEP_1)
	v_dual_add_f32 v25, v25, v29 :: v_dual_add_f32 v26, v143, v26
	v_dual_add_f32 v25, v25, v30 :: v_dual_add_f32 v26, v26, v28
	s_wait_loadcnt_dscnt 0x2
	v_mul_f32_e32 v28, v21, v18
	s_wait_dscnt 0x1
	v_mul_f32_e32 v146, v5, v2
	v_dual_mul_f32 v2, v6, v2 :: v_dual_add_f32 v25, v25, v141
	v_dual_add_f32 v26, v26, v31 :: v_dual_mul_f32 v29, v7, v4
	v_mul_f32_e32 v4, v8, v4
	s_delay_alu instid0(VALU_DEP_3) | instskip(NEXT) | instid1(VALU_DEP_4)
	v_fma_f32 v2, v5, v1, -v2
	v_dual_fmac_f32 v146, v6, v1 :: v_dual_add_f32 v1, v25, v142
	s_delay_alu instid0(VALU_DEP_4)
	v_add_f32_e32 v5, v26, v140
	s_wait_dscnt 0x0
	v_mul_f32_e32 v143, v13, v10
	v_dual_mul_f32 v6, v14, v10 :: v_dual_fmac_f32 v29, v8, v3
	v_fma_f32 v3, v7, v3, -v4
	v_add_f32_e32 v1, v1, v2
	v_dual_add_f32 v2, v5, v146 :: v_dual_mul_f32 v147, v15, v12
	v_dual_mul_f32 v4, v16, v12 :: v_dual_fmac_f32 v143, v14, v9
	v_fma_f32 v5, v13, v9, -v6
	s_delay_alu instid0(VALU_DEP_3) | instskip(SKIP_3) | instid1(VALU_DEP_4)
	v_dual_add_f32 v1, v1, v3 :: v_dual_add_f32 v2, v2, v29
	v_mul_f32_e32 v3, v22, v18
	v_fmac_f32_e32 v147, v16, v11
	v_fma_f32 v4, v15, v11, -v4
	v_dual_add_f32 v1, v1, v5 :: v_dual_add_f32 v2, v2, v143
	v_mul_f32_e32 v30, v23, v20
	v_dual_mul_f32 v5, v24, v20 :: v_dual_fmac_f32 v28, v22, v17
	v_fma_f32 v3, v21, v17, -v3
	s_delay_alu instid0(VALU_DEP_4) | instskip(NEXT) | instid1(VALU_DEP_4)
	v_dual_add_f32 v1, v1, v4 :: v_dual_add_f32 v2, v2, v147
	v_fmac_f32_e32 v30, v24, v19
	s_delay_alu instid0(VALU_DEP_4) | instskip(NEXT) | instid1(VALU_DEP_3)
	v_fma_f32 v4, v23, v19, -v5
	v_dual_add_f32 v1, v1, v3 :: v_dual_add_f32 v2, v2, v28
	s_delay_alu instid0(VALU_DEP_1) | instskip(NEXT) | instid1(VALU_DEP_1)
	v_dual_add_f32 v1, v1, v4 :: v_dual_add_f32 v2, v2, v30
	v_dual_sub_f32 v1, v144, v1 :: v_dual_sub_f32 v2, v145, v2
	scratch_store_b64 off, v[1:2], off offset:24
	v_cmpx_lt_u32_e32 2, v0
	s_cbranch_execz .LBB53_333
; %bb.332:
	scratch_load_b64 v[1:2], off, off offset:16
	v_mov_b32_e32 v3, 0
	s_delay_alu instid0(VALU_DEP_1)
	v_mov_b32_e32 v4, v3
	scratch_store_b64 off, v[3:4], off offset:16
	s_wait_loadcnt 0x0
	ds_store_b64 v27, v[1:2]
.LBB53_333:
	s_wait_alu 0xfffe
	s_or_b32 exec_lo, exec_lo, s0
	s_wait_storecnt_dscnt 0x0
	s_barrier_signal -1
	s_barrier_wait -1
	global_inv scope:SCOPE_SE
	s_clause 0x4
	scratch_load_b128 v[5:8], off, off offset:24
	scratch_load_b128 v[1:4], off, off offset:40
	;; [unrolled: 1-line block ×5, first 2 shown]
	v_mov_b32_e32 v25, 0
	ds_load_2addr_b64 v[21:24], v25 offset0:57 offset1:58
	ds_load_2addr_b64 v[28:31], v25 offset0:59 offset1:60
	;; [unrolled: 1-line block ×3, first 2 shown]
	scratch_load_b64 v[144:145], off, off offset:16
	s_mov_b32 s0, exec_lo
	s_wait_loadcnt_dscnt 0x502
	v_mul_f32_e32 v26, v21, v6
	s_wait_loadcnt_dscnt 0x300
	v_dual_mul_f32 v146, v23, v8 :: v_dual_mul_f32 v147, v140, v10
	v_mul_f32_e32 v8, v24, v8
	v_mul_f32_e32 v6, v22, v6
	v_fmac_f32_e32 v26, v22, v5
	v_mul_f32_e32 v10, v141, v10
	v_fmac_f32_e32 v147, v141, v9
	v_fma_f32 v22, v23, v7, -v8
	v_mul_f32_e32 v23, v28, v2
	v_fmac_f32_e32 v146, v24, v7
	v_mul_f32_e32 v148, v142, v12
	v_mul_f32_e32 v12, v143, v12
	;; [unrolled: 1-line block ×3, first 2 shown]
	v_fmac_f32_e32 v23, v29, v1
	v_fma_f32 v21, v21, v5, -v6
	ds_load_2addr_b64 v[5:8], v25 offset0:63 offset1:64
	v_mul_f32_e32 v24, v30, v4
	v_mul_f32_e32 v4, v31, v4
	v_fmac_f32_e32 v148, v143, v11
	s_delay_alu instid0(VALU_DEP_3) | instskip(NEXT) | instid1(VALU_DEP_3)
	v_fmac_f32_e32 v24, v31, v3
	v_fma_f32 v29, v30, v3, -v4
	v_fma_f32 v30, v140, v9, -v10
	;; [unrolled: 1-line block ×3, first 2 shown]
	ds_load_2addr_b64 v[9:12], v25 offset0:65 offset1:66
	s_wait_loadcnt_dscnt 0x201
	v_mul_f32_e32 v140, v5, v14
	v_dual_mul_f32 v14, v6, v14 :: v_dual_mul_f32 v141, v7, v16
	v_mul_f32_e32 v16, v8, v16
	s_delay_alu instid0(VALU_DEP_3) | instskip(NEXT) | instid1(VALU_DEP_3)
	v_fmac_f32_e32 v140, v6, v13
	v_fma_f32 v13, v5, v13, -v14
	s_delay_alu instid0(VALU_DEP_4) | instskip(NEXT) | instid1(VALU_DEP_4)
	v_fmac_f32_e32 v141, v8, v15
	v_fma_f32 v14, v7, v15, -v16
	ds_load_2addr_b64 v[5:8], v25 offset0:67 offset1:68
	s_wait_loadcnt_dscnt 0x101
	v_mul_f32_e32 v15, v9, v18
	v_mul_f32_e32 v16, v10, v18
	;; [unrolled: 1-line block ×3, first 2 shown]
	s_delay_alu instid0(VALU_DEP_3)
	v_dual_mul_f32 v20, v12, v20 :: v_dual_fmac_f32 v15, v10, v17
	v_fma_f32 v28, v28, v1, -v2
	scratch_load_b128 v[1:4], off, off offset:104
	v_fma_f32 v16, v9, v17, -v16
	v_fmac_f32_e32 v18, v12, v19
	v_fma_f32 v17, v11, v19, -v20
	scratch_load_b128 v[9:12], off, off offset:120
	s_wait_loadcnt_dscnt 0x100
	v_mul_f32_e32 v19, v5, v2
	v_mul_f32_e32 v2, v6, v2
	v_mul_f32_e32 v20, v7, v4
	s_delay_alu instid0(VALU_DEP_3) | instskip(NEXT) | instid1(VALU_DEP_3)
	v_dual_mul_f32 v4, v8, v4 :: v_dual_fmac_f32 v19, v6, v1
	v_fma_f32 v142, v5, v1, -v2
	s_delay_alu instid0(VALU_DEP_3) | instskip(NEXT) | instid1(VALU_DEP_3)
	v_fmac_f32_e32 v20, v8, v3
	v_fma_f32 v143, v7, v3, -v4
	ds_load_2addr_b64 v[1:4], v25 offset0:69 offset1:70
	ds_load_2addr_b64 v[5:8], v25 offset0:71 offset1:72
	s_wait_loadcnt_dscnt 0x1
	v_mul_f32_e32 v149, v1, v10
	v_mul_f32_e32 v10, v2, v10
	s_delay_alu instid0(VALU_DEP_2) | instskip(NEXT) | instid1(VALU_DEP_2)
	v_dual_mul_f32 v150, v3, v12 :: v_dual_fmac_f32 v149, v2, v9
	v_fma_f32 v151, v1, v9, -v10
	v_mul_f32_e32 v1, v4, v12
	s_delay_alu instid0(VALU_DEP_3) | instskip(NEXT) | instid1(VALU_DEP_2)
	v_fmac_f32_e32 v150, v4, v11
	v_fma_f32 v152, v3, v11, -v1
	s_clause 0x1
	scratch_load_b128 v[1:4], off, off offset:136
	scratch_load_b128 v[9:12], off, off offset:152
	s_wait_loadcnt_dscnt 0x100
	v_mul_f32_e32 v153, v5, v2
	v_dual_mul_f32 v2, v6, v2 :: v_dual_mul_f32 v155, v7, v4
	s_delay_alu instid0(VALU_DEP_2) | instskip(NEXT) | instid1(VALU_DEP_2)
	v_fmac_f32_e32 v153, v6, v1
	v_fma_f32 v154, v5, v1, -v2
	v_mul_f32_e32 v1, v8, v4
	s_delay_alu instid0(VALU_DEP_4) | instskip(NEXT) | instid1(VALU_DEP_2)
	v_fmac_f32_e32 v155, v8, v3
	v_fma_f32 v156, v7, v3, -v1
	ds_load_2addr_b64 v[1:4], v25 offset0:73 offset1:74
	ds_load_2addr_b64 v[5:8], v25 offset0:75 offset1:76
	s_wait_loadcnt_dscnt 0x1
	v_mul_f32_e32 v157, v1, v10
	v_mul_f32_e32 v159, v3, v12
	s_delay_alu instid0(VALU_DEP_2) | instskip(NEXT) | instid1(VALU_DEP_2)
	v_fmac_f32_e32 v157, v2, v9
	v_dual_mul_f32 v2, v2, v10 :: v_dual_fmac_f32 v159, v4, v11
	s_delay_alu instid0(VALU_DEP_1) | instskip(SKIP_1) | instid1(VALU_DEP_1)
	v_fma_f32 v158, v1, v9, -v2
	v_mul_f32_e32 v1, v4, v12
	v_fma_f32 v160, v3, v11, -v1
	s_clause 0x1
	scratch_load_b128 v[1:4], off, off offset:168
	scratch_load_b128 v[9:12], off, off offset:184
	s_wait_loadcnt_dscnt 0x100
	v_mul_f32_e32 v161, v5, v2
	v_dual_mul_f32 v2, v6, v2 :: v_dual_mul_f32 v163, v7, v4
	s_delay_alu instid0(VALU_DEP_2) | instskip(NEXT) | instid1(VALU_DEP_2)
	v_fmac_f32_e32 v161, v6, v1
	v_fma_f32 v162, v5, v1, -v2
	v_mul_f32_e32 v1, v8, v4
	s_delay_alu instid0(VALU_DEP_4) | instskip(NEXT) | instid1(VALU_DEP_2)
	v_fmac_f32_e32 v163, v8, v3
	v_fma_f32 v164, v7, v3, -v1
	ds_load_2addr_b64 v[1:4], v25 offset0:77 offset1:78
	ds_load_2addr_b64 v[5:8], v25 offset0:79 offset1:80
	s_wait_loadcnt_dscnt 0x1
	v_mul_f32_e32 v165, v1, v10
	v_mul_f32_e32 v167, v3, v12
	s_delay_alu instid0(VALU_DEP_2) | instskip(NEXT) | instid1(VALU_DEP_2)
	v_fmac_f32_e32 v165, v2, v9
	v_dual_mul_f32 v2, v2, v10 :: v_dual_fmac_f32 v167, v4, v11
	s_delay_alu instid0(VALU_DEP_1) | instskip(SKIP_1) | instid1(VALU_DEP_1)
	v_fma_f32 v166, v1, v9, -v2
	v_mul_f32_e32 v1, v4, v12
	;; [unrolled: 25-line block ×6, first 2 shown]
	v_fma_f32 v200, v3, v11, -v1
	s_clause 0x1
	scratch_load_b128 v[1:4], off, off offset:328
	scratch_load_b128 v[9:12], off, off offset:344
	s_wait_loadcnt_dscnt 0x100
	v_mul_f32_e32 v201, v5, v2
	v_mul_f32_e32 v2, v6, v2
	s_delay_alu instid0(VALU_DEP_2) | instskip(NEXT) | instid1(VALU_DEP_2)
	v_fmac_f32_e32 v201, v6, v1
	v_fma_f32 v202, v5, v1, -v2
	v_dual_add_f32 v2, 0, v26 :: v_dual_mul_f32 v1, v8, v4
	s_delay_alu instid0(VALU_DEP_1) | instskip(NEXT) | instid1(VALU_DEP_2)
	v_add_f32_e32 v2, v2, v146
	v_fma_f32 v204, v7, v3, -v1
	s_delay_alu instid0(VALU_DEP_2) | instskip(NEXT) | instid1(VALU_DEP_1)
	v_dual_add_f32 v1, 0, v21 :: v_dual_add_f32 v2, v2, v23
	v_dual_add_f32 v1, v1, v22 :: v_dual_add_f32 v2, v2, v24
	s_delay_alu instid0(VALU_DEP_1) | instskip(NEXT) | instid1(VALU_DEP_1)
	v_add_f32_e32 v2, v2, v147
	v_add_f32_e32 v2, v2, v148
	s_delay_alu instid0(VALU_DEP_1) | instskip(NEXT) | instid1(VALU_DEP_1)
	v_add_f32_e32 v2, v2, v140
	v_add_f32_e32 v2, v2, v141
	;; [unrolled: 3-line block ×4, first 2 shown]
	s_delay_alu instid0(VALU_DEP_1) | instskip(NEXT) | instid1(VALU_DEP_1)
	v_dual_add_f32 v1, v1, v28 :: v_dual_add_f32 v2, v2, v149
	v_add_f32_e32 v1, v1, v29
	scratch_load_b64 v[28:29], off, off offset:424
	v_add_f32_e32 v2, v2, v150
	s_delay_alu instid0(VALU_DEP_1) | instskip(NEXT) | instid1(VALU_DEP_1)
	v_dual_add_f32 v1, v1, v30 :: v_dual_add_f32 v2, v2, v153
	v_add_f32_e32 v1, v1, v31
	s_delay_alu instid0(VALU_DEP_1) | instskip(NEXT) | instid1(VALU_DEP_1)
	v_dual_add_f32 v2, v2, v155 :: v_dual_add_f32 v1, v1, v13
	v_dual_add_f32 v2, v2, v157 :: v_dual_add_f32 v1, v1, v14
	s_delay_alu instid0(VALU_DEP_1) | instskip(NEXT) | instid1(VALU_DEP_1)
	v_dual_add_f32 v2, v2, v159 :: v_dual_add_f32 v1, v1, v16
	v_add_f32_e32 v2, v2, v161
	s_delay_alu instid0(VALU_DEP_1) | instskip(NEXT) | instid1(VALU_DEP_1)
	v_dual_add_f32 v1, v1, v17 :: v_dual_add_f32 v2, v2, v163
	v_dual_add_f32 v1, v1, v142 :: v_dual_add_f32 v2, v2, v165
	s_delay_alu instid0(VALU_DEP_1) | instskip(NEXT) | instid1(VALU_DEP_2)
	v_add_f32_e32 v1, v1, v143
	v_add_f32_e32 v2, v2, v167
	s_delay_alu instid0(VALU_DEP_2) | instskip(NEXT) | instid1(VALU_DEP_1)
	v_add_f32_e32 v1, v1, v151
	v_add_f32_e32 v1, v1, v152
	s_delay_alu instid0(VALU_DEP_1) | instskip(NEXT) | instid1(VALU_DEP_1)
	v_add_f32_e32 v1, v1, v154
	v_add_f32_e32 v1, v1, v156
	s_delay_alu instid0(VALU_DEP_1) | instskip(NEXT) | instid1(VALU_DEP_1)
	;; [unrolled: 3-line block ×6, first 2 shown]
	v_add_f32_e32 v1, v1, v174
	v_add_f32_e32 v1, v1, v176
	s_delay_alu instid0(VALU_DEP_1) | instskip(SKIP_1) | instid1(VALU_DEP_2)
	v_add_f32_e32 v6, v1, v178
	v_add_f32_e32 v2, v2, v169
	;; [unrolled: 1-line block ×3, first 2 shown]
	s_delay_alu instid0(VALU_DEP_2) | instskip(NEXT) | instid1(VALU_DEP_2)
	v_dual_add_f32 v2, v2, v171 :: v_dual_mul_f32 v203, v7, v4
	v_add_f32_e32 v14, v14, v182
	s_delay_alu instid0(VALU_DEP_2) | instskip(NEXT) | instid1(VALU_DEP_2)
	v_dual_add_f32 v2, v2, v173 :: v_dual_fmac_f32 v203, v8, v3
	v_add_f32_e32 v17, v14, v184
	s_delay_alu instid0(VALU_DEP_2)
	v_add_f32_e32 v5, v2, v175
	scratch_load_b128 v[1:4], off, off offset:360
	v_add_f32_e32 v17, v17, v186
	v_add_f32_e32 v13, v5, v177
	ds_load_2addr_b64 v[5:8], v25 offset0:97 offset1:98
	v_add_f32_e32 v17, v17, v188
	v_add_f32_e32 v13, v13, v179
	s_delay_alu instid0(VALU_DEP_2) | instskip(NEXT) | instid1(VALU_DEP_2)
	v_add_f32_e32 v17, v17, v190
	v_add_f32_e32 v13, v13, v181
	s_delay_alu instid0(VALU_DEP_2) | instskip(NEXT) | instid1(VALU_DEP_2)
	v_add_f32_e32 v22, v17, v192
	v_add_f32_e32 v18, v13, v183
	ds_load_2addr_b64 v[13:16], v25 offset0:99 offset1:100
	v_add_f32_e32 v22, v22, v194
	s_wait_loadcnt_dscnt 0x201
	v_mul_f32_e32 v26, v5, v10
	v_mul_f32_e32 v10, v6, v10
	v_mul_f32_e32 v140, v7, v12
	v_mul_f32_e32 v12, v8, v12
	v_add_f32_e32 v18, v18, v185
	v_fmac_f32_e32 v26, v6, v9
	v_fma_f32 v141, v5, v9, -v10
	v_fmac_f32_e32 v140, v8, v11
	v_fma_f32 v142, v7, v11, -v12
	s_clause 0x1
	scratch_load_b128 v[5:8], off, off offset:376
	scratch_load_b128 v[9:12], off, off offset:392
	v_add_f32_e32 v18, v18, v187
	v_add_f32_e32 v22, v22, v196
	s_delay_alu instid0(VALU_DEP_2) | instskip(SKIP_2) | instid1(VALU_DEP_1)
	v_add_f32_e32 v21, v18, v189
	scratch_load_b128 v[17:20], off, off offset:408
	v_dual_add_f32 v22, v22, v198 :: v_dual_add_f32 v21, v21, v191
	v_add_f32_e32 v21, v21, v193
	s_delay_alu instid0(VALU_DEP_1) | instskip(SKIP_4) | instid1(VALU_DEP_3)
	v_add_f32_e32 v21, v21, v195
	s_wait_loadcnt_dscnt 0x300
	v_mul_f32_e32 v143, v13, v2
	v_mul_f32_e32 v2, v14, v2
	;; [unrolled: 1-line block ×3, first 2 shown]
	v_dual_mul_f32 v4, v16, v4 :: v_dual_fmac_f32 v143, v14, v1
	s_delay_alu instid0(VALU_DEP_3) | instskip(SKIP_1) | instid1(VALU_DEP_4)
	v_fma_f32 v147, v13, v1, -v2
	v_dual_add_f32 v13, v21, v197 :: v_dual_add_f32 v14, v22, v200
	v_fmac_f32_e32 v146, v16, v3
	s_delay_alu instid0(VALU_DEP_4)
	v_fma_f32 v148, v15, v3, -v4
	ds_load_2addr_b64 v[1:4], v25 offset0:101 offset1:102
	v_dual_add_f32 v21, v13, v199 :: v_dual_add_f32 v30, v14, v202
	ds_load_2addr_b64 v[13:16], v25 offset0:103 offset1:104
	v_add_f32_e32 v31, v21, v201
	v_add_f32_e32 v149, v30, v204
	ds_load_2addr_b64 v[21:24], v25 offset0:105 offset1:106
	v_dual_add_f32 v150, v31, v203 :: v_dual_add_f32 v141, v149, v141
	ds_load_b64 v[30:31], v25 offset:856
	v_add_f32_e32 v26, v150, v26
	s_delay_alu instid0(VALU_DEP_1) | instskip(NEXT) | instid1(VALU_DEP_1)
	v_dual_add_f32 v141, v141, v142 :: v_dual_add_f32 v26, v26, v140
	v_add_f32_e32 v141, v141, v147
	s_wait_loadcnt_dscnt 0x203
	v_mul_f32_e32 v149, v1, v6
	v_mul_f32_e32 v6, v2, v6
	v_mul_f32_e32 v140, v3, v8
	v_add_f32_e32 v26, v26, v143
	v_mul_f32_e32 v8, v4, v8
	v_add_f32_e32 v141, v141, v148
	v_fma_f32 v1, v1, v5, -v6
	v_fmac_f32_e32 v149, v2, v5
	v_add_f32_e32 v26, v26, v146
	s_wait_loadcnt_dscnt 0x102
	v_mul_f32_e32 v142, v13, v10
	v_fmac_f32_e32 v140, v4, v7
	v_fma_f32 v2, v3, v7, -v8
	v_mul_f32_e32 v3, v14, v10
	v_add_f32_e32 v1, v141, v1
	v_dual_add_f32 v4, v26, v149 :: v_dual_mul_f32 v143, v15, v12
	v_dual_mul_f32 v5, v16, v12 :: v_dual_fmac_f32 v142, v14, v9
	s_delay_alu instid0(VALU_DEP_4) | instskip(NEXT) | instid1(VALU_DEP_3)
	v_fma_f32 v3, v13, v9, -v3
	v_dual_add_f32 v1, v1, v2 :: v_dual_add_f32 v2, v4, v140
	s_wait_loadcnt_dscnt 0x1
	v_mul_f32_e32 v147, v21, v18
	v_dual_mul_f32 v4, v22, v18 :: v_dual_fmac_f32 v143, v16, v11
	v_fma_f32 v5, v15, v11, -v5
	v_dual_add_f32 v1, v1, v3 :: v_dual_add_f32 v2, v2, v142
	v_mul_f32_e32 v148, v23, v20
	v_mul_f32_e32 v3, v24, v20
	v_fmac_f32_e32 v147, v22, v17
	v_fma_f32 v4, v21, v17, -v4
	v_dual_add_f32 v1, v1, v5 :: v_dual_add_f32 v2, v2, v143
	s_wait_dscnt 0x0
	v_mul_f32_e32 v146, v30, v29
	v_dual_mul_f32 v5, v31, v29 :: v_dual_fmac_f32 v148, v24, v19
	v_fma_f32 v3, v23, v19, -v3
	v_dual_add_f32 v1, v1, v4 :: v_dual_add_f32 v2, v2, v147
	s_delay_alu instid0(VALU_DEP_4) | instskip(NEXT) | instid1(VALU_DEP_4)
	v_fmac_f32_e32 v146, v31, v28
	v_fma_f32 v4, v30, v28, -v5
	s_delay_alu instid0(VALU_DEP_3) | instskip(NEXT) | instid1(VALU_DEP_1)
	v_dual_add_f32 v1, v1, v3 :: v_dual_add_f32 v2, v2, v148
	v_dual_add_f32 v1, v1, v4 :: v_dual_add_f32 v2, v2, v146
	s_delay_alu instid0(VALU_DEP_1)
	v_dual_sub_f32 v1, v144, v1 :: v_dual_sub_f32 v2, v145, v2
	scratch_store_b64 off, v[1:2], off offset:16
	v_cmpx_lt_u32_e32 1, v0
	s_cbranch_execz .LBB53_335
; %bb.334:
	scratch_load_b64 v[1:2], off, off offset:8
	v_mov_b32_e32 v26, v25
	scratch_store_b64 off, v[25:26], off offset:8
	s_wait_loadcnt 0x0
	ds_store_b64 v27, v[1:2]
.LBB53_335:
	s_wait_alu 0xfffe
	s_or_b32 exec_lo, exec_lo, s0
	s_wait_storecnt_dscnt 0x0
	s_barrier_signal -1
	s_barrier_wait -1
	global_inv scope:SCOPE_SE
	s_clause 0x4
	scratch_load_b128 v[5:8], off, off offset:16
	scratch_load_b128 v[1:4], off, off offset:32
	;; [unrolled: 1-line block ×5, first 2 shown]
	ds_load_b128 v[21:24], v25 offset:448
	ds_load_b128 v[28:31], v25 offset:464
	;; [unrolled: 1-line block ×3, first 2 shown]
	scratch_load_b64 v[144:145], off, off offset:8
	s_mov_b32 s0, exec_lo
	s_wait_loadcnt_dscnt 0x502
	v_mul_f32_e32 v26, v21, v6
	s_wait_loadcnt_dscnt 0x300
	v_dual_mul_f32 v146, v23, v8 :: v_dual_mul_f32 v147, v140, v10
	v_mul_f32_e32 v8, v24, v8
	v_mul_f32_e32 v6, v22, v6
	v_fmac_f32_e32 v26, v22, v5
	v_mul_f32_e32 v10, v141, v10
	v_fmac_f32_e32 v147, v141, v9
	v_fma_f32 v22, v23, v7, -v8
	v_mul_f32_e32 v23, v28, v2
	v_fmac_f32_e32 v146, v24, v7
	v_mul_f32_e32 v148, v142, v12
	v_mul_f32_e32 v12, v143, v12
	;; [unrolled: 1-line block ×3, first 2 shown]
	v_fmac_f32_e32 v23, v29, v1
	v_fma_f32 v21, v21, v5, -v6
	ds_load_b128 v[5:8], v25 offset:496
	v_mul_f32_e32 v24, v30, v4
	v_mul_f32_e32 v4, v31, v4
	v_fmac_f32_e32 v148, v143, v11
	s_delay_alu instid0(VALU_DEP_3) | instskip(NEXT) | instid1(VALU_DEP_3)
	v_fmac_f32_e32 v24, v31, v3
	v_fma_f32 v29, v30, v3, -v4
	v_fma_f32 v30, v140, v9, -v10
	v_fma_f32 v31, v142, v11, -v12
	ds_load_b128 v[9:12], v25 offset:512
	s_wait_loadcnt_dscnt 0x201
	v_mul_f32_e32 v140, v5, v14
	v_dual_mul_f32 v14, v6, v14 :: v_dual_mul_f32 v141, v7, v16
	v_mul_f32_e32 v16, v8, v16
	s_delay_alu instid0(VALU_DEP_3) | instskip(NEXT) | instid1(VALU_DEP_3)
	v_fmac_f32_e32 v140, v6, v13
	v_fma_f32 v13, v5, v13, -v14
	s_delay_alu instid0(VALU_DEP_4) | instskip(NEXT) | instid1(VALU_DEP_4)
	v_fmac_f32_e32 v141, v8, v15
	v_fma_f32 v14, v7, v15, -v16
	ds_load_b128 v[5:8], v25 offset:528
	s_wait_loadcnt_dscnt 0x101
	v_mul_f32_e32 v15, v9, v18
	v_mul_f32_e32 v16, v10, v18
	;; [unrolled: 1-line block ×3, first 2 shown]
	s_delay_alu instid0(VALU_DEP_3)
	v_dual_mul_f32 v20, v12, v20 :: v_dual_fmac_f32 v15, v10, v17
	v_fma_f32 v28, v28, v1, -v2
	scratch_load_b128 v[1:4], off, off offset:96
	v_fma_f32 v16, v9, v17, -v16
	v_fmac_f32_e32 v18, v12, v19
	v_fma_f32 v17, v11, v19, -v20
	scratch_load_b128 v[9:12], off, off offset:112
	s_wait_loadcnt_dscnt 0x100
	v_mul_f32_e32 v19, v5, v2
	v_mul_f32_e32 v2, v6, v2
	;; [unrolled: 1-line block ×3, first 2 shown]
	s_delay_alu instid0(VALU_DEP_3) | instskip(NEXT) | instid1(VALU_DEP_3)
	v_dual_mul_f32 v4, v8, v4 :: v_dual_fmac_f32 v19, v6, v1
	v_fma_f32 v142, v5, v1, -v2
	s_delay_alu instid0(VALU_DEP_3) | instskip(NEXT) | instid1(VALU_DEP_3)
	v_fmac_f32_e32 v20, v8, v3
	v_fma_f32 v143, v7, v3, -v4
	ds_load_b128 v[1:4], v25 offset:544
	ds_load_b128 v[5:8], v25 offset:560
	s_wait_loadcnt_dscnt 0x1
	v_mul_f32_e32 v149, v1, v10
	v_mul_f32_e32 v10, v2, v10
	s_delay_alu instid0(VALU_DEP_2) | instskip(NEXT) | instid1(VALU_DEP_2)
	v_dual_mul_f32 v150, v3, v12 :: v_dual_fmac_f32 v149, v2, v9
	v_fma_f32 v151, v1, v9, -v10
	v_mul_f32_e32 v1, v4, v12
	s_delay_alu instid0(VALU_DEP_3) | instskip(NEXT) | instid1(VALU_DEP_2)
	v_fmac_f32_e32 v150, v4, v11
	v_fma_f32 v152, v3, v11, -v1
	s_clause 0x1
	scratch_load_b128 v[1:4], off, off offset:128
	scratch_load_b128 v[9:12], off, off offset:144
	s_wait_loadcnt_dscnt 0x100
	v_mul_f32_e32 v153, v5, v2
	v_dual_mul_f32 v2, v6, v2 :: v_dual_mul_f32 v155, v7, v4
	s_delay_alu instid0(VALU_DEP_2) | instskip(NEXT) | instid1(VALU_DEP_2)
	v_fmac_f32_e32 v153, v6, v1
	v_fma_f32 v154, v5, v1, -v2
	v_mul_f32_e32 v1, v8, v4
	s_delay_alu instid0(VALU_DEP_4) | instskip(NEXT) | instid1(VALU_DEP_2)
	v_fmac_f32_e32 v155, v8, v3
	v_fma_f32 v156, v7, v3, -v1
	ds_load_b128 v[1:4], v25 offset:576
	ds_load_b128 v[5:8], v25 offset:592
	s_wait_loadcnt_dscnt 0x1
	v_mul_f32_e32 v157, v1, v10
	v_mul_f32_e32 v159, v3, v12
	s_delay_alu instid0(VALU_DEP_2) | instskip(NEXT) | instid1(VALU_DEP_2)
	v_fmac_f32_e32 v157, v2, v9
	v_dual_mul_f32 v2, v2, v10 :: v_dual_fmac_f32 v159, v4, v11
	s_delay_alu instid0(VALU_DEP_1) | instskip(SKIP_1) | instid1(VALU_DEP_1)
	v_fma_f32 v158, v1, v9, -v2
	v_mul_f32_e32 v1, v4, v12
	v_fma_f32 v160, v3, v11, -v1
	s_clause 0x1
	scratch_load_b128 v[1:4], off, off offset:160
	scratch_load_b128 v[9:12], off, off offset:176
	s_wait_loadcnt_dscnt 0x100
	v_mul_f32_e32 v161, v5, v2
	v_dual_mul_f32 v2, v6, v2 :: v_dual_mul_f32 v163, v7, v4
	s_delay_alu instid0(VALU_DEP_2) | instskip(NEXT) | instid1(VALU_DEP_2)
	v_fmac_f32_e32 v161, v6, v1
	v_fma_f32 v162, v5, v1, -v2
	v_mul_f32_e32 v1, v8, v4
	s_delay_alu instid0(VALU_DEP_4) | instskip(NEXT) | instid1(VALU_DEP_2)
	v_fmac_f32_e32 v163, v8, v3
	v_fma_f32 v164, v7, v3, -v1
	ds_load_b128 v[1:4], v25 offset:608
	ds_load_b128 v[5:8], v25 offset:624
	s_wait_loadcnt_dscnt 0x1
	v_mul_f32_e32 v165, v1, v10
	v_mul_f32_e32 v167, v3, v12
	s_delay_alu instid0(VALU_DEP_2) | instskip(NEXT) | instid1(VALU_DEP_2)
	v_fmac_f32_e32 v165, v2, v9
	v_dual_mul_f32 v2, v2, v10 :: v_dual_fmac_f32 v167, v4, v11
	s_delay_alu instid0(VALU_DEP_1) | instskip(SKIP_1) | instid1(VALU_DEP_1)
	v_fma_f32 v166, v1, v9, -v2
	v_mul_f32_e32 v1, v4, v12
	;; [unrolled: 25-line block ×7, first 2 shown]
	v_fma_f32 v208, v3, v11, -v1
	s_clause 0x1
	scratch_load_b128 v[1:4], off, off offset:352
	scratch_load_b128 v[9:12], off, off offset:368
	s_wait_loadcnt_dscnt 0x100
	v_mul_f32_e32 v209, v5, v2
	v_dual_mul_f32 v2, v6, v2 :: v_dual_mul_f32 v211, v7, v4
	s_delay_alu instid0(VALU_DEP_2) | instskip(NEXT) | instid1(VALU_DEP_2)
	v_fmac_f32_e32 v209, v6, v1
	v_fma_f32 v210, v5, v1, -v2
	v_add_f32_e32 v2, 0, v26
	s_delay_alu instid0(VALU_DEP_1) | instskip(NEXT) | instid1(VALU_DEP_1)
	v_add_f32_e32 v2, v2, v146
	v_add_f32_e32 v2, v2, v23
	s_delay_alu instid0(VALU_DEP_1) | instskip(NEXT) | instid1(VALU_DEP_1)
	v_add_f32_e32 v2, v2, v24
	;; [unrolled: 3-line block ×6, first 2 shown]
	v_dual_mul_f32 v1, v8, v4 :: v_dual_add_f32 v2, v2, v149
	s_delay_alu instid0(VALU_DEP_1) | instskip(NEXT) | instid1(VALU_DEP_2)
	v_fma_f32 v212, v7, v3, -v1
	v_dual_add_f32 v1, 0, v21 :: v_dual_add_f32 v2, v2, v150
	s_delay_alu instid0(VALU_DEP_1) | instskip(NEXT) | instid1(VALU_DEP_1)
	v_dual_add_f32 v1, v1, v22 :: v_dual_add_f32 v2, v2, v153
	v_dual_add_f32 v1, v1, v28 :: v_dual_add_f32 v2, v2, v155
	s_delay_alu instid0(VALU_DEP_1) | instskip(NEXT) | instid1(VALU_DEP_1)
	v_add_f32_e32 v1, v1, v29
	v_dual_add_f32 v2, v2, v157 :: v_dual_add_f32 v1, v1, v30
	s_delay_alu instid0(VALU_DEP_1) | instskip(NEXT) | instid1(VALU_DEP_1)
	v_add_f32_e32 v2, v2, v159
	v_dual_add_f32 v1, v1, v31 :: v_dual_add_f32 v2, v2, v161
	s_delay_alu instid0(VALU_DEP_1) | instskip(NEXT) | instid1(VALU_DEP_1)
	v_dual_add_f32 v1, v1, v13 :: v_dual_add_f32 v2, v2, v163
	v_dual_add_f32 v1, v1, v14 :: v_dual_add_f32 v2, v2, v165
	s_delay_alu instid0(VALU_DEP_1) | instskip(NEXT) | instid1(VALU_DEP_1)
	v_dual_add_f32 v1, v1, v16 :: v_dual_add_f32 v2, v2, v167
	v_add_f32_e32 v1, v1, v17
	s_delay_alu instid0(VALU_DEP_1) | instskip(NEXT) | instid1(VALU_DEP_1)
	v_dual_add_f32 v2, v2, v169 :: v_dual_add_f32 v1, v1, v142
	v_add_f32_e32 v2, v2, v171
	s_delay_alu instid0(VALU_DEP_2) | instskip(NEXT) | instid1(VALU_DEP_1)
	v_add_f32_e32 v1, v1, v143
	v_add_f32_e32 v1, v1, v151
	s_delay_alu instid0(VALU_DEP_1) | instskip(NEXT) | instid1(VALU_DEP_1)
	v_add_f32_e32 v1, v1, v152
	v_add_f32_e32 v1, v1, v154
	s_delay_alu instid0(VALU_DEP_1) | instskip(NEXT) | instid1(VALU_DEP_1)
	;; [unrolled: 3-line block ×8, first 2 shown]
	v_add_f32_e32 v1, v1, v180
	v_add_f32_e32 v1, v1, v182
	s_delay_alu instid0(VALU_DEP_1) | instskip(SKIP_1) | instid1(VALU_DEP_2)
	v_add_f32_e32 v6, v1, v184
	v_add_f32_e32 v2, v2, v173
	;; [unrolled: 1-line block ×3, first 2 shown]
	s_delay_alu instid0(VALU_DEP_2) | instskip(NEXT) | instid1(VALU_DEP_2)
	v_add_f32_e32 v2, v2, v175
	v_add_f32_e32 v13, v6, v188
	s_delay_alu instid0(VALU_DEP_1) | instskip(NEXT) | instid1(VALU_DEP_1)
	v_dual_add_f32 v2, v2, v177 :: v_dual_add_f32 v13, v13, v190
	v_dual_add_f32 v2, v2, v179 :: v_dual_add_f32 v13, v13, v192
	s_delay_alu instid0(VALU_DEP_1) | instskip(NEXT) | instid1(VALU_DEP_2)
	v_add_f32_e32 v5, v2, v181
	v_add_f32_e32 v13, v13, v194
	s_delay_alu instid0(VALU_DEP_2) | instskip(NEXT) | instid1(VALU_DEP_2)
	v_add_f32_e32 v5, v5, v183
	v_dual_add_f32 v18, v13, v196 :: v_dual_fmac_f32 v211, v8, v3
	ds_load_b128 v[1:4], v25 offset:800
	v_dual_add_f32 v5, v5, v185 :: v_dual_add_f32 v18, v18, v198
	s_delay_alu instid0(VALU_DEP_1) | instskip(SKIP_2) | instid1(VALU_DEP_1)
	v_add_f32_e32 v14, v5, v187
	ds_load_b128 v[5:8], v25 offset:816
	v_add_f32_e32 v18, v18, v200
	v_add_f32_e32 v21, v18, v202
	s_delay_alu instid0(VALU_DEP_1)
	v_add_f32_e32 v31, v21, v204
	s_wait_loadcnt_dscnt 0x1
	v_mul_f32_e32 v26, v1, v10
	v_mul_f32_e32 v28, v3, v12
	;; [unrolled: 1-line block ×4, first 2 shown]
	v_add_f32_e32 v14, v14, v189
	v_fmac_f32_e32 v26, v2, v9
	v_fmac_f32_e32 v28, v4, v11
	v_fma_f32 v29, v1, v9, -v10
	v_fma_f32 v30, v3, v11, -v12
	s_clause 0x1
	scratch_load_b128 v[1:4], off, off offset:384
	scratch_load_b128 v[9:12], off, off offset:400
	v_add_f32_e32 v14, v14, v191
	s_delay_alu instid0(VALU_DEP_1) | instskip(SKIP_2) | instid1(VALU_DEP_1)
	v_add_f32_e32 v17, v14, v193
	scratch_load_b128 v[13:16], off, off offset:416
	v_add_f32_e32 v17, v17, v195
	v_add_f32_e32 v17, v17, v197
	s_delay_alu instid0(VALU_DEP_1) | instskip(NEXT) | instid1(VALU_DEP_1)
	v_add_f32_e32 v17, v17, v199
	v_add_f32_e32 v22, v17, v201
	ds_load_b128 v[17:20], v25 offset:832
	v_add_f32_e32 v140, v22, v203
	ds_load_b128 v[21:24], v25 offset:848
	v_add_f32_e32 v25, v31, v206
	s_delay_alu instid0(VALU_DEP_1) | instskip(NEXT) | instid1(VALU_DEP_1)
	v_add_f32_e32 v25, v25, v208
	v_add_f32_e32 v25, v25, v210
	s_delay_alu instid0(VALU_DEP_1) | instskip(NEXT) | instid1(VALU_DEP_1)
	v_add_f32_e32 v25, v25, v212
	v_add_f32_e32 v25, v25, v29
	s_wait_loadcnt_dscnt 0x101
	v_dual_mul_f32 v141, v7, v4 :: v_dual_mul_f32 v142, v17, v10
	v_dual_add_f32 v31, v140, v205 :: v_dual_mul_f32 v140, v5, v2
	v_mul_f32_e32 v2, v6, v2
	v_mul_f32_e32 v4, v8, v4
	s_delay_alu instid0(VALU_DEP_4) | instskip(SKIP_4) | instid1(VALU_DEP_3)
	v_fmac_f32_e32 v141, v8, v3
	s_wait_loadcnt_dscnt 0x0
	v_dual_add_f32 v31, v31, v207 :: v_dual_mul_f32 v146, v21, v14
	v_fma_f32 v2, v5, v1, -v2
	v_dual_fmac_f32 v140, v6, v1 :: v_dual_add_f32 v1, v25, v30
	v_dual_add_f32 v31, v31, v209 :: v_dual_mul_f32 v6, v18, v10
	v_fma_f32 v3, v7, v3, -v4
	v_mul_f32_e32 v143, v19, v12
	s_delay_alu instid0(VALU_DEP_4) | instskip(NEXT) | instid1(VALU_DEP_4)
	v_add_f32_e32 v1, v1, v2
	v_dual_add_f32 v31, v31, v211 :: v_dual_mul_f32 v4, v20, v12
	s_delay_alu instid0(VALU_DEP_3) | instskip(NEXT) | instid1(VALU_DEP_2)
	v_dual_fmac_f32 v142, v18, v9 :: v_dual_fmac_f32 v143, v20, v11
	v_dual_add_f32 v1, v1, v3 :: v_dual_add_f32 v26, v31, v26
	v_mul_f32_e32 v3, v22, v14
	s_delay_alu instid0(VALU_DEP_4) | instskip(SKIP_1) | instid1(VALU_DEP_4)
	v_fma_f32 v4, v19, v11, -v4
	v_dual_mul_f32 v29, v23, v16 :: v_dual_fmac_f32 v146, v22, v13
	v_add_f32_e32 v5, v26, v28
	s_delay_alu instid0(VALU_DEP_4) | instskip(NEXT) | instid1(VALU_DEP_2)
	v_fma_f32 v3, v21, v13, -v3
	v_dual_fmac_f32 v29, v24, v15 :: v_dual_add_f32 v2, v5, v140
	v_fma_f32 v5, v17, v9, -v6
	s_delay_alu instid0(VALU_DEP_2) | instskip(NEXT) | instid1(VALU_DEP_2)
	v_add_f32_e32 v2, v2, v141
	v_add_f32_e32 v1, v1, v5
	s_delay_alu instid0(VALU_DEP_2) | instskip(NEXT) | instid1(VALU_DEP_2)
	v_dual_mul_f32 v5, v24, v16 :: v_dual_add_f32 v2, v2, v142
	v_add_f32_e32 v1, v1, v4
	s_delay_alu instid0(VALU_DEP_2) | instskip(NEXT) | instid1(VALU_DEP_3)
	v_fma_f32 v4, v23, v15, -v5
	v_add_f32_e32 v2, v2, v143
	s_delay_alu instid0(VALU_DEP_1) | instskip(NEXT) | instid1(VALU_DEP_1)
	v_dual_add_f32 v1, v1, v3 :: v_dual_add_f32 v2, v2, v146
	v_dual_add_f32 v1, v1, v4 :: v_dual_add_f32 v2, v2, v29
	s_delay_alu instid0(VALU_DEP_1)
	v_dual_sub_f32 v1, v144, v1 :: v_dual_sub_f32 v2, v145, v2
	scratch_store_b64 off, v[1:2], off offset:8
	v_cmpx_ne_u32_e32 0, v0
	s_cbranch_execz .LBB53_337
; %bb.336:
	scratch_load_b64 v[0:1], off, off
	v_mov_b32_e32 v2, 0
	s_delay_alu instid0(VALU_DEP_1)
	v_mov_b32_e32 v3, v2
	scratch_store_b64 off, v[2:3], off
	s_wait_loadcnt 0x0
	ds_store_b64 v27, v[0:1]
.LBB53_337:
	s_wait_alu 0xfffe
	s_or_b32 exec_lo, exec_lo, s0
	s_wait_storecnt_dscnt 0x0
	s_barrier_signal -1
	s_barrier_wait -1
	global_inv scope:SCOPE_SE
	s_clause 0x6
	scratch_load_b128 v[0:3], off, off offset:8
	scratch_load_b128 v[4:7], off, off offset:24
	;; [unrolled: 1-line block ×7, first 2 shown]
	v_mov_b32_e32 v140, 0
	scratch_load_b64 v[145:146], off, off
	s_and_b32 vcc_lo, exec_lo, s18
	ds_load_2addr_b64 v[28:31], v140 offset0:55 offset1:56
	ds_load_2addr_b64 v[141:144], v140 offset0:57 offset1:58
	s_wait_loadcnt_dscnt 0x701
	v_dual_mul_f32 v147, v28, v1 :: v_dual_mul_f32 v148, v30, v3
	v_mul_f32_e32 v1, v29, v1
	v_mul_f32_e32 v3, v31, v3
	s_delay_alu instid0(VALU_DEP_3) | instskip(NEXT) | instid1(VALU_DEP_3)
	v_dual_fmac_f32 v147, v29, v0 :: v_dual_fmac_f32 v148, v31, v2
	v_fma_f32 v28, v28, v0, -v1
	s_delay_alu instid0(VALU_DEP_3) | instskip(SKIP_4) | instid1(VALU_DEP_2)
	v_fma_f32 v29, v30, v2, -v3
	ds_load_2addr_b64 v[0:3], v140 offset0:59 offset1:60
	s_wait_loadcnt_dscnt 0x601
	v_dual_mul_f32 v30, v141, v5 :: v_dual_mul_f32 v31, v143, v7
	v_mul_f32_e32 v5, v142, v5
	v_dual_mul_f32 v7, v144, v7 :: v_dual_fmac_f32 v30, v142, v4
	s_delay_alu instid0(VALU_DEP_3) | instskip(NEXT) | instid1(VALU_DEP_3)
	v_fmac_f32_e32 v31, v144, v6
	v_fma_f32 v141, v141, v4, -v5
	s_delay_alu instid0(VALU_DEP_3)
	v_fma_f32 v142, v143, v6, -v7
	ds_load_2addr_b64 v[4:7], v140 offset0:61 offset1:62
	s_wait_loadcnt_dscnt 0x501
	v_mul_f32_e32 v143, v1, v9
	v_dual_mul_f32 v144, v0, v9 :: v_dual_mul_f32 v149, v2, v11
	v_mul_f32_e32 v9, v3, v11
	s_delay_alu instid0(VALU_DEP_3) | instskip(NEXT) | instid1(VALU_DEP_3)
	v_fma_f32 v143, v0, v8, -v143
	v_dual_fmac_f32 v144, v1, v8 :: v_dual_fmac_f32 v149, v3, v10
	s_delay_alu instid0(VALU_DEP_3)
	v_fma_f32 v150, v2, v10, -v9
	ds_load_2addr_b64 v[0:3], v140 offset0:63 offset1:64
	s_wait_loadcnt_dscnt 0x401
	v_mul_f32_e32 v151, v4, v13
	v_dual_mul_f32 v8, v5, v13 :: v_dual_mul_f32 v13, v6, v15
	v_mul_f32_e32 v9, v7, v15
	s_delay_alu instid0(VALU_DEP_3) | instskip(NEXT) | instid1(VALU_DEP_3)
	v_fmac_f32_e32 v151, v5, v12
	v_fma_f32 v12, v4, v12, -v8
	s_delay_alu instid0(VALU_DEP_4) | instskip(NEXT) | instid1(VALU_DEP_4)
	v_fmac_f32_e32 v13, v7, v14
	v_fma_f32 v14, v6, v14, -v9
	ds_load_2addr_b64 v[4:7], v140 offset0:65 offset1:66
	s_wait_loadcnt_dscnt 0x301
	v_mul_f32_e32 v15, v0, v17
	v_dual_mul_f32 v8, v1, v17 :: v_dual_mul_f32 v17, v2, v19
	v_mul_f32_e32 v9, v3, v19
	s_delay_alu instid0(VALU_DEP_3) | instskip(NEXT) | instid1(VALU_DEP_3)
	v_fmac_f32_e32 v15, v1, v16
	v_fma_f32 v16, v0, v16, -v8
	s_delay_alu instid0(VALU_DEP_4) | instskip(NEXT) | instid1(VALU_DEP_4)
	v_fmac_f32_e32 v17, v3, v18
	;; [unrolled: 11-line block ×4, first 2 shown]
	v_fma_f32 v26, v2, v26, -v9
	s_clause 0x1
	scratch_load_b128 v[0:3], off, off offset:120
	scratch_load_b128 v[8:11], off, off offset:136
	s_wait_loadcnt_dscnt 0x100
	v_mul_f32_e32 v27, v4, v1
	v_mul_f32_e32 v1, v5, v1
	;; [unrolled: 1-line block ×3, first 2 shown]
	s_delay_alu instid0(VALU_DEP_3) | instskip(NEXT) | instid1(VALU_DEP_3)
	v_fmac_f32_e32 v27, v5, v0
	v_fma_f32 v152, v4, v0, -v1
	v_mul_f32_e32 v0, v7, v3
	s_delay_alu instid0(VALU_DEP_4) | instskip(NEXT) | instid1(VALU_DEP_2)
	v_fmac_f32_e32 v153, v7, v2
	v_fma_f32 v154, v6, v2, -v0
	ds_load_2addr_b64 v[0:3], v140 offset0:71 offset1:72
	ds_load_2addr_b64 v[4:7], v140 offset0:73 offset1:74
	s_wait_loadcnt_dscnt 0x1
	v_mul_f32_e32 v155, v0, v9
	v_mul_f32_e32 v157, v2, v11
	s_delay_alu instid0(VALU_DEP_2) | instskip(SKIP_1) | instid1(VALU_DEP_1)
	v_fmac_f32_e32 v155, v1, v8
	v_mul_f32_e32 v1, v1, v9
	v_fma_f32 v156, v0, v8, -v1
	v_mul_f32_e32 v0, v3, v11
	v_fmac_f32_e32 v157, v3, v10
	s_delay_alu instid0(VALU_DEP_2)
	v_fma_f32 v158, v2, v10, -v0
	s_clause 0x1
	scratch_load_b128 v[0:3], off, off offset:152
	scratch_load_b128 v[8:11], off, off offset:168
	s_wait_loadcnt_dscnt 0x100
	v_mul_f32_e32 v159, v4, v1
	v_mul_f32_e32 v1, v5, v1
	s_delay_alu instid0(VALU_DEP_2) | instskip(NEXT) | instid1(VALU_DEP_2)
	v_fmac_f32_e32 v159, v5, v0
	v_fma_f32 v160, v4, v0, -v1
	v_mul_f32_e32 v161, v6, v3
	v_mul_f32_e32 v0, v7, v3
	s_delay_alu instid0(VALU_DEP_2) | instskip(NEXT) | instid1(VALU_DEP_2)
	v_fmac_f32_e32 v161, v7, v2
	v_fma_f32 v162, v6, v2, -v0
	ds_load_2addr_b64 v[0:3], v140 offset0:75 offset1:76
	ds_load_2addr_b64 v[4:7], v140 offset0:77 offset1:78
	s_wait_loadcnt_dscnt 0x1
	v_mul_f32_e32 v163, v0, v9
	v_mul_f32_e32 v165, v2, v11
	s_delay_alu instid0(VALU_DEP_2) | instskip(SKIP_1) | instid1(VALU_DEP_3)
	v_fmac_f32_e32 v163, v1, v8
	v_mul_f32_e32 v1, v1, v9
	v_fmac_f32_e32 v165, v3, v10
	s_delay_alu instid0(VALU_DEP_2) | instskip(SKIP_1) | instid1(VALU_DEP_1)
	v_fma_f32 v164, v0, v8, -v1
	v_mul_f32_e32 v0, v3, v11
	v_fma_f32 v166, v2, v10, -v0
	s_clause 0x1
	scratch_load_b128 v[0:3], off, off offset:184
	scratch_load_b128 v[8:11], off, off offset:200
	s_wait_loadcnt_dscnt 0x100
	v_mul_f32_e32 v167, v4, v1
	v_mul_f32_e32 v1, v5, v1
	v_mul_f32_e32 v169, v6, v3
	s_delay_alu instid0(VALU_DEP_3) | instskip(NEXT) | instid1(VALU_DEP_3)
	v_fmac_f32_e32 v167, v5, v0
	v_fma_f32 v168, v4, v0, -v1
	v_mul_f32_e32 v0, v7, v3
	s_delay_alu instid0(VALU_DEP_4) | instskip(NEXT) | instid1(VALU_DEP_2)
	v_fmac_f32_e32 v169, v7, v2
	v_fma_f32 v170, v6, v2, -v0
	ds_load_2addr_b64 v[0:3], v140 offset0:79 offset1:80
	ds_load_2addr_b64 v[4:7], v140 offset0:81 offset1:82
	s_wait_loadcnt_dscnt 0x1
	v_mul_f32_e32 v171, v0, v9
	v_mul_f32_e32 v173, v2, v11
	s_delay_alu instid0(VALU_DEP_2) | instskip(SKIP_1) | instid1(VALU_DEP_3)
	v_fmac_f32_e32 v171, v1, v8
	v_mul_f32_e32 v1, v1, v9
	v_fmac_f32_e32 v173, v3, v10
	s_delay_alu instid0(VALU_DEP_2) | instskip(SKIP_1) | instid1(VALU_DEP_1)
	v_fma_f32 v172, v0, v8, -v1
	v_mul_f32_e32 v0, v3, v11
	v_fma_f32 v174, v2, v10, -v0
	s_clause 0x1
	scratch_load_b128 v[0:3], off, off offset:216
	scratch_load_b128 v[8:11], off, off offset:232
	s_wait_loadcnt_dscnt 0x100
	v_mul_f32_e32 v175, v4, v1
	v_mul_f32_e32 v1, v5, v1
	v_mul_f32_e32 v177, v6, v3
	s_delay_alu instid0(VALU_DEP_3) | instskip(NEXT) | instid1(VALU_DEP_3)
	v_fmac_f32_e32 v175, v5, v0
	v_fma_f32 v176, v4, v0, -v1
	v_mul_f32_e32 v0, v7, v3
	s_delay_alu instid0(VALU_DEP_4) | instskip(NEXT) | instid1(VALU_DEP_2)
	;; [unrolled: 27-line block ×5, first 2 shown]
	v_fmac_f32_e32 v201, v7, v2
	v_fma_f32 v202, v6, v2, -v0
	ds_load_2addr_b64 v[0:3], v140 offset0:95 offset1:96
	ds_load_2addr_b64 v[4:7], v140 offset0:97 offset1:98
	s_wait_loadcnt_dscnt 0x1
	v_mul_f32_e32 v203, v0, v9
	v_mul_f32_e32 v205, v2, v11
	s_delay_alu instid0(VALU_DEP_2) | instskip(SKIP_1) | instid1(VALU_DEP_3)
	v_fmac_f32_e32 v203, v1, v8
	v_mul_f32_e32 v1, v1, v9
	v_fmac_f32_e32 v205, v3, v10
	s_delay_alu instid0(VALU_DEP_2) | instskip(SKIP_1) | instid1(VALU_DEP_1)
	v_fma_f32 v204, v0, v8, -v1
	v_mul_f32_e32 v0, v3, v11
	v_fma_f32 v206, v2, v10, -v0
	s_clause 0x1
	scratch_load_b128 v[0:3], off, off offset:344
	scratch_load_b128 v[8:11], off, off offset:360
	s_wait_loadcnt_dscnt 0x100
	v_mul_f32_e32 v207, v4, v1
	v_mul_f32_e32 v1, v5, v1
	;; [unrolled: 1-line block ×3, first 2 shown]
	s_delay_alu instid0(VALU_DEP_3) | instskip(NEXT) | instid1(VALU_DEP_3)
	v_fmac_f32_e32 v207, v5, v0
	v_fma_f32 v208, v4, v0, -v1
	v_mul_f32_e32 v0, v7, v3
	v_add_f32_e32 v1, 0, v147
	v_fmac_f32_e32 v209, v7, v2
	s_delay_alu instid0(VALU_DEP_3) | instskip(SKIP_1) | instid1(VALU_DEP_1)
	v_fma_f32 v210, v6, v2, -v0
	v_add_f32_e32 v0, 0, v28
	v_dual_add_f32 v1, v1, v148 :: v_dual_add_f32 v0, v0, v29
	s_delay_alu instid0(VALU_DEP_1) | instskip(NEXT) | instid1(VALU_DEP_1)
	v_dual_add_f32 v1, v1, v30 :: v_dual_add_f32 v0, v0, v141
	v_dual_add_f32 v1, v1, v31 :: v_dual_add_f32 v0, v0, v142
	s_delay_alu instid0(VALU_DEP_1) | instskip(NEXT) | instid1(VALU_DEP_1)
	v_dual_add_f32 v1, v1, v144 :: v_dual_add_f32 v0, v0, v143
	;; [unrolled: 3-line block ×6, first 2 shown]
	v_add_f32_e32 v1, v1, v25
	scratch_load_b64 v[24:25], off, off offset:424
	v_dual_add_f32 v0, v0, v26 :: v_dual_add_f32 v1, v1, v27
	s_delay_alu instid0(VALU_DEP_1) | instskip(NEXT) | instid1(VALU_DEP_1)
	v_dual_add_f32 v0, v0, v152 :: v_dual_add_f32 v1, v1, v153
	v_dual_add_f32 v0, v0, v154 :: v_dual_add_f32 v1, v1, v155
	s_delay_alu instid0(VALU_DEP_1) | instskip(NEXT) | instid1(VALU_DEP_1)
	v_dual_add_f32 v0, v0, v156 :: v_dual_add_f32 v1, v1, v157
	v_dual_add_f32 v0, v0, v158 :: v_dual_add_f32 v1, v1, v159
	s_delay_alu instid0(VALU_DEP_1) | instskip(NEXT) | instid1(VALU_DEP_1)
	v_add_f32_e32 v0, v0, v160
	v_add_f32_e32 v0, v0, v162
	s_delay_alu instid0(VALU_DEP_1) | instskip(NEXT) | instid1(VALU_DEP_1)
	v_dual_add_f32 v0, v0, v164 :: v_dual_add_f32 v1, v1, v161
	v_dual_add_f32 v0, v0, v166 :: v_dual_add_f32 v1, v1, v163
	s_delay_alu instid0(VALU_DEP_1) | instskip(NEXT) | instid1(VALU_DEP_1)
	v_add_f32_e32 v0, v0, v168
	v_add_f32_e32 v0, v0, v170
	s_delay_alu instid0(VALU_DEP_1) | instskip(NEXT) | instid1(VALU_DEP_1)
	v_dual_add_f32 v0, v0, v172 :: v_dual_add_f32 v1, v1, v165
	v_dual_add_f32 v0, v0, v174 :: v_dual_add_f32 v1, v1, v167
	s_delay_alu instid0(VALU_DEP_1) | instskip(NEXT) | instid1(VALU_DEP_1)
	v_dual_add_f32 v0, v0, v176 :: v_dual_add_f32 v1, v1, v169
	v_dual_add_f32 v0, v0, v178 :: v_dual_add_f32 v1, v1, v171
	s_delay_alu instid0(VALU_DEP_1) | instskip(NEXT) | instid1(VALU_DEP_2)
	v_add_f32_e32 v5, v0, v180
	v_add_f32_e32 v1, v1, v173
	s_delay_alu instid0(VALU_DEP_2) | instskip(NEXT) | instid1(VALU_DEP_1)
	v_add_f32_e32 v5, v5, v182
	v_add_f32_e32 v12, v5, v184
	s_delay_alu instid0(VALU_DEP_1) | instskip(NEXT) | instid1(VALU_DEP_1)
	v_dual_add_f32 v12, v12, v186 :: v_dual_add_f32 v1, v1, v175
	v_add_f32_e32 v12, v12, v188
	s_delay_alu instid0(VALU_DEP_2) | instskip(SKIP_3) | instid1(VALU_DEP_2)
	v_add_f32_e32 v4, v1, v177
	ds_load_2addr_b64 v[0:3], v140 offset0:99 offset1:100
	v_add_f32_e32 v12, v12, v190
	v_add_f32_e32 v4, v4, v179
	;; [unrolled: 1-line block ×3, first 2 shown]
	s_delay_alu instid0(VALU_DEP_1) | instskip(NEXT) | instid1(VALU_DEP_1)
	v_dual_add_f32 v4, v4, v181 :: v_dual_add_f32 v17, v17, v194
	v_add_f32_e32 v13, v4, v183
	ds_load_2addr_b64 v[4:7], v140 offset0:101 offset1:102
	v_add_f32_e32 v17, v17, v196
	v_add_f32_e32 v13, v13, v185
	s_wait_loadcnt_dscnt 0x101
	v_mul_f32_e32 v28, v0, v9
	v_mul_f32_e32 v9, v1, v9
	;; [unrolled: 1-line block ×4, first 2 shown]
	v_add_f32_e32 v13, v13, v187
	v_fmac_f32_e32 v28, v1, v8
	v_fma_f32 v30, v0, v8, -v9
	v_fmac_f32_e32 v29, v3, v10
	v_fma_f32 v31, v2, v10, -v11
	s_clause 0x1
	scratch_load_b128 v[0:3], off, off offset:376
	scratch_load_b128 v[8:11], off, off offset:392
	v_add_f32_e32 v16, v13, v189
	scratch_load_b128 v[12:15], off, off offset:408
	v_dual_add_f32 v17, v17, v198 :: v_dual_add_f32 v16, v16, v191
	s_delay_alu instid0(VALU_DEP_1) | instskip(NEXT) | instid1(VALU_DEP_1)
	v_dual_add_f32 v17, v17, v200 :: v_dual_add_f32 v16, v16, v193
	v_add_f32_e32 v26, v17, v202
	s_delay_alu instid0(VALU_DEP_1) | instskip(NEXT) | instid1(VALU_DEP_1)
	v_dual_add_f32 v16, v16, v195 :: v_dual_add_f32 v141, v26, v204
	v_dual_add_f32 v16, v16, v197 :: v_dual_add_f32 v141, v141, v206
	s_delay_alu instid0(VALU_DEP_1)
	v_add_f32_e32 v20, v16, v199
	ds_load_2addr_b64 v[16:19], v140 offset0:103 offset1:104
	v_add_f32_e32 v141, v141, v208
	v_add_f32_e32 v27, v20, v201
	ds_load_2addr_b64 v[20:23], v140 offset0:105 offset1:106
	v_dual_add_f32 v141, v141, v210 :: v_dual_add_f32 v142, v27, v203
	ds_load_b64 v[26:27], v140 offset:856
	v_add_f32_e32 v30, v141, v30
	v_add_f32_e32 v142, v142, v205
	s_delay_alu instid0(VALU_DEP_1) | instskip(NEXT) | instid1(VALU_DEP_1)
	v_add_f32_e32 v142, v142, v207
	v_add_f32_e32 v142, v142, v209
	s_delay_alu instid0(VALU_DEP_1) | instskip(SKIP_3) | instid1(VALU_DEP_1)
	v_add_f32_e32 v28, v142, v28
	s_wait_loadcnt_dscnt 0x300
	v_mul_f32_e32 v142, v26, v25
	s_wait_loadcnt 0x2
	v_dual_fmac_f32 v142, v27, v24 :: v_dual_mul_f32 v143, v4, v1
	v_dual_mul_f32 v1, v5, v1 :: v_dual_mul_f32 v144, v6, v3
	v_mul_f32_e32 v3, v7, v3
	s_wait_loadcnt 0x1
	v_mul_f32_e32 v147, v16, v9
	v_fmac_f32_e32 v143, v5, v0
	v_fma_f32 v0, v4, v0, -v1
	v_dual_add_f32 v1, v30, v31 :: v_dual_add_f32 v4, v28, v29
	v_dual_mul_f32 v5, v17, v9 :: v_dual_fmac_f32 v144, v7, v2
	v_fma_f32 v2, v6, v2, -v3
	s_delay_alu instid0(VALU_DEP_3)
	v_dual_add_f32 v0, v1, v0 :: v_dual_add_f32 v1, v4, v143
	v_mul_f32_e32 v148, v18, v11
	v_mul_f32_e32 v3, v19, v11
	v_fmac_f32_e32 v147, v17, v8
	v_fma_f32 v4, v16, v8, -v5
	v_dual_add_f32 v0, v0, v2 :: v_dual_add_f32 v1, v1, v144
	s_wait_loadcnt 0x0
	v_mul_f32_e32 v149, v20, v13
	v_mul_f32_e32 v2, v21, v13
	v_fmac_f32_e32 v148, v19, v10
	v_fma_f32 v3, v18, v10, -v3
	v_dual_add_f32 v0, v0, v4 :: v_dual_add_f32 v1, v1, v147
	v_mul_f32_e32 v141, v22, v15
	v_dual_mul_f32 v4, v23, v15 :: v_dual_fmac_f32 v149, v21, v12
	v_fma_f32 v2, v20, v12, -v2
	s_delay_alu instid0(VALU_DEP_4) | instskip(SKIP_3) | instid1(VALU_DEP_4)
	v_dual_add_f32 v0, v0, v3 :: v_dual_add_f32 v1, v1, v148
	v_mul_f32_e32 v3, v27, v25
	v_fmac_f32_e32 v141, v23, v14
	v_fma_f32 v4, v22, v14, -v4
	v_dual_add_f32 v0, v0, v2 :: v_dual_add_f32 v1, v1, v149
	s_delay_alu instid0(VALU_DEP_4) | instskip(NEXT) | instid1(VALU_DEP_2)
	v_fma_f32 v2, v26, v24, -v3
	v_dual_add_f32 v0, v0, v4 :: v_dual_add_f32 v1, v1, v141
	s_delay_alu instid0(VALU_DEP_1) | instskip(NEXT) | instid1(VALU_DEP_2)
	v_add_f32_e32 v0, v0, v2
	v_add_f32_e32 v1, v1, v142
	s_delay_alu instid0(VALU_DEP_1)
	v_dual_sub_f32 v0, v145, v0 :: v_dual_sub_f32 v1, v146, v1
	scratch_store_b64 off, v[0:1], off
	s_wait_alu 0xfffe
	s_cbranch_vccz .LBB53_444
; %bb.338:
	global_load_b32 v0, v140, s[2:3] offset:208
	s_wait_loadcnt 0x0
	v_cmp_ne_u32_e32 vcc_lo, 53, v0
	s_cbranch_vccz .LBB53_340
; %bb.339:
	v_lshlrev_b32_e32 v0, 3, v0
	s_delay_alu instid0(VALU_DEP_1)
	v_mov_b32_e32 v4, v0
	scratch_load_b64 v[0:1], v4, off offset:-8
	scratch_load_b64 v[2:3], off, off offset:416
	s_wait_loadcnt 0x1
	scratch_store_b64 off, v[0:1], off offset:416
	s_wait_loadcnt 0x0
	scratch_store_b64 v4, v[2:3], off offset:-8
.LBB53_340:
	v_mov_b32_e32 v0, 0
	global_load_b32 v1, v0, s[2:3] offset:204
	s_wait_loadcnt 0x0
	v_cmp_eq_u32_e32 vcc_lo, 52, v1
	s_cbranch_vccnz .LBB53_342
; %bb.341:
	v_lshlrev_b32_e32 v1, 3, v1
	s_delay_alu instid0(VALU_DEP_1)
	v_mov_b32_e32 v5, v1
	scratch_load_b64 v[1:2], v5, off offset:-8
	scratch_load_b64 v[3:4], off, off offset:408
	s_wait_loadcnt 0x1
	scratch_store_b64 off, v[1:2], off offset:408
	s_wait_loadcnt 0x0
	scratch_store_b64 v5, v[3:4], off offset:-8
.LBB53_342:
	global_load_b32 v0, v0, s[2:3] offset:200
	s_wait_loadcnt 0x0
	v_cmp_eq_u32_e32 vcc_lo, 51, v0
	s_cbranch_vccnz .LBB53_344
; %bb.343:
	v_lshlrev_b32_e32 v0, 3, v0
	s_delay_alu instid0(VALU_DEP_1)
	v_mov_b32_e32 v4, v0
	scratch_load_b64 v[0:1], v4, off offset:-8
	scratch_load_b64 v[2:3], off, off offset:400
	s_wait_loadcnt 0x1
	scratch_store_b64 off, v[0:1], off offset:400
	s_wait_loadcnt 0x0
	scratch_store_b64 v4, v[2:3], off offset:-8
.LBB53_344:
	v_mov_b32_e32 v0, 0
	global_load_b32 v1, v0, s[2:3] offset:196
	s_wait_loadcnt 0x0
	v_cmp_eq_u32_e32 vcc_lo, 50, v1
	s_cbranch_vccnz .LBB53_346
; %bb.345:
	v_lshlrev_b32_e32 v1, 3, v1
	s_delay_alu instid0(VALU_DEP_1)
	v_mov_b32_e32 v5, v1
	scratch_load_b64 v[1:2], v5, off offset:-8
	scratch_load_b64 v[3:4], off, off offset:392
	s_wait_loadcnt 0x1
	scratch_store_b64 off, v[1:2], off offset:392
	s_wait_loadcnt 0x0
	scratch_store_b64 v5, v[3:4], off offset:-8
.LBB53_346:
	global_load_b32 v0, v0, s[2:3] offset:192
	s_wait_loadcnt 0x0
	v_cmp_eq_u32_e32 vcc_lo, 49, v0
	s_cbranch_vccnz .LBB53_348
; %bb.347:
	v_lshlrev_b32_e32 v0, 3, v0
	s_delay_alu instid0(VALU_DEP_1)
	v_mov_b32_e32 v4, v0
	scratch_load_b64 v[0:1], v4, off offset:-8
	scratch_load_b64 v[2:3], off, off offset:384
	s_wait_loadcnt 0x1
	scratch_store_b64 off, v[0:1], off offset:384
	s_wait_loadcnt 0x0
	scratch_store_b64 v4, v[2:3], off offset:-8
.LBB53_348:
	;; [unrolled: 31-line block ×25, first 2 shown]
	v_mov_b32_e32 v0, 0
	global_load_b32 v1, v0, s[2:3] offset:4
	s_wait_loadcnt 0x0
	v_cmp_eq_u32_e32 vcc_lo, 2, v1
	s_cbranch_vccnz .LBB53_442
; %bb.441:
	v_lshlrev_b32_e32 v1, 3, v1
	s_delay_alu instid0(VALU_DEP_1)
	v_mov_b32_e32 v5, v1
	scratch_load_b64 v[1:2], v5, off offset:-8
	scratch_load_b64 v[3:4], off, off offset:8
	s_wait_loadcnt 0x1
	scratch_store_b64 off, v[1:2], off offset:8
	s_wait_loadcnt 0x0
	scratch_store_b64 v5, v[3:4], off offset:-8
.LBB53_442:
	global_load_b32 v0, v0, s[2:3]
	s_wait_loadcnt 0x0
	v_cmp_eq_u32_e32 vcc_lo, 1, v0
	s_cbranch_vccnz .LBB53_444
; %bb.443:
	v_lshlrev_b32_e32 v0, 3, v0
	s_delay_alu instid0(VALU_DEP_1)
	v_mov_b32_e32 v4, v0
	scratch_load_b64 v[0:1], v4, off offset:-8
	scratch_load_b64 v[2:3], off, off
	s_wait_loadcnt 0x1
	scratch_store_b64 off, v[0:1], off
	s_wait_loadcnt 0x0
	scratch_store_b64 v4, v[2:3], off offset:-8
.LBB53_444:
	s_clause 0x1a
	scratch_load_b128 v[0:3], off, off
	scratch_load_b128 v[4:7], off, off offset:16
	scratch_load_b128 v[8:11], off, off offset:32
	;; [unrolled: 1-line block ×26, first 2 shown]
	s_wait_loadcnt 0x1a
	s_clause 0x1
	global_store_b64 v[32:33], v[0:1], off
	global_store_b64 v[34:35], v[2:3], off
	s_wait_loadcnt 0x19
	s_clause 0x1
	global_store_b64 v[36:37], v[4:5], off
	global_store_b64 v[38:39], v[6:7], off
	;; [unrolled: 4-line block ×27, first 2 shown]
	s_nop 0
	s_sendmsg sendmsg(MSG_DEALLOC_VGPRS)
	s_endpgm
	.section	.rodata,"a",@progbits
	.p2align	6, 0x0
	.amdhsa_kernel _ZN9rocsolver6v33100L18getri_kernel_smallILi54E19rocblas_complex_numIfEPS3_EEvT1_iilPiilS6_bb
		.amdhsa_group_segment_fixed_size 868
		.amdhsa_private_segment_fixed_size 448
		.amdhsa_kernarg_size 60
		.amdhsa_user_sgpr_count 2
		.amdhsa_user_sgpr_dispatch_ptr 0
		.amdhsa_user_sgpr_queue_ptr 0
		.amdhsa_user_sgpr_kernarg_segment_ptr 1
		.amdhsa_user_sgpr_dispatch_id 0
		.amdhsa_user_sgpr_private_segment_size 0
		.amdhsa_wavefront_size32 1
		.amdhsa_uses_dynamic_stack 0
		.amdhsa_enable_private_segment 1
		.amdhsa_system_sgpr_workgroup_id_x 1
		.amdhsa_system_sgpr_workgroup_id_y 0
		.amdhsa_system_sgpr_workgroup_id_z 0
		.amdhsa_system_sgpr_workgroup_info 0
		.amdhsa_system_vgpr_workitem_id 0
		.amdhsa_next_free_vgpr 252
		.amdhsa_next_free_sgpr 19
		.amdhsa_reserve_vcc 1
		.amdhsa_float_round_mode_32 0
		.amdhsa_float_round_mode_16_64 0
		.amdhsa_float_denorm_mode_32 3
		.amdhsa_float_denorm_mode_16_64 3
		.amdhsa_fp16_overflow 0
		.amdhsa_workgroup_processor_mode 1
		.amdhsa_memory_ordered 1
		.amdhsa_forward_progress 1
		.amdhsa_inst_pref_size 255
		.amdhsa_round_robin_scheduling 0
		.amdhsa_exception_fp_ieee_invalid_op 0
		.amdhsa_exception_fp_denorm_src 0
		.amdhsa_exception_fp_ieee_div_zero 0
		.amdhsa_exception_fp_ieee_overflow 0
		.amdhsa_exception_fp_ieee_underflow 0
		.amdhsa_exception_fp_ieee_inexact 0
		.amdhsa_exception_int_div_zero 0
	.end_amdhsa_kernel
	.section	.text._ZN9rocsolver6v33100L18getri_kernel_smallILi54E19rocblas_complex_numIfEPS3_EEvT1_iilPiilS6_bb,"axG",@progbits,_ZN9rocsolver6v33100L18getri_kernel_smallILi54E19rocblas_complex_numIfEPS3_EEvT1_iilPiilS6_bb,comdat
.Lfunc_end53:
	.size	_ZN9rocsolver6v33100L18getri_kernel_smallILi54E19rocblas_complex_numIfEPS3_EEvT1_iilPiilS6_bb, .Lfunc_end53-_ZN9rocsolver6v33100L18getri_kernel_smallILi54E19rocblas_complex_numIfEPS3_EEvT1_iilPiilS6_bb
                                        ; -- End function
	.set _ZN9rocsolver6v33100L18getri_kernel_smallILi54E19rocblas_complex_numIfEPS3_EEvT1_iilPiilS6_bb.num_vgpr, 252
	.set _ZN9rocsolver6v33100L18getri_kernel_smallILi54E19rocblas_complex_numIfEPS3_EEvT1_iilPiilS6_bb.num_agpr, 0
	.set _ZN9rocsolver6v33100L18getri_kernel_smallILi54E19rocblas_complex_numIfEPS3_EEvT1_iilPiilS6_bb.numbered_sgpr, 19
	.set _ZN9rocsolver6v33100L18getri_kernel_smallILi54E19rocblas_complex_numIfEPS3_EEvT1_iilPiilS6_bb.num_named_barrier, 0
	.set _ZN9rocsolver6v33100L18getri_kernel_smallILi54E19rocblas_complex_numIfEPS3_EEvT1_iilPiilS6_bb.private_seg_size, 448
	.set _ZN9rocsolver6v33100L18getri_kernel_smallILi54E19rocblas_complex_numIfEPS3_EEvT1_iilPiilS6_bb.uses_vcc, 1
	.set _ZN9rocsolver6v33100L18getri_kernel_smallILi54E19rocblas_complex_numIfEPS3_EEvT1_iilPiilS6_bb.uses_flat_scratch, 1
	.set _ZN9rocsolver6v33100L18getri_kernel_smallILi54E19rocblas_complex_numIfEPS3_EEvT1_iilPiilS6_bb.has_dyn_sized_stack, 0
	.set _ZN9rocsolver6v33100L18getri_kernel_smallILi54E19rocblas_complex_numIfEPS3_EEvT1_iilPiilS6_bb.has_recursion, 0
	.set _ZN9rocsolver6v33100L18getri_kernel_smallILi54E19rocblas_complex_numIfEPS3_EEvT1_iilPiilS6_bb.has_indirect_call, 0
	.section	.AMDGPU.csdata,"",@progbits
; Kernel info:
; codeLenInByte = 96528
; TotalNumSgprs: 21
; NumVgprs: 252
; ScratchSize: 448
; MemoryBound: 0
; FloatMode: 240
; IeeeMode: 1
; LDSByteSize: 868 bytes/workgroup (compile time only)
; SGPRBlocks: 0
; VGPRBlocks: 31
; NumSGPRsForWavesPerEU: 21
; NumVGPRsForWavesPerEU: 252
; Occupancy: 5
; WaveLimiterHint : 1
; COMPUTE_PGM_RSRC2:SCRATCH_EN: 1
; COMPUTE_PGM_RSRC2:USER_SGPR: 2
; COMPUTE_PGM_RSRC2:TRAP_HANDLER: 0
; COMPUTE_PGM_RSRC2:TGID_X_EN: 1
; COMPUTE_PGM_RSRC2:TGID_Y_EN: 0
; COMPUTE_PGM_RSRC2:TGID_Z_EN: 0
; COMPUTE_PGM_RSRC2:TIDIG_COMP_CNT: 0
	.section	.text._ZN9rocsolver6v33100L18getri_kernel_smallILi55E19rocblas_complex_numIfEPS3_EEvT1_iilPiilS6_bb,"axG",@progbits,_ZN9rocsolver6v33100L18getri_kernel_smallILi55E19rocblas_complex_numIfEPS3_EEvT1_iilPiilS6_bb,comdat
	.globl	_ZN9rocsolver6v33100L18getri_kernel_smallILi55E19rocblas_complex_numIfEPS3_EEvT1_iilPiilS6_bb ; -- Begin function _ZN9rocsolver6v33100L18getri_kernel_smallILi55E19rocblas_complex_numIfEPS3_EEvT1_iilPiilS6_bb
	.p2align	8
	.type	_ZN9rocsolver6v33100L18getri_kernel_smallILi55E19rocblas_complex_numIfEPS3_EEvT1_iilPiilS6_bb,@function
_ZN9rocsolver6v33100L18getri_kernel_smallILi55E19rocblas_complex_numIfEPS3_EEvT1_iilPiilS6_bb: ; @_ZN9rocsolver6v33100L18getri_kernel_smallILi55E19rocblas_complex_numIfEPS3_EEvT1_iilPiilS6_bb
; %bb.0:
	s_mov_b32 s2, exec_lo
	v_cmpx_gt_u32_e32 55, v0
	s_cbranch_execz .LBB54_234
; %bb.1:
	s_clause 0x2
	s_load_b32 s2, s[0:1], 0x38
	s_load_b128 s[12:15], s[0:1], 0x10
	s_load_b128 s[4:7], s[0:1], 0x28
	s_mov_b32 s16, ttmp9
	s_wait_kmcnt 0x0
	s_bitcmp1_b32 s2, 8
	s_cselect_b32 s18, -1, 0
	s_bfe_u32 s2, s2, 0x10008
	s_ashr_i32 s17, ttmp9, 31
	s_cmp_eq_u32 s2, 0
                                        ; implicit-def: $sgpr2_sgpr3
	s_cbranch_scc1 .LBB54_3
; %bb.2:
	s_load_b32 s2, s[0:1], 0x20
	s_mul_u64 s[4:5], s[4:5], s[16:17]
	s_delay_alu instid0(SALU_CYCLE_1) | instskip(NEXT) | instid1(SALU_CYCLE_1)
	s_lshl_b64 s[4:5], s[4:5], 2
	s_add_nc_u64 s[4:5], s[14:15], s[4:5]
	s_wait_kmcnt 0x0
	s_ashr_i32 s3, s2, 31
	s_delay_alu instid0(SALU_CYCLE_1) | instskip(NEXT) | instid1(SALU_CYCLE_1)
	s_lshl_b64 s[2:3], s[2:3], 2
	s_add_nc_u64 s[2:3], s[4:5], s[2:3]
.LBB54_3:
	s_clause 0x1
	s_load_b128 s[8:11], s[0:1], 0x0
	s_load_b32 s4, s[0:1], 0x38
	s_mul_u64 s[0:1], s[12:13], s[16:17]
	v_lshlrev_b32_e32 v13, 3, v0
	s_lshl_b64 s[0:1], s[0:1], 3
	s_wait_kmcnt 0x0
	v_add3_u32 v3, s11, s11, v0
	s_ashr_i32 s13, s10, 31
	s_mov_b32 s12, s10
	s_add_nc_u64 s[0:1], s[8:9], s[0:1]
	s_lshl_b64 s[12:13], s[12:13], 3
	v_add_nc_u32_e32 v5, s11, v3
	v_ashrrev_i32_e32 v4, 31, v3
	s_add_nc_u64 s[0:1], s[0:1], s[12:13]
	s_ashr_i32 s9, s11, 31
	v_add_co_u32 v25, s5, s0, v13
	v_add_nc_u32_e32 v7, s11, v5
	s_mov_b32 s8, s11
	v_lshlrev_b64_e32 v[3:4], 3, v[3:4]
	v_add_co_ci_u32_e64 v26, null, s1, 0, s5
	s_delay_alu instid0(VALU_DEP_3) | instskip(SKIP_3) | instid1(VALU_DEP_1)
	v_add_nc_u32_e32 v9, s11, v7
	s_lshl_b64 s[8:9], s[8:9], 3
	v_ashrrev_i32_e32 v6, 31, v5
	v_add_co_u32 v27, vcc_lo, v25, s8
	v_add_co_ci_u32_e64 v28, null, s9, v26, vcc_lo
	v_add_co_u32 v29, vcc_lo, s0, v3
	v_add_nc_u32_e32 v3, s11, v9
	v_lshlrev_b64_e32 v[5:6], 3, v[5:6]
	v_ashrrev_i32_e32 v8, 31, v7
	v_ashrrev_i32_e32 v10, 31, v9
	s_wait_alu 0xfffd
	v_add_co_ci_u32_e64 v30, null, s1, v4, vcc_lo
	v_add_nc_u32_e32 v11, s11, v3
	v_ashrrev_i32_e32 v4, 31, v3
	v_lshlrev_b64_e32 v[7:8], 3, v[7:8]
	v_add_co_u32 v31, vcc_lo, s0, v5
	s_wait_alu 0xfffd
	v_add_co_ci_u32_e64 v32, null, s1, v6, vcc_lo
	v_lshlrev_b64_e32 v[5:6], 3, v[9:10]
	v_add_nc_u32_e32 v16, s11, v11
	v_lshlrev_b64_e32 v[14:15], 3, v[3:4]
	v_ashrrev_i32_e32 v12, 31, v11
	v_add_co_u32 v33, vcc_lo, s0, v7
	s_delay_alu instid0(VALU_DEP_4)
	v_ashrrev_i32_e32 v17, 31, v16
	v_add_nc_u32_e32 v18, s11, v16
	s_wait_alu 0xfffd
	v_add_co_ci_u32_e64 v34, null, s1, v8, vcc_lo
	v_add_co_u32 v35, vcc_lo, s0, v5
	v_lshlrev_b64_e32 v[11:12], 3, v[11:12]
	s_wait_alu 0xfffd
	v_add_co_ci_u32_e64 v36, null, s1, v6, vcc_lo
	v_add_co_u32 v37, vcc_lo, s0, v14
	s_wait_alu 0xfffd
	v_add_co_ci_u32_e64 v38, null, s1, v15, vcc_lo
	v_lshlrev_b64_e32 v[14:15], 3, v[16:17]
	v_ashrrev_i32_e32 v19, 31, v18
	v_add_nc_u32_e32 v16, s11, v18
	v_add_co_u32 v39, vcc_lo, s0, v11
	s_wait_alu 0xfffd
	v_add_co_ci_u32_e64 v40, null, s1, v12, vcc_lo
	v_lshlrev_b64_e32 v[11:12], 3, v[18:19]
	v_ashrrev_i32_e32 v17, 31, v16
	v_add_nc_u32_e32 v18, s11, v16
	;; [unrolled: 6-line block ×24, first 2 shown]
	v_add_co_u32 v85, vcc_lo, s0, v14
	s_wait_alu 0xfffd
	v_add_co_ci_u32_e64 v86, null, s1, v15, vcc_lo
	v_lshlrev_b64_e32 v[14:15], 3, v[16:17]
	v_add_nc_u32_e32 v16, s11, v18
	v_ashrrev_i32_e32 v19, 31, v18
	v_add_co_u32 v87, vcc_lo, s0, v11
	s_wait_alu 0xfffd
	v_add_co_ci_u32_e64 v88, null, s1, v12, vcc_lo
	v_add_nc_u32_e32 v22, s11, v16
	v_lshlrev_b64_e32 v[11:12], 3, v[18:19]
	v_add_co_u32 v89, vcc_lo, s0, v14
	s_wait_alu 0xfffd
	v_add_co_ci_u32_e64 v90, null, s1, v15, vcc_lo
	v_ashrrev_i32_e32 v23, 31, v22
	s_delay_alu instid0(VALU_DEP_4) | instskip(SKIP_2) | instid1(VALU_DEP_3)
	v_add_co_u32 v91, vcc_lo, s0, v11
	s_wait_alu 0xfffd
	v_add_co_ci_u32_e64 v92, null, s1, v12, vcc_lo
	v_lshlrev_b64_e32 v[11:12], 3, v[22:23]
	v_add_nc_u32_e32 v22, s11, v22
	v_ashrrev_i32_e32 v17, 31, v16
	s_clause 0x4
	global_load_b64 v[1:2], v13, s[0:1]
	global_load_b64 v[3:4], v[27:28], off
	global_load_b64 v[5:6], v[29:30], off
	;; [unrolled: 1-line block ×4, first 2 shown]
	s_bitcmp0_b32 s4, 0
	v_add_nc_u32_e32 v99, s11, v22
	v_ashrrev_i32_e32 v23, 31, v22
	v_lshlrev_b64_e32 v[14:15], 3, v[16:17]
	s_delay_alu instid0(VALU_DEP_3) | instskip(NEXT) | instid1(VALU_DEP_3)
	v_add_nc_u32_e32 v101, s11, v99
	v_lshlrev_b64_e32 v[22:23], 3, v[22:23]
	v_ashrrev_i32_e32 v100, 31, v99
	s_delay_alu instid0(VALU_DEP_4)
	v_add_co_u32 v93, vcc_lo, s0, v14
	s_wait_alu 0xfffd
	v_add_co_ci_u32_e64 v94, null, s1, v15, vcc_lo
	v_add_co_u32 v95, vcc_lo, s0, v11
	v_add_nc_u32_e32 v103, s11, v101
	s_wait_alu 0xfffd
	v_add_co_ci_u32_e64 v96, null, s1, v12, vcc_lo
	v_add_co_u32 v97, vcc_lo, s0, v22
	s_wait_alu 0xfffd
	v_add_co_ci_u32_e64 v98, null, s1, v23, vcc_lo
	v_lshlrev_b64_e32 v[22:23], 3, v[99:100]
	v_ashrrev_i32_e32 v102, 31, v101
	v_add_nc_u32_e32 v105, s11, v103
	v_ashrrev_i32_e32 v104, 31, v103
	s_clause 0x13
	global_load_b64 v[11:12], v[35:36], off
	global_load_b64 v[14:15], v[37:38], off
	;; [unrolled: 1-line block ×20, first 2 shown]
	v_lshlrev_b64_e32 v[101:102], 3, v[101:102]
	v_add_co_u32 v99, vcc_lo, s0, v22
	v_ashrrev_i32_e32 v106, 31, v105
	s_wait_alu 0xfffd
	v_add_co_ci_u32_e64 v100, null, s1, v23, vcc_lo
	v_lshlrev_b64_e32 v[22:23], 3, v[103:104]
	v_add_nc_u32_e32 v108, s11, v105
	v_lshlrev_b64_e32 v[106:107], 3, v[105:106]
	v_add_co_u32 v101, vcc_lo, s0, v101
	s_wait_alu 0xfffd
	v_add_co_ci_u32_e64 v102, null, s1, v102, vcc_lo
	v_add_co_u32 v103, vcc_lo, s0, v22
	v_ashrrev_i32_e32 v109, 31, v108
	v_add_nc_u32_e32 v22, s11, v108
	s_wait_alu 0xfffd
	v_add_co_ci_u32_e64 v104, null, s1, v23, vcc_lo
	v_add_co_u32 v105, vcc_lo, s0, v106
	s_wait_alu 0xfffd
	v_add_co_ci_u32_e64 v106, null, s1, v107, vcc_lo
	v_lshlrev_b64_e32 v[107:108], 3, v[108:109]
	v_add_nc_u32_e32 v109, s11, v22
	v_ashrrev_i32_e32 v23, 31, v22
	s_clause 0xb
	global_load_b64 v[165:166], v[75:76], off
	global_load_b64 v[167:168], v[77:78], off
	;; [unrolled: 1-line block ×12, first 2 shown]
	v_add_nc_u32_e32 v111, s11, v109
	v_lshlrev_b64_e32 v[22:23], 3, v[22:23]
	v_ashrrev_i32_e32 v110, 31, v109
	v_add_co_u32 v107, vcc_lo, s0, v107
	s_delay_alu instid0(VALU_DEP_4)
	v_add_nc_u32_e32 v115, s11, v111
	v_ashrrev_i32_e32 v112, 31, v111
	s_wait_alu 0xfffd
	v_add_co_ci_u32_e64 v108, null, s1, v108, vcc_lo
	v_lshlrev_b64_e32 v[113:114], 3, v[109:110]
	v_add_co_u32 v109, vcc_lo, s0, v22
	v_add_nc_u32_e32 v117, s11, v115
	s_wait_alu 0xfffd
	v_add_co_ci_u32_e64 v110, null, s1, v23, vcc_lo
	v_lshlrev_b64_e32 v[22:23], 3, v[111:112]
	v_ashrrev_i32_e32 v116, 31, v115
	v_add_co_u32 v111, vcc_lo, s0, v113
	v_add_nc_u32_e32 v119, s11, v117
	s_wait_alu 0xfffd
	v_add_co_ci_u32_e64 v112, null, s1, v114, vcc_lo
	v_add_co_u32 v113, vcc_lo, s0, v22
	s_wait_alu 0xfffd
	v_add_co_ci_u32_e64 v114, null, s1, v23, vcc_lo
	v_lshlrev_b64_e32 v[22:23], 3, v[115:116]
	v_ashrrev_i32_e32 v118, 31, v117
	v_add_nc_u32_e32 v121, s11, v119
	v_ashrrev_i32_e32 v120, 31, v119
	s_clause 0x7
	global_load_b64 v[189:190], v[99:100], off
	global_load_b64 v[191:192], v[101:102], off
	;; [unrolled: 1-line block ×8, first 2 shown]
	v_lshlrev_b64_e32 v[117:118], 3, v[117:118]
	v_add_co_u32 v115, vcc_lo, s0, v22
	v_ashrrev_i32_e32 v122, 31, v121
	s_wait_alu 0xfffd
	v_add_co_ci_u32_e64 v116, null, s1, v23, vcc_lo
	v_lshlrev_b64_e32 v[22:23], 3, v[119:120]
	v_add_nc_u32_e32 v124, s11, v121
	v_lshlrev_b64_e32 v[122:123], 3, v[121:122]
	v_add_co_u32 v117, vcc_lo, s0, v117
	s_wait_alu 0xfffd
	v_add_co_ci_u32_e64 v118, null, s1, v118, vcc_lo
	v_add_co_u32 v119, vcc_lo, s0, v22
	v_ashrrev_i32_e32 v125, 31, v124
	v_add_nc_u32_e32 v22, s11, v124
	s_wait_alu 0xfffd
	v_add_co_ci_u32_e64 v120, null, s1, v23, vcc_lo
	v_add_co_u32 v121, vcc_lo, s0, v122
	s_wait_alu 0xfffd
	v_add_co_ci_u32_e64 v122, null, s1, v123, vcc_lo
	v_lshlrev_b64_e32 v[123:124], 3, v[124:125]
	v_add_nc_u32_e32 v125, s11, v22
	v_ashrrev_i32_e32 v23, 31, v22
	s_clause 0x3
	global_load_b64 v[205:206], v[115:116], off
	global_load_b64 v[207:208], v[117:118], off
	;; [unrolled: 1-line block ×4, first 2 shown]
	v_add_nc_u32_e32 v127, s11, v125
	v_lshlrev_b64_e32 v[22:23], 3, v[22:23]
	v_ashrrev_i32_e32 v126, 31, v125
	v_add_co_u32 v123, vcc_lo, s0, v123
	s_delay_alu instid0(VALU_DEP_4)
	v_add_nc_u32_e32 v131, s11, v127
	v_ashrrev_i32_e32 v128, 31, v127
	s_wait_alu 0xfffd
	v_add_co_ci_u32_e64 v124, null, s1, v124, vcc_lo
	v_lshlrev_b64_e32 v[129:130], 3, v[125:126]
	v_add_co_u32 v125, vcc_lo, s0, v22
	v_add_nc_u32_e32 v133, s11, v131
	s_wait_alu 0xfffd
	v_add_co_ci_u32_e64 v126, null, s1, v23, vcc_lo
	v_lshlrev_b64_e32 v[22:23], 3, v[127:128]
	v_ashrrev_i32_e32 v132, 31, v131
	v_ashrrev_i32_e32 v134, 31, v133
	v_add_co_u32 v127, vcc_lo, s0, v129
	s_wait_alu 0xfffd
	v_add_co_ci_u32_e64 v128, null, s1, v130, vcc_lo
	v_lshlrev_b64_e32 v[131:132], 3, v[131:132]
	v_add_co_u32 v129, vcc_lo, s0, v22
	s_wait_alu 0xfffd
	v_add_co_ci_u32_e64 v130, null, s1, v23, vcc_lo
	v_lshlrev_b64_e32 v[22:23], 3, v[133:134]
	s_delay_alu instid0(VALU_DEP_4) | instskip(SKIP_2) | instid1(VALU_DEP_3)
	v_add_co_u32 v131, vcc_lo, s0, v131
	s_wait_alu 0xfffd
	v_add_co_ci_u32_e64 v132, null, s1, v132, vcc_lo
	v_add_co_u32 v133, vcc_lo, s0, v22
	s_wait_alu 0xfffd
	v_add_co_ci_u32_e64 v134, null, s1, v23, vcc_lo
	s_clause 0x5
	global_load_b64 v[213:214], v[123:124], off
	global_load_b64 v[215:216], v[125:126], off
	;; [unrolled: 1-line block ×6, first 2 shown]
	s_mov_b32 s1, -1
	s_wait_loadcnt 0x35
	scratch_store_b128 off, v[1:4], off
	s_wait_loadcnt 0x33
	scratch_store_b128 off, v[5:8], off offset:16
	s_wait_loadcnt 0x31
	scratch_store_b128 off, v[9:12], off offset:32
	;; [unrolled: 2-line block ×26, first 2 shown]
	s_wait_loadcnt 0x0
	scratch_store_b64 off, v[22:23], off offset:432
	s_cbranch_scc1 .LBB54_232
; %bb.4:
	v_cmp_eq_u32_e64 s0, 0, v0
	s_and_saveexec_b32 s1, s0
; %bb.5:
	v_mov_b32_e32 v1, 0
	ds_store_b32 v1, v1 offset:440
; %bb.6:
	s_wait_alu 0xfffe
	s_or_b32 exec_lo, exec_lo, s1
	s_wait_storecnt_dscnt 0x0
	s_barrier_signal -1
	s_barrier_wait -1
	global_inv scope:SCOPE_SE
	scratch_load_b64 v[1:2], v13, off
	s_wait_loadcnt 0x0
	v_cmp_eq_f32_e32 vcc_lo, 0, v1
	v_cmp_eq_f32_e64 s1, 0, v2
	s_and_b32 s1, vcc_lo, s1
	s_wait_alu 0xfffe
	s_and_saveexec_b32 s4, s1
	s_cbranch_execz .LBB54_10
; %bb.7:
	v_mov_b32_e32 v1, 0
	s_mov_b32 s5, 0
	ds_load_b32 v2, v1 offset:440
	s_wait_dscnt 0x0
	v_readfirstlane_b32 s1, v2
	v_add_nc_u32_e32 v2, 1, v0
	s_cmp_eq_u32 s1, 0
	s_delay_alu instid0(VALU_DEP_1)
	v_cmp_gt_i32_e32 vcc_lo, s1, v2
	s_cselect_b32 s8, -1, 0
	s_wait_alu 0xfffe
	s_or_b32 s8, s8, vcc_lo
	s_wait_alu 0xfffe
	s_and_b32 exec_lo, exec_lo, s8
	s_cbranch_execz .LBB54_10
; %bb.8:
	v_mov_b32_e32 v3, s1
.LBB54_9:                               ; =>This Inner Loop Header: Depth=1
	ds_cmpstore_rtn_b32 v3, v1, v2, v3 offset:440
	s_wait_dscnt 0x0
	v_cmp_ne_u32_e32 vcc_lo, 0, v3
	v_cmp_le_i32_e64 s1, v3, v2
	s_and_b32 s1, vcc_lo, s1
	s_wait_alu 0xfffe
	s_and_b32 s1, exec_lo, s1
	s_wait_alu 0xfffe
	s_or_b32 s5, s1, s5
	s_wait_alu 0xfffe
	s_and_not1_b32 exec_lo, exec_lo, s5
	s_cbranch_execnz .LBB54_9
.LBB54_10:
	s_wait_alu 0xfffe
	s_or_b32 exec_lo, exec_lo, s4
	v_mov_b32_e32 v1, 0
	s_barrier_signal -1
	s_barrier_wait -1
	global_inv scope:SCOPE_SE
	ds_load_b32 v2, v1 offset:440
	s_and_saveexec_b32 s1, s0
	s_cbranch_execz .LBB54_12
; %bb.11:
	s_lshl_b64 s[4:5], s[16:17], 2
	s_wait_alu 0xfffe
	s_add_nc_u64 s[4:5], s[6:7], s[4:5]
	s_wait_dscnt 0x0
	global_store_b32 v1, v2, s[4:5]
.LBB54_12:
	s_wait_alu 0xfffe
	s_or_b32 exec_lo, exec_lo, s1
	s_wait_dscnt 0x0
	v_cmp_ne_u32_e32 vcc_lo, 0, v2
	s_mov_b32 s1, 0
	s_cbranch_vccnz .LBB54_232
; %bb.13:
	v_mov_b32_e32 v7, v13
                                        ; implicit-def: $vgpr3
                                        ; implicit-def: $vgpr5
	scratch_load_b64 v[1:2], v7, off
	s_wait_loadcnt 0x0
	v_cmp_ngt_f32_e64 s1, |v1|, |v2|
	s_wait_alu 0xfffe
	s_and_saveexec_b32 s4, s1
	s_wait_alu 0xfffe
	s_xor_b32 s1, exec_lo, s4
	s_cbranch_execz .LBB54_15
; %bb.14:
	v_div_scale_f32 v3, null, v2, v2, v1
	v_div_scale_f32 v6, vcc_lo, v1, v2, v1
	s_delay_alu instid0(VALU_DEP_2) | instskip(NEXT) | instid1(TRANS32_DEP_1)
	v_rcp_f32_e32 v4, v3
	v_fma_f32 v5, -v3, v4, 1.0
	s_delay_alu instid0(VALU_DEP_1) | instskip(NEXT) | instid1(VALU_DEP_1)
	v_fmac_f32_e32 v4, v5, v4
	v_mul_f32_e32 v5, v6, v4
	s_delay_alu instid0(VALU_DEP_1) | instskip(NEXT) | instid1(VALU_DEP_1)
	v_fma_f32 v8, -v3, v5, v6
	v_fmac_f32_e32 v5, v8, v4
	s_delay_alu instid0(VALU_DEP_1) | instskip(SKIP_1) | instid1(VALU_DEP_1)
	v_fma_f32 v3, -v3, v5, v6
	s_wait_alu 0xfffd
	v_div_fmas_f32 v3, v3, v4, v5
	s_delay_alu instid0(VALU_DEP_1) | instskip(NEXT) | instid1(VALU_DEP_1)
	v_div_fixup_f32 v3, v3, v2, v1
	v_fmac_f32_e32 v2, v1, v3
	s_delay_alu instid0(VALU_DEP_1) | instskip(NEXT) | instid1(VALU_DEP_1)
	v_div_scale_f32 v1, null, v2, v2, 1.0
	v_rcp_f32_e32 v4, v1
	s_delay_alu instid0(TRANS32_DEP_1) | instskip(NEXT) | instid1(VALU_DEP_1)
	v_fma_f32 v5, -v1, v4, 1.0
	v_fmac_f32_e32 v4, v5, v4
	v_div_scale_f32 v5, vcc_lo, 1.0, v2, 1.0
	s_delay_alu instid0(VALU_DEP_1) | instskip(NEXT) | instid1(VALU_DEP_1)
	v_mul_f32_e32 v6, v5, v4
	v_fma_f32 v8, -v1, v6, v5
	s_delay_alu instid0(VALU_DEP_1) | instskip(NEXT) | instid1(VALU_DEP_1)
	v_fmac_f32_e32 v6, v8, v4
	v_fma_f32 v1, -v1, v6, v5
	s_wait_alu 0xfffd
	s_delay_alu instid0(VALU_DEP_1) | instskip(NEXT) | instid1(VALU_DEP_1)
	v_div_fmas_f32 v1, v1, v4, v6
	v_div_fixup_f32 v1, v1, v2, 1.0
	s_delay_alu instid0(VALU_DEP_1) | instskip(SKIP_1) | instid1(VALU_DEP_2)
	v_mul_f32_e32 v3, v3, v1
	v_xor_b32_e32 v4, 0x80000000, v1
                                        ; implicit-def: $vgpr1_vgpr2
	v_xor_b32_e32 v5, 0x80000000, v3
.LBB54_15:
	s_wait_alu 0xfffe
	s_and_not1_saveexec_b32 s1, s1
	s_cbranch_execz .LBB54_17
; %bb.16:
	v_div_scale_f32 v3, null, v1, v1, v2
	v_div_scale_f32 v6, vcc_lo, v2, v1, v2
	s_delay_alu instid0(VALU_DEP_2) | instskip(NEXT) | instid1(TRANS32_DEP_1)
	v_rcp_f32_e32 v4, v3
	v_fma_f32 v5, -v3, v4, 1.0
	s_delay_alu instid0(VALU_DEP_1) | instskip(NEXT) | instid1(VALU_DEP_1)
	v_fmac_f32_e32 v4, v5, v4
	v_mul_f32_e32 v5, v6, v4
	s_delay_alu instid0(VALU_DEP_1) | instskip(NEXT) | instid1(VALU_DEP_1)
	v_fma_f32 v8, -v3, v5, v6
	v_fmac_f32_e32 v5, v8, v4
	s_delay_alu instid0(VALU_DEP_1) | instskip(SKIP_1) | instid1(VALU_DEP_1)
	v_fma_f32 v3, -v3, v5, v6
	s_wait_alu 0xfffd
	v_div_fmas_f32 v3, v3, v4, v5
	s_delay_alu instid0(VALU_DEP_1) | instskip(NEXT) | instid1(VALU_DEP_1)
	v_div_fixup_f32 v4, v3, v1, v2
	v_fmac_f32_e32 v1, v2, v4
	s_delay_alu instid0(VALU_DEP_1) | instskip(SKIP_1) | instid1(VALU_DEP_2)
	v_div_scale_f32 v2, null, v1, v1, 1.0
	v_div_scale_f32 v6, vcc_lo, 1.0, v1, 1.0
	v_rcp_f32_e32 v3, v2
	s_delay_alu instid0(TRANS32_DEP_1) | instskip(NEXT) | instid1(VALU_DEP_1)
	v_fma_f32 v5, -v2, v3, 1.0
	v_fmac_f32_e32 v3, v5, v3
	s_delay_alu instid0(VALU_DEP_1) | instskip(NEXT) | instid1(VALU_DEP_1)
	v_mul_f32_e32 v5, v6, v3
	v_fma_f32 v8, -v2, v5, v6
	s_delay_alu instid0(VALU_DEP_1) | instskip(NEXT) | instid1(VALU_DEP_1)
	v_fmac_f32_e32 v5, v8, v3
	v_fma_f32 v2, -v2, v5, v6
	s_wait_alu 0xfffd
	s_delay_alu instid0(VALU_DEP_1) | instskip(NEXT) | instid1(VALU_DEP_1)
	v_div_fmas_f32 v2, v2, v3, v5
	v_div_fixup_f32 v3, v2, v1, 1.0
	s_delay_alu instid0(VALU_DEP_1)
	v_xor_b32_e32 v5, 0x80000000, v3
	v_mul_f32_e64 v4, v4, -v3
.LBB54_17:
	s_wait_alu 0xfffe
	s_or_b32 exec_lo, exec_lo, s1
	scratch_store_b64 v7, v[3:4], off
	scratch_load_b64 v[2:3], off, off offset:8
	v_xor_b32_e32 v6, 0x80000000, v4
	v_add_nc_u32_e32 v1, 0x1c0, v13
	s_wait_loadcnt 0x0
	ds_store_2addr_b64 v13, v[5:6], v[2:3] offset1:56
	s_wait_storecnt_dscnt 0x0
	s_barrier_signal -1
	s_barrier_wait -1
	global_inv scope:SCOPE_SE
	s_and_saveexec_b32 s1, s0
	s_cbranch_execz .LBB54_19
; %bb.18:
	scratch_load_b64 v[2:3], v7, off
	ds_load_b64 v[4:5], v1
	v_mov_b32_e32 v6, 0
	ds_load_b64 v[8:9], v6 offset:8
	s_wait_loadcnt_dscnt 0x1
	v_mul_f32_e32 v6, v4, v3
	v_mul_f32_e32 v3, v5, v3
	s_delay_alu instid0(VALU_DEP_2) | instskip(NEXT) | instid1(VALU_DEP_2)
	v_fmac_f32_e32 v6, v5, v2
	v_fma_f32 v2, v4, v2, -v3
	s_delay_alu instid0(VALU_DEP_2) | instskip(SKIP_1) | instid1(VALU_DEP_1)
	v_add_f32_e32 v4, 0, v6
	s_wait_dscnt 0x0
	v_dual_add_f32 v2, 0, v2 :: v_dual_mul_f32 v5, v4, v9
	s_delay_alu instid0(VALU_DEP_1) | instskip(NEXT) | instid1(VALU_DEP_1)
	v_mul_f32_e32 v3, v2, v9
	v_fmac_f32_e32 v3, v4, v8
	s_delay_alu instid0(VALU_DEP_3)
	v_fma_f32 v2, v2, v8, -v5
	scratch_store_b64 off, v[2:3], off offset:8
.LBB54_19:
	s_wait_alu 0xfffe
	s_or_b32 exec_lo, exec_lo, s1
	s_wait_loadcnt 0x0
	s_wait_storecnt 0x0
	s_barrier_signal -1
	s_barrier_wait -1
	global_inv scope:SCOPE_SE
	scratch_load_b64 v[2:3], off, off offset:16
	s_mov_b32 s1, exec_lo
	s_wait_loadcnt 0x0
	ds_store_b64 v1, v[2:3]
	s_wait_dscnt 0x0
	s_barrier_signal -1
	s_barrier_wait -1
	global_inv scope:SCOPE_SE
	v_cmpx_gt_u32_e32 2, v0
	s_cbranch_execz .LBB54_23
; %bb.20:
	scratch_load_b64 v[2:3], v7, off
	ds_load_b64 v[4:5], v1
	s_wait_loadcnt_dscnt 0x0
	v_mul_f32_e32 v6, v5, v3
	v_mul_f32_e32 v8, v4, v3
	s_delay_alu instid0(VALU_DEP_2) | instskip(NEXT) | instid1(VALU_DEP_1)
	v_fma_f32 v3, v4, v2, -v6
	v_dual_fmac_f32 v8, v5, v2 :: v_dual_add_f32 v3, 0, v3
	s_delay_alu instid0(VALU_DEP_1)
	v_add_f32_e32 v2, 0, v8
	s_and_saveexec_b32 s4, s0
	s_cbranch_execz .LBB54_22
; %bb.21:
	scratch_load_b64 v[4:5], off, off offset:8
	v_mov_b32_e32 v6, 0
	ds_load_b64 v[8:9], v6 offset:456
	s_wait_loadcnt_dscnt 0x0
	v_mul_f32_e32 v6, v8, v5
	v_mul_f32_e32 v5, v9, v5
	s_delay_alu instid0(VALU_DEP_2) | instskip(NEXT) | instid1(VALU_DEP_2)
	v_fmac_f32_e32 v6, v9, v4
	v_fma_f32 v4, v8, v4, -v5
	s_delay_alu instid0(VALU_DEP_1)
	v_dual_add_f32 v2, v2, v6 :: v_dual_add_f32 v3, v3, v4
.LBB54_22:
	s_wait_alu 0xfffe
	s_or_b32 exec_lo, exec_lo, s4
	v_mov_b32_e32 v4, 0
	ds_load_b64 v[4:5], v4 offset:16
	s_wait_dscnt 0x0
	v_mul_f32_e32 v8, v2, v5
	v_mul_f32_e32 v6, v3, v5
	s_delay_alu instid0(VALU_DEP_2) | instskip(NEXT) | instid1(VALU_DEP_2)
	v_fma_f32 v5, v3, v4, -v8
	v_fmac_f32_e32 v6, v2, v4
	scratch_store_b64 off, v[5:6], off offset:16
.LBB54_23:
	s_wait_alu 0xfffe
	s_or_b32 exec_lo, exec_lo, s1
	s_wait_loadcnt 0x0
	s_wait_storecnt 0x0
	s_barrier_signal -1
	s_barrier_wait -1
	global_inv scope:SCOPE_SE
	scratch_load_b64 v[3:4], off, off offset:24
	v_add_nc_u32_e32 v2, -1, v0
	s_mov_b32 s0, exec_lo
	s_wait_loadcnt 0x0
	ds_store_b64 v1, v[3:4]
	s_wait_dscnt 0x0
	s_barrier_signal -1
	s_barrier_wait -1
	global_inv scope:SCOPE_SE
	v_cmpx_gt_u32_e32 3, v0
	s_cbranch_execz .LBB54_27
; %bb.24:
	v_dual_mov_b32 v3, 0 :: v_dual_add_nc_u32 v4, -1, v0
	v_dual_mov_b32 v6, v13 :: v_dual_add_nc_u32 v5, 0x1c0, v13
	v_mov_b32_e32 v8, 0
	s_mov_b32 s1, 0
.LBB54_25:                              ; =>This Inner Loop Header: Depth=1
	scratch_load_b64 v[9:10], v6, off
	ds_load_b64 v[11:12], v5
	v_add_nc_u32_e32 v6, 8, v6
	s_wait_loadcnt_dscnt 0x0
	v_dual_mul_f32 v14, v12, v10 :: v_dual_add_nc_u32 v5, 8, v5
	v_mul_f32_e32 v10, v11, v10
	s_delay_alu instid0(VALU_DEP_2) | instskip(NEXT) | instid1(VALU_DEP_2)
	v_fma_f32 v11, v11, v9, -v14
	v_fmac_f32_e32 v10, v12, v9
	v_add_nc_u32_e32 v4, 1, v4
	s_delay_alu instid0(VALU_DEP_2) | instskip(NEXT) | instid1(VALU_DEP_2)
	v_dual_add_f32 v8, v8, v11 :: v_dual_add_f32 v3, v3, v10
	v_cmp_lt_u32_e32 vcc_lo, 1, v4
	s_wait_alu 0xfffe
	s_or_b32 s1, vcc_lo, s1
	s_wait_alu 0xfffe
	s_and_not1_b32 exec_lo, exec_lo, s1
	s_cbranch_execnz .LBB54_25
; %bb.26:
	s_or_b32 exec_lo, exec_lo, s1
	v_mov_b32_e32 v4, 0
	ds_load_b64 v[4:5], v4 offset:24
	s_wait_dscnt 0x0
	v_mul_f32_e32 v9, v3, v5
	v_mul_f32_e32 v6, v8, v5
	s_delay_alu instid0(VALU_DEP_2) | instskip(NEXT) | instid1(VALU_DEP_2)
	v_fma_f32 v5, v8, v4, -v9
	v_fmac_f32_e32 v6, v3, v4
	scratch_store_b64 off, v[5:6], off offset:24
.LBB54_27:
	s_wait_alu 0xfffe
	s_or_b32 exec_lo, exec_lo, s0
	s_wait_loadcnt 0x0
	s_wait_storecnt 0x0
	s_barrier_signal -1
	s_barrier_wait -1
	global_inv scope:SCOPE_SE
	scratch_load_b64 v[3:4], off, off offset:32
	s_mov_b32 s0, exec_lo
	s_wait_loadcnt 0x0
	ds_store_b64 v1, v[3:4]
	s_wait_dscnt 0x0
	s_barrier_signal -1
	s_barrier_wait -1
	global_inv scope:SCOPE_SE
	v_cmpx_gt_u32_e32 4, v0
	s_cbranch_execz .LBB54_31
; %bb.28:
	v_dual_mov_b32 v3, 0 :: v_dual_add_nc_u32 v4, -1, v0
	v_dual_mov_b32 v6, v13 :: v_dual_add_nc_u32 v5, 0x1c0, v13
	v_mov_b32_e32 v8, 0
	s_mov_b32 s1, 0
.LBB54_29:                              ; =>This Inner Loop Header: Depth=1
	scratch_load_b64 v[9:10], v6, off
	ds_load_b64 v[11:12], v5
	v_add_nc_u32_e32 v6, 8, v6
	s_wait_loadcnt_dscnt 0x0
	v_dual_mul_f32 v14, v12, v10 :: v_dual_add_nc_u32 v5, 8, v5
	v_mul_f32_e32 v10, v11, v10
	s_delay_alu instid0(VALU_DEP_2) | instskip(NEXT) | instid1(VALU_DEP_2)
	v_fma_f32 v11, v11, v9, -v14
	v_fmac_f32_e32 v10, v12, v9
	v_add_nc_u32_e32 v4, 1, v4
	s_delay_alu instid0(VALU_DEP_2) | instskip(NEXT) | instid1(VALU_DEP_2)
	v_dual_add_f32 v8, v8, v11 :: v_dual_add_f32 v3, v3, v10
	v_cmp_lt_u32_e32 vcc_lo, 2, v4
	s_wait_alu 0xfffe
	s_or_b32 s1, vcc_lo, s1
	s_wait_alu 0xfffe
	s_and_not1_b32 exec_lo, exec_lo, s1
	s_cbranch_execnz .LBB54_29
; %bb.30:
	s_or_b32 exec_lo, exec_lo, s1
	v_mov_b32_e32 v4, 0
	ds_load_b64 v[4:5], v4 offset:32
	s_wait_dscnt 0x0
	v_mul_f32_e32 v9, v3, v5
	v_mul_f32_e32 v6, v8, v5
	s_delay_alu instid0(VALU_DEP_2) | instskip(NEXT) | instid1(VALU_DEP_2)
	v_fma_f32 v5, v8, v4, -v9
	v_fmac_f32_e32 v6, v3, v4
	scratch_store_b64 off, v[5:6], off offset:32
.LBB54_31:
	s_wait_alu 0xfffe
	s_or_b32 exec_lo, exec_lo, s0
	s_wait_loadcnt 0x0
	s_wait_storecnt 0x0
	s_barrier_signal -1
	s_barrier_wait -1
	global_inv scope:SCOPE_SE
	scratch_load_b64 v[3:4], off, off offset:40
	;; [unrolled: 53-line block ×19, first 2 shown]
	s_mov_b32 s0, exec_lo
	s_wait_loadcnt 0x0
	ds_store_b64 v1, v[3:4]
	s_wait_dscnt 0x0
	s_barrier_signal -1
	s_barrier_wait -1
	global_inv scope:SCOPE_SE
	v_cmpx_gt_u32_e32 22, v0
	s_cbranch_execz .LBB54_103
; %bb.100:
	v_dual_mov_b32 v3, 0 :: v_dual_add_nc_u32 v4, -1, v0
	v_dual_mov_b32 v6, v13 :: v_dual_add_nc_u32 v5, 0x1c0, v13
	v_mov_b32_e32 v8, 0
	s_mov_b32 s1, 0
.LBB54_101:                             ; =>This Inner Loop Header: Depth=1
	scratch_load_b64 v[9:10], v6, off
	ds_load_b64 v[11:12], v5
	v_add_nc_u32_e32 v6, 8, v6
	s_wait_loadcnt_dscnt 0x0
	v_dual_mul_f32 v14, v12, v10 :: v_dual_add_nc_u32 v5, 8, v5
	v_mul_f32_e32 v10, v11, v10
	s_delay_alu instid0(VALU_DEP_2) | instskip(NEXT) | instid1(VALU_DEP_2)
	v_fma_f32 v11, v11, v9, -v14
	v_fmac_f32_e32 v10, v12, v9
	v_add_nc_u32_e32 v4, 1, v4
	s_delay_alu instid0(VALU_DEP_2) | instskip(NEXT) | instid1(VALU_DEP_2)
	v_dual_add_f32 v8, v8, v11 :: v_dual_add_f32 v3, v3, v10
	v_cmp_lt_u32_e32 vcc_lo, 20, v4
	s_wait_alu 0xfffe
	s_or_b32 s1, vcc_lo, s1
	s_wait_alu 0xfffe
	s_and_not1_b32 exec_lo, exec_lo, s1
	s_cbranch_execnz .LBB54_101
; %bb.102:
	s_or_b32 exec_lo, exec_lo, s1
	v_mov_b32_e32 v4, 0
	ds_load_b64 v[4:5], v4 offset:176
	s_wait_dscnt 0x0
	v_mul_f32_e32 v9, v3, v5
	v_mul_f32_e32 v6, v8, v5
	s_delay_alu instid0(VALU_DEP_2) | instskip(NEXT) | instid1(VALU_DEP_2)
	v_fma_f32 v5, v8, v4, -v9
	v_fmac_f32_e32 v6, v3, v4
	scratch_store_b64 off, v[5:6], off offset:176
.LBB54_103:
	s_wait_alu 0xfffe
	s_or_b32 exec_lo, exec_lo, s0
	s_wait_loadcnt 0x0
	s_wait_storecnt 0x0
	s_barrier_signal -1
	s_barrier_wait -1
	global_inv scope:SCOPE_SE
	scratch_load_b64 v[3:4], off, off offset:184
	s_mov_b32 s0, exec_lo
	s_wait_loadcnt 0x0
	ds_store_b64 v1, v[3:4]
	s_wait_dscnt 0x0
	s_barrier_signal -1
	s_barrier_wait -1
	global_inv scope:SCOPE_SE
	v_cmpx_gt_u32_e32 23, v0
	s_cbranch_execz .LBB54_107
; %bb.104:
	v_dual_mov_b32 v3, 0 :: v_dual_add_nc_u32 v4, -1, v0
	v_dual_mov_b32 v6, v13 :: v_dual_add_nc_u32 v5, 0x1c0, v13
	v_mov_b32_e32 v8, 0
	s_mov_b32 s1, 0
.LBB54_105:                             ; =>This Inner Loop Header: Depth=1
	scratch_load_b64 v[9:10], v6, off
	ds_load_b64 v[11:12], v5
	v_add_nc_u32_e32 v6, 8, v6
	s_wait_loadcnt_dscnt 0x0
	v_dual_mul_f32 v14, v12, v10 :: v_dual_add_nc_u32 v5, 8, v5
	v_mul_f32_e32 v10, v11, v10
	s_delay_alu instid0(VALU_DEP_2) | instskip(NEXT) | instid1(VALU_DEP_2)
	v_fma_f32 v11, v11, v9, -v14
	v_fmac_f32_e32 v10, v12, v9
	v_add_nc_u32_e32 v4, 1, v4
	s_delay_alu instid0(VALU_DEP_2) | instskip(NEXT) | instid1(VALU_DEP_2)
	v_dual_add_f32 v8, v8, v11 :: v_dual_add_f32 v3, v3, v10
	v_cmp_lt_u32_e32 vcc_lo, 21, v4
	s_wait_alu 0xfffe
	s_or_b32 s1, vcc_lo, s1
	s_wait_alu 0xfffe
	s_and_not1_b32 exec_lo, exec_lo, s1
	s_cbranch_execnz .LBB54_105
; %bb.106:
	s_or_b32 exec_lo, exec_lo, s1
	v_mov_b32_e32 v4, 0
	ds_load_b64 v[4:5], v4 offset:184
	s_wait_dscnt 0x0
	v_mul_f32_e32 v9, v3, v5
	v_mul_f32_e32 v6, v8, v5
	s_delay_alu instid0(VALU_DEP_2) | instskip(NEXT) | instid1(VALU_DEP_2)
	v_fma_f32 v5, v8, v4, -v9
	v_fmac_f32_e32 v6, v3, v4
	scratch_store_b64 off, v[5:6], off offset:184
.LBB54_107:
	s_wait_alu 0xfffe
	s_or_b32 exec_lo, exec_lo, s0
	s_wait_loadcnt 0x0
	s_wait_storecnt 0x0
	s_barrier_signal -1
	s_barrier_wait -1
	global_inv scope:SCOPE_SE
	scratch_load_b64 v[3:4], off, off offset:192
	;; [unrolled: 53-line block ×31, first 2 shown]
	s_mov_b32 s0, exec_lo
	s_wait_loadcnt 0x0
	ds_store_b64 v1, v[3:4]
	s_wait_dscnt 0x0
	s_barrier_signal -1
	s_barrier_wait -1
	global_inv scope:SCOPE_SE
	v_cmpx_gt_u32_e32 53, v0
	s_cbranch_execz .LBB54_227
; %bb.224:
	v_dual_mov_b32 v3, 0 :: v_dual_add_nc_u32 v4, -1, v0
	v_dual_mov_b32 v6, v13 :: v_dual_add_nc_u32 v5, 0x1c0, v13
	v_mov_b32_e32 v8, 0
	s_mov_b32 s1, 0
.LBB54_225:                             ; =>This Inner Loop Header: Depth=1
	scratch_load_b64 v[9:10], v6, off
	ds_load_b64 v[11:12], v5
	v_add_nc_u32_e32 v6, 8, v6
	v_add_nc_u32_e32 v4, 1, v4
	;; [unrolled: 1-line block ×3, first 2 shown]
	s_delay_alu instid0(VALU_DEP_2)
	v_cmp_lt_u32_e32 vcc_lo, 51, v4
	s_wait_alu 0xfffe
	s_or_b32 s1, vcc_lo, s1
	s_wait_loadcnt_dscnt 0x0
	v_mul_f32_e32 v13, v12, v10
	v_mul_f32_e32 v10, v11, v10
	s_delay_alu instid0(VALU_DEP_2) | instskip(NEXT) | instid1(VALU_DEP_2)
	v_fma_f32 v11, v11, v9, -v13
	v_fmac_f32_e32 v10, v12, v9
	s_delay_alu instid0(VALU_DEP_1)
	v_dual_add_f32 v8, v8, v11 :: v_dual_add_f32 v3, v3, v10
	s_wait_alu 0xfffe
	s_and_not1_b32 exec_lo, exec_lo, s1
	s_cbranch_execnz .LBB54_225
; %bb.226:
	s_or_b32 exec_lo, exec_lo, s1
	v_mov_b32_e32 v4, 0
	ds_load_b64 v[4:5], v4 offset:424
	s_wait_dscnt 0x0
	v_mul_f32_e32 v9, v3, v5
	v_mul_f32_e32 v6, v8, v5
	s_delay_alu instid0(VALU_DEP_2) | instskip(NEXT) | instid1(VALU_DEP_2)
	v_fma_f32 v5, v8, v4, -v9
	v_fmac_f32_e32 v6, v3, v4
	scratch_store_b64 off, v[5:6], off offset:424
.LBB54_227:
	s_wait_alu 0xfffe
	s_or_b32 exec_lo, exec_lo, s0
	s_wait_loadcnt 0x0
	s_wait_storecnt 0x0
	s_barrier_signal -1
	s_barrier_wait -1
	global_inv scope:SCOPE_SE
	scratch_load_b64 v[3:4], off, off offset:432
	s_mov_b32 s0, exec_lo
	s_wait_loadcnt 0x0
	ds_store_b64 v1, v[3:4]
	s_wait_dscnt 0x0
	s_barrier_signal -1
	s_barrier_wait -1
	global_inv scope:SCOPE_SE
	v_cmpx_ne_u32_e32 54, v0
	s_cbranch_execz .LBB54_231
; %bb.228:
	v_dual_mov_b32 v3, 0 :: v_dual_mov_b32 v4, 0
	s_mov_b32 s1, 0
.LBB54_229:                             ; =>This Inner Loop Header: Depth=1
	scratch_load_b64 v[5:6], v7, off
	ds_load_b64 v[8:9], v1
	v_add_nc_u32_e32 v2, 1, v2
	v_add_nc_u32_e32 v1, 8, v1
	;; [unrolled: 1-line block ×3, first 2 shown]
	s_delay_alu instid0(VALU_DEP_3)
	v_cmp_lt_u32_e32 vcc_lo, 52, v2
	s_wait_alu 0xfffe
	s_or_b32 s1, vcc_lo, s1
	s_wait_loadcnt_dscnt 0x0
	v_mul_f32_e32 v10, v9, v6
	v_mul_f32_e32 v6, v8, v6
	s_delay_alu instid0(VALU_DEP_2) | instskip(NEXT) | instid1(VALU_DEP_2)
	v_fma_f32 v8, v8, v5, -v10
	v_fmac_f32_e32 v6, v9, v5
	s_delay_alu instid0(VALU_DEP_1)
	v_dual_add_f32 v4, v4, v8 :: v_dual_add_f32 v3, v3, v6
	s_wait_alu 0xfffe
	s_and_not1_b32 exec_lo, exec_lo, s1
	s_cbranch_execnz .LBB54_229
; %bb.230:
	s_or_b32 exec_lo, exec_lo, s1
	v_mov_b32_e32 v1, 0
	ds_load_b64 v[1:2], v1 offset:432
	s_wait_dscnt 0x0
	v_mul_f32_e32 v6, v3, v2
	v_mul_f32_e32 v5, v4, v2
	s_delay_alu instid0(VALU_DEP_2) | instskip(NEXT) | instid1(VALU_DEP_2)
	v_fma_f32 v4, v4, v1, -v6
	v_fmac_f32_e32 v5, v3, v1
	scratch_store_b64 off, v[4:5], off offset:432
.LBB54_231:
	s_wait_alu 0xfffe
	s_or_b32 exec_lo, exec_lo, s0
	s_mov_b32 s1, -1
	s_wait_loadcnt 0x0
	s_wait_storecnt 0x0
	s_barrier_signal -1
	s_barrier_wait -1
	global_inv scope:SCOPE_SE
.LBB54_232:
	s_wait_alu 0xfffe
	s_and_b32 vcc_lo, exec_lo, s1
	s_wait_alu 0xfffe
	s_cbranch_vccz .LBB54_234
; %bb.233:
	v_mov_b32_e32 v1, 0
	s_lshl_b64 s[0:1], s[16:17], 2
	s_wait_alu 0xfffe
	s_add_nc_u64 s[0:1], s[6:7], s[0:1]
	global_load_b32 v1, v1, s[0:1]
	s_wait_loadcnt 0x0
	v_cmp_ne_u32_e32 vcc_lo, 0, v1
	s_cbranch_vccz .LBB54_235
.LBB54_234:
	s_nop 0
	s_sendmsg sendmsg(MSG_DEALLOC_VGPRS)
	s_endpgm
.LBB54_235:
	v_lshl_add_u32 v137, v0, 3, 0x1c0
	s_mov_b32 s0, exec_lo
	v_cmpx_eq_u32_e32 54, v0
	s_cbranch_execz .LBB54_237
; %bb.236:
	scratch_load_b64 v[1:2], off, off offset:424
	v_mov_b32_e32 v3, 0
	s_delay_alu instid0(VALU_DEP_1)
	v_mov_b32_e32 v4, v3
	scratch_store_b64 off, v[3:4], off offset:424
	s_wait_loadcnt 0x0
	ds_store_b64 v137, v[1:2]
.LBB54_237:
	s_wait_alu 0xfffe
	s_or_b32 exec_lo, exec_lo, s0
	s_wait_storecnt_dscnt 0x0
	s_barrier_signal -1
	s_barrier_wait -1
	global_inv scope:SCOPE_SE
	s_clause 0x1
	scratch_load_b64 v[2:3], off, off offset:432
	scratch_load_b64 v[4:5], off, off offset:424
	v_mov_b32_e32 v1, 0
	s_mov_b32 s0, exec_lo
	ds_load_b64 v[6:7], v1 offset:880
	s_wait_loadcnt_dscnt 0x100
	v_mul_f32_e32 v8, v7, v3
	v_mul_f32_e32 v3, v6, v3
	s_delay_alu instid0(VALU_DEP_2) | instskip(NEXT) | instid1(VALU_DEP_2)
	v_fma_f32 v6, v6, v2, -v8
	v_fmac_f32_e32 v3, v7, v2
	s_delay_alu instid0(VALU_DEP_1) | instskip(SKIP_1) | instid1(VALU_DEP_1)
	v_dual_add_f32 v2, 0, v6 :: v_dual_add_f32 v3, 0, v3
	s_wait_loadcnt 0x0
	v_dual_sub_f32 v2, v4, v2 :: v_dual_sub_f32 v3, v5, v3
	scratch_store_b64 off, v[2:3], off offset:424
	v_cmpx_lt_u32_e32 52, v0
	s_cbranch_execz .LBB54_239
; %bb.238:
	scratch_load_b64 v[3:4], off, off offset:416
	v_mov_b32_e32 v2, v1
	scratch_store_b64 off, v[1:2], off offset:416
	s_wait_loadcnt 0x0
	ds_store_b64 v137, v[3:4]
.LBB54_239:
	s_wait_alu 0xfffe
	s_or_b32 exec_lo, exec_lo, s0
	s_wait_storecnt_dscnt 0x0
	s_barrier_signal -1
	s_barrier_wait -1
	global_inv scope:SCOPE_SE
	s_clause 0x1
	scratch_load_b128 v[2:5], off, off offset:424
	scratch_load_b64 v[10:11], off, off offset:416
	ds_load_2addr_b64 v[6:9], v1 offset0:109 offset1:110
	s_mov_b32 s0, exec_lo
	s_wait_loadcnt_dscnt 0x100
	v_dual_mul_f32 v1, v7, v3 :: v_dual_mul_f32 v12, v8, v5
	v_mul_f32_e32 v3, v6, v3
	s_delay_alu instid0(VALU_DEP_2) | instskip(NEXT) | instid1(VALU_DEP_2)
	v_fma_f32 v1, v6, v2, -v1
	v_dual_fmac_f32 v12, v9, v4 :: v_dual_fmac_f32 v3, v7, v2
	s_delay_alu instid0(VALU_DEP_2) | instskip(NEXT) | instid1(VALU_DEP_2)
	v_add_f32_e32 v1, 0, v1
	v_add_f32_e32 v3, 0, v3
	v_mul_f32_e32 v5, v9, v5
	s_delay_alu instid0(VALU_DEP_1) | instskip(NEXT) | instid1(VALU_DEP_1)
	v_fma_f32 v2, v8, v4, -v5
	v_dual_add_f32 v1, v1, v2 :: v_dual_add_f32 v2, v3, v12
	s_wait_loadcnt 0x0
	s_delay_alu instid0(VALU_DEP_1)
	v_dual_sub_f32 v1, v10, v1 :: v_dual_sub_f32 v2, v11, v2
	scratch_store_b64 off, v[1:2], off offset:416
	v_cmpx_lt_u32_e32 51, v0
	s_cbranch_execz .LBB54_241
; %bb.240:
	scratch_load_b64 v[1:2], off, off offset:408
	v_mov_b32_e32 v3, 0
	s_delay_alu instid0(VALU_DEP_1)
	v_mov_b32_e32 v4, v3
	scratch_store_b64 off, v[3:4], off offset:408
	s_wait_loadcnt 0x0
	ds_store_b64 v137, v[1:2]
.LBB54_241:
	s_wait_alu 0xfffe
	s_or_b32 exec_lo, exec_lo, s0
	s_wait_storecnt_dscnt 0x0
	s_barrier_signal -1
	s_barrier_wait -1
	global_inv scope:SCOPE_SE
	s_clause 0x2
	scratch_load_b128 v[2:5], off, off offset:416
	scratch_load_b64 v[10:11], off, off offset:432
	scratch_load_b64 v[12:13], off, off offset:408
	v_mov_b32_e32 v1, 0
	ds_load_b128 v[6:9], v1 offset:864
	ds_load_b64 v[14:15], v1 offset:880
	s_mov_b32 s0, exec_lo
	s_wait_loadcnt_dscnt 0x201
	v_dual_mul_f32 v16, v7, v3 :: v_dual_mul_f32 v17, v8, v5
	s_wait_loadcnt_dscnt 0x100
	v_mul_f32_e32 v18, v14, v11
	v_mul_f32_e32 v3, v6, v3
	;; [unrolled: 1-line block ×3, first 2 shown]
	v_fma_f32 v6, v6, v2, -v16
	s_delay_alu instid0(VALU_DEP_4) | instskip(NEXT) | instid1(VALU_DEP_4)
	v_fmac_f32_e32 v18, v15, v10
	v_fmac_f32_e32 v3, v7, v2
	v_mul_f32_e32 v2, v15, v11
	s_delay_alu instid0(VALU_DEP_1) | instskip(SKIP_3) | instid1(VALU_DEP_1)
	v_fma_f32 v2, v14, v10, -v2
	v_fmac_f32_e32 v17, v9, v4
	v_fma_f32 v4, v8, v4, -v5
	v_add_f32_e32 v5, 0, v6
	v_add_f32_e32 v4, v5, v4
	s_delay_alu instid0(VALU_DEP_1) | instskip(SKIP_1) | instid1(VALU_DEP_1)
	v_dual_add_f32 v2, v4, v2 :: v_dual_add_f32 v3, 0, v3
	s_wait_loadcnt 0x0
	v_dual_sub_f32 v2, v12, v2 :: v_dual_add_f32 v3, v3, v17
	s_delay_alu instid0(VALU_DEP_1) | instskip(NEXT) | instid1(VALU_DEP_1)
	v_add_f32_e32 v3, v3, v18
	v_sub_f32_e32 v3, v13, v3
	scratch_store_b64 off, v[2:3], off offset:408
	v_cmpx_lt_u32_e32 50, v0
	s_cbranch_execz .LBB54_243
; %bb.242:
	scratch_load_b64 v[3:4], off, off offset:400
	v_mov_b32_e32 v2, v1
	scratch_store_b64 off, v[1:2], off offset:400
	s_wait_loadcnt 0x0
	ds_store_b64 v137, v[3:4]
.LBB54_243:
	s_wait_alu 0xfffe
	s_or_b32 exec_lo, exec_lo, s0
	s_wait_storecnt_dscnt 0x0
	s_barrier_signal -1
	s_barrier_wait -1
	global_inv scope:SCOPE_SE
	s_clause 0x2
	scratch_load_b128 v[2:5], off, off offset:408
	scratch_load_b128 v[6:9], off, off offset:424
	scratch_load_b64 v[18:19], off, off offset:400
	ds_load_2addr_b64 v[10:13], v1 offset0:107 offset1:108
	ds_load_2addr_b64 v[14:17], v1 offset0:109 offset1:110
	s_mov_b32 s0, exec_lo
	s_wait_loadcnt_dscnt 0x201
	v_dual_mul_f32 v1, v10, v3 :: v_dual_mul_f32 v20, v12, v5
	s_wait_loadcnt_dscnt 0x100
	v_dual_mul_f32 v3, v11, v3 :: v_dual_mul_f32 v22, v16, v9
	v_mul_f32_e32 v5, v13, v5
	s_delay_alu instid0(VALU_DEP_3) | instskip(NEXT) | instid1(VALU_DEP_3)
	v_dual_mul_f32 v21, v14, v7 :: v_dual_fmac_f32 v20, v13, v4
	v_fma_f32 v3, v10, v2, -v3
	s_delay_alu instid0(VALU_DEP_4) | instskip(SKIP_2) | instid1(VALU_DEP_4)
	v_dual_fmac_f32 v1, v11, v2 :: v_dual_fmac_f32 v22, v17, v8
	v_mul_f32_e32 v2, v15, v7
	v_fma_f32 v4, v12, v4, -v5
	v_add_f32_e32 v3, 0, v3
	v_fmac_f32_e32 v21, v15, v6
	s_delay_alu instid0(VALU_DEP_4) | instskip(NEXT) | instid1(VALU_DEP_3)
	v_fma_f32 v2, v14, v6, -v2
	v_add_f32_e32 v3, v3, v4
	s_delay_alu instid0(VALU_DEP_1) | instskip(NEXT) | instid1(VALU_DEP_1)
	v_dual_add_f32 v1, 0, v1 :: v_dual_add_f32 v2, v3, v2
	v_add_f32_e32 v1, v1, v20
	s_delay_alu instid0(VALU_DEP_1) | instskip(NEXT) | instid1(VALU_DEP_1)
	v_add_f32_e32 v1, v1, v21
	v_add_f32_e32 v3, v1, v22
	v_mul_f32_e32 v5, v17, v9
	s_delay_alu instid0(VALU_DEP_1) | instskip(NEXT) | instid1(VALU_DEP_1)
	v_fma_f32 v4, v16, v8, -v5
	v_add_f32_e32 v2, v2, v4
	s_wait_loadcnt 0x0
	s_delay_alu instid0(VALU_DEP_1)
	v_dual_sub_f32 v1, v18, v2 :: v_dual_sub_f32 v2, v19, v3
	scratch_store_b64 off, v[1:2], off offset:400
	v_cmpx_lt_u32_e32 49, v0
	s_cbranch_execz .LBB54_245
; %bb.244:
	scratch_load_b64 v[1:2], off, off offset:392
	v_mov_b32_e32 v3, 0
	s_delay_alu instid0(VALU_DEP_1)
	v_mov_b32_e32 v4, v3
	scratch_store_b64 off, v[3:4], off offset:392
	s_wait_loadcnt 0x0
	ds_store_b64 v137, v[1:2]
.LBB54_245:
	s_wait_alu 0xfffe
	s_or_b32 exec_lo, exec_lo, s0
	s_wait_storecnt_dscnt 0x0
	s_barrier_signal -1
	s_barrier_wait -1
	global_inv scope:SCOPE_SE
	s_clause 0x3
	scratch_load_b128 v[2:5], off, off offset:400
	scratch_load_b128 v[6:9], off, off offset:416
	scratch_load_b64 v[18:19], off, off offset:432
	scratch_load_b64 v[20:21], off, off offset:392
	v_mov_b32_e32 v1, 0
	ds_load_b128 v[10:13], v1 offset:848
	ds_load_b128 v[14:17], v1 offset:864
	ds_load_b64 v[22:23], v1 offset:880
	s_mov_b32 s0, exec_lo
	s_wait_loadcnt_dscnt 0x302
	v_mul_f32_e32 v24, v10, v3
	s_wait_loadcnt_dscnt 0x201
	v_dual_mul_f32 v3, v11, v3 :: v_dual_mul_f32 v138, v16, v9
	v_dual_mul_f32 v135, v12, v5 :: v_dual_mul_f32 v136, v14, v7
	v_mul_f32_e32 v5, v13, v5
	s_delay_alu instid0(VALU_DEP_3)
	v_fma_f32 v3, v10, v2, -v3
	s_wait_loadcnt_dscnt 0x100
	v_dual_mul_f32 v139, v22, v19 :: v_dual_fmac_f32 v24, v11, v2
	v_dual_mul_f32 v2, v15, v7 :: v_dual_fmac_f32 v135, v13, v4
	v_fmac_f32_e32 v136, v15, v6
	v_fma_f32 v4, v12, v4, -v5
	v_dual_add_f32 v3, 0, v3 :: v_dual_fmac_f32 v138, v17, v8
	s_delay_alu instid0(VALU_DEP_4) | instskip(SKIP_1) | instid1(VALU_DEP_3)
	v_fma_f32 v2, v14, v6, -v2
	v_fmac_f32_e32 v139, v23, v18
	v_add_f32_e32 v3, v3, v4
	s_delay_alu instid0(VALU_DEP_1) | instskip(SKIP_1) | instid1(VALU_DEP_2)
	v_dual_add_f32 v5, 0, v24 :: v_dual_add_f32 v2, v3, v2
	v_mul_f32_e32 v7, v17, v9
	v_add_f32_e32 v4, v5, v135
	s_delay_alu instid0(VALU_DEP_2) | instskip(NEXT) | instid1(VALU_DEP_1)
	v_fma_f32 v6, v16, v8, -v7
	v_dual_add_f32 v3, v4, v136 :: v_dual_add_f32 v2, v2, v6
	v_mul_f32_e32 v5, v23, v19
	s_delay_alu instid0(VALU_DEP_2) | instskip(NEXT) | instid1(VALU_DEP_2)
	v_add_f32_e32 v3, v3, v138
	v_fma_f32 v4, v22, v18, -v5
	s_delay_alu instid0(VALU_DEP_1) | instskip(SKIP_1) | instid1(VALU_DEP_1)
	v_dual_add_f32 v2, v2, v4 :: v_dual_add_f32 v3, v3, v139
	s_wait_loadcnt 0x0
	v_dual_sub_f32 v2, v20, v2 :: v_dual_sub_f32 v3, v21, v3
	scratch_store_b64 off, v[2:3], off offset:392
	v_cmpx_lt_u32_e32 48, v0
	s_cbranch_execz .LBB54_247
; %bb.246:
	scratch_load_b64 v[3:4], off, off offset:384
	v_mov_b32_e32 v2, v1
	scratch_store_b64 off, v[1:2], off offset:384
	s_wait_loadcnt 0x0
	ds_store_b64 v137, v[3:4]
.LBB54_247:
	s_wait_alu 0xfffe
	s_or_b32 exec_lo, exec_lo, s0
	s_wait_storecnt_dscnt 0x0
	s_barrier_signal -1
	s_barrier_wait -1
	global_inv scope:SCOPE_SE
	s_clause 0x3
	scratch_load_b128 v[2:5], off, off offset:392
	scratch_load_b128 v[6:9], off, off offset:408
	;; [unrolled: 1-line block ×3, first 2 shown]
	scratch_load_b64 v[22:23], off, off offset:384
	ds_load_2addr_b64 v[14:17], v1 offset0:105 offset1:106
	ds_load_2addr_b64 v[18:21], v1 offset0:107 offset1:108
	;; [unrolled: 1-line block ×3, first 2 shown]
	s_mov_b32 s0, exec_lo
	s_wait_loadcnt_dscnt 0x302
	v_dual_mul_f32 v1, v14, v3 :: v_dual_mul_f32 v24, v16, v5
	v_mul_f32_e32 v3, v15, v3
	v_mul_f32_e32 v5, v17, v5
	s_wait_loadcnt_dscnt 0x201
	v_dual_mul_f32 v135, v18, v7 :: v_dual_mul_f32 v136, v20, v9
	v_fmac_f32_e32 v24, v17, v4
	v_fma_f32 v3, v14, v2, -v3
	s_wait_loadcnt_dscnt 0x100
	v_dual_mul_f32 v142, v138, v11 :: v_dual_mul_f32 v143, v140, v13
	v_dual_fmac_f32 v1, v15, v2 :: v_dual_fmac_f32 v136, v21, v8
	v_mul_f32_e32 v2, v19, v7
	v_fma_f32 v4, v16, v4, -v5
	s_delay_alu instid0(VALU_DEP_4) | instskip(NEXT) | instid1(VALU_DEP_4)
	v_dual_add_f32 v3, 0, v3 :: v_dual_fmac_f32 v142, v139, v10
	v_add_f32_e32 v1, 0, v1
	s_delay_alu instid0(VALU_DEP_4) | instskip(SKIP_1) | instid1(VALU_DEP_4)
	v_fma_f32 v2, v18, v6, -v2
	v_fmac_f32_e32 v143, v141, v12
	v_add_f32_e32 v3, v3, v4
	v_dual_mul_f32 v5, v21, v9 :: v_dual_mul_f32 v4, v139, v11
	s_delay_alu instid0(VALU_DEP_2) | instskip(NEXT) | instid1(VALU_DEP_2)
	v_add_f32_e32 v2, v3, v2
	v_fma_f32 v5, v20, v8, -v5
	v_fmac_f32_e32 v135, v19, v6
	s_delay_alu instid0(VALU_DEP_4) | instskip(NEXT) | instid1(VALU_DEP_3)
	v_fma_f32 v4, v138, v10, -v4
	v_add_f32_e32 v2, v2, v5
	s_delay_alu instid0(VALU_DEP_1) | instskip(NEXT) | instid1(VALU_DEP_1)
	v_dual_mul_f32 v3, v141, v13 :: v_dual_add_f32 v2, v2, v4
	v_fma_f32 v3, v140, v12, -v3
	s_delay_alu instid0(VALU_DEP_1) | instskip(NEXT) | instid1(VALU_DEP_1)
	v_dual_add_f32 v1, v1, v24 :: v_dual_add_f32 v2, v2, v3
	v_add_f32_e32 v1, v1, v135
	s_delay_alu instid0(VALU_DEP_1) | instskip(NEXT) | instid1(VALU_DEP_1)
	v_add_f32_e32 v1, v1, v136
	v_add_f32_e32 v1, v1, v142
	s_delay_alu instid0(VALU_DEP_1) | instskip(SKIP_1) | instid1(VALU_DEP_1)
	v_add_f32_e32 v3, v1, v143
	s_wait_loadcnt 0x0
	v_dual_sub_f32 v1, v22, v2 :: v_dual_sub_f32 v2, v23, v3
	scratch_store_b64 off, v[1:2], off offset:384
	v_cmpx_lt_u32_e32 47, v0
	s_cbranch_execz .LBB54_249
; %bb.248:
	scratch_load_b64 v[1:2], off, off offset:376
	v_mov_b32_e32 v3, 0
	s_delay_alu instid0(VALU_DEP_1)
	v_mov_b32_e32 v4, v3
	scratch_store_b64 off, v[3:4], off offset:376
	s_wait_loadcnt 0x0
	ds_store_b64 v137, v[1:2]
.LBB54_249:
	s_wait_alu 0xfffe
	s_or_b32 exec_lo, exec_lo, s0
	s_wait_storecnt_dscnt 0x0
	s_barrier_signal -1
	s_barrier_wait -1
	global_inv scope:SCOPE_SE
	s_clause 0x4
	scratch_load_b128 v[2:5], off, off offset:384
	scratch_load_b128 v[6:9], off, off offset:400
	;; [unrolled: 1-line block ×3, first 2 shown]
	scratch_load_b64 v[22:23], off, off offset:432
	scratch_load_b64 v[135:136], off, off offset:376
	v_mov_b32_e32 v1, 0
	ds_load_b128 v[14:17], v1 offset:832
	ds_load_b128 v[18:21], v1 offset:848
	;; [unrolled: 1-line block ×3, first 2 shown]
	ds_load_b64 v[142:143], v1 offset:880
	s_mov_b32 s0, exec_lo
	s_wait_loadcnt_dscnt 0x403
	v_mul_f32_e32 v24, v14, v3
	s_wait_loadcnt_dscnt 0x302
	v_dual_mul_f32 v146, v20, v9 :: v_dual_mul_f32 v3, v15, v3
	v_dual_mul_f32 v144, v16, v5 :: v_dual_mul_f32 v145, v18, v7
	v_mul_f32_e32 v5, v17, v5
	s_wait_loadcnt_dscnt 0x100
	v_dual_mul_f32 v149, v142, v23 :: v_dual_fmac_f32 v24, v15, v2
	v_fma_f32 v3, v14, v2, -v3
	v_mul_f32_e32 v2, v19, v7
	v_fmac_f32_e32 v144, v17, v4
	v_fma_f32 v4, v16, v4, -v5
	v_dual_mul_f32 v147, v138, v11 :: v_dual_mul_f32 v148, v140, v13
	v_add_f32_e32 v3, 0, v3
	v_fma_f32 v2, v18, v6, -v2
	s_delay_alu instid0(VALU_DEP_3) | instskip(NEXT) | instid1(VALU_DEP_4)
	v_dual_fmac_f32 v146, v21, v8 :: v_dual_fmac_f32 v147, v139, v10
	v_fmac_f32_e32 v148, v141, v12
	s_delay_alu instid0(VALU_DEP_4) | instskip(NEXT) | instid1(VALU_DEP_1)
	v_add_f32_e32 v3, v3, v4
	v_dual_add_f32 v5, 0, v24 :: v_dual_add_f32 v2, v3, v2
	v_mul_f32_e32 v7, v21, v9
	s_delay_alu instid0(VALU_DEP_2) | instskip(SKIP_1) | instid1(VALU_DEP_3)
	v_dual_fmac_f32 v145, v19, v6 :: v_dual_add_f32 v4, v5, v144
	v_mul_f32_e32 v5, v139, v11
	v_fma_f32 v6, v20, v8, -v7
	s_delay_alu instid0(VALU_DEP_3) | instskip(SKIP_1) | instid1(VALU_DEP_4)
	v_add_f32_e32 v3, v4, v145
	v_mul_f32_e32 v4, v141, v13
	v_fma_f32 v5, v138, v10, -v5
	s_delay_alu instid0(VALU_DEP_4) | instskip(SKIP_3) | instid1(VALU_DEP_4)
	v_add_f32_e32 v2, v2, v6
	v_mul_f32_e32 v6, v143, v23
	v_add_f32_e32 v3, v3, v146
	v_fma_f32 v4, v140, v12, -v4
	v_add_f32_e32 v2, v2, v5
	s_delay_alu instid0(VALU_DEP_4) | instskip(NEXT) | instid1(VALU_DEP_2)
	v_fma_f32 v5, v142, v22, -v6
	v_dual_add_f32 v3, v3, v147 :: v_dual_add_f32 v2, v2, v4
	v_fmac_f32_e32 v149, v143, v22
	s_delay_alu instid0(VALU_DEP_2) | instskip(NEXT) | instid1(VALU_DEP_1)
	v_dual_add_f32 v3, v3, v148 :: v_dual_add_f32 v2, v2, v5
	v_add_f32_e32 v3, v3, v149
	s_wait_loadcnt 0x0
	s_delay_alu instid0(VALU_DEP_1)
	v_dual_sub_f32 v2, v135, v2 :: v_dual_sub_f32 v3, v136, v3
	scratch_store_b64 off, v[2:3], off offset:376
	v_cmpx_lt_u32_e32 46, v0
	s_cbranch_execz .LBB54_251
; %bb.250:
	scratch_load_b64 v[3:4], off, off offset:368
	v_mov_b32_e32 v2, v1
	scratch_store_b64 off, v[1:2], off offset:368
	s_wait_loadcnt 0x0
	ds_store_b64 v137, v[3:4]
.LBB54_251:
	s_wait_alu 0xfffe
	s_or_b32 exec_lo, exec_lo, s0
	s_wait_storecnt_dscnt 0x0
	s_barrier_signal -1
	s_barrier_wait -1
	global_inv scope:SCOPE_SE
	s_clause 0x4
	scratch_load_b128 v[2:5], off, off offset:376
	scratch_load_b128 v[6:9], off, off offset:392
	scratch_load_b128 v[10:13], off, off offset:408
	scratch_load_b128 v[14:17], off, off offset:424
	scratch_load_b64 v[22:23], off, off offset:368
	ds_load_2addr_b64 v[18:21], v1 offset0:103 offset1:104
	ds_load_2addr_b64 v[138:141], v1 offset0:105 offset1:106
	;; [unrolled: 1-line block ×4, first 2 shown]
	s_mov_b32 s0, exec_lo
	s_wait_loadcnt_dscnt 0x403
	v_dual_mul_f32 v1, v18, v3 :: v_dual_mul_f32 v24, v20, v5
	v_mul_f32_e32 v3, v19, v3
	v_mul_f32_e32 v5, v21, v5
	s_wait_loadcnt_dscnt 0x302
	v_dual_mul_f32 v135, v138, v7 :: v_dual_mul_f32 v136, v140, v9
	v_fmac_f32_e32 v24, v21, v4
	v_fma_f32 v3, v18, v2, -v3
	s_wait_loadcnt_dscnt 0x201
	v_dual_mul_f32 v150, v142, v11 :: v_dual_mul_f32 v151, v144, v13
	v_dual_fmac_f32 v1, v19, v2 :: v_dual_fmac_f32 v136, v141, v8
	v_mul_f32_e32 v2, v139, v7
	v_fma_f32 v4, v20, v4, -v5
	s_delay_alu instid0(VALU_DEP_4) | instskip(NEXT) | instid1(VALU_DEP_4)
	v_dual_add_f32 v3, 0, v3 :: v_dual_fmac_f32 v150, v143, v10
	v_add_f32_e32 v1, 0, v1
	s_delay_alu instid0(VALU_DEP_4) | instskip(SKIP_4) | instid1(VALU_DEP_3)
	v_fma_f32 v2, v138, v6, -v2
	s_wait_loadcnt_dscnt 0x100
	v_dual_mul_f32 v152, v146, v15 :: v_dual_mul_f32 v153, v148, v17
	v_add_f32_e32 v3, v3, v4
	v_dual_mul_f32 v5, v141, v9 :: v_dual_mul_f32 v4, v143, v11
	v_dual_add_f32 v1, v1, v24 :: v_dual_fmac_f32 v152, v147, v14
	s_delay_alu instid0(VALU_DEP_3) | instskip(NEXT) | instid1(VALU_DEP_3)
	v_add_f32_e32 v2, v3, v2
	v_fma_f32 v5, v140, v8, -v5
	v_fmac_f32_e32 v135, v139, v6
	v_mul_f32_e32 v3, v145, v13
	v_fma_f32 v4, v142, v10, -v4
	s_delay_alu instid0(VALU_DEP_4) | instskip(NEXT) | instid1(VALU_DEP_4)
	v_dual_fmac_f32 v153, v149, v16 :: v_dual_add_f32 v2, v2, v5
	v_add_f32_e32 v1, v1, v135
	v_mul_f32_e32 v5, v147, v15
	v_fma_f32 v3, v144, v12, -v3
	s_delay_alu instid0(VALU_DEP_4) | instskip(NEXT) | instid1(VALU_DEP_4)
	v_add_f32_e32 v2, v2, v4
	v_add_f32_e32 v1, v1, v136
	v_mul_f32_e32 v4, v149, v17
	v_fma_f32 v5, v146, v14, -v5
	s_delay_alu instid0(VALU_DEP_4) | instskip(NEXT) | instid1(VALU_DEP_3)
	v_dual_add_f32 v2, v2, v3 :: v_dual_fmac_f32 v151, v145, v12
	v_fma_f32 v3, v148, v16, -v4
	s_delay_alu instid0(VALU_DEP_2) | instskip(NEXT) | instid1(VALU_DEP_1)
	v_dual_add_f32 v2, v2, v5 :: v_dual_add_f32 v1, v1, v150
	v_add_f32_e32 v2, v2, v3
	s_delay_alu instid0(VALU_DEP_2) | instskip(NEXT) | instid1(VALU_DEP_1)
	v_add_f32_e32 v1, v1, v151
	v_add_f32_e32 v1, v1, v152
	s_delay_alu instid0(VALU_DEP_1) | instskip(SKIP_1) | instid1(VALU_DEP_1)
	v_add_f32_e32 v3, v1, v153
	s_wait_loadcnt 0x0
	v_dual_sub_f32 v1, v22, v2 :: v_dual_sub_f32 v2, v23, v3
	scratch_store_b64 off, v[1:2], off offset:368
	v_cmpx_lt_u32_e32 45, v0
	s_cbranch_execz .LBB54_253
; %bb.252:
	scratch_load_b64 v[1:2], off, off offset:360
	v_mov_b32_e32 v3, 0
	s_delay_alu instid0(VALU_DEP_1)
	v_mov_b32_e32 v4, v3
	scratch_store_b64 off, v[3:4], off offset:360
	s_wait_loadcnt 0x0
	ds_store_b64 v137, v[1:2]
.LBB54_253:
	s_wait_alu 0xfffe
	s_or_b32 exec_lo, exec_lo, s0
	s_wait_storecnt_dscnt 0x0
	s_barrier_signal -1
	s_barrier_wait -1
	global_inv scope:SCOPE_SE
	s_clause 0x5
	scratch_load_b128 v[2:5], off, off offset:368
	scratch_load_b128 v[6:9], off, off offset:384
	;; [unrolled: 1-line block ×4, first 2 shown]
	scratch_load_b64 v[22:23], off, off offset:432
	scratch_load_b64 v[135:136], off, off offset:360
	v_mov_b32_e32 v1, 0
	ds_load_b128 v[18:21], v1 offset:816
	ds_load_b128 v[138:141], v1 offset:832
	ds_load_b128 v[142:145], v1 offset:848
	ds_load_b128 v[146:149], v1 offset:864
	ds_load_b64 v[150:151], v1 offset:880
	s_mov_b32 s0, exec_lo
	s_wait_loadcnt_dscnt 0x504
	v_mul_f32_e32 v24, v18, v3
	s_wait_loadcnt_dscnt 0x302
	v_dual_mul_f32 v3, v19, v3 :: v_dual_mul_f32 v156, v144, v13
	v_dual_mul_f32 v152, v20, v5 :: v_dual_mul_f32 v153, v138, v7
	v_mul_f32_e32 v5, v21, v5
	s_delay_alu instid0(VALU_DEP_3) | instskip(SKIP_3) | instid1(VALU_DEP_3)
	v_fma_f32 v3, v18, v2, -v3
	s_wait_loadcnt_dscnt 0x100
	v_dual_mul_f32 v159, v150, v23 :: v_dual_fmac_f32 v24, v19, v2
	v_mul_f32_e32 v2, v139, v7
	v_dual_fmac_f32 v152, v21, v4 :: v_dual_add_f32 v3, 0, v3
	v_fma_f32 v4, v20, v4, -v5
	v_dual_mul_f32 v154, v140, v9 :: v_dual_mul_f32 v155, v142, v11
	s_delay_alu instid0(VALU_DEP_4) | instskip(SKIP_1) | instid1(VALU_DEP_4)
	v_fma_f32 v2, v138, v6, -v2
	v_dual_mul_f32 v157, v146, v15 :: v_dual_mul_f32 v158, v148, v17
	v_add_f32_e32 v3, v3, v4
	v_add_f32_e32 v5, 0, v24
	v_dual_fmac_f32 v154, v141, v8 :: v_dual_fmac_f32 v155, v143, v10
	v_fmac_f32_e32 v156, v145, v12
	s_delay_alu instid0(VALU_DEP_4) | instskip(NEXT) | instid1(VALU_DEP_4)
	v_dual_add_f32 v2, v3, v2 :: v_dual_mul_f32 v7, v141, v9
	v_dual_fmac_f32 v153, v139, v6 :: v_dual_add_f32 v4, v5, v152
	v_mul_f32_e32 v5, v143, v11
	v_dual_fmac_f32 v157, v147, v14 :: v_dual_fmac_f32 v158, v149, v16
	s_delay_alu instid0(VALU_DEP_4) | instskip(NEXT) | instid1(VALU_DEP_4)
	v_fma_f32 v6, v140, v8, -v7
	v_add_f32_e32 v3, v4, v153
	v_mul_f32_e32 v4, v145, v13
	v_fma_f32 v5, v142, v10, -v5
	s_delay_alu instid0(VALU_DEP_4) | instskip(SKIP_3) | instid1(VALU_DEP_4)
	v_add_f32_e32 v2, v2, v6
	v_mul_f32_e32 v6, v147, v15
	v_add_f32_e32 v3, v3, v154
	v_fma_f32 v4, v144, v12, -v4
	v_add_f32_e32 v2, v2, v5
	v_mul_f32_e32 v5, v149, v17
	s_delay_alu instid0(VALU_DEP_4) | instskip(SKIP_1) | instid1(VALU_DEP_4)
	v_add_f32_e32 v3, v3, v155
	v_fma_f32 v6, v146, v14, -v6
	v_add_f32_e32 v2, v2, v4
	v_mul_f32_e32 v4, v151, v23
	s_delay_alu instid0(VALU_DEP_4) | instskip(SKIP_1) | instid1(VALU_DEP_4)
	v_add_f32_e32 v3, v3, v156
	v_fma_f32 v5, v148, v16, -v5
	v_add_f32_e32 v2, v2, v6
	v_fmac_f32_e32 v159, v151, v22
	v_fma_f32 v4, v150, v22, -v4
	s_delay_alu instid0(VALU_DEP_3) | instskip(NEXT) | instid1(VALU_DEP_1)
	v_add_f32_e32 v2, v2, v5
	v_dual_add_f32 v3, v3, v157 :: v_dual_add_f32 v2, v2, v4
	s_delay_alu instid0(VALU_DEP_1) | instskip(NEXT) | instid1(VALU_DEP_1)
	v_add_f32_e32 v3, v3, v158
	v_add_f32_e32 v3, v3, v159
	s_wait_loadcnt 0x0
	s_delay_alu instid0(VALU_DEP_1)
	v_dual_sub_f32 v2, v135, v2 :: v_dual_sub_f32 v3, v136, v3
	scratch_store_b64 off, v[2:3], off offset:360
	v_cmpx_lt_u32_e32 44, v0
	s_cbranch_execz .LBB54_255
; %bb.254:
	scratch_load_b64 v[3:4], off, off offset:352
	v_mov_b32_e32 v2, v1
	scratch_store_b64 off, v[1:2], off offset:352
	s_wait_loadcnt 0x0
	ds_store_b64 v137, v[3:4]
.LBB54_255:
	s_wait_alu 0xfffe
	s_or_b32 exec_lo, exec_lo, s0
	s_wait_storecnt_dscnt 0x0
	s_barrier_signal -1
	s_barrier_wait -1
	global_inv scope:SCOPE_SE
	s_clause 0x5
	scratch_load_b128 v[2:5], off, off offset:360
	scratch_load_b128 v[6:9], off, off offset:376
	scratch_load_b128 v[10:13], off, off offset:392
	scratch_load_b128 v[14:17], off, off offset:408
	scratch_load_b128 v[18:21], off, off offset:424
	scratch_load_b64 v[22:23], off, off offset:352
	ds_load_2addr_b64 v[138:141], v1 offset0:101 offset1:102
	ds_load_2addr_b64 v[142:145], v1 offset0:103 offset1:104
	;; [unrolled: 1-line block ×5, first 2 shown]
	s_mov_b32 s0, exec_lo
	s_wait_loadcnt_dscnt 0x504
	v_dual_mul_f32 v1, v138, v3 :: v_dual_mul_f32 v24, v140, v5
	v_mul_f32_e32 v3, v139, v3
	v_mul_f32_e32 v5, v141, v5
	s_wait_loadcnt_dscnt 0x403
	v_dual_mul_f32 v135, v142, v7 :: v_dual_mul_f32 v136, v144, v9
	v_fmac_f32_e32 v24, v141, v4
	v_fma_f32 v3, v138, v2, -v3
	s_wait_loadcnt_dscnt 0x302
	v_dual_mul_f32 v158, v146, v11 :: v_dual_mul_f32 v159, v148, v13
	v_dual_fmac_f32 v1, v139, v2 :: v_dual_fmac_f32 v136, v145, v8
	v_mul_f32_e32 v2, v143, v7
	v_fma_f32 v4, v140, v4, -v5
	s_delay_alu instid0(VALU_DEP_4) | instskip(NEXT) | instid1(VALU_DEP_4)
	v_dual_add_f32 v3, 0, v3 :: v_dual_fmac_f32 v158, v147, v10
	v_add_f32_e32 v1, 0, v1
	s_delay_alu instid0(VALU_DEP_4) | instskip(SKIP_4) | instid1(VALU_DEP_3)
	v_fma_f32 v2, v142, v6, -v2
	s_wait_loadcnt_dscnt 0x201
	v_dual_mul_f32 v160, v150, v15 :: v_dual_mul_f32 v161, v152, v17
	v_add_f32_e32 v3, v3, v4
	v_dual_mul_f32 v5, v145, v9 :: v_dual_mul_f32 v4, v147, v11
	v_dual_add_f32 v1, v1, v24 :: v_dual_fmac_f32 v160, v151, v14
	s_delay_alu instid0(VALU_DEP_3) | instskip(NEXT) | instid1(VALU_DEP_3)
	v_add_f32_e32 v2, v3, v2
	v_fma_f32 v5, v144, v8, -v5
	v_fmac_f32_e32 v135, v143, v6
	v_fma_f32 v4, v146, v10, -v4
	s_wait_loadcnt_dscnt 0x100
	v_dual_mul_f32 v162, v154, v19 :: v_dual_mul_f32 v163, v156, v21
	s_delay_alu instid0(VALU_DEP_3) | instskip(NEXT) | instid1(VALU_DEP_2)
	v_dual_add_f32 v2, v2, v5 :: v_dual_add_f32 v1, v1, v135
	v_dual_mul_f32 v3, v149, v13 :: v_dual_fmac_f32 v162, v155, v18
	v_fmac_f32_e32 v161, v153, v16
	s_delay_alu instid0(VALU_DEP_3) | instskip(SKIP_1) | instid1(VALU_DEP_4)
	v_add_f32_e32 v2, v2, v4
	v_mul_f32_e32 v4, v153, v17
	v_fma_f32 v3, v148, v12, -v3
	v_add_f32_e32 v1, v1, v136
	v_fmac_f32_e32 v163, v157, v20
	s_delay_alu instid0(VALU_DEP_4) | instskip(SKIP_3) | instid1(VALU_DEP_3)
	v_fma_f32 v4, v152, v16, -v4
	v_mul_f32_e32 v5, v151, v15
	v_add_f32_e32 v2, v2, v3
	v_mul_f32_e32 v3, v155, v19
	v_fma_f32 v5, v150, v14, -v5
	v_fmac_f32_e32 v159, v149, v12
	s_delay_alu instid0(VALU_DEP_3) | instskip(NEXT) | instid1(VALU_DEP_3)
	v_fma_f32 v3, v154, v18, -v3
	v_add_f32_e32 v2, v2, v5
	s_delay_alu instid0(VALU_DEP_1) | instskip(SKIP_1) | instid1(VALU_DEP_2)
	v_dual_mul_f32 v5, v157, v21 :: v_dual_add_f32 v2, v2, v4
	v_add_f32_e32 v1, v1, v158
	v_fma_f32 v4, v156, v20, -v5
	s_delay_alu instid0(VALU_DEP_3) | instskip(NEXT) | instid1(VALU_DEP_1)
	v_add_f32_e32 v2, v2, v3
	v_dual_add_f32 v1, v1, v159 :: v_dual_add_f32 v2, v2, v4
	s_delay_alu instid0(VALU_DEP_1) | instskip(NEXT) | instid1(VALU_DEP_1)
	v_add_f32_e32 v1, v1, v160
	v_add_f32_e32 v1, v1, v161
	s_delay_alu instid0(VALU_DEP_1) | instskip(NEXT) | instid1(VALU_DEP_1)
	v_add_f32_e32 v1, v1, v162
	v_add_f32_e32 v3, v1, v163
	s_wait_loadcnt 0x0
	s_delay_alu instid0(VALU_DEP_1)
	v_dual_sub_f32 v1, v22, v2 :: v_dual_sub_f32 v2, v23, v3
	scratch_store_b64 off, v[1:2], off offset:352
	v_cmpx_lt_u32_e32 43, v0
	s_cbranch_execz .LBB54_257
; %bb.256:
	scratch_load_b64 v[1:2], off, off offset:344
	v_mov_b32_e32 v3, 0
	s_delay_alu instid0(VALU_DEP_1)
	v_mov_b32_e32 v4, v3
	scratch_store_b64 off, v[3:4], off offset:344
	s_wait_loadcnt 0x0
	ds_store_b64 v137, v[1:2]
.LBB54_257:
	s_wait_alu 0xfffe
	s_or_b32 exec_lo, exec_lo, s0
	s_wait_storecnt_dscnt 0x0
	s_barrier_signal -1
	s_barrier_wait -1
	global_inv scope:SCOPE_SE
	s_clause 0x6
	scratch_load_b128 v[2:5], off, off offset:352
	scratch_load_b128 v[6:9], off, off offset:368
	scratch_load_b128 v[10:13], off, off offset:384
	scratch_load_b128 v[14:17], off, off offset:400
	scratch_load_b128 v[18:21], off, off offset:416
	scratch_load_b64 v[22:23], off, off offset:432
	scratch_load_b64 v[135:136], off, off offset:344
	v_mov_b32_e32 v1, 0
	ds_load_b128 v[138:141], v1 offset:800
	ds_load_b128 v[142:145], v1 offset:816
	;; [unrolled: 1-line block ×5, first 2 shown]
	ds_load_b64 v[158:159], v1 offset:880
	s_mov_b32 s0, exec_lo
	s_wait_loadcnt_dscnt 0x605
	v_mul_f32_e32 v24, v138, v3
	v_dual_mul_f32 v3, v139, v3 :: v_dual_mul_f32 v160, v140, v5
	s_wait_loadcnt_dscnt 0x302
	v_dual_mul_f32 v161, v142, v7 :: v_dual_mul_f32 v166, v152, v17
	v_mul_f32_e32 v5, v141, v5
	s_delay_alu instid0(VALU_DEP_3) | instskip(SKIP_3) | instid1(VALU_DEP_3)
	v_fma_f32 v3, v138, v2, -v3
	s_wait_loadcnt_dscnt 0x100
	v_dual_mul_f32 v169, v158, v23 :: v_dual_fmac_f32 v24, v139, v2
	v_mul_f32_e32 v2, v143, v7
	v_dual_fmac_f32 v160, v141, v4 :: v_dual_add_f32 v3, 0, v3
	v_fma_f32 v4, v140, v4, -v5
	v_dual_mul_f32 v162, v144, v9 :: v_dual_mul_f32 v163, v146, v11
	s_delay_alu instid0(VALU_DEP_4) | instskip(SKIP_1) | instid1(VALU_DEP_4)
	v_fma_f32 v2, v142, v6, -v2
	v_dual_mul_f32 v164, v148, v13 :: v_dual_mul_f32 v165, v150, v15
	v_add_f32_e32 v3, v3, v4
	v_add_f32_e32 v5, 0, v24
	v_dual_fmac_f32 v162, v145, v8 :: v_dual_fmac_f32 v163, v147, v10
	s_delay_alu instid0(VALU_DEP_4) | instskip(NEXT) | instid1(VALU_DEP_4)
	v_fmac_f32_e32 v164, v149, v12
	v_dual_add_f32 v2, v3, v2 :: v_dual_mul_f32 v7, v145, v9
	s_delay_alu instid0(VALU_DEP_4) | instskip(SKIP_2) | instid1(VALU_DEP_4)
	v_dual_fmac_f32 v161, v143, v6 :: v_dual_add_f32 v4, v5, v160
	v_mul_f32_e32 v5, v147, v11
	v_dual_fmac_f32 v165, v151, v14 :: v_dual_fmac_f32 v166, v153, v16
	v_fma_f32 v6, v144, v8, -v7
	s_delay_alu instid0(VALU_DEP_4)
	v_add_f32_e32 v3, v4, v161
	v_mul_f32_e32 v4, v149, v13
	v_fma_f32 v5, v146, v10, -v5
	v_dual_mul_f32 v167, v154, v19 :: v_dual_mul_f32 v168, v156, v21
	v_add_f32_e32 v2, v2, v6
	v_mul_f32_e32 v6, v151, v15
	v_add_f32_e32 v3, v3, v162
	v_fma_f32 v4, v148, v12, -v4
	s_delay_alu instid0(VALU_DEP_4) | instskip(SKIP_1) | instid1(VALU_DEP_4)
	v_dual_fmac_f32 v167, v155, v18 :: v_dual_add_f32 v2, v2, v5
	v_mul_f32_e32 v5, v153, v17
	v_add_f32_e32 v3, v3, v163
	v_fma_f32 v6, v150, v14, -v6
	v_fmac_f32_e32 v168, v157, v20
	v_add_f32_e32 v2, v2, v4
	v_mul_f32_e32 v4, v155, v19
	v_add_f32_e32 v3, v3, v164
	v_fma_f32 v5, v152, v16, -v5
	s_delay_alu instid0(VALU_DEP_4) | instskip(SKIP_1) | instid1(VALU_DEP_4)
	v_add_f32_e32 v2, v2, v6
	v_mul_f32_e32 v6, v157, v21
	v_add_f32_e32 v3, v3, v165
	v_fma_f32 v4, v154, v18, -v4
	s_delay_alu instid0(VALU_DEP_4) | instskip(NEXT) | instid1(VALU_DEP_4)
	v_add_f32_e32 v2, v2, v5
	v_fma_f32 v6, v156, v20, -v6
	s_delay_alu instid0(VALU_DEP_4) | instskip(NEXT) | instid1(VALU_DEP_3)
	v_add_f32_e32 v3, v3, v166
	v_dual_mul_f32 v5, v159, v23 :: v_dual_add_f32 v2, v2, v4
	s_delay_alu instid0(VALU_DEP_2) | instskip(NEXT) | instid1(VALU_DEP_2)
	v_add_f32_e32 v3, v3, v167
	v_fma_f32 v4, v158, v22, -v5
	s_delay_alu instid0(VALU_DEP_3) | instskip(SKIP_1) | instid1(VALU_DEP_4)
	v_add_f32_e32 v2, v2, v6
	v_fmac_f32_e32 v169, v159, v22
	v_add_f32_e32 v3, v3, v168
	s_delay_alu instid0(VALU_DEP_1) | instskip(SKIP_1) | instid1(VALU_DEP_1)
	v_dual_add_f32 v2, v2, v4 :: v_dual_add_f32 v3, v3, v169
	s_wait_loadcnt 0x0
	v_dual_sub_f32 v2, v135, v2 :: v_dual_sub_f32 v3, v136, v3
	scratch_store_b64 off, v[2:3], off offset:344
	v_cmpx_lt_u32_e32 42, v0
	s_cbranch_execz .LBB54_259
; %bb.258:
	scratch_load_b64 v[3:4], off, off offset:336
	v_mov_b32_e32 v2, v1
	scratch_store_b64 off, v[1:2], off offset:336
	s_wait_loadcnt 0x0
	ds_store_b64 v137, v[3:4]
.LBB54_259:
	s_wait_alu 0xfffe
	s_or_b32 exec_lo, exec_lo, s0
	s_wait_storecnt_dscnt 0x0
	s_barrier_signal -1
	s_barrier_wait -1
	global_inv scope:SCOPE_SE
	s_clause 0x6
	scratch_load_b128 v[2:5], off, off offset:344
	scratch_load_b128 v[6:9], off, off offset:360
	scratch_load_b128 v[10:13], off, off offset:376
	scratch_load_b128 v[14:17], off, off offset:392
	scratch_load_b128 v[18:21], off, off offset:408
	scratch_load_b128 v[138:141], off, off offset:424
	scratch_load_b64 v[22:23], off, off offset:336
	ds_load_2addr_b64 v[142:145], v1 offset0:99 offset1:100
	ds_load_2addr_b64 v[146:149], v1 offset0:101 offset1:102
	;; [unrolled: 1-line block ×6, first 2 shown]
	s_mov_b32 s0, exec_lo
	s_wait_loadcnt_dscnt 0x605
	v_dual_mul_f32 v1, v142, v3 :: v_dual_mul_f32 v24, v144, v5
	v_mul_f32_e32 v3, v143, v3
	v_mul_f32_e32 v5, v145, v5
	s_wait_loadcnt_dscnt 0x504
	v_dual_mul_f32 v135, v146, v7 :: v_dual_mul_f32 v136, v148, v9
	v_fmac_f32_e32 v24, v145, v4
	v_fma_f32 v3, v142, v2, -v3
	s_wait_loadcnt_dscnt 0x403
	v_dual_mul_f32 v166, v150, v11 :: v_dual_mul_f32 v167, v152, v13
	v_dual_fmac_f32 v1, v143, v2 :: v_dual_fmac_f32 v136, v149, v8
	v_mul_f32_e32 v2, v147, v7
	v_fma_f32 v4, v144, v4, -v5
	s_delay_alu instid0(VALU_DEP_4) | instskip(NEXT) | instid1(VALU_DEP_4)
	v_dual_add_f32 v3, 0, v3 :: v_dual_fmac_f32 v166, v151, v10
	v_add_f32_e32 v1, 0, v1
	s_delay_alu instid0(VALU_DEP_4) | instskip(SKIP_4) | instid1(VALU_DEP_3)
	v_fma_f32 v2, v146, v6, -v2
	s_wait_loadcnt_dscnt 0x302
	v_dual_mul_f32 v168, v154, v15 :: v_dual_mul_f32 v169, v156, v17
	v_add_f32_e32 v3, v3, v4
	v_dual_mul_f32 v5, v149, v9 :: v_dual_mul_f32 v4, v151, v11
	v_dual_add_f32 v1, v1, v24 :: v_dual_fmac_f32 v168, v155, v14
	s_delay_alu instid0(VALU_DEP_3) | instskip(NEXT) | instid1(VALU_DEP_3)
	v_add_f32_e32 v2, v3, v2
	v_fma_f32 v5, v148, v8, -v5
	v_fmac_f32_e32 v135, v147, v6
	v_fma_f32 v4, v150, v10, -v4
	s_wait_loadcnt_dscnt 0x201
	v_dual_mul_f32 v170, v158, v19 :: v_dual_mul_f32 v171, v160, v21
	s_delay_alu instid0(VALU_DEP_3) | instskip(NEXT) | instid1(VALU_DEP_2)
	v_dual_add_f32 v2, v2, v5 :: v_dual_add_f32 v1, v1, v135
	v_dual_mul_f32 v3, v153, v13 :: v_dual_fmac_f32 v170, v159, v18
	s_wait_loadcnt_dscnt 0x100
	v_dual_mul_f32 v172, v162, v139 :: v_dual_mul_f32 v173, v164, v141
	s_delay_alu instid0(VALU_DEP_3)
	v_add_f32_e32 v2, v2, v4
	v_mul_f32_e32 v4, v157, v17
	v_fma_f32 v3, v152, v12, -v3
	v_add_f32_e32 v1, v1, v136
	v_fmac_f32_e32 v171, v161, v20
	v_fmac_f32_e32 v173, v165, v140
	v_fma_f32 v4, v156, v16, -v4
	v_mul_f32_e32 v5, v155, v15
	v_dual_add_f32 v2, v2, v3 :: v_dual_add_f32 v1, v1, v166
	v_fmac_f32_e32 v172, v163, v138
	s_delay_alu instid0(VALU_DEP_3) | instskip(NEXT) | instid1(VALU_DEP_1)
	v_fma_f32 v5, v154, v14, -v5
	v_dual_fmac_f32 v167, v153, v12 :: v_dual_add_f32 v2, v2, v5
	s_delay_alu instid0(VALU_DEP_1) | instskip(SKIP_1) | instid1(VALU_DEP_3)
	v_add_f32_e32 v2, v2, v4
	v_mul_f32_e32 v4, v163, v139
	v_add_f32_e32 v1, v1, v167
	s_delay_alu instid0(VALU_DEP_2) | instskip(SKIP_1) | instid1(VALU_DEP_1)
	v_fma_f32 v4, v162, v138, -v4
	v_mul_f32_e32 v5, v161, v21
	v_fma_f32 v5, v160, v20, -v5
	v_mul_f32_e32 v3, v159, v19
	s_delay_alu instid0(VALU_DEP_1) | instskip(NEXT) | instid1(VALU_DEP_1)
	v_fma_f32 v3, v158, v18, -v3
	v_dual_fmac_f32 v169, v157, v16 :: v_dual_add_f32 v2, v2, v3
	v_mul_f32_e32 v3, v165, v141
	s_delay_alu instid0(VALU_DEP_2) | instskip(NEXT) | instid1(VALU_DEP_2)
	v_add_f32_e32 v2, v2, v5
	v_fma_f32 v3, v164, v140, -v3
	s_delay_alu instid0(VALU_DEP_2) | instskip(NEXT) | instid1(VALU_DEP_1)
	v_add_f32_e32 v2, v2, v4
	v_dual_add_f32 v1, v1, v168 :: v_dual_add_f32 v2, v2, v3
	s_delay_alu instid0(VALU_DEP_1) | instskip(NEXT) | instid1(VALU_DEP_1)
	v_add_f32_e32 v1, v1, v169
	v_add_f32_e32 v1, v1, v170
	s_delay_alu instid0(VALU_DEP_1) | instskip(NEXT) | instid1(VALU_DEP_1)
	v_add_f32_e32 v1, v1, v171
	v_add_f32_e32 v1, v1, v172
	s_delay_alu instid0(VALU_DEP_1) | instskip(SKIP_1) | instid1(VALU_DEP_1)
	v_add_f32_e32 v3, v1, v173
	s_wait_loadcnt 0x0
	v_dual_sub_f32 v1, v22, v2 :: v_dual_sub_f32 v2, v23, v3
	scratch_store_b64 off, v[1:2], off offset:336
	v_cmpx_lt_u32_e32 41, v0
	s_cbranch_execz .LBB54_261
; %bb.260:
	scratch_load_b64 v[1:2], off, off offset:328
	v_mov_b32_e32 v3, 0
	s_delay_alu instid0(VALU_DEP_1)
	v_mov_b32_e32 v4, v3
	scratch_store_b64 off, v[3:4], off offset:328
	s_wait_loadcnt 0x0
	ds_store_b64 v137, v[1:2]
.LBB54_261:
	s_wait_alu 0xfffe
	s_or_b32 exec_lo, exec_lo, s0
	s_wait_storecnt_dscnt 0x0
	s_barrier_signal -1
	s_barrier_wait -1
	global_inv scope:SCOPE_SE
	s_clause 0x7
	scratch_load_b128 v[2:5], off, off offset:336
	scratch_load_b128 v[6:9], off, off offset:352
	scratch_load_b128 v[10:13], off, off offset:368
	scratch_load_b128 v[14:17], off, off offset:384
	scratch_load_b128 v[18:21], off, off offset:400
	scratch_load_b128 v[138:141], off, off offset:416
	scratch_load_b64 v[22:23], off, off offset:432
	scratch_load_b64 v[135:136], off, off offset:328
	v_mov_b32_e32 v1, 0
	ds_load_b128 v[142:145], v1 offset:784
	ds_load_b128 v[146:149], v1 offset:800
	;; [unrolled: 1-line block ×6, first 2 shown]
	ds_load_b64 v[166:167], v1 offset:880
	s_mov_b32 s0, exec_lo
	s_wait_loadcnt_dscnt 0x706
	v_mul_f32_e32 v24, v142, v3
	v_dual_mul_f32 v3, v143, v3 :: v_dual_mul_f32 v168, v144, v5
	s_wait_loadcnt_dscnt 0x302
	v_dual_mul_f32 v169, v146, v7 :: v_dual_mul_f32 v176, v160, v21
	v_mul_f32_e32 v5, v145, v5
	s_delay_alu instid0(VALU_DEP_3) | instskip(SKIP_3) | instid1(VALU_DEP_3)
	v_fma_f32 v3, v142, v2, -v3
	s_wait_loadcnt_dscnt 0x100
	v_dual_mul_f32 v179, v166, v23 :: v_dual_fmac_f32 v24, v143, v2
	v_mul_f32_e32 v2, v147, v7
	v_dual_fmac_f32 v168, v145, v4 :: v_dual_add_f32 v3, 0, v3
	v_fma_f32 v4, v144, v4, -v5
	v_dual_mul_f32 v170, v148, v9 :: v_dual_mul_f32 v171, v150, v11
	s_delay_alu instid0(VALU_DEP_4) | instskip(SKIP_1) | instid1(VALU_DEP_4)
	v_fma_f32 v2, v146, v6, -v2
	v_dual_mul_f32 v172, v152, v13 :: v_dual_mul_f32 v173, v154, v15
	v_add_f32_e32 v3, v3, v4
	v_add_f32_e32 v5, 0, v24
	v_dual_fmac_f32 v170, v149, v8 :: v_dual_fmac_f32 v171, v151, v10
	s_delay_alu instid0(VALU_DEP_4) | instskip(NEXT) | instid1(VALU_DEP_4)
	v_fmac_f32_e32 v172, v153, v12
	v_dual_add_f32 v2, v3, v2 :: v_dual_mul_f32 v7, v149, v9
	s_delay_alu instid0(VALU_DEP_4) | instskip(SKIP_2) | instid1(VALU_DEP_4)
	v_dual_fmac_f32 v169, v147, v6 :: v_dual_add_f32 v4, v5, v168
	v_dual_mul_f32 v5, v151, v11 :: v_dual_mul_f32 v174, v156, v17
	v_mul_f32_e32 v175, v158, v19
	v_fma_f32 v6, v148, v8, -v7
	s_delay_alu instid0(VALU_DEP_4)
	v_add_f32_e32 v3, v4, v169
	v_mul_f32_e32 v4, v153, v13
	v_fma_f32 v5, v150, v10, -v5
	v_dual_fmac_f32 v173, v155, v14 :: v_dual_fmac_f32 v174, v157, v16
	v_add_f32_e32 v2, v2, v6
	v_mul_f32_e32 v6, v155, v15
	v_add_f32_e32 v3, v3, v170
	v_fma_f32 v4, v152, v12, -v4
	v_dual_mul_f32 v177, v162, v139 :: v_dual_mul_f32 v178, v164, v141
	s_delay_alu instid0(VALU_DEP_3) | instskip(SKIP_2) | instid1(VALU_DEP_3)
	v_dual_add_f32 v2, v2, v5 :: v_dual_add_f32 v3, v3, v171
	v_mul_f32_e32 v5, v157, v17
	v_fma_f32 v6, v154, v14, -v6
	v_dual_fmac_f32 v175, v159, v18 :: v_dual_add_f32 v2, v2, v4
	s_delay_alu instid0(VALU_DEP_4) | instskip(SKIP_3) | instid1(VALU_DEP_4)
	v_add_f32_e32 v3, v3, v172
	v_mul_f32_e32 v4, v159, v19
	v_fma_f32 v5, v156, v16, -v5
	v_fmac_f32_e32 v176, v161, v20
	v_dual_add_f32 v2, v2, v6 :: v_dual_add_f32 v3, v3, v173
	v_mul_f32_e32 v6, v161, v21
	v_fma_f32 v4, v158, v18, -v4
	v_dual_fmac_f32 v177, v163, v138 :: v_dual_fmac_f32 v178, v165, v140
	s_delay_alu instid0(VALU_DEP_4) | instskip(SKIP_2) | instid1(VALU_DEP_3)
	v_dual_add_f32 v2, v2, v5 :: v_dual_add_f32 v3, v3, v174
	v_mul_f32_e32 v5, v163, v139
	v_fma_f32 v6, v160, v20, -v6
	v_dual_fmac_f32 v179, v167, v22 :: v_dual_add_f32 v2, v2, v4
	s_delay_alu instid0(VALU_DEP_4) | instskip(NEXT) | instid1(VALU_DEP_4)
	v_dual_add_f32 v3, v3, v175 :: v_dual_mul_f32 v4, v165, v141
	v_fma_f32 v5, v162, v138, -v5
	s_delay_alu instid0(VALU_DEP_2) | instskip(SKIP_1) | instid1(VALU_DEP_4)
	v_dual_add_f32 v2, v2, v6 :: v_dual_add_f32 v3, v3, v176
	v_mul_f32_e32 v6, v167, v23
	v_fma_f32 v4, v164, v140, -v4
	s_delay_alu instid0(VALU_DEP_3) | instskip(NEXT) | instid1(VALU_DEP_4)
	v_add_f32_e32 v2, v2, v5
	v_add_f32_e32 v3, v3, v177
	s_delay_alu instid0(VALU_DEP_4) | instskip(NEXT) | instid1(VALU_DEP_2)
	v_fma_f32 v5, v166, v22, -v6
	v_dual_add_f32 v2, v2, v4 :: v_dual_add_f32 v3, v3, v178
	s_delay_alu instid0(VALU_DEP_1) | instskip(SKIP_1) | instid1(VALU_DEP_1)
	v_dual_add_f32 v2, v2, v5 :: v_dual_add_f32 v3, v3, v179
	s_wait_loadcnt 0x0
	v_dual_sub_f32 v2, v135, v2 :: v_dual_sub_f32 v3, v136, v3
	scratch_store_b64 off, v[2:3], off offset:328
	v_cmpx_lt_u32_e32 40, v0
	s_cbranch_execz .LBB54_263
; %bb.262:
	scratch_load_b64 v[3:4], off, off offset:320
	v_mov_b32_e32 v2, v1
	scratch_store_b64 off, v[1:2], off offset:320
	s_wait_loadcnt 0x0
	ds_store_b64 v137, v[3:4]
.LBB54_263:
	s_wait_alu 0xfffe
	s_or_b32 exec_lo, exec_lo, s0
	s_wait_storecnt_dscnt 0x0
	s_barrier_signal -1
	s_barrier_wait -1
	global_inv scope:SCOPE_SE
	s_clause 0x7
	scratch_load_b128 v[2:5], off, off offset:328
	scratch_load_b128 v[6:9], off, off offset:344
	;; [unrolled: 1-line block ×7, first 2 shown]
	scratch_load_b64 v[22:23], off, off offset:320
	ds_load_2addr_b64 v[146:149], v1 offset0:97 offset1:98
	ds_load_2addr_b64 v[150:153], v1 offset0:99 offset1:100
	;; [unrolled: 1-line block ×7, first 2 shown]
	s_mov_b32 s0, exec_lo
	s_wait_loadcnt_dscnt 0x706
	v_dual_mul_f32 v1, v146, v3 :: v_dual_mul_f32 v24, v148, v5
	v_mul_f32_e32 v3, v147, v3
	v_mul_f32_e32 v5, v149, v5
	s_wait_loadcnt_dscnt 0x605
	v_dual_mul_f32 v135, v150, v7 :: v_dual_mul_f32 v136, v152, v9
	v_fmac_f32_e32 v24, v149, v4
	v_fma_f32 v3, v146, v2, -v3
	s_wait_loadcnt_dscnt 0x504
	v_dual_mul_f32 v174, v154, v11 :: v_dual_mul_f32 v175, v156, v13
	v_dual_fmac_f32 v1, v147, v2 :: v_dual_fmac_f32 v136, v153, v8
	v_mul_f32_e32 v2, v151, v7
	v_fma_f32 v4, v148, v4, -v5
	s_delay_alu instid0(VALU_DEP_4) | instskip(NEXT) | instid1(VALU_DEP_4)
	v_dual_add_f32 v3, 0, v3 :: v_dual_fmac_f32 v174, v155, v10
	v_add_f32_e32 v1, 0, v1
	s_delay_alu instid0(VALU_DEP_4) | instskip(SKIP_4) | instid1(VALU_DEP_3)
	v_fma_f32 v2, v150, v6, -v2
	s_wait_loadcnt_dscnt 0x403
	v_dual_mul_f32 v176, v158, v15 :: v_dual_mul_f32 v177, v160, v17
	v_add_f32_e32 v3, v3, v4
	v_dual_mul_f32 v5, v153, v9 :: v_dual_mul_f32 v4, v155, v11
	v_dual_add_f32 v1, v1, v24 :: v_dual_fmac_f32 v176, v159, v14
	s_delay_alu instid0(VALU_DEP_3) | instskip(NEXT) | instid1(VALU_DEP_3)
	v_add_f32_e32 v2, v3, v2
	v_fma_f32 v5, v152, v8, -v5
	v_fmac_f32_e32 v135, v151, v6
	v_fma_f32 v4, v154, v10, -v4
	s_wait_loadcnt_dscnt 0x302
	v_dual_mul_f32 v178, v162, v19 :: v_dual_mul_f32 v179, v164, v21
	s_delay_alu instid0(VALU_DEP_3) | instskip(NEXT) | instid1(VALU_DEP_2)
	v_dual_add_f32 v2, v2, v5 :: v_dual_add_f32 v1, v1, v135
	v_dual_mul_f32 v3, v157, v13 :: v_dual_fmac_f32 v178, v163, v18
	s_wait_loadcnt_dscnt 0x201
	v_dual_mul_f32 v180, v166, v139 :: v_dual_mul_f32 v181, v168, v141
	s_delay_alu instid0(VALU_DEP_3)
	v_add_f32_e32 v2, v2, v4
	v_mul_f32_e32 v4, v161, v17
	v_fma_f32 v3, v156, v12, -v3
	s_wait_loadcnt_dscnt 0x100
	v_dual_add_f32 v1, v1, v136 :: v_dual_mul_f32 v182, v170, v143
	v_mul_f32_e32 v183, v172, v145
	v_fma_f32 v4, v160, v16, -v4
	v_mul_f32_e32 v5, v159, v15
	s_delay_alu instid0(VALU_DEP_4) | instskip(SKIP_1) | instid1(VALU_DEP_3)
	v_dual_add_f32 v2, v2, v3 :: v_dual_add_f32 v1, v1, v174
	v_dual_fmac_f32 v180, v167, v138 :: v_dual_fmac_f32 v181, v169, v140
	v_fma_f32 v5, v158, v14, -v5
	v_dual_fmac_f32 v175, v157, v12 :: v_dual_fmac_f32 v182, v171, v142
	s_delay_alu instid0(VALU_DEP_2) | instskip(NEXT) | instid1(VALU_DEP_1)
	v_dual_fmac_f32 v183, v173, v144 :: v_dual_add_f32 v2, v2, v5
	v_add_f32_e32 v2, v2, v4
	v_mul_f32_e32 v4, v167, v139
	s_delay_alu instid0(VALU_DEP_4) | instskip(NEXT) | instid1(VALU_DEP_2)
	v_add_f32_e32 v1, v1, v175
	v_fma_f32 v4, v166, v138, -v4
	v_mul_f32_e32 v5, v165, v21
	s_delay_alu instid0(VALU_DEP_3) | instskip(NEXT) | instid1(VALU_DEP_2)
	v_add_f32_e32 v1, v1, v176
	v_fma_f32 v5, v164, v20, -v5
	v_mul_f32_e32 v3, v163, v19
	s_delay_alu instid0(VALU_DEP_1) | instskip(NEXT) | instid1(VALU_DEP_1)
	v_fma_f32 v3, v162, v18, -v3
	v_dual_fmac_f32 v177, v161, v16 :: v_dual_add_f32 v2, v2, v3
	v_mul_f32_e32 v3, v169, v141
	s_delay_alu instid0(VALU_DEP_2) | instskip(NEXT) | instid1(VALU_DEP_2)
	v_dual_add_f32 v2, v2, v5 :: v_dual_mul_f32 v5, v171, v143
	v_fma_f32 v3, v168, v140, -v3
	s_delay_alu instid0(VALU_DEP_2) | instskip(SKIP_1) | instid1(VALU_DEP_4)
	v_dual_add_f32 v2, v2, v4 :: v_dual_add_f32 v1, v1, v177
	v_mul_f32_e32 v4, v173, v145
	v_fma_f32 v5, v170, v142, -v5
	s_delay_alu instid0(VALU_DEP_3) | instskip(NEXT) | instid1(VALU_DEP_3)
	v_dual_add_f32 v2, v2, v3 :: v_dual_fmac_f32 v179, v165, v20
	v_fma_f32 v3, v172, v144, -v4
	s_delay_alu instid0(VALU_DEP_2) | instskip(NEXT) | instid1(VALU_DEP_1)
	v_dual_add_f32 v2, v2, v5 :: v_dual_add_f32 v1, v1, v178
	v_add_f32_e32 v2, v2, v3
	s_delay_alu instid0(VALU_DEP_2) | instskip(NEXT) | instid1(VALU_DEP_1)
	v_add_f32_e32 v1, v1, v179
	v_add_f32_e32 v1, v1, v180
	s_delay_alu instid0(VALU_DEP_1) | instskip(NEXT) | instid1(VALU_DEP_1)
	v_add_f32_e32 v1, v1, v181
	v_add_f32_e32 v1, v1, v182
	s_delay_alu instid0(VALU_DEP_1) | instskip(SKIP_1) | instid1(VALU_DEP_1)
	v_add_f32_e32 v3, v1, v183
	s_wait_loadcnt 0x0
	v_dual_sub_f32 v1, v22, v2 :: v_dual_sub_f32 v2, v23, v3
	scratch_store_b64 off, v[1:2], off offset:320
	v_cmpx_lt_u32_e32 39, v0
	s_cbranch_execz .LBB54_265
; %bb.264:
	scratch_load_b64 v[1:2], off, off offset:312
	v_mov_b32_e32 v3, 0
	s_delay_alu instid0(VALU_DEP_1)
	v_mov_b32_e32 v4, v3
	scratch_store_b64 off, v[3:4], off offset:312
	s_wait_loadcnt 0x0
	ds_store_b64 v137, v[1:2]
.LBB54_265:
	s_wait_alu 0xfffe
	s_or_b32 exec_lo, exec_lo, s0
	s_wait_storecnt_dscnt 0x0
	s_barrier_signal -1
	s_barrier_wait -1
	global_inv scope:SCOPE_SE
	s_clause 0x8
	scratch_load_b128 v[2:5], off, off offset:320
	scratch_load_b128 v[6:9], off, off offset:336
	;; [unrolled: 1-line block ×7, first 2 shown]
	scratch_load_b64 v[22:23], off, off offset:432
	scratch_load_b64 v[135:136], off, off offset:312
	v_mov_b32_e32 v1, 0
	ds_load_b128 v[146:149], v1 offset:768
	ds_load_b128 v[150:153], v1 offset:784
	;; [unrolled: 1-line block ×7, first 2 shown]
	ds_load_b64 v[174:175], v1 offset:880
	s_mov_b32 s0, exec_lo
	s_wait_loadcnt_dscnt 0x807
	v_mul_f32_e32 v24, v146, v3
	v_dual_mul_f32 v3, v147, v3 :: v_dual_mul_f32 v176, v148, v5
	s_wait_loadcnt_dscnt 0x706
	v_mul_f32_e32 v177, v150, v7
	v_mul_f32_e32 v5, v149, v5
	s_wait_loadcnt_dscnt 0x302
	v_mul_f32_e32 v186, v168, v141
	v_fma_f32 v3, v146, v2, -v3
	s_wait_loadcnt_dscnt 0x100
	v_dual_mul_f32 v189, v174, v23 :: v_dual_fmac_f32 v24, v147, v2
	v_mul_f32_e32 v2, v151, v7
	s_delay_alu instid0(VALU_DEP_3) | instskip(SKIP_2) | instid1(VALU_DEP_4)
	v_dual_fmac_f32 v176, v149, v4 :: v_dual_add_f32 v3, 0, v3
	v_fma_f32 v4, v148, v4, -v5
	v_dual_mul_f32 v178, v152, v9 :: v_dual_mul_f32 v179, v154, v11
	v_fma_f32 v2, v150, v6, -v2
	v_dual_mul_f32 v180, v156, v13 :: v_dual_mul_f32 v181, v158, v15
	s_delay_alu instid0(VALU_DEP_4) | instskip(SKIP_1) | instid1(VALU_DEP_3)
	v_add_f32_e32 v3, v3, v4
	v_add_f32_e32 v5, 0, v24
	v_dual_fmac_f32 v179, v155, v10 :: v_dual_fmac_f32 v180, v157, v12
	v_fmac_f32_e32 v178, v153, v8
	s_delay_alu instid0(VALU_DEP_4) | instskip(NEXT) | instid1(VALU_DEP_4)
	v_dual_add_f32 v2, v3, v2 :: v_dual_mul_f32 v7, v153, v9
	v_dual_fmac_f32 v177, v151, v6 :: v_dual_add_f32 v4, v5, v176
	v_dual_mul_f32 v5, v155, v11 :: v_dual_mul_f32 v182, v160, v17
	v_mul_f32_e32 v183, v162, v19
	s_delay_alu instid0(VALU_DEP_4) | instskip(NEXT) | instid1(VALU_DEP_4)
	v_fma_f32 v6, v152, v8, -v7
	v_add_f32_e32 v3, v4, v177
	v_mul_f32_e32 v4, v157, v13
	v_fma_f32 v5, v154, v10, -v5
	v_dual_fmac_f32 v181, v159, v14 :: v_dual_fmac_f32 v182, v161, v16
	v_add_f32_e32 v2, v2, v6
	v_mul_f32_e32 v6, v159, v15
	v_add_f32_e32 v3, v3, v178
	v_fma_f32 v4, v156, v12, -v4
	v_dual_mul_f32 v184, v164, v21 :: v_dual_mul_f32 v185, v166, v139
	s_delay_alu instid0(VALU_DEP_3) | instskip(SKIP_2) | instid1(VALU_DEP_3)
	v_dual_add_f32 v2, v2, v5 :: v_dual_add_f32 v3, v3, v179
	v_mul_f32_e32 v5, v161, v17
	v_fma_f32 v6, v158, v14, -v6
	v_dual_fmac_f32 v183, v163, v18 :: v_dual_add_f32 v2, v2, v4
	s_delay_alu instid0(VALU_DEP_4) | instskip(SKIP_3) | instid1(VALU_DEP_4)
	v_add_f32_e32 v3, v3, v180
	v_mul_f32_e32 v4, v163, v19
	v_fma_f32 v5, v160, v16, -v5
	v_fmac_f32_e32 v184, v165, v20
	v_dual_add_f32 v2, v2, v6 :: v_dual_add_f32 v3, v3, v181
	v_mul_f32_e32 v6, v165, v21
	v_fma_f32 v4, v162, v18, -v4
	v_dual_mul_f32 v187, v170, v143 :: v_dual_mul_f32 v188, v172, v145
	s_delay_alu instid0(VALU_DEP_4) | instskip(SKIP_3) | instid1(VALU_DEP_4)
	v_dual_add_f32 v2, v2, v5 :: v_dual_add_f32 v3, v3, v182
	v_mul_f32_e32 v5, v167, v139
	v_fma_f32 v6, v164, v20, -v6
	v_dual_fmac_f32 v185, v167, v138 :: v_dual_fmac_f32 v186, v169, v140
	v_dual_add_f32 v2, v2, v4 :: v_dual_add_f32 v3, v3, v183
	v_mul_f32_e32 v4, v169, v141
	v_fma_f32 v5, v166, v138, -v5
	v_fmac_f32_e32 v187, v171, v142
	s_delay_alu instid0(VALU_DEP_4) | instskip(SKIP_3) | instid1(VALU_DEP_4)
	v_dual_add_f32 v2, v2, v6 :: v_dual_add_f32 v3, v3, v184
	v_mul_f32_e32 v6, v171, v143
	v_fma_f32 v4, v168, v140, -v4
	v_fmac_f32_e32 v188, v173, v144
	v_add_f32_e32 v2, v2, v5
	v_add_f32_e32 v3, v3, v185
	v_mul_f32_e32 v5, v173, v145
	v_fma_f32 v6, v170, v142, -v6
	s_delay_alu instid0(VALU_DEP_3) | instskip(SKIP_1) | instid1(VALU_DEP_4)
	v_dual_add_f32 v2, v2, v4 :: v_dual_add_f32 v3, v3, v186
	v_mul_f32_e32 v4, v175, v23
	v_fma_f32 v5, v172, v144, -v5
	s_delay_alu instid0(VALU_DEP_3) | instskip(SKIP_1) | instid1(VALU_DEP_4)
	v_dual_add_f32 v2, v2, v6 :: v_dual_add_f32 v3, v3, v187
	v_fmac_f32_e32 v189, v175, v22
	v_fma_f32 v4, v174, v22, -v4
	s_delay_alu instid0(VALU_DEP_3) | instskip(NEXT) | instid1(VALU_DEP_1)
	v_dual_add_f32 v2, v2, v5 :: v_dual_add_f32 v3, v3, v188
	v_dual_add_f32 v2, v2, v4 :: v_dual_add_f32 v3, v3, v189
	s_wait_loadcnt 0x0
	s_delay_alu instid0(VALU_DEP_1)
	v_dual_sub_f32 v2, v135, v2 :: v_dual_sub_f32 v3, v136, v3
	scratch_store_b64 off, v[2:3], off offset:312
	v_cmpx_lt_u32_e32 38, v0
	s_cbranch_execz .LBB54_267
; %bb.266:
	scratch_load_b64 v[3:4], off, off offset:304
	v_mov_b32_e32 v2, v1
	scratch_store_b64 off, v[1:2], off offset:304
	s_wait_loadcnt 0x0
	ds_store_b64 v137, v[3:4]
.LBB54_267:
	s_wait_alu 0xfffe
	s_or_b32 exec_lo, exec_lo, s0
	s_wait_storecnt_dscnt 0x0
	s_barrier_signal -1
	s_barrier_wait -1
	global_inv scope:SCOPE_SE
	s_clause 0x8
	scratch_load_b128 v[2:5], off, off offset:312
	scratch_load_b128 v[6:9], off, off offset:328
	;; [unrolled: 1-line block ×8, first 2 shown]
	scratch_load_b64 v[22:23], off, off offset:304
	ds_load_2addr_b64 v[150:153], v1 offset0:95 offset1:96
	ds_load_2addr_b64 v[154:157], v1 offset0:97 offset1:98
	;; [unrolled: 1-line block ×8, first 2 shown]
	s_mov_b32 s0, exec_lo
	s_wait_loadcnt_dscnt 0x807
	v_dual_mul_f32 v1, v150, v3 :: v_dual_mul_f32 v24, v152, v5
	v_mul_f32_e32 v3, v151, v3
	v_mul_f32_e32 v5, v153, v5
	s_wait_loadcnt_dscnt 0x706
	v_dual_mul_f32 v135, v154, v7 :: v_dual_mul_f32 v136, v156, v9
	v_fmac_f32_e32 v24, v153, v4
	v_fma_f32 v3, v150, v2, -v3
	s_wait_loadcnt_dscnt 0x605
	v_dual_mul_f32 v182, v158, v11 :: v_dual_mul_f32 v183, v160, v13
	v_dual_fmac_f32 v1, v151, v2 :: v_dual_fmac_f32 v136, v157, v8
	v_mul_f32_e32 v2, v155, v7
	v_fma_f32 v4, v152, v4, -v5
	s_delay_alu instid0(VALU_DEP_4) | instskip(NEXT) | instid1(VALU_DEP_4)
	v_dual_add_f32 v3, 0, v3 :: v_dual_fmac_f32 v182, v159, v10
	v_add_f32_e32 v1, 0, v1
	s_delay_alu instid0(VALU_DEP_4) | instskip(SKIP_4) | instid1(VALU_DEP_3)
	v_fma_f32 v2, v154, v6, -v2
	s_wait_loadcnt_dscnt 0x504
	v_dual_mul_f32 v184, v162, v15 :: v_dual_mul_f32 v185, v164, v17
	v_add_f32_e32 v3, v3, v4
	v_dual_mul_f32 v5, v157, v9 :: v_dual_mul_f32 v4, v159, v11
	v_dual_add_f32 v1, v1, v24 :: v_dual_fmac_f32 v184, v163, v14
	s_delay_alu instid0(VALU_DEP_3) | instskip(NEXT) | instid1(VALU_DEP_3)
	v_add_f32_e32 v2, v3, v2
	v_fma_f32 v5, v156, v8, -v5
	v_fmac_f32_e32 v135, v155, v6
	v_fma_f32 v4, v158, v10, -v4
	s_wait_loadcnt_dscnt 0x403
	v_dual_mul_f32 v186, v166, v19 :: v_dual_mul_f32 v187, v168, v21
	s_delay_alu instid0(VALU_DEP_3) | instskip(NEXT) | instid1(VALU_DEP_2)
	v_dual_add_f32 v2, v2, v5 :: v_dual_add_f32 v1, v1, v135
	v_dual_mul_f32 v3, v161, v13 :: v_dual_fmac_f32 v186, v167, v18
	s_wait_loadcnt_dscnt 0x302
	v_dual_mul_f32 v188, v170, v139 :: v_dual_mul_f32 v189, v172, v141
	s_delay_alu instid0(VALU_DEP_3)
	v_add_f32_e32 v2, v2, v4
	v_mul_f32_e32 v4, v165, v17
	v_fma_f32 v3, v160, v12, -v3
	s_wait_loadcnt_dscnt 0x100
	v_dual_add_f32 v1, v1, v136 :: v_dual_mul_f32 v192, v178, v147
	v_mul_f32_e32 v193, v180, v149
	v_fma_f32 v4, v164, v16, -v4
	v_mul_f32_e32 v5, v163, v15
	s_delay_alu instid0(VALU_DEP_4) | instskip(SKIP_1) | instid1(VALU_DEP_3)
	v_dual_add_f32 v2, v2, v3 :: v_dual_add_f32 v1, v1, v182
	v_dual_mul_f32 v190, v174, v143 :: v_dual_mul_f32 v191, v176, v145
	v_fma_f32 v5, v162, v14, -v5
	v_dual_fmac_f32 v183, v161, v12 :: v_dual_fmac_f32 v188, v171, v138
	s_delay_alu instid0(VALU_DEP_3) | instskip(NEXT) | instid1(VALU_DEP_3)
	v_dual_fmac_f32 v190, v175, v142 :: v_dual_fmac_f32 v191, v177, v144
	v_dual_add_f32 v2, v2, v5 :: v_dual_fmac_f32 v193, v181, v148
	v_fmac_f32_e32 v192, v179, v146
	s_delay_alu instid0(VALU_DEP_2) | instskip(SKIP_2) | instid1(VALU_DEP_2)
	v_add_f32_e32 v2, v2, v4
	v_mul_f32_e32 v4, v171, v139
	v_add_f32_e32 v1, v1, v183
	v_fma_f32 v4, v170, v138, -v4
	v_mul_f32_e32 v5, v169, v21
	s_delay_alu instid0(VALU_DEP_3) | instskip(NEXT) | instid1(VALU_DEP_2)
	v_add_f32_e32 v1, v1, v184
	v_fma_f32 v5, v168, v20, -v5
	v_mul_f32_e32 v3, v167, v19
	s_delay_alu instid0(VALU_DEP_1) | instskip(NEXT) | instid1(VALU_DEP_1)
	v_fma_f32 v3, v166, v18, -v3
	v_dual_fmac_f32 v185, v165, v16 :: v_dual_add_f32 v2, v2, v3
	v_mul_f32_e32 v3, v173, v141
	s_delay_alu instid0(VALU_DEP_2) | instskip(NEXT) | instid1(VALU_DEP_2)
	v_dual_add_f32 v2, v2, v5 :: v_dual_mul_f32 v5, v175, v143
	v_fma_f32 v3, v172, v140, -v3
	s_delay_alu instid0(VALU_DEP_2) | instskip(SKIP_1) | instid1(VALU_DEP_4)
	v_dual_add_f32 v2, v2, v4 :: v_dual_add_f32 v1, v1, v185
	v_mul_f32_e32 v4, v177, v145
	v_fma_f32 v5, v174, v142, -v5
	s_delay_alu instid0(VALU_DEP_3) | instskip(SKIP_1) | instid1(VALU_DEP_4)
	v_dual_add_f32 v2, v2, v3 :: v_dual_fmac_f32 v187, v169, v20
	v_mul_f32_e32 v3, v179, v147
	v_fma_f32 v4, v176, v144, -v4
	s_delay_alu instid0(VALU_DEP_3) | instskip(SKIP_1) | instid1(VALU_DEP_4)
	v_dual_add_f32 v2, v2, v5 :: v_dual_add_f32 v1, v1, v186
	v_mul_f32_e32 v5, v181, v149
	v_fma_f32 v3, v178, v146, -v3
	s_delay_alu instid0(VALU_DEP_3) | instskip(SKIP_1) | instid1(VALU_DEP_4)
	v_add_f32_e32 v2, v2, v4
	v_fmac_f32_e32 v189, v173, v140
	v_fma_f32 v4, v180, v148, -v5
	s_delay_alu instid0(VALU_DEP_3) | instskip(NEXT) | instid1(VALU_DEP_1)
	v_add_f32_e32 v2, v2, v3
	v_dual_add_f32 v1, v1, v187 :: v_dual_add_f32 v2, v2, v4
	s_delay_alu instid0(VALU_DEP_1) | instskip(NEXT) | instid1(VALU_DEP_1)
	v_add_f32_e32 v1, v1, v188
	v_add_f32_e32 v1, v1, v189
	s_delay_alu instid0(VALU_DEP_1) | instskip(NEXT) | instid1(VALU_DEP_1)
	v_add_f32_e32 v1, v1, v190
	v_add_f32_e32 v1, v1, v191
	;; [unrolled: 3-line block ×3, first 2 shown]
	s_wait_loadcnt 0x0
	s_delay_alu instid0(VALU_DEP_1)
	v_dual_sub_f32 v1, v22, v2 :: v_dual_sub_f32 v2, v23, v3
	scratch_store_b64 off, v[1:2], off offset:304
	v_cmpx_lt_u32_e32 37, v0
	s_cbranch_execz .LBB54_269
; %bb.268:
	scratch_load_b64 v[1:2], off, off offset:296
	v_mov_b32_e32 v3, 0
	s_delay_alu instid0(VALU_DEP_1)
	v_mov_b32_e32 v4, v3
	scratch_store_b64 off, v[3:4], off offset:296
	s_wait_loadcnt 0x0
	ds_store_b64 v137, v[1:2]
.LBB54_269:
	s_wait_alu 0xfffe
	s_or_b32 exec_lo, exec_lo, s0
	s_wait_storecnt_dscnt 0x0
	s_barrier_signal -1
	s_barrier_wait -1
	global_inv scope:SCOPE_SE
	s_clause 0x9
	scratch_load_b128 v[2:5], off, off offset:304
	scratch_load_b128 v[6:9], off, off offset:320
	;; [unrolled: 1-line block ×8, first 2 shown]
	scratch_load_b64 v[22:23], off, off offset:432
	scratch_load_b64 v[135:136], off, off offset:296
	v_mov_b32_e32 v1, 0
	ds_load_b128 v[150:153], v1 offset:752
	ds_load_b128 v[154:157], v1 offset:768
	;; [unrolled: 1-line block ×8, first 2 shown]
	ds_load_b64 v[182:183], v1 offset:880
	s_mov_b32 s0, exec_lo
	s_wait_loadcnt_dscnt 0x908
	v_mul_f32_e32 v24, v150, v3
	s_wait_loadcnt_dscnt 0x807
	v_dual_mul_f32 v184, v152, v5 :: v_dual_mul_f32 v185, v154, v7
	v_mul_f32_e32 v3, v151, v3
	s_delay_alu instid0(VALU_DEP_3)
	v_dual_mul_f32 v5, v153, v5 :: v_dual_fmac_f32 v24, v151, v2
	s_wait_loadcnt_dscnt 0x302
	v_mul_f32_e32 v196, v176, v145
	v_dual_mul_f32 v186, v156, v9 :: v_dual_mul_f32 v187, v158, v11
	v_fma_f32 v3, v150, v2, -v3
	s_wait_loadcnt_dscnt 0x100
	v_mul_f32_e32 v199, v182, v23
	v_mul_f32_e32 v2, v155, v7
	v_fmac_f32_e32 v184, v153, v4
	v_fma_f32 v4, v152, v4, -v5
	v_dual_add_f32 v3, 0, v3 :: v_dual_mul_f32 v188, v160, v13
	v_mul_f32_e32 v189, v162, v15
	v_fma_f32 v2, v154, v6, -v2
	v_fmac_f32_e32 v187, v159, v10
	s_delay_alu instid0(VALU_DEP_4)
	v_add_f32_e32 v3, v3, v4
	v_add_f32_e32 v5, 0, v24
	v_fmac_f32_e32 v188, v161, v12
	v_fmac_f32_e32 v186, v157, v8
	v_dual_mul_f32 v190, v164, v17 :: v_dual_mul_f32 v191, v166, v19
	v_dual_add_f32 v2, v3, v2 :: v_dual_mul_f32 v7, v157, v9
	v_dual_fmac_f32 v185, v155, v6 :: v_dual_add_f32 v4, v5, v184
	v_mul_f32_e32 v5, v159, v11
	s_delay_alu instid0(VALU_DEP_4) | instskip(NEXT) | instid1(VALU_DEP_4)
	v_dual_fmac_f32 v189, v163, v14 :: v_dual_fmac_f32 v190, v165, v16
	v_fma_f32 v6, v156, v8, -v7
	s_delay_alu instid0(VALU_DEP_4)
	v_add_f32_e32 v3, v4, v185
	v_mul_f32_e32 v4, v161, v13
	v_fma_f32 v5, v158, v10, -v5
	v_dual_mul_f32 v192, v168, v21 :: v_dual_mul_f32 v193, v170, v139
	v_add_f32_e32 v2, v2, v6
	v_mul_f32_e32 v6, v163, v15
	v_add_f32_e32 v3, v3, v186
	v_fma_f32 v4, v160, v12, -v4
	v_dual_mul_f32 v194, v172, v141 :: v_dual_mul_f32 v195, v174, v143
	s_delay_alu instid0(VALU_DEP_3) | instskip(SKIP_2) | instid1(VALU_DEP_3)
	v_dual_add_f32 v2, v2, v5 :: v_dual_add_f32 v3, v3, v187
	v_mul_f32_e32 v5, v165, v17
	v_fma_f32 v6, v162, v14, -v6
	v_dual_fmac_f32 v191, v167, v18 :: v_dual_add_f32 v2, v2, v4
	s_delay_alu instid0(VALU_DEP_4) | instskip(SKIP_3) | instid1(VALU_DEP_4)
	v_add_f32_e32 v3, v3, v188
	v_mul_f32_e32 v4, v167, v19
	v_fma_f32 v5, v164, v16, -v5
	v_fmac_f32_e32 v192, v169, v20
	v_dual_add_f32 v2, v2, v6 :: v_dual_add_f32 v3, v3, v189
	v_mul_f32_e32 v6, v169, v21
	v_fma_f32 v4, v166, v18, -v4
	v_dual_fmac_f32 v193, v171, v138 :: v_dual_fmac_f32 v194, v173, v140
	s_delay_alu instid0(VALU_DEP_4) | instskip(SKIP_3) | instid1(VALU_DEP_4)
	v_dual_add_f32 v2, v2, v5 :: v_dual_add_f32 v3, v3, v190
	v_mul_f32_e32 v5, v171, v139
	v_fma_f32 v6, v168, v20, -v6
	v_dual_mul_f32 v197, v178, v147 :: v_dual_mul_f32 v198, v180, v149
	v_dual_add_f32 v2, v2, v4 :: v_dual_add_f32 v3, v3, v191
	v_mul_f32_e32 v4, v173, v141
	v_fma_f32 v5, v170, v138, -v5
	v_fmac_f32_e32 v195, v175, v142
	s_delay_alu instid0(VALU_DEP_4) | instskip(SKIP_3) | instid1(VALU_DEP_4)
	v_dual_add_f32 v2, v2, v6 :: v_dual_add_f32 v3, v3, v192
	v_mul_f32_e32 v6, v175, v143
	v_fma_f32 v4, v172, v140, -v4
	v_fmac_f32_e32 v196, v177, v144
	v_add_f32_e32 v2, v2, v5
	v_add_f32_e32 v3, v3, v193
	v_mul_f32_e32 v5, v177, v145
	v_fma_f32 v6, v174, v142, -v6
	s_delay_alu instid0(VALU_DEP_4) | instskip(NEXT) | instid1(VALU_DEP_4)
	v_dual_fmac_f32 v197, v179, v146 :: v_dual_add_f32 v2, v2, v4
	v_add_f32_e32 v3, v3, v194
	v_mul_f32_e32 v4, v179, v147
	v_fma_f32 v5, v176, v144, -v5
	v_fmac_f32_e32 v198, v181, v148
	s_delay_alu instid0(VALU_DEP_4) | instskip(SKIP_2) | instid1(VALU_DEP_3)
	v_dual_add_f32 v2, v2, v6 :: v_dual_add_f32 v3, v3, v195
	v_mul_f32_e32 v6, v181, v149
	v_fma_f32 v4, v178, v146, -v4
	v_dual_add_f32 v2, v2, v5 :: v_dual_add_f32 v3, v3, v196
	v_mul_f32_e32 v5, v183, v23
	s_delay_alu instid0(VALU_DEP_4) | instskip(NEXT) | instid1(VALU_DEP_3)
	v_fma_f32 v6, v180, v148, -v6
	v_dual_add_f32 v2, v2, v4 :: v_dual_add_f32 v3, v3, v197
	s_delay_alu instid0(VALU_DEP_3) | instskip(NEXT) | instid1(VALU_DEP_2)
	v_fma_f32 v4, v182, v22, -v5
	v_add_f32_e32 v3, v3, v198
	s_delay_alu instid0(VALU_DEP_3) | instskip(NEXT) | instid1(VALU_DEP_1)
	v_add_f32_e32 v2, v2, v6
	v_dual_fmac_f32 v199, v183, v22 :: v_dual_add_f32 v2, v2, v4
	s_delay_alu instid0(VALU_DEP_1) | instskip(SKIP_1) | instid1(VALU_DEP_1)
	v_add_f32_e32 v3, v3, v199
	s_wait_loadcnt 0x0
	v_dual_sub_f32 v2, v135, v2 :: v_dual_sub_f32 v3, v136, v3
	scratch_store_b64 off, v[2:3], off offset:296
	v_cmpx_lt_u32_e32 36, v0
	s_cbranch_execz .LBB54_271
; %bb.270:
	scratch_load_b64 v[3:4], off, off offset:288
	v_mov_b32_e32 v2, v1
	scratch_store_b64 off, v[1:2], off offset:288
	s_wait_loadcnt 0x0
	ds_store_b64 v137, v[3:4]
.LBB54_271:
	s_wait_alu 0xfffe
	s_or_b32 exec_lo, exec_lo, s0
	s_wait_storecnt_dscnt 0x0
	s_barrier_signal -1
	s_barrier_wait -1
	global_inv scope:SCOPE_SE
	s_clause 0x9
	scratch_load_b128 v[2:5], off, off offset:296
	scratch_load_b128 v[6:9], off, off offset:312
	;; [unrolled: 1-line block ×9, first 2 shown]
	scratch_load_b64 v[22:23], off, off offset:288
	ds_load_2addr_b64 v[154:157], v1 offset0:93 offset1:94
	ds_load_2addr_b64 v[158:161], v1 offset0:95 offset1:96
	ds_load_2addr_b64 v[162:165], v1 offset0:97 offset1:98
	ds_load_2addr_b64 v[166:169], v1 offset0:99 offset1:100
	ds_load_2addr_b64 v[170:173], v1 offset0:101 offset1:102
	ds_load_2addr_b64 v[174:177], v1 offset0:103 offset1:104
	ds_load_2addr_b64 v[178:181], v1 offset0:105 offset1:106
	ds_load_2addr_b64 v[182:185], v1 offset0:107 offset1:108
	ds_load_2addr_b64 v[186:189], v1 offset0:109 offset1:110
	s_mov_b32 s0, exec_lo
	s_wait_loadcnt_dscnt 0x908
	v_dual_mul_f32 v1, v154, v3 :: v_dual_mul_f32 v24, v156, v5
	v_mul_f32_e32 v3, v155, v3
	v_mul_f32_e32 v5, v157, v5
	s_wait_loadcnt_dscnt 0x807
	v_dual_mul_f32 v135, v158, v7 :: v_dual_mul_f32 v136, v160, v9
	v_fmac_f32_e32 v24, v157, v4
	v_fma_f32 v3, v154, v2, -v3
	s_wait_loadcnt_dscnt 0x706
	v_dual_mul_f32 v190, v162, v11 :: v_dual_mul_f32 v191, v164, v13
	v_dual_fmac_f32 v1, v155, v2 :: v_dual_fmac_f32 v136, v161, v8
	v_mul_f32_e32 v2, v159, v7
	v_fma_f32 v4, v156, v4, -v5
	s_delay_alu instid0(VALU_DEP_4) | instskip(NEXT) | instid1(VALU_DEP_4)
	v_dual_add_f32 v3, 0, v3 :: v_dual_fmac_f32 v190, v163, v10
	v_add_f32_e32 v1, 0, v1
	s_delay_alu instid0(VALU_DEP_4) | instskip(SKIP_4) | instid1(VALU_DEP_3)
	v_fma_f32 v2, v158, v6, -v2
	s_wait_loadcnt_dscnt 0x605
	v_dual_mul_f32 v192, v166, v15 :: v_dual_mul_f32 v193, v168, v17
	v_add_f32_e32 v3, v3, v4
	v_dual_mul_f32 v5, v161, v9 :: v_dual_mul_f32 v4, v163, v11
	v_dual_add_f32 v1, v1, v24 :: v_dual_fmac_f32 v192, v167, v14
	s_delay_alu instid0(VALU_DEP_3) | instskip(NEXT) | instid1(VALU_DEP_3)
	v_add_f32_e32 v2, v3, v2
	v_fma_f32 v5, v160, v8, -v5
	v_fmac_f32_e32 v135, v159, v6
	v_fma_f32 v4, v162, v10, -v4
	s_wait_loadcnt_dscnt 0x504
	v_dual_mul_f32 v194, v170, v19 :: v_dual_mul_f32 v195, v172, v21
	s_delay_alu instid0(VALU_DEP_3) | instskip(NEXT) | instid1(VALU_DEP_2)
	v_dual_add_f32 v2, v2, v5 :: v_dual_add_f32 v1, v1, v135
	v_dual_mul_f32 v3, v165, v13 :: v_dual_fmac_f32 v194, v171, v18
	s_wait_loadcnt_dscnt 0x403
	v_dual_mul_f32 v196, v174, v139 :: v_dual_mul_f32 v197, v176, v141
	s_delay_alu instid0(VALU_DEP_3)
	v_add_f32_e32 v2, v2, v4
	v_mul_f32_e32 v4, v169, v17
	v_fma_f32 v3, v164, v12, -v3
	s_wait_loadcnt_dscnt 0x201
	v_dual_add_f32 v1, v1, v136 :: v_dual_mul_f32 v200, v182, v147
	v_mul_f32_e32 v201, v184, v149
	v_fma_f32 v4, v168, v16, -v4
	v_mul_f32_e32 v5, v167, v15
	s_delay_alu instid0(VALU_DEP_4) | instskip(SKIP_1) | instid1(VALU_DEP_3)
	v_dual_add_f32 v2, v2, v3 :: v_dual_add_f32 v1, v1, v190
	v_dual_mul_f32 v198, v178, v143 :: v_dual_mul_f32 v199, v180, v145
	v_fma_f32 v5, v166, v14, -v5
	v_dual_fmac_f32 v191, v165, v12 :: v_dual_fmac_f32 v196, v175, v138
	s_delay_alu instid0(VALU_DEP_3) | instskip(SKIP_4) | instid1(VALU_DEP_3)
	v_fmac_f32_e32 v198, v179, v142
	s_wait_loadcnt_dscnt 0x100
	v_dual_mul_f32 v202, v186, v151 :: v_dual_mul_f32 v203, v188, v153
	v_dual_add_f32 v2, v2, v5 :: v_dual_fmac_f32 v197, v177, v140
	v_dual_fmac_f32 v201, v185, v148 :: v_dual_fmac_f32 v200, v183, v146
	v_fmac_f32_e32 v203, v189, v152
	s_delay_alu instid0(VALU_DEP_3) | instskip(SKIP_2) | instid1(VALU_DEP_2)
	v_add_f32_e32 v2, v2, v4
	v_mul_f32_e32 v4, v175, v139
	v_dual_add_f32 v1, v1, v191 :: v_dual_fmac_f32 v202, v187, v150
	v_fma_f32 v4, v174, v138, -v4
	v_mul_f32_e32 v5, v173, v21
	s_delay_alu instid0(VALU_DEP_3) | instskip(NEXT) | instid1(VALU_DEP_2)
	v_add_f32_e32 v1, v1, v192
	v_fma_f32 v5, v172, v20, -v5
	v_mul_f32_e32 v3, v171, v19
	s_delay_alu instid0(VALU_DEP_1) | instskip(NEXT) | instid1(VALU_DEP_1)
	v_fma_f32 v3, v170, v18, -v3
	v_dual_fmac_f32 v193, v169, v16 :: v_dual_add_f32 v2, v2, v3
	v_mul_f32_e32 v3, v177, v141
	s_delay_alu instid0(VALU_DEP_2) | instskip(NEXT) | instid1(VALU_DEP_2)
	v_dual_add_f32 v2, v2, v5 :: v_dual_mul_f32 v5, v179, v143
	v_fma_f32 v3, v176, v140, -v3
	s_delay_alu instid0(VALU_DEP_2) | instskip(SKIP_1) | instid1(VALU_DEP_4)
	v_dual_add_f32 v2, v2, v4 :: v_dual_add_f32 v1, v1, v193
	v_mul_f32_e32 v4, v181, v145
	v_fma_f32 v5, v178, v142, -v5
	s_delay_alu instid0(VALU_DEP_3) | instskip(NEXT) | instid1(VALU_DEP_3)
	v_dual_add_f32 v2, v2, v3 :: v_dual_fmac_f32 v195, v173, v20
	v_fma_f32 v4, v180, v144, -v4
	s_delay_alu instid0(VALU_DEP_2) | instskip(SKIP_1) | instid1(VALU_DEP_2)
	v_add_f32_e32 v2, v2, v5
	v_mul_f32_e32 v5, v185, v149
	v_dual_add_f32 v1, v1, v194 :: v_dual_add_f32 v2, v2, v4
	s_delay_alu instid0(VALU_DEP_2) | instskip(SKIP_1) | instid1(VALU_DEP_3)
	v_fma_f32 v5, v184, v148, -v5
	v_mul_f32_e32 v3, v183, v147
	v_add_f32_e32 v1, v1, v195
	v_mul_f32_e32 v4, v187, v151
	s_delay_alu instid0(VALU_DEP_3) | instskip(NEXT) | instid1(VALU_DEP_3)
	v_fma_f32 v3, v182, v146, -v3
	v_add_f32_e32 v1, v1, v196
	s_delay_alu instid0(VALU_DEP_3) | instskip(NEXT) | instid1(VALU_DEP_3)
	v_fma_f32 v4, v186, v150, -v4
	v_dual_add_f32 v2, v2, v3 :: v_dual_mul_f32 v3, v189, v153
	s_delay_alu instid0(VALU_DEP_1) | instskip(NEXT) | instid1(VALU_DEP_4)
	v_add_f32_e32 v2, v2, v5
	v_add_f32_e32 v1, v1, v197
	s_delay_alu instid0(VALU_DEP_3) | instskip(NEXT) | instid1(VALU_DEP_3)
	v_fma_f32 v3, v188, v152, -v3
	v_add_f32_e32 v2, v2, v4
	v_fmac_f32_e32 v199, v181, v144
	s_delay_alu instid0(VALU_DEP_2) | instskip(NEXT) | instid1(VALU_DEP_1)
	v_dual_add_f32 v1, v1, v198 :: v_dual_add_f32 v2, v2, v3
	v_add_f32_e32 v1, v1, v199
	s_delay_alu instid0(VALU_DEP_1) | instskip(NEXT) | instid1(VALU_DEP_1)
	v_add_f32_e32 v1, v1, v200
	v_add_f32_e32 v1, v1, v201
	s_delay_alu instid0(VALU_DEP_1) | instskip(NEXT) | instid1(VALU_DEP_1)
	v_add_f32_e32 v1, v1, v202
	v_add_f32_e32 v3, v1, v203
	s_wait_loadcnt 0x0
	s_delay_alu instid0(VALU_DEP_1)
	v_dual_sub_f32 v1, v22, v2 :: v_dual_sub_f32 v2, v23, v3
	scratch_store_b64 off, v[1:2], off offset:288
	v_cmpx_lt_u32_e32 35, v0
	s_cbranch_execz .LBB54_273
; %bb.272:
	scratch_load_b64 v[1:2], off, off offset:280
	v_mov_b32_e32 v3, 0
	s_delay_alu instid0(VALU_DEP_1)
	v_mov_b32_e32 v4, v3
	scratch_store_b64 off, v[3:4], off offset:280
	s_wait_loadcnt 0x0
	ds_store_b64 v137, v[1:2]
.LBB54_273:
	s_wait_alu 0xfffe
	s_or_b32 exec_lo, exec_lo, s0
	s_wait_storecnt_dscnt 0x0
	s_barrier_signal -1
	s_barrier_wait -1
	global_inv scope:SCOPE_SE
	s_clause 0xa
	scratch_load_b128 v[2:5], off, off offset:288
	scratch_load_b128 v[6:9], off, off offset:304
	;; [unrolled: 1-line block ×9, first 2 shown]
	scratch_load_b64 v[22:23], off, off offset:432
	scratch_load_b64 v[135:136], off, off offset:280
	v_mov_b32_e32 v1, 0
	ds_load_b128 v[154:157], v1 offset:736
	ds_load_b128 v[158:161], v1 offset:752
	;; [unrolled: 1-line block ×9, first 2 shown]
	ds_load_b64 v[190:191], v1 offset:880
	s_mov_b32 s0, exec_lo
	s_wait_loadcnt_dscnt 0xa09
	v_mul_f32_e32 v24, v154, v3
	s_wait_loadcnt_dscnt 0x908
	v_dual_mul_f32 v192, v156, v5 :: v_dual_mul_f32 v193, v158, v7
	v_mul_f32_e32 v3, v155, v3
	s_delay_alu instid0(VALU_DEP_3)
	v_dual_mul_f32 v5, v157, v5 :: v_dual_fmac_f32 v24, v155, v2
	s_wait_loadcnt_dscnt 0x807
	v_dual_mul_f32 v194, v160, v9 :: v_dual_mul_f32 v195, v162, v11
	s_wait_loadcnt_dscnt 0x302
	v_mul_f32_e32 v206, v184, v149
	v_fma_f32 v3, v154, v2, -v3
	s_wait_loadcnt_dscnt 0x100
	v_mul_f32_e32 v209, v190, v23
	v_mul_f32_e32 v2, v159, v7
	v_fmac_f32_e32 v192, v157, v4
	v_fma_f32 v4, v156, v4, -v5
	v_dual_add_f32 v3, 0, v3 :: v_dual_mul_f32 v196, v164, v13
	v_mul_f32_e32 v197, v166, v15
	v_fma_f32 v2, v158, v6, -v2
	v_fmac_f32_e32 v195, v163, v10
	s_delay_alu instid0(VALU_DEP_4) | instskip(SKIP_3) | instid1(VALU_DEP_4)
	v_add_f32_e32 v3, v3, v4
	v_add_f32_e32 v5, 0, v24
	v_fmac_f32_e32 v196, v165, v12
	v_dual_mul_f32 v198, v168, v17 :: v_dual_mul_f32 v199, v170, v19
	v_dual_add_f32 v2, v3, v2 :: v_dual_mul_f32 v7, v161, v9
	s_delay_alu instid0(VALU_DEP_4) | instskip(SKIP_1) | instid1(VALU_DEP_3)
	v_dual_fmac_f32 v193, v159, v6 :: v_dual_add_f32 v4, v5, v192
	v_dual_mul_f32 v5, v163, v11 :: v_dual_fmac_f32 v194, v161, v8
	v_fma_f32 v6, v160, v8, -v7
	v_dual_fmac_f32 v197, v167, v14 :: v_dual_fmac_f32 v198, v169, v16
	s_delay_alu instid0(VALU_DEP_4)
	v_add_f32_e32 v3, v4, v193
	v_mul_f32_e32 v4, v165, v13
	v_fma_f32 v5, v162, v10, -v5
	v_add_f32_e32 v2, v2, v6
	v_mul_f32_e32 v6, v167, v15
	v_add_f32_e32 v3, v3, v194
	v_fma_f32 v4, v164, v12, -v4
	v_dual_mul_f32 v200, v172, v21 :: v_dual_mul_f32 v201, v174, v139
	s_delay_alu instid0(VALU_DEP_3) | instskip(SKIP_3) | instid1(VALU_DEP_4)
	v_dual_add_f32 v2, v2, v5 :: v_dual_add_f32 v3, v3, v195
	v_mul_f32_e32 v5, v169, v17
	v_fma_f32 v6, v166, v14, -v6
	v_dual_mul_f32 v202, v176, v141 :: v_dual_mul_f32 v203, v178, v143
	v_add_f32_e32 v2, v2, v4
	v_add_f32_e32 v3, v3, v196
	v_mul_f32_e32 v4, v171, v19
	v_fma_f32 v5, v168, v16, -v5
	v_fmac_f32_e32 v199, v171, v18
	s_delay_alu instid0(VALU_DEP_4) | instskip(SKIP_3) | instid1(VALU_DEP_4)
	v_dual_add_f32 v2, v2, v6 :: v_dual_add_f32 v3, v3, v197
	v_fmac_f32_e32 v200, v173, v20
	v_mul_f32_e32 v6, v173, v21
	v_fma_f32 v4, v170, v18, -v4
	v_dual_add_f32 v2, v2, v5 :: v_dual_add_f32 v3, v3, v198
	v_mul_f32_e32 v5, v175, v139
	s_delay_alu instid0(VALU_DEP_4) | instskip(SKIP_1) | instid1(VALU_DEP_4)
	v_fma_f32 v6, v172, v20, -v6
	v_dual_fmac_f32 v201, v175, v138 :: v_dual_fmac_f32 v202, v177, v140
	v_dual_add_f32 v2, v2, v4 :: v_dual_add_f32 v3, v3, v199
	v_mul_f32_e32 v4, v177, v141
	v_fma_f32 v5, v174, v138, -v5
	v_fmac_f32_e32 v203, v179, v142
	s_delay_alu instid0(VALU_DEP_4) | instskip(SKIP_3) | instid1(VALU_DEP_4)
	v_dual_add_f32 v2, v2, v6 :: v_dual_add_f32 v3, v3, v200
	v_mul_f32_e32 v6, v179, v143
	v_fma_f32 v4, v176, v140, -v4
	v_dual_mul_f32 v204, v180, v145 :: v_dual_mul_f32 v205, v182, v147
	v_add_f32_e32 v2, v2, v5
	v_add_f32_e32 v3, v3, v201
	v_mul_f32_e32 v5, v181, v145
	v_fma_f32 v6, v178, v142, -v6
	v_fmac_f32_e32 v204, v181, v144
	s_delay_alu instid0(VALU_DEP_4) | instskip(SKIP_3) | instid1(VALU_DEP_4)
	v_dual_add_f32 v2, v2, v4 :: v_dual_add_f32 v3, v3, v202
	v_mul_f32_e32 v4, v183, v147
	v_fma_f32 v5, v180, v144, -v5
	v_fmac_f32_e32 v205, v183, v146
	v_dual_add_f32 v2, v2, v6 :: v_dual_add_f32 v3, v3, v203
	v_mul_f32_e32 v6, v185, v149
	v_fma_f32 v4, v182, v146, -v4
	v_dual_mul_f32 v207, v186, v151 :: v_dual_mul_f32 v208, v188, v153
	s_delay_alu instid0(VALU_DEP_4) | instskip(SKIP_2) | instid1(VALU_DEP_3)
	v_dual_add_f32 v2, v2, v5 :: v_dual_add_f32 v3, v3, v204
	v_dual_mul_f32 v5, v187, v151 :: v_dual_fmac_f32 v206, v185, v148
	v_fma_f32 v6, v184, v148, -v6
	v_dual_add_f32 v2, v2, v4 :: v_dual_add_f32 v3, v3, v205
	v_dual_mul_f32 v4, v189, v153 :: v_dual_fmac_f32 v207, v187, v150
	s_delay_alu instid0(VALU_DEP_4) | instskip(NEXT) | instid1(VALU_DEP_3)
	v_fma_f32 v5, v186, v150, -v5
	v_dual_fmac_f32 v208, v189, v152 :: v_dual_add_f32 v3, v3, v206
	s_delay_alu instid0(VALU_DEP_4) | instskip(SKIP_3) | instid1(VALU_DEP_4)
	v_add_f32_e32 v2, v2, v6
	v_mul_f32_e32 v6, v191, v23
	v_fma_f32 v4, v188, v152, -v4
	v_fmac_f32_e32 v209, v191, v22
	v_dual_add_f32 v3, v3, v207 :: v_dual_add_f32 v2, v2, v5
	s_delay_alu instid0(VALU_DEP_4) | instskip(NEXT) | instid1(VALU_DEP_2)
	v_fma_f32 v5, v190, v22, -v6
	v_add_f32_e32 v3, v3, v208
	s_delay_alu instid0(VALU_DEP_1) | instskip(SKIP_1) | instid1(VALU_DEP_1)
	v_dual_add_f32 v2, v2, v4 :: v_dual_add_f32 v3, v3, v209
	s_wait_loadcnt 0x0
	v_dual_add_f32 v2, v2, v5 :: v_dual_sub_f32 v3, v136, v3
	s_delay_alu instid0(VALU_DEP_1)
	v_sub_f32_e32 v2, v135, v2
	scratch_store_b64 off, v[2:3], off offset:280
	v_cmpx_lt_u32_e32 34, v0
	s_cbranch_execz .LBB54_275
; %bb.274:
	scratch_load_b64 v[3:4], off, off offset:272
	v_mov_b32_e32 v2, v1
	scratch_store_b64 off, v[1:2], off offset:272
	s_wait_loadcnt 0x0
	ds_store_b64 v137, v[3:4]
.LBB54_275:
	s_wait_alu 0xfffe
	s_or_b32 exec_lo, exec_lo, s0
	s_wait_storecnt_dscnt 0x0
	s_barrier_signal -1
	s_barrier_wait -1
	global_inv scope:SCOPE_SE
	s_clause 0xa
	scratch_load_b128 v[2:5], off, off offset:280
	scratch_load_b128 v[6:9], off, off offset:296
	scratch_load_b128 v[10:13], off, off offset:312
	scratch_load_b128 v[14:17], off, off offset:328
	scratch_load_b128 v[18:21], off, off offset:344
	scratch_load_b128 v[138:141], off, off offset:360
	scratch_load_b128 v[142:145], off, off offset:376
	scratch_load_b128 v[146:149], off, off offset:392
	scratch_load_b128 v[150:153], off, off offset:408
	scratch_load_b128 v[154:157], off, off offset:424
	scratch_load_b64 v[22:23], off, off offset:272
	ds_load_2addr_b64 v[158:161], v1 offset0:91 offset1:92
	ds_load_2addr_b64 v[162:165], v1 offset0:93 offset1:94
	;; [unrolled: 1-line block ×10, first 2 shown]
	s_mov_b32 s0, exec_lo
	s_wait_loadcnt_dscnt 0xa09
	v_dual_mul_f32 v1, v158, v3 :: v_dual_mul_f32 v24, v160, v5
	v_mul_f32_e32 v3, v159, v3
	v_mul_f32_e32 v5, v161, v5
	s_wait_loadcnt_dscnt 0x908
	v_dual_mul_f32 v135, v162, v7 :: v_dual_mul_f32 v136, v164, v9
	v_fmac_f32_e32 v24, v161, v4
	v_fma_f32 v3, v158, v2, -v3
	s_wait_loadcnt_dscnt 0x807
	v_dual_mul_f32 v198, v166, v11 :: v_dual_mul_f32 v199, v168, v13
	v_dual_fmac_f32 v1, v159, v2 :: v_dual_fmac_f32 v136, v165, v8
	v_mul_f32_e32 v2, v163, v7
	v_fma_f32 v4, v160, v4, -v5
	s_delay_alu instid0(VALU_DEP_4) | instskip(NEXT) | instid1(VALU_DEP_4)
	v_dual_add_f32 v3, 0, v3 :: v_dual_fmac_f32 v198, v167, v10
	v_add_f32_e32 v1, 0, v1
	s_delay_alu instid0(VALU_DEP_4) | instskip(SKIP_4) | instid1(VALU_DEP_3)
	v_fma_f32 v2, v162, v6, -v2
	s_wait_loadcnt_dscnt 0x706
	v_dual_mul_f32 v200, v170, v15 :: v_dual_mul_f32 v201, v172, v17
	v_add_f32_e32 v3, v3, v4
	v_dual_mul_f32 v5, v165, v9 :: v_dual_mul_f32 v4, v167, v11
	v_dual_add_f32 v1, v1, v24 :: v_dual_fmac_f32 v200, v171, v14
	s_delay_alu instid0(VALU_DEP_3) | instskip(NEXT) | instid1(VALU_DEP_3)
	v_add_f32_e32 v2, v3, v2
	v_fma_f32 v5, v164, v8, -v5
	v_fmac_f32_e32 v135, v163, v6
	v_fma_f32 v4, v166, v10, -v4
	s_wait_loadcnt_dscnt 0x605
	v_dual_mul_f32 v202, v174, v19 :: v_dual_mul_f32 v203, v176, v21
	s_delay_alu instid0(VALU_DEP_3) | instskip(NEXT) | instid1(VALU_DEP_2)
	v_dual_add_f32 v2, v2, v5 :: v_dual_add_f32 v1, v1, v135
	v_dual_mul_f32 v3, v169, v13 :: v_dual_fmac_f32 v202, v175, v18
	s_wait_loadcnt_dscnt 0x504
	v_dual_mul_f32 v204, v178, v139 :: v_dual_mul_f32 v205, v180, v141
	s_delay_alu instid0(VALU_DEP_3)
	v_add_f32_e32 v2, v2, v4
	v_mul_f32_e32 v4, v173, v17
	v_fma_f32 v3, v168, v12, -v3
	s_wait_loadcnt_dscnt 0x302
	v_dual_add_f32 v1, v1, v136 :: v_dual_mul_f32 v208, v186, v147
	v_mul_f32_e32 v209, v188, v149
	v_fma_f32 v4, v172, v16, -v4
	v_mul_f32_e32 v5, v171, v15
	s_delay_alu instid0(VALU_DEP_4) | instskip(SKIP_1) | instid1(VALU_DEP_3)
	v_dual_add_f32 v2, v2, v3 :: v_dual_add_f32 v1, v1, v198
	v_dual_mul_f32 v206, v182, v143 :: v_dual_mul_f32 v207, v184, v145
	v_fma_f32 v5, v170, v14, -v5
	v_dual_fmac_f32 v199, v169, v12 :: v_dual_fmac_f32 v204, v179, v138
	s_delay_alu instid0(VALU_DEP_3)
	v_fmac_f32_e32 v206, v183, v142
	s_wait_loadcnt_dscnt 0x201
	v_dual_mul_f32 v210, v190, v151 :: v_dual_mul_f32 v211, v192, v153
	v_dual_add_f32 v2, v2, v5 :: v_dual_fmac_f32 v205, v181, v140
	s_wait_loadcnt_dscnt 0x100
	v_dual_mul_f32 v212, v194, v155 :: v_dual_mul_f32 v213, v196, v157
	v_fmac_f32_e32 v207, v185, v144
	s_delay_alu instid0(VALU_DEP_3) | instskip(SKIP_1) | instid1(VALU_DEP_4)
	v_add_f32_e32 v2, v2, v4
	v_mul_f32_e32 v4, v179, v139
	v_dual_add_f32 v1, v1, v199 :: v_dual_fmac_f32 v212, v195, v154
	v_fmac_f32_e32 v209, v189, v148
	v_fmac_f32_e32 v211, v193, v152
	s_delay_alu instid0(VALU_DEP_4) | instskip(SKIP_3) | instid1(VALU_DEP_3)
	v_fma_f32 v4, v178, v138, -v4
	v_mul_f32_e32 v5, v177, v21
	v_dual_add_f32 v1, v1, v200 :: v_dual_fmac_f32 v208, v187, v146
	v_dual_fmac_f32 v213, v197, v156 :: v_dual_fmac_f32 v210, v191, v150
	v_fma_f32 v5, v176, v20, -v5
	v_mul_f32_e32 v3, v175, v19
	s_delay_alu instid0(VALU_DEP_1) | instskip(NEXT) | instid1(VALU_DEP_1)
	v_fma_f32 v3, v174, v18, -v3
	v_dual_fmac_f32 v201, v173, v16 :: v_dual_add_f32 v2, v2, v3
	v_mul_f32_e32 v3, v181, v141
	s_delay_alu instid0(VALU_DEP_2) | instskip(NEXT) | instid1(VALU_DEP_2)
	v_dual_add_f32 v2, v2, v5 :: v_dual_mul_f32 v5, v183, v143
	v_fma_f32 v3, v180, v140, -v3
	s_delay_alu instid0(VALU_DEP_2) | instskip(SKIP_1) | instid1(VALU_DEP_4)
	v_dual_add_f32 v2, v2, v4 :: v_dual_add_f32 v1, v1, v201
	v_mul_f32_e32 v4, v185, v145
	v_fma_f32 v5, v182, v142, -v5
	s_delay_alu instid0(VALU_DEP_3) | instskip(NEXT) | instid1(VALU_DEP_3)
	v_dual_add_f32 v2, v2, v3 :: v_dual_fmac_f32 v203, v177, v20
	v_fma_f32 v4, v184, v144, -v4
	s_delay_alu instid0(VALU_DEP_2) | instskip(SKIP_1) | instid1(VALU_DEP_2)
	v_add_f32_e32 v2, v2, v5
	v_mul_f32_e32 v5, v189, v149
	v_dual_add_f32 v1, v1, v202 :: v_dual_add_f32 v2, v2, v4
	s_delay_alu instid0(VALU_DEP_2) | instskip(SKIP_1) | instid1(VALU_DEP_3)
	v_fma_f32 v5, v188, v148, -v5
	v_mul_f32_e32 v3, v187, v147
	v_add_f32_e32 v1, v1, v203
	v_mul_f32_e32 v4, v191, v151
	s_delay_alu instid0(VALU_DEP_3) | instskip(NEXT) | instid1(VALU_DEP_3)
	v_fma_f32 v3, v186, v146, -v3
	v_add_f32_e32 v1, v1, v204
	s_delay_alu instid0(VALU_DEP_3) | instskip(NEXT) | instid1(VALU_DEP_3)
	v_fma_f32 v4, v190, v150, -v4
	v_dual_add_f32 v2, v2, v3 :: v_dual_mul_f32 v3, v193, v153
	s_delay_alu instid0(VALU_DEP_1) | instskip(NEXT) | instid1(VALU_DEP_4)
	v_add_f32_e32 v2, v2, v5
	v_add_f32_e32 v1, v1, v205
	v_mul_f32_e32 v5, v195, v155
	s_delay_alu instid0(VALU_DEP_4) | instskip(NEXT) | instid1(VALU_DEP_3)
	v_fma_f32 v3, v192, v152, -v3
	v_dual_add_f32 v2, v2, v4 :: v_dual_add_f32 v1, v1, v206
	v_mul_f32_e32 v4, v197, v157
	s_delay_alu instid0(VALU_DEP_4) | instskip(NEXT) | instid1(VALU_DEP_3)
	v_fma_f32 v5, v194, v154, -v5
	v_add_f32_e32 v2, v2, v3
	s_delay_alu instid0(VALU_DEP_4) | instskip(NEXT) | instid1(VALU_DEP_4)
	v_add_f32_e32 v1, v1, v207
	v_fma_f32 v3, v196, v156, -v4
	s_delay_alu instid0(VALU_DEP_2) | instskip(NEXT) | instid1(VALU_DEP_1)
	v_dual_add_f32 v2, v2, v5 :: v_dual_add_f32 v1, v1, v208
	v_dual_add_f32 v2, v2, v3 :: v_dual_add_f32 v1, v1, v209
	s_delay_alu instid0(VALU_DEP_1) | instskip(NEXT) | instid1(VALU_DEP_1)
	v_add_f32_e32 v1, v1, v210
	v_add_f32_e32 v1, v1, v211
	s_delay_alu instid0(VALU_DEP_1) | instskip(NEXT) | instid1(VALU_DEP_1)
	v_add_f32_e32 v1, v1, v212
	v_add_f32_e32 v3, v1, v213
	s_wait_loadcnt 0x0
	s_delay_alu instid0(VALU_DEP_1)
	v_dual_sub_f32 v1, v22, v2 :: v_dual_sub_f32 v2, v23, v3
	scratch_store_b64 off, v[1:2], off offset:272
	v_cmpx_lt_u32_e32 33, v0
	s_cbranch_execz .LBB54_277
; %bb.276:
	scratch_load_b64 v[1:2], off, off offset:264
	v_mov_b32_e32 v3, 0
	s_delay_alu instid0(VALU_DEP_1)
	v_mov_b32_e32 v4, v3
	scratch_store_b64 off, v[3:4], off offset:264
	s_wait_loadcnt 0x0
	ds_store_b64 v137, v[1:2]
.LBB54_277:
	s_wait_alu 0xfffe
	s_or_b32 exec_lo, exec_lo, s0
	s_wait_storecnt_dscnt 0x0
	s_barrier_signal -1
	s_barrier_wait -1
	global_inv scope:SCOPE_SE
	s_clause 0xb
	scratch_load_b128 v[2:5], off, off offset:272
	scratch_load_b128 v[6:9], off, off offset:288
	;; [unrolled: 1-line block ×10, first 2 shown]
	scratch_load_b64 v[22:23], off, off offset:432
	scratch_load_b64 v[135:136], off, off offset:264
	v_mov_b32_e32 v1, 0
	ds_load_b128 v[158:161], v1 offset:720
	ds_load_b128 v[162:165], v1 offset:736
	;; [unrolled: 1-line block ×10, first 2 shown]
	ds_load_b64 v[198:199], v1 offset:880
	s_mov_b32 s0, exec_lo
	s_wait_loadcnt_dscnt 0xb0a
	v_mul_f32_e32 v24, v158, v3
	s_wait_loadcnt_dscnt 0xa09
	v_dual_mul_f32 v200, v160, v5 :: v_dual_mul_f32 v201, v162, v7
	v_mul_f32_e32 v5, v161, v5
	v_dual_mul_f32 v3, v159, v3 :: v_dual_mul_f32 v202, v164, v9
	s_wait_loadcnt_dscnt 0x908
	v_dual_mul_f32 v203, v166, v11 :: v_dual_fmac_f32 v24, v159, v2
	s_wait_loadcnt_dscnt 0x302
	v_mul_f32_e32 v216, v192, v153
	v_fma_f32 v3, v158, v2, -v3
	s_wait_loadcnt_dscnt 0x100
	v_mul_f32_e32 v219, v198, v23
	v_mul_f32_e32 v2, v163, v7
	v_fmac_f32_e32 v200, v161, v4
	v_fma_f32 v4, v160, v4, -v5
	v_dual_add_f32 v3, 0, v3 :: v_dual_mul_f32 v204, v168, v13
	v_mul_f32_e32 v205, v170, v15
	v_fma_f32 v2, v162, v6, -v2
	v_fmac_f32_e32 v203, v167, v10
	s_delay_alu instid0(VALU_DEP_4) | instskip(SKIP_3) | instid1(VALU_DEP_4)
	v_add_f32_e32 v3, v3, v4
	v_add_f32_e32 v5, 0, v24
	v_fmac_f32_e32 v204, v169, v12
	v_dual_mul_f32 v206, v172, v17 :: v_dual_mul_f32 v207, v174, v19
	v_dual_add_f32 v2, v3, v2 :: v_dual_mul_f32 v7, v165, v9
	s_delay_alu instid0(VALU_DEP_4) | instskip(SKIP_1) | instid1(VALU_DEP_3)
	v_dual_fmac_f32 v201, v163, v6 :: v_dual_add_f32 v4, v5, v200
	v_dual_mul_f32 v5, v167, v11 :: v_dual_fmac_f32 v202, v165, v8
	v_fma_f32 v6, v164, v8, -v7
	v_dual_fmac_f32 v205, v171, v14 :: v_dual_fmac_f32 v206, v173, v16
	s_delay_alu instid0(VALU_DEP_4)
	v_add_f32_e32 v3, v4, v201
	v_mul_f32_e32 v4, v169, v13
	v_fma_f32 v5, v166, v10, -v5
	v_add_f32_e32 v2, v2, v6
	v_mul_f32_e32 v6, v171, v15
	v_add_f32_e32 v3, v3, v202
	v_fma_f32 v4, v168, v12, -v4
	v_dual_mul_f32 v208, v176, v21 :: v_dual_mul_f32 v209, v178, v139
	s_delay_alu instid0(VALU_DEP_3) | instskip(SKIP_3) | instid1(VALU_DEP_4)
	v_dual_add_f32 v2, v2, v5 :: v_dual_add_f32 v3, v3, v203
	v_mul_f32_e32 v5, v173, v17
	v_fma_f32 v6, v170, v14, -v6
	v_dual_mul_f32 v210, v180, v141 :: v_dual_mul_f32 v211, v182, v143
	v_add_f32_e32 v2, v2, v4
	v_add_f32_e32 v3, v3, v204
	v_mul_f32_e32 v4, v175, v19
	v_fma_f32 v5, v172, v16, -v5
	v_fmac_f32_e32 v207, v175, v18
	s_delay_alu instid0(VALU_DEP_4) | instskip(SKIP_3) | instid1(VALU_DEP_4)
	v_dual_add_f32 v2, v2, v6 :: v_dual_add_f32 v3, v3, v205
	v_fmac_f32_e32 v208, v177, v20
	v_mul_f32_e32 v6, v177, v21
	v_fma_f32 v4, v174, v18, -v4
	v_dual_add_f32 v2, v2, v5 :: v_dual_add_f32 v3, v3, v206
	v_mul_f32_e32 v5, v179, v139
	s_delay_alu instid0(VALU_DEP_4) | instskip(SKIP_1) | instid1(VALU_DEP_4)
	v_fma_f32 v6, v176, v20, -v6
	v_dual_fmac_f32 v209, v179, v138 :: v_dual_fmac_f32 v210, v181, v140
	v_dual_add_f32 v2, v2, v4 :: v_dual_add_f32 v3, v3, v207
	v_mul_f32_e32 v4, v181, v141
	v_fma_f32 v5, v178, v138, -v5
	v_dual_mul_f32 v212, v184, v145 :: v_dual_mul_f32 v213, v186, v147
	s_delay_alu instid0(VALU_DEP_4) | instskip(SKIP_2) | instid1(VALU_DEP_3)
	v_dual_add_f32 v2, v2, v6 :: v_dual_add_f32 v3, v3, v208
	v_mul_f32_e32 v6, v183, v143
	v_fma_f32 v4, v180, v140, -v4
	v_dual_fmac_f32 v211, v183, v142 :: v_dual_add_f32 v2, v2, v5
	s_delay_alu instid0(VALU_DEP_4) | instskip(SKIP_3) | instid1(VALU_DEP_4)
	v_add_f32_e32 v3, v3, v209
	v_mul_f32_e32 v5, v185, v145
	v_fma_f32 v6, v182, v142, -v6
	v_fmac_f32_e32 v212, v185, v144
	v_dual_add_f32 v2, v2, v4 :: v_dual_add_f32 v3, v3, v210
	v_mul_f32_e32 v4, v187, v147
	v_fma_f32 v5, v184, v144, -v5
	v_dual_mul_f32 v214, v188, v149 :: v_dual_mul_f32 v215, v190, v151
	s_delay_alu instid0(VALU_DEP_4) | instskip(SKIP_2) | instid1(VALU_DEP_3)
	v_dual_add_f32 v2, v2, v6 :: v_dual_add_f32 v3, v3, v211
	v_dual_mul_f32 v6, v189, v149 :: v_dual_fmac_f32 v213, v187, v146
	v_fma_f32 v4, v186, v146, -v4
	v_dual_add_f32 v2, v2, v5 :: v_dual_add_f32 v3, v3, v212
	v_dual_mul_f32 v5, v191, v151 :: v_dual_fmac_f32 v214, v189, v148
	s_delay_alu instid0(VALU_DEP_4) | instskip(NEXT) | instid1(VALU_DEP_3)
	v_fma_f32 v6, v188, v148, -v6
	v_dual_add_f32 v2, v2, v4 :: v_dual_add_f32 v3, v3, v213
	v_dual_mul_f32 v4, v193, v153 :: v_dual_fmac_f32 v215, v191, v150
	s_delay_alu instid0(VALU_DEP_4) | instskip(NEXT) | instid1(VALU_DEP_3)
	v_fma_f32 v5, v190, v150, -v5
	v_dual_fmac_f32 v216, v193, v152 :: v_dual_add_f32 v3, v3, v214
	s_delay_alu instid0(VALU_DEP_4) | instskip(SKIP_3) | instid1(VALU_DEP_4)
	v_add_f32_e32 v2, v2, v6
	v_dual_mul_f32 v217, v194, v155 :: v_dual_mul_f32 v218, v196, v157
	v_mul_f32_e32 v6, v195, v155
	v_fma_f32 v4, v192, v152, -v4
	v_dual_add_f32 v3, v3, v215 :: v_dual_add_f32 v2, v2, v5
	s_delay_alu instid0(VALU_DEP_4) | instskip(SKIP_2) | instid1(VALU_DEP_4)
	v_fmac_f32_e32 v217, v195, v154
	v_mul_f32_e32 v5, v197, v157
	v_fma_f32 v6, v194, v154, -v6
	v_add_f32_e32 v3, v3, v216
	v_add_f32_e32 v2, v2, v4
	v_mul_f32_e32 v4, v199, v23
	v_dual_fmac_f32 v218, v197, v156 :: v_dual_fmac_f32 v219, v199, v22
	v_fma_f32 v5, v196, v156, -v5
	s_delay_alu instid0(VALU_DEP_4) | instskip(NEXT) | instid1(VALU_DEP_4)
	v_dual_add_f32 v3, v3, v217 :: v_dual_add_f32 v2, v2, v6
	v_fma_f32 v4, v198, v22, -v4
	s_delay_alu instid0(VALU_DEP_2) | instskip(NEXT) | instid1(VALU_DEP_1)
	v_dual_add_f32 v3, v3, v218 :: v_dual_add_f32 v2, v2, v5
	v_dual_add_f32 v3, v3, v219 :: v_dual_add_f32 v2, v2, v4
	s_wait_loadcnt 0x0
	s_delay_alu instid0(VALU_DEP_1)
	v_dual_sub_f32 v3, v136, v3 :: v_dual_sub_f32 v2, v135, v2
	scratch_store_b64 off, v[2:3], off offset:264
	v_cmpx_lt_u32_e32 32, v0
	s_cbranch_execz .LBB54_279
; %bb.278:
	scratch_load_b64 v[3:4], off, off offset:256
	v_mov_b32_e32 v2, v1
	scratch_store_b64 off, v[1:2], off offset:256
	s_wait_loadcnt 0x0
	ds_store_b64 v137, v[3:4]
.LBB54_279:
	s_wait_alu 0xfffe
	s_or_b32 exec_lo, exec_lo, s0
	s_wait_storecnt_dscnt 0x0
	s_barrier_signal -1
	s_barrier_wait -1
	global_inv scope:SCOPE_SE
	s_clause 0xb
	scratch_load_b128 v[2:5], off, off offset:264
	scratch_load_b128 v[6:9], off, off offset:280
	;; [unrolled: 1-line block ×11, first 2 shown]
	scratch_load_b64 v[22:23], off, off offset:256
	ds_load_2addr_b64 v[162:165], v1 offset0:89 offset1:90
	ds_load_2addr_b64 v[166:169], v1 offset0:91 offset1:92
	;; [unrolled: 1-line block ×11, first 2 shown]
	s_mov_b32 s0, exec_lo
	s_wait_loadcnt_dscnt 0xb0a
	v_dual_mul_f32 v1, v162, v3 :: v_dual_mul_f32 v24, v164, v5
	v_mul_f32_e32 v3, v163, v3
	v_mul_f32_e32 v5, v165, v5
	s_wait_loadcnt_dscnt 0xa09
	v_dual_mul_f32 v135, v166, v7 :: v_dual_mul_f32 v136, v168, v9
	v_fmac_f32_e32 v24, v165, v4
	v_fma_f32 v3, v162, v2, -v3
	s_wait_loadcnt_dscnt 0x908
	v_dual_mul_f32 v206, v170, v11 :: v_dual_mul_f32 v207, v172, v13
	v_dual_fmac_f32 v1, v163, v2 :: v_dual_fmac_f32 v136, v169, v8
	v_mul_f32_e32 v2, v167, v7
	v_fma_f32 v4, v164, v4, -v5
	s_delay_alu instid0(VALU_DEP_4) | instskip(NEXT) | instid1(VALU_DEP_4)
	v_dual_add_f32 v3, 0, v3 :: v_dual_fmac_f32 v206, v171, v10
	v_add_f32_e32 v1, 0, v1
	s_delay_alu instid0(VALU_DEP_4) | instskip(SKIP_4) | instid1(VALU_DEP_3)
	v_fma_f32 v2, v166, v6, -v2
	s_wait_loadcnt_dscnt 0x807
	v_dual_mul_f32 v208, v174, v15 :: v_dual_mul_f32 v209, v176, v17
	v_add_f32_e32 v3, v3, v4
	v_dual_mul_f32 v5, v169, v9 :: v_dual_mul_f32 v4, v171, v11
	v_dual_add_f32 v1, v1, v24 :: v_dual_fmac_f32 v208, v175, v14
	s_delay_alu instid0(VALU_DEP_3) | instskip(NEXT) | instid1(VALU_DEP_3)
	v_add_f32_e32 v2, v3, v2
	v_fma_f32 v5, v168, v8, -v5
	v_fmac_f32_e32 v135, v167, v6
	v_fma_f32 v4, v170, v10, -v4
	s_wait_loadcnt_dscnt 0x706
	v_dual_mul_f32 v210, v178, v19 :: v_dual_mul_f32 v211, v180, v21
	s_delay_alu instid0(VALU_DEP_3) | instskip(NEXT) | instid1(VALU_DEP_2)
	v_dual_add_f32 v2, v2, v5 :: v_dual_add_f32 v1, v1, v135
	v_dual_mul_f32 v3, v173, v13 :: v_dual_fmac_f32 v210, v179, v18
	s_wait_loadcnt_dscnt 0x605
	v_dual_mul_f32 v212, v182, v139 :: v_dual_mul_f32 v213, v184, v141
	s_delay_alu instid0(VALU_DEP_3)
	v_add_f32_e32 v2, v2, v4
	v_mul_f32_e32 v4, v177, v17
	v_fma_f32 v3, v172, v12, -v3
	s_wait_loadcnt_dscnt 0x403
	v_dual_add_f32 v1, v1, v136 :: v_dual_mul_f32 v216, v190, v147
	v_mul_f32_e32 v217, v192, v149
	v_fma_f32 v4, v176, v16, -v4
	v_mul_f32_e32 v5, v175, v15
	s_delay_alu instid0(VALU_DEP_4) | instskip(SKIP_1) | instid1(VALU_DEP_3)
	v_dual_add_f32 v2, v2, v3 :: v_dual_add_f32 v1, v1, v206
	v_dual_mul_f32 v214, v186, v143 :: v_dual_mul_f32 v215, v188, v145
	v_fma_f32 v5, v174, v14, -v5
	v_dual_fmac_f32 v207, v173, v12 :: v_dual_fmac_f32 v212, v183, v138
	s_delay_alu instid0(VALU_DEP_3)
	v_fmac_f32_e32 v214, v187, v142
	s_wait_loadcnt_dscnt 0x100
	v_dual_mul_f32 v222, v202, v159 :: v_dual_mul_f32 v223, v204, v161
	v_add_f32_e32 v2, v2, v5
	v_dual_mul_f32 v218, v194, v151 :: v_dual_mul_f32 v219, v196, v153
	v_dual_fmac_f32 v213, v185, v140 :: v_dual_mul_f32 v220, v198, v155
	s_delay_alu instid0(VALU_DEP_3) | instskip(SKIP_2) | instid1(VALU_DEP_4)
	v_dual_mul_f32 v221, v200, v157 :: v_dual_add_f32 v2, v2, v4
	v_mul_f32_e32 v4, v183, v139
	v_add_f32_e32 v1, v1, v207
	v_dual_fmac_f32 v215, v189, v144 :: v_dual_fmac_f32 v220, v199, v154
	v_fmac_f32_e32 v216, v191, v146
	s_delay_alu instid0(VALU_DEP_4)
	v_fma_f32 v4, v182, v138, -v4
	v_mul_f32_e32 v5, v181, v21
	v_add_f32_e32 v1, v1, v208
	v_fmac_f32_e32 v219, v197, v152
	v_fmac_f32_e32 v221, v201, v156
	;; [unrolled: 1-line block ×3, first 2 shown]
	v_fma_f32 v5, v180, v20, -v5
	v_mul_f32_e32 v3, v179, v19
	v_fmac_f32_e32 v222, v203, v158
	v_fmac_f32_e32 v218, v195, v150
	s_delay_alu instid0(VALU_DEP_3) | instskip(NEXT) | instid1(VALU_DEP_1)
	v_fma_f32 v3, v178, v18, -v3
	v_dual_fmac_f32 v209, v177, v16 :: v_dual_add_f32 v2, v2, v3
	v_mul_f32_e32 v3, v185, v141
	s_delay_alu instid0(VALU_DEP_2) | instskip(NEXT) | instid1(VALU_DEP_2)
	v_dual_add_f32 v2, v2, v5 :: v_dual_mul_f32 v5, v187, v143
	v_fma_f32 v3, v184, v140, -v3
	s_delay_alu instid0(VALU_DEP_2) | instskip(SKIP_1) | instid1(VALU_DEP_4)
	v_dual_add_f32 v2, v2, v4 :: v_dual_add_f32 v1, v1, v209
	v_mul_f32_e32 v4, v189, v145
	v_fma_f32 v5, v186, v142, -v5
	s_delay_alu instid0(VALU_DEP_3) | instskip(NEXT) | instid1(VALU_DEP_3)
	v_dual_add_f32 v2, v2, v3 :: v_dual_fmac_f32 v211, v181, v20
	v_fma_f32 v4, v188, v144, -v4
	s_delay_alu instid0(VALU_DEP_2) | instskip(SKIP_1) | instid1(VALU_DEP_2)
	v_add_f32_e32 v2, v2, v5
	v_mul_f32_e32 v5, v193, v149
	v_dual_add_f32 v1, v1, v210 :: v_dual_add_f32 v2, v2, v4
	s_delay_alu instid0(VALU_DEP_2) | instskip(SKIP_1) | instid1(VALU_DEP_3)
	v_fma_f32 v5, v192, v148, -v5
	v_mul_f32_e32 v3, v191, v147
	v_add_f32_e32 v1, v1, v211
	v_mul_f32_e32 v4, v195, v151
	s_delay_alu instid0(VALU_DEP_3) | instskip(NEXT) | instid1(VALU_DEP_3)
	v_fma_f32 v3, v190, v146, -v3
	v_add_f32_e32 v1, v1, v212
	s_delay_alu instid0(VALU_DEP_3) | instskip(NEXT) | instid1(VALU_DEP_3)
	v_fma_f32 v4, v194, v150, -v4
	v_add_f32_e32 v2, v2, v3
	s_delay_alu instid0(VALU_DEP_1) | instskip(NEXT) | instid1(VALU_DEP_4)
	v_add_f32_e32 v2, v2, v5
	v_add_f32_e32 v1, v1, v213
	s_delay_alu instid0(VALU_DEP_2) | instskip(SKIP_1) | instid1(VALU_DEP_2)
	v_dual_mul_f32 v5, v199, v155 :: v_dual_add_f32 v2, v2, v4
	v_mul_f32_e32 v4, v201, v157
	v_fma_f32 v5, v198, v154, -v5
	s_delay_alu instid0(VALU_DEP_2) | instskip(SKIP_1) | instid1(VALU_DEP_1)
	v_fma_f32 v4, v200, v156, -v4
	v_mul_f32_e32 v3, v197, v153
	v_fma_f32 v3, v196, v152, -v3
	s_delay_alu instid0(VALU_DEP_1) | instskip(NEXT) | instid1(VALU_DEP_1)
	v_dual_add_f32 v1, v1, v214 :: v_dual_add_f32 v2, v2, v3
	v_add_f32_e32 v1, v1, v215
	s_delay_alu instid0(VALU_DEP_2) | instskip(NEXT) | instid1(VALU_DEP_2)
	v_dual_mul_f32 v3, v203, v159 :: v_dual_add_f32 v2, v2, v5
	v_add_f32_e32 v1, v1, v216
	v_mul_f32_e32 v5, v205, v161
	s_delay_alu instid0(VALU_DEP_3) | instskip(NEXT) | instid1(VALU_DEP_4)
	v_fma_f32 v3, v202, v158, -v3
	v_add_f32_e32 v2, v2, v4
	v_fmac_f32_e32 v217, v193, v148
	s_delay_alu instid0(VALU_DEP_4) | instskip(NEXT) | instid1(VALU_DEP_2)
	v_fma_f32 v4, v204, v160, -v5
	v_dual_add_f32 v2, v2, v3 :: v_dual_add_f32 v1, v1, v217
	s_delay_alu instid0(VALU_DEP_1) | instskip(NEXT) | instid1(VALU_DEP_1)
	v_dual_add_f32 v2, v2, v4 :: v_dual_add_f32 v1, v1, v218
	v_add_f32_e32 v1, v1, v219
	s_delay_alu instid0(VALU_DEP_1) | instskip(NEXT) | instid1(VALU_DEP_1)
	v_add_f32_e32 v1, v1, v220
	v_add_f32_e32 v1, v1, v221
	s_delay_alu instid0(VALU_DEP_1) | instskip(NEXT) | instid1(VALU_DEP_1)
	v_add_f32_e32 v1, v1, v222
	v_add_f32_e32 v3, v1, v223
	s_wait_loadcnt 0x0
	s_delay_alu instid0(VALU_DEP_1)
	v_dual_sub_f32 v1, v22, v2 :: v_dual_sub_f32 v2, v23, v3
	scratch_store_b64 off, v[1:2], off offset:256
	v_cmpx_lt_u32_e32 31, v0
	s_cbranch_execz .LBB54_281
; %bb.280:
	scratch_load_b64 v[1:2], off, off offset:248
	v_mov_b32_e32 v3, 0
	s_delay_alu instid0(VALU_DEP_1)
	v_mov_b32_e32 v4, v3
	scratch_store_b64 off, v[3:4], off offset:248
	s_wait_loadcnt 0x0
	ds_store_b64 v137, v[1:2]
.LBB54_281:
	s_wait_alu 0xfffe
	s_or_b32 exec_lo, exec_lo, s0
	s_wait_storecnt_dscnt 0x0
	s_barrier_signal -1
	s_barrier_wait -1
	global_inv scope:SCOPE_SE
	s_clause 0xc
	scratch_load_b128 v[2:5], off, off offset:256
	scratch_load_b128 v[6:9], off, off offset:272
	;; [unrolled: 1-line block ×11, first 2 shown]
	scratch_load_b64 v[22:23], off, off offset:432
	scratch_load_b64 v[135:136], off, off offset:248
	v_mov_b32_e32 v1, 0
	ds_load_b128 v[162:165], v1 offset:704
	ds_load_b128 v[166:169], v1 offset:720
	;; [unrolled: 1-line block ×11, first 2 shown]
	ds_load_b64 v[206:207], v1 offset:880
	s_mov_b32 s0, exec_lo
	s_wait_loadcnt_dscnt 0xc0b
	v_mul_f32_e32 v24, v162, v3
	s_wait_loadcnt_dscnt 0xb0a
	v_dual_mul_f32 v208, v164, v5 :: v_dual_mul_f32 v209, v166, v7
	v_mul_f32_e32 v5, v165, v5
	s_wait_loadcnt_dscnt 0xa09
	v_dual_mul_f32 v210, v168, v9 :: v_dual_mul_f32 v211, v170, v11
	v_mul_f32_e32 v3, v163, v3
	v_fmac_f32_e32 v24, v163, v2
	s_wait_loadcnt_dscnt 0x908
	v_dual_mul_f32 v212, v172, v13 :: v_dual_mul_f32 v213, v174, v15
	s_wait_loadcnt_dscnt 0x302
	v_mul_f32_e32 v226, v200, v157
	v_fma_f32 v3, v162, v2, -v3
	s_wait_loadcnt_dscnt 0x100
	v_mul_f32_e32 v229, v206, v23
	v_mul_f32_e32 v2, v167, v7
	v_fmac_f32_e32 v208, v165, v4
	v_fma_f32 v4, v164, v4, -v5
	v_add_f32_e32 v3, 0, v3
	v_dual_fmac_f32 v211, v171, v10 :: v_dual_fmac_f32 v212, v173, v12
	v_fma_f32 v2, v166, v6, -v2
	v_dual_mul_f32 v214, v176, v17 :: v_dual_mul_f32 v215, v178, v19
	s_delay_alu instid0(VALU_DEP_4) | instskip(SKIP_1) | instid1(VALU_DEP_3)
	v_add_f32_e32 v3, v3, v4
	v_add_f32_e32 v5, 0, v24
	v_dual_fmac_f32 v213, v175, v14 :: v_dual_fmac_f32 v214, v177, v16
	v_fmac_f32_e32 v210, v169, v8
	s_delay_alu instid0(VALU_DEP_4) | instskip(NEXT) | instid1(VALU_DEP_4)
	v_dual_add_f32 v2, v3, v2 :: v_dual_mul_f32 v7, v169, v9
	v_dual_fmac_f32 v209, v167, v6 :: v_dual_add_f32 v4, v5, v208
	v_dual_mul_f32 v5, v171, v11 :: v_dual_mul_f32 v216, v180, v21
	v_mul_f32_e32 v217, v182, v139
	s_delay_alu instid0(VALU_DEP_4) | instskip(NEXT) | instid1(VALU_DEP_4)
	v_fma_f32 v6, v168, v8, -v7
	v_add_f32_e32 v3, v4, v209
	v_mul_f32_e32 v4, v173, v13
	v_fma_f32 v5, v170, v10, -v5
	v_dual_mul_f32 v218, v184, v141 :: v_dual_mul_f32 v219, v186, v143
	v_add_f32_e32 v2, v2, v6
	v_mul_f32_e32 v6, v175, v15
	v_add_f32_e32 v3, v3, v210
	v_fma_f32 v4, v172, v12, -v4
	v_dual_fmac_f32 v217, v183, v138 :: v_dual_fmac_f32 v218, v185, v140
	s_delay_alu instid0(VALU_DEP_3) | instskip(SKIP_2) | instid1(VALU_DEP_3)
	v_dual_add_f32 v2, v2, v5 :: v_dual_add_f32 v3, v3, v211
	v_mul_f32_e32 v5, v177, v17
	v_fma_f32 v6, v174, v14, -v6
	v_dual_fmac_f32 v215, v179, v18 :: v_dual_add_f32 v2, v2, v4
	s_delay_alu instid0(VALU_DEP_4) | instskip(SKIP_3) | instid1(VALU_DEP_4)
	v_add_f32_e32 v3, v3, v212
	v_mul_f32_e32 v4, v179, v19
	v_fma_f32 v5, v176, v16, -v5
	v_fmac_f32_e32 v216, v181, v20
	v_dual_add_f32 v2, v2, v6 :: v_dual_add_f32 v3, v3, v213
	v_mul_f32_e32 v6, v181, v21
	v_fma_f32 v4, v178, v18, -v4
	v_dual_mul_f32 v220, v188, v145 :: v_dual_mul_f32 v221, v190, v147
	s_delay_alu instid0(VALU_DEP_4) | instskip(SKIP_3) | instid1(VALU_DEP_4)
	v_dual_add_f32 v2, v2, v5 :: v_dual_add_f32 v3, v3, v214
	v_mul_f32_e32 v5, v183, v139
	v_fma_f32 v6, v180, v20, -v6
	v_dual_mul_f32 v222, v192, v149 :: v_dual_mul_f32 v223, v194, v151
	v_dual_add_f32 v2, v2, v4 :: v_dual_add_f32 v3, v3, v215
	v_mul_f32_e32 v4, v185, v141
	v_fma_f32 v5, v182, v138, -v5
	v_fmac_f32_e32 v219, v187, v142
	s_delay_alu instid0(VALU_DEP_4) | instskip(SKIP_3) | instid1(VALU_DEP_4)
	v_dual_add_f32 v2, v2, v6 :: v_dual_add_f32 v3, v3, v216
	v_mul_f32_e32 v6, v187, v143
	v_fma_f32 v4, v184, v140, -v4
	v_fmac_f32_e32 v220, v189, v144
	v_add_f32_e32 v2, v2, v5
	v_add_f32_e32 v3, v3, v217
	v_mul_f32_e32 v5, v189, v145
	v_fma_f32 v6, v186, v142, -v6
	s_delay_alu instid0(VALU_DEP_4) | instskip(NEXT) | instid1(VALU_DEP_4)
	v_dual_fmac_f32 v221, v191, v146 :: v_dual_add_f32 v2, v2, v4
	v_add_f32_e32 v3, v3, v218
	v_mul_f32_e32 v4, v191, v147
	v_fma_f32 v5, v188, v144, -v5
	v_dual_mul_f32 v224, v196, v153 :: v_dual_mul_f32 v225, v198, v155
	s_delay_alu instid0(VALU_DEP_4) | instskip(SKIP_3) | instid1(VALU_DEP_4)
	v_dual_add_f32 v2, v2, v6 :: v_dual_add_f32 v3, v3, v219
	v_mul_f32_e32 v6, v193, v149
	v_fma_f32 v4, v190, v146, -v4
	v_fmac_f32_e32 v222, v193, v148
	v_dual_add_f32 v2, v2, v5 :: v_dual_add_f32 v3, v3, v220
	v_mul_f32_e32 v5, v195, v151
	v_fma_f32 v6, v192, v148, -v6
	s_delay_alu instid0(VALU_DEP_3) | instskip(NEXT) | instid1(VALU_DEP_4)
	v_dual_fmac_f32 v223, v195, v150 :: v_dual_add_f32 v2, v2, v4
	v_add_f32_e32 v3, v3, v221
	v_mul_f32_e32 v4, v197, v153
	v_fma_f32 v5, v194, v150, -v5
	v_dual_fmac_f32 v224, v197, v152 :: v_dual_fmac_f32 v225, v199, v154
	s_delay_alu instid0(VALU_DEP_4) | instskip(SKIP_4) | instid1(VALU_DEP_4)
	v_add_f32_e32 v3, v3, v222
	v_add_f32_e32 v2, v2, v6
	v_mul_f32_e32 v6, v199, v155
	v_fma_f32 v4, v196, v152, -v4
	v_dual_mul_f32 v227, v202, v159 :: v_dual_mul_f32 v228, v204, v161
	v_dual_add_f32 v3, v3, v223 :: v_dual_add_f32 v2, v2, v5
	v_mul_f32_e32 v5, v201, v157
	v_fma_f32 v6, v198, v154, -v6
	s_delay_alu instid0(VALU_DEP_4) | instskip(NEXT) | instid1(VALU_DEP_4)
	v_dual_fmac_f32 v226, v201, v156 :: v_dual_fmac_f32 v227, v203, v158
	v_add_f32_e32 v3, v3, v224
	v_add_f32_e32 v2, v2, v4
	v_mul_f32_e32 v4, v203, v159
	v_fma_f32 v5, v200, v156, -v5
	v_fmac_f32_e32 v229, v207, v22
	s_delay_alu instid0(VALU_DEP_4) | instskip(SKIP_2) | instid1(VALU_DEP_3)
	v_dual_add_f32 v3, v3, v225 :: v_dual_add_f32 v2, v2, v6
	v_mul_f32_e32 v6, v205, v161
	v_fma_f32 v4, v202, v158, -v4
	v_dual_add_f32 v3, v3, v226 :: v_dual_add_f32 v2, v2, v5
	v_dual_mul_f32 v5, v207, v23 :: v_dual_fmac_f32 v228, v205, v160
	s_delay_alu instid0(VALU_DEP_4) | instskip(NEXT) | instid1(VALU_DEP_3)
	v_fma_f32 v6, v204, v160, -v6
	v_dual_add_f32 v3, v3, v227 :: v_dual_add_f32 v2, v2, v4
	s_delay_alu instid0(VALU_DEP_3) | instskip(NEXT) | instid1(VALU_DEP_2)
	v_fma_f32 v4, v206, v22, -v5
	v_dual_add_f32 v3, v3, v228 :: v_dual_add_f32 v2, v2, v6
	s_delay_alu instid0(VALU_DEP_1) | instskip(SKIP_1) | instid1(VALU_DEP_1)
	v_dual_add_f32 v3, v3, v229 :: v_dual_add_f32 v2, v2, v4
	s_wait_loadcnt 0x0
	v_dual_sub_f32 v3, v136, v3 :: v_dual_sub_f32 v2, v135, v2
	scratch_store_b64 off, v[2:3], off offset:248
	v_cmpx_lt_u32_e32 30, v0
	s_cbranch_execz .LBB54_283
; %bb.282:
	scratch_load_b64 v[3:4], off, off offset:240
	v_mov_b32_e32 v2, v1
	scratch_store_b64 off, v[1:2], off offset:240
	s_wait_loadcnt 0x0
	ds_store_b64 v137, v[3:4]
.LBB54_283:
	s_wait_alu 0xfffe
	s_or_b32 exec_lo, exec_lo, s0
	s_wait_storecnt_dscnt 0x0
	s_barrier_signal -1
	s_barrier_wait -1
	global_inv scope:SCOPE_SE
	s_clause 0xc
	scratch_load_b128 v[2:5], off, off offset:248
	scratch_load_b128 v[6:9], off, off offset:264
	;; [unrolled: 1-line block ×12, first 2 shown]
	scratch_load_b64 v[22:23], off, off offset:240
	ds_load_2addr_b64 v[166:169], v1 offset0:87 offset1:88
	ds_load_2addr_b64 v[170:173], v1 offset0:89 offset1:90
	;; [unrolled: 1-line block ×12, first 2 shown]
	s_mov_b32 s0, exec_lo
	s_wait_loadcnt_dscnt 0xc0b
	v_dual_mul_f32 v1, v166, v3 :: v_dual_mul_f32 v24, v168, v5
	v_mul_f32_e32 v3, v167, v3
	v_mul_f32_e32 v5, v169, v5
	s_wait_loadcnt_dscnt 0xb0a
	v_dual_mul_f32 v135, v170, v7 :: v_dual_mul_f32 v136, v172, v9
	v_fmac_f32_e32 v24, v169, v4
	v_fma_f32 v3, v166, v2, -v3
	s_wait_loadcnt_dscnt 0xa09
	v_dual_mul_f32 v214, v174, v11 :: v_dual_mul_f32 v215, v176, v13
	v_dual_fmac_f32 v1, v167, v2 :: v_dual_fmac_f32 v136, v173, v8
	v_mul_f32_e32 v2, v171, v7
	v_fma_f32 v4, v168, v4, -v5
	s_delay_alu instid0(VALU_DEP_4) | instskip(NEXT) | instid1(VALU_DEP_4)
	v_dual_add_f32 v3, 0, v3 :: v_dual_fmac_f32 v214, v175, v10
	v_add_f32_e32 v1, 0, v1
	s_delay_alu instid0(VALU_DEP_4) | instskip(SKIP_4) | instid1(VALU_DEP_3)
	v_fma_f32 v2, v170, v6, -v2
	s_wait_loadcnt_dscnt 0x908
	v_dual_mul_f32 v216, v178, v15 :: v_dual_mul_f32 v217, v180, v17
	v_add_f32_e32 v3, v3, v4
	v_dual_mul_f32 v5, v173, v9 :: v_dual_mul_f32 v4, v175, v11
	v_dual_add_f32 v1, v1, v24 :: v_dual_fmac_f32 v216, v179, v14
	s_delay_alu instid0(VALU_DEP_3) | instskip(NEXT) | instid1(VALU_DEP_3)
	v_add_f32_e32 v2, v3, v2
	v_fma_f32 v5, v172, v8, -v5
	v_fmac_f32_e32 v135, v171, v6
	v_fma_f32 v4, v174, v10, -v4
	s_wait_loadcnt_dscnt 0x807
	v_dual_mul_f32 v218, v182, v19 :: v_dual_mul_f32 v219, v184, v21
	s_delay_alu instid0(VALU_DEP_3) | instskip(NEXT) | instid1(VALU_DEP_2)
	v_dual_add_f32 v2, v2, v5 :: v_dual_add_f32 v1, v1, v135
	v_dual_mul_f32 v3, v177, v13 :: v_dual_fmac_f32 v218, v183, v18
	s_wait_loadcnt_dscnt 0x706
	v_dual_mul_f32 v220, v186, v139 :: v_dual_mul_f32 v221, v188, v141
	s_delay_alu instid0(VALU_DEP_3)
	v_add_f32_e32 v2, v2, v4
	v_mul_f32_e32 v4, v181, v17
	v_fma_f32 v3, v176, v12, -v3
	s_wait_loadcnt_dscnt 0x504
	v_dual_add_f32 v1, v1, v136 :: v_dual_mul_f32 v224, v194, v147
	v_mul_f32_e32 v225, v196, v149
	v_fma_f32 v4, v180, v16, -v4
	v_mul_f32_e32 v5, v179, v15
	s_delay_alu instid0(VALU_DEP_4) | instskip(SKIP_1) | instid1(VALU_DEP_3)
	v_dual_add_f32 v2, v2, v3 :: v_dual_add_f32 v1, v1, v214
	v_dual_mul_f32 v222, v190, v143 :: v_dual_mul_f32 v223, v192, v145
	v_fma_f32 v5, v178, v14, -v5
	v_dual_fmac_f32 v215, v177, v12 :: v_dual_fmac_f32 v220, v187, v138
	s_delay_alu instid0(VALU_DEP_3)
	v_fmac_f32_e32 v222, v191, v142
	s_wait_loadcnt_dscnt 0x201
	v_dual_mul_f32 v230, v206, v159 :: v_dual_mul_f32 v231, v208, v161
	v_add_f32_e32 v2, v2, v5
	v_dual_mul_f32 v226, v198, v151 :: v_dual_mul_f32 v227, v200, v153
	v_dual_fmac_f32 v221, v189, v140 :: v_dual_mul_f32 v228, v202, v155
	s_delay_alu instid0(VALU_DEP_3) | instskip(SKIP_2) | instid1(VALU_DEP_4)
	v_dual_mul_f32 v229, v204, v157 :: v_dual_add_f32 v2, v2, v4
	v_mul_f32_e32 v4, v187, v139
	v_add_f32_e32 v1, v1, v215
	v_dual_fmac_f32 v223, v193, v144 :: v_dual_fmac_f32 v228, v203, v154
	v_fmac_f32_e32 v224, v195, v146
	s_delay_alu instid0(VALU_DEP_4)
	v_fma_f32 v4, v186, v138, -v4
	v_mul_f32_e32 v5, v185, v21
	v_add_f32_e32 v1, v1, v216
	s_wait_loadcnt_dscnt 0x100
	v_dual_fmac_f32 v225, v197, v148 :: v_dual_mul_f32 v232, v210, v163
	v_mul_f32_e32 v233, v212, v165
	v_fma_f32 v5, v184, v20, -v5
	v_mul_f32_e32 v3, v183, v19
	v_dual_fmac_f32 v231, v209, v160 :: v_dual_fmac_f32 v230, v207, v158
	s_delay_alu instid0(VALU_DEP_4) | instskip(NEXT) | instid1(VALU_DEP_3)
	v_dual_fmac_f32 v233, v213, v164 :: v_dual_fmac_f32 v226, v199, v150
	v_fma_f32 v3, v182, v18, -v3
	v_dual_fmac_f32 v217, v181, v16 :: v_dual_fmac_f32 v232, v211, v162
	s_delay_alu instid0(VALU_DEP_2) | instskip(NEXT) | instid1(VALU_DEP_1)
	v_dual_add_f32 v2, v2, v3 :: v_dual_mul_f32 v3, v189, v141
	v_dual_add_f32 v2, v2, v5 :: v_dual_mul_f32 v5, v191, v143
	s_delay_alu instid0(VALU_DEP_2) | instskip(NEXT) | instid1(VALU_DEP_2)
	v_fma_f32 v3, v188, v140, -v3
	v_dual_add_f32 v2, v2, v4 :: v_dual_add_f32 v1, v1, v217
	v_mul_f32_e32 v4, v193, v145
	s_delay_alu instid0(VALU_DEP_4) | instskip(NEXT) | instid1(VALU_DEP_3)
	v_fma_f32 v5, v190, v142, -v5
	v_dual_add_f32 v2, v2, v3 :: v_dual_fmac_f32 v219, v185, v20
	s_delay_alu instid0(VALU_DEP_3) | instskip(NEXT) | instid1(VALU_DEP_2)
	v_fma_f32 v4, v192, v144, -v4
	v_add_f32_e32 v2, v2, v5
	v_mul_f32_e32 v5, v197, v149
	s_delay_alu instid0(VALU_DEP_2) | instskip(NEXT) | instid1(VALU_DEP_2)
	v_dual_add_f32 v1, v1, v218 :: v_dual_add_f32 v2, v2, v4
	v_fma_f32 v5, v196, v148, -v5
	v_mul_f32_e32 v3, v195, v147
	s_delay_alu instid0(VALU_DEP_3) | instskip(SKIP_1) | instid1(VALU_DEP_3)
	v_add_f32_e32 v1, v1, v219
	v_mul_f32_e32 v4, v199, v151
	v_fma_f32 v3, v194, v146, -v3
	s_delay_alu instid0(VALU_DEP_3) | instskip(NEXT) | instid1(VALU_DEP_3)
	v_add_f32_e32 v1, v1, v220
	v_fma_f32 v4, v198, v150, -v4
	s_delay_alu instid0(VALU_DEP_3) | instskip(NEXT) | instid1(VALU_DEP_1)
	v_add_f32_e32 v2, v2, v3
	v_add_f32_e32 v2, v2, v5
	s_delay_alu instid0(VALU_DEP_4) | instskip(NEXT) | instid1(VALU_DEP_2)
	v_add_f32_e32 v1, v1, v221
	v_dual_mul_f32 v5, v203, v155 :: v_dual_add_f32 v2, v2, v4
	v_mul_f32_e32 v4, v205, v157
	s_delay_alu instid0(VALU_DEP_2) | instskip(NEXT) | instid1(VALU_DEP_2)
	v_fma_f32 v5, v202, v154, -v5
	v_fma_f32 v4, v204, v156, -v4
	v_mul_f32_e32 v3, v201, v153
	s_delay_alu instid0(VALU_DEP_1) | instskip(NEXT) | instid1(VALU_DEP_1)
	v_fma_f32 v3, v200, v152, -v3
	v_dual_add_f32 v1, v1, v222 :: v_dual_add_f32 v2, v2, v3
	s_delay_alu instid0(VALU_DEP_1) | instskip(NEXT) | instid1(VALU_DEP_2)
	v_add_f32_e32 v1, v1, v223
	v_dual_mul_f32 v3, v207, v159 :: v_dual_add_f32 v2, v2, v5
	v_mul_f32_e32 v5, v209, v161
	s_delay_alu instid0(VALU_DEP_2) | instskip(NEXT) | instid1(VALU_DEP_3)
	v_fma_f32 v3, v206, v158, -v3
	v_add_f32_e32 v2, v2, v4
	v_dual_add_f32 v1, v1, v224 :: v_dual_mul_f32 v4, v211, v163
	s_delay_alu instid0(VALU_DEP_4) | instskip(NEXT) | instid1(VALU_DEP_2)
	v_fma_f32 v5, v208, v160, -v5
	v_dual_add_f32 v2, v2, v3 :: v_dual_add_f32 v1, v1, v225
	v_fmac_f32_e32 v227, v201, v152
	s_delay_alu instid0(VALU_DEP_4) | instskip(SKIP_1) | instid1(VALU_DEP_4)
	v_fma_f32 v4, v210, v162, -v4
	v_mul_f32_e32 v3, v213, v165
	v_dual_add_f32 v2, v2, v5 :: v_dual_add_f32 v1, v1, v226
	s_delay_alu instid0(VALU_DEP_2) | instskip(NEXT) | instid1(VALU_DEP_2)
	v_fma_f32 v3, v212, v164, -v3
	v_dual_add_f32 v2, v2, v4 :: v_dual_add_f32 v1, v1, v227
	s_delay_alu instid0(VALU_DEP_1) | instskip(NEXT) | instid1(VALU_DEP_2)
	v_dual_fmac_f32 v229, v205, v156 :: v_dual_add_f32 v2, v2, v3
	v_add_f32_e32 v1, v1, v228
	s_delay_alu instid0(VALU_DEP_1) | instskip(NEXT) | instid1(VALU_DEP_1)
	v_add_f32_e32 v1, v1, v229
	v_add_f32_e32 v1, v1, v230
	s_delay_alu instid0(VALU_DEP_1) | instskip(NEXT) | instid1(VALU_DEP_1)
	v_add_f32_e32 v1, v1, v231
	v_add_f32_e32 v1, v1, v232
	s_delay_alu instid0(VALU_DEP_1) | instskip(SKIP_1) | instid1(VALU_DEP_1)
	v_add_f32_e32 v3, v1, v233
	s_wait_loadcnt 0x0
	v_dual_sub_f32 v1, v22, v2 :: v_dual_sub_f32 v2, v23, v3
	scratch_store_b64 off, v[1:2], off offset:240
	v_cmpx_lt_u32_e32 29, v0
	s_cbranch_execz .LBB54_285
; %bb.284:
	scratch_load_b64 v[1:2], off, off offset:232
	v_mov_b32_e32 v3, 0
	s_delay_alu instid0(VALU_DEP_1)
	v_mov_b32_e32 v4, v3
	scratch_store_b64 off, v[3:4], off offset:232
	s_wait_loadcnt 0x0
	ds_store_b64 v137, v[1:2]
.LBB54_285:
	s_wait_alu 0xfffe
	s_or_b32 exec_lo, exec_lo, s0
	s_wait_storecnt_dscnt 0x0
	s_barrier_signal -1
	s_barrier_wait -1
	global_inv scope:SCOPE_SE
	s_clause 0xd
	scratch_load_b128 v[2:5], off, off offset:240
	scratch_load_b128 v[6:9], off, off offset:256
	;; [unrolled: 1-line block ×12, first 2 shown]
	scratch_load_b64 v[22:23], off, off offset:432
	scratch_load_b64 v[135:136], off, off offset:232
	v_mov_b32_e32 v1, 0
	ds_load_b128 v[166:169], v1 offset:688
	ds_load_b128 v[170:173], v1 offset:704
	;; [unrolled: 1-line block ×12, first 2 shown]
	ds_load_b64 v[214:215], v1 offset:880
	s_mov_b32 s0, exec_lo
	s_wait_loadcnt_dscnt 0xd0c
	v_mul_f32_e32 v24, v166, v3
	s_wait_loadcnt_dscnt 0xc0b
	v_dual_mul_f32 v216, v168, v5 :: v_dual_mul_f32 v217, v170, v7
	v_mul_f32_e32 v5, v169, v5
	s_wait_loadcnt_dscnt 0xb0a
	v_dual_mul_f32 v218, v172, v9 :: v_dual_mul_f32 v219, v174, v11
	v_dual_mul_f32 v3, v167, v3 :: v_dual_mul_f32 v220, v176, v13
	s_wait_loadcnt_dscnt 0xa09
	v_dual_mul_f32 v221, v178, v15 :: v_dual_fmac_f32 v24, v167, v2
	s_wait_loadcnt_dscnt 0x302
	v_mul_f32_e32 v236, v208, v161
	v_fma_f32 v3, v166, v2, -v3
	s_wait_loadcnt_dscnt 0x100
	v_mul_f32_e32 v239, v214, v23
	v_mul_f32_e32 v2, v171, v7
	v_fmac_f32_e32 v216, v169, v4
	v_fma_f32 v4, v168, v4, -v5
	v_add_f32_e32 v3, 0, v3
	v_dual_fmac_f32 v219, v175, v10 :: v_dual_fmac_f32 v220, v177, v12
	v_fma_f32 v2, v170, v6, -v2
	v_dual_mul_f32 v222, v180, v17 :: v_dual_mul_f32 v223, v182, v19
	s_delay_alu instid0(VALU_DEP_4) | instskip(SKIP_1) | instid1(VALU_DEP_3)
	v_add_f32_e32 v3, v3, v4
	v_add_f32_e32 v5, 0, v24
	v_dual_fmac_f32 v221, v179, v14 :: v_dual_fmac_f32 v222, v181, v16
	v_fmac_f32_e32 v218, v173, v8
	s_delay_alu instid0(VALU_DEP_4) | instskip(NEXT) | instid1(VALU_DEP_4)
	v_dual_add_f32 v2, v3, v2 :: v_dual_mul_f32 v7, v173, v9
	v_dual_fmac_f32 v217, v171, v6 :: v_dual_add_f32 v4, v5, v216
	v_dual_mul_f32 v5, v175, v11 :: v_dual_mul_f32 v224, v184, v21
	v_mul_f32_e32 v225, v186, v139
	s_delay_alu instid0(VALU_DEP_4) | instskip(NEXT) | instid1(VALU_DEP_4)
	v_fma_f32 v6, v172, v8, -v7
	v_add_f32_e32 v3, v4, v217
	v_mul_f32_e32 v4, v177, v13
	v_fma_f32 v5, v174, v10, -v5
	v_dual_mul_f32 v226, v188, v141 :: v_dual_mul_f32 v227, v190, v143
	v_add_f32_e32 v2, v2, v6
	v_mul_f32_e32 v6, v179, v15
	v_add_f32_e32 v3, v3, v218
	v_fma_f32 v4, v176, v12, -v4
	v_dual_fmac_f32 v225, v187, v138 :: v_dual_fmac_f32 v226, v189, v140
	s_delay_alu instid0(VALU_DEP_3) | instskip(SKIP_3) | instid1(VALU_DEP_4)
	v_dual_add_f32 v2, v2, v5 :: v_dual_add_f32 v3, v3, v219
	v_mul_f32_e32 v5, v181, v17
	v_fma_f32 v6, v178, v14, -v6
	v_dual_mul_f32 v228, v192, v145 :: v_dual_mul_f32 v229, v194, v147
	v_add_f32_e32 v2, v2, v4
	v_add_f32_e32 v3, v3, v220
	v_mul_f32_e32 v4, v183, v19
	v_fma_f32 v5, v180, v16, -v5
	v_fmac_f32_e32 v223, v183, v18
	s_delay_alu instid0(VALU_DEP_4) | instskip(SKIP_3) | instid1(VALU_DEP_4)
	v_dual_add_f32 v2, v2, v6 :: v_dual_add_f32 v3, v3, v221
	v_fmac_f32_e32 v224, v185, v20
	v_mul_f32_e32 v6, v185, v21
	v_fma_f32 v4, v182, v18, -v4
	v_dual_add_f32 v2, v2, v5 :: v_dual_add_f32 v3, v3, v222
	v_mul_f32_e32 v5, v187, v139
	s_delay_alu instid0(VALU_DEP_4) | instskip(SKIP_1) | instid1(VALU_DEP_4)
	v_fma_f32 v6, v184, v20, -v6
	v_dual_mul_f32 v230, v196, v149 :: v_dual_mul_f32 v231, v198, v151
	v_dual_add_f32 v2, v2, v4 :: v_dual_add_f32 v3, v3, v223
	v_mul_f32_e32 v4, v189, v141
	v_fma_f32 v5, v186, v138, -v5
	v_fmac_f32_e32 v227, v191, v142
	s_delay_alu instid0(VALU_DEP_4) | instskip(SKIP_3) | instid1(VALU_DEP_4)
	v_dual_add_f32 v2, v2, v6 :: v_dual_add_f32 v3, v3, v224
	v_mul_f32_e32 v6, v191, v143
	v_fma_f32 v4, v188, v140, -v4
	v_fmac_f32_e32 v228, v193, v144
	v_add_f32_e32 v2, v2, v5
	v_add_f32_e32 v3, v3, v225
	v_mul_f32_e32 v5, v193, v145
	v_fma_f32 v6, v190, v142, -v6
	s_delay_alu instid0(VALU_DEP_4) | instskip(NEXT) | instid1(VALU_DEP_4)
	v_dual_fmac_f32 v229, v195, v146 :: v_dual_add_f32 v2, v2, v4
	v_add_f32_e32 v3, v3, v226
	v_mul_f32_e32 v4, v195, v147
	v_fma_f32 v5, v192, v144, -v5
	v_dual_mul_f32 v232, v200, v153 :: v_dual_mul_f32 v233, v202, v155
	s_delay_alu instid0(VALU_DEP_4) | instskip(SKIP_3) | instid1(VALU_DEP_4)
	v_dual_add_f32 v2, v2, v6 :: v_dual_add_f32 v3, v3, v227
	v_mul_f32_e32 v6, v197, v149
	v_fma_f32 v4, v194, v146, -v4
	v_fmac_f32_e32 v230, v197, v148
	v_dual_add_f32 v2, v2, v5 :: v_dual_add_f32 v3, v3, v228
	v_mul_f32_e32 v5, v199, v151
	v_fma_f32 v6, v196, v148, -v6
	s_delay_alu instid0(VALU_DEP_3) | instskip(NEXT) | instid1(VALU_DEP_4)
	v_dual_fmac_f32 v231, v199, v150 :: v_dual_add_f32 v2, v2, v4
	v_add_f32_e32 v3, v3, v229
	v_mul_f32_e32 v4, v201, v153
	v_fma_f32 v5, v198, v150, -v5
	v_fmac_f32_e32 v232, v201, v152
	v_dual_mul_f32 v234, v204, v157 :: v_dual_mul_f32 v235, v206, v159
	v_add_f32_e32 v3, v3, v230
	v_add_f32_e32 v2, v2, v6
	v_mul_f32_e32 v6, v203, v155
	v_fma_f32 v4, v200, v152, -v4
	v_fmac_f32_e32 v233, v203, v154
	s_delay_alu instid0(VALU_DEP_4) | instskip(SKIP_3) | instid1(VALU_DEP_4)
	v_dual_add_f32 v3, v3, v231 :: v_dual_add_f32 v2, v2, v5
	v_mul_f32_e32 v5, v205, v157
	v_fma_f32 v6, v202, v154, -v6
	v_dual_fmac_f32 v234, v205, v156 :: v_dual_fmac_f32 v235, v207, v158
	v_add_f32_e32 v3, v3, v232
	v_add_f32_e32 v2, v2, v4
	v_mul_f32_e32 v4, v207, v159
	v_fma_f32 v5, v204, v156, -v5
	v_dual_mul_f32 v237, v210, v163 :: v_dual_mul_f32 v238, v212, v165
	s_delay_alu instid0(VALU_DEP_4) | instskip(SKIP_2) | instid1(VALU_DEP_4)
	v_dual_add_f32 v3, v3, v233 :: v_dual_add_f32 v2, v2, v6
	v_mul_f32_e32 v6, v209, v161
	v_fma_f32 v4, v206, v158, -v4
	v_fmac_f32_e32 v237, v211, v162
	s_delay_alu instid0(VALU_DEP_4) | instskip(SKIP_2) | instid1(VALU_DEP_3)
	v_dual_add_f32 v3, v3, v234 :: v_dual_add_f32 v2, v2, v5
	v_dual_mul_f32 v5, v211, v163 :: v_dual_fmac_f32 v236, v209, v160
	v_fma_f32 v6, v208, v160, -v6
	v_dual_add_f32 v3, v3, v235 :: v_dual_add_f32 v2, v2, v4
	v_mul_f32_e32 v4, v213, v165
	s_delay_alu instid0(VALU_DEP_4) | instskip(SKIP_1) | instid1(VALU_DEP_4)
	v_fma_f32 v5, v210, v162, -v5
	v_dual_fmac_f32 v238, v213, v164 :: v_dual_fmac_f32 v239, v215, v22
	v_dual_add_f32 v3, v3, v236 :: v_dual_add_f32 v2, v2, v6
	v_mul_f32_e32 v6, v215, v23
	v_fma_f32 v4, v212, v164, -v4
	s_delay_alu instid0(VALU_DEP_3) | instskip(NEXT) | instid1(VALU_DEP_4)
	v_add_f32_e32 v3, v3, v237
	v_add_f32_e32 v2, v2, v5
	s_delay_alu instid0(VALU_DEP_4) | instskip(NEXT) | instid1(VALU_DEP_2)
	v_fma_f32 v5, v214, v22, -v6
	v_dual_add_f32 v3, v3, v238 :: v_dual_add_f32 v2, v2, v4
	s_delay_alu instid0(VALU_DEP_1) | instskip(SKIP_1) | instid1(VALU_DEP_1)
	v_dual_add_f32 v3, v3, v239 :: v_dual_add_f32 v2, v2, v5
	s_wait_loadcnt 0x0
	v_dual_sub_f32 v3, v136, v3 :: v_dual_sub_f32 v2, v135, v2
	scratch_store_b64 off, v[2:3], off offset:232
	v_cmpx_lt_u32_e32 28, v0
	s_cbranch_execz .LBB54_287
; %bb.286:
	scratch_load_b64 v[3:4], off, off offset:224
	v_mov_b32_e32 v2, v1
	scratch_store_b64 off, v[1:2], off offset:224
	s_wait_loadcnt 0x0
	ds_store_b64 v137, v[3:4]
.LBB54_287:
	s_wait_alu 0xfffe
	s_or_b32 exec_lo, exec_lo, s0
	s_wait_storecnt_dscnt 0x0
	s_barrier_signal -1
	s_barrier_wait -1
	global_inv scope:SCOPE_SE
	s_clause 0xd
	scratch_load_b128 v[2:5], off, off offset:232
	scratch_load_b128 v[6:9], off, off offset:248
	;; [unrolled: 1-line block ×13, first 2 shown]
	scratch_load_b64 v[22:23], off, off offset:224
	ds_load_2addr_b64 v[170:173], v1 offset0:85 offset1:86
	ds_load_2addr_b64 v[174:177], v1 offset0:87 offset1:88
	;; [unrolled: 1-line block ×13, first 2 shown]
	s_mov_b32 s0, exec_lo
	s_wait_loadcnt_dscnt 0xd0c
	v_dual_mul_f32 v1, v170, v3 :: v_dual_mul_f32 v24, v172, v5
	v_mul_f32_e32 v3, v171, v3
	v_mul_f32_e32 v5, v173, v5
	s_wait_loadcnt_dscnt 0xc0b
	v_dual_mul_f32 v135, v174, v7 :: v_dual_mul_f32 v136, v176, v9
	v_fmac_f32_e32 v24, v173, v4
	v_fma_f32 v3, v170, v2, -v3
	s_wait_loadcnt_dscnt 0xb0a
	v_dual_mul_f32 v222, v178, v11 :: v_dual_mul_f32 v223, v180, v13
	v_dual_fmac_f32 v1, v171, v2 :: v_dual_fmac_f32 v136, v177, v8
	v_mul_f32_e32 v2, v175, v7
	v_fma_f32 v4, v172, v4, -v5
	s_delay_alu instid0(VALU_DEP_4) | instskip(NEXT) | instid1(VALU_DEP_4)
	v_dual_add_f32 v3, 0, v3 :: v_dual_fmac_f32 v222, v179, v10
	v_add_f32_e32 v1, 0, v1
	s_delay_alu instid0(VALU_DEP_4) | instskip(SKIP_4) | instid1(VALU_DEP_3)
	v_fma_f32 v2, v174, v6, -v2
	s_wait_loadcnt_dscnt 0xa09
	v_dual_mul_f32 v224, v182, v15 :: v_dual_mul_f32 v225, v184, v17
	v_add_f32_e32 v3, v3, v4
	v_dual_mul_f32 v5, v177, v9 :: v_dual_mul_f32 v4, v179, v11
	v_dual_add_f32 v1, v1, v24 :: v_dual_fmac_f32 v224, v183, v14
	s_delay_alu instid0(VALU_DEP_3) | instskip(NEXT) | instid1(VALU_DEP_3)
	v_add_f32_e32 v2, v3, v2
	v_fma_f32 v5, v176, v8, -v5
	v_fmac_f32_e32 v135, v175, v6
	v_fma_f32 v4, v178, v10, -v4
	s_wait_loadcnt_dscnt 0x908
	v_dual_mul_f32 v226, v186, v19 :: v_dual_mul_f32 v227, v188, v21
	s_delay_alu instid0(VALU_DEP_3) | instskip(NEXT) | instid1(VALU_DEP_2)
	v_dual_add_f32 v2, v2, v5 :: v_dual_add_f32 v1, v1, v135
	v_dual_mul_f32 v3, v181, v13 :: v_dual_fmac_f32 v226, v187, v18
	s_wait_loadcnt_dscnt 0x807
	v_dual_mul_f32 v228, v190, v139 :: v_dual_mul_f32 v229, v192, v141
	s_delay_alu instid0(VALU_DEP_3)
	v_add_f32_e32 v2, v2, v4
	v_mul_f32_e32 v4, v185, v17
	v_fma_f32 v3, v180, v12, -v3
	s_wait_loadcnt_dscnt 0x605
	v_dual_add_f32 v1, v1, v136 :: v_dual_mul_f32 v232, v198, v147
	v_mul_f32_e32 v233, v200, v149
	v_fma_f32 v4, v184, v16, -v4
	v_mul_f32_e32 v5, v183, v15
	s_delay_alu instid0(VALU_DEP_4) | instskip(SKIP_1) | instid1(VALU_DEP_3)
	v_dual_add_f32 v2, v2, v3 :: v_dual_add_f32 v1, v1, v222
	v_dual_mul_f32 v230, v194, v143 :: v_dual_mul_f32 v231, v196, v145
	v_fma_f32 v5, v182, v14, -v5
	v_dual_fmac_f32 v223, v181, v12 :: v_dual_fmac_f32 v228, v191, v138
	s_delay_alu instid0(VALU_DEP_3)
	v_fmac_f32_e32 v230, v195, v142
	s_wait_loadcnt_dscnt 0x302
	v_dual_mul_f32 v238, v210, v159 :: v_dual_mul_f32 v239, v212, v161
	v_add_f32_e32 v2, v2, v5
	v_dual_mul_f32 v234, v202, v151 :: v_dual_mul_f32 v235, v204, v153
	v_dual_fmac_f32 v229, v193, v140 :: v_dual_mul_f32 v236, v206, v155
	s_delay_alu instid0(VALU_DEP_3) | instskip(SKIP_2) | instid1(VALU_DEP_4)
	v_dual_mul_f32 v237, v208, v157 :: v_dual_add_f32 v2, v2, v4
	v_mul_f32_e32 v4, v191, v139
	v_add_f32_e32 v1, v1, v223
	v_dual_fmac_f32 v231, v197, v144 :: v_dual_fmac_f32 v236, v207, v154
	v_fmac_f32_e32 v232, v199, v146
	s_delay_alu instid0(VALU_DEP_4)
	v_fma_f32 v4, v190, v138, -v4
	v_mul_f32_e32 v5, v189, v21
	v_add_f32_e32 v1, v1, v224
	s_wait_loadcnt_dscnt 0x201
	v_dual_fmac_f32 v233, v201, v148 :: v_dual_mul_f32 v240, v214, v163
	v_mul_f32_e32 v241, v216, v165
	v_fma_f32 v5, v188, v20, -v5
	v_mul_f32_e32 v3, v187, v19
	s_wait_loadcnt_dscnt 0x100
	v_dual_mul_f32 v242, v218, v167 :: v_dual_mul_f32 v243, v220, v169
	v_fmac_f32_e32 v239, v213, v160
	v_fmac_f32_e32 v241, v217, v164
	v_fma_f32 v3, v186, v18, -v3
	v_fmac_f32_e32 v225, v185, v16
	v_dual_fmac_f32 v243, v221, v168 :: v_dual_fmac_f32 v238, v211, v158
	v_fmac_f32_e32 v234, v203, v150
	s_delay_alu instid0(VALU_DEP_4) | instskip(SKIP_2) | instid1(VALU_DEP_3)
	v_dual_add_f32 v2, v2, v3 :: v_dual_mul_f32 v3, v193, v141
	v_fmac_f32_e32 v240, v215, v162
	v_fmac_f32_e32 v242, v219, v166
	v_dual_add_f32 v2, v2, v5 :: v_dual_mul_f32 v5, v195, v143
	s_delay_alu instid0(VALU_DEP_4) | instskip(NEXT) | instid1(VALU_DEP_2)
	v_fma_f32 v3, v192, v140, -v3
	v_dual_add_f32 v2, v2, v4 :: v_dual_add_f32 v1, v1, v225
	v_mul_f32_e32 v4, v197, v145
	s_delay_alu instid0(VALU_DEP_4) | instskip(NEXT) | instid1(VALU_DEP_3)
	v_fma_f32 v5, v194, v142, -v5
	v_dual_add_f32 v2, v2, v3 :: v_dual_fmac_f32 v227, v189, v20
	s_delay_alu instid0(VALU_DEP_3) | instskip(NEXT) | instid1(VALU_DEP_2)
	v_fma_f32 v4, v196, v144, -v4
	v_add_f32_e32 v2, v2, v5
	v_mul_f32_e32 v5, v201, v149
	s_delay_alu instid0(VALU_DEP_2) | instskip(NEXT) | instid1(VALU_DEP_2)
	v_dual_add_f32 v1, v1, v226 :: v_dual_add_f32 v2, v2, v4
	v_fma_f32 v5, v200, v148, -v5
	v_mul_f32_e32 v3, v199, v147
	s_delay_alu instid0(VALU_DEP_3) | instskip(SKIP_1) | instid1(VALU_DEP_3)
	v_add_f32_e32 v1, v1, v227
	v_mul_f32_e32 v4, v203, v151
	v_fma_f32 v3, v198, v146, -v3
	s_delay_alu instid0(VALU_DEP_3) | instskip(NEXT) | instid1(VALU_DEP_3)
	v_add_f32_e32 v1, v1, v228
	v_fma_f32 v4, v202, v150, -v4
	s_delay_alu instid0(VALU_DEP_3) | instskip(NEXT) | instid1(VALU_DEP_1)
	v_add_f32_e32 v2, v2, v3
	v_add_f32_e32 v2, v2, v5
	s_delay_alu instid0(VALU_DEP_4) | instskip(NEXT) | instid1(VALU_DEP_2)
	v_add_f32_e32 v1, v1, v229
	v_dual_mul_f32 v5, v207, v155 :: v_dual_add_f32 v2, v2, v4
	v_mul_f32_e32 v4, v209, v157
	s_delay_alu instid0(VALU_DEP_2) | instskip(NEXT) | instid1(VALU_DEP_2)
	v_fma_f32 v5, v206, v154, -v5
	v_fma_f32 v4, v208, v156, -v4
	v_mul_f32_e32 v3, v205, v153
	s_delay_alu instid0(VALU_DEP_1) | instskip(NEXT) | instid1(VALU_DEP_1)
	v_fma_f32 v3, v204, v152, -v3
	v_dual_add_f32 v1, v1, v230 :: v_dual_add_f32 v2, v2, v3
	s_delay_alu instid0(VALU_DEP_1) | instskip(NEXT) | instid1(VALU_DEP_2)
	v_add_f32_e32 v1, v1, v231
	v_dual_mul_f32 v3, v211, v159 :: v_dual_add_f32 v2, v2, v5
	v_mul_f32_e32 v5, v213, v161
	s_delay_alu instid0(VALU_DEP_2) | instskip(NEXT) | instid1(VALU_DEP_3)
	v_fma_f32 v3, v210, v158, -v3
	v_add_f32_e32 v2, v2, v4
	v_dual_add_f32 v1, v1, v232 :: v_dual_mul_f32 v4, v215, v163
	s_delay_alu instid0(VALU_DEP_4) | instskip(NEXT) | instid1(VALU_DEP_2)
	v_fma_f32 v5, v212, v160, -v5
	v_dual_add_f32 v2, v2, v3 :: v_dual_add_f32 v1, v1, v233
	v_fmac_f32_e32 v235, v205, v152
	v_mul_f32_e32 v3, v217, v165
	v_fma_f32 v4, v214, v162, -v4
	s_delay_alu instid0(VALU_DEP_4) | instskip(SKIP_1) | instid1(VALU_DEP_4)
	v_dual_add_f32 v2, v2, v5 :: v_dual_add_f32 v1, v1, v234
	v_mul_f32_e32 v5, v219, v167
	v_fma_f32 v3, v216, v164, -v3
	s_delay_alu instid0(VALU_DEP_3) | instskip(SKIP_1) | instid1(VALU_DEP_4)
	v_dual_add_f32 v2, v2, v4 :: v_dual_add_f32 v1, v1, v235
	v_fmac_f32_e32 v237, v209, v156
	v_fma_f32 v5, v218, v166, -v5
	v_mul_f32_e32 v4, v221, v169
	s_delay_alu instid0(VALU_DEP_4) | instskip(NEXT) | instid1(VALU_DEP_2)
	v_dual_add_f32 v2, v2, v3 :: v_dual_add_f32 v1, v1, v236
	v_fma_f32 v3, v220, v168, -v4
	s_delay_alu instid0(VALU_DEP_2) | instskip(NEXT) | instid1(VALU_DEP_1)
	v_add_f32_e32 v2, v2, v5
	v_dual_add_f32 v1, v1, v237 :: v_dual_add_f32 v2, v2, v3
	s_delay_alu instid0(VALU_DEP_1) | instskip(NEXT) | instid1(VALU_DEP_1)
	v_add_f32_e32 v1, v1, v238
	v_add_f32_e32 v1, v1, v239
	s_delay_alu instid0(VALU_DEP_1) | instskip(NEXT) | instid1(VALU_DEP_1)
	v_add_f32_e32 v1, v1, v240
	v_add_f32_e32 v1, v1, v241
	;; [unrolled: 3-line block ×3, first 2 shown]
	s_wait_loadcnt 0x0
	s_delay_alu instid0(VALU_DEP_1)
	v_dual_sub_f32 v1, v22, v2 :: v_dual_sub_f32 v2, v23, v3
	scratch_store_b64 off, v[1:2], off offset:224
	v_cmpx_lt_u32_e32 27, v0
	s_cbranch_execz .LBB54_289
; %bb.288:
	scratch_load_b64 v[1:2], off, off offset:216
	v_mov_b32_e32 v3, 0
	s_delay_alu instid0(VALU_DEP_1)
	v_mov_b32_e32 v4, v3
	scratch_store_b64 off, v[3:4], off offset:216
	s_wait_loadcnt 0x0
	ds_store_b64 v137, v[1:2]
.LBB54_289:
	s_wait_alu 0xfffe
	s_or_b32 exec_lo, exec_lo, s0
	s_wait_storecnt_dscnt 0x0
	s_barrier_signal -1
	s_barrier_wait -1
	global_inv scope:SCOPE_SE
	s_clause 0xe
	scratch_load_b128 v[2:5], off, off offset:224
	scratch_load_b128 v[6:9], off, off offset:240
	;; [unrolled: 1-line block ×13, first 2 shown]
	scratch_load_b64 v[22:23], off, off offset:432
	scratch_load_b64 v[135:136], off, off offset:216
	v_mov_b32_e32 v1, 0
	ds_load_b128 v[170:173], v1 offset:672
	ds_load_b128 v[174:177], v1 offset:688
	;; [unrolled: 1-line block ×13, first 2 shown]
	ds_load_b64 v[222:223], v1 offset:880
	s_mov_b32 s0, exec_lo
	s_wait_loadcnt_dscnt 0xe0d
	v_mul_f32_e32 v24, v170, v3
	s_wait_loadcnt_dscnt 0xd0c
	v_dual_mul_f32 v224, v172, v5 :: v_dual_mul_f32 v225, v174, v7
	v_mul_f32_e32 v5, v173, v5
	s_wait_loadcnt_dscnt 0xc0b
	v_dual_mul_f32 v226, v176, v9 :: v_dual_mul_f32 v227, v178, v11
	s_wait_loadcnt_dscnt 0xb0a
	v_dual_mul_f32 v228, v180, v13 :: v_dual_mul_f32 v229, v182, v15
	v_mul_f32_e32 v3, v171, v3
	v_fmac_f32_e32 v24, v171, v2
	s_delay_alu instid0(VALU_DEP_3)
	v_dual_fmac_f32 v227, v179, v10 :: v_dual_fmac_f32 v228, v181, v12
	s_wait_loadcnt_dscnt 0x302
	v_mul_f32_e32 v246, v216, v165
	v_fma_f32 v3, v170, v2, -v3
	s_wait_loadcnt_dscnt 0x100
	v_mul_f32_e32 v249, v222, v23
	v_mul_f32_e32 v2, v175, v7
	v_fmac_f32_e32 v224, v173, v4
	v_fma_f32 v4, v172, v4, -v5
	v_dual_add_f32 v3, 0, v3 :: v_dual_mul_f32 v230, v184, v17
	v_mul_f32_e32 v231, v186, v19
	v_fma_f32 v2, v174, v6, -v2
	v_fmac_f32_e32 v229, v183, v14
	s_delay_alu instid0(VALU_DEP_4) | instskip(SKIP_2) | instid1(VALU_DEP_3)
	v_add_f32_e32 v3, v3, v4
	v_dual_add_f32 v5, 0, v24 :: v_dual_mul_f32 v232, v188, v21
	v_dual_mul_f32 v233, v190, v139 :: v_dual_fmac_f32 v226, v177, v8
	v_dual_add_f32 v2, v3, v2 :: v_dual_mul_f32 v7, v177, v9
	s_delay_alu instid0(VALU_DEP_3) | instskip(SKIP_1) | instid1(VALU_DEP_3)
	v_dual_fmac_f32 v225, v175, v6 :: v_dual_add_f32 v4, v5, v224
	v_dual_mul_f32 v5, v179, v11 :: v_dual_fmac_f32 v230, v185, v16
	v_fma_f32 v6, v176, v8, -v7
	v_dual_mul_f32 v234, v192, v141 :: v_dual_mul_f32 v235, v194, v143
	s_delay_alu instid0(VALU_DEP_4)
	v_add_f32_e32 v3, v4, v225
	v_mul_f32_e32 v4, v181, v13
	v_fma_f32 v5, v178, v10, -v5
	v_add_f32_e32 v2, v2, v6
	v_mul_f32_e32 v6, v183, v15
	v_add_f32_e32 v3, v3, v226
	v_fma_f32 v4, v180, v12, -v4
	v_dual_fmac_f32 v233, v191, v138 :: v_dual_fmac_f32 v234, v193, v140
	s_delay_alu instid0(VALU_DEP_3) | instskip(SKIP_3) | instid1(VALU_DEP_4)
	v_dual_add_f32 v2, v2, v5 :: v_dual_add_f32 v3, v3, v227
	v_mul_f32_e32 v5, v185, v17
	v_fma_f32 v6, v182, v14, -v6
	v_dual_mul_f32 v236, v196, v145 :: v_dual_mul_f32 v237, v198, v147
	v_add_f32_e32 v2, v2, v4
	v_add_f32_e32 v3, v3, v228
	v_mul_f32_e32 v4, v187, v19
	v_fma_f32 v5, v184, v16, -v5
	v_fmac_f32_e32 v231, v187, v18
	s_delay_alu instid0(VALU_DEP_4) | instskip(SKIP_3) | instid1(VALU_DEP_4)
	v_dual_add_f32 v2, v2, v6 :: v_dual_add_f32 v3, v3, v229
	v_fmac_f32_e32 v232, v189, v20
	v_mul_f32_e32 v6, v189, v21
	v_fma_f32 v4, v186, v18, -v4
	v_dual_add_f32 v2, v2, v5 :: v_dual_add_f32 v3, v3, v230
	v_mul_f32_e32 v5, v191, v139
	s_delay_alu instid0(VALU_DEP_4) | instskip(SKIP_1) | instid1(VALU_DEP_4)
	v_fma_f32 v6, v188, v20, -v6
	v_dual_mul_f32 v238, v200, v149 :: v_dual_mul_f32 v239, v202, v151
	v_dual_add_f32 v2, v2, v4 :: v_dual_add_f32 v3, v3, v231
	v_mul_f32_e32 v4, v193, v141
	v_fma_f32 v5, v190, v138, -v5
	v_fmac_f32_e32 v235, v195, v142
	s_delay_alu instid0(VALU_DEP_4) | instskip(SKIP_3) | instid1(VALU_DEP_4)
	v_dual_add_f32 v2, v2, v6 :: v_dual_add_f32 v3, v3, v232
	v_mul_f32_e32 v6, v195, v143
	v_fma_f32 v4, v192, v140, -v4
	v_fmac_f32_e32 v236, v197, v144
	v_add_f32_e32 v2, v2, v5
	v_add_f32_e32 v3, v3, v233
	v_mul_f32_e32 v5, v197, v145
	v_fma_f32 v6, v194, v142, -v6
	s_delay_alu instid0(VALU_DEP_4) | instskip(NEXT) | instid1(VALU_DEP_4)
	v_dual_fmac_f32 v237, v199, v146 :: v_dual_add_f32 v2, v2, v4
	v_add_f32_e32 v3, v3, v234
	v_mul_f32_e32 v4, v199, v147
	v_fma_f32 v5, v196, v144, -v5
	v_fmac_f32_e32 v238, v201, v148
	s_delay_alu instid0(VALU_DEP_4) | instskip(SKIP_3) | instid1(VALU_DEP_4)
	v_dual_add_f32 v2, v2, v6 :: v_dual_add_f32 v3, v3, v235
	v_mul_f32_e32 v6, v201, v149
	v_fma_f32 v4, v198, v146, -v4
	v_dual_mul_f32 v240, v204, v153 :: v_dual_mul_f32 v241, v206, v155
	v_dual_add_f32 v2, v2, v5 :: v_dual_add_f32 v3, v3, v236
	v_mul_f32_e32 v5, v203, v151
	v_fma_f32 v6, v200, v148, -v6
	s_delay_alu instid0(VALU_DEP_3) | instskip(NEXT) | instid1(VALU_DEP_4)
	v_dual_fmac_f32 v239, v203, v150 :: v_dual_add_f32 v2, v2, v4
	v_add_f32_e32 v3, v3, v237
	v_mul_f32_e32 v4, v205, v153
	v_fma_f32 v5, v202, v150, -v5
	v_fmac_f32_e32 v240, v205, v152
	v_dual_mul_f32 v242, v208, v157 :: v_dual_mul_f32 v243, v210, v159
	v_add_f32_e32 v3, v3, v238
	v_add_f32_e32 v2, v2, v6
	v_mul_f32_e32 v6, v207, v155
	v_fma_f32 v4, v204, v152, -v4
	v_fmac_f32_e32 v241, v207, v154
	s_delay_alu instid0(VALU_DEP_4) | instskip(NEXT) | instid1(VALU_DEP_4)
	v_dual_add_f32 v3, v3, v239 :: v_dual_add_f32 v2, v2, v5
	v_fma_f32 v6, v206, v154, -v6
	v_mul_f32_e32 v5, v209, v157
	v_dual_fmac_f32 v242, v209, v156 :: v_dual_fmac_f32 v243, v211, v158
	s_delay_alu instid0(VALU_DEP_4) | instskip(SKIP_3) | instid1(VALU_DEP_4)
	v_add_f32_e32 v3, v3, v240
	v_add_f32_e32 v2, v2, v4
	v_dual_mul_f32 v244, v212, v161 :: v_dual_mul_f32 v245, v214, v163
	v_mul_f32_e32 v4, v211, v159
	v_add_f32_e32 v3, v3, v241
	v_fma_f32 v5, v208, v156, -v5
	v_add_f32_e32 v2, v2, v6
	v_mul_f32_e32 v6, v213, v161
	v_fma_f32 v4, v210, v158, -v4
	v_dual_add_f32 v3, v3, v242 :: v_dual_fmac_f32 v244, v213, v160
	s_delay_alu instid0(VALU_DEP_4) | instskip(NEXT) | instid1(VALU_DEP_4)
	v_dual_add_f32 v2, v2, v5 :: v_dual_mul_f32 v5, v215, v163
	v_fma_f32 v6, v212, v160, -v6
	s_delay_alu instid0(VALU_DEP_3) | instskip(NEXT) | instid1(VALU_DEP_3)
	v_add_f32_e32 v3, v3, v243
	v_dual_fmac_f32 v245, v215, v162 :: v_dual_add_f32 v2, v2, v4
	v_dual_mul_f32 v4, v217, v165 :: v_dual_mul_f32 v247, v218, v167
	s_delay_alu instid0(VALU_DEP_3) | instskip(SKIP_1) | instid1(VALU_DEP_4)
	v_dual_mul_f32 v248, v220, v169 :: v_dual_add_f32 v3, v3, v244
	v_fma_f32 v5, v214, v162, -v5
	v_add_f32_e32 v2, v2, v6
	s_delay_alu instid0(VALU_DEP_4) | instskip(NEXT) | instid1(VALU_DEP_4)
	v_dual_fmac_f32 v246, v217, v164 :: v_dual_fmac_f32 v247, v219, v166
	v_add_f32_e32 v3, v3, v245
	v_mul_f32_e32 v6, v219, v167
	v_fma_f32 v4, v216, v164, -v4
	v_add_f32_e32 v2, v2, v5
	v_mul_f32_e32 v5, v221, v169
	v_add_f32_e32 v3, v3, v246
	v_fma_f32 v6, v218, v166, -v6
	v_dual_fmac_f32 v248, v221, v168 :: v_dual_fmac_f32 v249, v223, v22
	s_delay_alu instid0(VALU_DEP_3) | instskip(SKIP_2) | instid1(VALU_DEP_3)
	v_dual_add_f32 v2, v2, v4 :: v_dual_add_f32 v3, v3, v247
	v_mul_f32_e32 v4, v223, v23
	v_fma_f32 v5, v220, v168, -v5
	v_dual_add_f32 v2, v2, v6 :: v_dual_add_f32 v3, v3, v248
	s_delay_alu instid0(VALU_DEP_3) | instskip(NEXT) | instid1(VALU_DEP_2)
	v_fma_f32 v4, v222, v22, -v4
	v_add_f32_e32 v3, v3, v249
	s_wait_loadcnt 0x0
	s_delay_alu instid0(VALU_DEP_1) | instskip(NEXT) | instid1(VALU_DEP_1)
	v_dual_add_f32 v2, v2, v5 :: v_dual_sub_f32 v3, v136, v3
	v_add_f32_e32 v2, v2, v4
	s_delay_alu instid0(VALU_DEP_1)
	v_sub_f32_e32 v2, v135, v2
	scratch_store_b64 off, v[2:3], off offset:216
	v_cmpx_lt_u32_e32 26, v0
	s_cbranch_execz .LBB54_291
; %bb.290:
	scratch_load_b64 v[3:4], off, off offset:208
	v_mov_b32_e32 v2, v1
	scratch_store_b64 off, v[1:2], off offset:208
	s_wait_loadcnt 0x0
	ds_store_b64 v137, v[3:4]
.LBB54_291:
	s_wait_alu 0xfffe
	s_or_b32 exec_lo, exec_lo, s0
	s_wait_storecnt_dscnt 0x0
	s_barrier_signal -1
	s_barrier_wait -1
	global_inv scope:SCOPE_SE
	s_clause 0xe
	scratch_load_b128 v[2:5], off, off offset:216
	scratch_load_b128 v[6:9], off, off offset:232
	;; [unrolled: 1-line block ×14, first 2 shown]
	scratch_load_b64 v[22:23], off, off offset:208
	ds_load_2addr_b64 v[174:177], v1 offset0:83 offset1:84
	ds_load_2addr_b64 v[178:181], v1 offset0:85 offset1:86
	;; [unrolled: 1-line block ×14, first 2 shown]
	s_mov_b32 s0, exec_lo
	s_wait_loadcnt_dscnt 0xe0d
	v_dual_mul_f32 v1, v174, v3 :: v_dual_mul_f32 v24, v176, v5
	v_mul_f32_e32 v3, v175, v3
	v_mul_f32_e32 v5, v177, v5
	s_wait_loadcnt_dscnt 0xd0c
	v_dual_mul_f32 v135, v178, v7 :: v_dual_mul_f32 v136, v180, v9
	v_fmac_f32_e32 v24, v177, v4
	v_fma_f32 v3, v174, v2, -v3
	s_wait_loadcnt_dscnt 0xc0b
	v_dual_mul_f32 v230, v182, v11 :: v_dual_mul_f32 v231, v184, v13
	v_dual_fmac_f32 v1, v175, v2 :: v_dual_fmac_f32 v136, v181, v8
	v_mul_f32_e32 v2, v179, v7
	v_fma_f32 v4, v176, v4, -v5
	s_delay_alu instid0(VALU_DEP_4) | instskip(NEXT) | instid1(VALU_DEP_4)
	v_dual_add_f32 v3, 0, v3 :: v_dual_fmac_f32 v230, v183, v10
	v_add_f32_e32 v1, 0, v1
	s_delay_alu instid0(VALU_DEP_4) | instskip(SKIP_4) | instid1(VALU_DEP_3)
	v_fma_f32 v2, v178, v6, -v2
	s_wait_loadcnt_dscnt 0xb0a
	v_dual_mul_f32 v232, v186, v15 :: v_dual_mul_f32 v233, v188, v17
	v_add_f32_e32 v3, v3, v4
	v_dual_mul_f32 v5, v181, v9 :: v_dual_mul_f32 v4, v183, v11
	v_dual_add_f32 v1, v1, v24 :: v_dual_fmac_f32 v232, v187, v14
	s_delay_alu instid0(VALU_DEP_3) | instskip(NEXT) | instid1(VALU_DEP_3)
	v_add_f32_e32 v2, v3, v2
	v_fma_f32 v5, v180, v8, -v5
	v_fmac_f32_e32 v135, v179, v6
	v_fma_f32 v4, v182, v10, -v4
	s_wait_loadcnt_dscnt 0xa09
	v_dual_mul_f32 v234, v190, v19 :: v_dual_mul_f32 v235, v192, v21
	s_delay_alu instid0(VALU_DEP_3) | instskip(NEXT) | instid1(VALU_DEP_2)
	v_dual_add_f32 v2, v2, v5 :: v_dual_add_f32 v1, v1, v135
	v_dual_mul_f32 v3, v185, v13 :: v_dual_fmac_f32 v234, v191, v18
	s_wait_loadcnt_dscnt 0x908
	v_dual_mul_f32 v236, v194, v139 :: v_dual_mul_f32 v237, v196, v141
	s_delay_alu instid0(VALU_DEP_3)
	v_add_f32_e32 v2, v2, v4
	v_mul_f32_e32 v4, v189, v17
	v_fma_f32 v3, v184, v12, -v3
	s_wait_loadcnt_dscnt 0x706
	v_dual_add_f32 v1, v1, v136 :: v_dual_mul_f32 v240, v202, v147
	v_mul_f32_e32 v241, v204, v149
	v_fma_f32 v4, v188, v16, -v4
	v_mul_f32_e32 v5, v187, v15
	s_delay_alu instid0(VALU_DEP_4) | instskip(SKIP_1) | instid1(VALU_DEP_3)
	v_dual_add_f32 v2, v2, v3 :: v_dual_add_f32 v1, v1, v230
	v_dual_mul_f32 v238, v198, v143 :: v_dual_mul_f32 v239, v200, v145
	v_fma_f32 v5, v186, v14, -v5
	v_dual_fmac_f32 v231, v185, v12 :: v_dual_fmac_f32 v236, v195, v138
	s_delay_alu instid0(VALU_DEP_3)
	v_fmac_f32_e32 v238, v199, v142
	s_wait_loadcnt_dscnt 0x403
	v_dual_mul_f32 v246, v214, v159 :: v_dual_mul_f32 v247, v216, v161
	v_add_f32_e32 v2, v2, v5
	v_dual_mul_f32 v242, v206, v151 :: v_dual_mul_f32 v243, v208, v153
	v_dual_fmac_f32 v237, v197, v140 :: v_dual_mul_f32 v244, v210, v155
	s_delay_alu instid0(VALU_DEP_3) | instskip(SKIP_2) | instid1(VALU_DEP_4)
	v_dual_mul_f32 v245, v212, v157 :: v_dual_add_f32 v2, v2, v4
	v_mul_f32_e32 v4, v195, v139
	v_add_f32_e32 v1, v1, v231
	v_dual_fmac_f32 v239, v201, v144 :: v_dual_fmac_f32 v244, v211, v154
	v_fmac_f32_e32 v240, v203, v146
	s_delay_alu instid0(VALU_DEP_4)
	v_fma_f32 v4, v194, v138, -v4
	v_mul_f32_e32 v5, v193, v21
	s_wait_loadcnt_dscnt 0x100
	v_dual_add_f32 v1, v1, v232 :: v_dual_mul_f32 v252, v226, v171
	v_mul_f32_e32 v253, v228, v173
	v_fmac_f32_e32 v241, v205, v148
	v_fma_f32 v5, v192, v20, -v5
	v_mul_f32_e32 v3, v191, v19
	v_dual_mul_f32 v248, v218, v163 :: v_dual_mul_f32 v249, v220, v165
	v_dual_mul_f32 v250, v222, v167 :: v_dual_mul_f32 v251, v224, v169
	s_delay_alu instid0(VALU_DEP_3) | instskip(SKIP_1) | instid1(VALU_DEP_4)
	v_fma_f32 v3, v190, v18, -v3
	v_fmac_f32_e32 v233, v189, v16
	v_fmac_f32_e32 v249, v221, v164
	;; [unrolled: 1-line block ×3, first 2 shown]
	s_delay_alu instid0(VALU_DEP_4) | instskip(SKIP_3) | instid1(VALU_DEP_4)
	v_dual_fmac_f32 v251, v225, v168 :: v_dual_add_f32 v2, v2, v3
	v_dual_mul_f32 v3, v197, v141 :: v_dual_fmac_f32 v246, v215, v158
	v_fmac_f32_e32 v242, v207, v150
	v_fmac_f32_e32 v252, v227, v170
	v_dual_add_f32 v2, v2, v5 :: v_dual_mul_f32 v5, v199, v143
	s_delay_alu instid0(VALU_DEP_4) | instskip(SKIP_2) | instid1(VALU_DEP_4)
	v_fma_f32 v3, v196, v140, -v3
	v_fmac_f32_e32 v248, v219, v162
	v_fmac_f32_e32 v250, v223, v166
	v_dual_add_f32 v2, v2, v4 :: v_dual_add_f32 v1, v1, v233
	v_mul_f32_e32 v4, v201, v145
	v_fma_f32 v5, v198, v142, -v5
	s_delay_alu instid0(VALU_DEP_3) | instskip(NEXT) | instid1(VALU_DEP_3)
	v_dual_add_f32 v2, v2, v3 :: v_dual_fmac_f32 v235, v193, v20
	v_fma_f32 v4, v200, v144, -v4
	s_delay_alu instid0(VALU_DEP_2) | instskip(SKIP_1) | instid1(VALU_DEP_2)
	v_add_f32_e32 v2, v2, v5
	v_mul_f32_e32 v5, v205, v149
	v_dual_add_f32 v1, v1, v234 :: v_dual_add_f32 v2, v2, v4
	s_delay_alu instid0(VALU_DEP_2) | instskip(SKIP_1) | instid1(VALU_DEP_3)
	v_fma_f32 v5, v204, v148, -v5
	v_mul_f32_e32 v3, v203, v147
	v_add_f32_e32 v1, v1, v235
	v_mul_f32_e32 v4, v207, v151
	s_delay_alu instid0(VALU_DEP_3) | instskip(NEXT) | instid1(VALU_DEP_3)
	v_fma_f32 v3, v202, v146, -v3
	v_add_f32_e32 v1, v1, v236
	s_delay_alu instid0(VALU_DEP_3) | instskip(NEXT) | instid1(VALU_DEP_3)
	v_fma_f32 v4, v206, v150, -v4
	v_add_f32_e32 v2, v2, v3
	s_delay_alu instid0(VALU_DEP_1) | instskip(NEXT) | instid1(VALU_DEP_4)
	v_add_f32_e32 v2, v2, v5
	v_add_f32_e32 v1, v1, v237
	s_delay_alu instid0(VALU_DEP_2) | instskip(SKIP_1) | instid1(VALU_DEP_2)
	v_dual_mul_f32 v5, v211, v155 :: v_dual_add_f32 v2, v2, v4
	v_mul_f32_e32 v4, v213, v157
	v_fma_f32 v5, v210, v154, -v5
	s_delay_alu instid0(VALU_DEP_2) | instskip(SKIP_1) | instid1(VALU_DEP_1)
	v_fma_f32 v4, v212, v156, -v4
	v_mul_f32_e32 v3, v209, v153
	v_fma_f32 v3, v208, v152, -v3
	s_delay_alu instid0(VALU_DEP_1) | instskip(NEXT) | instid1(VALU_DEP_1)
	v_dual_add_f32 v1, v1, v238 :: v_dual_add_f32 v2, v2, v3
	v_add_f32_e32 v1, v1, v239
	s_delay_alu instid0(VALU_DEP_2) | instskip(SKIP_1) | instid1(VALU_DEP_2)
	v_dual_mul_f32 v3, v215, v159 :: v_dual_add_f32 v2, v2, v5
	v_mul_f32_e32 v5, v217, v161
	v_fma_f32 v3, v214, v158, -v3
	s_delay_alu instid0(VALU_DEP_3) | instskip(SKIP_1) | instid1(VALU_DEP_4)
	v_add_f32_e32 v2, v2, v4
	v_dual_add_f32 v1, v1, v240 :: v_dual_mul_f32 v4, v219, v163
	v_fma_f32 v5, v216, v160, -v5
	s_delay_alu instid0(VALU_DEP_2) | instskip(SKIP_3) | instid1(VALU_DEP_4)
	v_dual_add_f32 v2, v2, v3 :: v_dual_add_f32 v1, v1, v241
	v_fmac_f32_e32 v243, v209, v152
	v_mul_f32_e32 v3, v221, v165
	v_fma_f32 v4, v218, v162, -v4
	v_dual_add_f32 v2, v2, v5 :: v_dual_add_f32 v1, v1, v242
	v_mul_f32_e32 v5, v223, v167
	s_delay_alu instid0(VALU_DEP_4) | instskip(NEXT) | instid1(VALU_DEP_3)
	v_fma_f32 v3, v220, v164, -v3
	v_dual_add_f32 v2, v2, v4 :: v_dual_add_f32 v1, v1, v243
	v_fmac_f32_e32 v245, v213, v156
	v_mul_f32_e32 v4, v225, v169
	v_fma_f32 v5, v222, v166, -v5
	s_delay_alu instid0(VALU_DEP_4) | instskip(SKIP_1) | instid1(VALU_DEP_4)
	v_dual_add_f32 v2, v2, v3 :: v_dual_add_f32 v1, v1, v244
	v_mul_f32_e32 v3, v227, v171
	v_fma_f32 v4, v224, v168, -v4
	s_delay_alu instid0(VALU_DEP_3) | instskip(NEXT) | instid1(VALU_DEP_4)
	v_add_f32_e32 v2, v2, v5
	v_add_f32_e32 v1, v1, v245
	v_mul_f32_e32 v5, v229, v173
	v_fma_f32 v3, v226, v170, -v3
	s_delay_alu instid0(VALU_DEP_4) | instskip(SKIP_1) | instid1(VALU_DEP_4)
	v_add_f32_e32 v2, v2, v4
	v_fmac_f32_e32 v247, v217, v160
	v_fma_f32 v4, v228, v172, -v5
	s_delay_alu instid0(VALU_DEP_3) | instskip(NEXT) | instid1(VALU_DEP_1)
	v_dual_add_f32 v2, v2, v3 :: v_dual_add_f32 v1, v1, v246
	v_dual_add_f32 v2, v2, v4 :: v_dual_add_f32 v1, v1, v247
	s_delay_alu instid0(VALU_DEP_1) | instskip(NEXT) | instid1(VALU_DEP_1)
	v_add_f32_e32 v1, v1, v248
	v_add_f32_e32 v1, v1, v249
	s_delay_alu instid0(VALU_DEP_1) | instskip(NEXT) | instid1(VALU_DEP_1)
	v_add_f32_e32 v1, v1, v250
	v_add_f32_e32 v1, v1, v251
	;; [unrolled: 3-line block ×3, first 2 shown]
	s_wait_loadcnt 0x0
	s_delay_alu instid0(VALU_DEP_1)
	v_dual_sub_f32 v1, v22, v2 :: v_dual_sub_f32 v2, v23, v3
	scratch_store_b64 off, v[1:2], off offset:208
	v_cmpx_lt_u32_e32 25, v0
	s_cbranch_execz .LBB54_293
; %bb.292:
	scratch_load_b64 v[1:2], off, off offset:200
	v_mov_b32_e32 v3, 0
	s_delay_alu instid0(VALU_DEP_1)
	v_mov_b32_e32 v4, v3
	scratch_store_b64 off, v[3:4], off offset:200
	s_wait_loadcnt 0x0
	ds_store_b64 v137, v[1:2]
.LBB54_293:
	s_wait_alu 0xfffe
	s_or_b32 exec_lo, exec_lo, s0
	s_wait_storecnt_dscnt 0x0
	s_barrier_signal -1
	s_barrier_wait -1
	global_inv scope:SCOPE_SE
	s_clause 0x4
	scratch_load_b128 v[2:5], off, off offset:208
	scratch_load_b128 v[6:9], off, off offset:224
	;; [unrolled: 1-line block ×5, first 2 shown]
	v_mov_b32_e32 v1, 0
	ds_load_b128 v[138:141], v1 offset:656
	ds_load_b128 v[142:145], v1 offset:672
	;; [unrolled: 1-line block ×3, first 2 shown]
	scratch_load_b64 v[22:23], off, off offset:200
	s_mov_b32 s0, exec_lo
	s_wait_loadcnt_dscnt 0x502
	v_mul_f32_e32 v24, v139, v3
	v_dual_mul_f32 v135, v138, v3 :: v_dual_mul_f32 v136, v140, v5
	v_mul_f32_e32 v3, v141, v5
	s_wait_loadcnt_dscnt 0x300
	v_mul_f32_e32 v150, v148, v13
	v_fma_f32 v24, v138, v2, -v24
	v_dual_fmac_f32 v135, v139, v2 :: v_dual_fmac_f32 v136, v141, v4
	v_fma_f32 v138, v140, v4, -v3
	ds_load_b128 v[2:5], v1 offset:704
	v_dual_mul_f32 v139, v142, v7 :: v_dual_mul_f32 v140, v144, v9
	v_mul_f32_e32 v7, v143, v7
	v_mul_f32_e32 v9, v145, v9
	;; [unrolled: 1-line block ×3, first 2 shown]
	v_dual_mul_f32 v11, v147, v11 :: v_dual_fmac_f32 v150, v149, v12
	v_mul_f32_e32 v13, v149, v13
	v_fmac_f32_e32 v139, v143, v6
	v_fma_f32 v142, v142, v6, -v7
	v_fmac_f32_e32 v140, v145, v8
	v_fma_f32 v143, v144, v8, -v9
	scratch_load_b128 v[6:9], off, off offset:288
	v_fmac_f32_e32 v141, v147, v10
	v_fma_f32 v144, v146, v10, -v11
	v_fma_f32 v145, v148, v12, -v13
	ds_load_b128 v[10:13], v1 offset:720
	s_wait_loadcnt_dscnt 0x301
	v_mul_f32_e32 v146, v2, v15
	v_mul_f32_e32 v15, v3, v15
	;; [unrolled: 1-line block ×3, first 2 shown]
	s_delay_alu instid0(VALU_DEP_3) | instskip(NEXT) | instid1(VALU_DEP_3)
	v_dual_mul_f32 v17, v5, v17 :: v_dual_fmac_f32 v146, v3, v14
	v_fma_f32 v14, v2, v14, -v15
	s_delay_alu instid0(VALU_DEP_3) | instskip(NEXT) | instid1(VALU_DEP_3)
	v_fmac_f32_e32 v147, v5, v16
	v_fma_f32 v15, v4, v16, -v17
	ds_load_b128 v[2:5], v1 offset:736
	s_wait_loadcnt_dscnt 0x201
	v_mul_f32_e32 v16, v10, v19
	v_mul_f32_e32 v17, v11, v19
	;; [unrolled: 1-line block ×3, first 2 shown]
	s_delay_alu instid0(VALU_DEP_3) | instskip(NEXT) | instid1(VALU_DEP_3)
	v_dual_mul_f32 v21, v13, v21 :: v_dual_fmac_f32 v16, v11, v18
	v_fma_f32 v17, v10, v18, -v17
	s_delay_alu instid0(VALU_DEP_3) | instskip(NEXT) | instid1(VALU_DEP_3)
	v_fmac_f32_e32 v19, v13, v20
	v_fma_f32 v18, v12, v20, -v21
	scratch_load_b128 v[10:13], off, off offset:304
	s_wait_loadcnt_dscnt 0x100
	v_mul_f32_e32 v20, v2, v7
	v_mul_f32_e32 v7, v3, v7
	;; [unrolled: 1-line block ×3, first 2 shown]
	s_delay_alu instid0(VALU_DEP_3) | instskip(NEXT) | instid1(VALU_DEP_3)
	v_dual_mul_f32 v9, v5, v9 :: v_dual_fmac_f32 v20, v3, v6
	v_fma_f32 v148, v2, v6, -v7
	s_delay_alu instid0(VALU_DEP_3) | instskip(NEXT) | instid1(VALU_DEP_3)
	v_fmac_f32_e32 v21, v5, v8
	v_fma_f32 v149, v4, v8, -v9
	ds_load_b128 v[2:5], v1 offset:752
	ds_load_b128 v[6:9], v1 offset:768
	s_wait_loadcnt_dscnt 0x1
	v_mul_f32_e32 v151, v2, v11
	v_dual_mul_f32 v11, v3, v11 :: v_dual_mul_f32 v152, v4, v13
	s_delay_alu instid0(VALU_DEP_2) | instskip(NEXT) | instid1(VALU_DEP_2)
	v_fmac_f32_e32 v151, v3, v10
	v_fma_f32 v153, v2, v10, -v11
	v_mul_f32_e32 v2, v5, v13
	s_delay_alu instid0(VALU_DEP_4) | instskip(NEXT) | instid1(VALU_DEP_2)
	v_fmac_f32_e32 v152, v5, v12
	v_fma_f32 v154, v4, v12, -v2
	s_clause 0x1
	scratch_load_b128 v[2:5], off, off offset:320
	scratch_load_b128 v[10:13], off, off offset:336
	s_wait_loadcnt_dscnt 0x100
	v_mul_f32_e32 v155, v6, v3
	v_mul_f32_e32 v3, v7, v3
	v_mul_f32_e32 v157, v8, v5
	s_delay_alu instid0(VALU_DEP_3) | instskip(NEXT) | instid1(VALU_DEP_3)
	v_fmac_f32_e32 v155, v7, v2
	v_fma_f32 v156, v6, v2, -v3
	v_mul_f32_e32 v2, v9, v5
	s_delay_alu instid0(VALU_DEP_4) | instskip(NEXT) | instid1(VALU_DEP_2)
	v_fmac_f32_e32 v157, v9, v4
	v_fma_f32 v158, v8, v4, -v2
	ds_load_b128 v[2:5], v1 offset:784
	ds_load_b128 v[6:9], v1 offset:800
	s_wait_loadcnt_dscnt 0x1
	v_mul_f32_e32 v159, v2, v11
	v_mul_f32_e32 v161, v4, v13
	s_delay_alu instid0(VALU_DEP_2) | instskip(SKIP_1) | instid1(VALU_DEP_3)
	v_fmac_f32_e32 v159, v3, v10
	v_mul_f32_e32 v3, v3, v11
	v_fmac_f32_e32 v161, v5, v12
	s_delay_alu instid0(VALU_DEP_2) | instskip(SKIP_1) | instid1(VALU_DEP_1)
	v_fma_f32 v160, v2, v10, -v3
	v_mul_f32_e32 v2, v5, v13
	v_fma_f32 v162, v4, v12, -v2
	s_clause 0x1
	scratch_load_b128 v[2:5], off, off offset:352
	scratch_load_b128 v[10:13], off, off offset:368
	s_wait_loadcnt_dscnt 0x100
	v_mul_f32_e32 v163, v6, v3
	v_mul_f32_e32 v3, v7, v3
	s_delay_alu instid0(VALU_DEP_2) | instskip(NEXT) | instid1(VALU_DEP_2)
	v_fmac_f32_e32 v163, v7, v2
	v_fma_f32 v164, v6, v2, -v3
	v_dual_mul_f32 v2, v9, v5 :: v_dual_add_f32 v3, 0, v135
	s_delay_alu instid0(VALU_DEP_1) | instskip(SKIP_1) | instid1(VALU_DEP_3)
	v_fma_f32 v166, v8, v4, -v2
	v_add_f32_e32 v2, 0, v24
	v_add_f32_e32 v3, v3, v136
	scratch_load_b64 v[135:136], off, off offset:432
	v_dual_add_f32 v2, v2, v138 :: v_dual_add_f32 v3, v3, v139
	s_delay_alu instid0(VALU_DEP_1) | instskip(NEXT) | instid1(VALU_DEP_1)
	v_dual_add_f32 v2, v2, v142 :: v_dual_add_f32 v3, v3, v140
	v_add_f32_e32 v2, v2, v143
	s_delay_alu instid0(VALU_DEP_2) | instskip(NEXT) | instid1(VALU_DEP_2)
	v_add_f32_e32 v6, v3, v141
	v_add_f32_e32 v2, v2, v144
	s_delay_alu instid0(VALU_DEP_2) | instskip(NEXT) | instid1(VALU_DEP_2)
	v_add_f32_e32 v6, v6, v150
	;; [unrolled: 3-line block ×3, first 2 shown]
	v_add_f32_e32 v7, v7, v14
	s_delay_alu instid0(VALU_DEP_1) | instskip(NEXT) | instid1(VALU_DEP_3)
	v_add_f32_e32 v14, v7, v15
	v_add_f32_e32 v15, v6, v147
	s_delay_alu instid0(VALU_DEP_1) | instskip(NEXT) | instid1(VALU_DEP_1)
	v_dual_add_f32 v14, v14, v17 :: v_dual_add_f32 v15, v15, v16
	v_dual_add_f32 v14, v14, v18 :: v_dual_add_f32 v15, v15, v19
	s_delay_alu instid0(VALU_DEP_1) | instskip(NEXT) | instid1(VALU_DEP_1)
	v_add_f32_e32 v14, v14, v148
	v_dual_add_f32 v18, v15, v20 :: v_dual_add_f32 v19, v14, v149
	scratch_load_b128 v[14:17], off, off offset:416
	v_add_f32_e32 v18, v18, v21
	s_delay_alu instid0(VALU_DEP_1) | instskip(NEXT) | instid1(VALU_DEP_1)
	v_dual_add_f32 v19, v19, v153 :: v_dual_add_f32 v18, v18, v151
	v_dual_add_f32 v19, v19, v154 :: v_dual_add_f32 v18, v18, v152
	v_mul_f32_e32 v165, v8, v5
	s_delay_alu instid0(VALU_DEP_2) | instskip(NEXT) | instid1(VALU_DEP_2)
	v_dual_add_f32 v19, v19, v156 :: v_dual_add_f32 v18, v18, v155
	v_fmac_f32_e32 v165, v9, v4
	ds_load_b128 v[2:5], v1 offset:816
	ds_load_b128 v[6:9], v1 offset:832
	v_add_f32_e32 v19, v19, v158
	s_delay_alu instid0(VALU_DEP_1)
	v_add_f32_e32 v142, v19, v160
	s_wait_loadcnt_dscnt 0x201
	v_mul_f32_e32 v24, v2, v11
	v_mul_f32_e32 v144, v4, v13
	v_add_f32_e32 v138, v18, v157
	ds_load_b128 v[18:21], v1 offset:848
	v_fmac_f32_e32 v24, v3, v10
	v_dual_fmac_f32 v144, v5, v12 :: v_dual_add_f32 v143, v138, v159
	ds_load_b128 v[138:141], v1 offset:864
	v_dual_add_f32 v147, v142, v162 :: v_dual_add_f32 v148, v143, v161
	ds_load_b64 v[142:143], v1 offset:880
	v_dual_mul_f32 v13, v5, v13 :: v_dual_add_f32 v148, v148, v163
	s_delay_alu instid0(VALU_DEP_1) | instskip(NEXT) | instid1(VALU_DEP_1)
	v_add_f32_e32 v148, v148, v165
	v_dual_add_f32 v24, v148, v24 :: v_dual_mul_f32 v11, v3, v11
	s_delay_alu instid0(VALU_DEP_1) | instskip(NEXT) | instid1(VALU_DEP_2)
	v_add_f32_e32 v24, v24, v144
	v_fma_f32 v145, v2, v10, -v11
	s_wait_loadcnt_dscnt 0x100
	v_mul_f32_e32 v144, v142, v136
	v_fma_f32 v146, v4, v12, -v13
	s_clause 0x1
	scratch_load_b128 v[2:5], off, off offset:384
	scratch_load_b128 v[10:13], off, off offset:400
	v_fmac_f32_e32 v144, v143, v135
	s_wait_loadcnt 0x2
	v_mul_f32_e32 v151, v138, v15
	s_delay_alu instid0(VALU_DEP_1)
	v_fmac_f32_e32 v151, v139, v14
	s_wait_loadcnt 0x1
	v_mul_f32_e32 v149, v6, v3
	v_dual_mul_f32 v3, v7, v3 :: v_dual_mul_f32 v150, v8, v5
	v_mul_f32_e32 v5, v9, v5
	s_wait_loadcnt 0x0
	s_delay_alu instid0(VALU_DEP_3) | instskip(NEXT) | instid1(VALU_DEP_3)
	v_dual_mul_f32 v148, v20, v13 :: v_dual_fmac_f32 v149, v7, v2
	v_fma_f32 v3, v6, v2, -v3
	v_mul_f32_e32 v6, v21, v13
	v_fmac_f32_e32 v150, v9, v4
	v_fma_f32 v2, v8, v4, -v5
	v_mul_f32_e32 v4, v19, v11
	v_fmac_f32_e32 v148, v21, v12
	v_fma_f32 v6, v20, v12, -v6
	v_add_f32_e32 v147, v147, v164
	v_add_f32_e32 v5, v24, v149
	v_fma_f32 v4, v18, v10, -v4
	s_delay_alu instid0(VALU_DEP_3) | instskip(NEXT) | instid1(VALU_DEP_1)
	v_add_f32_e32 v147, v147, v166
	v_add_f32_e32 v145, v147, v145
	v_mul_f32_e32 v147, v18, v11
	s_delay_alu instid0(VALU_DEP_2) | instskip(NEXT) | instid1(VALU_DEP_2)
	v_add_f32_e32 v145, v145, v146
	v_dual_fmac_f32 v147, v19, v10 :: v_dual_mul_f32 v146, v140, v17
	s_delay_alu instid0(VALU_DEP_2) | instskip(NEXT) | instid1(VALU_DEP_2)
	v_add_f32_e32 v3, v145, v3
	v_fmac_f32_e32 v146, v141, v16
	s_delay_alu instid0(VALU_DEP_2) | instskip(SKIP_1) | instid1(VALU_DEP_2)
	v_add_f32_e32 v2, v3, v2
	v_add_f32_e32 v3, v5, v150
	v_dual_mul_f32 v5, v139, v15 :: v_dual_add_f32 v2, v2, v4
	s_delay_alu instid0(VALU_DEP_2) | instskip(NEXT) | instid1(VALU_DEP_2)
	v_dual_add_f32 v3, v3, v147 :: v_dual_mul_f32 v4, v141, v17
	v_fma_f32 v5, v138, v14, -v5
	s_delay_alu instid0(VALU_DEP_2) | instskip(SKIP_1) | instid1(VALU_DEP_4)
	v_dual_add_f32 v2, v2, v6 :: v_dual_add_f32 v3, v3, v148
	v_mul_f32_e32 v6, v143, v136
	v_fma_f32 v4, v140, v16, -v4
	s_delay_alu instid0(VALU_DEP_3) | instskip(NEXT) | instid1(VALU_DEP_3)
	v_dual_add_f32 v2, v2, v5 :: v_dual_add_f32 v3, v3, v151
	v_fma_f32 v5, v142, v135, -v6
	s_delay_alu instid0(VALU_DEP_2) | instskip(NEXT) | instid1(VALU_DEP_1)
	v_dual_add_f32 v2, v2, v4 :: v_dual_add_f32 v3, v3, v146
	v_dual_add_f32 v2, v2, v5 :: v_dual_add_f32 v3, v3, v144
	s_delay_alu instid0(VALU_DEP_1)
	v_dual_sub_f32 v2, v22, v2 :: v_dual_sub_f32 v3, v23, v3
	scratch_store_b64 off, v[2:3], off offset:200
	v_cmpx_lt_u32_e32 24, v0
	s_cbranch_execz .LBB54_295
; %bb.294:
	scratch_load_b64 v[3:4], off, off offset:192
	v_mov_b32_e32 v2, v1
	scratch_store_b64 off, v[1:2], off offset:192
	s_wait_loadcnt 0x0
	ds_store_b64 v137, v[3:4]
.LBB54_295:
	s_wait_alu 0xfffe
	s_or_b32 exec_lo, exec_lo, s0
	s_wait_storecnt_dscnt 0x0
	s_barrier_signal -1
	s_barrier_wait -1
	global_inv scope:SCOPE_SE
	s_clause 0x4
	scratch_load_b128 v[2:5], off, off offset:200
	scratch_load_b128 v[6:9], off, off offset:216
	;; [unrolled: 1-line block ×5, first 2 shown]
	ds_load_2addr_b64 v[138:141], v1 offset0:81 offset1:82
	ds_load_2addr_b64 v[142:145], v1 offset0:83 offset1:84
	;; [unrolled: 1-line block ×3, first 2 shown]
	scratch_load_b64 v[22:23], off, off offset:192
	s_mov_b32 s0, exec_lo
	s_wait_loadcnt_dscnt 0x502
	v_mul_f32_e32 v24, v139, v3
	v_dual_mul_f32 v135, v138, v3 :: v_dual_mul_f32 v136, v140, v5
	v_mul_f32_e32 v3, v141, v5
	s_wait_loadcnt_dscnt 0x300
	v_mul_f32_e32 v150, v148, v13
	v_fma_f32 v24, v138, v2, -v24
	v_dual_fmac_f32 v135, v139, v2 :: v_dual_fmac_f32 v136, v141, v4
	v_fma_f32 v138, v140, v4, -v3
	ds_load_2addr_b64 v[2:5], v1 offset0:87 offset1:88
	v_dual_mul_f32 v139, v142, v7 :: v_dual_mul_f32 v140, v144, v9
	v_mul_f32_e32 v7, v143, v7
	v_mul_f32_e32 v9, v145, v9
	;; [unrolled: 1-line block ×3, first 2 shown]
	v_dual_mul_f32 v11, v147, v11 :: v_dual_fmac_f32 v150, v149, v12
	v_mul_f32_e32 v13, v149, v13
	v_fmac_f32_e32 v139, v143, v6
	v_fma_f32 v142, v142, v6, -v7
	v_fmac_f32_e32 v140, v145, v8
	v_fma_f32 v143, v144, v8, -v9
	scratch_load_b128 v[6:9], off, off offset:280
	v_fmac_f32_e32 v141, v147, v10
	v_fma_f32 v144, v146, v10, -v11
	v_fma_f32 v145, v148, v12, -v13
	ds_load_2addr_b64 v[10:13], v1 offset0:89 offset1:90
	s_wait_loadcnt_dscnt 0x301
	v_mul_f32_e32 v146, v2, v15
	v_mul_f32_e32 v15, v3, v15
	;; [unrolled: 1-line block ×3, first 2 shown]
	s_delay_alu instid0(VALU_DEP_3) | instskip(NEXT) | instid1(VALU_DEP_3)
	v_dual_mul_f32 v17, v5, v17 :: v_dual_fmac_f32 v146, v3, v14
	v_fma_f32 v14, v2, v14, -v15
	s_delay_alu instid0(VALU_DEP_3) | instskip(NEXT) | instid1(VALU_DEP_3)
	v_fmac_f32_e32 v147, v5, v16
	v_fma_f32 v15, v4, v16, -v17
	ds_load_2addr_b64 v[2:5], v1 offset0:91 offset1:92
	s_wait_loadcnt_dscnt 0x201
	v_mul_f32_e32 v16, v10, v19
	v_mul_f32_e32 v17, v11, v19
	;; [unrolled: 1-line block ×3, first 2 shown]
	s_delay_alu instid0(VALU_DEP_3) | instskip(NEXT) | instid1(VALU_DEP_3)
	v_dual_mul_f32 v21, v13, v21 :: v_dual_fmac_f32 v16, v11, v18
	v_fma_f32 v17, v10, v18, -v17
	s_delay_alu instid0(VALU_DEP_3) | instskip(NEXT) | instid1(VALU_DEP_3)
	v_fmac_f32_e32 v19, v13, v20
	v_fma_f32 v18, v12, v20, -v21
	scratch_load_b128 v[10:13], off, off offset:296
	s_wait_loadcnt_dscnt 0x100
	v_mul_f32_e32 v20, v2, v7
	v_mul_f32_e32 v7, v3, v7
	;; [unrolled: 1-line block ×3, first 2 shown]
	s_delay_alu instid0(VALU_DEP_3) | instskip(NEXT) | instid1(VALU_DEP_3)
	v_dual_mul_f32 v9, v5, v9 :: v_dual_fmac_f32 v20, v3, v6
	v_fma_f32 v148, v2, v6, -v7
	s_delay_alu instid0(VALU_DEP_3) | instskip(NEXT) | instid1(VALU_DEP_3)
	v_fmac_f32_e32 v21, v5, v8
	v_fma_f32 v149, v4, v8, -v9
	ds_load_2addr_b64 v[2:5], v1 offset0:93 offset1:94
	ds_load_2addr_b64 v[6:9], v1 offset0:95 offset1:96
	s_wait_loadcnt_dscnt 0x1
	v_mul_f32_e32 v151, v2, v11
	v_dual_mul_f32 v11, v3, v11 :: v_dual_mul_f32 v152, v4, v13
	s_delay_alu instid0(VALU_DEP_2) | instskip(NEXT) | instid1(VALU_DEP_2)
	v_fmac_f32_e32 v151, v3, v10
	v_fma_f32 v153, v2, v10, -v11
	v_mul_f32_e32 v2, v5, v13
	s_delay_alu instid0(VALU_DEP_4) | instskip(NEXT) | instid1(VALU_DEP_2)
	v_fmac_f32_e32 v152, v5, v12
	v_fma_f32 v154, v4, v12, -v2
	s_clause 0x1
	scratch_load_b128 v[2:5], off, off offset:312
	scratch_load_b128 v[10:13], off, off offset:328
	s_wait_loadcnt_dscnt 0x100
	v_mul_f32_e32 v155, v6, v3
	v_mul_f32_e32 v3, v7, v3
	;; [unrolled: 1-line block ×3, first 2 shown]
	s_delay_alu instid0(VALU_DEP_3) | instskip(NEXT) | instid1(VALU_DEP_3)
	v_fmac_f32_e32 v155, v7, v2
	v_fma_f32 v156, v6, v2, -v3
	v_mul_f32_e32 v2, v9, v5
	s_delay_alu instid0(VALU_DEP_4) | instskip(NEXT) | instid1(VALU_DEP_2)
	v_fmac_f32_e32 v157, v9, v4
	v_fma_f32 v158, v8, v4, -v2
	ds_load_2addr_b64 v[2:5], v1 offset0:97 offset1:98
	ds_load_2addr_b64 v[6:9], v1 offset0:99 offset1:100
	s_wait_loadcnt_dscnt 0x1
	v_mul_f32_e32 v159, v2, v11
	v_mul_f32_e32 v161, v4, v13
	s_delay_alu instid0(VALU_DEP_2) | instskip(SKIP_1) | instid1(VALU_DEP_3)
	v_fmac_f32_e32 v159, v3, v10
	v_mul_f32_e32 v3, v3, v11
	v_fmac_f32_e32 v161, v5, v12
	s_delay_alu instid0(VALU_DEP_2) | instskip(SKIP_1) | instid1(VALU_DEP_1)
	v_fma_f32 v160, v2, v10, -v3
	v_mul_f32_e32 v2, v5, v13
	v_fma_f32 v162, v4, v12, -v2
	s_clause 0x1
	scratch_load_b128 v[2:5], off, off offset:344
	scratch_load_b128 v[10:13], off, off offset:360
	s_wait_loadcnt_dscnt 0x100
	v_mul_f32_e32 v163, v6, v3
	v_mul_f32_e32 v3, v7, v3
	s_delay_alu instid0(VALU_DEP_2) | instskip(NEXT) | instid1(VALU_DEP_2)
	v_fmac_f32_e32 v163, v7, v2
	v_fma_f32 v164, v6, v2, -v3
	v_dual_mul_f32 v2, v9, v5 :: v_dual_add_f32 v3, 0, v135
	s_delay_alu instid0(VALU_DEP_1) | instskip(SKIP_1) | instid1(VALU_DEP_1)
	v_fma_f32 v166, v8, v4, -v2
	v_add_f32_e32 v2, 0, v24
	v_dual_add_f32 v3, v3, v136 :: v_dual_add_f32 v2, v2, v138
	s_delay_alu instid0(VALU_DEP_1) | instskip(NEXT) | instid1(VALU_DEP_1)
	v_dual_add_f32 v3, v3, v139 :: v_dual_add_f32 v2, v2, v142
	v_dual_add_f32 v3, v3, v140 :: v_dual_add_f32 v2, v2, v143
	s_delay_alu instid0(VALU_DEP_1) | instskip(NEXT) | instid1(VALU_DEP_1)
	v_dual_add_f32 v3, v3, v141 :: v_dual_add_f32 v2, v2, v144
	v_add_f32_e32 v6, v3, v150
	s_delay_alu instid0(VALU_DEP_2) | instskip(NEXT) | instid1(VALU_DEP_1)
	v_add_f32_e32 v2, v2, v145
	v_add_f32_e32 v7, v2, v14
	s_delay_alu instid0(VALU_DEP_1) | instskip(NEXT) | instid1(VALU_DEP_1)
	v_dual_add_f32 v14, v6, v146 :: v_dual_add_f32 v15, v7, v15
	v_dual_add_f32 v14, v14, v147 :: v_dual_add_f32 v15, v15, v17
	s_delay_alu instid0(VALU_DEP_1) | instskip(NEXT) | instid1(VALU_DEP_1)
	v_add_f32_e32 v14, v14, v16
	v_dual_add_f32 v18, v15, v18 :: v_dual_add_f32 v19, v14, v19
	ds_load_2addr_b64 v[14:17], v1 offset0:103 offset1:104
	v_add_f32_e32 v18, v18, v148
	s_delay_alu instid0(VALU_DEP_1) | instskip(NEXT) | instid1(VALU_DEP_1)
	v_dual_add_f32 v19, v19, v20 :: v_dual_add_f32 v18, v18, v149
	v_add_f32_e32 v19, v19, v21
	s_delay_alu instid0(VALU_DEP_2) | instskip(NEXT) | instid1(VALU_DEP_1)
	v_add_f32_e32 v18, v18, v153
	v_dual_add_f32 v138, v19, v151 :: v_dual_add_f32 v139, v18, v154
	s_delay_alu instid0(VALU_DEP_1)
	v_dual_add_f32 v138, v138, v152 :: v_dual_mul_f32 v165, v8, v5
	scratch_load_b128 v[18:21], off, off offset:424
	v_dual_add_f32 v139, v139, v156 :: v_dual_add_f32 v138, v138, v155
	v_fmac_f32_e32 v165, v9, v4
	scratch_load_b128 v[6:9], off, off offset:376
	ds_load_2addr_b64 v[2:5], v1 offset0:101 offset1:102
	s_wait_loadcnt_dscnt 0x200
	v_dual_add_f32 v139, v139, v158 :: v_dual_mul_f32 v24, v2, v11
	v_mul_f32_e32 v11, v3, v11
	v_mul_f32_e32 v135, v4, v13
	s_delay_alu instid0(VALU_DEP_3) | instskip(NEXT) | instid1(VALU_DEP_3)
	v_dual_mul_f32 v13, v5, v13 :: v_dual_fmac_f32 v24, v3, v10
	v_fma_f32 v136, v2, v10, -v11
	s_delay_alu instid0(VALU_DEP_3) | instskip(NEXT) | instid1(VALU_DEP_3)
	v_fmac_f32_e32 v135, v5, v12
	v_fma_f32 v142, v4, v12, -v13
	s_clause 0x1
	scratch_load_b128 v[2:5], off, off offset:392
	scratch_load_b128 v[10:13], off, off offset:408
	s_wait_loadcnt 0x2
	v_mul_f32_e32 v143, v14, v7
	v_dual_mul_f32 v7, v15, v7 :: v_dual_mul_f32 v144, v16, v9
	v_mul_f32_e32 v9, v17, v9
	s_delay_alu instid0(VALU_DEP_3) | instskip(NEXT) | instid1(VALU_DEP_3)
	v_fmac_f32_e32 v143, v15, v6
	v_fma_f32 v145, v14, v6, -v7
	v_add_f32_e32 v14, v138, v157
	v_add_f32_e32 v138, v139, v160
	v_fmac_f32_e32 v144, v17, v8
	v_fma_f32 v146, v16, v8, -v9
	ds_load_2addr_b64 v[6:9], v1 offset0:105 offset1:106
	v_add_f32_e32 v139, v14, v159
	v_add_f32_e32 v147, v138, v162
	ds_load_2addr_b64 v[14:17], v1 offset0:107 offset1:108
	v_add_f32_e32 v148, v139, v161
	ds_load_2addr_b64 v[138:141], v1 offset0:109 offset1:110
	v_add_f32_e32 v1, v147, v164
	v_add_f32_e32 v147, v148, v163
	s_delay_alu instid0(VALU_DEP_2) | instskip(NEXT) | instid1(VALU_DEP_2)
	v_add_f32_e32 v1, v1, v166
	v_add_f32_e32 v147, v147, v165
	s_wait_loadcnt_dscnt 0x102
	s_delay_alu instid0(VALU_DEP_2) | instskip(SKIP_1) | instid1(VALU_DEP_2)
	v_dual_add_f32 v1, v1, v136 :: v_dual_mul_f32 v148, v6, v3
	v_dual_mul_f32 v3, v7, v3 :: v_dual_mul_f32 v136, v8, v5
	v_add_f32_e32 v1, v1, v142
	v_dual_mul_f32 v5, v9, v5 :: v_dual_add_f32 v24, v147, v24
	s_delay_alu instid0(VALU_DEP_3) | instskip(NEXT) | instid1(VALU_DEP_4)
	v_fma_f32 v3, v6, v2, -v3
	v_fmac_f32_e32 v136, v9, v4
	s_delay_alu instid0(VALU_DEP_4) | instskip(NEXT) | instid1(VALU_DEP_4)
	v_add_f32_e32 v1, v1, v145
	v_fma_f32 v4, v8, v4, -v5
	s_wait_loadcnt_dscnt 0x1
	v_dual_fmac_f32 v148, v7, v2 :: v_dual_mul_f32 v147, v14, v11
	s_delay_alu instid0(VALU_DEP_3) | instskip(SKIP_2) | instid1(VALU_DEP_3)
	v_dual_mul_f32 v6, v15, v11 :: v_dual_add_f32 v1, v1, v146
	v_mul_f32_e32 v149, v16, v13
	s_wait_dscnt 0x0
	v_dual_mul_f32 v142, v140, v21 :: v_dual_fmac_f32 v147, v15, v10
	s_delay_alu instid0(VALU_DEP_3) | instskip(SKIP_4) | instid1(VALU_DEP_4)
	v_fma_f32 v5, v14, v10, -v6
	v_add_f32_e32 v1, v1, v3
	v_mul_f32_e32 v3, v17, v13
	v_fmac_f32_e32 v149, v17, v12
	v_fmac_f32_e32 v142, v141, v20
	v_dual_add_f32 v1, v1, v4 :: v_dual_mul_f32 v4, v139, v19
	v_add_f32_e32 v24, v24, v135
	v_mul_f32_e32 v135, v138, v19
	v_fma_f32 v3, v16, v12, -v3
	s_delay_alu instid0(VALU_DEP_4) | instskip(NEXT) | instid1(VALU_DEP_4)
	v_add_f32_e32 v1, v1, v5
	v_dual_mul_f32 v5, v141, v21 :: v_dual_add_f32 v24, v24, v143
	s_delay_alu instid0(VALU_DEP_4) | instskip(SKIP_1) | instid1(VALU_DEP_4)
	v_fmac_f32_e32 v135, v139, v18
	v_fma_f32 v4, v138, v18, -v4
	v_add_f32_e32 v1, v1, v3
	s_delay_alu instid0(VALU_DEP_4) | instskip(SKIP_1) | instid1(VALU_DEP_3)
	v_fma_f32 v3, v140, v20, -v5
	v_add_f32_e32 v2, v24, v144
	v_add_f32_e32 v1, v1, v4
	s_delay_alu instid0(VALU_DEP_1) | instskip(NEXT) | instid1(VALU_DEP_1)
	v_dual_add_f32 v2, v2, v148 :: v_dual_add_f32 v1, v1, v3
	v_add_f32_e32 v2, v2, v136
	s_delay_alu instid0(VALU_DEP_2) | instskip(NEXT) | instid1(VALU_DEP_2)
	v_sub_f32_e32 v1, v22, v1
	v_add_f32_e32 v2, v2, v147
	s_delay_alu instid0(VALU_DEP_1) | instskip(NEXT) | instid1(VALU_DEP_1)
	v_add_f32_e32 v2, v2, v149
	v_add_f32_e32 v2, v2, v135
	s_delay_alu instid0(VALU_DEP_1) | instskip(NEXT) | instid1(VALU_DEP_1)
	v_add_f32_e32 v2, v2, v142
	v_sub_f32_e32 v2, v23, v2
	scratch_store_b64 off, v[1:2], off offset:192
	v_cmpx_lt_u32_e32 23, v0
	s_cbranch_execz .LBB54_297
; %bb.296:
	scratch_load_b64 v[1:2], off, off offset:184
	v_mov_b32_e32 v3, 0
	s_delay_alu instid0(VALU_DEP_1)
	v_mov_b32_e32 v4, v3
	scratch_store_b64 off, v[3:4], off offset:184
	s_wait_loadcnt 0x0
	ds_store_b64 v137, v[1:2]
.LBB54_297:
	s_wait_alu 0xfffe
	s_or_b32 exec_lo, exec_lo, s0
	s_wait_storecnt_dscnt 0x0
	s_barrier_signal -1
	s_barrier_wait -1
	global_inv scope:SCOPE_SE
	s_clause 0x4
	scratch_load_b128 v[5:8], off, off offset:192
	scratch_load_b128 v[1:4], off, off offset:208
	;; [unrolled: 1-line block ×5, first 2 shown]
	v_mov_b32_e32 v21, 0
	ds_load_b128 v[138:141], v21 offset:640
	ds_load_b128 v[142:145], v21 offset:656
	;; [unrolled: 1-line block ×3, first 2 shown]
	scratch_load_b64 v[22:23], off, off offset:184
	s_mov_b32 s0, exec_lo
	s_wait_loadcnt_dscnt 0x502
	v_mul_f32_e32 v24, v139, v6
	v_dual_mul_f32 v135, v138, v6 :: v_dual_mul_f32 v136, v140, v8
	v_mul_f32_e32 v6, v141, v8
	s_delay_alu instid0(VALU_DEP_3) | instskip(NEXT) | instid1(VALU_DEP_3)
	v_fma_f32 v24, v138, v5, -v24
	v_dual_fmac_f32 v135, v139, v5 :: v_dual_fmac_f32 v136, v141, v7
	s_wait_loadcnt_dscnt 0x401
	v_mul_f32_e32 v139, v142, v2
	v_fma_f32 v138, v140, v7, -v6
	ds_load_b128 v[5:8], v21 offset:688
	s_wait_loadcnt_dscnt 0x301
	v_dual_mul_f32 v140, v144, v4 :: v_dual_mul_f32 v141, v146, v10
	v_dual_mul_f32 v4, v145, v4 :: v_dual_fmac_f32 v139, v143, v1
	v_mul_f32_e32 v10, v147, v10
	s_delay_alu instid0(VALU_DEP_3)
	v_dual_mul_f32 v150, v148, v12 :: v_dual_fmac_f32 v141, v147, v9
	v_mul_f32_e32 v12, v149, v12
	v_mul_f32_e32 v2, v143, v2
	v_fmac_f32_e32 v140, v145, v3
	v_fma_f32 v143, v144, v3, -v4
	v_fma_f32 v144, v146, v9, -v10
	v_fmac_f32_e32 v150, v149, v11
	v_fma_f32 v145, v148, v11, -v12
	ds_load_b128 v[9:12], v21 offset:704
	s_wait_loadcnt_dscnt 0x201
	v_dual_mul_f32 v147, v7, v16 :: v_dual_mul_f32 v146, v5, v14
	v_mul_f32_e32 v14, v6, v14
	v_mul_f32_e32 v16, v8, v16
	s_delay_alu instid0(VALU_DEP_3)
	v_fmac_f32_e32 v147, v8, v15
	v_fma_f32 v142, v142, v1, -v2
	scratch_load_b128 v[1:4], off, off offset:272
	v_fmac_f32_e32 v146, v6, v13
	v_fma_f32 v13, v5, v13, -v14
	v_fma_f32 v14, v7, v15, -v16
	ds_load_b128 v[5:8], v21 offset:720
	s_wait_loadcnt_dscnt 0x201
	v_mul_f32_e32 v15, v9, v18
	v_mul_f32_e32 v16, v10, v18
	;; [unrolled: 1-line block ×3, first 2 shown]
	s_delay_alu instid0(VALU_DEP_3) | instskip(NEXT) | instid1(VALU_DEP_3)
	v_dual_mul_f32 v20, v12, v20 :: v_dual_fmac_f32 v15, v10, v17
	v_fma_f32 v16, v9, v17, -v16
	s_delay_alu instid0(VALU_DEP_3) | instskip(NEXT) | instid1(VALU_DEP_3)
	v_fmac_f32_e32 v18, v12, v19
	v_fma_f32 v17, v11, v19, -v20
	scratch_load_b128 v[9:12], off, off offset:288
	s_wait_loadcnt_dscnt 0x100
	v_mul_f32_e32 v19, v5, v2
	v_mul_f32_e32 v2, v6, v2
	;; [unrolled: 1-line block ×3, first 2 shown]
	s_delay_alu instid0(VALU_DEP_3) | instskip(NEXT) | instid1(VALU_DEP_3)
	v_dual_mul_f32 v4, v8, v4 :: v_dual_fmac_f32 v19, v6, v1
	v_fma_f32 v148, v5, v1, -v2
	s_delay_alu instid0(VALU_DEP_3) | instskip(NEXT) | instid1(VALU_DEP_3)
	v_fmac_f32_e32 v20, v8, v3
	v_fma_f32 v149, v7, v3, -v4
	ds_load_b128 v[1:4], v21 offset:736
	ds_load_b128 v[5:8], v21 offset:752
	s_wait_loadcnt_dscnt 0x1
	v_mul_f32_e32 v151, v1, v10
	v_mul_f32_e32 v10, v2, v10
	s_delay_alu instid0(VALU_DEP_2) | instskip(NEXT) | instid1(VALU_DEP_2)
	v_dual_mul_f32 v152, v3, v12 :: v_dual_fmac_f32 v151, v2, v9
	v_fma_f32 v153, v1, v9, -v10
	v_mul_f32_e32 v1, v4, v12
	s_delay_alu instid0(VALU_DEP_3) | instskip(NEXT) | instid1(VALU_DEP_2)
	v_fmac_f32_e32 v152, v4, v11
	v_fma_f32 v154, v3, v11, -v1
	s_clause 0x1
	scratch_load_b128 v[1:4], off, off offset:304
	scratch_load_b128 v[9:12], off, off offset:320
	s_wait_loadcnt_dscnt 0x100
	v_mul_f32_e32 v155, v5, v2
	v_dual_mul_f32 v2, v6, v2 :: v_dual_mul_f32 v157, v7, v4
	s_delay_alu instid0(VALU_DEP_2) | instskip(NEXT) | instid1(VALU_DEP_2)
	v_fmac_f32_e32 v155, v6, v1
	v_fma_f32 v156, v5, v1, -v2
	v_mul_f32_e32 v1, v8, v4
	s_delay_alu instid0(VALU_DEP_4) | instskip(NEXT) | instid1(VALU_DEP_2)
	v_fmac_f32_e32 v157, v8, v3
	v_fma_f32 v158, v7, v3, -v1
	ds_load_b128 v[1:4], v21 offset:768
	ds_load_b128 v[5:8], v21 offset:784
	s_wait_loadcnt_dscnt 0x1
	v_mul_f32_e32 v159, v1, v10
	v_mul_f32_e32 v161, v3, v12
	s_delay_alu instid0(VALU_DEP_2) | instskip(NEXT) | instid1(VALU_DEP_2)
	v_fmac_f32_e32 v159, v2, v9
	v_dual_mul_f32 v2, v2, v10 :: v_dual_fmac_f32 v161, v4, v11
	s_delay_alu instid0(VALU_DEP_1) | instskip(SKIP_1) | instid1(VALU_DEP_1)
	v_fma_f32 v160, v1, v9, -v2
	v_mul_f32_e32 v1, v4, v12
	v_fma_f32 v162, v3, v11, -v1
	s_clause 0x1
	scratch_load_b128 v[1:4], off, off offset:336
	scratch_load_b128 v[9:12], off, off offset:352
	s_wait_loadcnt_dscnt 0x100
	v_mul_f32_e32 v163, v5, v2
	v_dual_mul_f32 v165, v7, v4 :: v_dual_mul_f32 v2, v6, v2
	s_delay_alu instid0(VALU_DEP_2) | instskip(NEXT) | instid1(VALU_DEP_2)
	v_fmac_f32_e32 v163, v6, v1
	v_fmac_f32_e32 v165, v8, v3
	s_delay_alu instid0(VALU_DEP_3) | instskip(SKIP_1) | instid1(VALU_DEP_1)
	v_fma_f32 v164, v5, v1, -v2
	v_dual_mul_f32 v1, v8, v4 :: v_dual_add_f32 v2, 0, v135
	v_fma_f32 v166, v7, v3, -v1
	s_delay_alu instid0(VALU_DEP_2) | instskip(NEXT) | instid1(VALU_DEP_1)
	v_add_f32_e32 v2, v2, v136
	v_dual_add_f32 v1, 0, v24 :: v_dual_add_f32 v2, v2, v139
	s_delay_alu instid0(VALU_DEP_1) | instskip(NEXT) | instid1(VALU_DEP_1)
	v_dual_add_f32 v1, v1, v138 :: v_dual_add_f32 v2, v2, v140
	v_dual_add_f32 v1, v1, v142 :: v_dual_add_f32 v2, v2, v141
	s_delay_alu instid0(VALU_DEP_1) | instskip(NEXT) | instid1(VALU_DEP_1)
	v_add_f32_e32 v1, v1, v143
	v_add_f32_e32 v1, v1, v144
	s_delay_alu instid0(VALU_DEP_1) | instskip(NEXT) | instid1(VALU_DEP_1)
	v_add_f32_e32 v1, v1, v145
	v_dual_add_f32 v5, v2, v150 :: v_dual_add_f32 v6, v1, v13
	scratch_load_b128 v[1:4], off, off offset:368
	v_add_f32_e32 v13, v5, v146
	v_add_f32_e32 v14, v6, v14
	ds_load_b128 v[5:8], v21 offset:800
	v_dual_add_f32 v13, v13, v147 :: v_dual_add_f32 v14, v14, v16
	s_delay_alu instid0(VALU_DEP_1) | instskip(NEXT) | instid1(VALU_DEP_1)
	v_add_f32_e32 v13, v13, v15
	v_dual_add_f32 v17, v14, v17 :: v_dual_add_f32 v18, v13, v18
	ds_load_b128 v[13:16], v21 offset:816
	v_add_f32_e32 v18, v18, v19
	s_wait_loadcnt_dscnt 0x101
	v_mul_f32_e32 v144, v7, v12
	s_delay_alu instid0(VALU_DEP_2) | instskip(SKIP_2) | instid1(VALU_DEP_3)
	v_add_f32_e32 v18, v18, v20
	v_mul_f32_e32 v24, v5, v10
	v_mul_f32_e32 v10, v6, v10
	v_dual_mul_f32 v12, v8, v12 :: v_dual_add_f32 v135, v18, v151
	s_delay_alu instid0(VALU_DEP_3) | instskip(NEXT) | instid1(VALU_DEP_3)
	v_dual_add_f32 v17, v17, v148 :: v_dual_fmac_f32 v24, v6, v9
	v_fma_f32 v145, v5, v9, -v10
	s_delay_alu instid0(VALU_DEP_3) | instskip(NEXT) | instid1(VALU_DEP_3)
	v_fma_f32 v146, v7, v11, -v12
	v_dual_add_f32 v17, v17, v149 :: v_dual_fmac_f32 v144, v8, v11
	s_clause 0x1
	scratch_load_b128 v[5:8], off, off offset:384
	scratch_load_b128 v[9:12], off, off offset:400
	v_dual_add_f32 v138, v135, v152 :: v_dual_add_f32 v17, v17, v153
	s_delay_alu instid0(VALU_DEP_1)
	v_add_f32_e32 v136, v17, v154
	scratch_load_b128 v[17:20], off, off offset:416
	s_wait_loadcnt_dscnt 0x300
	v_mul_f32_e32 v147, v13, v2
	v_dual_add_f32 v139, v136, v156 :: v_dual_add_f32 v138, v138, v155
	scratch_load_b64 v[135:136], off, off offset:432
	v_mul_f32_e32 v2, v14, v2
	v_dual_mul_f32 v148, v15, v4 :: v_dual_fmac_f32 v147, v14, v1
	v_dual_add_f32 v139, v139, v158 :: v_dual_mul_f32 v4, v16, v4
	s_delay_alu instid0(VALU_DEP_1) | instskip(NEXT) | instid1(VALU_DEP_2)
	v_add_f32_e32 v139, v139, v160
	v_fma_f32 v150, v15, v3, -v4
	s_delay_alu instid0(VALU_DEP_2) | instskip(NEXT) | instid1(VALU_DEP_1)
	v_add_f32_e32 v14, v139, v162
	v_add_f32_e32 v142, v14, v164
	s_delay_alu instid0(VALU_DEP_1) | instskip(NEXT) | instid1(VALU_DEP_1)
	v_dual_fmac_f32 v148, v16, v3 :: v_dual_add_f32 v151, v142, v166
	v_add_f32_e32 v145, v151, v145
	v_fma_f32 v149, v13, v1, -v2
	ds_load_b128 v[1:4], v21 offset:832
	v_dual_add_f32 v138, v138, v157 :: v_dual_add_f32 v145, v145, v146
	s_delay_alu instid0(VALU_DEP_1) | instskip(NEXT) | instid1(VALU_DEP_2)
	v_add_f32_e32 v13, v138, v159
	v_add_f32_e32 v145, v145, v149
	s_delay_alu instid0(VALU_DEP_2)
	v_add_f32_e32 v138, v13, v161
	ds_load_b128 v[13:16], v21 offset:848
	v_add_f32_e32 v145, v145, v150
	v_add_f32_e32 v143, v138, v163
	ds_load_b128 v[138:141], v21 offset:864
	s_wait_loadcnt_dscnt 0x302
	v_dual_mul_f32 v151, v1, v6 :: v_dual_add_f32 v152, v143, v165
	ds_load_b64 v[142:143], v21 offset:880
	v_mul_f32_e32 v6, v2, v6
	v_fmac_f32_e32 v151, v2, v5
	s_delay_alu instid0(VALU_DEP_2) | instskip(SKIP_2) | instid1(VALU_DEP_2)
	v_fma_f32 v1, v1, v5, -v6
	s_wait_loadcnt_dscnt 0x202
	v_dual_mul_f32 v146, v13, v10 :: v_dual_mul_f32 v5, v16, v12
	v_add_f32_e32 v1, v145, v1
	s_wait_loadcnt_dscnt 0x101
	v_dual_mul_f32 v149, v138, v18 :: v_dual_add_f32 v24, v152, v24
	s_delay_alu instid0(VALU_DEP_3) | instskip(SKIP_1) | instid1(VALU_DEP_3)
	v_fma_f32 v5, v15, v11, -v5
	v_fmac_f32_e32 v146, v14, v9
	v_dual_fmac_f32 v149, v139, v17 :: v_dual_add_f32 v24, v24, v144
	v_mul_f32_e32 v144, v3, v8
	v_mul_f32_e32 v8, v4, v8
	s_delay_alu instid0(VALU_DEP_1) | instskip(NEXT) | instid1(VALU_DEP_4)
	v_fma_f32 v2, v3, v7, -v8
	v_dual_add_f32 v24, v24, v147 :: v_dual_mul_f32 v3, v14, v10
	s_delay_alu instid0(VALU_DEP_4) | instskip(NEXT) | instid1(VALU_DEP_2)
	v_dual_fmac_f32 v144, v4, v7 :: v_dual_mul_f32 v147, v15, v12
	v_dual_add_f32 v1, v1, v2 :: v_dual_add_f32 v24, v24, v148
	s_delay_alu instid0(VALU_DEP_3) | instskip(SKIP_1) | instid1(VALU_DEP_4)
	v_fma_f32 v3, v13, v9, -v3
	v_mul_f32_e32 v150, v140, v20
	v_fmac_f32_e32 v147, v16, v11
	s_delay_alu instid0(VALU_DEP_3) | instskip(SKIP_1) | instid1(VALU_DEP_4)
	v_add_f32_e32 v1, v1, v3
	v_dual_add_f32 v4, v24, v151 :: v_dual_mul_f32 v3, v141, v20
	v_fmac_f32_e32 v150, v141, v19
	s_delay_alu instid0(VALU_DEP_3) | instskip(NEXT) | instid1(VALU_DEP_3)
	v_add_f32_e32 v1, v1, v5
	v_fma_f32 v3, v140, v19, -v3
	s_delay_alu instid0(VALU_DEP_4) | instskip(SKIP_1) | instid1(VALU_DEP_1)
	v_add_f32_e32 v2, v4, v144
	v_mul_f32_e32 v4, v139, v18
	v_fma_f32 v4, v138, v17, -v4
	s_delay_alu instid0(VALU_DEP_1) | instskip(NEXT) | instid1(VALU_DEP_1)
	v_add_f32_e32 v1, v1, v4
	v_add_f32_e32 v1, v1, v3
	s_wait_loadcnt_dscnt 0x0
	v_mul_f32_e32 v5, v143, v136
	v_mul_f32_e32 v148, v142, v136
	s_delay_alu instid0(VALU_DEP_2) | instskip(SKIP_1) | instid1(VALU_DEP_2)
	v_fma_f32 v4, v142, v135, -v5
	v_add_f32_e32 v2, v2, v146
	v_dual_fmac_f32 v148, v143, v135 :: v_dual_add_f32 v1, v1, v4
	s_delay_alu instid0(VALU_DEP_2) | instskip(NEXT) | instid1(VALU_DEP_2)
	v_add_f32_e32 v2, v2, v147
	v_sub_f32_e32 v1, v22, v1
	s_delay_alu instid0(VALU_DEP_2) | instskip(NEXT) | instid1(VALU_DEP_1)
	v_add_f32_e32 v2, v2, v149
	v_add_f32_e32 v2, v2, v150
	s_delay_alu instid0(VALU_DEP_1) | instskip(NEXT) | instid1(VALU_DEP_1)
	v_add_f32_e32 v2, v2, v148
	v_sub_f32_e32 v2, v23, v2
	scratch_store_b64 off, v[1:2], off offset:184
	v_cmpx_lt_u32_e32 22, v0
	s_cbranch_execz .LBB54_299
; %bb.298:
	scratch_load_b64 v[1:2], off, off offset:176
	v_mov_b32_e32 v22, v21
	scratch_store_b64 off, v[21:22], off offset:176
	s_wait_loadcnt 0x0
	ds_store_b64 v137, v[1:2]
.LBB54_299:
	s_wait_alu 0xfffe
	s_or_b32 exec_lo, exec_lo, s0
	s_wait_storecnt_dscnt 0x0
	s_barrier_signal -1
	s_barrier_wait -1
	global_inv scope:SCOPE_SE
	s_clause 0x4
	scratch_load_b128 v[5:8], off, off offset:184
	scratch_load_b128 v[1:4], off, off offset:200
	;; [unrolled: 1-line block ×5, first 2 shown]
	ds_load_2addr_b64 v[138:141], v21 offset0:79 offset1:80
	ds_load_2addr_b64 v[142:145], v21 offset0:81 offset1:82
	;; [unrolled: 1-line block ×3, first 2 shown]
	scratch_load_b64 v[135:136], off, off offset:176
	s_mov_b32 s0, exec_lo
	s_wait_loadcnt_dscnt 0x502
	v_mul_f32_e32 v22, v139, v6
	v_dual_mul_f32 v23, v138, v6 :: v_dual_mul_f32 v24, v140, v8
	v_mul_f32_e32 v6, v141, v8
	s_delay_alu instid0(VALU_DEP_3) | instskip(NEXT) | instid1(VALU_DEP_3)
	v_fma_f32 v22, v138, v5, -v22
	v_dual_fmac_f32 v23, v139, v5 :: v_dual_fmac_f32 v24, v141, v7
	s_wait_loadcnt_dscnt 0x401
	v_mul_f32_e32 v139, v142, v2
	v_fma_f32 v138, v140, v7, -v6
	ds_load_2addr_b64 v[5:8], v21 offset0:85 offset1:86
	s_wait_loadcnt_dscnt 0x301
	v_dual_mul_f32 v140, v144, v4 :: v_dual_mul_f32 v141, v146, v10
	v_dual_mul_f32 v4, v145, v4 :: v_dual_fmac_f32 v139, v143, v1
	v_mul_f32_e32 v10, v147, v10
	s_delay_alu instid0(VALU_DEP_3)
	v_dual_mul_f32 v150, v148, v12 :: v_dual_fmac_f32 v141, v147, v9
	v_mul_f32_e32 v12, v149, v12
	v_mul_f32_e32 v2, v143, v2
	v_fmac_f32_e32 v140, v145, v3
	v_fma_f32 v143, v144, v3, -v4
	v_fma_f32 v144, v146, v9, -v10
	v_fmac_f32_e32 v150, v149, v11
	v_fma_f32 v145, v148, v11, -v12
	ds_load_2addr_b64 v[9:12], v21 offset0:87 offset1:88
	s_wait_loadcnt_dscnt 0x201
	v_mul_f32_e32 v146, v5, v14
	v_dual_mul_f32 v14, v6, v14 :: v_dual_mul_f32 v147, v7, v16
	v_mul_f32_e32 v16, v8, v16
	s_delay_alu instid0(VALU_DEP_3) | instskip(NEXT) | instid1(VALU_DEP_3)
	v_fmac_f32_e32 v146, v6, v13
	v_fma_f32 v13, v5, v13, -v14
	s_delay_alu instid0(VALU_DEP_4) | instskip(NEXT) | instid1(VALU_DEP_4)
	v_fmac_f32_e32 v147, v8, v15
	v_fma_f32 v14, v7, v15, -v16
	ds_load_2addr_b64 v[5:8], v21 offset0:89 offset1:90
	s_wait_loadcnt_dscnt 0x101
	v_mul_f32_e32 v15, v9, v18
	v_mul_f32_e32 v16, v10, v18
	;; [unrolled: 1-line block ×3, first 2 shown]
	s_delay_alu instid0(VALU_DEP_3)
	v_dual_mul_f32 v20, v12, v20 :: v_dual_fmac_f32 v15, v10, v17
	v_fma_f32 v142, v142, v1, -v2
	scratch_load_b128 v[1:4], off, off offset:264
	v_fma_f32 v16, v9, v17, -v16
	v_fmac_f32_e32 v18, v12, v19
	v_fma_f32 v17, v11, v19, -v20
	scratch_load_b128 v[9:12], off, off offset:280
	s_wait_loadcnt_dscnt 0x100
	v_mul_f32_e32 v19, v5, v2
	v_mul_f32_e32 v2, v6, v2
	;; [unrolled: 1-line block ×3, first 2 shown]
	s_delay_alu instid0(VALU_DEP_3) | instskip(NEXT) | instid1(VALU_DEP_3)
	v_dual_mul_f32 v4, v8, v4 :: v_dual_fmac_f32 v19, v6, v1
	v_fma_f32 v148, v5, v1, -v2
	s_delay_alu instid0(VALU_DEP_3) | instskip(NEXT) | instid1(VALU_DEP_3)
	v_fmac_f32_e32 v20, v8, v3
	v_fma_f32 v149, v7, v3, -v4
	ds_load_2addr_b64 v[1:4], v21 offset0:91 offset1:92
	ds_load_2addr_b64 v[5:8], v21 offset0:93 offset1:94
	s_wait_loadcnt_dscnt 0x1
	v_mul_f32_e32 v151, v1, v10
	v_mul_f32_e32 v10, v2, v10
	s_delay_alu instid0(VALU_DEP_2) | instskip(NEXT) | instid1(VALU_DEP_2)
	v_dual_mul_f32 v152, v3, v12 :: v_dual_fmac_f32 v151, v2, v9
	v_fma_f32 v153, v1, v9, -v10
	v_mul_f32_e32 v1, v4, v12
	s_delay_alu instid0(VALU_DEP_3) | instskip(NEXT) | instid1(VALU_DEP_2)
	v_fmac_f32_e32 v152, v4, v11
	v_fma_f32 v154, v3, v11, -v1
	s_clause 0x1
	scratch_load_b128 v[1:4], off, off offset:296
	scratch_load_b128 v[9:12], off, off offset:312
	s_wait_loadcnt_dscnt 0x100
	v_mul_f32_e32 v155, v5, v2
	v_dual_mul_f32 v2, v6, v2 :: v_dual_mul_f32 v157, v7, v4
	s_delay_alu instid0(VALU_DEP_2) | instskip(NEXT) | instid1(VALU_DEP_2)
	v_fmac_f32_e32 v155, v6, v1
	v_fma_f32 v156, v5, v1, -v2
	v_mul_f32_e32 v1, v8, v4
	s_delay_alu instid0(VALU_DEP_4) | instskip(NEXT) | instid1(VALU_DEP_2)
	v_fmac_f32_e32 v157, v8, v3
	v_fma_f32 v158, v7, v3, -v1
	ds_load_2addr_b64 v[1:4], v21 offset0:95 offset1:96
	ds_load_2addr_b64 v[5:8], v21 offset0:97 offset1:98
	s_wait_loadcnt_dscnt 0x1
	v_mul_f32_e32 v159, v1, v10
	v_mul_f32_e32 v161, v3, v12
	s_delay_alu instid0(VALU_DEP_2) | instskip(NEXT) | instid1(VALU_DEP_2)
	v_fmac_f32_e32 v159, v2, v9
	v_dual_mul_f32 v2, v2, v10 :: v_dual_fmac_f32 v161, v4, v11
	s_delay_alu instid0(VALU_DEP_1) | instskip(SKIP_1) | instid1(VALU_DEP_1)
	v_fma_f32 v160, v1, v9, -v2
	v_mul_f32_e32 v1, v4, v12
	v_fma_f32 v162, v3, v11, -v1
	s_clause 0x1
	scratch_load_b128 v[1:4], off, off offset:328
	scratch_load_b128 v[9:12], off, off offset:344
	s_wait_loadcnt_dscnt 0x100
	v_mul_f32_e32 v163, v5, v2
	v_dual_mul_f32 v2, v6, v2 :: v_dual_mul_f32 v165, v7, v4
	s_delay_alu instid0(VALU_DEP_2) | instskip(NEXT) | instid1(VALU_DEP_2)
	v_fmac_f32_e32 v163, v6, v1
	v_fma_f32 v164, v5, v1, -v2
	v_mul_f32_e32 v1, v8, v4
	s_delay_alu instid0(VALU_DEP_4) | instskip(NEXT) | instid1(VALU_DEP_2)
	v_fmac_f32_e32 v165, v8, v3
	v_fma_f32 v166, v7, v3, -v1
	ds_load_2addr_b64 v[1:4], v21 offset0:99 offset1:100
	ds_load_2addr_b64 v[5:8], v21 offset0:101 offset1:102
	s_wait_loadcnt_dscnt 0x1
	v_mul_f32_e32 v167, v1, v10
	v_mul_f32_e32 v169, v3, v12
	s_delay_alu instid0(VALU_DEP_2) | instskip(NEXT) | instid1(VALU_DEP_2)
	v_fmac_f32_e32 v167, v2, v9
	v_dual_mul_f32 v2, v2, v10 :: v_dual_fmac_f32 v169, v4, v11
	s_delay_alu instid0(VALU_DEP_1) | instskip(SKIP_1) | instid1(VALU_DEP_1)
	v_fma_f32 v168, v1, v9, -v2
	v_mul_f32_e32 v1, v4, v12
	v_fma_f32 v170, v3, v11, -v1
	s_clause 0x1
	scratch_load_b128 v[1:4], off, off offset:360
	scratch_load_b128 v[9:12], off, off offset:376
	s_wait_loadcnt_dscnt 0x100
	v_mul_f32_e32 v171, v5, v2
	v_mul_f32_e32 v2, v6, v2
	s_delay_alu instid0(VALU_DEP_1) | instskip(SKIP_1) | instid1(VALU_DEP_1)
	v_fma_f32 v172, v5, v1, -v2
	v_add_f32_e32 v2, 0, v23
	v_add_f32_e32 v2, v2, v24
	v_fmac_f32_e32 v171, v6, v1
	s_delay_alu instid0(VALU_DEP_2) | instskip(NEXT) | instid1(VALU_DEP_1)
	v_add_f32_e32 v2, v2, v139
	v_add_f32_e32 v2, v2, v140
	s_delay_alu instid0(VALU_DEP_1) | instskip(NEXT) | instid1(VALU_DEP_1)
	v_dual_mul_f32 v173, v7, v4 :: v_dual_add_f32 v2, v2, v141
	v_dual_fmac_f32 v173, v8, v3 :: v_dual_add_f32 v2, v2, v150
	s_delay_alu instid0(VALU_DEP_1) | instskip(NEXT) | instid1(VALU_DEP_1)
	v_dual_mul_f32 v1, v8, v4 :: v_dual_add_f32 v2, v2, v146
	v_fma_f32 v174, v7, v3, -v1
	s_delay_alu instid0(VALU_DEP_2) | instskip(NEXT) | instid1(VALU_DEP_1)
	v_dual_add_f32 v1, 0, v22 :: v_dual_add_f32 v2, v2, v147
	v_add_f32_e32 v1, v1, v138
	s_delay_alu instid0(VALU_DEP_2) | instskip(NEXT) | instid1(VALU_DEP_2)
	v_add_f32_e32 v5, v2, v15
	v_add_f32_e32 v1, v1, v142
	s_delay_alu instid0(VALU_DEP_2) | instskip(NEXT) | instid1(VALU_DEP_2)
	v_add_f32_e32 v5, v5, v18
	;; [unrolled: 3-line block ×3, first 2 shown]
	v_add_f32_e32 v1, v1, v144
	s_delay_alu instid0(VALU_DEP_1) | instskip(NEXT) | instid1(VALU_DEP_1)
	v_add_f32_e32 v1, v1, v145
	v_add_f32_e32 v1, v1, v13
	s_delay_alu instid0(VALU_DEP_1) | instskip(SKIP_1) | instid1(VALU_DEP_1)
	v_add_f32_e32 v1, v1, v14
	v_add_f32_e32 v14, v5, v20
	;; [unrolled: 1-line block ×3, first 2 shown]
	s_delay_alu instid0(VALU_DEP_1) | instskip(NEXT) | instid1(VALU_DEP_4)
	v_add_f32_e32 v14, v14, v152
	v_add_f32_e32 v1, v1, v16
	s_delay_alu instid0(VALU_DEP_1) | instskip(SKIP_3) | instid1(VALU_DEP_1)
	v_add_f32_e32 v6, v1, v17
	ds_load_2addr_b64 v[1:4], v21 offset0:103 offset1:104
	v_add_f32_e32 v17, v14, v155
	v_add_f32_e32 v6, v6, v148
	;; [unrolled: 1-line block ×3, first 2 shown]
	ds_load_2addr_b64 v[5:8], v21 offset0:105 offset1:106
	s_wait_loadcnt_dscnt 0x1
	v_dual_mul_f32 v138, v1, v10 :: v_dual_mul_f32 v139, v3, v12
	v_mul_f32_e32 v10, v2, v10
	v_mul_f32_e32 v12, v4, v12
	s_delay_alu instid0(VALU_DEP_3) | instskip(NEXT) | instid1(VALU_DEP_3)
	v_dual_fmac_f32 v138, v2, v9 :: v_dual_fmac_f32 v139, v4, v11
	v_fma_f32 v140, v1, v9, -v10
	s_delay_alu instid0(VALU_DEP_3)
	v_fma_f32 v141, v3, v11, -v12
	s_clause 0x1
	scratch_load_b128 v[1:4], off, off offset:392
	scratch_load_b128 v[9:12], off, off offset:408
	s_wait_loadcnt_dscnt 0x100
	v_mul_f32_e32 v144, v5, v2
	v_dual_add_f32 v13, v13, v153 :: v_dual_mul_f32 v2, v6, v2
	v_mul_f32_e32 v145, v7, v4
	v_mul_f32_e32 v4, v8, v4
	s_delay_alu instid0(VALU_DEP_3) | instskip(NEXT) | instid1(VALU_DEP_4)
	v_dual_fmac_f32 v144, v6, v1 :: v_dual_add_f32 v13, v13, v154
	v_fma_f32 v2, v5, v1, -v2
	s_delay_alu instid0(VALU_DEP_2) | instskip(NEXT) | instid1(VALU_DEP_1)
	v_add_f32_e32 v13, v13, v156
	v_add_f32_e32 v18, v13, v158
	scratch_load_b128 v[13:16], off, off offset:424
	v_add_f32_e32 v18, v18, v160
	s_delay_alu instid0(VALU_DEP_1) | instskip(NEXT) | instid1(VALU_DEP_1)
	v_add_f32_e32 v18, v18, v162
	v_add_f32_e32 v22, v18, v164
	s_delay_alu instid0(VALU_DEP_1) | instskip(NEXT) | instid1(VALU_DEP_1)
	v_add_f32_e32 v142, v22, v166
	v_add_f32_e32 v142, v142, v168
	s_delay_alu instid0(VALU_DEP_1) | instskip(NEXT) | instid1(VALU_DEP_1)
	v_dual_add_f32 v142, v142, v170 :: v_dual_add_f32 v17, v17, v157
	v_dual_add_f32 v142, v142, v172 :: v_dual_add_f32 v17, v17, v159
	s_delay_alu instid0(VALU_DEP_1) | instskip(NEXT) | instid1(VALU_DEP_1)
	v_dual_add_f32 v142, v142, v174 :: v_dual_add_f32 v17, v17, v161
	v_dual_add_f32 v140, v142, v140 :: v_dual_add_f32 v23, v17, v163
	ds_load_2addr_b64 v[17:20], v21 offset0:107 offset1:108
	v_add_f32_e32 v1, v140, v141
	v_add_f32_e32 v143, v23, v165
	ds_load_2addr_b64 v[21:24], v21 offset0:109 offset1:110
	s_wait_loadcnt_dscnt 0x101
	v_dual_mul_f32 v146, v17, v10 :: v_dual_add_f32 v143, v143, v167
	v_mul_f32_e32 v6, v18, v10
	s_delay_alu instid0(VALU_DEP_2) | instskip(NEXT) | instid1(VALU_DEP_3)
	v_fmac_f32_e32 v146, v18, v9
	v_add_f32_e32 v143, v143, v169
	v_fmac_f32_e32 v145, v8, v3
	v_fma_f32 v3, v7, v3, -v4
	s_delay_alu instid0(VALU_DEP_3) | instskip(NEXT) | instid1(VALU_DEP_1)
	v_dual_mul_f32 v4, v20, v12 :: v_dual_add_f32 v143, v143, v171
	v_fma_f32 v4, v19, v11, -v4
	s_delay_alu instid0(VALU_DEP_2) | instskip(NEXT) | instid1(VALU_DEP_1)
	v_add_f32_e32 v143, v143, v173
	v_add_f32_e32 v138, v143, v138
	s_wait_loadcnt_dscnt 0x0
	s_delay_alu instid0(VALU_DEP_1) | instskip(SKIP_2) | instid1(VALU_DEP_3)
	v_dual_add_f32 v5, v138, v139 :: v_dual_mul_f32 v142, v23, v16
	v_mul_f32_e32 v148, v21, v14
	v_add_f32_e32 v1, v1, v2
	v_add_f32_e32 v2, v5, v144
	v_mul_f32_e32 v147, v19, v12
	v_fma_f32 v5, v17, v9, -v6
	v_fmac_f32_e32 v148, v22, v13
	v_fmac_f32_e32 v142, v24, v15
	s_delay_alu instid0(VALU_DEP_4) | instskip(NEXT) | instid1(VALU_DEP_1)
	v_dual_add_f32 v2, v2, v145 :: v_dual_fmac_f32 v147, v20, v11
	v_add_f32_e32 v2, v2, v146
	s_delay_alu instid0(VALU_DEP_1) | instskip(SKIP_2) | instid1(VALU_DEP_3)
	v_add_f32_e32 v2, v2, v147
	v_add_f32_e32 v1, v1, v3
	v_mul_f32_e32 v3, v22, v14
	v_add_f32_e32 v2, v2, v148
	s_delay_alu instid0(VALU_DEP_2) | instskip(NEXT) | instid1(VALU_DEP_2)
	v_fma_f32 v3, v21, v13, -v3
	v_dual_add_f32 v2, v2, v142 :: v_dual_add_f32 v1, v1, v5
	v_mul_f32_e32 v5, v24, v16
	s_delay_alu instid0(VALU_DEP_2) | instskip(NEXT) | instid1(VALU_DEP_2)
	v_dual_sub_f32 v2, v136, v2 :: v_dual_add_f32 v1, v1, v4
	v_fma_f32 v4, v23, v15, -v5
	s_delay_alu instid0(VALU_DEP_2) | instskip(NEXT) | instid1(VALU_DEP_1)
	v_add_f32_e32 v1, v1, v3
	v_add_f32_e32 v1, v1, v4
	s_delay_alu instid0(VALU_DEP_1)
	v_sub_f32_e32 v1, v135, v1
	scratch_store_b64 off, v[1:2], off offset:176
	v_cmpx_lt_u32_e32 21, v0
	s_cbranch_execz .LBB54_301
; %bb.300:
	scratch_load_b64 v[1:2], off, off offset:168
	v_mov_b32_e32 v3, 0
	s_delay_alu instid0(VALU_DEP_1)
	v_mov_b32_e32 v4, v3
	scratch_store_b64 off, v[3:4], off offset:168
	s_wait_loadcnt 0x0
	ds_store_b64 v137, v[1:2]
.LBB54_301:
	s_wait_alu 0xfffe
	s_or_b32 exec_lo, exec_lo, s0
	s_wait_storecnt_dscnt 0x0
	s_barrier_signal -1
	s_barrier_wait -1
	global_inv scope:SCOPE_SE
	s_clause 0x4
	scratch_load_b128 v[5:8], off, off offset:176
	scratch_load_b128 v[1:4], off, off offset:192
	;; [unrolled: 1-line block ×5, first 2 shown]
	v_mov_b32_e32 v21, 0
	ds_load_b128 v[138:141], v21 offset:624
	ds_load_b128 v[142:145], v21 offset:640
	;; [unrolled: 1-line block ×3, first 2 shown]
	scratch_load_b64 v[22:23], off, off offset:168
	s_mov_b32 s0, exec_lo
	s_wait_loadcnt_dscnt 0x502
	v_mul_f32_e32 v24, v139, v6
	v_dual_mul_f32 v135, v138, v6 :: v_dual_mul_f32 v136, v140, v8
	v_mul_f32_e32 v6, v141, v8
	s_delay_alu instid0(VALU_DEP_3) | instskip(NEXT) | instid1(VALU_DEP_3)
	v_fma_f32 v24, v138, v5, -v24
	v_dual_fmac_f32 v135, v139, v5 :: v_dual_fmac_f32 v136, v141, v7
	s_wait_loadcnt_dscnt 0x401
	v_mul_f32_e32 v139, v142, v2
	v_fma_f32 v138, v140, v7, -v6
	ds_load_b128 v[5:8], v21 offset:672
	s_wait_loadcnt_dscnt 0x301
	v_dual_mul_f32 v140, v144, v4 :: v_dual_mul_f32 v141, v146, v10
	v_dual_mul_f32 v4, v145, v4 :: v_dual_fmac_f32 v139, v143, v1
	v_mul_f32_e32 v10, v147, v10
	s_delay_alu instid0(VALU_DEP_3)
	v_dual_mul_f32 v150, v148, v12 :: v_dual_fmac_f32 v141, v147, v9
	v_mul_f32_e32 v12, v149, v12
	v_mul_f32_e32 v2, v143, v2
	v_fmac_f32_e32 v140, v145, v3
	v_fma_f32 v143, v144, v3, -v4
	v_fma_f32 v144, v146, v9, -v10
	v_fmac_f32_e32 v150, v149, v11
	v_fma_f32 v145, v148, v11, -v12
	ds_load_b128 v[9:12], v21 offset:688
	s_wait_loadcnt_dscnt 0x201
	v_dual_mul_f32 v147, v7, v16 :: v_dual_mul_f32 v146, v5, v14
	v_mul_f32_e32 v14, v6, v14
	v_mul_f32_e32 v16, v8, v16
	s_delay_alu instid0(VALU_DEP_3)
	v_fmac_f32_e32 v147, v8, v15
	v_fma_f32 v142, v142, v1, -v2
	scratch_load_b128 v[1:4], off, off offset:256
	v_fmac_f32_e32 v146, v6, v13
	v_fma_f32 v13, v5, v13, -v14
	v_fma_f32 v14, v7, v15, -v16
	ds_load_b128 v[5:8], v21 offset:704
	s_wait_loadcnt_dscnt 0x201
	v_mul_f32_e32 v15, v9, v18
	v_mul_f32_e32 v16, v10, v18
	;; [unrolled: 1-line block ×3, first 2 shown]
	s_delay_alu instid0(VALU_DEP_3) | instskip(NEXT) | instid1(VALU_DEP_3)
	v_dual_mul_f32 v20, v12, v20 :: v_dual_fmac_f32 v15, v10, v17
	v_fma_f32 v16, v9, v17, -v16
	s_delay_alu instid0(VALU_DEP_3) | instskip(NEXT) | instid1(VALU_DEP_3)
	v_fmac_f32_e32 v18, v12, v19
	v_fma_f32 v17, v11, v19, -v20
	scratch_load_b128 v[9:12], off, off offset:272
	s_wait_loadcnt_dscnt 0x100
	v_mul_f32_e32 v19, v5, v2
	v_mul_f32_e32 v2, v6, v2
	;; [unrolled: 1-line block ×3, first 2 shown]
	s_delay_alu instid0(VALU_DEP_3) | instskip(NEXT) | instid1(VALU_DEP_3)
	v_dual_mul_f32 v4, v8, v4 :: v_dual_fmac_f32 v19, v6, v1
	v_fma_f32 v148, v5, v1, -v2
	s_delay_alu instid0(VALU_DEP_3) | instskip(NEXT) | instid1(VALU_DEP_3)
	v_fmac_f32_e32 v20, v8, v3
	v_fma_f32 v149, v7, v3, -v4
	ds_load_b128 v[1:4], v21 offset:720
	ds_load_b128 v[5:8], v21 offset:736
	s_wait_loadcnt_dscnt 0x1
	v_mul_f32_e32 v151, v1, v10
	v_mul_f32_e32 v10, v2, v10
	s_delay_alu instid0(VALU_DEP_2) | instskip(NEXT) | instid1(VALU_DEP_2)
	v_dual_mul_f32 v152, v3, v12 :: v_dual_fmac_f32 v151, v2, v9
	v_fma_f32 v153, v1, v9, -v10
	v_mul_f32_e32 v1, v4, v12
	s_delay_alu instid0(VALU_DEP_3) | instskip(NEXT) | instid1(VALU_DEP_2)
	v_fmac_f32_e32 v152, v4, v11
	v_fma_f32 v154, v3, v11, -v1
	s_clause 0x1
	scratch_load_b128 v[1:4], off, off offset:288
	scratch_load_b128 v[9:12], off, off offset:304
	s_wait_loadcnt_dscnt 0x100
	v_mul_f32_e32 v155, v5, v2
	v_dual_mul_f32 v2, v6, v2 :: v_dual_mul_f32 v157, v7, v4
	s_delay_alu instid0(VALU_DEP_2) | instskip(NEXT) | instid1(VALU_DEP_2)
	v_fmac_f32_e32 v155, v6, v1
	v_fma_f32 v156, v5, v1, -v2
	v_mul_f32_e32 v1, v8, v4
	s_delay_alu instid0(VALU_DEP_4) | instskip(NEXT) | instid1(VALU_DEP_2)
	v_fmac_f32_e32 v157, v8, v3
	v_fma_f32 v158, v7, v3, -v1
	ds_load_b128 v[1:4], v21 offset:752
	ds_load_b128 v[5:8], v21 offset:768
	s_wait_loadcnt_dscnt 0x1
	v_mul_f32_e32 v159, v1, v10
	v_mul_f32_e32 v161, v3, v12
	s_delay_alu instid0(VALU_DEP_2) | instskip(NEXT) | instid1(VALU_DEP_2)
	v_fmac_f32_e32 v159, v2, v9
	v_dual_mul_f32 v2, v2, v10 :: v_dual_fmac_f32 v161, v4, v11
	s_delay_alu instid0(VALU_DEP_1) | instskip(SKIP_1) | instid1(VALU_DEP_1)
	v_fma_f32 v160, v1, v9, -v2
	v_mul_f32_e32 v1, v4, v12
	v_fma_f32 v162, v3, v11, -v1
	s_clause 0x1
	scratch_load_b128 v[1:4], off, off offset:320
	scratch_load_b128 v[9:12], off, off offset:336
	s_wait_loadcnt_dscnt 0x100
	v_mul_f32_e32 v163, v5, v2
	v_dual_mul_f32 v165, v7, v4 :: v_dual_mul_f32 v2, v6, v2
	s_delay_alu instid0(VALU_DEP_2) | instskip(NEXT) | instid1(VALU_DEP_2)
	v_fmac_f32_e32 v163, v6, v1
	v_fmac_f32_e32 v165, v8, v3
	s_delay_alu instid0(VALU_DEP_3) | instskip(SKIP_1) | instid1(VALU_DEP_1)
	v_fma_f32 v164, v5, v1, -v2
	v_mul_f32_e32 v1, v8, v4
	v_fma_f32 v166, v7, v3, -v1
	ds_load_b128 v[1:4], v21 offset:784
	ds_load_b128 v[5:8], v21 offset:800
	s_wait_loadcnt_dscnt 0x1
	v_mul_f32_e32 v167, v1, v10
	v_mul_f32_e32 v169, v3, v12
	s_delay_alu instid0(VALU_DEP_2) | instskip(NEXT) | instid1(VALU_DEP_2)
	v_fmac_f32_e32 v167, v2, v9
	v_dual_mul_f32 v2, v2, v10 :: v_dual_fmac_f32 v169, v4, v11
	s_delay_alu instid0(VALU_DEP_1) | instskip(SKIP_1) | instid1(VALU_DEP_1)
	v_fma_f32 v168, v1, v9, -v2
	v_mul_f32_e32 v1, v4, v12
	v_fma_f32 v170, v3, v11, -v1
	s_clause 0x1
	scratch_load_b128 v[1:4], off, off offset:352
	scratch_load_b128 v[9:12], off, off offset:368
	s_wait_loadcnt_dscnt 0x100
	v_mul_f32_e32 v171, v5, v2
	v_mul_f32_e32 v2, v6, v2
	s_delay_alu instid0(VALU_DEP_1) | instskip(SKIP_1) | instid1(VALU_DEP_1)
	v_fma_f32 v172, v5, v1, -v2
	v_add_f32_e32 v2, 0, v135
	v_add_f32_e32 v2, v2, v136
	scratch_load_b64 v[135:136], off, off offset:432
	v_add_f32_e32 v2, v2, v139
	s_delay_alu instid0(VALU_DEP_1) | instskip(SKIP_2) | instid1(VALU_DEP_2)
	v_add_f32_e32 v2, v2, v140
	v_mul_f32_e32 v173, v7, v4
	v_fmac_f32_e32 v171, v6, v1
	v_dual_add_f32 v2, v2, v141 :: v_dual_fmac_f32 v173, v8, v3
	s_delay_alu instid0(VALU_DEP_1) | instskip(NEXT) | instid1(VALU_DEP_1)
	v_dual_add_f32 v2, v2, v150 :: v_dual_mul_f32 v1, v8, v4
	v_add_f32_e32 v2, v2, v146
	s_delay_alu instid0(VALU_DEP_2) | instskip(NEXT) | instid1(VALU_DEP_2)
	v_fma_f32 v174, v7, v3, -v1
	v_dual_add_f32 v1, 0, v24 :: v_dual_add_f32 v2, v2, v147
	s_delay_alu instid0(VALU_DEP_1) | instskip(NEXT) | instid1(VALU_DEP_1)
	v_add_f32_e32 v1, v1, v138
	v_add_f32_e32 v1, v1, v142
	s_delay_alu instid0(VALU_DEP_1) | instskip(NEXT) | instid1(VALU_DEP_1)
	v_add_f32_e32 v1, v1, v143
	v_add_f32_e32 v1, v1, v144
	;; [unrolled: 3-line block ×4, first 2 shown]
	s_delay_alu instid0(VALU_DEP_1) | instskip(SKIP_2) | instid1(VALU_DEP_1)
	v_dual_add_f32 v5, v2, v15 :: v_dual_add_f32 v6, v1, v17
	ds_load_b128 v[1:4], v21 offset:816
	v_dual_add_f32 v5, v5, v18 :: v_dual_add_f32 v6, v6, v148
	v_add_f32_e32 v13, v6, v149
	s_delay_alu instid0(VALU_DEP_1) | instskip(NEXT) | instid1(VALU_DEP_1)
	v_add_f32_e32 v13, v13, v153
	v_add_f32_e32 v13, v13, v154
	s_delay_alu instid0(VALU_DEP_1) | instskip(NEXT) | instid1(VALU_DEP_1)
	v_add_f32_e32 v13, v13, v156
	v_add_f32_e32 v18, v13, v158
	s_delay_alu instid0(VALU_DEP_1) | instskip(NEXT) | instid1(VALU_DEP_1)
	v_dual_add_f32 v5, v5, v19 :: v_dual_add_f32 v18, v18, v160
	v_add_f32_e32 v14, v5, v20
	ds_load_b128 v[5:8], v21 offset:832
	s_wait_loadcnt_dscnt 0x101
	v_mul_f32_e32 v24, v1, v10
	v_mul_f32_e32 v10, v2, v10
	;; [unrolled: 1-line block ×4, first 2 shown]
	v_add_f32_e32 v14, v14, v151
	v_fmac_f32_e32 v24, v2, v9
	v_fma_f32 v145, v1, v9, -v10
	v_fmac_f32_e32 v144, v4, v11
	v_fma_f32 v146, v3, v11, -v12
	s_clause 0x1
	scratch_load_b128 v[1:4], off, off offset:384
	scratch_load_b128 v[9:12], off, off offset:400
	v_add_f32_e32 v14, v14, v152
	v_add_f32_e32 v18, v18, v162
	s_delay_alu instid0(VALU_DEP_2) | instskip(SKIP_2) | instid1(VALU_DEP_1)
	v_add_f32_e32 v17, v14, v155
	scratch_load_b128 v[13:16], off, off offset:416
	v_dual_add_f32 v18, v18, v164 :: v_dual_add_f32 v17, v17, v157
	v_add_f32_e32 v18, v18, v166
	s_delay_alu instid0(VALU_DEP_1) | instskip(NEXT) | instid1(VALU_DEP_1)
	v_add_f32_e32 v142, v18, v168
	v_add_f32_e32 v147, v142, v170
	s_wait_loadcnt_dscnt 0x200
	v_mul_f32_e32 v149, v5, v2
	v_dual_mul_f32 v2, v6, v2 :: v_dual_add_f32 v17, v17, v159
	v_mul_f32_e32 v150, v7, v4
	v_mul_f32_e32 v4, v8, v4
	v_add_f32_e32 v147, v147, v172
	s_delay_alu instid0(VALU_DEP_4) | instskip(NEXT) | instid1(VALU_DEP_4)
	v_fma_f32 v2, v5, v1, -v2
	v_dual_add_f32 v17, v17, v161 :: v_dual_fmac_f32 v150, v8, v3
	s_delay_alu instid0(VALU_DEP_1) | instskip(NEXT) | instid1(VALU_DEP_1)
	v_add_f32_e32 v17, v17, v163
	v_add_f32_e32 v138, v17, v165
	ds_load_b128 v[17:20], v21 offset:848
	v_add_f32_e32 v143, v138, v167
	ds_load_b128 v[138:141], v21 offset:864
	v_add_f32_e32 v147, v147, v174
	v_add_f32_e32 v148, v143, v169
	ds_load_b64 v[142:143], v21 offset:880
	v_add_f32_e32 v148, v148, v171
	s_delay_alu instid0(VALU_DEP_1) | instskip(SKIP_2) | instid1(VALU_DEP_2)
	v_add_f32_e32 v148, v148, v173
	s_wait_loadcnt_dscnt 0x102
	v_mul_f32_e32 v5, v20, v12
	v_dual_add_f32 v24, v148, v24 :: v_dual_add_f32 v145, v147, v145
	v_dual_mul_f32 v147, v17, v10 :: v_dual_mul_f32 v148, v19, v12
	s_delay_alu instid0(VALU_DEP_2)
	v_dual_add_f32 v24, v24, v144 :: v_dual_add_f32 v145, v145, v146
	s_wait_dscnt 0x0
	v_mul_f32_e32 v144, v142, v136
	v_fmac_f32_e32 v149, v6, v1
	v_fma_f32 v1, v7, v3, -v4
	v_dual_mul_f32 v3, v18, v10 :: v_dual_fmac_f32 v148, v20, v11
	v_add_f32_e32 v2, v145, v2
	s_wait_loadcnt 0x0
	v_dual_mul_f32 v151, v138, v14 :: v_dual_add_f32 v4, v24, v149
	v_dual_mul_f32 v146, v140, v16 :: v_dual_fmac_f32 v147, v18, v9
	v_fma_f32 v3, v17, v9, -v3
	s_delay_alu instid0(VALU_DEP_3) | instskip(SKIP_3) | instid1(VALU_DEP_4)
	v_dual_add_f32 v1, v2, v1 :: v_dual_add_f32 v2, v4, v150
	v_mul_f32_e32 v4, v139, v14
	v_fma_f32 v5, v19, v11, -v5
	v_dual_fmac_f32 v146, v141, v15 :: v_dual_fmac_f32 v151, v139, v13
	v_add_f32_e32 v2, v2, v147
	v_add_f32_e32 v1, v1, v3
	v_mul_f32_e32 v3, v141, v16
	v_fma_f32 v4, v138, v13, -v4
	v_fmac_f32_e32 v144, v143, v135
	s_delay_alu instid0(VALU_DEP_4) | instskip(SKIP_2) | instid1(VALU_DEP_3)
	v_dual_add_f32 v2, v2, v148 :: v_dual_add_f32 v1, v1, v5
	v_mul_f32_e32 v5, v143, v136
	v_fma_f32 v3, v140, v15, -v3
	v_dual_add_f32 v2, v2, v151 :: v_dual_add_f32 v1, v1, v4
	s_delay_alu instid0(VALU_DEP_3) | instskip(NEXT) | instid1(VALU_DEP_2)
	v_fma_f32 v4, v142, v135, -v5
	v_dual_add_f32 v2, v2, v146 :: v_dual_add_f32 v1, v1, v3
	s_delay_alu instid0(VALU_DEP_1) | instskip(NEXT) | instid1(VALU_DEP_1)
	v_add_f32_e32 v2, v2, v144
	v_dual_add_f32 v1, v1, v4 :: v_dual_sub_f32 v2, v23, v2
	s_delay_alu instid0(VALU_DEP_1)
	v_sub_f32_e32 v1, v22, v1
	scratch_store_b64 off, v[1:2], off offset:168
	v_cmpx_lt_u32_e32 20, v0
	s_cbranch_execz .LBB54_303
; %bb.302:
	scratch_load_b64 v[1:2], off, off offset:160
	v_mov_b32_e32 v22, v21
	scratch_store_b64 off, v[21:22], off offset:160
	s_wait_loadcnt 0x0
	ds_store_b64 v137, v[1:2]
.LBB54_303:
	s_wait_alu 0xfffe
	s_or_b32 exec_lo, exec_lo, s0
	s_wait_storecnt_dscnt 0x0
	s_barrier_signal -1
	s_barrier_wait -1
	global_inv scope:SCOPE_SE
	s_clause 0x4
	scratch_load_b128 v[5:8], off, off offset:168
	scratch_load_b128 v[1:4], off, off offset:184
	;; [unrolled: 1-line block ×5, first 2 shown]
	ds_load_2addr_b64 v[138:141], v21 offset0:77 offset1:78
	ds_load_2addr_b64 v[142:145], v21 offset0:79 offset1:80
	;; [unrolled: 1-line block ×3, first 2 shown]
	scratch_load_b64 v[135:136], off, off offset:160
	s_mov_b32 s0, exec_lo
	s_wait_loadcnt_dscnt 0x502
	v_mul_f32_e32 v22, v139, v6
	v_dual_mul_f32 v23, v138, v6 :: v_dual_mul_f32 v24, v140, v8
	v_mul_f32_e32 v6, v141, v8
	s_delay_alu instid0(VALU_DEP_3) | instskip(NEXT) | instid1(VALU_DEP_3)
	v_fma_f32 v22, v138, v5, -v22
	v_dual_fmac_f32 v23, v139, v5 :: v_dual_fmac_f32 v24, v141, v7
	s_wait_loadcnt_dscnt 0x401
	v_mul_f32_e32 v139, v142, v2
	v_fma_f32 v138, v140, v7, -v6
	ds_load_2addr_b64 v[5:8], v21 offset0:83 offset1:84
	s_wait_loadcnt_dscnt 0x301
	v_dual_mul_f32 v140, v144, v4 :: v_dual_mul_f32 v141, v146, v10
	v_dual_mul_f32 v4, v145, v4 :: v_dual_fmac_f32 v139, v143, v1
	v_mul_f32_e32 v10, v147, v10
	s_delay_alu instid0(VALU_DEP_3)
	v_dual_mul_f32 v150, v148, v12 :: v_dual_fmac_f32 v141, v147, v9
	v_mul_f32_e32 v12, v149, v12
	v_mul_f32_e32 v2, v143, v2
	v_fmac_f32_e32 v140, v145, v3
	v_fma_f32 v143, v144, v3, -v4
	v_fma_f32 v144, v146, v9, -v10
	v_fmac_f32_e32 v150, v149, v11
	v_fma_f32 v145, v148, v11, -v12
	ds_load_2addr_b64 v[9:12], v21 offset0:85 offset1:86
	s_wait_loadcnt_dscnt 0x201
	v_mul_f32_e32 v146, v5, v14
	v_dual_mul_f32 v14, v6, v14 :: v_dual_mul_f32 v147, v7, v16
	v_mul_f32_e32 v16, v8, v16
	s_delay_alu instid0(VALU_DEP_3) | instskip(NEXT) | instid1(VALU_DEP_3)
	v_fmac_f32_e32 v146, v6, v13
	v_fma_f32 v13, v5, v13, -v14
	s_delay_alu instid0(VALU_DEP_4) | instskip(NEXT) | instid1(VALU_DEP_4)
	v_fmac_f32_e32 v147, v8, v15
	v_fma_f32 v14, v7, v15, -v16
	ds_load_2addr_b64 v[5:8], v21 offset0:87 offset1:88
	s_wait_loadcnt_dscnt 0x101
	v_mul_f32_e32 v15, v9, v18
	v_mul_f32_e32 v16, v10, v18
	;; [unrolled: 1-line block ×3, first 2 shown]
	s_delay_alu instid0(VALU_DEP_3)
	v_dual_mul_f32 v20, v12, v20 :: v_dual_fmac_f32 v15, v10, v17
	v_fma_f32 v142, v142, v1, -v2
	scratch_load_b128 v[1:4], off, off offset:248
	v_fma_f32 v16, v9, v17, -v16
	v_fmac_f32_e32 v18, v12, v19
	v_fma_f32 v17, v11, v19, -v20
	scratch_load_b128 v[9:12], off, off offset:264
	s_wait_loadcnt_dscnt 0x100
	v_mul_f32_e32 v19, v5, v2
	v_mul_f32_e32 v2, v6, v2
	;; [unrolled: 1-line block ×3, first 2 shown]
	s_delay_alu instid0(VALU_DEP_3) | instskip(NEXT) | instid1(VALU_DEP_3)
	v_dual_mul_f32 v4, v8, v4 :: v_dual_fmac_f32 v19, v6, v1
	v_fma_f32 v148, v5, v1, -v2
	s_delay_alu instid0(VALU_DEP_3) | instskip(NEXT) | instid1(VALU_DEP_3)
	v_fmac_f32_e32 v20, v8, v3
	v_fma_f32 v149, v7, v3, -v4
	ds_load_2addr_b64 v[1:4], v21 offset0:89 offset1:90
	ds_load_2addr_b64 v[5:8], v21 offset0:91 offset1:92
	s_wait_loadcnt_dscnt 0x1
	v_mul_f32_e32 v151, v1, v10
	v_mul_f32_e32 v10, v2, v10
	s_delay_alu instid0(VALU_DEP_2) | instskip(NEXT) | instid1(VALU_DEP_2)
	v_dual_mul_f32 v152, v3, v12 :: v_dual_fmac_f32 v151, v2, v9
	v_fma_f32 v153, v1, v9, -v10
	v_mul_f32_e32 v1, v4, v12
	s_delay_alu instid0(VALU_DEP_3) | instskip(NEXT) | instid1(VALU_DEP_2)
	v_fmac_f32_e32 v152, v4, v11
	v_fma_f32 v154, v3, v11, -v1
	s_clause 0x1
	scratch_load_b128 v[1:4], off, off offset:280
	scratch_load_b128 v[9:12], off, off offset:296
	s_wait_loadcnt_dscnt 0x100
	v_mul_f32_e32 v155, v5, v2
	v_dual_mul_f32 v2, v6, v2 :: v_dual_mul_f32 v157, v7, v4
	s_delay_alu instid0(VALU_DEP_2) | instskip(NEXT) | instid1(VALU_DEP_2)
	v_fmac_f32_e32 v155, v6, v1
	v_fma_f32 v156, v5, v1, -v2
	v_mul_f32_e32 v1, v8, v4
	s_delay_alu instid0(VALU_DEP_4) | instskip(NEXT) | instid1(VALU_DEP_2)
	v_fmac_f32_e32 v157, v8, v3
	v_fma_f32 v158, v7, v3, -v1
	ds_load_2addr_b64 v[1:4], v21 offset0:93 offset1:94
	ds_load_2addr_b64 v[5:8], v21 offset0:95 offset1:96
	s_wait_loadcnt_dscnt 0x1
	v_mul_f32_e32 v159, v1, v10
	v_mul_f32_e32 v161, v3, v12
	s_delay_alu instid0(VALU_DEP_2) | instskip(NEXT) | instid1(VALU_DEP_2)
	v_fmac_f32_e32 v159, v2, v9
	v_dual_mul_f32 v2, v2, v10 :: v_dual_fmac_f32 v161, v4, v11
	s_delay_alu instid0(VALU_DEP_1) | instskip(SKIP_1) | instid1(VALU_DEP_1)
	v_fma_f32 v160, v1, v9, -v2
	v_mul_f32_e32 v1, v4, v12
	v_fma_f32 v162, v3, v11, -v1
	s_clause 0x1
	scratch_load_b128 v[1:4], off, off offset:312
	scratch_load_b128 v[9:12], off, off offset:328
	s_wait_loadcnt_dscnt 0x100
	v_mul_f32_e32 v163, v5, v2
	v_dual_mul_f32 v2, v6, v2 :: v_dual_mul_f32 v165, v7, v4
	s_delay_alu instid0(VALU_DEP_2) | instskip(NEXT) | instid1(VALU_DEP_2)
	v_fmac_f32_e32 v163, v6, v1
	v_fma_f32 v164, v5, v1, -v2
	v_mul_f32_e32 v1, v8, v4
	s_delay_alu instid0(VALU_DEP_4) | instskip(NEXT) | instid1(VALU_DEP_2)
	v_fmac_f32_e32 v165, v8, v3
	v_fma_f32 v166, v7, v3, -v1
	ds_load_2addr_b64 v[1:4], v21 offset0:97 offset1:98
	ds_load_2addr_b64 v[5:8], v21 offset0:99 offset1:100
	s_wait_loadcnt_dscnt 0x1
	v_mul_f32_e32 v167, v1, v10
	v_mul_f32_e32 v169, v3, v12
	s_delay_alu instid0(VALU_DEP_2) | instskip(NEXT) | instid1(VALU_DEP_2)
	v_fmac_f32_e32 v167, v2, v9
	v_dual_mul_f32 v2, v2, v10 :: v_dual_fmac_f32 v169, v4, v11
	s_delay_alu instid0(VALU_DEP_1) | instskip(SKIP_1) | instid1(VALU_DEP_1)
	v_fma_f32 v168, v1, v9, -v2
	v_mul_f32_e32 v1, v4, v12
	v_fma_f32 v170, v3, v11, -v1
	s_clause 0x1
	scratch_load_b128 v[1:4], off, off offset:344
	scratch_load_b128 v[9:12], off, off offset:360
	s_wait_loadcnt_dscnt 0x100
	v_mul_f32_e32 v171, v5, v2
	v_mul_f32_e32 v2, v6, v2
	s_delay_alu instid0(VALU_DEP_1) | instskip(SKIP_1) | instid1(VALU_DEP_1)
	v_fma_f32 v172, v5, v1, -v2
	v_add_f32_e32 v2, 0, v23
	v_add_f32_e32 v2, v2, v24
	v_fmac_f32_e32 v171, v6, v1
	s_delay_alu instid0(VALU_DEP_2) | instskip(NEXT) | instid1(VALU_DEP_1)
	v_add_f32_e32 v2, v2, v139
	v_add_f32_e32 v2, v2, v140
	s_delay_alu instid0(VALU_DEP_1) | instskip(NEXT) | instid1(VALU_DEP_1)
	v_dual_mul_f32 v173, v7, v4 :: v_dual_add_f32 v2, v2, v141
	v_dual_fmac_f32 v173, v8, v3 :: v_dual_add_f32 v2, v2, v150
	s_delay_alu instid0(VALU_DEP_1) | instskip(NEXT) | instid1(VALU_DEP_1)
	v_dual_mul_f32 v1, v8, v4 :: v_dual_add_f32 v2, v2, v146
	v_fma_f32 v174, v7, v3, -v1
	s_delay_alu instid0(VALU_DEP_2) | instskip(NEXT) | instid1(VALU_DEP_1)
	v_dual_add_f32 v1, 0, v22 :: v_dual_add_f32 v2, v2, v147
	v_dual_add_f32 v1, v1, v138 :: v_dual_add_f32 v2, v2, v15
	s_delay_alu instid0(VALU_DEP_1) | instskip(NEXT) | instid1(VALU_DEP_2)
	v_add_f32_e32 v1, v1, v142
	v_add_f32_e32 v5, v2, v18
	s_delay_alu instid0(VALU_DEP_2) | instskip(NEXT) | instid1(VALU_DEP_1)
	v_add_f32_e32 v1, v1, v143
	v_add_f32_e32 v1, v1, v144
	s_delay_alu instid0(VALU_DEP_1) | instskip(NEXT) | instid1(VALU_DEP_1)
	v_add_f32_e32 v1, v1, v145
	v_add_f32_e32 v1, v1, v13
	;; [unrolled: 1-line block ×3, first 2 shown]
	s_delay_alu instid0(VALU_DEP_1) | instskip(NEXT) | instid1(VALU_DEP_1)
	v_add_f32_e32 v13, v13, v20
	v_add_f32_e32 v13, v13, v151
	s_delay_alu instid0(VALU_DEP_1) | instskip(NEXT) | instid1(VALU_DEP_1)
	v_add_f32_e32 v18, v13, v152
	v_dual_add_f32 v18, v18, v155 :: v_dual_add_f32 v1, v1, v14
	s_delay_alu instid0(VALU_DEP_1) | instskip(NEXT) | instid1(VALU_DEP_1)
	v_dual_add_f32 v18, v18, v157 :: v_dual_add_f32 v1, v1, v16
	v_dual_add_f32 v22, v18, v159 :: v_dual_add_f32 v1, v1, v17
	s_delay_alu instid0(VALU_DEP_1) | instskip(NEXT) | instid1(VALU_DEP_2)
	v_add_f32_e32 v22, v22, v161
	v_add_f32_e32 v6, v1, v148
	ds_load_2addr_b64 v[1:4], v21 offset0:101 offset1:102
	v_add_f32_e32 v22, v22, v163
	v_add_f32_e32 v14, v6, v149
	scratch_load_b128 v[5:8], off, off offset:376
	v_add_f32_e32 v14, v14, v153
	s_delay_alu instid0(VALU_DEP_1)
	v_add_f32_e32 v17, v14, v154
	ds_load_2addr_b64 v[13:16], v21 offset0:103 offset1:104
	v_add_f32_e32 v17, v17, v156
	s_wait_loadcnt_dscnt 0x101
	v_dual_mul_f32 v138, v1, v10 :: v_dual_mul_f32 v139, v3, v12
	v_mul_f32_e32 v10, v2, v10
	v_mul_f32_e32 v12, v4, v12
	s_delay_alu instid0(VALU_DEP_3) | instskip(NEXT) | instid1(VALU_DEP_3)
	v_dual_fmac_f32 v138, v2, v9 :: v_dual_fmac_f32 v139, v4, v11
	v_fma_f32 v140, v1, v9, -v10
	s_delay_alu instid0(VALU_DEP_3)
	v_fma_f32 v141, v3, v11, -v12
	s_clause 0x1
	scratch_load_b128 v[1:4], off, off offset:392
	scratch_load_b128 v[9:12], off, off offset:408
	s_wait_loadcnt_dscnt 0x200
	v_mul_f32_e32 v142, v13, v6
	v_add_f32_e32 v17, v17, v158
	v_dual_mul_f32 v6, v14, v6 :: v_dual_mul_f32 v143, v15, v8
	v_mul_f32_e32 v8, v16, v8
	s_delay_alu instid0(VALU_DEP_3) | instskip(NEXT) | instid1(VALU_DEP_3)
	v_dual_fmac_f32 v142, v14, v5 :: v_dual_add_f32 v17, v17, v160
	v_fma_f32 v144, v13, v5, -v6
	v_add_f32_e32 v13, v22, v165
	v_fmac_f32_e32 v143, v16, v7
	v_fma_f32 v145, v15, v7, -v8
	v_add_f32_e32 v23, v17, v162
	scratch_load_b128 v[17:20], off, off offset:424
	ds_load_2addr_b64 v[5:8], v21 offset0:105 offset1:106
	v_add_f32_e32 v23, v23, v164
	s_delay_alu instid0(VALU_DEP_1) | instskip(NEXT) | instid1(VALU_DEP_1)
	v_add_f32_e32 v23, v23, v166
	v_add_f32_e32 v22, v23, v168
	s_delay_alu instid0(VALU_DEP_1) | instskip(NEXT) | instid1(VALU_DEP_1)
	v_add_f32_e32 v146, v22, v170
	;; [unrolled: 3-line block ×3, first 2 shown]
	v_dual_add_f32 v140, v146, v140 :: v_dual_add_f32 v23, v13, v167
	ds_load_2addr_b64 v[13:16], v21 offset0:107 offset1:108
	s_wait_loadcnt_dscnt 0x201
	v_mul_f32_e32 v148, v5, v2
	v_mul_f32_e32 v2, v6, v2
	v_add_f32_e32 v140, v140, v141
	v_add_f32_e32 v147, v23, v169
	ds_load_2addr_b64 v[21:24], v21 offset0:109 offset1:110
	v_mul_f32_e32 v146, v7, v4
	v_mul_f32_e32 v4, v8, v4
	v_dual_add_f32 v140, v140, v144 :: v_dual_add_f32 v147, v147, v171
	v_fma_f32 v2, v5, v1, -v2
	s_delay_alu instid0(VALU_DEP_4) | instskip(NEXT) | instid1(VALU_DEP_4)
	v_fmac_f32_e32 v146, v8, v3
	v_fma_f32 v3, v7, v3, -v4
	v_fmac_f32_e32 v148, v6, v1
	v_add_f32_e32 v147, v147, v173
	s_delay_alu instid0(VALU_DEP_1) | instskip(SKIP_3) | instid1(VALU_DEP_3)
	v_add_f32_e32 v138, v147, v138
	s_wait_loadcnt_dscnt 0x101
	v_dual_mul_f32 v147, v13, v10 :: v_dual_mul_f32 v4, v16, v12
	v_mul_f32_e32 v6, v14, v10
	v_dual_add_f32 v138, v138, v139 :: v_dual_mul_f32 v149, v15, v12
	s_delay_alu instid0(VALU_DEP_3) | instskip(NEXT) | instid1(VALU_DEP_4)
	v_fmac_f32_e32 v147, v14, v9
	v_fma_f32 v4, v15, v11, -v4
	s_delay_alu instid0(VALU_DEP_3) | instskip(NEXT) | instid1(VALU_DEP_1)
	v_add_f32_e32 v138, v138, v142
	v_add_f32_e32 v5, v138, v143
	;; [unrolled: 1-line block ×3, first 2 shown]
	s_delay_alu instid0(VALU_DEP_1) | instskip(NEXT) | instid1(VALU_DEP_3)
	v_add_f32_e32 v1, v1, v2
	v_add_f32_e32 v2, v5, v148
	v_fma_f32 v5, v13, v9, -v6
	s_delay_alu instid0(VALU_DEP_2) | instskip(NEXT) | instid1(VALU_DEP_1)
	v_dual_add_f32 v1, v1, v3 :: v_dual_add_f32 v2, v2, v146
	v_dual_add_f32 v1, v1, v5 :: v_dual_add_f32 v2, v2, v147
	s_wait_loadcnt_dscnt 0x0
	v_mul_f32_e32 v139, v21, v18
	v_mul_f32_e32 v141, v23, v20
	;; [unrolled: 1-line block ×3, first 2 shown]
	s_delay_alu instid0(VALU_DEP_3) | instskip(NEXT) | instid1(VALU_DEP_3)
	v_fmac_f32_e32 v139, v22, v17
	v_fmac_f32_e32 v141, v24, v19
	;; [unrolled: 1-line block ×3, first 2 shown]
	v_mul_f32_e32 v5, v24, v20
	v_fma_f32 v3, v21, v17, -v3
	s_delay_alu instid0(VALU_DEP_3) | instskip(NEXT) | instid1(VALU_DEP_3)
	v_dual_add_f32 v2, v2, v149 :: v_dual_add_f32 v1, v1, v4
	v_fma_f32 v4, v23, v19, -v5
	s_delay_alu instid0(VALU_DEP_2) | instskip(NEXT) | instid1(VALU_DEP_1)
	v_add_f32_e32 v2, v2, v139
	v_dual_add_f32 v1, v1, v3 :: v_dual_add_f32 v2, v2, v141
	s_delay_alu instid0(VALU_DEP_1) | instskip(NEXT) | instid1(VALU_DEP_1)
	v_dual_add_f32 v1, v1, v4 :: v_dual_sub_f32 v2, v136, v2
	v_sub_f32_e32 v1, v135, v1
	scratch_store_b64 off, v[1:2], off offset:160
	v_cmpx_lt_u32_e32 19, v0
	s_cbranch_execz .LBB54_305
; %bb.304:
	scratch_load_b64 v[1:2], off, off offset:152
	v_mov_b32_e32 v3, 0
	s_delay_alu instid0(VALU_DEP_1)
	v_mov_b32_e32 v4, v3
	scratch_store_b64 off, v[3:4], off offset:152
	s_wait_loadcnt 0x0
	ds_store_b64 v137, v[1:2]
.LBB54_305:
	s_wait_alu 0xfffe
	s_or_b32 exec_lo, exec_lo, s0
	s_wait_storecnt_dscnt 0x0
	s_barrier_signal -1
	s_barrier_wait -1
	global_inv scope:SCOPE_SE
	s_clause 0x4
	scratch_load_b128 v[5:8], off, off offset:160
	scratch_load_b128 v[1:4], off, off offset:176
	;; [unrolled: 1-line block ×5, first 2 shown]
	v_mov_b32_e32 v21, 0
	ds_load_b128 v[138:141], v21 offset:608
	ds_load_b128 v[142:145], v21 offset:624
	;; [unrolled: 1-line block ×3, first 2 shown]
	scratch_load_b64 v[22:23], off, off offset:152
	s_mov_b32 s0, exec_lo
	s_wait_loadcnt_dscnt 0x502
	v_mul_f32_e32 v24, v139, v6
	v_dual_mul_f32 v135, v138, v6 :: v_dual_mul_f32 v136, v140, v8
	v_mul_f32_e32 v6, v141, v8
	s_delay_alu instid0(VALU_DEP_3) | instskip(NEXT) | instid1(VALU_DEP_3)
	v_fma_f32 v24, v138, v5, -v24
	v_dual_fmac_f32 v135, v139, v5 :: v_dual_fmac_f32 v136, v141, v7
	s_wait_loadcnt_dscnt 0x401
	v_mul_f32_e32 v139, v142, v2
	v_fma_f32 v138, v140, v7, -v6
	ds_load_b128 v[5:8], v21 offset:656
	s_wait_loadcnt_dscnt 0x301
	v_dual_mul_f32 v140, v144, v4 :: v_dual_mul_f32 v141, v146, v10
	v_dual_mul_f32 v4, v145, v4 :: v_dual_fmac_f32 v139, v143, v1
	v_mul_f32_e32 v10, v147, v10
	s_delay_alu instid0(VALU_DEP_3)
	v_dual_mul_f32 v150, v148, v12 :: v_dual_fmac_f32 v141, v147, v9
	v_mul_f32_e32 v12, v149, v12
	v_mul_f32_e32 v2, v143, v2
	v_fmac_f32_e32 v140, v145, v3
	v_fma_f32 v143, v144, v3, -v4
	v_fma_f32 v144, v146, v9, -v10
	v_fmac_f32_e32 v150, v149, v11
	v_fma_f32 v145, v148, v11, -v12
	ds_load_b128 v[9:12], v21 offset:672
	s_wait_loadcnt_dscnt 0x201
	v_dual_mul_f32 v147, v7, v16 :: v_dual_mul_f32 v146, v5, v14
	v_mul_f32_e32 v14, v6, v14
	v_mul_f32_e32 v16, v8, v16
	s_delay_alu instid0(VALU_DEP_3)
	v_fmac_f32_e32 v147, v8, v15
	v_fma_f32 v142, v142, v1, -v2
	scratch_load_b128 v[1:4], off, off offset:240
	v_fmac_f32_e32 v146, v6, v13
	v_fma_f32 v13, v5, v13, -v14
	v_fma_f32 v14, v7, v15, -v16
	ds_load_b128 v[5:8], v21 offset:688
	s_wait_loadcnt_dscnt 0x201
	v_mul_f32_e32 v15, v9, v18
	v_mul_f32_e32 v16, v10, v18
	;; [unrolled: 1-line block ×3, first 2 shown]
	s_delay_alu instid0(VALU_DEP_3) | instskip(NEXT) | instid1(VALU_DEP_3)
	v_dual_mul_f32 v20, v12, v20 :: v_dual_fmac_f32 v15, v10, v17
	v_fma_f32 v16, v9, v17, -v16
	s_delay_alu instid0(VALU_DEP_3) | instskip(NEXT) | instid1(VALU_DEP_3)
	v_fmac_f32_e32 v18, v12, v19
	v_fma_f32 v17, v11, v19, -v20
	scratch_load_b128 v[9:12], off, off offset:256
	s_wait_loadcnt_dscnt 0x100
	v_mul_f32_e32 v19, v5, v2
	v_mul_f32_e32 v2, v6, v2
	;; [unrolled: 1-line block ×3, first 2 shown]
	s_delay_alu instid0(VALU_DEP_3) | instskip(NEXT) | instid1(VALU_DEP_3)
	v_dual_mul_f32 v4, v8, v4 :: v_dual_fmac_f32 v19, v6, v1
	v_fma_f32 v148, v5, v1, -v2
	s_delay_alu instid0(VALU_DEP_3) | instskip(NEXT) | instid1(VALU_DEP_3)
	v_fmac_f32_e32 v20, v8, v3
	v_fma_f32 v149, v7, v3, -v4
	ds_load_b128 v[1:4], v21 offset:704
	ds_load_b128 v[5:8], v21 offset:720
	s_wait_loadcnt_dscnt 0x1
	v_mul_f32_e32 v151, v1, v10
	v_mul_f32_e32 v10, v2, v10
	s_delay_alu instid0(VALU_DEP_2) | instskip(NEXT) | instid1(VALU_DEP_2)
	v_dual_mul_f32 v152, v3, v12 :: v_dual_fmac_f32 v151, v2, v9
	v_fma_f32 v153, v1, v9, -v10
	v_mul_f32_e32 v1, v4, v12
	s_delay_alu instid0(VALU_DEP_3) | instskip(NEXT) | instid1(VALU_DEP_2)
	v_fmac_f32_e32 v152, v4, v11
	v_fma_f32 v154, v3, v11, -v1
	s_clause 0x1
	scratch_load_b128 v[1:4], off, off offset:272
	scratch_load_b128 v[9:12], off, off offset:288
	s_wait_loadcnt_dscnt 0x100
	v_mul_f32_e32 v155, v5, v2
	v_dual_mul_f32 v2, v6, v2 :: v_dual_mul_f32 v157, v7, v4
	s_delay_alu instid0(VALU_DEP_2) | instskip(NEXT) | instid1(VALU_DEP_2)
	v_fmac_f32_e32 v155, v6, v1
	v_fma_f32 v156, v5, v1, -v2
	v_mul_f32_e32 v1, v8, v4
	s_delay_alu instid0(VALU_DEP_4) | instskip(NEXT) | instid1(VALU_DEP_2)
	v_fmac_f32_e32 v157, v8, v3
	v_fma_f32 v158, v7, v3, -v1
	ds_load_b128 v[1:4], v21 offset:736
	ds_load_b128 v[5:8], v21 offset:752
	s_wait_loadcnt_dscnt 0x1
	v_mul_f32_e32 v159, v1, v10
	v_mul_f32_e32 v161, v3, v12
	s_delay_alu instid0(VALU_DEP_2) | instskip(NEXT) | instid1(VALU_DEP_2)
	v_fmac_f32_e32 v159, v2, v9
	v_dual_mul_f32 v2, v2, v10 :: v_dual_fmac_f32 v161, v4, v11
	s_delay_alu instid0(VALU_DEP_1) | instskip(SKIP_1) | instid1(VALU_DEP_1)
	v_fma_f32 v160, v1, v9, -v2
	v_mul_f32_e32 v1, v4, v12
	v_fma_f32 v162, v3, v11, -v1
	s_clause 0x1
	scratch_load_b128 v[1:4], off, off offset:304
	scratch_load_b128 v[9:12], off, off offset:320
	s_wait_loadcnt_dscnt 0x100
	v_mul_f32_e32 v163, v5, v2
	v_dual_mul_f32 v165, v7, v4 :: v_dual_mul_f32 v2, v6, v2
	s_delay_alu instid0(VALU_DEP_2) | instskip(NEXT) | instid1(VALU_DEP_2)
	v_fmac_f32_e32 v163, v6, v1
	v_fmac_f32_e32 v165, v8, v3
	s_delay_alu instid0(VALU_DEP_3) | instskip(SKIP_1) | instid1(VALU_DEP_1)
	v_fma_f32 v164, v5, v1, -v2
	v_mul_f32_e32 v1, v8, v4
	v_fma_f32 v166, v7, v3, -v1
	ds_load_b128 v[1:4], v21 offset:768
	ds_load_b128 v[5:8], v21 offset:784
	s_wait_loadcnt_dscnt 0x1
	v_mul_f32_e32 v167, v1, v10
	v_mul_f32_e32 v169, v3, v12
	s_delay_alu instid0(VALU_DEP_2) | instskip(NEXT) | instid1(VALU_DEP_2)
	v_fmac_f32_e32 v167, v2, v9
	v_dual_mul_f32 v2, v2, v10 :: v_dual_fmac_f32 v169, v4, v11
	s_delay_alu instid0(VALU_DEP_1) | instskip(SKIP_1) | instid1(VALU_DEP_1)
	v_fma_f32 v168, v1, v9, -v2
	v_mul_f32_e32 v1, v4, v12
	v_fma_f32 v170, v3, v11, -v1
	s_clause 0x1
	scratch_load_b128 v[1:4], off, off offset:336
	scratch_load_b128 v[9:12], off, off offset:352
	s_wait_loadcnt_dscnt 0x100
	v_mul_f32_e32 v171, v5, v2
	v_mul_f32_e32 v2, v6, v2
	s_delay_alu instid0(VALU_DEP_1) | instskip(SKIP_1) | instid1(VALU_DEP_1)
	v_fma_f32 v172, v5, v1, -v2
	v_add_f32_e32 v2, 0, v135
	v_add_f32_e32 v2, v2, v136
	s_delay_alu instid0(VALU_DEP_1) | instskip(NEXT) | instid1(VALU_DEP_1)
	v_add_f32_e32 v2, v2, v139
	v_add_f32_e32 v2, v2, v140
	v_mul_f32_e32 v173, v7, v4
	v_fmac_f32_e32 v171, v6, v1
	s_delay_alu instid0(VALU_DEP_2) | instskip(NEXT) | instid1(VALU_DEP_1)
	v_dual_add_f32 v2, v2, v141 :: v_dual_fmac_f32 v173, v8, v3
	v_dual_add_f32 v2, v2, v150 :: v_dual_mul_f32 v1, v8, v4
	s_delay_alu instid0(VALU_DEP_1) | instskip(NEXT) | instid1(VALU_DEP_2)
	v_add_f32_e32 v2, v2, v146
	v_fma_f32 v174, v7, v3, -v1
	s_delay_alu instid0(VALU_DEP_2) | instskip(NEXT) | instid1(VALU_DEP_1)
	v_dual_add_f32 v1, 0, v24 :: v_dual_add_f32 v2, v2, v147
	v_dual_add_f32 v1, v1, v138 :: v_dual_add_f32 v2, v2, v15
	s_delay_alu instid0(VALU_DEP_1) | instskip(NEXT) | instid1(VALU_DEP_2)
	v_add_f32_e32 v1, v1, v142
	v_add_f32_e32 v5, v2, v18
	s_delay_alu instid0(VALU_DEP_2) | instskip(NEXT) | instid1(VALU_DEP_1)
	v_add_f32_e32 v1, v1, v143
	v_add_f32_e32 v1, v1, v144
	s_delay_alu instid0(VALU_DEP_1) | instskip(NEXT) | instid1(VALU_DEP_1)
	v_add_f32_e32 v1, v1, v145
	v_add_f32_e32 v1, v1, v13
	;; [unrolled: 1-line block ×3, first 2 shown]
	s_delay_alu instid0(VALU_DEP_2) | instskip(NEXT) | instid1(VALU_DEP_2)
	v_add_f32_e32 v1, v1, v14
	v_add_f32_e32 v13, v13, v20
	s_delay_alu instid0(VALU_DEP_2) | instskip(NEXT) | instid1(VALU_DEP_1)
	v_add_f32_e32 v1, v1, v16
	v_add_f32_e32 v1, v1, v17
	s_delay_alu instid0(VALU_DEP_1)
	v_add_f32_e32 v6, v1, v148
	scratch_load_b128 v[1:4], off, off offset:368
	v_dual_add_f32 v13, v13, v151 :: v_dual_add_f32 v14, v6, v149
	ds_load_b128 v[5:8], v21 offset:800
	v_add_f32_e32 v18, v13, v152
	v_add_f32_e32 v14, v14, v153
	s_delay_alu instid0(VALU_DEP_2) | instskip(NEXT) | instid1(VALU_DEP_2)
	v_add_f32_e32 v18, v18, v155
	v_add_f32_e32 v17, v14, v154
	ds_load_b128 v[13:16], v21 offset:816
	v_add_f32_e32 v18, v18, v157
	s_wait_loadcnt_dscnt 0x101
	s_delay_alu instid0(VALU_DEP_1) | instskip(SKIP_3) | instid1(VALU_DEP_4)
	v_dual_add_f32 v135, v18, v159 :: v_dual_mul_f32 v24, v5, v10
	v_mul_f32_e32 v10, v6, v10
	v_mul_f32_e32 v144, v7, v12
	;; [unrolled: 1-line block ×3, first 2 shown]
	v_add_f32_e32 v138, v135, v161
	v_fmac_f32_e32 v24, v6, v9
	v_fma_f32 v145, v5, v9, -v10
	v_fmac_f32_e32 v144, v8, v11
	v_fma_f32 v146, v7, v11, -v12
	scratch_load_b128 v[5:8], off, off offset:384
	v_add_f32_e32 v138, v138, v163
	scratch_load_b128 v[9:12], off, off offset:400
	v_add_f32_e32 v138, v138, v165
	s_wait_loadcnt_dscnt 0x200
	v_mul_f32_e32 v148, v15, v4
	v_add_f32_e32 v17, v17, v156
	v_dual_mul_f32 v4, v16, v4 :: v_dual_mul_f32 v147, v13, v2
	v_mul_f32_e32 v2, v14, v2
	s_delay_alu instid0(VALU_DEP_3) | instskip(NEXT) | instid1(VALU_DEP_3)
	v_dual_fmac_f32 v148, v16, v3 :: v_dual_add_f32 v17, v17, v158
	v_fma_f32 v150, v15, v3, -v4
	s_delay_alu instid0(VALU_DEP_3) | instskip(SKIP_1) | instid1(VALU_DEP_4)
	v_fma_f32 v149, v13, v1, -v2
	v_add_f32_e32 v13, v138, v167
	v_add_f32_e32 v17, v17, v160
	s_delay_alu instid0(VALU_DEP_2) | instskip(NEXT) | instid1(VALU_DEP_2)
	v_add_f32_e32 v138, v13, v169
	v_add_f32_e32 v136, v17, v162
	scratch_load_b128 v[17:20], off, off offset:416
	v_add_f32_e32 v143, v138, v171
	v_add_f32_e32 v139, v136, v164
	scratch_load_b64 v[135:136], off, off offset:432
	v_add_f32_e32 v152, v143, v173
	s_delay_alu instid0(VALU_DEP_1) | instskip(NEXT) | instid1(VALU_DEP_1)
	v_dual_add_f32 v139, v139, v166 :: v_dual_add_f32 v24, v152, v24
	v_add_f32_e32 v139, v139, v168
	v_fmac_f32_e32 v147, v14, v1
	ds_load_b128 v[1:4], v21 offset:832
	v_add_f32_e32 v24, v24, v144
	v_add_f32_e32 v14, v139, v170
	ds_load_b128 v[138:141], v21 offset:864
	v_add_f32_e32 v24, v24, v147
	v_add_f32_e32 v142, v14, v172
	ds_load_b128 v[13:16], v21 offset:848
	v_dual_add_f32 v24, v24, v148 :: v_dual_add_f32 v151, v142, v174
	ds_load_b64 v[142:143], v21 offset:880
	s_wait_loadcnt_dscnt 0x303
	v_mul_f32_e32 v144, v3, v8
	v_add_f32_e32 v145, v151, v145
	v_dual_mul_f32 v151, v1, v6 :: v_dual_mul_f32 v8, v4, v8
	v_mul_f32_e32 v6, v2, v6
	s_delay_alu instid0(VALU_DEP_3) | instskip(NEXT) | instid1(VALU_DEP_3)
	v_dual_fmac_f32 v144, v4, v7 :: v_dual_add_f32 v145, v145, v146
	v_fmac_f32_e32 v151, v2, v5
	s_delay_alu instid0(VALU_DEP_4) | instskip(NEXT) | instid1(VALU_DEP_4)
	v_fma_f32 v2, v3, v7, -v8
	v_fma_f32 v1, v1, v5, -v6
	s_wait_loadcnt_dscnt 0x201
	v_dual_mul_f32 v146, v13, v10 :: v_dual_mul_f32 v147, v15, v12
	v_add_f32_e32 v145, v145, v149
	v_dual_mul_f32 v3, v14, v10 :: v_dual_add_f32 v4, v24, v151
	s_delay_alu instid0(VALU_DEP_3) | instskip(NEXT) | instid1(VALU_DEP_3)
	v_dual_mul_f32 v5, v16, v12 :: v_dual_fmac_f32 v146, v14, v9
	v_add_f32_e32 v145, v145, v150
	v_fmac_f32_e32 v147, v16, v11
	s_delay_alu instid0(VALU_DEP_4) | instskip(NEXT) | instid1(VALU_DEP_4)
	v_fma_f32 v3, v13, v9, -v3
	v_fma_f32 v5, v15, v11, -v5
	s_wait_loadcnt 0x1
	v_dual_mul_f32 v149, v138, v18 :: v_dual_mul_f32 v150, v140, v20
	s_wait_loadcnt_dscnt 0x0
	v_dual_mul_f32 v148, v142, v136 :: v_dual_add_f32 v1, v145, v1
	s_delay_alu instid0(VALU_DEP_2) | instskip(NEXT) | instid1(VALU_DEP_2)
	v_dual_fmac_f32 v149, v139, v17 :: v_dual_fmac_f32 v150, v141, v19
	v_dual_fmac_f32 v148, v143, v135 :: v_dual_add_f32 v1, v1, v2
	v_add_f32_e32 v2, v4, v144
	s_delay_alu instid0(VALU_DEP_1) | instskip(NEXT) | instid1(VALU_DEP_1)
	v_add_f32_e32 v2, v2, v146
	v_add_f32_e32 v2, v2, v147
	s_delay_alu instid0(VALU_DEP_4) | instskip(NEXT) | instid1(VALU_DEP_2)
	v_dual_mul_f32 v4, v139, v18 :: v_dual_add_f32 v1, v1, v3
	v_dual_mul_f32 v3, v141, v20 :: v_dual_add_f32 v2, v2, v149
	s_delay_alu instid0(VALU_DEP_2) | instskip(NEXT) | instid1(VALU_DEP_3)
	v_fma_f32 v4, v138, v17, -v4
	v_add_f32_e32 v1, v1, v5
	v_mul_f32_e32 v5, v143, v136
	s_delay_alu instid0(VALU_DEP_4) | instskip(SKIP_1) | instid1(VALU_DEP_1)
	v_fma_f32 v3, v140, v19, -v3
	v_add_f32_e32 v2, v2, v150
	v_add_f32_e32 v2, v2, v148
	;; [unrolled: 1-line block ×3, first 2 shown]
	v_fma_f32 v4, v142, v135, -v5
	s_delay_alu instid0(VALU_DEP_2) | instskip(NEXT) | instid1(VALU_DEP_1)
	v_dual_sub_f32 v2, v23, v2 :: v_dual_add_f32 v1, v1, v3
	v_add_f32_e32 v1, v1, v4
	s_delay_alu instid0(VALU_DEP_1)
	v_sub_f32_e32 v1, v22, v1
	scratch_store_b64 off, v[1:2], off offset:152
	v_cmpx_lt_u32_e32 18, v0
	s_cbranch_execz .LBB54_307
; %bb.306:
	scratch_load_b64 v[1:2], off, off offset:144
	v_mov_b32_e32 v22, v21
	scratch_store_b64 off, v[21:22], off offset:144
	s_wait_loadcnt 0x0
	ds_store_b64 v137, v[1:2]
.LBB54_307:
	s_wait_alu 0xfffe
	s_or_b32 exec_lo, exec_lo, s0
	s_wait_storecnt_dscnt 0x0
	s_barrier_signal -1
	s_barrier_wait -1
	global_inv scope:SCOPE_SE
	s_clause 0x4
	scratch_load_b128 v[5:8], off, off offset:152
	scratch_load_b128 v[1:4], off, off offset:168
	;; [unrolled: 1-line block ×5, first 2 shown]
	ds_load_2addr_b64 v[138:141], v21 offset0:75 offset1:76
	ds_load_2addr_b64 v[142:145], v21 offset0:77 offset1:78
	ds_load_2addr_b64 v[146:149], v21 offset0:79 offset1:80
	scratch_load_b64 v[135:136], off, off offset:144
	s_mov_b32 s0, exec_lo
	s_wait_loadcnt_dscnt 0x502
	v_mul_f32_e32 v22, v139, v6
	v_dual_mul_f32 v23, v138, v6 :: v_dual_mul_f32 v24, v140, v8
	v_mul_f32_e32 v6, v141, v8
	s_delay_alu instid0(VALU_DEP_3) | instskip(NEXT) | instid1(VALU_DEP_3)
	v_fma_f32 v22, v138, v5, -v22
	v_dual_fmac_f32 v23, v139, v5 :: v_dual_fmac_f32 v24, v141, v7
	s_wait_loadcnt_dscnt 0x401
	v_mul_f32_e32 v139, v142, v2
	v_fma_f32 v138, v140, v7, -v6
	ds_load_2addr_b64 v[5:8], v21 offset0:81 offset1:82
	s_wait_loadcnt_dscnt 0x301
	v_dual_mul_f32 v140, v144, v4 :: v_dual_mul_f32 v141, v146, v10
	v_dual_mul_f32 v4, v145, v4 :: v_dual_fmac_f32 v139, v143, v1
	v_mul_f32_e32 v10, v147, v10
	s_delay_alu instid0(VALU_DEP_3)
	v_dual_mul_f32 v150, v148, v12 :: v_dual_fmac_f32 v141, v147, v9
	v_mul_f32_e32 v12, v149, v12
	v_mul_f32_e32 v2, v143, v2
	v_fmac_f32_e32 v140, v145, v3
	v_fma_f32 v143, v144, v3, -v4
	v_fma_f32 v144, v146, v9, -v10
	v_fmac_f32_e32 v150, v149, v11
	v_fma_f32 v145, v148, v11, -v12
	ds_load_2addr_b64 v[9:12], v21 offset0:83 offset1:84
	s_wait_loadcnt_dscnt 0x201
	v_mul_f32_e32 v146, v5, v14
	v_dual_mul_f32 v14, v6, v14 :: v_dual_mul_f32 v147, v7, v16
	v_mul_f32_e32 v16, v8, v16
	s_delay_alu instid0(VALU_DEP_3) | instskip(NEXT) | instid1(VALU_DEP_3)
	v_fmac_f32_e32 v146, v6, v13
	v_fma_f32 v13, v5, v13, -v14
	s_delay_alu instid0(VALU_DEP_4) | instskip(NEXT) | instid1(VALU_DEP_4)
	v_fmac_f32_e32 v147, v8, v15
	v_fma_f32 v14, v7, v15, -v16
	ds_load_2addr_b64 v[5:8], v21 offset0:85 offset1:86
	s_wait_loadcnt_dscnt 0x101
	v_mul_f32_e32 v15, v9, v18
	v_mul_f32_e32 v16, v10, v18
	;; [unrolled: 1-line block ×3, first 2 shown]
	s_delay_alu instid0(VALU_DEP_3)
	v_dual_mul_f32 v20, v12, v20 :: v_dual_fmac_f32 v15, v10, v17
	v_fma_f32 v142, v142, v1, -v2
	scratch_load_b128 v[1:4], off, off offset:232
	v_fma_f32 v16, v9, v17, -v16
	v_fmac_f32_e32 v18, v12, v19
	v_fma_f32 v17, v11, v19, -v20
	scratch_load_b128 v[9:12], off, off offset:248
	s_wait_loadcnt_dscnt 0x100
	v_mul_f32_e32 v19, v5, v2
	v_mul_f32_e32 v2, v6, v2
	;; [unrolled: 1-line block ×3, first 2 shown]
	s_delay_alu instid0(VALU_DEP_3) | instskip(NEXT) | instid1(VALU_DEP_3)
	v_dual_mul_f32 v4, v8, v4 :: v_dual_fmac_f32 v19, v6, v1
	v_fma_f32 v148, v5, v1, -v2
	s_delay_alu instid0(VALU_DEP_3) | instskip(NEXT) | instid1(VALU_DEP_3)
	v_fmac_f32_e32 v20, v8, v3
	v_fma_f32 v149, v7, v3, -v4
	ds_load_2addr_b64 v[1:4], v21 offset0:87 offset1:88
	ds_load_2addr_b64 v[5:8], v21 offset0:89 offset1:90
	s_wait_loadcnt_dscnt 0x1
	v_mul_f32_e32 v151, v1, v10
	v_mul_f32_e32 v10, v2, v10
	s_delay_alu instid0(VALU_DEP_2) | instskip(NEXT) | instid1(VALU_DEP_2)
	v_dual_mul_f32 v152, v3, v12 :: v_dual_fmac_f32 v151, v2, v9
	v_fma_f32 v153, v1, v9, -v10
	v_mul_f32_e32 v1, v4, v12
	s_delay_alu instid0(VALU_DEP_3) | instskip(NEXT) | instid1(VALU_DEP_2)
	v_fmac_f32_e32 v152, v4, v11
	v_fma_f32 v154, v3, v11, -v1
	s_clause 0x1
	scratch_load_b128 v[1:4], off, off offset:264
	scratch_load_b128 v[9:12], off, off offset:280
	s_wait_loadcnt_dscnt 0x100
	v_mul_f32_e32 v155, v5, v2
	v_dual_mul_f32 v2, v6, v2 :: v_dual_mul_f32 v157, v7, v4
	s_delay_alu instid0(VALU_DEP_2) | instskip(NEXT) | instid1(VALU_DEP_2)
	v_fmac_f32_e32 v155, v6, v1
	v_fma_f32 v156, v5, v1, -v2
	v_mul_f32_e32 v1, v8, v4
	s_delay_alu instid0(VALU_DEP_4) | instskip(NEXT) | instid1(VALU_DEP_2)
	v_fmac_f32_e32 v157, v8, v3
	v_fma_f32 v158, v7, v3, -v1
	ds_load_2addr_b64 v[1:4], v21 offset0:91 offset1:92
	ds_load_2addr_b64 v[5:8], v21 offset0:93 offset1:94
	s_wait_loadcnt_dscnt 0x1
	v_mul_f32_e32 v159, v1, v10
	v_mul_f32_e32 v161, v3, v12
	s_delay_alu instid0(VALU_DEP_2) | instskip(NEXT) | instid1(VALU_DEP_2)
	v_fmac_f32_e32 v159, v2, v9
	v_dual_mul_f32 v2, v2, v10 :: v_dual_fmac_f32 v161, v4, v11
	s_delay_alu instid0(VALU_DEP_1) | instskip(SKIP_1) | instid1(VALU_DEP_1)
	v_fma_f32 v160, v1, v9, -v2
	v_mul_f32_e32 v1, v4, v12
	v_fma_f32 v162, v3, v11, -v1
	s_clause 0x1
	scratch_load_b128 v[1:4], off, off offset:296
	scratch_load_b128 v[9:12], off, off offset:312
	s_wait_loadcnt_dscnt 0x100
	v_mul_f32_e32 v163, v5, v2
	v_dual_mul_f32 v2, v6, v2 :: v_dual_mul_f32 v165, v7, v4
	s_delay_alu instid0(VALU_DEP_2) | instskip(NEXT) | instid1(VALU_DEP_2)
	v_fmac_f32_e32 v163, v6, v1
	v_fma_f32 v164, v5, v1, -v2
	v_mul_f32_e32 v1, v8, v4
	s_delay_alu instid0(VALU_DEP_4) | instskip(NEXT) | instid1(VALU_DEP_2)
	v_fmac_f32_e32 v165, v8, v3
	v_fma_f32 v166, v7, v3, -v1
	ds_load_2addr_b64 v[1:4], v21 offset0:95 offset1:96
	ds_load_2addr_b64 v[5:8], v21 offset0:97 offset1:98
	s_wait_loadcnt_dscnt 0x1
	v_mul_f32_e32 v167, v1, v10
	v_mul_f32_e32 v169, v3, v12
	s_delay_alu instid0(VALU_DEP_2) | instskip(NEXT) | instid1(VALU_DEP_2)
	v_fmac_f32_e32 v167, v2, v9
	v_dual_mul_f32 v2, v2, v10 :: v_dual_fmac_f32 v169, v4, v11
	s_delay_alu instid0(VALU_DEP_1) | instskip(SKIP_1) | instid1(VALU_DEP_1)
	v_fma_f32 v168, v1, v9, -v2
	v_mul_f32_e32 v1, v4, v12
	;; [unrolled: 25-line block ×3, first 2 shown]
	v_fma_f32 v178, v3, v11, -v1
	s_clause 0x1
	scratch_load_b128 v[1:4], off, off offset:360
	scratch_load_b128 v[9:12], off, off offset:376
	s_wait_loadcnt_dscnt 0x100
	v_mul_f32_e32 v179, v5, v2
	v_mul_f32_e32 v2, v6, v2
	s_delay_alu instid0(VALU_DEP_1) | instskip(SKIP_1) | instid1(VALU_DEP_1)
	v_fma_f32 v180, v5, v1, -v2
	v_add_f32_e32 v2, 0, v23
	v_add_f32_e32 v2, v2, v24
	s_delay_alu instid0(VALU_DEP_1) | instskip(NEXT) | instid1(VALU_DEP_1)
	v_add_f32_e32 v2, v2, v139
	v_add_f32_e32 v2, v2, v140
	s_delay_alu instid0(VALU_DEP_1) | instskip(NEXT) | instid1(VALU_DEP_1)
	;; [unrolled: 3-line block ×3, first 2 shown]
	v_add_f32_e32 v2, v2, v146
	v_add_f32_e32 v2, v2, v147
	s_delay_alu instid0(VALU_DEP_1) | instskip(SKIP_1) | instid1(VALU_DEP_2)
	v_add_f32_e32 v2, v2, v15
	v_fmac_f32_e32 v179, v6, v1
	v_dual_mul_f32 v181, v7, v4 :: v_dual_add_f32 v2, v2, v18
	s_delay_alu instid0(VALU_DEP_1) | instskip(NEXT) | instid1(VALU_DEP_1)
	v_dual_mul_f32 v1, v8, v4 :: v_dual_add_f32 v2, v2, v19
	v_fma_f32 v182, v7, v3, -v1
	v_add_f32_e32 v1, 0, v22
	s_delay_alu instid0(VALU_DEP_3) | instskip(NEXT) | instid1(VALU_DEP_2)
	v_dual_fmac_f32 v181, v8, v3 :: v_dual_add_f32 v2, v2, v20
	v_add_f32_e32 v1, v1, v138
	s_delay_alu instid0(VALU_DEP_2) | instskip(NEXT) | instid1(VALU_DEP_2)
	v_add_f32_e32 v5, v2, v151
	v_add_f32_e32 v1, v1, v142
	s_delay_alu instid0(VALU_DEP_2) | instskip(NEXT) | instid1(VALU_DEP_2)
	v_add_f32_e32 v5, v5, v152
	;; [unrolled: 3-line block ×3, first 2 shown]
	v_add_f32_e32 v1, v1, v144
	s_delay_alu instid0(VALU_DEP_1) | instskip(NEXT) | instid1(VALU_DEP_1)
	v_add_f32_e32 v1, v1, v145
	v_add_f32_e32 v1, v1, v13
	s_delay_alu instid0(VALU_DEP_1) | instskip(SKIP_1) | instid1(VALU_DEP_1)
	v_add_f32_e32 v1, v1, v14
	v_add_f32_e32 v14, v5, v157
	v_dual_add_f32 v1, v1, v16 :: v_dual_add_f32 v14, v14, v159
	s_delay_alu instid0(VALU_DEP_1) | instskip(NEXT) | instid1(VALU_DEP_1)
	v_add_f32_e32 v1, v1, v17
	v_dual_add_f32 v14, v14, v161 :: v_dual_add_f32 v1, v1, v148
	s_delay_alu instid0(VALU_DEP_1) | instskip(NEXT) | instid1(VALU_DEP_2)
	v_add_f32_e32 v17, v14, v163
	v_add_f32_e32 v1, v1, v149
	s_delay_alu instid0(VALU_DEP_2) | instskip(NEXT) | instid1(VALU_DEP_2)
	v_add_f32_e32 v17, v17, v165
	v_add_f32_e32 v1, v1, v153
	s_delay_alu instid0(VALU_DEP_1) | instskip(SKIP_2) | instid1(VALU_DEP_1)
	v_add_f32_e32 v6, v1, v154
	ds_load_2addr_b64 v[1:4], v21 offset0:103 offset1:104
	v_dual_add_f32 v17, v17, v167 :: v_dual_add_f32 v6, v6, v156
	v_add_f32_e32 v17, v17, v169
	s_delay_alu instid0(VALU_DEP_2)
	v_add_f32_e32 v13, v6, v158
	ds_load_2addr_b64 v[5:8], v21 offset0:105 offset1:106
	s_wait_loadcnt_dscnt 0x1
	v_mul_f32_e32 v138, v1, v10
	v_dual_mul_f32 v10, v2, v10 :: v_dual_mul_f32 v139, v3, v12
	v_dual_mul_f32 v12, v4, v12 :: v_dual_add_f32 v23, v17, v171
	s_delay_alu instid0(VALU_DEP_3) | instskip(NEXT) | instid1(VALU_DEP_3)
	v_dual_fmac_f32 v138, v2, v9 :: v_dual_add_f32 v13, v13, v160
	v_fma_f32 v140, v1, v9, -v10
	s_delay_alu instid0(VALU_DEP_3) | instskip(NEXT) | instid1(VALU_DEP_4)
	v_fma_f32 v141, v3, v11, -v12
	v_add_f32_e32 v143, v23, v173
	s_delay_alu instid0(VALU_DEP_4) | instskip(NEXT) | instid1(VALU_DEP_1)
	v_add_f32_e32 v13, v13, v162
	v_add_f32_e32 v13, v13, v164
	s_delay_alu instid0(VALU_DEP_1) | instskip(SKIP_2) | instid1(VALU_DEP_1)
	v_add_f32_e32 v18, v13, v166
	scratch_load_b128 v[13:16], off, off offset:424
	v_add_f32_e32 v18, v18, v168
	v_add_f32_e32 v18, v18, v170
	s_delay_alu instid0(VALU_DEP_1)
	v_add_f32_e32 v22, v18, v172
	ds_load_2addr_b64 v[17:20], v21 offset0:107 offset1:108
	v_add_f32_e32 v142, v22, v174
	ds_load_2addr_b64 v[21:24], v21 offset0:109 offset1:110
	v_fmac_f32_e32 v139, v4, v11
	s_clause 0x1
	scratch_load_b128 v[1:4], off, off offset:392
	scratch_load_b128 v[9:12], off, off offset:408
	v_add_f32_e32 v142, v142, v176
	s_delay_alu instid0(VALU_DEP_1) | instskip(NEXT) | instid1(VALU_DEP_1)
	v_add_f32_e32 v142, v142, v178
	v_add_f32_e32 v142, v142, v180
	s_delay_alu instid0(VALU_DEP_1) | instskip(NEXT) | instid1(VALU_DEP_1)
	v_add_f32_e32 v142, v142, v182
	v_add_f32_e32 v140, v142, v140
	s_wait_loadcnt_dscnt 0x200
	v_mul_f32_e32 v142, v23, v16
	v_mul_f32_e32 v148, v21, v14
	s_delay_alu instid0(VALU_DEP_2) | instskip(SKIP_1) | instid1(VALU_DEP_2)
	v_fmac_f32_e32 v142, v24, v15
	s_wait_loadcnt 0x1
	v_dual_fmac_f32 v148, v22, v13 :: v_dual_mul_f32 v145, v7, v4
	s_wait_loadcnt 0x0
	v_dual_mul_f32 v147, v19, v12 :: v_dual_mul_f32 v144, v5, v2
	v_mul_f32_e32 v2, v6, v2
	v_mul_f32_e32 v4, v8, v4
	v_fmac_f32_e32 v145, v8, v3
	v_add_f32_e32 v143, v143, v175
	v_fmac_f32_e32 v147, v20, v11
	v_fma_f32 v2, v5, v1, -v2
	v_fmac_f32_e32 v144, v6, v1
	v_add_f32_e32 v1, v140, v141
	v_dual_add_f32 v143, v143, v177 :: v_dual_mul_f32 v146, v17, v10
	v_mul_f32_e32 v6, v18, v10
	v_fma_f32 v3, v7, v3, -v4
	s_delay_alu instid0(VALU_DEP_4) | instskip(NEXT) | instid1(VALU_DEP_4)
	v_add_f32_e32 v1, v1, v2
	v_dual_add_f32 v143, v143, v179 :: v_dual_mul_f32 v4, v20, v12
	s_delay_alu instid0(VALU_DEP_2) | instskip(NEXT) | instid1(VALU_DEP_2)
	v_dual_fmac_f32 v146, v18, v9 :: v_dual_add_f32 v1, v1, v3
	v_add_f32_e32 v143, v143, v181
	v_mul_f32_e32 v3, v22, v14
	s_delay_alu instid0(VALU_DEP_4) | instskip(NEXT) | instid1(VALU_DEP_3)
	v_fma_f32 v4, v19, v11, -v4
	v_add_f32_e32 v138, v143, v138
	s_delay_alu instid0(VALU_DEP_3) | instskip(NEXT) | instid1(VALU_DEP_2)
	v_fma_f32 v3, v21, v13, -v3
	v_add_f32_e32 v5, v138, v139
	s_delay_alu instid0(VALU_DEP_1) | instskip(SKIP_1) | instid1(VALU_DEP_2)
	v_add_f32_e32 v2, v5, v144
	v_fma_f32 v5, v17, v9, -v6
	v_add_f32_e32 v2, v2, v145
	s_delay_alu instid0(VALU_DEP_2) | instskip(NEXT) | instid1(VALU_DEP_2)
	v_add_f32_e32 v1, v1, v5
	v_dual_mul_f32 v5, v24, v16 :: v_dual_add_f32 v2, v2, v146
	s_delay_alu instid0(VALU_DEP_2) | instskip(NEXT) | instid1(VALU_DEP_2)
	v_add_f32_e32 v1, v1, v4
	v_fma_f32 v4, v23, v15, -v5
	s_delay_alu instid0(VALU_DEP_3) | instskip(NEXT) | instid1(VALU_DEP_1)
	v_add_f32_e32 v2, v2, v147
	v_dual_add_f32 v1, v1, v3 :: v_dual_add_f32 v2, v2, v148
	s_delay_alu instid0(VALU_DEP_1) | instskip(NEXT) | instid1(VALU_DEP_1)
	v_dual_add_f32 v1, v1, v4 :: v_dual_add_f32 v2, v2, v142
	v_dual_sub_f32 v1, v135, v1 :: v_dual_sub_f32 v2, v136, v2
	scratch_store_b64 off, v[1:2], off offset:144
	v_cmpx_lt_u32_e32 17, v0
	s_cbranch_execz .LBB54_309
; %bb.308:
	scratch_load_b64 v[1:2], off, off offset:136
	v_mov_b32_e32 v3, 0
	s_delay_alu instid0(VALU_DEP_1)
	v_mov_b32_e32 v4, v3
	scratch_store_b64 off, v[3:4], off offset:136
	s_wait_loadcnt 0x0
	ds_store_b64 v137, v[1:2]
.LBB54_309:
	s_wait_alu 0xfffe
	s_or_b32 exec_lo, exec_lo, s0
	s_wait_storecnt_dscnt 0x0
	s_barrier_signal -1
	s_barrier_wait -1
	global_inv scope:SCOPE_SE
	s_clause 0x4
	scratch_load_b128 v[5:8], off, off offset:144
	scratch_load_b128 v[1:4], off, off offset:160
	;; [unrolled: 1-line block ×5, first 2 shown]
	v_mov_b32_e32 v21, 0
	ds_load_b128 v[138:141], v21 offset:592
	ds_load_b128 v[142:145], v21 offset:608
	;; [unrolled: 1-line block ×3, first 2 shown]
	scratch_load_b64 v[22:23], off, off offset:136
	s_mov_b32 s0, exec_lo
	s_wait_loadcnt_dscnt 0x502
	v_mul_f32_e32 v24, v139, v6
	v_dual_mul_f32 v135, v138, v6 :: v_dual_mul_f32 v136, v140, v8
	v_mul_f32_e32 v6, v141, v8
	s_delay_alu instid0(VALU_DEP_3) | instskip(NEXT) | instid1(VALU_DEP_3)
	v_fma_f32 v24, v138, v5, -v24
	v_dual_fmac_f32 v135, v139, v5 :: v_dual_fmac_f32 v136, v141, v7
	s_wait_loadcnt_dscnt 0x401
	v_mul_f32_e32 v139, v142, v2
	v_fma_f32 v138, v140, v7, -v6
	ds_load_b128 v[5:8], v21 offset:640
	s_wait_loadcnt_dscnt 0x301
	v_dual_mul_f32 v140, v144, v4 :: v_dual_mul_f32 v141, v146, v10
	v_dual_mul_f32 v4, v145, v4 :: v_dual_fmac_f32 v139, v143, v1
	v_mul_f32_e32 v10, v147, v10
	s_delay_alu instid0(VALU_DEP_3)
	v_dual_mul_f32 v150, v148, v12 :: v_dual_fmac_f32 v141, v147, v9
	v_mul_f32_e32 v12, v149, v12
	v_mul_f32_e32 v2, v143, v2
	v_fmac_f32_e32 v140, v145, v3
	v_fma_f32 v143, v144, v3, -v4
	v_fma_f32 v144, v146, v9, -v10
	v_fmac_f32_e32 v150, v149, v11
	v_fma_f32 v145, v148, v11, -v12
	ds_load_b128 v[9:12], v21 offset:656
	s_wait_loadcnt_dscnt 0x201
	v_dual_mul_f32 v147, v7, v16 :: v_dual_mul_f32 v146, v5, v14
	v_mul_f32_e32 v14, v6, v14
	v_mul_f32_e32 v16, v8, v16
	s_delay_alu instid0(VALU_DEP_3)
	v_fmac_f32_e32 v147, v8, v15
	v_fma_f32 v142, v142, v1, -v2
	scratch_load_b128 v[1:4], off, off offset:224
	v_fmac_f32_e32 v146, v6, v13
	v_fma_f32 v13, v5, v13, -v14
	v_fma_f32 v14, v7, v15, -v16
	ds_load_b128 v[5:8], v21 offset:672
	s_wait_loadcnt_dscnt 0x201
	v_mul_f32_e32 v15, v9, v18
	v_mul_f32_e32 v16, v10, v18
	;; [unrolled: 1-line block ×3, first 2 shown]
	s_delay_alu instid0(VALU_DEP_3) | instskip(NEXT) | instid1(VALU_DEP_3)
	v_dual_mul_f32 v20, v12, v20 :: v_dual_fmac_f32 v15, v10, v17
	v_fma_f32 v16, v9, v17, -v16
	s_delay_alu instid0(VALU_DEP_3) | instskip(NEXT) | instid1(VALU_DEP_3)
	v_fmac_f32_e32 v18, v12, v19
	v_fma_f32 v17, v11, v19, -v20
	scratch_load_b128 v[9:12], off, off offset:240
	s_wait_loadcnt_dscnt 0x100
	v_mul_f32_e32 v19, v5, v2
	v_mul_f32_e32 v2, v6, v2
	;; [unrolled: 1-line block ×3, first 2 shown]
	s_delay_alu instid0(VALU_DEP_3) | instskip(NEXT) | instid1(VALU_DEP_3)
	v_dual_mul_f32 v4, v8, v4 :: v_dual_fmac_f32 v19, v6, v1
	v_fma_f32 v148, v5, v1, -v2
	s_delay_alu instid0(VALU_DEP_3) | instskip(NEXT) | instid1(VALU_DEP_3)
	v_fmac_f32_e32 v20, v8, v3
	v_fma_f32 v149, v7, v3, -v4
	ds_load_b128 v[1:4], v21 offset:688
	ds_load_b128 v[5:8], v21 offset:704
	s_wait_loadcnt_dscnt 0x1
	v_mul_f32_e32 v151, v1, v10
	v_mul_f32_e32 v10, v2, v10
	s_delay_alu instid0(VALU_DEP_2) | instskip(NEXT) | instid1(VALU_DEP_2)
	v_dual_mul_f32 v152, v3, v12 :: v_dual_fmac_f32 v151, v2, v9
	v_fma_f32 v153, v1, v9, -v10
	v_mul_f32_e32 v1, v4, v12
	s_delay_alu instid0(VALU_DEP_3) | instskip(NEXT) | instid1(VALU_DEP_2)
	v_fmac_f32_e32 v152, v4, v11
	v_fma_f32 v154, v3, v11, -v1
	s_clause 0x1
	scratch_load_b128 v[1:4], off, off offset:256
	scratch_load_b128 v[9:12], off, off offset:272
	s_wait_loadcnt_dscnt 0x100
	v_mul_f32_e32 v155, v5, v2
	v_dual_mul_f32 v2, v6, v2 :: v_dual_mul_f32 v157, v7, v4
	s_delay_alu instid0(VALU_DEP_2) | instskip(NEXT) | instid1(VALU_DEP_2)
	v_fmac_f32_e32 v155, v6, v1
	v_fma_f32 v156, v5, v1, -v2
	v_mul_f32_e32 v1, v8, v4
	s_delay_alu instid0(VALU_DEP_4) | instskip(NEXT) | instid1(VALU_DEP_2)
	v_fmac_f32_e32 v157, v8, v3
	v_fma_f32 v158, v7, v3, -v1
	ds_load_b128 v[1:4], v21 offset:720
	ds_load_b128 v[5:8], v21 offset:736
	s_wait_loadcnt_dscnt 0x1
	v_mul_f32_e32 v159, v1, v10
	v_mul_f32_e32 v161, v3, v12
	s_delay_alu instid0(VALU_DEP_2) | instskip(NEXT) | instid1(VALU_DEP_2)
	v_fmac_f32_e32 v159, v2, v9
	v_dual_mul_f32 v2, v2, v10 :: v_dual_fmac_f32 v161, v4, v11
	s_delay_alu instid0(VALU_DEP_1) | instskip(SKIP_1) | instid1(VALU_DEP_1)
	v_fma_f32 v160, v1, v9, -v2
	v_mul_f32_e32 v1, v4, v12
	v_fma_f32 v162, v3, v11, -v1
	s_clause 0x1
	scratch_load_b128 v[1:4], off, off offset:288
	scratch_load_b128 v[9:12], off, off offset:304
	s_wait_loadcnt_dscnt 0x100
	v_mul_f32_e32 v163, v5, v2
	v_dual_mul_f32 v165, v7, v4 :: v_dual_mul_f32 v2, v6, v2
	s_delay_alu instid0(VALU_DEP_2) | instskip(NEXT) | instid1(VALU_DEP_2)
	v_fmac_f32_e32 v163, v6, v1
	v_fmac_f32_e32 v165, v8, v3
	s_delay_alu instid0(VALU_DEP_3) | instskip(SKIP_1) | instid1(VALU_DEP_1)
	v_fma_f32 v164, v5, v1, -v2
	v_mul_f32_e32 v1, v8, v4
	v_fma_f32 v166, v7, v3, -v1
	ds_load_b128 v[1:4], v21 offset:752
	ds_load_b128 v[5:8], v21 offset:768
	s_wait_loadcnt_dscnt 0x1
	v_mul_f32_e32 v167, v1, v10
	v_mul_f32_e32 v169, v3, v12
	s_delay_alu instid0(VALU_DEP_2) | instskip(NEXT) | instid1(VALU_DEP_2)
	v_fmac_f32_e32 v167, v2, v9
	v_dual_mul_f32 v2, v2, v10 :: v_dual_fmac_f32 v169, v4, v11
	s_delay_alu instid0(VALU_DEP_1) | instskip(SKIP_1) | instid1(VALU_DEP_1)
	v_fma_f32 v168, v1, v9, -v2
	v_mul_f32_e32 v1, v4, v12
	v_fma_f32 v170, v3, v11, -v1
	s_clause 0x1
	scratch_load_b128 v[1:4], off, off offset:320
	scratch_load_b128 v[9:12], off, off offset:336
	s_wait_loadcnt_dscnt 0x100
	v_mul_f32_e32 v171, v5, v2
	v_dual_mul_f32 v2, v6, v2 :: v_dual_mul_f32 v173, v7, v4
	s_delay_alu instid0(VALU_DEP_2) | instskip(NEXT) | instid1(VALU_DEP_2)
	v_fmac_f32_e32 v171, v6, v1
	v_fma_f32 v172, v5, v1, -v2
	v_mul_f32_e32 v1, v8, v4
	s_delay_alu instid0(VALU_DEP_4) | instskip(NEXT) | instid1(VALU_DEP_2)
	v_fmac_f32_e32 v173, v8, v3
	v_fma_f32 v174, v7, v3, -v1
	ds_load_b128 v[1:4], v21 offset:784
	ds_load_b128 v[5:8], v21 offset:800
	s_wait_loadcnt_dscnt 0x1
	v_mul_f32_e32 v175, v1, v10
	v_mul_f32_e32 v177, v3, v12
	s_delay_alu instid0(VALU_DEP_2) | instskip(NEXT) | instid1(VALU_DEP_2)
	v_fmac_f32_e32 v175, v2, v9
	v_dual_mul_f32 v2, v2, v10 :: v_dual_fmac_f32 v177, v4, v11
	s_delay_alu instid0(VALU_DEP_1) | instskip(SKIP_1) | instid1(VALU_DEP_1)
	v_fma_f32 v176, v1, v9, -v2
	v_mul_f32_e32 v1, v4, v12
	v_fma_f32 v178, v3, v11, -v1
	s_clause 0x1
	scratch_load_b128 v[1:4], off, off offset:352
	scratch_load_b128 v[9:12], off, off offset:368
	s_wait_loadcnt_dscnt 0x100
	v_mul_f32_e32 v179, v5, v2
	v_mul_f32_e32 v2, v6, v2
	s_delay_alu instid0(VALU_DEP_1) | instskip(SKIP_1) | instid1(VALU_DEP_1)
	v_fma_f32 v180, v5, v1, -v2
	v_add_f32_e32 v2, 0, v135
	v_add_f32_e32 v2, v2, v136
	scratch_load_b64 v[135:136], off, off offset:432
	v_add_f32_e32 v2, v2, v139
	s_delay_alu instid0(VALU_DEP_1) | instskip(NEXT) | instid1(VALU_DEP_1)
	v_add_f32_e32 v2, v2, v140
	v_add_f32_e32 v2, v2, v141
	s_delay_alu instid0(VALU_DEP_1) | instskip(NEXT) | instid1(VALU_DEP_1)
	v_add_f32_e32 v2, v2, v150
	;; [unrolled: 3-line block ×3, first 2 shown]
	v_dual_add_f32 v2, v2, v15 :: v_dual_mul_f32 v181, v7, v4
	s_delay_alu instid0(VALU_DEP_1) | instskip(NEXT) | instid1(VALU_DEP_1)
	v_add_f32_e32 v2, v2, v18
	v_add_f32_e32 v2, v2, v19
	s_delay_alu instid0(VALU_DEP_3) | instskip(SKIP_1) | instid1(VALU_DEP_3)
	v_fmac_f32_e32 v181, v8, v3
	v_fmac_f32_e32 v179, v6, v1
	v_add_f32_e32 v2, v2, v20
	s_delay_alu instid0(VALU_DEP_1) | instskip(NEXT) | instid1(VALU_DEP_1)
	v_add_f32_e32 v5, v2, v151
	v_add_f32_e32 v5, v5, v152
	s_delay_alu instid0(VALU_DEP_1) | instskip(SKIP_1) | instid1(VALU_DEP_1)
	v_add_f32_e32 v5, v5, v155
	v_mul_f32_e32 v1, v8, v4
	v_fma_f32 v182, v7, v3, -v1
	v_add_f32_e32 v1, 0, v24
	s_delay_alu instid0(VALU_DEP_1) | instskip(NEXT) | instid1(VALU_DEP_1)
	v_add_f32_e32 v1, v1, v138
	v_add_f32_e32 v1, v1, v142
	s_delay_alu instid0(VALU_DEP_1) | instskip(NEXT) | instid1(VALU_DEP_1)
	v_add_f32_e32 v1, v1, v143
	;; [unrolled: 3-line block ×3, first 2 shown]
	v_add_f32_e32 v1, v1, v13
	s_delay_alu instid0(VALU_DEP_1) | instskip(SKIP_1) | instid1(VALU_DEP_1)
	v_add_f32_e32 v1, v1, v14
	v_add_f32_e32 v14, v5, v157
	;; [unrolled: 1-line block ×3, first 2 shown]
	s_delay_alu instid0(VALU_DEP_1) | instskip(NEXT) | instid1(VALU_DEP_1)
	v_dual_add_f32 v14, v14, v161 :: v_dual_add_f32 v1, v1, v16
	v_add_f32_e32 v1, v1, v17
	s_delay_alu instid0(VALU_DEP_1) | instskip(NEXT) | instid1(VALU_DEP_1)
	v_add_f32_e32 v1, v1, v148
	v_add_f32_e32 v1, v1, v149
	s_delay_alu instid0(VALU_DEP_1) | instskip(NEXT) | instid1(VALU_DEP_1)
	v_add_f32_e32 v1, v1, v153
	v_add_f32_e32 v6, v1, v154
	ds_load_b128 v[1:4], v21 offset:816
	v_add_f32_e32 v6, v6, v156
	s_delay_alu instid0(VALU_DEP_1)
	v_add_f32_e32 v13, v6, v158
	ds_load_b128 v[5:8], v21 offset:832
	s_wait_loadcnt_dscnt 0x101
	v_mul_f32_e32 v24, v1, v10
	v_mul_f32_e32 v10, v2, v10
	v_mul_f32_e32 v144, v3, v12
	v_mul_f32_e32 v12, v4, v12
	s_delay_alu instid0(VALU_DEP_4) | instskip(NEXT) | instid1(VALU_DEP_4)
	v_fmac_f32_e32 v24, v2, v9
	v_fma_f32 v145, v1, v9, -v10
	s_delay_alu instid0(VALU_DEP_4) | instskip(NEXT) | instid1(VALU_DEP_4)
	v_fmac_f32_e32 v144, v4, v11
	v_fma_f32 v146, v3, v11, -v12
	s_clause 0x1
	scratch_load_b128 v[1:4], off, off offset:384
	scratch_load_b128 v[9:12], off, off offset:400
	s_wait_loadcnt_dscnt 0x100
	v_dual_add_f32 v17, v14, v163 :: v_dual_mul_f32 v150, v7, v4
	s_delay_alu instid0(VALU_DEP_1)
	v_add_f32_e32 v17, v17, v165
	v_mul_f32_e32 v149, v5, v2
	v_mul_f32_e32 v2, v6, v2
	;; [unrolled: 1-line block ×3, first 2 shown]
	v_fmac_f32_e32 v150, v8, v3
	v_add_f32_e32 v17, v17, v167
	v_fmac_f32_e32 v149, v6, v1
	v_fma_f32 v2, v5, v1, -v2
	v_fma_f32 v1, v7, v3, -v4
	s_delay_alu instid0(VALU_DEP_4) | instskip(NEXT) | instid1(VALU_DEP_1)
	v_add_f32_e32 v17, v17, v169
	v_add_f32_e32 v17, v17, v171
	s_delay_alu instid0(VALU_DEP_1) | instskip(SKIP_1) | instid1(VALU_DEP_2)
	v_add_f32_e32 v138, v17, v173
	v_add_f32_e32 v13, v13, v160
	;; [unrolled: 1-line block ×3, first 2 shown]
	s_delay_alu instid0(VALU_DEP_2) | instskip(SKIP_2) | instid1(VALU_DEP_1)
	v_add_f32_e32 v13, v13, v162
	ds_load_b128 v[138:141], v21 offset:864
	v_add_f32_e32 v148, v143, v177
	v_add_f32_e32 v148, v148, v179
	s_delay_alu instid0(VALU_DEP_1) | instskip(NEXT) | instid1(VALU_DEP_1)
	v_add_f32_e32 v148, v148, v181
	v_add_f32_e32 v24, v148, v24
	s_delay_alu instid0(VALU_DEP_1) | instskip(NEXT) | instid1(VALU_DEP_1)
	v_add_f32_e32 v24, v24, v144
	v_dual_add_f32 v13, v13, v164 :: v_dual_add_f32 v4, v24, v149
	s_delay_alu instid0(VALU_DEP_1) | instskip(SKIP_2) | instid1(VALU_DEP_1)
	v_add_f32_e32 v18, v13, v166
	scratch_load_b128 v[13:16], off, off offset:416
	v_add_f32_e32 v18, v18, v168
	v_add_f32_e32 v18, v18, v170
	s_delay_alu instid0(VALU_DEP_1) | instskip(NEXT) | instid1(VALU_DEP_1)
	v_add_f32_e32 v18, v18, v172
	v_add_f32_e32 v18, v18, v174
	s_delay_alu instid0(VALU_DEP_1)
	v_add_f32_e32 v142, v18, v176
	ds_load_b128 v[17:20], v21 offset:848
	s_wait_loadcnt_dscnt 0x100
	v_dual_mul_f32 v148, v19, v12 :: v_dual_add_f32 v147, v142, v178
	ds_load_b64 v[142:143], v21 offset:880
	v_dual_mul_f32 v3, v18, v10 :: v_dual_fmac_f32 v148, v20, v11
	v_add_f32_e32 v147, v147, v180
	s_delay_alu instid0(VALU_DEP_2) | instskip(NEXT) | instid1(VALU_DEP_2)
	v_fma_f32 v3, v17, v9, -v3
	v_add_f32_e32 v147, v147, v182
	s_wait_dscnt 0x0
	s_delay_alu instid0(VALU_DEP_1) | instskip(NEXT) | instid1(VALU_DEP_1)
	v_dual_add_f32 v145, v147, v145 :: v_dual_mul_f32 v144, v142, v136
	v_dual_add_f32 v145, v145, v146 :: v_dual_fmac_f32 v144, v143, v135
	s_delay_alu instid0(VALU_DEP_1) | instskip(NEXT) | instid1(VALU_DEP_1)
	v_add_f32_e32 v2, v145, v2
	v_dual_add_f32 v1, v2, v1 :: v_dual_add_f32 v2, v4, v150
	s_wait_loadcnt 0x0
	v_dual_mul_f32 v146, v140, v16 :: v_dual_mul_f32 v151, v138, v14
	v_mul_f32_e32 v4, v139, v14
	s_delay_alu instid0(VALU_DEP_2) | instskip(SKIP_1) | instid1(VALU_DEP_3)
	v_dual_fmac_f32 v146, v141, v15 :: v_dual_fmac_f32 v151, v139, v13
	v_mul_f32_e32 v147, v17, v10
	v_fma_f32 v4, v138, v13, -v4
	s_delay_alu instid0(VALU_DEP_2) | instskip(NEXT) | instid1(VALU_DEP_1)
	v_fmac_f32_e32 v147, v18, v9
	v_add_f32_e32 v2, v2, v147
	s_delay_alu instid0(VALU_DEP_1) | instskip(NEXT) | instid1(VALU_DEP_1)
	v_add_f32_e32 v2, v2, v148
	v_dual_add_f32 v2, v2, v151 :: v_dual_mul_f32 v5, v20, v12
	s_delay_alu instid0(VALU_DEP_1) | instskip(NEXT) | instid1(VALU_DEP_2)
	v_add_f32_e32 v2, v2, v146
	v_fma_f32 v5, v19, v11, -v5
	v_add_f32_e32 v1, v1, v3
	v_mul_f32_e32 v3, v141, v16
	s_delay_alu instid0(VALU_DEP_2) | instskip(SKIP_1) | instid1(VALU_DEP_3)
	v_dual_add_f32 v2, v2, v144 :: v_dual_add_f32 v1, v1, v5
	v_mul_f32_e32 v5, v143, v136
	v_fma_f32 v3, v140, v15, -v3
	s_delay_alu instid0(VALU_DEP_3) | instskip(NEXT) | instid1(VALU_DEP_3)
	v_dual_sub_f32 v2, v23, v2 :: v_dual_add_f32 v1, v1, v4
	v_fma_f32 v4, v142, v135, -v5
	s_delay_alu instid0(VALU_DEP_2) | instskip(NEXT) | instid1(VALU_DEP_1)
	v_add_f32_e32 v1, v1, v3
	v_add_f32_e32 v1, v1, v4
	s_delay_alu instid0(VALU_DEP_1)
	v_sub_f32_e32 v1, v22, v1
	scratch_store_b64 off, v[1:2], off offset:136
	v_cmpx_lt_u32_e32 16, v0
	s_cbranch_execz .LBB54_311
; %bb.310:
	scratch_load_b64 v[1:2], off, off offset:128
	v_mov_b32_e32 v22, v21
	scratch_store_b64 off, v[21:22], off offset:128
	s_wait_loadcnt 0x0
	ds_store_b64 v137, v[1:2]
.LBB54_311:
	s_wait_alu 0xfffe
	s_or_b32 exec_lo, exec_lo, s0
	s_wait_storecnt_dscnt 0x0
	s_barrier_signal -1
	s_barrier_wait -1
	global_inv scope:SCOPE_SE
	s_clause 0x4
	scratch_load_b128 v[5:8], off, off offset:136
	scratch_load_b128 v[1:4], off, off offset:152
	;; [unrolled: 1-line block ×5, first 2 shown]
	ds_load_2addr_b64 v[138:141], v21 offset0:73 offset1:74
	ds_load_2addr_b64 v[142:145], v21 offset0:75 offset1:76
	;; [unrolled: 1-line block ×3, first 2 shown]
	scratch_load_b64 v[135:136], off, off offset:128
	s_mov_b32 s0, exec_lo
	s_wait_loadcnt_dscnt 0x502
	v_mul_f32_e32 v22, v139, v6
	v_dual_mul_f32 v23, v138, v6 :: v_dual_mul_f32 v24, v140, v8
	v_mul_f32_e32 v6, v141, v8
	s_delay_alu instid0(VALU_DEP_3) | instskip(NEXT) | instid1(VALU_DEP_3)
	v_fma_f32 v22, v138, v5, -v22
	v_dual_fmac_f32 v23, v139, v5 :: v_dual_fmac_f32 v24, v141, v7
	s_wait_loadcnt_dscnt 0x401
	v_mul_f32_e32 v139, v142, v2
	v_fma_f32 v138, v140, v7, -v6
	ds_load_2addr_b64 v[5:8], v21 offset0:79 offset1:80
	s_wait_loadcnt_dscnt 0x301
	v_dual_mul_f32 v140, v144, v4 :: v_dual_mul_f32 v141, v146, v10
	v_dual_mul_f32 v4, v145, v4 :: v_dual_fmac_f32 v139, v143, v1
	v_mul_f32_e32 v10, v147, v10
	s_delay_alu instid0(VALU_DEP_3)
	v_dual_mul_f32 v150, v148, v12 :: v_dual_fmac_f32 v141, v147, v9
	v_mul_f32_e32 v12, v149, v12
	v_mul_f32_e32 v2, v143, v2
	v_fmac_f32_e32 v140, v145, v3
	v_fma_f32 v143, v144, v3, -v4
	v_fma_f32 v144, v146, v9, -v10
	v_fmac_f32_e32 v150, v149, v11
	v_fma_f32 v145, v148, v11, -v12
	ds_load_2addr_b64 v[9:12], v21 offset0:81 offset1:82
	s_wait_loadcnt_dscnt 0x201
	v_mul_f32_e32 v146, v5, v14
	v_dual_mul_f32 v14, v6, v14 :: v_dual_mul_f32 v147, v7, v16
	v_mul_f32_e32 v16, v8, v16
	s_delay_alu instid0(VALU_DEP_3) | instskip(NEXT) | instid1(VALU_DEP_3)
	v_fmac_f32_e32 v146, v6, v13
	v_fma_f32 v13, v5, v13, -v14
	s_delay_alu instid0(VALU_DEP_4) | instskip(NEXT) | instid1(VALU_DEP_4)
	v_fmac_f32_e32 v147, v8, v15
	v_fma_f32 v14, v7, v15, -v16
	ds_load_2addr_b64 v[5:8], v21 offset0:83 offset1:84
	s_wait_loadcnt_dscnt 0x101
	v_mul_f32_e32 v15, v9, v18
	v_mul_f32_e32 v16, v10, v18
	;; [unrolled: 1-line block ×3, first 2 shown]
	s_delay_alu instid0(VALU_DEP_3)
	v_dual_mul_f32 v20, v12, v20 :: v_dual_fmac_f32 v15, v10, v17
	v_fma_f32 v142, v142, v1, -v2
	scratch_load_b128 v[1:4], off, off offset:216
	v_fma_f32 v16, v9, v17, -v16
	v_fmac_f32_e32 v18, v12, v19
	v_fma_f32 v17, v11, v19, -v20
	scratch_load_b128 v[9:12], off, off offset:232
	s_wait_loadcnt_dscnt 0x100
	v_mul_f32_e32 v19, v5, v2
	v_mul_f32_e32 v2, v6, v2
	;; [unrolled: 1-line block ×3, first 2 shown]
	s_delay_alu instid0(VALU_DEP_3) | instskip(NEXT) | instid1(VALU_DEP_3)
	v_dual_mul_f32 v4, v8, v4 :: v_dual_fmac_f32 v19, v6, v1
	v_fma_f32 v148, v5, v1, -v2
	s_delay_alu instid0(VALU_DEP_3) | instskip(NEXT) | instid1(VALU_DEP_3)
	v_fmac_f32_e32 v20, v8, v3
	v_fma_f32 v149, v7, v3, -v4
	ds_load_2addr_b64 v[1:4], v21 offset0:85 offset1:86
	ds_load_2addr_b64 v[5:8], v21 offset0:87 offset1:88
	s_wait_loadcnt_dscnt 0x1
	v_mul_f32_e32 v151, v1, v10
	v_mul_f32_e32 v10, v2, v10
	s_delay_alu instid0(VALU_DEP_2) | instskip(NEXT) | instid1(VALU_DEP_2)
	v_dual_mul_f32 v152, v3, v12 :: v_dual_fmac_f32 v151, v2, v9
	v_fma_f32 v153, v1, v9, -v10
	v_mul_f32_e32 v1, v4, v12
	s_delay_alu instid0(VALU_DEP_3) | instskip(NEXT) | instid1(VALU_DEP_2)
	v_fmac_f32_e32 v152, v4, v11
	v_fma_f32 v154, v3, v11, -v1
	s_clause 0x1
	scratch_load_b128 v[1:4], off, off offset:248
	scratch_load_b128 v[9:12], off, off offset:264
	s_wait_loadcnt_dscnt 0x100
	v_mul_f32_e32 v155, v5, v2
	v_dual_mul_f32 v2, v6, v2 :: v_dual_mul_f32 v157, v7, v4
	s_delay_alu instid0(VALU_DEP_2) | instskip(NEXT) | instid1(VALU_DEP_2)
	v_fmac_f32_e32 v155, v6, v1
	v_fma_f32 v156, v5, v1, -v2
	v_mul_f32_e32 v1, v8, v4
	s_delay_alu instid0(VALU_DEP_4) | instskip(NEXT) | instid1(VALU_DEP_2)
	v_fmac_f32_e32 v157, v8, v3
	v_fma_f32 v158, v7, v3, -v1
	ds_load_2addr_b64 v[1:4], v21 offset0:89 offset1:90
	ds_load_2addr_b64 v[5:8], v21 offset0:91 offset1:92
	s_wait_loadcnt_dscnt 0x1
	v_mul_f32_e32 v159, v1, v10
	v_mul_f32_e32 v161, v3, v12
	s_delay_alu instid0(VALU_DEP_2) | instskip(NEXT) | instid1(VALU_DEP_2)
	v_fmac_f32_e32 v159, v2, v9
	v_dual_mul_f32 v2, v2, v10 :: v_dual_fmac_f32 v161, v4, v11
	s_delay_alu instid0(VALU_DEP_1) | instskip(SKIP_1) | instid1(VALU_DEP_1)
	v_fma_f32 v160, v1, v9, -v2
	v_mul_f32_e32 v1, v4, v12
	v_fma_f32 v162, v3, v11, -v1
	s_clause 0x1
	scratch_load_b128 v[1:4], off, off offset:280
	scratch_load_b128 v[9:12], off, off offset:296
	s_wait_loadcnt_dscnt 0x100
	v_mul_f32_e32 v163, v5, v2
	v_dual_mul_f32 v2, v6, v2 :: v_dual_mul_f32 v165, v7, v4
	s_delay_alu instid0(VALU_DEP_2) | instskip(NEXT) | instid1(VALU_DEP_2)
	v_fmac_f32_e32 v163, v6, v1
	v_fma_f32 v164, v5, v1, -v2
	v_mul_f32_e32 v1, v8, v4
	s_delay_alu instid0(VALU_DEP_4) | instskip(NEXT) | instid1(VALU_DEP_2)
	v_fmac_f32_e32 v165, v8, v3
	v_fma_f32 v166, v7, v3, -v1
	ds_load_2addr_b64 v[1:4], v21 offset0:93 offset1:94
	ds_load_2addr_b64 v[5:8], v21 offset0:95 offset1:96
	s_wait_loadcnt_dscnt 0x1
	v_mul_f32_e32 v167, v1, v10
	v_mul_f32_e32 v169, v3, v12
	s_delay_alu instid0(VALU_DEP_2) | instskip(NEXT) | instid1(VALU_DEP_2)
	v_fmac_f32_e32 v167, v2, v9
	v_dual_mul_f32 v2, v2, v10 :: v_dual_fmac_f32 v169, v4, v11
	s_delay_alu instid0(VALU_DEP_1) | instskip(SKIP_1) | instid1(VALU_DEP_1)
	v_fma_f32 v168, v1, v9, -v2
	v_mul_f32_e32 v1, v4, v12
	;; [unrolled: 25-line block ×3, first 2 shown]
	v_fma_f32 v178, v3, v11, -v1
	s_clause 0x1
	scratch_load_b128 v[1:4], off, off offset:344
	scratch_load_b128 v[9:12], off, off offset:360
	s_wait_loadcnt_dscnt 0x100
	v_mul_f32_e32 v179, v5, v2
	v_mul_f32_e32 v2, v6, v2
	s_delay_alu instid0(VALU_DEP_1) | instskip(SKIP_1) | instid1(VALU_DEP_1)
	v_fma_f32 v180, v5, v1, -v2
	v_add_f32_e32 v2, 0, v23
	v_add_f32_e32 v2, v2, v24
	s_delay_alu instid0(VALU_DEP_1) | instskip(NEXT) | instid1(VALU_DEP_1)
	v_add_f32_e32 v2, v2, v139
	v_add_f32_e32 v2, v2, v140
	s_delay_alu instid0(VALU_DEP_1) | instskip(NEXT) | instid1(VALU_DEP_1)
	;; [unrolled: 3-line block ×3, first 2 shown]
	v_add_f32_e32 v2, v2, v146
	v_add_f32_e32 v2, v2, v147
	s_delay_alu instid0(VALU_DEP_1) | instskip(SKIP_1) | instid1(VALU_DEP_2)
	v_dual_add_f32 v2, v2, v15 :: v_dual_mul_f32 v181, v7, v4
	v_fmac_f32_e32 v179, v6, v1
	v_dual_add_f32 v2, v2, v18 :: v_dual_mul_f32 v1, v8, v4
	s_delay_alu instid0(VALU_DEP_1) | instskip(NEXT) | instid1(VALU_DEP_4)
	v_add_f32_e32 v2, v2, v19
	v_fmac_f32_e32 v181, v8, v3
	s_delay_alu instid0(VALU_DEP_3) | instskip(NEXT) | instid1(VALU_DEP_3)
	v_fma_f32 v182, v7, v3, -v1
	v_dual_add_f32 v2, v2, v20 :: v_dual_add_f32 v1, 0, v22
	s_delay_alu instid0(VALU_DEP_1) | instskip(NEXT) | instid1(VALU_DEP_1)
	v_dual_add_f32 v2, v2, v151 :: v_dual_add_f32 v1, v1, v138
	v_add_f32_e32 v5, v2, v152
	s_delay_alu instid0(VALU_DEP_2) | instskip(NEXT) | instid1(VALU_DEP_1)
	v_add_f32_e32 v1, v1, v142
	v_add_f32_e32 v1, v1, v143
	s_delay_alu instid0(VALU_DEP_1) | instskip(NEXT) | instid1(VALU_DEP_1)
	v_add_f32_e32 v1, v1, v144
	v_add_f32_e32 v1, v1, v145
	s_delay_alu instid0(VALU_DEP_1) | instskip(SKIP_1) | instid1(VALU_DEP_2)
	v_add_f32_e32 v1, v1, v13
	v_add_f32_e32 v13, v5, v155
	;; [unrolled: 1-line block ×3, first 2 shown]
	s_delay_alu instid0(VALU_DEP_2) | instskip(NEXT) | instid1(VALU_DEP_1)
	v_add_f32_e32 v13, v13, v157
	v_add_f32_e32 v13, v13, v159
	s_delay_alu instid0(VALU_DEP_1) | instskip(NEXT) | instid1(VALU_DEP_1)
	v_add_f32_e32 v18, v13, v161
	v_dual_add_f32 v18, v18, v163 :: v_dual_add_f32 v1, v1, v16
	s_delay_alu instid0(VALU_DEP_1) | instskip(NEXT) | instid1(VALU_DEP_2)
	v_add_f32_e32 v18, v18, v165
	v_add_f32_e32 v1, v1, v17
	s_delay_alu instid0(VALU_DEP_1) | instskip(NEXT) | instid1(VALU_DEP_1)
	v_add_f32_e32 v1, v1, v148
	v_add_f32_e32 v1, v1, v149
	s_delay_alu instid0(VALU_DEP_1) | instskip(NEXT) | instid1(VALU_DEP_1)
	v_add_f32_e32 v1, v1, v153
	v_add_f32_e32 v1, v1, v154
	s_delay_alu instid0(VALU_DEP_1)
	v_add_f32_e32 v6, v1, v156
	ds_load_2addr_b64 v[1:4], v21 offset0:101 offset1:102
	v_add_f32_e32 v22, v18, v167
	v_add_f32_e32 v14, v6, v158
	scratch_load_b128 v[5:8], off, off offset:376
	v_add_f32_e32 v22, v22, v169
	v_add_f32_e32 v14, v14, v160
	s_delay_alu instid0(VALU_DEP_1)
	v_add_f32_e32 v17, v14, v162
	ds_load_2addr_b64 v[13:16], v21 offset0:103 offset1:104
	s_wait_loadcnt_dscnt 0x101
	v_mul_f32_e32 v138, v1, v10
	v_dual_mul_f32 v10, v2, v10 :: v_dual_mul_f32 v139, v3, v12
	v_mul_f32_e32 v12, v4, v12
	v_add_f32_e32 v22, v22, v171
	s_delay_alu instid0(VALU_DEP_4) | instskip(NEXT) | instid1(VALU_DEP_4)
	v_fmac_f32_e32 v138, v2, v9
	v_fma_f32 v140, v1, v9, -v10
	v_fmac_f32_e32 v139, v4, v11
	v_fma_f32 v141, v3, v11, -v12
	s_clause 0x1
	scratch_load_b128 v[1:4], off, off offset:392
	scratch_load_b128 v[9:12], off, off offset:408
	v_add_f32_e32 v17, v17, v164
	s_delay_alu instid0(VALU_DEP_1) | instskip(NEXT) | instid1(VALU_DEP_1)
	v_add_f32_e32 v17, v17, v166
	v_add_f32_e32 v17, v17, v168
	s_delay_alu instid0(VALU_DEP_1)
	v_add_f32_e32 v23, v17, v170
	scratch_load_b128 v[17:20], off, off offset:424
	s_wait_loadcnt_dscnt 0x300
	v_mul_f32_e32 v142, v13, v6
	v_dual_mul_f32 v6, v14, v6 :: v_dual_mul_f32 v143, v15, v8
	v_mul_f32_e32 v8, v16, v8
	s_delay_alu instid0(VALU_DEP_3) | instskip(NEXT) | instid1(VALU_DEP_3)
	v_dual_fmac_f32 v142, v14, v5 :: v_dual_add_f32 v23, v23, v172
	v_fma_f32 v144, v13, v5, -v6
	s_delay_alu instid0(VALU_DEP_4) | instskip(NEXT) | instid1(VALU_DEP_4)
	v_fmac_f32_e32 v143, v16, v7
	v_fma_f32 v145, v15, v7, -v8
	ds_load_2addr_b64 v[5:8], v21 offset0:105 offset1:106
	v_add_f32_e32 v23, v23, v174
	s_delay_alu instid0(VALU_DEP_1) | instskip(NEXT) | instid1(VALU_DEP_1)
	v_dual_add_f32 v13, v22, v173 :: v_dual_add_f32 v22, v23, v176
	v_add_f32_e32 v146, v22, v178
	s_delay_alu instid0(VALU_DEP_1) | instskip(NEXT) | instid1(VALU_DEP_1)
	v_add_f32_e32 v146, v146, v180
	v_add_f32_e32 v146, v146, v182
	s_delay_alu instid0(VALU_DEP_1) | instskip(NEXT) | instid1(VALU_DEP_1)
	v_add_f32_e32 v140, v146, v140
	v_add_f32_e32 v140, v140, v141
	s_delay_alu instid0(VALU_DEP_1)
	v_dual_add_f32 v140, v140, v144 :: v_dual_add_f32 v23, v13, v175
	ds_load_2addr_b64 v[13:16], v21 offset0:107 offset1:108
	s_wait_loadcnt_dscnt 0x201
	v_mul_f32_e32 v148, v5, v2
	v_mul_f32_e32 v146, v7, v4
	;; [unrolled: 1-line block ×4, first 2 shown]
	s_delay_alu instid0(VALU_DEP_4) | instskip(NEXT) | instid1(VALU_DEP_4)
	v_fmac_f32_e32 v148, v6, v1
	v_fmac_f32_e32 v146, v8, v3
	s_delay_alu instid0(VALU_DEP_4) | instskip(NEXT) | instid1(VALU_DEP_4)
	v_fma_f32 v3, v7, v3, -v4
	v_fma_f32 v2, v5, v1, -v2
	v_add_f32_e32 v1, v140, v145
	s_wait_loadcnt_dscnt 0x100
	v_mul_f32_e32 v149, v15, v12
	v_dual_mul_f32 v4, v16, v12 :: v_dual_add_f32 v147, v23, v177
	ds_load_2addr_b64 v[21:24], v21 offset0:109 offset1:110
	v_dual_mul_f32 v6, v14, v10 :: v_dual_fmac_f32 v149, v16, v11
	v_fma_f32 v4, v15, v11, -v4
	v_add_f32_e32 v147, v147, v179
	s_delay_alu instid0(VALU_DEP_1) | instskip(NEXT) | instid1(VALU_DEP_1)
	v_add_f32_e32 v147, v147, v181
	v_add_f32_e32 v138, v147, v138
	s_delay_alu instid0(VALU_DEP_1) | instskip(SKIP_2) | instid1(VALU_DEP_2)
	v_dual_mul_f32 v147, v13, v10 :: v_dual_add_f32 v138, v138, v139
	s_wait_loadcnt_dscnt 0x0
	v_mul_f32_e32 v141, v23, v20
	v_fmac_f32_e32 v147, v14, v9
	s_delay_alu instid0(VALU_DEP_2) | instskip(SKIP_1) | instid1(VALU_DEP_2)
	v_dual_add_f32 v138, v138, v142 :: v_dual_fmac_f32 v141, v24, v19
	v_add_f32_e32 v1, v1, v2
	v_add_f32_e32 v5, v138, v143
	s_delay_alu instid0(VALU_DEP_1) | instskip(SKIP_1) | instid1(VALU_DEP_2)
	v_add_f32_e32 v2, v5, v148
	v_fma_f32 v5, v13, v9, -v6
	v_add_f32_e32 v2, v2, v146
	s_delay_alu instid0(VALU_DEP_1) | instskip(NEXT) | instid1(VALU_DEP_1)
	v_dual_mul_f32 v139, v21, v18 :: v_dual_add_f32 v2, v2, v147
	v_fmac_f32_e32 v139, v22, v17
	s_delay_alu instid0(VALU_DEP_2) | instskip(NEXT) | instid1(VALU_DEP_1)
	v_add_f32_e32 v2, v2, v149
	v_add_f32_e32 v2, v2, v139
	s_delay_alu instid0(VALU_DEP_1) | instskip(SKIP_1) | instid1(VALU_DEP_2)
	v_dual_add_f32 v2, v2, v141 :: v_dual_add_f32 v1, v1, v3
	v_mul_f32_e32 v3, v22, v18
	v_dual_sub_f32 v2, v136, v2 :: v_dual_add_f32 v1, v1, v5
	v_mul_f32_e32 v5, v24, v20
	s_delay_alu instid0(VALU_DEP_3) | instskip(NEXT) | instid1(VALU_DEP_3)
	v_fma_f32 v3, v21, v17, -v3
	v_add_f32_e32 v1, v1, v4
	s_delay_alu instid0(VALU_DEP_3) | instskip(NEXT) | instid1(VALU_DEP_2)
	v_fma_f32 v4, v23, v19, -v5
	v_add_f32_e32 v1, v1, v3
	s_delay_alu instid0(VALU_DEP_1) | instskip(NEXT) | instid1(VALU_DEP_1)
	v_add_f32_e32 v1, v1, v4
	v_sub_f32_e32 v1, v135, v1
	scratch_store_b64 off, v[1:2], off offset:128
	v_cmpx_lt_u32_e32 15, v0
	s_cbranch_execz .LBB54_313
; %bb.312:
	scratch_load_b64 v[1:2], off, off offset:120
	v_mov_b32_e32 v3, 0
	s_delay_alu instid0(VALU_DEP_1)
	v_mov_b32_e32 v4, v3
	scratch_store_b64 off, v[3:4], off offset:120
	s_wait_loadcnt 0x0
	ds_store_b64 v137, v[1:2]
.LBB54_313:
	s_wait_alu 0xfffe
	s_or_b32 exec_lo, exec_lo, s0
	s_wait_storecnt_dscnt 0x0
	s_barrier_signal -1
	s_barrier_wait -1
	global_inv scope:SCOPE_SE
	s_clause 0x4
	scratch_load_b128 v[5:8], off, off offset:128
	scratch_load_b128 v[1:4], off, off offset:144
	;; [unrolled: 1-line block ×5, first 2 shown]
	v_mov_b32_e32 v21, 0
	ds_load_b128 v[138:141], v21 offset:576
	ds_load_b128 v[142:145], v21 offset:592
	;; [unrolled: 1-line block ×3, first 2 shown]
	scratch_load_b64 v[22:23], off, off offset:120
	s_mov_b32 s0, exec_lo
	s_wait_loadcnt_dscnt 0x502
	v_mul_f32_e32 v24, v139, v6
	v_dual_mul_f32 v135, v138, v6 :: v_dual_mul_f32 v136, v140, v8
	v_mul_f32_e32 v6, v141, v8
	s_delay_alu instid0(VALU_DEP_3) | instskip(NEXT) | instid1(VALU_DEP_3)
	v_fma_f32 v24, v138, v5, -v24
	v_dual_fmac_f32 v135, v139, v5 :: v_dual_fmac_f32 v136, v141, v7
	s_wait_loadcnt_dscnt 0x401
	v_mul_f32_e32 v139, v142, v2
	v_fma_f32 v138, v140, v7, -v6
	ds_load_b128 v[5:8], v21 offset:624
	s_wait_loadcnt_dscnt 0x301
	v_dual_mul_f32 v140, v144, v4 :: v_dual_mul_f32 v141, v146, v10
	v_dual_mul_f32 v4, v145, v4 :: v_dual_fmac_f32 v139, v143, v1
	v_mul_f32_e32 v10, v147, v10
	s_delay_alu instid0(VALU_DEP_3)
	v_dual_mul_f32 v150, v148, v12 :: v_dual_fmac_f32 v141, v147, v9
	v_mul_f32_e32 v12, v149, v12
	v_mul_f32_e32 v2, v143, v2
	v_fmac_f32_e32 v140, v145, v3
	v_fma_f32 v143, v144, v3, -v4
	v_fma_f32 v144, v146, v9, -v10
	v_fmac_f32_e32 v150, v149, v11
	v_fma_f32 v145, v148, v11, -v12
	ds_load_b128 v[9:12], v21 offset:640
	s_wait_loadcnt_dscnt 0x201
	v_dual_mul_f32 v147, v7, v16 :: v_dual_mul_f32 v146, v5, v14
	v_mul_f32_e32 v14, v6, v14
	v_mul_f32_e32 v16, v8, v16
	s_delay_alu instid0(VALU_DEP_3)
	v_fmac_f32_e32 v147, v8, v15
	v_fma_f32 v142, v142, v1, -v2
	scratch_load_b128 v[1:4], off, off offset:208
	v_fmac_f32_e32 v146, v6, v13
	v_fma_f32 v13, v5, v13, -v14
	v_fma_f32 v14, v7, v15, -v16
	ds_load_b128 v[5:8], v21 offset:656
	s_wait_loadcnt_dscnt 0x201
	v_mul_f32_e32 v15, v9, v18
	v_mul_f32_e32 v16, v10, v18
	;; [unrolled: 1-line block ×3, first 2 shown]
	s_delay_alu instid0(VALU_DEP_3) | instskip(NEXT) | instid1(VALU_DEP_3)
	v_dual_mul_f32 v20, v12, v20 :: v_dual_fmac_f32 v15, v10, v17
	v_fma_f32 v16, v9, v17, -v16
	s_delay_alu instid0(VALU_DEP_3) | instskip(NEXT) | instid1(VALU_DEP_3)
	v_fmac_f32_e32 v18, v12, v19
	v_fma_f32 v17, v11, v19, -v20
	scratch_load_b128 v[9:12], off, off offset:224
	s_wait_loadcnt_dscnt 0x100
	v_mul_f32_e32 v19, v5, v2
	v_mul_f32_e32 v2, v6, v2
	;; [unrolled: 1-line block ×3, first 2 shown]
	s_delay_alu instid0(VALU_DEP_3) | instskip(NEXT) | instid1(VALU_DEP_3)
	v_dual_mul_f32 v4, v8, v4 :: v_dual_fmac_f32 v19, v6, v1
	v_fma_f32 v148, v5, v1, -v2
	s_delay_alu instid0(VALU_DEP_3) | instskip(NEXT) | instid1(VALU_DEP_3)
	v_fmac_f32_e32 v20, v8, v3
	v_fma_f32 v149, v7, v3, -v4
	ds_load_b128 v[1:4], v21 offset:672
	ds_load_b128 v[5:8], v21 offset:688
	s_wait_loadcnt_dscnt 0x1
	v_mul_f32_e32 v151, v1, v10
	v_mul_f32_e32 v10, v2, v10
	s_delay_alu instid0(VALU_DEP_2) | instskip(NEXT) | instid1(VALU_DEP_2)
	v_dual_mul_f32 v152, v3, v12 :: v_dual_fmac_f32 v151, v2, v9
	v_fma_f32 v153, v1, v9, -v10
	v_mul_f32_e32 v1, v4, v12
	s_delay_alu instid0(VALU_DEP_3) | instskip(NEXT) | instid1(VALU_DEP_2)
	v_fmac_f32_e32 v152, v4, v11
	v_fma_f32 v154, v3, v11, -v1
	s_clause 0x1
	scratch_load_b128 v[1:4], off, off offset:240
	scratch_load_b128 v[9:12], off, off offset:256
	s_wait_loadcnt_dscnt 0x100
	v_mul_f32_e32 v155, v5, v2
	v_dual_mul_f32 v2, v6, v2 :: v_dual_mul_f32 v157, v7, v4
	s_delay_alu instid0(VALU_DEP_2) | instskip(NEXT) | instid1(VALU_DEP_2)
	v_fmac_f32_e32 v155, v6, v1
	v_fma_f32 v156, v5, v1, -v2
	v_mul_f32_e32 v1, v8, v4
	s_delay_alu instid0(VALU_DEP_4) | instskip(NEXT) | instid1(VALU_DEP_2)
	v_fmac_f32_e32 v157, v8, v3
	v_fma_f32 v158, v7, v3, -v1
	ds_load_b128 v[1:4], v21 offset:704
	ds_load_b128 v[5:8], v21 offset:720
	s_wait_loadcnt_dscnt 0x1
	v_mul_f32_e32 v159, v1, v10
	v_mul_f32_e32 v161, v3, v12
	s_delay_alu instid0(VALU_DEP_2) | instskip(NEXT) | instid1(VALU_DEP_2)
	v_fmac_f32_e32 v159, v2, v9
	v_dual_mul_f32 v2, v2, v10 :: v_dual_fmac_f32 v161, v4, v11
	s_delay_alu instid0(VALU_DEP_1) | instskip(SKIP_1) | instid1(VALU_DEP_1)
	v_fma_f32 v160, v1, v9, -v2
	v_mul_f32_e32 v1, v4, v12
	v_fma_f32 v162, v3, v11, -v1
	s_clause 0x1
	scratch_load_b128 v[1:4], off, off offset:272
	scratch_load_b128 v[9:12], off, off offset:288
	s_wait_loadcnt_dscnt 0x100
	v_mul_f32_e32 v163, v5, v2
	v_dual_mul_f32 v165, v7, v4 :: v_dual_mul_f32 v2, v6, v2
	s_delay_alu instid0(VALU_DEP_2) | instskip(NEXT) | instid1(VALU_DEP_2)
	v_fmac_f32_e32 v163, v6, v1
	v_fmac_f32_e32 v165, v8, v3
	s_delay_alu instid0(VALU_DEP_3) | instskip(SKIP_1) | instid1(VALU_DEP_1)
	v_fma_f32 v164, v5, v1, -v2
	v_mul_f32_e32 v1, v8, v4
	v_fma_f32 v166, v7, v3, -v1
	ds_load_b128 v[1:4], v21 offset:736
	ds_load_b128 v[5:8], v21 offset:752
	s_wait_loadcnt_dscnt 0x1
	v_mul_f32_e32 v167, v1, v10
	v_mul_f32_e32 v169, v3, v12
	s_delay_alu instid0(VALU_DEP_2) | instskip(NEXT) | instid1(VALU_DEP_2)
	v_fmac_f32_e32 v167, v2, v9
	v_dual_mul_f32 v2, v2, v10 :: v_dual_fmac_f32 v169, v4, v11
	s_delay_alu instid0(VALU_DEP_1) | instskip(SKIP_1) | instid1(VALU_DEP_1)
	v_fma_f32 v168, v1, v9, -v2
	v_mul_f32_e32 v1, v4, v12
	v_fma_f32 v170, v3, v11, -v1
	s_clause 0x1
	scratch_load_b128 v[1:4], off, off offset:304
	scratch_load_b128 v[9:12], off, off offset:320
	s_wait_loadcnt_dscnt 0x100
	v_mul_f32_e32 v171, v5, v2
	v_dual_mul_f32 v2, v6, v2 :: v_dual_mul_f32 v173, v7, v4
	s_delay_alu instid0(VALU_DEP_2) | instskip(NEXT) | instid1(VALU_DEP_2)
	v_fmac_f32_e32 v171, v6, v1
	v_fma_f32 v172, v5, v1, -v2
	v_mul_f32_e32 v1, v8, v4
	s_delay_alu instid0(VALU_DEP_4) | instskip(NEXT) | instid1(VALU_DEP_2)
	v_fmac_f32_e32 v173, v8, v3
	v_fma_f32 v174, v7, v3, -v1
	ds_load_b128 v[1:4], v21 offset:768
	ds_load_b128 v[5:8], v21 offset:784
	s_wait_loadcnt_dscnt 0x1
	v_mul_f32_e32 v175, v1, v10
	v_mul_f32_e32 v177, v3, v12
	s_delay_alu instid0(VALU_DEP_2) | instskip(NEXT) | instid1(VALU_DEP_2)
	v_fmac_f32_e32 v175, v2, v9
	v_dual_mul_f32 v2, v2, v10 :: v_dual_fmac_f32 v177, v4, v11
	s_delay_alu instid0(VALU_DEP_1) | instskip(SKIP_1) | instid1(VALU_DEP_1)
	v_fma_f32 v176, v1, v9, -v2
	v_mul_f32_e32 v1, v4, v12
	v_fma_f32 v178, v3, v11, -v1
	s_clause 0x1
	scratch_load_b128 v[1:4], off, off offset:336
	scratch_load_b128 v[9:12], off, off offset:352
	s_wait_loadcnt_dscnt 0x100
	v_mul_f32_e32 v179, v5, v2
	v_mul_f32_e32 v2, v6, v2
	s_delay_alu instid0(VALU_DEP_1) | instskip(SKIP_1) | instid1(VALU_DEP_1)
	v_fma_f32 v180, v5, v1, -v2
	v_add_f32_e32 v2, 0, v135
	v_add_f32_e32 v2, v2, v136
	s_delay_alu instid0(VALU_DEP_1) | instskip(NEXT) | instid1(VALU_DEP_1)
	v_add_f32_e32 v2, v2, v139
	v_add_f32_e32 v2, v2, v140
	s_delay_alu instid0(VALU_DEP_1) | instskip(NEXT) | instid1(VALU_DEP_1)
	;; [unrolled: 3-line block ×4, first 2 shown]
	v_dual_add_f32 v2, v2, v15 :: v_dual_mul_f32 v181, v7, v4
	v_add_f32_e32 v2, v2, v18
	s_delay_alu instid0(VALU_DEP_1) | instskip(SKIP_1) | instid1(VALU_DEP_2)
	v_add_f32_e32 v2, v2, v19
	v_fmac_f32_e32 v179, v6, v1
	v_dual_fmac_f32 v181, v8, v3 :: v_dual_add_f32 v2, v2, v20
	s_delay_alu instid0(VALU_DEP_1) | instskip(NEXT) | instid1(VALU_DEP_1)
	v_dual_mul_f32 v1, v8, v4 :: v_dual_add_f32 v2, v2, v151
	v_fma_f32 v182, v7, v3, -v1
	v_add_f32_e32 v1, 0, v24
	s_delay_alu instid0(VALU_DEP_3) | instskip(NEXT) | instid1(VALU_DEP_2)
	v_add_f32_e32 v5, v2, v152
	v_add_f32_e32 v1, v1, v138
	s_delay_alu instid0(VALU_DEP_1) | instskip(NEXT) | instid1(VALU_DEP_1)
	v_add_f32_e32 v1, v1, v142
	v_add_f32_e32 v1, v1, v143
	s_delay_alu instid0(VALU_DEP_1) | instskip(NEXT) | instid1(VALU_DEP_1)
	v_add_f32_e32 v1, v1, v144
	v_add_f32_e32 v1, v1, v145
	s_delay_alu instid0(VALU_DEP_1) | instskip(SKIP_1) | instid1(VALU_DEP_1)
	v_add_f32_e32 v1, v1, v13
	v_add_f32_e32 v13, v5, v155
	;; [unrolled: 1-line block ×3, first 2 shown]
	s_delay_alu instid0(VALU_DEP_1) | instskip(NEXT) | instid1(VALU_DEP_1)
	v_add_f32_e32 v13, v13, v159
	v_add_f32_e32 v18, v13, v161
	s_delay_alu instid0(VALU_DEP_1) | instskip(NEXT) | instid1(VALU_DEP_1)
	v_dual_add_f32 v18, v18, v163 :: v_dual_add_f32 v1, v1, v14
	v_dual_add_f32 v18, v18, v165 :: v_dual_add_f32 v1, v1, v16
	s_delay_alu instid0(VALU_DEP_1) | instskip(NEXT) | instid1(VALU_DEP_1)
	v_add_f32_e32 v1, v1, v17
	v_add_f32_e32 v1, v1, v148
	s_delay_alu instid0(VALU_DEP_1) | instskip(NEXT) | instid1(VALU_DEP_1)
	v_add_f32_e32 v1, v1, v149
	v_add_f32_e32 v1, v1, v153
	;; [unrolled: 3-line block ×3, first 2 shown]
	scratch_load_b128 v[1:4], off, off offset:368
	v_add_f32_e32 v135, v18, v167
	v_add_f32_e32 v14, v6, v158
	ds_load_b128 v[5:8], v21 offset:800
	v_add_f32_e32 v138, v135, v169
	v_add_f32_e32 v14, v14, v160
	s_delay_alu instid0(VALU_DEP_1)
	v_add_f32_e32 v17, v14, v162
	ds_load_b128 v[13:16], v21 offset:816
	s_wait_loadcnt_dscnt 0x101
	v_mul_f32_e32 v24, v5, v10
	v_mul_f32_e32 v10, v6, v10
	;; [unrolled: 1-line block ×4, first 2 shown]
	v_add_f32_e32 v138, v138, v171
	v_fmac_f32_e32 v24, v6, v9
	v_fma_f32 v145, v5, v9, -v10
	v_fmac_f32_e32 v144, v8, v11
	v_fma_f32 v146, v7, v11, -v12
	scratch_load_b128 v[5:8], off, off offset:384
	v_add_f32_e32 v138, v138, v173
	scratch_load_b128 v[9:12], off, off offset:400
	s_wait_loadcnt_dscnt 0x200
	v_mul_f32_e32 v147, v13, v2
	v_mul_f32_e32 v2, v14, v2
	;; [unrolled: 1-line block ×3, first 2 shown]
	s_delay_alu instid0(VALU_DEP_3) | instskip(NEXT) | instid1(VALU_DEP_3)
	v_dual_mul_f32 v4, v16, v4 :: v_dual_fmac_f32 v147, v14, v1
	v_fma_f32 v149, v13, v1, -v2
	v_add_f32_e32 v13, v138, v175
	s_delay_alu instid0(VALU_DEP_4) | instskip(NEXT) | instid1(VALU_DEP_4)
	v_fmac_f32_e32 v148, v16, v3
	v_fma_f32 v150, v15, v3, -v4
	ds_load_b128 v[1:4], v21 offset:832
	v_add_f32_e32 v138, v13, v177
	v_add_f32_e32 v17, v17, v164
	s_delay_alu instid0(VALU_DEP_2) | instskip(NEXT) | instid1(VALU_DEP_1)
	v_add_f32_e32 v143, v138, v179
	v_dual_add_f32 v152, v143, v181 :: v_dual_add_f32 v17, v17, v166
	s_delay_alu instid0(VALU_DEP_1) | instskip(NEXT) | instid1(VALU_DEP_1)
	v_add_f32_e32 v24, v152, v24
	v_add_f32_e32 v24, v24, v144
	s_delay_alu instid0(VALU_DEP_1) | instskip(NEXT) | instid1(VALU_DEP_1)
	v_dual_add_f32 v17, v17, v168 :: v_dual_add_f32 v24, v24, v147
	v_add_f32_e32 v136, v17, v170
	scratch_load_b128 v[17:20], off, off offset:416
	v_add_f32_e32 v24, v24, v148
	v_add_f32_e32 v139, v136, v172
	scratch_load_b64 v[135:136], off, off offset:432
	v_add_f32_e32 v139, v139, v174
	s_delay_alu instid0(VALU_DEP_1) | instskip(NEXT) | instid1(VALU_DEP_1)
	v_add_f32_e32 v139, v139, v176
	v_add_f32_e32 v14, v139, v178
	ds_load_b128 v[138:141], v21 offset:864
	v_add_f32_e32 v142, v14, v180
	ds_load_b128 v[13:16], v21 offset:848
	s_wait_loadcnt_dscnt 0x302
	v_mul_f32_e32 v144, v3, v8
	v_mul_f32_e32 v8, v4, v8
	s_delay_alu instid0(VALU_DEP_2) | instskip(SKIP_3) | instid1(VALU_DEP_1)
	v_dual_fmac_f32 v144, v4, v7 :: v_dual_add_f32 v151, v142, v182
	ds_load_b64 v[142:143], v21 offset:880
	s_wait_loadcnt_dscnt 0x0
	v_dual_add_f32 v145, v151, v145 :: v_dual_mul_f32 v148, v142, v136
	v_add_f32_e32 v145, v145, v146
	v_mul_f32_e32 v146, v13, v10
	v_mul_f32_e32 v151, v1, v6
	;; [unrolled: 1-line block ×3, first 2 shown]
	v_fmac_f32_e32 v148, v143, v135
	s_delay_alu instid0(VALU_DEP_4) | instskip(NEXT) | instid1(VALU_DEP_4)
	v_fmac_f32_e32 v146, v14, v9
	v_fmac_f32_e32 v151, v2, v5
	s_delay_alu instid0(VALU_DEP_4) | instskip(SKIP_1) | instid1(VALU_DEP_3)
	v_fma_f32 v1, v1, v5, -v6
	v_fma_f32 v2, v3, v7, -v8
	v_dual_mul_f32 v3, v14, v10 :: v_dual_add_f32 v4, v24, v151
	v_add_f32_e32 v145, v145, v149
	s_delay_alu instid0(VALU_DEP_2) | instskip(NEXT) | instid1(VALU_DEP_2)
	v_fma_f32 v3, v13, v9, -v3
	v_dual_add_f32 v145, v145, v150 :: v_dual_mul_f32 v150, v140, v20
	s_delay_alu instid0(VALU_DEP_1) | instskip(NEXT) | instid1(VALU_DEP_2)
	v_dual_mul_f32 v149, v138, v18 :: v_dual_fmac_f32 v150, v141, v19
	v_add_f32_e32 v1, v145, v1
	s_delay_alu instid0(VALU_DEP_2) | instskip(NEXT) | instid1(VALU_DEP_2)
	v_fmac_f32_e32 v149, v139, v17
	v_dual_add_f32 v1, v1, v2 :: v_dual_add_f32 v2, v4, v144
	v_mul_f32_e32 v147, v15, v12
	v_mul_f32_e32 v4, v139, v18
	s_delay_alu instid0(VALU_DEP_2) | instskip(NEXT) | instid1(VALU_DEP_2)
	v_dual_add_f32 v2, v2, v146 :: v_dual_fmac_f32 v147, v16, v11
	v_fma_f32 v4, v138, v17, -v4
	s_delay_alu instid0(VALU_DEP_2) | instskip(NEXT) | instid1(VALU_DEP_1)
	v_dual_add_f32 v2, v2, v147 :: v_dual_mul_f32 v5, v16, v12
	v_add_f32_e32 v2, v2, v149
	s_delay_alu instid0(VALU_DEP_2) | instskip(NEXT) | instid1(VALU_DEP_2)
	v_fma_f32 v5, v15, v11, -v5
	v_add_f32_e32 v2, v2, v150
	s_delay_alu instid0(VALU_DEP_1) | instskip(NEXT) | instid1(VALU_DEP_1)
	v_dual_add_f32 v2, v2, v148 :: v_dual_add_f32 v1, v1, v3
	v_dual_mul_f32 v3, v141, v20 :: v_dual_sub_f32 v2, v23, v2
	s_delay_alu instid0(VALU_DEP_2) | instskip(SKIP_1) | instid1(VALU_DEP_3)
	v_add_f32_e32 v1, v1, v5
	v_mul_f32_e32 v5, v143, v136
	v_fma_f32 v3, v140, v19, -v3
	s_delay_alu instid0(VALU_DEP_3) | instskip(NEXT) | instid1(VALU_DEP_3)
	v_add_f32_e32 v1, v1, v4
	v_fma_f32 v4, v142, v135, -v5
	s_delay_alu instid0(VALU_DEP_2) | instskip(NEXT) | instid1(VALU_DEP_1)
	v_add_f32_e32 v1, v1, v3
	v_add_f32_e32 v1, v1, v4
	s_delay_alu instid0(VALU_DEP_1)
	v_sub_f32_e32 v1, v22, v1
	scratch_store_b64 off, v[1:2], off offset:120
	v_cmpx_lt_u32_e32 14, v0
	s_cbranch_execz .LBB54_315
; %bb.314:
	scratch_load_b64 v[1:2], off, off offset:112
	v_mov_b32_e32 v22, v21
	scratch_store_b64 off, v[21:22], off offset:112
	s_wait_loadcnt 0x0
	ds_store_b64 v137, v[1:2]
.LBB54_315:
	s_wait_alu 0xfffe
	s_or_b32 exec_lo, exec_lo, s0
	s_wait_storecnt_dscnt 0x0
	s_barrier_signal -1
	s_barrier_wait -1
	global_inv scope:SCOPE_SE
	s_clause 0x4
	scratch_load_b128 v[5:8], off, off offset:120
	scratch_load_b128 v[1:4], off, off offset:136
	scratch_load_b128 v[9:12], off, off offset:152
	scratch_load_b128 v[13:16], off, off offset:168
	scratch_load_b128 v[17:20], off, off offset:184
	ds_load_2addr_b64 v[138:141], v21 offset0:71 offset1:72
	ds_load_2addr_b64 v[142:145], v21 offset0:73 offset1:74
	;; [unrolled: 1-line block ×3, first 2 shown]
	scratch_load_b64 v[135:136], off, off offset:112
	s_mov_b32 s0, exec_lo
	s_wait_loadcnt_dscnt 0x502
	v_mul_f32_e32 v22, v139, v6
	v_dual_mul_f32 v23, v138, v6 :: v_dual_mul_f32 v24, v140, v8
	v_mul_f32_e32 v6, v141, v8
	s_delay_alu instid0(VALU_DEP_3) | instskip(NEXT) | instid1(VALU_DEP_3)
	v_fma_f32 v22, v138, v5, -v22
	v_dual_fmac_f32 v23, v139, v5 :: v_dual_fmac_f32 v24, v141, v7
	s_wait_loadcnt_dscnt 0x401
	v_mul_f32_e32 v139, v142, v2
	v_fma_f32 v138, v140, v7, -v6
	ds_load_2addr_b64 v[5:8], v21 offset0:77 offset1:78
	s_wait_loadcnt_dscnt 0x301
	v_dual_mul_f32 v140, v144, v4 :: v_dual_mul_f32 v141, v146, v10
	v_dual_mul_f32 v4, v145, v4 :: v_dual_fmac_f32 v139, v143, v1
	v_mul_f32_e32 v10, v147, v10
	s_delay_alu instid0(VALU_DEP_3)
	v_dual_mul_f32 v150, v148, v12 :: v_dual_fmac_f32 v141, v147, v9
	v_mul_f32_e32 v12, v149, v12
	v_mul_f32_e32 v2, v143, v2
	v_fmac_f32_e32 v140, v145, v3
	v_fma_f32 v143, v144, v3, -v4
	v_fma_f32 v144, v146, v9, -v10
	v_fmac_f32_e32 v150, v149, v11
	v_fma_f32 v145, v148, v11, -v12
	ds_load_2addr_b64 v[9:12], v21 offset0:79 offset1:80
	s_wait_loadcnt_dscnt 0x201
	v_mul_f32_e32 v146, v5, v14
	v_dual_mul_f32 v14, v6, v14 :: v_dual_mul_f32 v147, v7, v16
	v_mul_f32_e32 v16, v8, v16
	s_delay_alu instid0(VALU_DEP_3) | instskip(NEXT) | instid1(VALU_DEP_3)
	v_fmac_f32_e32 v146, v6, v13
	v_fma_f32 v13, v5, v13, -v14
	s_delay_alu instid0(VALU_DEP_4) | instskip(NEXT) | instid1(VALU_DEP_4)
	v_fmac_f32_e32 v147, v8, v15
	v_fma_f32 v14, v7, v15, -v16
	ds_load_2addr_b64 v[5:8], v21 offset0:81 offset1:82
	s_wait_loadcnt_dscnt 0x101
	v_mul_f32_e32 v15, v9, v18
	v_mul_f32_e32 v16, v10, v18
	;; [unrolled: 1-line block ×3, first 2 shown]
	s_delay_alu instid0(VALU_DEP_3)
	v_dual_mul_f32 v20, v12, v20 :: v_dual_fmac_f32 v15, v10, v17
	v_fma_f32 v142, v142, v1, -v2
	scratch_load_b128 v[1:4], off, off offset:200
	v_fma_f32 v16, v9, v17, -v16
	v_fmac_f32_e32 v18, v12, v19
	v_fma_f32 v17, v11, v19, -v20
	scratch_load_b128 v[9:12], off, off offset:216
	s_wait_loadcnt_dscnt 0x100
	v_mul_f32_e32 v19, v5, v2
	v_mul_f32_e32 v2, v6, v2
	;; [unrolled: 1-line block ×3, first 2 shown]
	s_delay_alu instid0(VALU_DEP_3) | instskip(NEXT) | instid1(VALU_DEP_3)
	v_dual_mul_f32 v4, v8, v4 :: v_dual_fmac_f32 v19, v6, v1
	v_fma_f32 v148, v5, v1, -v2
	s_delay_alu instid0(VALU_DEP_3) | instskip(NEXT) | instid1(VALU_DEP_3)
	v_fmac_f32_e32 v20, v8, v3
	v_fma_f32 v149, v7, v3, -v4
	ds_load_2addr_b64 v[1:4], v21 offset0:83 offset1:84
	ds_load_2addr_b64 v[5:8], v21 offset0:85 offset1:86
	s_wait_loadcnt_dscnt 0x1
	v_mul_f32_e32 v151, v1, v10
	v_mul_f32_e32 v10, v2, v10
	s_delay_alu instid0(VALU_DEP_2) | instskip(NEXT) | instid1(VALU_DEP_2)
	v_dual_mul_f32 v152, v3, v12 :: v_dual_fmac_f32 v151, v2, v9
	v_fma_f32 v153, v1, v9, -v10
	v_mul_f32_e32 v1, v4, v12
	s_delay_alu instid0(VALU_DEP_3) | instskip(NEXT) | instid1(VALU_DEP_2)
	v_fmac_f32_e32 v152, v4, v11
	v_fma_f32 v154, v3, v11, -v1
	s_clause 0x1
	scratch_load_b128 v[1:4], off, off offset:232
	scratch_load_b128 v[9:12], off, off offset:248
	s_wait_loadcnt_dscnt 0x100
	v_mul_f32_e32 v155, v5, v2
	v_dual_mul_f32 v2, v6, v2 :: v_dual_mul_f32 v157, v7, v4
	s_delay_alu instid0(VALU_DEP_2) | instskip(NEXT) | instid1(VALU_DEP_2)
	v_fmac_f32_e32 v155, v6, v1
	v_fma_f32 v156, v5, v1, -v2
	v_mul_f32_e32 v1, v8, v4
	s_delay_alu instid0(VALU_DEP_4) | instskip(NEXT) | instid1(VALU_DEP_2)
	v_fmac_f32_e32 v157, v8, v3
	v_fma_f32 v158, v7, v3, -v1
	ds_load_2addr_b64 v[1:4], v21 offset0:87 offset1:88
	ds_load_2addr_b64 v[5:8], v21 offset0:89 offset1:90
	s_wait_loadcnt_dscnt 0x1
	v_mul_f32_e32 v159, v1, v10
	v_mul_f32_e32 v161, v3, v12
	s_delay_alu instid0(VALU_DEP_2) | instskip(NEXT) | instid1(VALU_DEP_2)
	v_fmac_f32_e32 v159, v2, v9
	v_dual_mul_f32 v2, v2, v10 :: v_dual_fmac_f32 v161, v4, v11
	s_delay_alu instid0(VALU_DEP_1) | instskip(SKIP_1) | instid1(VALU_DEP_1)
	v_fma_f32 v160, v1, v9, -v2
	v_mul_f32_e32 v1, v4, v12
	v_fma_f32 v162, v3, v11, -v1
	s_clause 0x1
	scratch_load_b128 v[1:4], off, off offset:264
	scratch_load_b128 v[9:12], off, off offset:280
	s_wait_loadcnt_dscnt 0x100
	v_mul_f32_e32 v163, v5, v2
	v_dual_mul_f32 v2, v6, v2 :: v_dual_mul_f32 v165, v7, v4
	s_delay_alu instid0(VALU_DEP_2) | instskip(NEXT) | instid1(VALU_DEP_2)
	v_fmac_f32_e32 v163, v6, v1
	v_fma_f32 v164, v5, v1, -v2
	v_mul_f32_e32 v1, v8, v4
	s_delay_alu instid0(VALU_DEP_4) | instskip(NEXT) | instid1(VALU_DEP_2)
	v_fmac_f32_e32 v165, v8, v3
	v_fma_f32 v166, v7, v3, -v1
	ds_load_2addr_b64 v[1:4], v21 offset0:91 offset1:92
	ds_load_2addr_b64 v[5:8], v21 offset0:93 offset1:94
	s_wait_loadcnt_dscnt 0x1
	v_mul_f32_e32 v167, v1, v10
	v_mul_f32_e32 v169, v3, v12
	s_delay_alu instid0(VALU_DEP_2) | instskip(NEXT) | instid1(VALU_DEP_2)
	v_fmac_f32_e32 v167, v2, v9
	v_dual_mul_f32 v2, v2, v10 :: v_dual_fmac_f32 v169, v4, v11
	s_delay_alu instid0(VALU_DEP_1) | instskip(SKIP_1) | instid1(VALU_DEP_1)
	v_fma_f32 v168, v1, v9, -v2
	v_mul_f32_e32 v1, v4, v12
	;; [unrolled: 25-line block ×4, first 2 shown]
	v_fma_f32 v186, v3, v11, -v1
	s_clause 0x1
	scratch_load_b128 v[1:4], off, off offset:360
	scratch_load_b128 v[9:12], off, off offset:376
	s_wait_loadcnt_dscnt 0x100
	v_mul_f32_e32 v187, v5, v2
	v_mul_f32_e32 v2, v6, v2
	s_delay_alu instid0(VALU_DEP_1) | instskip(SKIP_1) | instid1(VALU_DEP_1)
	v_fma_f32 v188, v5, v1, -v2
	v_add_f32_e32 v2, 0, v23
	v_add_f32_e32 v2, v2, v24
	s_delay_alu instid0(VALU_DEP_1) | instskip(NEXT) | instid1(VALU_DEP_1)
	v_add_f32_e32 v2, v2, v139
	v_add_f32_e32 v2, v2, v140
	s_delay_alu instid0(VALU_DEP_1) | instskip(NEXT) | instid1(VALU_DEP_1)
	v_add_f32_e32 v2, v2, v141
	v_add_f32_e32 v2, v2, v150
	s_delay_alu instid0(VALU_DEP_1) | instskip(NEXT) | instid1(VALU_DEP_1)
	v_add_f32_e32 v2, v2, v146
	v_add_f32_e32 v2, v2, v147
	s_delay_alu instid0(VALU_DEP_1) | instskip(NEXT) | instid1(VALU_DEP_1)
	v_add_f32_e32 v2, v2, v15
	v_add_f32_e32 v2, v2, v18
	s_delay_alu instid0(VALU_DEP_1) | instskip(NEXT) | instid1(VALU_DEP_1)
	v_add_f32_e32 v2, v2, v19
	v_add_f32_e32 v2, v2, v20
	s_delay_alu instid0(VALU_DEP_1) | instskip(NEXT) | instid1(VALU_DEP_1)
	v_add_f32_e32 v2, v2, v151
	v_add_f32_e32 v2, v2, v152
	v_fmac_f32_e32 v187, v6, v1
	s_delay_alu instid0(VALU_DEP_2) | instskip(NEXT) | instid1(VALU_DEP_1)
	v_dual_add_f32 v2, v2, v155 :: v_dual_mul_f32 v189, v7, v4
	v_add_f32_e32 v2, v2, v157
	s_delay_alu instid0(VALU_DEP_1) | instskip(NEXT) | instid1(VALU_DEP_1)
	v_add_f32_e32 v5, v2, v159
	v_add_f32_e32 v5, v5, v161
	s_delay_alu instid0(VALU_DEP_1) | instskip(SKIP_1) | instid1(VALU_DEP_1)
	v_add_f32_e32 v5, v5, v163
	v_mul_f32_e32 v1, v8, v4
	v_fma_f32 v190, v7, v3, -v1
	v_add_f32_e32 v1, 0, v22
	s_delay_alu instid0(VALU_DEP_1) | instskip(NEXT) | instid1(VALU_DEP_1)
	v_add_f32_e32 v1, v1, v138
	v_add_f32_e32 v1, v1, v142
	s_delay_alu instid0(VALU_DEP_1) | instskip(NEXT) | instid1(VALU_DEP_1)
	v_add_f32_e32 v1, v1, v143
	;; [unrolled: 3-line block ×3, first 2 shown]
	v_add_f32_e32 v1, v1, v13
	s_delay_alu instid0(VALU_DEP_1) | instskip(SKIP_1) | instid1(VALU_DEP_2)
	v_add_f32_e32 v1, v1, v14
	v_add_f32_e32 v14, v5, v165
	;; [unrolled: 1-line block ×3, first 2 shown]
	s_delay_alu instid0(VALU_DEP_1) | instskip(NEXT) | instid1(VALU_DEP_1)
	v_add_f32_e32 v1, v1, v17
	v_add_f32_e32 v1, v1, v148
	s_delay_alu instid0(VALU_DEP_1) | instskip(NEXT) | instid1(VALU_DEP_1)
	v_add_f32_e32 v1, v1, v149
	v_add_f32_e32 v1, v1, v153
	;; [unrolled: 3-line block ×4, first 2 shown]
	s_delay_alu instid0(VALU_DEP_1) | instskip(SKIP_3) | instid1(VALU_DEP_2)
	v_dual_add_f32 v6, v1, v162 :: v_dual_fmac_f32 v189, v8, v3
	ds_load_2addr_b64 v[1:4], v21 offset0:103 offset1:104
	v_add_f32_e32 v14, v14, v167
	v_add_f32_e32 v6, v6, v164
	;; [unrolled: 1-line block ×3, first 2 shown]
	s_delay_alu instid0(VALU_DEP_2)
	v_add_f32_e32 v13, v6, v166
	ds_load_2addr_b64 v[5:8], v21 offset0:105 offset1:106
	s_wait_loadcnt_dscnt 0x1
	v_dual_mul_f32 v138, v1, v10 :: v_dual_mul_f32 v139, v3, v12
	v_mul_f32_e32 v10, v2, v10
	v_dual_mul_f32 v12, v4, v12 :: v_dual_add_f32 v17, v14, v171
	s_delay_alu instid0(VALU_DEP_3) | instskip(NEXT) | instid1(VALU_DEP_3)
	v_dual_fmac_f32 v138, v2, v9 :: v_dual_fmac_f32 v139, v4, v11
	v_fma_f32 v140, v1, v9, -v10
	s_delay_alu instid0(VALU_DEP_3) | instskip(SKIP_4) | instid1(VALU_DEP_1)
	v_fma_f32 v141, v3, v11, -v12
	s_clause 0x1
	scratch_load_b128 v[1:4], off, off offset:392
	scratch_load_b128 v[9:12], off, off offset:408
	v_add_f32_e32 v13, v13, v168
	v_add_f32_e32 v13, v13, v170
	s_delay_alu instid0(VALU_DEP_1) | instskip(NEXT) | instid1(VALU_DEP_1)
	v_add_f32_e32 v13, v13, v172
	v_add_f32_e32 v18, v13, v174
	scratch_load_b128 v[13:16], off, off offset:424
	v_dual_add_f32 v17, v17, v173 :: v_dual_add_f32 v18, v18, v176
	s_delay_alu instid0(VALU_DEP_1) | instskip(NEXT) | instid1(VALU_DEP_1)
	v_dual_add_f32 v17, v17, v175 :: v_dual_add_f32 v18, v18, v178
	v_dual_add_f32 v17, v17, v177 :: v_dual_add_f32 v22, v18, v180
	s_delay_alu instid0(VALU_DEP_1) | instskip(SKIP_4) | instid1(VALU_DEP_1)
	v_add_f32_e32 v23, v17, v179
	ds_load_2addr_b64 v[17:20], v21 offset0:107 offset1:108
	v_dual_add_f32 v142, v22, v182 :: v_dual_add_f32 v143, v23, v181
	ds_load_2addr_b64 v[21:24], v21 offset0:109 offset1:110
	v_add_f32_e32 v142, v142, v184
	v_add_f32_e32 v142, v142, v186
	s_delay_alu instid0(VALU_DEP_1) | instskip(NEXT) | instid1(VALU_DEP_1)
	v_add_f32_e32 v142, v142, v188
	v_add_f32_e32 v142, v142, v190
	s_delay_alu instid0(VALU_DEP_1)
	v_add_f32_e32 v140, v142, v140
	s_wait_loadcnt_dscnt 0x202
	v_dual_mul_f32 v144, v5, v2 :: v_dual_add_f32 v143, v143, v183
	s_wait_loadcnt_dscnt 0x101
	v_mul_f32_e32 v146, v17, v10
	v_dual_mul_f32 v2, v6, v2 :: v_dual_mul_f32 v145, v7, v4
	s_delay_alu instid0(VALU_DEP_3) | instskip(SKIP_1) | instid1(VALU_DEP_3)
	v_dual_mul_f32 v4, v8, v4 :: v_dual_add_f32 v143, v143, v185
	v_fmac_f32_e32 v144, v6, v1
	v_fma_f32 v2, v5, v1, -v2
	v_dual_add_f32 v1, v140, v141 :: v_dual_mul_f32 v6, v18, v10
	s_delay_alu instid0(VALU_DEP_4) | instskip(SKIP_2) | instid1(VALU_DEP_4)
	v_add_f32_e32 v143, v143, v187
	v_fmac_f32_e32 v145, v8, v3
	v_fma_f32 v3, v7, v3, -v4
	v_add_f32_e32 v1, v1, v2
	v_mul_f32_e32 v147, v19, v12
	v_dual_add_f32 v143, v143, v189 :: v_dual_mul_f32 v4, v20, v12
	s_delay_alu instid0(VALU_DEP_3) | instskip(SKIP_2) | instid1(VALU_DEP_3)
	v_dual_fmac_f32 v146, v18, v9 :: v_dual_add_f32 v1, v1, v3
	s_wait_loadcnt_dscnt 0x0
	v_mul_f32_e32 v148, v21, v14
	v_add_f32_e32 v138, v143, v138
	v_mul_f32_e32 v3, v22, v14
	v_fmac_f32_e32 v147, v20, v11
	v_fma_f32 v4, v19, v11, -v4
	s_delay_alu instid0(VALU_DEP_4) | instskip(SKIP_2) | instid1(VALU_DEP_3)
	v_dual_mul_f32 v142, v23, v16 :: v_dual_add_f32 v5, v138, v139
	v_fmac_f32_e32 v148, v22, v13
	v_fma_f32 v3, v21, v13, -v3
	v_fmac_f32_e32 v142, v24, v15
	s_delay_alu instid0(VALU_DEP_4) | instskip(SKIP_1) | instid1(VALU_DEP_2)
	v_add_f32_e32 v2, v5, v144
	v_fma_f32 v5, v17, v9, -v6
	v_add_f32_e32 v2, v2, v145
	s_delay_alu instid0(VALU_DEP_2) | instskip(NEXT) | instid1(VALU_DEP_2)
	v_add_f32_e32 v1, v1, v5
	v_dual_mul_f32 v5, v24, v16 :: v_dual_add_f32 v2, v2, v146
	s_delay_alu instid0(VALU_DEP_2) | instskip(NEXT) | instid1(VALU_DEP_2)
	v_add_f32_e32 v1, v1, v4
	v_fma_f32 v4, v23, v15, -v5
	s_delay_alu instid0(VALU_DEP_3) | instskip(NEXT) | instid1(VALU_DEP_1)
	v_add_f32_e32 v2, v2, v147
	v_dual_add_f32 v1, v1, v3 :: v_dual_add_f32 v2, v2, v148
	s_delay_alu instid0(VALU_DEP_1) | instskip(NEXT) | instid1(VALU_DEP_1)
	v_dual_add_f32 v1, v1, v4 :: v_dual_add_f32 v2, v2, v142
	v_dual_sub_f32 v1, v135, v1 :: v_dual_sub_f32 v2, v136, v2
	scratch_store_b64 off, v[1:2], off offset:112
	v_cmpx_lt_u32_e32 13, v0
	s_cbranch_execz .LBB54_317
; %bb.316:
	scratch_load_b64 v[1:2], off, off offset:104
	v_mov_b32_e32 v3, 0
	s_delay_alu instid0(VALU_DEP_1)
	v_mov_b32_e32 v4, v3
	scratch_store_b64 off, v[3:4], off offset:104
	s_wait_loadcnt 0x0
	ds_store_b64 v137, v[1:2]
.LBB54_317:
	s_wait_alu 0xfffe
	s_or_b32 exec_lo, exec_lo, s0
	s_wait_storecnt_dscnt 0x0
	s_barrier_signal -1
	s_barrier_wait -1
	global_inv scope:SCOPE_SE
	s_clause 0x4
	scratch_load_b128 v[5:8], off, off offset:112
	scratch_load_b128 v[1:4], off, off offset:128
	;; [unrolled: 1-line block ×5, first 2 shown]
	v_mov_b32_e32 v21, 0
	ds_load_b128 v[138:141], v21 offset:560
	ds_load_b128 v[142:145], v21 offset:576
	;; [unrolled: 1-line block ×3, first 2 shown]
	scratch_load_b64 v[22:23], off, off offset:104
	s_mov_b32 s0, exec_lo
	s_wait_loadcnt_dscnt 0x502
	v_mul_f32_e32 v24, v139, v6
	v_dual_mul_f32 v135, v138, v6 :: v_dual_mul_f32 v136, v140, v8
	v_mul_f32_e32 v6, v141, v8
	s_delay_alu instid0(VALU_DEP_3) | instskip(NEXT) | instid1(VALU_DEP_3)
	v_fma_f32 v24, v138, v5, -v24
	v_dual_fmac_f32 v135, v139, v5 :: v_dual_fmac_f32 v136, v141, v7
	s_wait_loadcnt_dscnt 0x401
	v_mul_f32_e32 v139, v142, v2
	v_fma_f32 v138, v140, v7, -v6
	ds_load_b128 v[5:8], v21 offset:608
	s_wait_loadcnt_dscnt 0x301
	v_dual_mul_f32 v140, v144, v4 :: v_dual_mul_f32 v141, v146, v10
	v_dual_mul_f32 v4, v145, v4 :: v_dual_fmac_f32 v139, v143, v1
	v_mul_f32_e32 v10, v147, v10
	s_delay_alu instid0(VALU_DEP_3)
	v_dual_mul_f32 v150, v148, v12 :: v_dual_fmac_f32 v141, v147, v9
	v_mul_f32_e32 v12, v149, v12
	v_mul_f32_e32 v2, v143, v2
	v_fmac_f32_e32 v140, v145, v3
	v_fma_f32 v143, v144, v3, -v4
	v_fma_f32 v144, v146, v9, -v10
	v_fmac_f32_e32 v150, v149, v11
	v_fma_f32 v145, v148, v11, -v12
	ds_load_b128 v[9:12], v21 offset:624
	s_wait_loadcnt_dscnt 0x201
	v_dual_mul_f32 v147, v7, v16 :: v_dual_mul_f32 v146, v5, v14
	v_mul_f32_e32 v14, v6, v14
	v_mul_f32_e32 v16, v8, v16
	s_delay_alu instid0(VALU_DEP_3)
	v_fmac_f32_e32 v147, v8, v15
	v_fma_f32 v142, v142, v1, -v2
	scratch_load_b128 v[1:4], off, off offset:192
	v_fmac_f32_e32 v146, v6, v13
	v_fma_f32 v13, v5, v13, -v14
	v_fma_f32 v14, v7, v15, -v16
	ds_load_b128 v[5:8], v21 offset:640
	s_wait_loadcnt_dscnt 0x201
	v_mul_f32_e32 v15, v9, v18
	v_mul_f32_e32 v16, v10, v18
	;; [unrolled: 1-line block ×3, first 2 shown]
	s_delay_alu instid0(VALU_DEP_3) | instskip(NEXT) | instid1(VALU_DEP_3)
	v_dual_mul_f32 v20, v12, v20 :: v_dual_fmac_f32 v15, v10, v17
	v_fma_f32 v16, v9, v17, -v16
	s_delay_alu instid0(VALU_DEP_3) | instskip(NEXT) | instid1(VALU_DEP_3)
	v_fmac_f32_e32 v18, v12, v19
	v_fma_f32 v17, v11, v19, -v20
	scratch_load_b128 v[9:12], off, off offset:208
	s_wait_loadcnt_dscnt 0x100
	v_mul_f32_e32 v19, v5, v2
	v_mul_f32_e32 v2, v6, v2
	;; [unrolled: 1-line block ×3, first 2 shown]
	s_delay_alu instid0(VALU_DEP_3) | instskip(NEXT) | instid1(VALU_DEP_3)
	v_dual_mul_f32 v4, v8, v4 :: v_dual_fmac_f32 v19, v6, v1
	v_fma_f32 v148, v5, v1, -v2
	s_delay_alu instid0(VALU_DEP_3) | instskip(NEXT) | instid1(VALU_DEP_3)
	v_fmac_f32_e32 v20, v8, v3
	v_fma_f32 v149, v7, v3, -v4
	ds_load_b128 v[1:4], v21 offset:656
	ds_load_b128 v[5:8], v21 offset:672
	s_wait_loadcnt_dscnt 0x1
	v_mul_f32_e32 v151, v1, v10
	v_mul_f32_e32 v10, v2, v10
	s_delay_alu instid0(VALU_DEP_2) | instskip(NEXT) | instid1(VALU_DEP_2)
	v_dual_mul_f32 v152, v3, v12 :: v_dual_fmac_f32 v151, v2, v9
	v_fma_f32 v153, v1, v9, -v10
	v_mul_f32_e32 v1, v4, v12
	s_delay_alu instid0(VALU_DEP_3) | instskip(NEXT) | instid1(VALU_DEP_2)
	v_fmac_f32_e32 v152, v4, v11
	v_fma_f32 v154, v3, v11, -v1
	s_clause 0x1
	scratch_load_b128 v[1:4], off, off offset:224
	scratch_load_b128 v[9:12], off, off offset:240
	s_wait_loadcnt_dscnt 0x100
	v_mul_f32_e32 v155, v5, v2
	v_dual_mul_f32 v2, v6, v2 :: v_dual_mul_f32 v157, v7, v4
	s_delay_alu instid0(VALU_DEP_2) | instskip(NEXT) | instid1(VALU_DEP_2)
	v_fmac_f32_e32 v155, v6, v1
	v_fma_f32 v156, v5, v1, -v2
	v_mul_f32_e32 v1, v8, v4
	s_delay_alu instid0(VALU_DEP_4) | instskip(NEXT) | instid1(VALU_DEP_2)
	v_fmac_f32_e32 v157, v8, v3
	v_fma_f32 v158, v7, v3, -v1
	ds_load_b128 v[1:4], v21 offset:688
	ds_load_b128 v[5:8], v21 offset:704
	s_wait_loadcnt_dscnt 0x1
	v_mul_f32_e32 v159, v1, v10
	v_mul_f32_e32 v161, v3, v12
	s_delay_alu instid0(VALU_DEP_2) | instskip(NEXT) | instid1(VALU_DEP_2)
	v_fmac_f32_e32 v159, v2, v9
	v_dual_mul_f32 v2, v2, v10 :: v_dual_fmac_f32 v161, v4, v11
	s_delay_alu instid0(VALU_DEP_1) | instskip(SKIP_1) | instid1(VALU_DEP_1)
	v_fma_f32 v160, v1, v9, -v2
	v_mul_f32_e32 v1, v4, v12
	v_fma_f32 v162, v3, v11, -v1
	s_clause 0x1
	scratch_load_b128 v[1:4], off, off offset:256
	scratch_load_b128 v[9:12], off, off offset:272
	s_wait_loadcnt_dscnt 0x100
	v_mul_f32_e32 v163, v5, v2
	v_dual_mul_f32 v165, v7, v4 :: v_dual_mul_f32 v2, v6, v2
	s_delay_alu instid0(VALU_DEP_2) | instskip(NEXT) | instid1(VALU_DEP_2)
	v_fmac_f32_e32 v163, v6, v1
	v_fmac_f32_e32 v165, v8, v3
	s_delay_alu instid0(VALU_DEP_3) | instskip(SKIP_1) | instid1(VALU_DEP_1)
	v_fma_f32 v164, v5, v1, -v2
	v_mul_f32_e32 v1, v8, v4
	v_fma_f32 v166, v7, v3, -v1
	ds_load_b128 v[1:4], v21 offset:720
	ds_load_b128 v[5:8], v21 offset:736
	s_wait_loadcnt_dscnt 0x1
	v_mul_f32_e32 v167, v1, v10
	v_mul_f32_e32 v169, v3, v12
	s_delay_alu instid0(VALU_DEP_2) | instskip(NEXT) | instid1(VALU_DEP_2)
	v_fmac_f32_e32 v167, v2, v9
	v_dual_mul_f32 v2, v2, v10 :: v_dual_fmac_f32 v169, v4, v11
	s_delay_alu instid0(VALU_DEP_1) | instskip(SKIP_1) | instid1(VALU_DEP_1)
	v_fma_f32 v168, v1, v9, -v2
	v_mul_f32_e32 v1, v4, v12
	v_fma_f32 v170, v3, v11, -v1
	s_clause 0x1
	scratch_load_b128 v[1:4], off, off offset:288
	scratch_load_b128 v[9:12], off, off offset:304
	s_wait_loadcnt_dscnt 0x100
	v_mul_f32_e32 v171, v5, v2
	v_dual_mul_f32 v2, v6, v2 :: v_dual_mul_f32 v173, v7, v4
	s_delay_alu instid0(VALU_DEP_2) | instskip(NEXT) | instid1(VALU_DEP_2)
	v_fmac_f32_e32 v171, v6, v1
	v_fma_f32 v172, v5, v1, -v2
	v_mul_f32_e32 v1, v8, v4
	s_delay_alu instid0(VALU_DEP_4) | instskip(NEXT) | instid1(VALU_DEP_2)
	v_fmac_f32_e32 v173, v8, v3
	v_fma_f32 v174, v7, v3, -v1
	ds_load_b128 v[1:4], v21 offset:752
	ds_load_b128 v[5:8], v21 offset:768
	s_wait_loadcnt_dscnt 0x1
	v_mul_f32_e32 v175, v1, v10
	v_mul_f32_e32 v177, v3, v12
	s_delay_alu instid0(VALU_DEP_2) | instskip(NEXT) | instid1(VALU_DEP_2)
	v_fmac_f32_e32 v175, v2, v9
	v_dual_mul_f32 v2, v2, v10 :: v_dual_fmac_f32 v177, v4, v11
	s_delay_alu instid0(VALU_DEP_1) | instskip(SKIP_1) | instid1(VALU_DEP_1)
	v_fma_f32 v176, v1, v9, -v2
	v_mul_f32_e32 v1, v4, v12
	v_fma_f32 v178, v3, v11, -v1
	s_clause 0x1
	scratch_load_b128 v[1:4], off, off offset:320
	scratch_load_b128 v[9:12], off, off offset:336
	s_wait_loadcnt_dscnt 0x100
	v_mul_f32_e32 v179, v5, v2
	v_dual_mul_f32 v2, v6, v2 :: v_dual_mul_f32 v181, v7, v4
	s_delay_alu instid0(VALU_DEP_2) | instskip(NEXT) | instid1(VALU_DEP_2)
	v_fmac_f32_e32 v179, v6, v1
	v_fma_f32 v180, v5, v1, -v2
	v_mul_f32_e32 v1, v8, v4
	s_delay_alu instid0(VALU_DEP_4) | instskip(NEXT) | instid1(VALU_DEP_2)
	v_fmac_f32_e32 v181, v8, v3
	v_fma_f32 v182, v7, v3, -v1
	ds_load_b128 v[1:4], v21 offset:784
	ds_load_b128 v[5:8], v21 offset:800
	s_wait_loadcnt_dscnt 0x1
	v_mul_f32_e32 v183, v1, v10
	v_mul_f32_e32 v185, v3, v12
	s_delay_alu instid0(VALU_DEP_2) | instskip(NEXT) | instid1(VALU_DEP_2)
	v_fmac_f32_e32 v183, v2, v9
	v_dual_mul_f32 v2, v2, v10 :: v_dual_fmac_f32 v185, v4, v11
	s_delay_alu instid0(VALU_DEP_1) | instskip(SKIP_1) | instid1(VALU_DEP_1)
	v_fma_f32 v184, v1, v9, -v2
	v_mul_f32_e32 v1, v4, v12
	v_fma_f32 v186, v3, v11, -v1
	s_clause 0x1
	scratch_load_b128 v[1:4], off, off offset:352
	scratch_load_b128 v[9:12], off, off offset:368
	s_wait_loadcnt_dscnt 0x100
	v_mul_f32_e32 v187, v5, v2
	v_mul_f32_e32 v2, v6, v2
	s_delay_alu instid0(VALU_DEP_1) | instskip(SKIP_1) | instid1(VALU_DEP_1)
	v_fma_f32 v188, v5, v1, -v2
	v_add_f32_e32 v2, 0, v135
	v_add_f32_e32 v2, v2, v136
	scratch_load_b64 v[135:136], off, off offset:432
	v_add_f32_e32 v2, v2, v139
	s_delay_alu instid0(VALU_DEP_1) | instskip(NEXT) | instid1(VALU_DEP_1)
	v_add_f32_e32 v2, v2, v140
	v_add_f32_e32 v2, v2, v141
	s_delay_alu instid0(VALU_DEP_1) | instskip(NEXT) | instid1(VALU_DEP_1)
	v_add_f32_e32 v2, v2, v150
	;; [unrolled: 3-line block ×6, first 2 shown]
	v_add_f32_e32 v2, v2, v155
	s_delay_alu instid0(VALU_DEP_1) | instskip(SKIP_2) | instid1(VALU_DEP_3)
	v_add_f32_e32 v2, v2, v157
	v_fmac_f32_e32 v187, v6, v1
	v_mul_f32_e32 v1, v8, v4
	v_add_f32_e32 v5, v2, v159
	s_delay_alu instid0(VALU_DEP_2) | instskip(SKIP_1) | instid1(VALU_DEP_3)
	v_fma_f32 v190, v7, v3, -v1
	v_add_f32_e32 v1, 0, v24
	v_add_f32_e32 v5, v5, v161
	s_delay_alu instid0(VALU_DEP_2) | instskip(NEXT) | instid1(VALU_DEP_2)
	v_add_f32_e32 v1, v1, v138
	v_add_f32_e32 v5, v5, v163
	v_mul_f32_e32 v189, v7, v4
	s_delay_alu instid0(VALU_DEP_3) | instskip(NEXT) | instid1(VALU_DEP_1)
	v_add_f32_e32 v1, v1, v142
	v_add_f32_e32 v1, v1, v143
	s_delay_alu instid0(VALU_DEP_1) | instskip(NEXT) | instid1(VALU_DEP_1)
	v_add_f32_e32 v1, v1, v144
	v_add_f32_e32 v1, v1, v145
	s_delay_alu instid0(VALU_DEP_1) | instskip(NEXT) | instid1(VALU_DEP_1)
	v_add_f32_e32 v1, v1, v13
	v_add_f32_e32 v1, v1, v14
	;; [unrolled: 1-line block ×3, first 2 shown]
	s_delay_alu instid0(VALU_DEP_2) | instskip(NEXT) | instid1(VALU_DEP_1)
	v_add_f32_e32 v1, v1, v16
	v_add_f32_e32 v1, v1, v17
	s_delay_alu instid0(VALU_DEP_1) | instskip(NEXT) | instid1(VALU_DEP_1)
	v_add_f32_e32 v1, v1, v148
	v_add_f32_e32 v1, v1, v149
	s_delay_alu instid0(VALU_DEP_1) | instskip(NEXT) | instid1(VALU_DEP_1)
	;; [unrolled: 3-line block ×4, first 2 shown]
	v_add_f32_e32 v1, v1, v160
	v_dual_add_f32 v6, v1, v162 :: v_dual_fmac_f32 v189, v8, v3
	ds_load_b128 v[1:4], v21 offset:816
	v_add_f32_e32 v14, v14, v167
	v_add_f32_e32 v6, v6, v164
	s_delay_alu instid0(VALU_DEP_2) | instskip(NEXT) | instid1(VALU_DEP_2)
	v_add_f32_e32 v14, v14, v169
	v_add_f32_e32 v13, v6, v166
	ds_load_b128 v[5:8], v21 offset:832
	s_wait_loadcnt_dscnt 0x101
	v_mul_f32_e32 v24, v1, v10
	v_mul_f32_e32 v10, v2, v10
	;; [unrolled: 1-line block ×4, first 2 shown]
	s_delay_alu instid0(VALU_DEP_4) | instskip(NEXT) | instid1(VALU_DEP_4)
	v_fmac_f32_e32 v24, v2, v9
	v_fma_f32 v145, v1, v9, -v10
	s_delay_alu instid0(VALU_DEP_4) | instskip(NEXT) | instid1(VALU_DEP_4)
	v_fmac_f32_e32 v144, v4, v11
	v_fma_f32 v146, v3, v11, -v12
	s_clause 0x1
	scratch_load_b128 v[1:4], off, off offset:384
	scratch_load_b128 v[9:12], off, off offset:400
	s_wait_loadcnt_dscnt 0x100
	v_dual_mul_f32 v150, v7, v4 :: v_dual_mul_f32 v149, v5, v2
	v_mul_f32_e32 v2, v6, v2
	v_mul_f32_e32 v4, v8, v4
	s_delay_alu instid0(VALU_DEP_3) | instskip(NEXT) | instid1(VALU_DEP_3)
	v_dual_fmac_f32 v150, v8, v3 :: v_dual_add_f32 v13, v13, v168
	v_fma_f32 v2, v5, v1, -v2
	s_delay_alu instid0(VALU_DEP_2) | instskip(NEXT) | instid1(VALU_DEP_1)
	v_add_f32_e32 v13, v13, v170
	v_add_f32_e32 v13, v13, v172
	s_delay_alu instid0(VALU_DEP_1) | instskip(NEXT) | instid1(VALU_DEP_1)
	v_add_f32_e32 v18, v13, v174
	v_add_f32_e32 v18, v18, v176
	s_delay_alu instid0(VALU_DEP_1) | instskip(NEXT) | instid1(VALU_DEP_1)
	;; [unrolled: 3-line block ×5, first 2 shown]
	v_add_f32_e32 v147, v147, v190
	v_add_f32_e32 v145, v147, v145
	s_delay_alu instid0(VALU_DEP_1) | instskip(SKIP_4) | instid1(VALU_DEP_1)
	v_add_f32_e32 v145, v145, v146
	v_add_f32_e32 v17, v14, v171
	scratch_load_b128 v[13:16], off, off offset:416
	v_add_f32_e32 v2, v145, v2
	v_add_f32_e32 v17, v17, v173
	;; [unrolled: 1-line block ×3, first 2 shown]
	s_delay_alu instid0(VALU_DEP_1) | instskip(NEXT) | instid1(VALU_DEP_1)
	v_add_f32_e32 v17, v17, v177
	v_add_f32_e32 v17, v17, v179
	s_delay_alu instid0(VALU_DEP_1)
	v_add_f32_e32 v138, v17, v181
	ds_load_b128 v[17:20], v21 offset:848
	v_add_f32_e32 v143, v138, v183
	ds_load_b128 v[138:141], v21 offset:864
	v_add_f32_e32 v148, v143, v185
	ds_load_b64 v[142:143], v21 offset:880
	v_add_f32_e32 v148, v148, v187
	s_wait_loadcnt_dscnt 0x102
	s_delay_alu instid0(VALU_DEP_1) | instskip(SKIP_1) | instid1(VALU_DEP_2)
	v_dual_add_f32 v148, v148, v189 :: v_dual_mul_f32 v147, v17, v10
	v_mul_f32_e32 v5, v20, v12
	v_add_f32_e32 v24, v148, v24
	s_delay_alu instid0(VALU_DEP_3) | instskip(NEXT) | instid1(VALU_DEP_3)
	v_dual_mul_f32 v148, v19, v12 :: v_dual_fmac_f32 v147, v18, v9
	v_fma_f32 v5, v19, v11, -v5
	s_delay_alu instid0(VALU_DEP_3) | instskip(NEXT) | instid1(VALU_DEP_3)
	v_add_f32_e32 v24, v24, v144
	v_fmac_f32_e32 v148, v20, v11
	s_wait_dscnt 0x0
	v_mul_f32_e32 v144, v142, v136
	s_delay_alu instid0(VALU_DEP_1) | instskip(SKIP_1) | instid1(VALU_DEP_2)
	v_dual_fmac_f32 v144, v143, v135 :: v_dual_fmac_f32 v149, v6, v1
	v_fma_f32 v1, v7, v3, -v4
	v_dual_mul_f32 v3, v18, v10 :: v_dual_add_f32 v4, v24, v149
	s_delay_alu instid0(VALU_DEP_2) | instskip(NEXT) | instid1(VALU_DEP_2)
	v_add_f32_e32 v1, v2, v1
	v_fma_f32 v3, v17, v9, -v3
	s_delay_alu instid0(VALU_DEP_1) | instskip(NEXT) | instid1(VALU_DEP_1)
	v_dual_add_f32 v2, v4, v150 :: v_dual_add_f32 v1, v1, v3
	v_dual_add_f32 v2, v2, v147 :: v_dual_add_f32 v1, v1, v5
	v_mul_f32_e32 v5, v143, v136
	s_delay_alu instid0(VALU_DEP_2)
	v_add_f32_e32 v2, v2, v148
	s_wait_loadcnt 0x0
	v_mul_f32_e32 v151, v138, v14
	v_mul_f32_e32 v4, v139, v14
	;; [unrolled: 1-line block ×4, first 2 shown]
	s_delay_alu instid0(VALU_DEP_4) | instskip(NEXT) | instid1(VALU_DEP_4)
	v_fmac_f32_e32 v151, v139, v13
	v_fma_f32 v4, v138, v13, -v4
	s_delay_alu instid0(VALU_DEP_4) | instskip(NEXT) | instid1(VALU_DEP_4)
	v_fmac_f32_e32 v146, v141, v15
	v_fma_f32 v3, v140, v15, -v3
	s_delay_alu instid0(VALU_DEP_3) | instskip(SKIP_1) | instid1(VALU_DEP_2)
	v_dual_add_f32 v2, v2, v151 :: v_dual_add_f32 v1, v1, v4
	v_fma_f32 v4, v142, v135, -v5
	v_dual_add_f32 v2, v2, v146 :: v_dual_add_f32 v1, v1, v3
	s_delay_alu instid0(VALU_DEP_1) | instskip(NEXT) | instid1(VALU_DEP_1)
	v_add_f32_e32 v2, v2, v144
	v_dual_add_f32 v1, v1, v4 :: v_dual_sub_f32 v2, v23, v2
	s_delay_alu instid0(VALU_DEP_1)
	v_sub_f32_e32 v1, v22, v1
	scratch_store_b64 off, v[1:2], off offset:104
	v_cmpx_lt_u32_e32 12, v0
	s_cbranch_execz .LBB54_319
; %bb.318:
	scratch_load_b64 v[1:2], off, off offset:96
	v_mov_b32_e32 v22, v21
	scratch_store_b64 off, v[21:22], off offset:96
	s_wait_loadcnt 0x0
	ds_store_b64 v137, v[1:2]
.LBB54_319:
	s_wait_alu 0xfffe
	s_or_b32 exec_lo, exec_lo, s0
	s_wait_storecnt_dscnt 0x0
	s_barrier_signal -1
	s_barrier_wait -1
	global_inv scope:SCOPE_SE
	s_clause 0x4
	scratch_load_b128 v[5:8], off, off offset:104
	scratch_load_b128 v[1:4], off, off offset:120
	;; [unrolled: 1-line block ×5, first 2 shown]
	ds_load_2addr_b64 v[138:141], v21 offset0:69 offset1:70
	ds_load_2addr_b64 v[142:145], v21 offset0:71 offset1:72
	;; [unrolled: 1-line block ×3, first 2 shown]
	scratch_load_b64 v[135:136], off, off offset:96
	s_mov_b32 s0, exec_lo
	s_wait_loadcnt_dscnt 0x502
	v_mul_f32_e32 v22, v139, v6
	v_dual_mul_f32 v23, v138, v6 :: v_dual_mul_f32 v24, v140, v8
	v_mul_f32_e32 v6, v141, v8
	s_delay_alu instid0(VALU_DEP_3) | instskip(NEXT) | instid1(VALU_DEP_3)
	v_fma_f32 v22, v138, v5, -v22
	v_dual_fmac_f32 v23, v139, v5 :: v_dual_fmac_f32 v24, v141, v7
	s_wait_loadcnt_dscnt 0x401
	v_mul_f32_e32 v139, v142, v2
	v_fma_f32 v138, v140, v7, -v6
	ds_load_2addr_b64 v[5:8], v21 offset0:75 offset1:76
	s_wait_loadcnt_dscnt 0x301
	v_dual_mul_f32 v140, v144, v4 :: v_dual_mul_f32 v141, v146, v10
	v_dual_mul_f32 v4, v145, v4 :: v_dual_fmac_f32 v139, v143, v1
	v_mul_f32_e32 v10, v147, v10
	s_delay_alu instid0(VALU_DEP_3)
	v_dual_mul_f32 v150, v148, v12 :: v_dual_fmac_f32 v141, v147, v9
	v_mul_f32_e32 v12, v149, v12
	v_mul_f32_e32 v2, v143, v2
	v_fmac_f32_e32 v140, v145, v3
	v_fma_f32 v143, v144, v3, -v4
	v_fma_f32 v144, v146, v9, -v10
	v_fmac_f32_e32 v150, v149, v11
	v_fma_f32 v145, v148, v11, -v12
	ds_load_2addr_b64 v[9:12], v21 offset0:77 offset1:78
	s_wait_loadcnt_dscnt 0x201
	v_mul_f32_e32 v146, v5, v14
	v_dual_mul_f32 v14, v6, v14 :: v_dual_mul_f32 v147, v7, v16
	v_mul_f32_e32 v16, v8, v16
	s_delay_alu instid0(VALU_DEP_3) | instskip(NEXT) | instid1(VALU_DEP_3)
	v_fmac_f32_e32 v146, v6, v13
	v_fma_f32 v13, v5, v13, -v14
	s_delay_alu instid0(VALU_DEP_4) | instskip(NEXT) | instid1(VALU_DEP_4)
	v_fmac_f32_e32 v147, v8, v15
	v_fma_f32 v14, v7, v15, -v16
	ds_load_2addr_b64 v[5:8], v21 offset0:79 offset1:80
	s_wait_loadcnt_dscnt 0x101
	v_mul_f32_e32 v15, v9, v18
	v_mul_f32_e32 v16, v10, v18
	v_mul_f32_e32 v18, v11, v20
	s_delay_alu instid0(VALU_DEP_3)
	v_dual_mul_f32 v20, v12, v20 :: v_dual_fmac_f32 v15, v10, v17
	v_fma_f32 v142, v142, v1, -v2
	scratch_load_b128 v[1:4], off, off offset:184
	v_fma_f32 v16, v9, v17, -v16
	v_fmac_f32_e32 v18, v12, v19
	v_fma_f32 v17, v11, v19, -v20
	scratch_load_b128 v[9:12], off, off offset:200
	s_wait_loadcnt_dscnt 0x100
	v_mul_f32_e32 v19, v5, v2
	v_mul_f32_e32 v2, v6, v2
	;; [unrolled: 1-line block ×3, first 2 shown]
	s_delay_alu instid0(VALU_DEP_3) | instskip(NEXT) | instid1(VALU_DEP_3)
	v_dual_mul_f32 v4, v8, v4 :: v_dual_fmac_f32 v19, v6, v1
	v_fma_f32 v148, v5, v1, -v2
	s_delay_alu instid0(VALU_DEP_3) | instskip(NEXT) | instid1(VALU_DEP_3)
	v_fmac_f32_e32 v20, v8, v3
	v_fma_f32 v149, v7, v3, -v4
	ds_load_2addr_b64 v[1:4], v21 offset0:81 offset1:82
	ds_load_2addr_b64 v[5:8], v21 offset0:83 offset1:84
	s_wait_loadcnt_dscnt 0x1
	v_mul_f32_e32 v151, v1, v10
	v_mul_f32_e32 v10, v2, v10
	s_delay_alu instid0(VALU_DEP_2) | instskip(NEXT) | instid1(VALU_DEP_2)
	v_dual_mul_f32 v152, v3, v12 :: v_dual_fmac_f32 v151, v2, v9
	v_fma_f32 v153, v1, v9, -v10
	v_mul_f32_e32 v1, v4, v12
	s_delay_alu instid0(VALU_DEP_3) | instskip(NEXT) | instid1(VALU_DEP_2)
	v_fmac_f32_e32 v152, v4, v11
	v_fma_f32 v154, v3, v11, -v1
	s_clause 0x1
	scratch_load_b128 v[1:4], off, off offset:216
	scratch_load_b128 v[9:12], off, off offset:232
	s_wait_loadcnt_dscnt 0x100
	v_mul_f32_e32 v155, v5, v2
	v_dual_mul_f32 v2, v6, v2 :: v_dual_mul_f32 v157, v7, v4
	s_delay_alu instid0(VALU_DEP_2) | instskip(NEXT) | instid1(VALU_DEP_2)
	v_fmac_f32_e32 v155, v6, v1
	v_fma_f32 v156, v5, v1, -v2
	v_mul_f32_e32 v1, v8, v4
	s_delay_alu instid0(VALU_DEP_4) | instskip(NEXT) | instid1(VALU_DEP_2)
	v_fmac_f32_e32 v157, v8, v3
	v_fma_f32 v158, v7, v3, -v1
	ds_load_2addr_b64 v[1:4], v21 offset0:85 offset1:86
	ds_load_2addr_b64 v[5:8], v21 offset0:87 offset1:88
	s_wait_loadcnt_dscnt 0x1
	v_mul_f32_e32 v159, v1, v10
	v_mul_f32_e32 v161, v3, v12
	s_delay_alu instid0(VALU_DEP_2) | instskip(NEXT) | instid1(VALU_DEP_2)
	v_fmac_f32_e32 v159, v2, v9
	v_dual_mul_f32 v2, v2, v10 :: v_dual_fmac_f32 v161, v4, v11
	s_delay_alu instid0(VALU_DEP_1) | instskip(SKIP_1) | instid1(VALU_DEP_1)
	v_fma_f32 v160, v1, v9, -v2
	v_mul_f32_e32 v1, v4, v12
	v_fma_f32 v162, v3, v11, -v1
	s_clause 0x1
	scratch_load_b128 v[1:4], off, off offset:248
	scratch_load_b128 v[9:12], off, off offset:264
	s_wait_loadcnt_dscnt 0x100
	v_mul_f32_e32 v163, v5, v2
	v_dual_mul_f32 v2, v6, v2 :: v_dual_mul_f32 v165, v7, v4
	s_delay_alu instid0(VALU_DEP_2) | instskip(NEXT) | instid1(VALU_DEP_2)
	v_fmac_f32_e32 v163, v6, v1
	v_fma_f32 v164, v5, v1, -v2
	v_mul_f32_e32 v1, v8, v4
	s_delay_alu instid0(VALU_DEP_4) | instskip(NEXT) | instid1(VALU_DEP_2)
	v_fmac_f32_e32 v165, v8, v3
	v_fma_f32 v166, v7, v3, -v1
	ds_load_2addr_b64 v[1:4], v21 offset0:89 offset1:90
	ds_load_2addr_b64 v[5:8], v21 offset0:91 offset1:92
	s_wait_loadcnt_dscnt 0x1
	v_mul_f32_e32 v167, v1, v10
	v_mul_f32_e32 v169, v3, v12
	s_delay_alu instid0(VALU_DEP_2) | instskip(NEXT) | instid1(VALU_DEP_2)
	v_fmac_f32_e32 v167, v2, v9
	v_dual_mul_f32 v2, v2, v10 :: v_dual_fmac_f32 v169, v4, v11
	s_delay_alu instid0(VALU_DEP_1) | instskip(SKIP_1) | instid1(VALU_DEP_1)
	v_fma_f32 v168, v1, v9, -v2
	v_mul_f32_e32 v1, v4, v12
	;; [unrolled: 25-line block ×4, first 2 shown]
	v_fma_f32 v186, v3, v11, -v1
	s_clause 0x1
	scratch_load_b128 v[1:4], off, off offset:344
	scratch_load_b128 v[9:12], off, off offset:360
	s_wait_loadcnt_dscnt 0x100
	v_mul_f32_e32 v187, v5, v2
	v_mul_f32_e32 v2, v6, v2
	s_delay_alu instid0(VALU_DEP_1) | instskip(SKIP_1) | instid1(VALU_DEP_1)
	v_fma_f32 v188, v5, v1, -v2
	v_add_f32_e32 v2, 0, v23
	v_add_f32_e32 v2, v2, v24
	s_delay_alu instid0(VALU_DEP_1) | instskip(NEXT) | instid1(VALU_DEP_1)
	v_add_f32_e32 v2, v2, v139
	v_add_f32_e32 v2, v2, v140
	s_delay_alu instid0(VALU_DEP_1) | instskip(NEXT) | instid1(VALU_DEP_1)
	;; [unrolled: 3-line block ×6, first 2 shown]
	v_add_f32_e32 v2, v2, v151
	v_add_f32_e32 v2, v2, v152
	v_fmac_f32_e32 v187, v6, v1
	s_delay_alu instid0(VALU_DEP_2) | instskip(NEXT) | instid1(VALU_DEP_1)
	v_dual_add_f32 v2, v2, v155 :: v_dual_mul_f32 v189, v7, v4
	v_dual_add_f32 v2, v2, v157 :: v_dual_mul_f32 v1, v8, v4
	s_delay_alu instid0(VALU_DEP_1) | instskip(NEXT) | instid1(VALU_DEP_2)
	v_add_f32_e32 v2, v2, v159
	v_fma_f32 v190, v7, v3, -v1
	v_add_f32_e32 v1, 0, v22
	s_delay_alu instid0(VALU_DEP_3) | instskip(NEXT) | instid1(VALU_DEP_2)
	v_add_f32_e32 v5, v2, v161
	v_add_f32_e32 v1, v1, v138
	s_delay_alu instid0(VALU_DEP_1) | instskip(NEXT) | instid1(VALU_DEP_1)
	v_add_f32_e32 v1, v1, v142
	v_add_f32_e32 v1, v1, v143
	s_delay_alu instid0(VALU_DEP_1) | instskip(NEXT) | instid1(VALU_DEP_1)
	v_add_f32_e32 v1, v1, v144
	v_add_f32_e32 v1, v1, v145
	s_delay_alu instid0(VALU_DEP_1) | instskip(SKIP_1) | instid1(VALU_DEP_2)
	v_add_f32_e32 v1, v1, v13
	v_add_f32_e32 v13, v5, v163
	v_add_f32_e32 v1, v1, v14
	s_delay_alu instid0(VALU_DEP_2) | instskip(NEXT) | instid1(VALU_DEP_2)
	v_add_f32_e32 v13, v13, v165
	v_add_f32_e32 v1, v1, v16
	s_delay_alu instid0(VALU_DEP_1) | instskip(NEXT) | instid1(VALU_DEP_1)
	v_add_f32_e32 v1, v1, v17
	v_add_f32_e32 v1, v1, v148
	s_delay_alu instid0(VALU_DEP_1) | instskip(NEXT) | instid1(VALU_DEP_1)
	v_add_f32_e32 v1, v1, v149
	v_add_f32_e32 v1, v1, v153
	s_delay_alu instid0(VALU_DEP_1) | instskip(NEXT) | instid1(VALU_DEP_1)
	v_add_f32_e32 v1, v1, v154
	v_add_f32_e32 v1, v1, v156
	s_delay_alu instid0(VALU_DEP_1) | instskip(NEXT) | instid1(VALU_DEP_1)
	v_add_f32_e32 v1, v1, v158
	v_add_f32_e32 v1, v1, v160
	s_delay_alu instid0(VALU_DEP_1) | instskip(NEXT) | instid1(VALU_DEP_1)
	v_add_f32_e32 v1, v1, v162
	v_dual_add_f32 v6, v1, v164 :: v_dual_fmac_f32 v189, v8, v3
	ds_load_2addr_b64 v[1:4], v21 offset0:101 offset1:102
	v_dual_add_f32 v13, v13, v167 :: v_dual_add_f32 v14, v6, v166
	scratch_load_b128 v[5:8], off, off offset:376
	v_add_f32_e32 v18, v13, v169
	v_add_f32_e32 v14, v14, v168
	s_delay_alu instid0(VALU_DEP_1)
	v_add_f32_e32 v17, v14, v170
	ds_load_2addr_b64 v[13:16], v21 offset0:103 offset1:104
	s_wait_loadcnt_dscnt 0x101
	v_mul_f32_e32 v138, v1, v10
	v_dual_mul_f32 v10, v2, v10 :: v_dual_mul_f32 v139, v3, v12
	v_mul_f32_e32 v12, v4, v12
	v_add_f32_e32 v18, v18, v171
	s_delay_alu instid0(VALU_DEP_4) | instskip(NEXT) | instid1(VALU_DEP_4)
	v_fmac_f32_e32 v138, v2, v9
	v_fma_f32 v140, v1, v9, -v10
	v_fmac_f32_e32 v139, v4, v11
	v_fma_f32 v141, v3, v11, -v12
	s_clause 0x1
	scratch_load_b128 v[1:4], off, off offset:392
	scratch_load_b128 v[9:12], off, off offset:408
	v_add_f32_e32 v18, v18, v173
	s_delay_alu instid0(VALU_DEP_1) | instskip(NEXT) | instid1(VALU_DEP_1)
	v_add_f32_e32 v22, v18, v175
	v_add_f32_e32 v22, v22, v177
	s_wait_loadcnt_dscnt 0x200
	v_mul_f32_e32 v142, v13, v6
	v_dual_mul_f32 v6, v14, v6 :: v_dual_mul_f32 v143, v15, v8
	v_mul_f32_e32 v8, v16, v8
	v_add_f32_e32 v22, v22, v179
	s_delay_alu instid0(VALU_DEP_4) | instskip(NEXT) | instid1(VALU_DEP_4)
	v_fmac_f32_e32 v142, v14, v5
	v_fma_f32 v144, v13, v5, -v6
	v_fmac_f32_e32 v143, v16, v7
	v_fma_f32 v145, v15, v7, -v8
	ds_load_2addr_b64 v[5:8], v21 offset0:105 offset1:106
	v_add_f32_e32 v17, v17, v172
	v_add_f32_e32 v13, v22, v181
	s_delay_alu instid0(VALU_DEP_2) | instskip(NEXT) | instid1(VALU_DEP_1)
	v_add_f32_e32 v17, v17, v174
	v_add_f32_e32 v17, v17, v176
	s_delay_alu instid0(VALU_DEP_1) | instskip(SKIP_2) | instid1(VALU_DEP_1)
	v_add_f32_e32 v23, v17, v178
	scratch_load_b128 v[17:20], off, off offset:424
	v_add_f32_e32 v23, v23, v180
	v_add_f32_e32 v23, v23, v182
	s_delay_alu instid0(VALU_DEP_1)
	v_dual_add_f32 v22, v23, v184 :: v_dual_add_f32 v23, v13, v183
	ds_load_2addr_b64 v[13:16], v21 offset0:107 offset1:108
	s_wait_loadcnt_dscnt 0x201
	v_mul_f32_e32 v148, v5, v2
	v_mul_f32_e32 v2, v6, v2
	v_dual_add_f32 v146, v22, v186 :: v_dual_add_f32 v147, v23, v185
	ds_load_2addr_b64 v[21:24], v21 offset0:109 offset1:110
	v_fmac_f32_e32 v148, v6, v1
	v_fma_f32 v2, v5, v1, -v2
	v_dual_add_f32 v146, v146, v188 :: v_dual_add_f32 v147, v147, v187
	s_delay_alu instid0(VALU_DEP_1) | instskip(NEXT) | instid1(VALU_DEP_1)
	v_dual_add_f32 v146, v146, v190 :: v_dual_add_f32 v147, v147, v189
	v_add_f32_e32 v140, v146, v140
	s_delay_alu instid0(VALU_DEP_2)
	v_add_f32_e32 v138, v147, v138
	s_wait_loadcnt_dscnt 0x101
	v_mul_f32_e32 v6, v14, v10
	v_mul_f32_e32 v146, v7, v4
	v_mul_f32_e32 v4, v8, v4
	v_add_f32_e32 v140, v140, v141
	v_dual_add_f32 v138, v138, v139 :: v_dual_mul_f32 v147, v13, v10
	s_delay_alu instid0(VALU_DEP_4) | instskip(NEXT) | instid1(VALU_DEP_4)
	v_fmac_f32_e32 v146, v8, v3
	v_fma_f32 v3, v7, v3, -v4
	s_delay_alu instid0(VALU_DEP_4) | instskip(NEXT) | instid1(VALU_DEP_4)
	v_add_f32_e32 v140, v140, v144
	v_dual_add_f32 v138, v138, v142 :: v_dual_mul_f32 v149, v15, v12
	v_dual_mul_f32 v4, v16, v12 :: v_dual_fmac_f32 v147, v14, v9
	s_delay_alu instid0(VALU_DEP_3) | instskip(NEXT) | instid1(VALU_DEP_3)
	v_add_f32_e32 v1, v140, v145
	v_add_f32_e32 v5, v138, v143
	s_delay_alu instid0(VALU_DEP_4) | instskip(NEXT) | instid1(VALU_DEP_4)
	v_fmac_f32_e32 v149, v16, v11
	v_fma_f32 v4, v15, v11, -v4
	s_delay_alu instid0(VALU_DEP_4) | instskip(NEXT) | instid1(VALU_DEP_4)
	v_add_f32_e32 v1, v1, v2
	v_add_f32_e32 v2, v5, v148
	v_fma_f32 v5, v13, v9, -v6
	s_delay_alu instid0(VALU_DEP_2) | instskip(NEXT) | instid1(VALU_DEP_1)
	v_dual_add_f32 v1, v1, v3 :: v_dual_add_f32 v2, v2, v146
	v_dual_add_f32 v1, v1, v5 :: v_dual_add_f32 v2, v2, v147
	s_delay_alu instid0(VALU_DEP_1)
	v_dual_add_f32 v1, v1, v4 :: v_dual_add_f32 v2, v2, v149
	s_wait_loadcnt_dscnt 0x0
	v_mul_f32_e32 v139, v21, v18
	v_mul_f32_e32 v3, v22, v18
	;; [unrolled: 1-line block ×4, first 2 shown]
	s_delay_alu instid0(VALU_DEP_4) | instskip(NEXT) | instid1(VALU_DEP_4)
	v_fmac_f32_e32 v139, v22, v17
	v_fma_f32 v3, v21, v17, -v3
	s_delay_alu instid0(VALU_DEP_4) | instskip(NEXT) | instid1(VALU_DEP_4)
	v_fmac_f32_e32 v141, v24, v19
	v_fma_f32 v4, v23, v19, -v5
	s_delay_alu instid0(VALU_DEP_4) | instskip(NEXT) | instid1(VALU_DEP_1)
	v_add_f32_e32 v2, v2, v139
	v_dual_add_f32 v1, v1, v3 :: v_dual_add_f32 v2, v2, v141
	s_delay_alu instid0(VALU_DEP_1) | instskip(NEXT) | instid1(VALU_DEP_1)
	v_dual_add_f32 v1, v1, v4 :: v_dual_sub_f32 v2, v136, v2
	v_sub_f32_e32 v1, v135, v1
	scratch_store_b64 off, v[1:2], off offset:96
	v_cmpx_lt_u32_e32 11, v0
	s_cbranch_execz .LBB54_321
; %bb.320:
	scratch_load_b64 v[1:2], off, off offset:88
	v_mov_b32_e32 v3, 0
	s_delay_alu instid0(VALU_DEP_1)
	v_mov_b32_e32 v4, v3
	scratch_store_b64 off, v[3:4], off offset:88
	s_wait_loadcnt 0x0
	ds_store_b64 v137, v[1:2]
.LBB54_321:
	s_wait_alu 0xfffe
	s_or_b32 exec_lo, exec_lo, s0
	s_wait_storecnt_dscnt 0x0
	s_barrier_signal -1
	s_barrier_wait -1
	global_inv scope:SCOPE_SE
	s_clause 0x4
	scratch_load_b128 v[5:8], off, off offset:96
	scratch_load_b128 v[1:4], off, off offset:112
	;; [unrolled: 1-line block ×5, first 2 shown]
	v_mov_b32_e32 v21, 0
	ds_load_b128 v[138:141], v21 offset:544
	ds_load_b128 v[142:145], v21 offset:560
	;; [unrolled: 1-line block ×3, first 2 shown]
	scratch_load_b64 v[22:23], off, off offset:88
	s_mov_b32 s0, exec_lo
	s_wait_loadcnt_dscnt 0x502
	v_mul_f32_e32 v24, v139, v6
	v_dual_mul_f32 v135, v138, v6 :: v_dual_mul_f32 v136, v140, v8
	v_mul_f32_e32 v6, v141, v8
	s_delay_alu instid0(VALU_DEP_3) | instskip(NEXT) | instid1(VALU_DEP_3)
	v_fma_f32 v24, v138, v5, -v24
	v_dual_fmac_f32 v135, v139, v5 :: v_dual_fmac_f32 v136, v141, v7
	s_wait_loadcnt_dscnt 0x401
	v_mul_f32_e32 v139, v142, v2
	v_fma_f32 v138, v140, v7, -v6
	ds_load_b128 v[5:8], v21 offset:592
	s_wait_loadcnt_dscnt 0x301
	v_dual_mul_f32 v140, v144, v4 :: v_dual_mul_f32 v141, v146, v10
	v_dual_mul_f32 v4, v145, v4 :: v_dual_fmac_f32 v139, v143, v1
	v_mul_f32_e32 v10, v147, v10
	s_delay_alu instid0(VALU_DEP_3)
	v_dual_mul_f32 v150, v148, v12 :: v_dual_fmac_f32 v141, v147, v9
	v_mul_f32_e32 v12, v149, v12
	v_mul_f32_e32 v2, v143, v2
	v_fmac_f32_e32 v140, v145, v3
	v_fma_f32 v143, v144, v3, -v4
	v_fma_f32 v144, v146, v9, -v10
	v_fmac_f32_e32 v150, v149, v11
	v_fma_f32 v145, v148, v11, -v12
	ds_load_b128 v[9:12], v21 offset:608
	s_wait_loadcnt_dscnt 0x201
	v_dual_mul_f32 v147, v7, v16 :: v_dual_mul_f32 v146, v5, v14
	v_mul_f32_e32 v14, v6, v14
	v_mul_f32_e32 v16, v8, v16
	s_delay_alu instid0(VALU_DEP_3)
	v_fmac_f32_e32 v147, v8, v15
	v_fma_f32 v142, v142, v1, -v2
	scratch_load_b128 v[1:4], off, off offset:176
	v_fmac_f32_e32 v146, v6, v13
	v_fma_f32 v13, v5, v13, -v14
	v_fma_f32 v14, v7, v15, -v16
	ds_load_b128 v[5:8], v21 offset:624
	s_wait_loadcnt_dscnt 0x201
	v_mul_f32_e32 v15, v9, v18
	v_mul_f32_e32 v16, v10, v18
	;; [unrolled: 1-line block ×3, first 2 shown]
	s_delay_alu instid0(VALU_DEP_3) | instskip(NEXT) | instid1(VALU_DEP_3)
	v_dual_mul_f32 v20, v12, v20 :: v_dual_fmac_f32 v15, v10, v17
	v_fma_f32 v16, v9, v17, -v16
	s_delay_alu instid0(VALU_DEP_3) | instskip(NEXT) | instid1(VALU_DEP_3)
	v_fmac_f32_e32 v18, v12, v19
	v_fma_f32 v17, v11, v19, -v20
	scratch_load_b128 v[9:12], off, off offset:192
	s_wait_loadcnt_dscnt 0x100
	v_mul_f32_e32 v19, v5, v2
	v_mul_f32_e32 v2, v6, v2
	;; [unrolled: 1-line block ×3, first 2 shown]
	s_delay_alu instid0(VALU_DEP_3) | instskip(NEXT) | instid1(VALU_DEP_3)
	v_dual_mul_f32 v4, v8, v4 :: v_dual_fmac_f32 v19, v6, v1
	v_fma_f32 v148, v5, v1, -v2
	s_delay_alu instid0(VALU_DEP_3) | instskip(NEXT) | instid1(VALU_DEP_3)
	v_fmac_f32_e32 v20, v8, v3
	v_fma_f32 v149, v7, v3, -v4
	ds_load_b128 v[1:4], v21 offset:640
	ds_load_b128 v[5:8], v21 offset:656
	s_wait_loadcnt_dscnt 0x1
	v_mul_f32_e32 v151, v1, v10
	v_mul_f32_e32 v10, v2, v10
	s_delay_alu instid0(VALU_DEP_2) | instskip(NEXT) | instid1(VALU_DEP_2)
	v_dual_mul_f32 v152, v3, v12 :: v_dual_fmac_f32 v151, v2, v9
	v_fma_f32 v153, v1, v9, -v10
	v_mul_f32_e32 v1, v4, v12
	s_delay_alu instid0(VALU_DEP_3) | instskip(NEXT) | instid1(VALU_DEP_2)
	v_fmac_f32_e32 v152, v4, v11
	v_fma_f32 v154, v3, v11, -v1
	s_clause 0x1
	scratch_load_b128 v[1:4], off, off offset:208
	scratch_load_b128 v[9:12], off, off offset:224
	s_wait_loadcnt_dscnt 0x100
	v_mul_f32_e32 v155, v5, v2
	v_dual_mul_f32 v2, v6, v2 :: v_dual_mul_f32 v157, v7, v4
	s_delay_alu instid0(VALU_DEP_2) | instskip(NEXT) | instid1(VALU_DEP_2)
	v_fmac_f32_e32 v155, v6, v1
	v_fma_f32 v156, v5, v1, -v2
	v_mul_f32_e32 v1, v8, v4
	s_delay_alu instid0(VALU_DEP_4) | instskip(NEXT) | instid1(VALU_DEP_2)
	v_fmac_f32_e32 v157, v8, v3
	v_fma_f32 v158, v7, v3, -v1
	ds_load_b128 v[1:4], v21 offset:672
	ds_load_b128 v[5:8], v21 offset:688
	s_wait_loadcnt_dscnt 0x1
	v_mul_f32_e32 v159, v1, v10
	v_mul_f32_e32 v161, v3, v12
	s_delay_alu instid0(VALU_DEP_2) | instskip(NEXT) | instid1(VALU_DEP_2)
	v_fmac_f32_e32 v159, v2, v9
	v_dual_mul_f32 v2, v2, v10 :: v_dual_fmac_f32 v161, v4, v11
	s_delay_alu instid0(VALU_DEP_1) | instskip(SKIP_1) | instid1(VALU_DEP_1)
	v_fma_f32 v160, v1, v9, -v2
	v_mul_f32_e32 v1, v4, v12
	v_fma_f32 v162, v3, v11, -v1
	s_clause 0x1
	scratch_load_b128 v[1:4], off, off offset:240
	scratch_load_b128 v[9:12], off, off offset:256
	s_wait_loadcnt_dscnt 0x100
	v_mul_f32_e32 v163, v5, v2
	v_dual_mul_f32 v165, v7, v4 :: v_dual_mul_f32 v2, v6, v2
	s_delay_alu instid0(VALU_DEP_2) | instskip(NEXT) | instid1(VALU_DEP_2)
	v_fmac_f32_e32 v163, v6, v1
	v_fmac_f32_e32 v165, v8, v3
	s_delay_alu instid0(VALU_DEP_3) | instskip(SKIP_1) | instid1(VALU_DEP_1)
	v_fma_f32 v164, v5, v1, -v2
	v_mul_f32_e32 v1, v8, v4
	v_fma_f32 v166, v7, v3, -v1
	ds_load_b128 v[1:4], v21 offset:704
	ds_load_b128 v[5:8], v21 offset:720
	s_wait_loadcnt_dscnt 0x1
	v_mul_f32_e32 v167, v1, v10
	v_mul_f32_e32 v169, v3, v12
	s_delay_alu instid0(VALU_DEP_2) | instskip(NEXT) | instid1(VALU_DEP_2)
	v_fmac_f32_e32 v167, v2, v9
	v_dual_mul_f32 v2, v2, v10 :: v_dual_fmac_f32 v169, v4, v11
	s_delay_alu instid0(VALU_DEP_1) | instskip(SKIP_1) | instid1(VALU_DEP_1)
	v_fma_f32 v168, v1, v9, -v2
	v_mul_f32_e32 v1, v4, v12
	v_fma_f32 v170, v3, v11, -v1
	s_clause 0x1
	scratch_load_b128 v[1:4], off, off offset:272
	scratch_load_b128 v[9:12], off, off offset:288
	s_wait_loadcnt_dscnt 0x100
	v_mul_f32_e32 v171, v5, v2
	v_dual_mul_f32 v2, v6, v2 :: v_dual_mul_f32 v173, v7, v4
	s_delay_alu instid0(VALU_DEP_2) | instskip(NEXT) | instid1(VALU_DEP_2)
	v_fmac_f32_e32 v171, v6, v1
	v_fma_f32 v172, v5, v1, -v2
	v_mul_f32_e32 v1, v8, v4
	s_delay_alu instid0(VALU_DEP_4) | instskip(NEXT) | instid1(VALU_DEP_2)
	v_fmac_f32_e32 v173, v8, v3
	v_fma_f32 v174, v7, v3, -v1
	ds_load_b128 v[1:4], v21 offset:736
	ds_load_b128 v[5:8], v21 offset:752
	s_wait_loadcnt_dscnt 0x1
	v_mul_f32_e32 v175, v1, v10
	v_mul_f32_e32 v177, v3, v12
	s_delay_alu instid0(VALU_DEP_2) | instskip(NEXT) | instid1(VALU_DEP_2)
	v_fmac_f32_e32 v175, v2, v9
	v_dual_mul_f32 v2, v2, v10 :: v_dual_fmac_f32 v177, v4, v11
	s_delay_alu instid0(VALU_DEP_1) | instskip(SKIP_1) | instid1(VALU_DEP_1)
	v_fma_f32 v176, v1, v9, -v2
	v_mul_f32_e32 v1, v4, v12
	v_fma_f32 v178, v3, v11, -v1
	s_clause 0x1
	scratch_load_b128 v[1:4], off, off offset:304
	scratch_load_b128 v[9:12], off, off offset:320
	s_wait_loadcnt_dscnt 0x100
	v_mul_f32_e32 v179, v5, v2
	v_dual_mul_f32 v2, v6, v2 :: v_dual_mul_f32 v181, v7, v4
	s_delay_alu instid0(VALU_DEP_2) | instskip(NEXT) | instid1(VALU_DEP_2)
	v_fmac_f32_e32 v179, v6, v1
	v_fma_f32 v180, v5, v1, -v2
	v_mul_f32_e32 v1, v8, v4
	s_delay_alu instid0(VALU_DEP_4) | instskip(NEXT) | instid1(VALU_DEP_2)
	v_fmac_f32_e32 v181, v8, v3
	v_fma_f32 v182, v7, v3, -v1
	ds_load_b128 v[1:4], v21 offset:768
	ds_load_b128 v[5:8], v21 offset:784
	s_wait_loadcnt_dscnt 0x1
	v_mul_f32_e32 v183, v1, v10
	v_mul_f32_e32 v185, v3, v12
	s_delay_alu instid0(VALU_DEP_2) | instskip(NEXT) | instid1(VALU_DEP_2)
	v_fmac_f32_e32 v183, v2, v9
	v_dual_mul_f32 v2, v2, v10 :: v_dual_fmac_f32 v185, v4, v11
	s_delay_alu instid0(VALU_DEP_1) | instskip(SKIP_1) | instid1(VALU_DEP_1)
	v_fma_f32 v184, v1, v9, -v2
	v_mul_f32_e32 v1, v4, v12
	v_fma_f32 v186, v3, v11, -v1
	s_clause 0x1
	scratch_load_b128 v[1:4], off, off offset:336
	scratch_load_b128 v[9:12], off, off offset:352
	s_wait_loadcnt_dscnt 0x100
	v_mul_f32_e32 v187, v5, v2
	v_mul_f32_e32 v2, v6, v2
	s_delay_alu instid0(VALU_DEP_1) | instskip(SKIP_1) | instid1(VALU_DEP_1)
	v_fma_f32 v188, v5, v1, -v2
	v_add_f32_e32 v2, 0, v135
	v_add_f32_e32 v2, v2, v136
	s_delay_alu instid0(VALU_DEP_1) | instskip(NEXT) | instid1(VALU_DEP_1)
	v_add_f32_e32 v2, v2, v139
	v_add_f32_e32 v2, v2, v140
	s_delay_alu instid0(VALU_DEP_1) | instskip(NEXT) | instid1(VALU_DEP_1)
	;; [unrolled: 3-line block ×7, first 2 shown]
	v_add_f32_e32 v2, v2, v155
	v_add_f32_e32 v2, v2, v157
	v_fmac_f32_e32 v187, v6, v1
	v_mul_f32_e32 v1, v8, v4
	s_delay_alu instid0(VALU_DEP_3) | instskip(NEXT) | instid1(VALU_DEP_2)
	v_dual_mul_f32 v189, v7, v4 :: v_dual_add_f32 v2, v2, v159
	v_fma_f32 v190, v7, v3, -v1
	v_add_f32_e32 v1, 0, v24
	s_delay_alu instid0(VALU_DEP_3) | instskip(NEXT) | instid1(VALU_DEP_2)
	v_add_f32_e32 v5, v2, v161
	v_add_f32_e32 v1, v1, v138
	s_delay_alu instid0(VALU_DEP_1) | instskip(NEXT) | instid1(VALU_DEP_1)
	v_add_f32_e32 v1, v1, v142
	v_add_f32_e32 v1, v1, v143
	s_delay_alu instid0(VALU_DEP_1) | instskip(NEXT) | instid1(VALU_DEP_1)
	v_add_f32_e32 v1, v1, v144
	v_add_f32_e32 v1, v1, v145
	s_delay_alu instid0(VALU_DEP_1) | instskip(SKIP_1) | instid1(VALU_DEP_2)
	v_add_f32_e32 v1, v1, v13
	v_add_f32_e32 v13, v5, v163
	;; [unrolled: 1-line block ×3, first 2 shown]
	s_delay_alu instid0(VALU_DEP_2) | instskip(NEXT) | instid1(VALU_DEP_2)
	v_add_f32_e32 v13, v13, v165
	v_add_f32_e32 v1, v1, v16
	s_delay_alu instid0(VALU_DEP_1) | instskip(NEXT) | instid1(VALU_DEP_1)
	v_add_f32_e32 v1, v1, v17
	v_add_f32_e32 v1, v1, v148
	s_delay_alu instid0(VALU_DEP_1) | instskip(NEXT) | instid1(VALU_DEP_1)
	;; [unrolled: 3-line block ×5, first 2 shown]
	v_add_f32_e32 v1, v1, v162
	v_dual_add_f32 v6, v1, v164 :: v_dual_fmac_f32 v189, v8, v3
	scratch_load_b128 v[1:4], off, off offset:368
	v_dual_add_f32 v13, v13, v167 :: v_dual_add_f32 v14, v6, v166
	ds_load_b128 v[5:8], v21 offset:800
	v_add_f32_e32 v18, v13, v169
	v_add_f32_e32 v14, v14, v168
	s_delay_alu instid0(VALU_DEP_1)
	v_add_f32_e32 v17, v14, v170
	ds_load_b128 v[13:16], v21 offset:816
	s_wait_loadcnt_dscnt 0x101
	v_mul_f32_e32 v24, v5, v10
	v_add_f32_e32 v18, v18, v171
	v_mul_f32_e32 v10, v6, v10
	v_mul_f32_e32 v144, v7, v12
	;; [unrolled: 1-line block ×3, first 2 shown]
	v_fmac_f32_e32 v24, v6, v9
	v_add_f32_e32 v18, v18, v173
	v_fma_f32 v145, v5, v9, -v10
	v_fmac_f32_e32 v144, v8, v11
	v_fma_f32 v146, v7, v11, -v12
	scratch_load_b128 v[9:12], off, off offset:400
	v_add_f32_e32 v135, v18, v175
	scratch_load_b128 v[5:8], off, off offset:384
	v_add_f32_e32 v138, v135, v177
	s_delay_alu instid0(VALU_DEP_1) | instskip(SKIP_1) | instid1(VALU_DEP_1)
	v_add_f32_e32 v138, v138, v179
	s_wait_loadcnt_dscnt 0x200
	v_dual_add_f32 v138, v138, v181 :: v_dual_mul_f32 v147, v13, v2
	v_mul_f32_e32 v2, v14, v2
	v_mul_f32_e32 v148, v15, v4
	s_delay_alu instid0(VALU_DEP_3) | instskip(NEXT) | instid1(VALU_DEP_3)
	v_dual_mul_f32 v4, v16, v4 :: v_dual_fmac_f32 v147, v14, v1
	v_fma_f32 v149, v13, v1, -v2
	v_add_f32_e32 v13, v138, v183
	s_delay_alu instid0(VALU_DEP_4) | instskip(NEXT) | instid1(VALU_DEP_4)
	v_fmac_f32_e32 v148, v16, v3
	v_fma_f32 v150, v15, v3, -v4
	ds_load_b128 v[1:4], v21 offset:832
	v_add_f32_e32 v138, v13, v185
	v_add_f32_e32 v17, v17, v172
	s_delay_alu instid0(VALU_DEP_1) | instskip(NEXT) | instid1(VALU_DEP_1)
	v_add_f32_e32 v17, v17, v174
	v_add_f32_e32 v17, v17, v176
	s_delay_alu instid0(VALU_DEP_1)
	v_add_f32_e32 v136, v17, v178
	scratch_load_b128 v[17:20], off, off offset:416
	v_add_f32_e32 v143, v138, v187
	v_add_f32_e32 v139, v136, v180
	scratch_load_b64 v[135:136], off, off offset:432
	v_add_f32_e32 v152, v143, v189
	s_delay_alu instid0(VALU_DEP_1) | instskip(NEXT) | instid1(VALU_DEP_1)
	v_dual_add_f32 v139, v139, v182 :: v_dual_add_f32 v24, v152, v24
	v_add_f32_e32 v139, v139, v184
	s_delay_alu instid0(VALU_DEP_2) | instskip(NEXT) | instid1(VALU_DEP_2)
	v_add_f32_e32 v24, v24, v144
	v_add_f32_e32 v14, v139, v186
	ds_load_b128 v[138:141], v21 offset:864
	v_add_f32_e32 v24, v24, v147
	v_add_f32_e32 v142, v14, v188
	ds_load_b128 v[13:16], v21 offset:848
	v_add_f32_e32 v24, v24, v148
	s_wait_loadcnt_dscnt 0x202
	v_mul_f32_e32 v144, v3, v8
	v_dual_mul_f32 v8, v4, v8 :: v_dual_add_f32 v151, v142, v190
	ds_load_b64 v[142:143], v21 offset:880
	s_wait_dscnt 0x1
	v_dual_fmac_f32 v144, v4, v7 :: v_dual_mul_f32 v147, v15, v12
	s_delay_alu instid0(VALU_DEP_1) | instskip(SKIP_2) | instid1(VALU_DEP_1)
	v_fmac_f32_e32 v147, v16, v11
	s_wait_loadcnt_dscnt 0x0
	v_dual_add_f32 v145, v151, v145 :: v_dual_mul_f32 v148, v142, v136
	v_add_f32_e32 v145, v145, v146
	v_mul_f32_e32 v146, v13, v10
	s_delay_alu instid0(VALU_DEP_2) | instskip(SKIP_1) | instid1(VALU_DEP_2)
	v_dual_fmac_f32 v148, v143, v135 :: v_dual_add_f32 v145, v145, v149
	v_mul_f32_e32 v149, v138, v18
	v_dual_fmac_f32 v146, v14, v9 :: v_dual_add_f32 v145, v145, v150
	s_delay_alu instid0(VALU_DEP_2) | instskip(SKIP_2) | instid1(VALU_DEP_2)
	v_fmac_f32_e32 v149, v139, v17
	v_mul_f32_e32 v151, v1, v6
	v_mul_f32_e32 v6, v2, v6
	v_dual_mul_f32 v150, v140, v20 :: v_dual_fmac_f32 v151, v2, v5
	s_delay_alu instid0(VALU_DEP_2) | instskip(SKIP_3) | instid1(VALU_DEP_4)
	v_fma_f32 v1, v1, v5, -v6
	v_fma_f32 v2, v3, v7, -v8
	v_mul_f32_e32 v3, v14, v10
	v_mul_f32_e32 v5, v16, v12
	v_dual_add_f32 v4, v24, v151 :: v_dual_add_f32 v1, v145, v1
	v_fmac_f32_e32 v150, v141, v19
	s_delay_alu instid0(VALU_DEP_4) | instskip(NEXT) | instid1(VALU_DEP_4)
	v_fma_f32 v3, v13, v9, -v3
	v_fma_f32 v5, v15, v11, -v5
	s_delay_alu instid0(VALU_DEP_4) | instskip(NEXT) | instid1(VALU_DEP_1)
	v_dual_add_f32 v1, v1, v2 :: v_dual_add_f32 v2, v4, v144
	v_dual_mul_f32 v4, v139, v18 :: v_dual_add_f32 v1, v1, v3
	s_delay_alu instid0(VALU_DEP_2) | instskip(NEXT) | instid1(VALU_DEP_2)
	v_dual_add_f32 v2, v2, v146 :: v_dual_mul_f32 v3, v141, v20
	v_fma_f32 v4, v138, v17, -v4
	s_delay_alu instid0(VALU_DEP_2) | instskip(SKIP_1) | instid1(VALU_DEP_4)
	v_dual_add_f32 v1, v1, v5 :: v_dual_add_f32 v2, v2, v147
	v_mul_f32_e32 v5, v143, v136
	v_fma_f32 v3, v140, v19, -v3
	s_delay_alu instid0(VALU_DEP_3) | instskip(NEXT) | instid1(VALU_DEP_3)
	v_dual_add_f32 v1, v1, v4 :: v_dual_add_f32 v2, v2, v149
	v_fma_f32 v4, v142, v135, -v5
	s_delay_alu instid0(VALU_DEP_2) | instskip(NEXT) | instid1(VALU_DEP_1)
	v_dual_add_f32 v1, v1, v3 :: v_dual_add_f32 v2, v2, v150
	v_add_f32_e32 v1, v1, v4
	s_delay_alu instid0(VALU_DEP_2) | instskip(NEXT) | instid1(VALU_DEP_1)
	v_add_f32_e32 v2, v2, v148
	v_dual_sub_f32 v1, v22, v1 :: v_dual_sub_f32 v2, v23, v2
	scratch_store_b64 off, v[1:2], off offset:88
	v_cmpx_lt_u32_e32 10, v0
	s_cbranch_execz .LBB54_323
; %bb.322:
	scratch_load_b64 v[1:2], off, off offset:80
	v_mov_b32_e32 v22, v21
	scratch_store_b64 off, v[21:22], off offset:80
	s_wait_loadcnt 0x0
	ds_store_b64 v137, v[1:2]
.LBB54_323:
	s_wait_alu 0xfffe
	s_or_b32 exec_lo, exec_lo, s0
	s_wait_storecnt_dscnt 0x0
	s_barrier_signal -1
	s_barrier_wait -1
	global_inv scope:SCOPE_SE
	s_clause 0x4
	scratch_load_b128 v[5:8], off, off offset:88
	scratch_load_b128 v[1:4], off, off offset:104
	;; [unrolled: 1-line block ×5, first 2 shown]
	ds_load_2addr_b64 v[138:141], v21 offset0:67 offset1:68
	ds_load_2addr_b64 v[142:145], v21 offset0:69 offset1:70
	;; [unrolled: 1-line block ×3, first 2 shown]
	scratch_load_b64 v[135:136], off, off offset:80
	s_mov_b32 s0, exec_lo
	s_wait_loadcnt_dscnt 0x502
	v_mul_f32_e32 v22, v139, v6
	v_dual_mul_f32 v23, v138, v6 :: v_dual_mul_f32 v24, v140, v8
	v_mul_f32_e32 v6, v141, v8
	s_delay_alu instid0(VALU_DEP_3) | instskip(NEXT) | instid1(VALU_DEP_3)
	v_fma_f32 v22, v138, v5, -v22
	v_dual_fmac_f32 v23, v139, v5 :: v_dual_fmac_f32 v24, v141, v7
	s_wait_loadcnt_dscnt 0x401
	v_mul_f32_e32 v139, v142, v2
	v_fma_f32 v138, v140, v7, -v6
	ds_load_2addr_b64 v[5:8], v21 offset0:73 offset1:74
	s_wait_loadcnt_dscnt 0x301
	v_dual_mul_f32 v140, v144, v4 :: v_dual_mul_f32 v141, v146, v10
	v_dual_mul_f32 v4, v145, v4 :: v_dual_fmac_f32 v139, v143, v1
	v_mul_f32_e32 v10, v147, v10
	s_delay_alu instid0(VALU_DEP_3)
	v_dual_mul_f32 v150, v148, v12 :: v_dual_fmac_f32 v141, v147, v9
	v_mul_f32_e32 v12, v149, v12
	v_mul_f32_e32 v2, v143, v2
	v_fmac_f32_e32 v140, v145, v3
	v_fma_f32 v143, v144, v3, -v4
	v_fma_f32 v144, v146, v9, -v10
	v_fmac_f32_e32 v150, v149, v11
	v_fma_f32 v145, v148, v11, -v12
	ds_load_2addr_b64 v[9:12], v21 offset0:75 offset1:76
	s_wait_loadcnt_dscnt 0x201
	v_mul_f32_e32 v146, v5, v14
	v_dual_mul_f32 v14, v6, v14 :: v_dual_mul_f32 v147, v7, v16
	v_mul_f32_e32 v16, v8, v16
	s_delay_alu instid0(VALU_DEP_3) | instskip(NEXT) | instid1(VALU_DEP_3)
	v_fmac_f32_e32 v146, v6, v13
	v_fma_f32 v13, v5, v13, -v14
	s_delay_alu instid0(VALU_DEP_4) | instskip(NEXT) | instid1(VALU_DEP_4)
	v_fmac_f32_e32 v147, v8, v15
	v_fma_f32 v14, v7, v15, -v16
	ds_load_2addr_b64 v[5:8], v21 offset0:77 offset1:78
	s_wait_loadcnt_dscnt 0x101
	v_mul_f32_e32 v15, v9, v18
	v_mul_f32_e32 v16, v10, v18
	;; [unrolled: 1-line block ×3, first 2 shown]
	s_delay_alu instid0(VALU_DEP_3)
	v_dual_mul_f32 v20, v12, v20 :: v_dual_fmac_f32 v15, v10, v17
	v_fma_f32 v142, v142, v1, -v2
	scratch_load_b128 v[1:4], off, off offset:168
	v_fma_f32 v16, v9, v17, -v16
	v_fmac_f32_e32 v18, v12, v19
	v_fma_f32 v17, v11, v19, -v20
	scratch_load_b128 v[9:12], off, off offset:184
	s_wait_loadcnt_dscnt 0x100
	v_mul_f32_e32 v19, v5, v2
	v_mul_f32_e32 v2, v6, v2
	v_mul_f32_e32 v20, v7, v4
	s_delay_alu instid0(VALU_DEP_3) | instskip(NEXT) | instid1(VALU_DEP_3)
	v_dual_mul_f32 v4, v8, v4 :: v_dual_fmac_f32 v19, v6, v1
	v_fma_f32 v148, v5, v1, -v2
	s_delay_alu instid0(VALU_DEP_3) | instskip(NEXT) | instid1(VALU_DEP_3)
	v_fmac_f32_e32 v20, v8, v3
	v_fma_f32 v149, v7, v3, -v4
	ds_load_2addr_b64 v[1:4], v21 offset0:79 offset1:80
	ds_load_2addr_b64 v[5:8], v21 offset0:81 offset1:82
	s_wait_loadcnt_dscnt 0x1
	v_mul_f32_e32 v151, v1, v10
	v_mul_f32_e32 v10, v2, v10
	s_delay_alu instid0(VALU_DEP_2) | instskip(NEXT) | instid1(VALU_DEP_2)
	v_dual_mul_f32 v152, v3, v12 :: v_dual_fmac_f32 v151, v2, v9
	v_fma_f32 v153, v1, v9, -v10
	v_mul_f32_e32 v1, v4, v12
	s_delay_alu instid0(VALU_DEP_3) | instskip(NEXT) | instid1(VALU_DEP_2)
	v_fmac_f32_e32 v152, v4, v11
	v_fma_f32 v154, v3, v11, -v1
	s_clause 0x1
	scratch_load_b128 v[1:4], off, off offset:200
	scratch_load_b128 v[9:12], off, off offset:216
	s_wait_loadcnt_dscnt 0x100
	v_mul_f32_e32 v155, v5, v2
	v_dual_mul_f32 v2, v6, v2 :: v_dual_mul_f32 v157, v7, v4
	s_delay_alu instid0(VALU_DEP_2) | instskip(NEXT) | instid1(VALU_DEP_2)
	v_fmac_f32_e32 v155, v6, v1
	v_fma_f32 v156, v5, v1, -v2
	v_mul_f32_e32 v1, v8, v4
	s_delay_alu instid0(VALU_DEP_4) | instskip(NEXT) | instid1(VALU_DEP_2)
	v_fmac_f32_e32 v157, v8, v3
	v_fma_f32 v158, v7, v3, -v1
	ds_load_2addr_b64 v[1:4], v21 offset0:83 offset1:84
	ds_load_2addr_b64 v[5:8], v21 offset0:85 offset1:86
	s_wait_loadcnt_dscnt 0x1
	v_mul_f32_e32 v159, v1, v10
	v_mul_f32_e32 v161, v3, v12
	s_delay_alu instid0(VALU_DEP_2) | instskip(NEXT) | instid1(VALU_DEP_2)
	v_fmac_f32_e32 v159, v2, v9
	v_dual_mul_f32 v2, v2, v10 :: v_dual_fmac_f32 v161, v4, v11
	s_delay_alu instid0(VALU_DEP_1) | instskip(SKIP_1) | instid1(VALU_DEP_1)
	v_fma_f32 v160, v1, v9, -v2
	v_mul_f32_e32 v1, v4, v12
	v_fma_f32 v162, v3, v11, -v1
	s_clause 0x1
	scratch_load_b128 v[1:4], off, off offset:232
	scratch_load_b128 v[9:12], off, off offset:248
	s_wait_loadcnt_dscnt 0x100
	v_mul_f32_e32 v163, v5, v2
	v_dual_mul_f32 v2, v6, v2 :: v_dual_mul_f32 v165, v7, v4
	s_delay_alu instid0(VALU_DEP_2) | instskip(NEXT) | instid1(VALU_DEP_2)
	v_fmac_f32_e32 v163, v6, v1
	v_fma_f32 v164, v5, v1, -v2
	v_mul_f32_e32 v1, v8, v4
	s_delay_alu instid0(VALU_DEP_4) | instskip(NEXT) | instid1(VALU_DEP_2)
	v_fmac_f32_e32 v165, v8, v3
	v_fma_f32 v166, v7, v3, -v1
	ds_load_2addr_b64 v[1:4], v21 offset0:87 offset1:88
	ds_load_2addr_b64 v[5:8], v21 offset0:89 offset1:90
	s_wait_loadcnt_dscnt 0x1
	v_mul_f32_e32 v167, v1, v10
	v_mul_f32_e32 v169, v3, v12
	s_delay_alu instid0(VALU_DEP_2) | instskip(NEXT) | instid1(VALU_DEP_2)
	v_fmac_f32_e32 v167, v2, v9
	v_dual_mul_f32 v2, v2, v10 :: v_dual_fmac_f32 v169, v4, v11
	s_delay_alu instid0(VALU_DEP_1) | instskip(SKIP_1) | instid1(VALU_DEP_1)
	v_fma_f32 v168, v1, v9, -v2
	v_mul_f32_e32 v1, v4, v12
	;; [unrolled: 25-line block ×5, first 2 shown]
	v_fma_f32 v194, v3, v11, -v1
	s_clause 0x1
	scratch_load_b128 v[1:4], off, off offset:360
	scratch_load_b128 v[9:12], off, off offset:376
	s_wait_loadcnt_dscnt 0x100
	v_mul_f32_e32 v195, v5, v2
	v_mul_f32_e32 v2, v6, v2
	s_delay_alu instid0(VALU_DEP_2) | instskip(NEXT) | instid1(VALU_DEP_2)
	v_fmac_f32_e32 v195, v6, v1
	v_fma_f32 v196, v5, v1, -v2
	v_dual_mul_f32 v1, v8, v4 :: v_dual_add_f32 v2, 0, v23
	s_delay_alu instid0(VALU_DEP_1) | instskip(NEXT) | instid1(VALU_DEP_2)
	v_fma_f32 v198, v7, v3, -v1
	v_dual_add_f32 v1, 0, v22 :: v_dual_add_f32 v2, v2, v24
	s_delay_alu instid0(VALU_DEP_1) | instskip(NEXT) | instid1(VALU_DEP_1)
	v_dual_add_f32 v1, v1, v138 :: v_dual_add_f32 v2, v2, v139
	v_dual_add_f32 v1, v1, v142 :: v_dual_add_f32 v2, v2, v140
	s_delay_alu instid0(VALU_DEP_1) | instskip(NEXT) | instid1(VALU_DEP_1)
	v_dual_add_f32 v1, v1, v143 :: v_dual_add_f32 v2, v2, v141
	;; [unrolled: 3-line block ×5, first 2 shown]
	v_add_f32_e32 v1, v1, v148
	s_delay_alu instid0(VALU_DEP_1) | instskip(NEXT) | instid1(VALU_DEP_1)
	v_dual_add_f32 v2, v2, v20 :: v_dual_add_f32 v1, v1, v149
	v_dual_add_f32 v2, v2, v151 :: v_dual_add_f32 v1, v1, v153
	s_delay_alu instid0(VALU_DEP_1) | instskip(NEXT) | instid1(VALU_DEP_1)
	v_dual_add_f32 v2, v2, v152 :: v_dual_add_f32 v1, v1, v154
	v_dual_add_f32 v2, v2, v155 :: v_dual_add_f32 v1, v1, v156
	;; [unrolled: 3-line block ×4, first 2 shown]
	s_delay_alu instid0(VALU_DEP_1) | instskip(NEXT) | instid1(VALU_DEP_1)
	v_dual_add_f32 v2, v2, v165 :: v_dual_add_f32 v1, v1, v166
	v_add_f32_e32 v1, v1, v168
	s_delay_alu instid0(VALU_DEP_1) | instskip(NEXT) | instid1(VALU_DEP_1)
	v_dual_add_f32 v6, v1, v170 :: v_dual_add_f32 v5, v2, v167
	v_dual_add_f32 v6, v6, v172 :: v_dual_add_f32 v5, v5, v169
	s_delay_alu instid0(VALU_DEP_1) | instskip(NEXT) | instid1(VALU_DEP_2)
	v_add_f32_e32 v13, v6, v174
	v_add_f32_e32 v5, v5, v171
	v_mul_f32_e32 v197, v7, v4
	s_delay_alu instid0(VALU_DEP_3) | instskip(NEXT) | instid1(VALU_DEP_2)
	v_add_f32_e32 v13, v13, v176
	v_dual_add_f32 v14, v5, v173 :: v_dual_fmac_f32 v197, v8, v3
	ds_load_2addr_b64 v[1:4], v21 offset0:103 offset1:104
	ds_load_2addr_b64 v[5:8], v21 offset0:105 offset1:106
	v_add_f32_e32 v13, v13, v178
	s_delay_alu instid0(VALU_DEP_1) | instskip(NEXT) | instid1(VALU_DEP_1)
	v_add_f32_e32 v13, v13, v180
	v_add_f32_e32 v18, v13, v182
	s_delay_alu instid0(VALU_DEP_1)
	v_add_f32_e32 v18, v18, v184
	s_wait_loadcnt_dscnt 0x1
	v_dual_mul_f32 v138, v1, v10 :: v_dual_mul_f32 v139, v3, v12
	v_mul_f32_e32 v10, v2, v10
	v_mul_f32_e32 v12, v4, v12
	v_add_f32_e32 v14, v14, v175
	s_delay_alu instid0(VALU_DEP_4) | instskip(NEXT) | instid1(VALU_DEP_4)
	v_dual_fmac_f32 v138, v2, v9 :: v_dual_fmac_f32 v139, v4, v11
	v_fma_f32 v140, v1, v9, -v10
	s_delay_alu instid0(VALU_DEP_4)
	v_fma_f32 v141, v3, v11, -v12
	s_clause 0x1
	scratch_load_b128 v[1:4], off, off offset:392
	scratch_load_b128 v[9:12], off, off offset:408
	v_add_f32_e32 v14, v14, v177
	v_add_f32_e32 v18, v18, v186
	s_delay_alu instid0(VALU_DEP_2) | instskip(SKIP_2) | instid1(VALU_DEP_1)
	v_add_f32_e32 v17, v14, v179
	scratch_load_b128 v[13:16], off, off offset:424
	v_dual_add_f32 v22, v18, v188 :: v_dual_add_f32 v17, v17, v181
	v_add_f32_e32 v142, v22, v190
	s_delay_alu instid0(VALU_DEP_1) | instskip(NEXT) | instid1(VALU_DEP_1)
	v_add_f32_e32 v142, v142, v192
	v_add_f32_e32 v142, v142, v194
	s_delay_alu instid0(VALU_DEP_1) | instskip(NEXT) | instid1(VALU_DEP_1)
	v_add_f32_e32 v142, v142, v196
	v_add_f32_e32 v142, v142, v198
	s_delay_alu instid0(VALU_DEP_1)
	v_add_f32_e32 v140, v142, v140
	s_wait_loadcnt_dscnt 0x200
	v_mul_f32_e32 v144, v5, v2
	v_add_f32_e32 v17, v17, v183
	v_mul_f32_e32 v145, v7, v4
	v_mul_f32_e32 v4, v8, v4
	;; [unrolled: 1-line block ×3, first 2 shown]
	v_fmac_f32_e32 v144, v6, v1
	v_add_f32_e32 v17, v17, v185
	v_fmac_f32_e32 v145, v8, v3
	v_fma_f32 v3, v7, v3, -v4
	v_fma_f32 v2, v5, v1, -v2
	v_add_f32_e32 v1, v140, v141
	v_add_f32_e32 v23, v17, v187
	ds_load_2addr_b64 v[17:20], v21 offset0:107 offset1:108
	v_add_f32_e32 v1, v1, v2
	v_add_f32_e32 v143, v23, v189
	ds_load_2addr_b64 v[21:24], v21 offset0:109 offset1:110
	v_add_f32_e32 v1, v1, v3
	s_wait_loadcnt_dscnt 0x101
	v_mul_f32_e32 v146, v17, v10
	v_dual_mul_f32 v6, v18, v10 :: v_dual_mul_f32 v147, v19, v12
	v_mul_f32_e32 v4, v20, v12
	s_wait_loadcnt_dscnt 0x0
	v_dual_mul_f32 v148, v21, v14 :: v_dual_add_f32 v143, v143, v191
	v_fmac_f32_e32 v146, v18, v9
	v_mul_f32_e32 v3, v22, v14
	v_fmac_f32_e32 v147, v20, v11
	v_fma_f32 v4, v19, v11, -v4
	v_add_f32_e32 v143, v143, v193
	v_mul_f32_e32 v142, v23, v16
	v_fmac_f32_e32 v148, v22, v13
	v_fma_f32 v3, v21, v13, -v3
	s_delay_alu instid0(VALU_DEP_4) | instskip(NEXT) | instid1(VALU_DEP_1)
	v_add_f32_e32 v143, v143, v195
	v_dual_fmac_f32 v142, v24, v15 :: v_dual_add_f32 v143, v143, v197
	s_delay_alu instid0(VALU_DEP_1) | instskip(NEXT) | instid1(VALU_DEP_1)
	v_add_f32_e32 v138, v143, v138
	v_add_f32_e32 v5, v138, v139
	s_delay_alu instid0(VALU_DEP_1) | instskip(SKIP_1) | instid1(VALU_DEP_2)
	v_add_f32_e32 v2, v5, v144
	v_fma_f32 v5, v17, v9, -v6
	v_add_f32_e32 v2, v2, v145
	s_delay_alu instid0(VALU_DEP_2) | instskip(NEXT) | instid1(VALU_DEP_2)
	v_add_f32_e32 v1, v1, v5
	v_dual_mul_f32 v5, v24, v16 :: v_dual_add_f32 v2, v2, v146
	s_delay_alu instid0(VALU_DEP_2) | instskip(NEXT) | instid1(VALU_DEP_2)
	v_add_f32_e32 v1, v1, v4
	v_fma_f32 v4, v23, v15, -v5
	s_delay_alu instid0(VALU_DEP_3) | instskip(NEXT) | instid1(VALU_DEP_1)
	v_add_f32_e32 v2, v2, v147
	v_dual_add_f32 v1, v1, v3 :: v_dual_add_f32 v2, v2, v148
	s_delay_alu instid0(VALU_DEP_1) | instskip(NEXT) | instid1(VALU_DEP_1)
	v_dual_add_f32 v1, v1, v4 :: v_dual_add_f32 v2, v2, v142
	v_dual_sub_f32 v1, v135, v1 :: v_dual_sub_f32 v2, v136, v2
	scratch_store_b64 off, v[1:2], off offset:80
	v_cmpx_lt_u32_e32 9, v0
	s_cbranch_execz .LBB54_325
; %bb.324:
	scratch_load_b64 v[1:2], off, off offset:72
	v_mov_b32_e32 v3, 0
	s_delay_alu instid0(VALU_DEP_1)
	v_mov_b32_e32 v4, v3
	scratch_store_b64 off, v[3:4], off offset:72
	s_wait_loadcnt 0x0
	ds_store_b64 v137, v[1:2]
.LBB54_325:
	s_wait_alu 0xfffe
	s_or_b32 exec_lo, exec_lo, s0
	s_wait_storecnt_dscnt 0x0
	s_barrier_signal -1
	s_barrier_wait -1
	global_inv scope:SCOPE_SE
	s_clause 0x4
	scratch_load_b128 v[5:8], off, off offset:80
	scratch_load_b128 v[1:4], off, off offset:96
	;; [unrolled: 1-line block ×5, first 2 shown]
	v_mov_b32_e32 v21, 0
	ds_load_b128 v[138:141], v21 offset:528
	ds_load_b128 v[142:145], v21 offset:544
	;; [unrolled: 1-line block ×3, first 2 shown]
	scratch_load_b64 v[22:23], off, off offset:72
	s_mov_b32 s0, exec_lo
	s_wait_loadcnt_dscnt 0x502
	v_mul_f32_e32 v24, v139, v6
	v_dual_mul_f32 v135, v138, v6 :: v_dual_mul_f32 v136, v140, v8
	v_mul_f32_e32 v6, v141, v8
	s_delay_alu instid0(VALU_DEP_3) | instskip(NEXT) | instid1(VALU_DEP_3)
	v_fma_f32 v24, v138, v5, -v24
	v_dual_fmac_f32 v135, v139, v5 :: v_dual_fmac_f32 v136, v141, v7
	s_wait_loadcnt_dscnt 0x401
	v_mul_f32_e32 v139, v142, v2
	v_fma_f32 v138, v140, v7, -v6
	ds_load_b128 v[5:8], v21 offset:576
	s_wait_loadcnt_dscnt 0x301
	v_dual_mul_f32 v140, v144, v4 :: v_dual_mul_f32 v141, v146, v10
	v_dual_mul_f32 v4, v145, v4 :: v_dual_fmac_f32 v139, v143, v1
	v_mul_f32_e32 v10, v147, v10
	s_delay_alu instid0(VALU_DEP_3)
	v_dual_mul_f32 v150, v148, v12 :: v_dual_fmac_f32 v141, v147, v9
	v_mul_f32_e32 v12, v149, v12
	v_mul_f32_e32 v2, v143, v2
	v_fmac_f32_e32 v140, v145, v3
	v_fma_f32 v143, v144, v3, -v4
	v_fma_f32 v144, v146, v9, -v10
	v_fmac_f32_e32 v150, v149, v11
	v_fma_f32 v145, v148, v11, -v12
	ds_load_b128 v[9:12], v21 offset:592
	s_wait_loadcnt_dscnt 0x201
	v_dual_mul_f32 v147, v7, v16 :: v_dual_mul_f32 v146, v5, v14
	v_mul_f32_e32 v14, v6, v14
	v_mul_f32_e32 v16, v8, v16
	s_delay_alu instid0(VALU_DEP_3)
	v_fmac_f32_e32 v147, v8, v15
	v_fma_f32 v142, v142, v1, -v2
	scratch_load_b128 v[1:4], off, off offset:160
	v_fmac_f32_e32 v146, v6, v13
	v_fma_f32 v13, v5, v13, -v14
	v_fma_f32 v14, v7, v15, -v16
	ds_load_b128 v[5:8], v21 offset:608
	s_wait_loadcnt_dscnt 0x201
	v_mul_f32_e32 v15, v9, v18
	v_mul_f32_e32 v16, v10, v18
	;; [unrolled: 1-line block ×3, first 2 shown]
	s_delay_alu instid0(VALU_DEP_3) | instskip(NEXT) | instid1(VALU_DEP_3)
	v_dual_mul_f32 v20, v12, v20 :: v_dual_fmac_f32 v15, v10, v17
	v_fma_f32 v16, v9, v17, -v16
	s_delay_alu instid0(VALU_DEP_3) | instskip(NEXT) | instid1(VALU_DEP_3)
	v_fmac_f32_e32 v18, v12, v19
	v_fma_f32 v17, v11, v19, -v20
	scratch_load_b128 v[9:12], off, off offset:176
	s_wait_loadcnt_dscnt 0x100
	v_mul_f32_e32 v19, v5, v2
	v_mul_f32_e32 v2, v6, v2
	;; [unrolled: 1-line block ×3, first 2 shown]
	s_delay_alu instid0(VALU_DEP_3) | instskip(NEXT) | instid1(VALU_DEP_3)
	v_dual_mul_f32 v4, v8, v4 :: v_dual_fmac_f32 v19, v6, v1
	v_fma_f32 v148, v5, v1, -v2
	s_delay_alu instid0(VALU_DEP_3) | instskip(NEXT) | instid1(VALU_DEP_3)
	v_fmac_f32_e32 v20, v8, v3
	v_fma_f32 v149, v7, v3, -v4
	ds_load_b128 v[1:4], v21 offset:624
	ds_load_b128 v[5:8], v21 offset:640
	s_wait_loadcnt_dscnt 0x1
	v_mul_f32_e32 v151, v1, v10
	v_mul_f32_e32 v10, v2, v10
	s_delay_alu instid0(VALU_DEP_2) | instskip(NEXT) | instid1(VALU_DEP_2)
	v_dual_mul_f32 v152, v3, v12 :: v_dual_fmac_f32 v151, v2, v9
	v_fma_f32 v153, v1, v9, -v10
	v_mul_f32_e32 v1, v4, v12
	s_delay_alu instid0(VALU_DEP_3) | instskip(NEXT) | instid1(VALU_DEP_2)
	v_fmac_f32_e32 v152, v4, v11
	v_fma_f32 v154, v3, v11, -v1
	s_clause 0x1
	scratch_load_b128 v[1:4], off, off offset:192
	scratch_load_b128 v[9:12], off, off offset:208
	s_wait_loadcnt_dscnt 0x100
	v_mul_f32_e32 v155, v5, v2
	v_dual_mul_f32 v2, v6, v2 :: v_dual_mul_f32 v157, v7, v4
	s_delay_alu instid0(VALU_DEP_2) | instskip(NEXT) | instid1(VALU_DEP_2)
	v_fmac_f32_e32 v155, v6, v1
	v_fma_f32 v156, v5, v1, -v2
	v_mul_f32_e32 v1, v8, v4
	s_delay_alu instid0(VALU_DEP_4) | instskip(NEXT) | instid1(VALU_DEP_2)
	v_fmac_f32_e32 v157, v8, v3
	v_fma_f32 v158, v7, v3, -v1
	ds_load_b128 v[1:4], v21 offset:656
	ds_load_b128 v[5:8], v21 offset:672
	s_wait_loadcnt_dscnt 0x1
	v_mul_f32_e32 v159, v1, v10
	v_mul_f32_e32 v161, v3, v12
	s_delay_alu instid0(VALU_DEP_2) | instskip(NEXT) | instid1(VALU_DEP_2)
	v_fmac_f32_e32 v159, v2, v9
	v_dual_mul_f32 v2, v2, v10 :: v_dual_fmac_f32 v161, v4, v11
	s_delay_alu instid0(VALU_DEP_1) | instskip(SKIP_1) | instid1(VALU_DEP_1)
	v_fma_f32 v160, v1, v9, -v2
	v_mul_f32_e32 v1, v4, v12
	v_fma_f32 v162, v3, v11, -v1
	s_clause 0x1
	scratch_load_b128 v[1:4], off, off offset:224
	scratch_load_b128 v[9:12], off, off offset:240
	s_wait_loadcnt_dscnt 0x100
	v_mul_f32_e32 v163, v5, v2
	v_dual_mul_f32 v165, v7, v4 :: v_dual_mul_f32 v2, v6, v2
	s_delay_alu instid0(VALU_DEP_2) | instskip(NEXT) | instid1(VALU_DEP_2)
	v_fmac_f32_e32 v163, v6, v1
	v_fmac_f32_e32 v165, v8, v3
	s_delay_alu instid0(VALU_DEP_3) | instskip(SKIP_1) | instid1(VALU_DEP_1)
	v_fma_f32 v164, v5, v1, -v2
	v_mul_f32_e32 v1, v8, v4
	v_fma_f32 v166, v7, v3, -v1
	ds_load_b128 v[1:4], v21 offset:688
	ds_load_b128 v[5:8], v21 offset:704
	s_wait_loadcnt_dscnt 0x1
	v_mul_f32_e32 v167, v1, v10
	v_mul_f32_e32 v169, v3, v12
	s_delay_alu instid0(VALU_DEP_2) | instskip(NEXT) | instid1(VALU_DEP_2)
	v_fmac_f32_e32 v167, v2, v9
	v_dual_mul_f32 v2, v2, v10 :: v_dual_fmac_f32 v169, v4, v11
	s_delay_alu instid0(VALU_DEP_1) | instskip(SKIP_1) | instid1(VALU_DEP_1)
	v_fma_f32 v168, v1, v9, -v2
	v_mul_f32_e32 v1, v4, v12
	v_fma_f32 v170, v3, v11, -v1
	s_clause 0x1
	scratch_load_b128 v[1:4], off, off offset:256
	scratch_load_b128 v[9:12], off, off offset:272
	s_wait_loadcnt_dscnt 0x100
	v_mul_f32_e32 v171, v5, v2
	v_dual_mul_f32 v2, v6, v2 :: v_dual_mul_f32 v173, v7, v4
	s_delay_alu instid0(VALU_DEP_2) | instskip(NEXT) | instid1(VALU_DEP_2)
	v_fmac_f32_e32 v171, v6, v1
	v_fma_f32 v172, v5, v1, -v2
	v_mul_f32_e32 v1, v8, v4
	s_delay_alu instid0(VALU_DEP_4) | instskip(NEXT) | instid1(VALU_DEP_2)
	v_fmac_f32_e32 v173, v8, v3
	v_fma_f32 v174, v7, v3, -v1
	ds_load_b128 v[1:4], v21 offset:720
	ds_load_b128 v[5:8], v21 offset:736
	s_wait_loadcnt_dscnt 0x1
	v_mul_f32_e32 v175, v1, v10
	v_mul_f32_e32 v177, v3, v12
	s_delay_alu instid0(VALU_DEP_2) | instskip(NEXT) | instid1(VALU_DEP_2)
	v_fmac_f32_e32 v175, v2, v9
	v_dual_mul_f32 v2, v2, v10 :: v_dual_fmac_f32 v177, v4, v11
	s_delay_alu instid0(VALU_DEP_1) | instskip(SKIP_1) | instid1(VALU_DEP_1)
	v_fma_f32 v176, v1, v9, -v2
	v_mul_f32_e32 v1, v4, v12
	v_fma_f32 v178, v3, v11, -v1
	s_clause 0x1
	scratch_load_b128 v[1:4], off, off offset:288
	scratch_load_b128 v[9:12], off, off offset:304
	s_wait_loadcnt_dscnt 0x100
	v_mul_f32_e32 v179, v5, v2
	v_dual_mul_f32 v2, v6, v2 :: v_dual_mul_f32 v181, v7, v4
	s_delay_alu instid0(VALU_DEP_2) | instskip(NEXT) | instid1(VALU_DEP_2)
	v_fmac_f32_e32 v179, v6, v1
	v_fma_f32 v180, v5, v1, -v2
	v_mul_f32_e32 v1, v8, v4
	s_delay_alu instid0(VALU_DEP_4) | instskip(NEXT) | instid1(VALU_DEP_2)
	v_fmac_f32_e32 v181, v8, v3
	;; [unrolled: 25-line block ×3, first 2 shown]
	v_fma_f32 v190, v7, v3, -v1
	ds_load_b128 v[1:4], v21 offset:784
	ds_load_b128 v[5:8], v21 offset:800
	s_wait_loadcnt_dscnt 0x1
	v_mul_f32_e32 v191, v1, v10
	v_mul_f32_e32 v193, v3, v12
	s_delay_alu instid0(VALU_DEP_2) | instskip(NEXT) | instid1(VALU_DEP_2)
	v_fmac_f32_e32 v191, v2, v9
	v_dual_mul_f32 v2, v2, v10 :: v_dual_fmac_f32 v193, v4, v11
	s_delay_alu instid0(VALU_DEP_1) | instskip(SKIP_1) | instid1(VALU_DEP_1)
	v_fma_f32 v192, v1, v9, -v2
	v_mul_f32_e32 v1, v4, v12
	v_fma_f32 v194, v3, v11, -v1
	s_clause 0x1
	scratch_load_b128 v[1:4], off, off offset:352
	scratch_load_b128 v[9:12], off, off offset:368
	s_wait_loadcnt_dscnt 0x100
	v_mul_f32_e32 v195, v5, v2
	v_dual_mul_f32 v2, v6, v2 :: v_dual_mul_f32 v197, v7, v4
	s_delay_alu instid0(VALU_DEP_2) | instskip(NEXT) | instid1(VALU_DEP_2)
	v_fmac_f32_e32 v195, v6, v1
	v_fma_f32 v196, v5, v1, -v2
	v_dual_add_f32 v2, 0, v135 :: v_dual_mul_f32 v1, v8, v4
	s_delay_alu instid0(VALU_DEP_1) | instskip(NEXT) | instid1(VALU_DEP_2)
	v_dual_fmac_f32 v197, v8, v3 :: v_dual_add_f32 v2, v2, v136
	v_fma_f32 v198, v7, v3, -v1
	scratch_load_b64 v[135:136], off, off offset:432
	v_add_f32_e32 v2, v2, v139
	s_delay_alu instid0(VALU_DEP_1) | instskip(NEXT) | instid1(VALU_DEP_1)
	v_add_f32_e32 v2, v2, v140
	v_dual_add_f32 v1, 0, v24 :: v_dual_add_f32 v2, v2, v141
	s_delay_alu instid0(VALU_DEP_1) | instskip(NEXT) | instid1(VALU_DEP_2)
	v_add_f32_e32 v1, v1, v138
	v_add_f32_e32 v2, v2, v150
	s_delay_alu instid0(VALU_DEP_2) | instskip(NEXT) | instid1(VALU_DEP_1)
	v_add_f32_e32 v1, v1, v142
	v_dual_add_f32 v2, v2, v146 :: v_dual_add_f32 v1, v1, v143
	s_delay_alu instid0(VALU_DEP_1) | instskip(NEXT) | instid1(VALU_DEP_1)
	v_dual_add_f32 v2, v2, v147 :: v_dual_add_f32 v1, v1, v144
	v_dual_add_f32 v2, v2, v15 :: v_dual_add_f32 v1, v1, v145
	s_delay_alu instid0(VALU_DEP_1) | instskip(NEXT) | instid1(VALU_DEP_1)
	v_dual_add_f32 v2, v2, v18 :: v_dual_add_f32 v1, v1, v13
	v_add_f32_e32 v2, v2, v19
	s_delay_alu instid0(VALU_DEP_1) | instskip(NEXT) | instid1(VALU_DEP_1)
	v_add_f32_e32 v2, v2, v20
	v_add_f32_e32 v2, v2, v151
	s_delay_alu instid0(VALU_DEP_1) | instskip(NEXT) | instid1(VALU_DEP_1)
	v_add_f32_e32 v2, v2, v152
	;; [unrolled: 3-line block ×4, first 2 shown]
	v_add_f32_e32 v2, v2, v163
	s_delay_alu instid0(VALU_DEP_1) | instskip(NEXT) | instid1(VALU_DEP_1)
	v_dual_add_f32 v2, v2, v165 :: v_dual_add_f32 v1, v1, v14
	v_add_f32_e32 v1, v1, v16
	s_delay_alu instid0(VALU_DEP_1) | instskip(NEXT) | instid1(VALU_DEP_1)
	v_add_f32_e32 v1, v1, v17
	v_add_f32_e32 v1, v1, v148
	s_delay_alu instid0(VALU_DEP_1) | instskip(NEXT) | instid1(VALU_DEP_1)
	v_add_f32_e32 v1, v1, v149
	v_add_f32_e32 v1, v1, v153
	s_delay_alu instid0(VALU_DEP_1) | instskip(NEXT) | instid1(VALU_DEP_1)
	v_add_f32_e32 v1, v1, v154
	v_add_f32_e32 v1, v1, v156
	s_delay_alu instid0(VALU_DEP_1) | instskip(NEXT) | instid1(VALU_DEP_1)
	v_add_f32_e32 v1, v1, v158
	v_add_f32_e32 v1, v1, v160
	s_delay_alu instid0(VALU_DEP_1) | instskip(NEXT) | instid1(VALU_DEP_1)
	v_add_f32_e32 v1, v1, v162
	v_add_f32_e32 v1, v1, v164
	s_delay_alu instid0(VALU_DEP_1) | instskip(NEXT) | instid1(VALU_DEP_1)
	v_add_f32_e32 v1, v1, v166
	v_add_f32_e32 v1, v1, v168
	s_delay_alu instid0(VALU_DEP_1) | instskip(SKIP_2) | instid1(VALU_DEP_1)
	v_dual_add_f32 v6, v1, v170 :: v_dual_add_f32 v5, v2, v167
	ds_load_b128 v[1:4], v21 offset:816
	v_dual_add_f32 v6, v6, v172 :: v_dual_add_f32 v5, v5, v169
	v_add_f32_e32 v13, v6, v174
	s_delay_alu instid0(VALU_DEP_2) | instskip(NEXT) | instid1(VALU_DEP_2)
	v_add_f32_e32 v5, v5, v171
	v_add_f32_e32 v13, v13, v176
	s_delay_alu instid0(VALU_DEP_2)
	v_add_f32_e32 v14, v5, v173
	ds_load_b128 v[5:8], v21 offset:832
	v_add_f32_e32 v13, v13, v178
	s_wait_loadcnt_dscnt 0x101
	v_mul_f32_e32 v24, v1, v10
	v_mul_f32_e32 v10, v2, v10
	;; [unrolled: 1-line block ×4, first 2 shown]
	s_delay_alu instid0(VALU_DEP_4) | instskip(NEXT) | instid1(VALU_DEP_4)
	v_dual_add_f32 v13, v13, v180 :: v_dual_fmac_f32 v24, v2, v9
	v_fma_f32 v145, v1, v9, -v10
	s_delay_alu instid0(VALU_DEP_4) | instskip(NEXT) | instid1(VALU_DEP_4)
	v_fmac_f32_e32 v144, v4, v11
	v_fma_f32 v146, v3, v11, -v12
	s_clause 0x1
	scratch_load_b128 v[1:4], off, off offset:384
	scratch_load_b128 v[9:12], off, off offset:400
	v_add_f32_e32 v18, v13, v182
	v_add_f32_e32 v14, v14, v175
	s_delay_alu instid0(VALU_DEP_2) | instskip(NEXT) | instid1(VALU_DEP_2)
	v_add_f32_e32 v18, v18, v184
	v_add_f32_e32 v14, v14, v177
	s_delay_alu instid0(VALU_DEP_2) | instskip(NEXT) | instid1(VALU_DEP_1)
	v_add_f32_e32 v18, v18, v186
	v_add_f32_e32 v18, v18, v188
	s_delay_alu instid0(VALU_DEP_1) | instskip(NEXT) | instid1(VALU_DEP_1)
	v_add_f32_e32 v18, v18, v190
	v_add_f32_e32 v142, v18, v192
	s_delay_alu instid0(VALU_DEP_1) | instskip(NEXT) | instid1(VALU_DEP_1)
	;; [unrolled: 3-line block ×3, first 2 shown]
	v_add_f32_e32 v147, v147, v198
	v_add_f32_e32 v145, v147, v145
	s_delay_alu instid0(VALU_DEP_1) | instskip(SKIP_4) | instid1(VALU_DEP_3)
	v_add_f32_e32 v145, v145, v146
	s_wait_loadcnt_dscnt 0x100
	v_mul_f32_e32 v149, v5, v2
	v_mul_f32_e32 v2, v6, v2
	;; [unrolled: 1-line block ×3, first 2 shown]
	v_dual_mul_f32 v4, v8, v4 :: v_dual_fmac_f32 v149, v6, v1
	s_delay_alu instid0(VALU_DEP_3)
	v_fma_f32 v2, v5, v1, -v2
	v_add_f32_e32 v17, v14, v179
	scratch_load_b128 v[13:16], off, off offset:416
	v_fmac_f32_e32 v150, v8, v3
	v_fma_f32 v1, v7, v3, -v4
	v_add_f32_e32 v2, v145, v2
	v_add_f32_e32 v17, v17, v181
	s_delay_alu instid0(VALU_DEP_2) | instskip(NEXT) | instid1(VALU_DEP_2)
	v_add_f32_e32 v1, v2, v1
	v_add_f32_e32 v17, v17, v183
	s_delay_alu instid0(VALU_DEP_1) | instskip(NEXT) | instid1(VALU_DEP_1)
	v_add_f32_e32 v17, v17, v185
	v_add_f32_e32 v17, v17, v187
	s_delay_alu instid0(VALU_DEP_1)
	v_add_f32_e32 v138, v17, v189
	ds_load_b128 v[17:20], v21 offset:848
	v_add_f32_e32 v143, v138, v191
	ds_load_b128 v[138:141], v21 offset:864
	v_add_f32_e32 v148, v143, v193
	ds_load_b64 v[142:143], v21 offset:880
	v_add_f32_e32 v148, v148, v195
	s_wait_loadcnt_dscnt 0x102
	s_delay_alu instid0(VALU_DEP_1) | instskip(SKIP_2) | instid1(VALU_DEP_3)
	v_dual_add_f32 v148, v148, v197 :: v_dual_mul_f32 v147, v17, v10
	v_mul_f32_e32 v3, v18, v10
	v_mul_f32_e32 v5, v20, v12
	v_add_f32_e32 v24, v148, v24
	s_delay_alu instid0(VALU_DEP_4) | instskip(NEXT) | instid1(VALU_DEP_4)
	v_dual_mul_f32 v148, v19, v12 :: v_dual_fmac_f32 v147, v18, v9
	v_fma_f32 v3, v17, v9, -v3
	s_delay_alu instid0(VALU_DEP_4) | instskip(NEXT) | instid1(VALU_DEP_4)
	v_fma_f32 v5, v19, v11, -v5
	v_add_f32_e32 v24, v24, v144
	s_delay_alu instid0(VALU_DEP_4) | instskip(SKIP_2) | instid1(VALU_DEP_3)
	v_fmac_f32_e32 v148, v20, v11
	s_wait_dscnt 0x0
	v_dual_mul_f32 v144, v142, v136 :: v_dual_add_f32 v1, v1, v3
	v_add_f32_e32 v4, v24, v149
	s_delay_alu instid0(VALU_DEP_2) | instskip(NEXT) | instid1(VALU_DEP_2)
	v_dual_fmac_f32 v144, v143, v135 :: v_dual_add_f32 v1, v1, v5
	v_dual_mul_f32 v5, v143, v136 :: v_dual_add_f32 v2, v4, v150
	s_delay_alu instid0(VALU_DEP_1) | instskip(NEXT) | instid1(VALU_DEP_1)
	v_add_f32_e32 v2, v2, v147
	v_add_f32_e32 v2, v2, v148
	s_wait_loadcnt 0x0
	v_mul_f32_e32 v151, v138, v14
	v_mul_f32_e32 v4, v139, v14
	;; [unrolled: 1-line block ×4, first 2 shown]
	s_delay_alu instid0(VALU_DEP_4) | instskip(NEXT) | instid1(VALU_DEP_4)
	v_fmac_f32_e32 v151, v139, v13
	v_fma_f32 v4, v138, v13, -v4
	s_delay_alu instid0(VALU_DEP_4) | instskip(NEXT) | instid1(VALU_DEP_4)
	v_fmac_f32_e32 v146, v141, v15
	v_fma_f32 v3, v140, v15, -v3
	s_delay_alu instid0(VALU_DEP_3) | instskip(SKIP_1) | instid1(VALU_DEP_2)
	v_dual_add_f32 v2, v2, v151 :: v_dual_add_f32 v1, v1, v4
	v_fma_f32 v4, v142, v135, -v5
	v_dual_add_f32 v2, v2, v146 :: v_dual_add_f32 v1, v1, v3
	s_delay_alu instid0(VALU_DEP_1) | instskip(NEXT) | instid1(VALU_DEP_1)
	v_add_f32_e32 v2, v2, v144
	v_dual_add_f32 v1, v1, v4 :: v_dual_sub_f32 v2, v23, v2
	s_delay_alu instid0(VALU_DEP_1)
	v_sub_f32_e32 v1, v22, v1
	scratch_store_b64 off, v[1:2], off offset:72
	v_cmpx_lt_u32_e32 8, v0
	s_cbranch_execz .LBB54_327
; %bb.326:
	scratch_load_b64 v[1:2], off, off offset:64
	v_mov_b32_e32 v22, v21
	scratch_store_b64 off, v[21:22], off offset:64
	s_wait_loadcnt 0x0
	ds_store_b64 v137, v[1:2]
.LBB54_327:
	s_wait_alu 0xfffe
	s_or_b32 exec_lo, exec_lo, s0
	s_wait_storecnt_dscnt 0x0
	s_barrier_signal -1
	s_barrier_wait -1
	global_inv scope:SCOPE_SE
	s_clause 0x4
	scratch_load_b128 v[5:8], off, off offset:72
	scratch_load_b128 v[1:4], off, off offset:88
	;; [unrolled: 1-line block ×5, first 2 shown]
	ds_load_2addr_b64 v[138:141], v21 offset0:65 offset1:66
	ds_load_2addr_b64 v[142:145], v21 offset0:67 offset1:68
	;; [unrolled: 1-line block ×3, first 2 shown]
	scratch_load_b64 v[135:136], off, off offset:64
	s_mov_b32 s0, exec_lo
	s_wait_loadcnt_dscnt 0x502
	v_mul_f32_e32 v22, v139, v6
	v_dual_mul_f32 v23, v138, v6 :: v_dual_mul_f32 v24, v140, v8
	v_mul_f32_e32 v6, v141, v8
	s_delay_alu instid0(VALU_DEP_3) | instskip(NEXT) | instid1(VALU_DEP_3)
	v_fma_f32 v22, v138, v5, -v22
	v_dual_fmac_f32 v23, v139, v5 :: v_dual_fmac_f32 v24, v141, v7
	s_wait_loadcnt_dscnt 0x401
	v_mul_f32_e32 v139, v142, v2
	v_fma_f32 v138, v140, v7, -v6
	ds_load_2addr_b64 v[5:8], v21 offset0:71 offset1:72
	s_wait_loadcnt_dscnt 0x301
	v_dual_mul_f32 v140, v144, v4 :: v_dual_mul_f32 v141, v146, v10
	v_dual_mul_f32 v4, v145, v4 :: v_dual_fmac_f32 v139, v143, v1
	v_mul_f32_e32 v10, v147, v10
	s_delay_alu instid0(VALU_DEP_3)
	v_dual_mul_f32 v150, v148, v12 :: v_dual_fmac_f32 v141, v147, v9
	v_mul_f32_e32 v12, v149, v12
	v_mul_f32_e32 v2, v143, v2
	v_fmac_f32_e32 v140, v145, v3
	v_fma_f32 v143, v144, v3, -v4
	v_fma_f32 v144, v146, v9, -v10
	v_fmac_f32_e32 v150, v149, v11
	v_fma_f32 v145, v148, v11, -v12
	ds_load_2addr_b64 v[9:12], v21 offset0:73 offset1:74
	s_wait_loadcnt_dscnt 0x201
	v_mul_f32_e32 v146, v5, v14
	v_dual_mul_f32 v14, v6, v14 :: v_dual_mul_f32 v147, v7, v16
	v_mul_f32_e32 v16, v8, v16
	s_delay_alu instid0(VALU_DEP_3) | instskip(NEXT) | instid1(VALU_DEP_3)
	v_fmac_f32_e32 v146, v6, v13
	v_fma_f32 v13, v5, v13, -v14
	s_delay_alu instid0(VALU_DEP_4) | instskip(NEXT) | instid1(VALU_DEP_4)
	v_fmac_f32_e32 v147, v8, v15
	v_fma_f32 v14, v7, v15, -v16
	ds_load_2addr_b64 v[5:8], v21 offset0:75 offset1:76
	s_wait_loadcnt_dscnt 0x101
	v_mul_f32_e32 v15, v9, v18
	v_mul_f32_e32 v16, v10, v18
	;; [unrolled: 1-line block ×3, first 2 shown]
	s_delay_alu instid0(VALU_DEP_3)
	v_dual_mul_f32 v20, v12, v20 :: v_dual_fmac_f32 v15, v10, v17
	v_fma_f32 v142, v142, v1, -v2
	scratch_load_b128 v[1:4], off, off offset:152
	v_fma_f32 v16, v9, v17, -v16
	v_fmac_f32_e32 v18, v12, v19
	v_fma_f32 v17, v11, v19, -v20
	scratch_load_b128 v[9:12], off, off offset:168
	s_wait_loadcnt_dscnt 0x100
	v_mul_f32_e32 v19, v5, v2
	v_mul_f32_e32 v2, v6, v2
	;; [unrolled: 1-line block ×3, first 2 shown]
	s_delay_alu instid0(VALU_DEP_3) | instskip(NEXT) | instid1(VALU_DEP_3)
	v_dual_mul_f32 v4, v8, v4 :: v_dual_fmac_f32 v19, v6, v1
	v_fma_f32 v148, v5, v1, -v2
	s_delay_alu instid0(VALU_DEP_3) | instskip(NEXT) | instid1(VALU_DEP_3)
	v_fmac_f32_e32 v20, v8, v3
	v_fma_f32 v149, v7, v3, -v4
	ds_load_2addr_b64 v[1:4], v21 offset0:77 offset1:78
	ds_load_2addr_b64 v[5:8], v21 offset0:79 offset1:80
	s_wait_loadcnt_dscnt 0x1
	v_mul_f32_e32 v151, v1, v10
	v_mul_f32_e32 v10, v2, v10
	s_delay_alu instid0(VALU_DEP_2) | instskip(NEXT) | instid1(VALU_DEP_2)
	v_dual_mul_f32 v152, v3, v12 :: v_dual_fmac_f32 v151, v2, v9
	v_fma_f32 v153, v1, v9, -v10
	v_mul_f32_e32 v1, v4, v12
	s_delay_alu instid0(VALU_DEP_3) | instskip(NEXT) | instid1(VALU_DEP_2)
	v_fmac_f32_e32 v152, v4, v11
	v_fma_f32 v154, v3, v11, -v1
	s_clause 0x1
	scratch_load_b128 v[1:4], off, off offset:184
	scratch_load_b128 v[9:12], off, off offset:200
	s_wait_loadcnt_dscnt 0x100
	v_mul_f32_e32 v155, v5, v2
	v_dual_mul_f32 v2, v6, v2 :: v_dual_mul_f32 v157, v7, v4
	s_delay_alu instid0(VALU_DEP_2) | instskip(NEXT) | instid1(VALU_DEP_2)
	v_fmac_f32_e32 v155, v6, v1
	v_fma_f32 v156, v5, v1, -v2
	v_mul_f32_e32 v1, v8, v4
	s_delay_alu instid0(VALU_DEP_4) | instskip(NEXT) | instid1(VALU_DEP_2)
	v_fmac_f32_e32 v157, v8, v3
	v_fma_f32 v158, v7, v3, -v1
	ds_load_2addr_b64 v[1:4], v21 offset0:81 offset1:82
	ds_load_2addr_b64 v[5:8], v21 offset0:83 offset1:84
	s_wait_loadcnt_dscnt 0x1
	v_mul_f32_e32 v159, v1, v10
	v_mul_f32_e32 v161, v3, v12
	s_delay_alu instid0(VALU_DEP_2) | instskip(NEXT) | instid1(VALU_DEP_2)
	v_fmac_f32_e32 v159, v2, v9
	v_dual_mul_f32 v2, v2, v10 :: v_dual_fmac_f32 v161, v4, v11
	s_delay_alu instid0(VALU_DEP_1) | instskip(SKIP_1) | instid1(VALU_DEP_1)
	v_fma_f32 v160, v1, v9, -v2
	v_mul_f32_e32 v1, v4, v12
	v_fma_f32 v162, v3, v11, -v1
	s_clause 0x1
	scratch_load_b128 v[1:4], off, off offset:216
	scratch_load_b128 v[9:12], off, off offset:232
	s_wait_loadcnt_dscnt 0x100
	v_mul_f32_e32 v163, v5, v2
	v_dual_mul_f32 v2, v6, v2 :: v_dual_mul_f32 v165, v7, v4
	s_delay_alu instid0(VALU_DEP_2) | instskip(NEXT) | instid1(VALU_DEP_2)
	v_fmac_f32_e32 v163, v6, v1
	v_fma_f32 v164, v5, v1, -v2
	v_mul_f32_e32 v1, v8, v4
	s_delay_alu instid0(VALU_DEP_4) | instskip(NEXT) | instid1(VALU_DEP_2)
	v_fmac_f32_e32 v165, v8, v3
	v_fma_f32 v166, v7, v3, -v1
	ds_load_2addr_b64 v[1:4], v21 offset0:85 offset1:86
	ds_load_2addr_b64 v[5:8], v21 offset0:87 offset1:88
	s_wait_loadcnt_dscnt 0x1
	v_mul_f32_e32 v167, v1, v10
	v_mul_f32_e32 v169, v3, v12
	s_delay_alu instid0(VALU_DEP_2) | instskip(NEXT) | instid1(VALU_DEP_2)
	v_fmac_f32_e32 v167, v2, v9
	v_dual_mul_f32 v2, v2, v10 :: v_dual_fmac_f32 v169, v4, v11
	s_delay_alu instid0(VALU_DEP_1) | instskip(SKIP_1) | instid1(VALU_DEP_1)
	v_fma_f32 v168, v1, v9, -v2
	v_mul_f32_e32 v1, v4, v12
	;; [unrolled: 25-line block ×5, first 2 shown]
	v_fma_f32 v194, v3, v11, -v1
	s_clause 0x1
	scratch_load_b128 v[1:4], off, off offset:344
	scratch_load_b128 v[9:12], off, off offset:360
	s_wait_loadcnt_dscnt 0x100
	v_mul_f32_e32 v195, v5, v2
	v_mul_f32_e32 v2, v6, v2
	s_delay_alu instid0(VALU_DEP_2) | instskip(NEXT) | instid1(VALU_DEP_2)
	v_fmac_f32_e32 v195, v6, v1
	v_fma_f32 v196, v5, v1, -v2
	v_dual_add_f32 v2, 0, v23 :: v_dual_mul_f32 v1, v8, v4
	s_delay_alu instid0(VALU_DEP_1) | instskip(NEXT) | instid1(VALU_DEP_2)
	v_add_f32_e32 v2, v2, v24
	v_fma_f32 v198, v7, v3, -v1
	s_delay_alu instid0(VALU_DEP_2) | instskip(NEXT) | instid1(VALU_DEP_1)
	v_dual_add_f32 v1, 0, v22 :: v_dual_add_f32 v2, v2, v139
	v_dual_add_f32 v1, v1, v138 :: v_dual_add_f32 v2, v2, v140
	s_delay_alu instid0(VALU_DEP_1) | instskip(NEXT) | instid1(VALU_DEP_1)
	v_add_f32_e32 v2, v2, v141
	v_add_f32_e32 v2, v2, v150
	s_delay_alu instid0(VALU_DEP_1) | instskip(NEXT) | instid1(VALU_DEP_1)
	v_add_f32_e32 v2, v2, v146
	v_dual_add_f32 v1, v1, v142 :: v_dual_add_f32 v2, v2, v147
	s_delay_alu instid0(VALU_DEP_1) | instskip(NEXT) | instid1(VALU_DEP_1)
	v_add_f32_e32 v1, v1, v143
	v_dual_add_f32 v2, v2, v15 :: v_dual_add_f32 v1, v1, v144
	s_delay_alu instid0(VALU_DEP_1) | instskip(NEXT) | instid1(VALU_DEP_1)
	v_dual_add_f32 v2, v2, v18 :: v_dual_add_f32 v1, v1, v145
	v_dual_add_f32 v2, v2, v19 :: v_dual_add_f32 v1, v1, v13
	s_delay_alu instid0(VALU_DEP_1) | instskip(NEXT) | instid1(VALU_DEP_1)
	v_dual_add_f32 v2, v2, v20 :: v_dual_add_f32 v1, v1, v14
	v_dual_add_f32 v2, v2, v151 :: v_dual_add_f32 v1, v1, v16
	s_delay_alu instid0(VALU_DEP_1) | instskip(NEXT) | instid1(VALU_DEP_1)
	v_dual_add_f32 v2, v2, v152 :: v_dual_add_f32 v1, v1, v17
	v_dual_add_f32 v2, v2, v155 :: v_dual_add_f32 v1, v1, v148
	s_delay_alu instid0(VALU_DEP_1) | instskip(NEXT) | instid1(VALU_DEP_1)
	v_add_f32_e32 v2, v2, v157
	v_dual_add_f32 v1, v1, v149 :: v_dual_add_f32 v2, v2, v159
	s_delay_alu instid0(VALU_DEP_1) | instskip(NEXT) | instid1(VALU_DEP_1)
	v_add_f32_e32 v1, v1, v153
	v_dual_add_f32 v2, v2, v161 :: v_dual_add_f32 v1, v1, v154
	s_delay_alu instid0(VALU_DEP_1) | instskip(NEXT) | instid1(VALU_DEP_1)
	v_dual_add_f32 v2, v2, v163 :: v_dual_add_f32 v1, v1, v156
	v_dual_add_f32 v2, v2, v165 :: v_dual_add_f32 v1, v1, v158
	s_delay_alu instid0(VALU_DEP_1) | instskip(NEXT) | instid1(VALU_DEP_1)
	v_add_f32_e32 v1, v1, v160
	v_add_f32_e32 v1, v1, v162
	s_delay_alu instid0(VALU_DEP_1) | instskip(NEXT) | instid1(VALU_DEP_1)
	v_add_f32_e32 v1, v1, v164
	v_add_f32_e32 v1, v1, v166
	;; [unrolled: 3-line block ×3, first 2 shown]
	s_delay_alu instid0(VALU_DEP_1) | instskip(SKIP_1) | instid1(VALU_DEP_2)
	v_add_f32_e32 v6, v1, v172
	v_dual_add_f32 v2, v2, v167 :: v_dual_mul_f32 v197, v7, v4
	v_add_f32_e32 v14, v6, v174
	s_delay_alu instid0(VALU_DEP_2) | instskip(NEXT) | instid1(VALU_DEP_3)
	v_add_f32_e32 v5, v2, v169
	v_fmac_f32_e32 v197, v8, v3
	ds_load_2addr_b64 v[1:4], v21 offset0:101 offset1:102
	v_dual_add_f32 v14, v14, v176 :: v_dual_add_f32 v13, v5, v171
	scratch_load_b128 v[5:8], off, off offset:376
	v_add_f32_e32 v17, v14, v178
	v_add_f32_e32 v13, v13, v173
	s_delay_alu instid0(VALU_DEP_2) | instskip(NEXT) | instid1(VALU_DEP_2)
	v_add_f32_e32 v17, v17, v180
	v_add_f32_e32 v13, v13, v175
	s_delay_alu instid0(VALU_DEP_2) | instskip(NEXT) | instid1(VALU_DEP_2)
	v_add_f32_e32 v17, v17, v182
	v_add_f32_e32 v18, v13, v177
	ds_load_2addr_b64 v[13:16], v21 offset0:103 offset1:104
	s_wait_loadcnt_dscnt 0x101
	v_mul_f32_e32 v138, v1, v10
	v_dual_mul_f32 v10, v2, v10 :: v_dual_mul_f32 v139, v3, v12
	v_mul_f32_e32 v12, v4, v12
	s_delay_alu instid0(VALU_DEP_3) | instskip(NEXT) | instid1(VALU_DEP_3)
	v_dual_add_f32 v17, v17, v184 :: v_dual_fmac_f32 v138, v2, v9
	v_fma_f32 v140, v1, v9, -v10
	s_delay_alu instid0(VALU_DEP_4) | instskip(NEXT) | instid1(VALU_DEP_4)
	v_fmac_f32_e32 v139, v4, v11
	v_fma_f32 v141, v3, v11, -v12
	s_clause 0x1
	scratch_load_b128 v[1:4], off, off offset:392
	scratch_load_b128 v[9:12], off, off offset:408
	v_add_f32_e32 v23, v17, v186
	s_delay_alu instid0(VALU_DEP_1) | instskip(NEXT) | instid1(VALU_DEP_1)
	v_add_f32_e32 v23, v23, v188
	v_add_f32_e32 v23, v23, v190
	s_wait_loadcnt_dscnt 0x200
	v_mul_f32_e32 v142, v13, v6
	v_dual_add_f32 v18, v18, v179 :: v_dual_mul_f32 v143, v15, v8
	v_mul_f32_e32 v8, v16, v8
	v_mul_f32_e32 v6, v14, v6
	s_delay_alu instid0(VALU_DEP_4) | instskip(NEXT) | instid1(VALU_DEP_4)
	v_fmac_f32_e32 v142, v14, v5
	v_dual_add_f32 v18, v18, v181 :: v_dual_fmac_f32 v143, v16, v7
	s_delay_alu instid0(VALU_DEP_4) | instskip(NEXT) | instid1(VALU_DEP_4)
	v_fma_f32 v145, v15, v7, -v8
	v_fma_f32 v144, v13, v5, -v6
	ds_load_2addr_b64 v[5:8], v21 offset0:105 offset1:106
	v_add_f32_e32 v22, v18, v183
	scratch_load_b128 v[17:20], off, off offset:424
	v_add_f32_e32 v22, v22, v185
	s_delay_alu instid0(VALU_DEP_1) | instskip(NEXT) | instid1(VALU_DEP_1)
	v_add_f32_e32 v22, v22, v187
	v_dual_add_f32 v13, v22, v189 :: v_dual_add_f32 v22, v23, v192
	s_delay_alu instid0(VALU_DEP_1)
	v_dual_add_f32 v23, v13, v191 :: v_dual_add_f32 v146, v22, v194
	ds_load_2addr_b64 v[13:16], v21 offset0:107 offset1:108
	s_wait_loadcnt_dscnt 0x201
	v_mul_f32_e32 v148, v5, v2
	v_dual_mul_f32 v2, v6, v2 :: v_dual_add_f32 v147, v23, v193
	v_add_f32_e32 v146, v146, v196
	ds_load_2addr_b64 v[21:24], v21 offset0:109 offset1:110
	v_fmac_f32_e32 v148, v6, v1
	v_fma_f32 v2, v5, v1, -v2
	v_dual_add_f32 v147, v147, v195 :: v_dual_add_f32 v146, v146, v198
	s_delay_alu instid0(VALU_DEP_1) | instskip(SKIP_2) | instid1(VALU_DEP_3)
	v_dual_add_f32 v147, v147, v197 :: v_dual_add_f32 v140, v146, v140
	v_mul_f32_e32 v146, v7, v4
	v_mul_f32_e32 v4, v8, v4
	v_add_f32_e32 v138, v147, v138
	s_wait_loadcnt_dscnt 0x101
	v_dual_add_f32 v140, v140, v141 :: v_dual_mul_f32 v147, v13, v10
	v_mul_f32_e32 v6, v14, v10
	v_fmac_f32_e32 v146, v8, v3
	v_add_f32_e32 v138, v138, v139
	s_delay_alu instid0(VALU_DEP_4) | instskip(SKIP_3) | instid1(VALU_DEP_4)
	v_add_f32_e32 v140, v140, v144
	v_fma_f32 v3, v7, v3, -v4
	v_mul_f32_e32 v149, v15, v12
	v_mul_f32_e32 v4, v16, v12
	v_dual_add_f32 v138, v138, v142 :: v_dual_add_f32 v1, v140, v145
	v_fmac_f32_e32 v147, v14, v9
	s_delay_alu instid0(VALU_DEP_4) | instskip(NEXT) | instid1(VALU_DEP_4)
	v_fmac_f32_e32 v149, v16, v11
	v_fma_f32 v4, v15, v11, -v4
	s_delay_alu instid0(VALU_DEP_4) | instskip(SKIP_1) | instid1(VALU_DEP_2)
	v_add_f32_e32 v5, v138, v143
	v_add_f32_e32 v1, v1, v2
	;; [unrolled: 1-line block ×3, first 2 shown]
	v_fma_f32 v5, v13, v9, -v6
	s_delay_alu instid0(VALU_DEP_2) | instskip(NEXT) | instid1(VALU_DEP_1)
	v_dual_add_f32 v1, v1, v3 :: v_dual_add_f32 v2, v2, v146
	v_dual_add_f32 v1, v1, v5 :: v_dual_add_f32 v2, v2, v147
	s_delay_alu instid0(VALU_DEP_1)
	v_dual_add_f32 v1, v1, v4 :: v_dual_add_f32 v2, v2, v149
	s_wait_loadcnt_dscnt 0x0
	v_mul_f32_e32 v139, v21, v18
	v_mul_f32_e32 v3, v22, v18
	;; [unrolled: 1-line block ×4, first 2 shown]
	s_delay_alu instid0(VALU_DEP_4) | instskip(NEXT) | instid1(VALU_DEP_4)
	v_fmac_f32_e32 v139, v22, v17
	v_fma_f32 v3, v21, v17, -v3
	s_delay_alu instid0(VALU_DEP_4) | instskip(NEXT) | instid1(VALU_DEP_4)
	v_fmac_f32_e32 v141, v24, v19
	v_fma_f32 v4, v23, v19, -v5
	s_delay_alu instid0(VALU_DEP_4) | instskip(NEXT) | instid1(VALU_DEP_1)
	v_add_f32_e32 v2, v2, v139
	v_dual_add_f32 v1, v1, v3 :: v_dual_add_f32 v2, v2, v141
	s_delay_alu instid0(VALU_DEP_1) | instskip(NEXT) | instid1(VALU_DEP_1)
	v_dual_add_f32 v1, v1, v4 :: v_dual_sub_f32 v2, v136, v2
	v_sub_f32_e32 v1, v135, v1
	scratch_store_b64 off, v[1:2], off offset:64
	v_cmpx_lt_u32_e32 7, v0
	s_cbranch_execz .LBB54_329
; %bb.328:
	scratch_load_b64 v[1:2], off, off offset:56
	v_mov_b32_e32 v3, 0
	s_delay_alu instid0(VALU_DEP_1)
	v_mov_b32_e32 v4, v3
	scratch_store_b64 off, v[3:4], off offset:56
	s_wait_loadcnt 0x0
	ds_store_b64 v137, v[1:2]
.LBB54_329:
	s_wait_alu 0xfffe
	s_or_b32 exec_lo, exec_lo, s0
	s_wait_storecnt_dscnt 0x0
	s_barrier_signal -1
	s_barrier_wait -1
	global_inv scope:SCOPE_SE
	s_clause 0x4
	scratch_load_b128 v[5:8], off, off offset:64
	scratch_load_b128 v[1:4], off, off offset:80
	;; [unrolled: 1-line block ×5, first 2 shown]
	v_mov_b32_e32 v21, 0
	ds_load_b128 v[138:141], v21 offset:512
	ds_load_b128 v[142:145], v21 offset:528
	;; [unrolled: 1-line block ×3, first 2 shown]
	scratch_load_b64 v[22:23], off, off offset:56
	s_mov_b32 s0, exec_lo
	s_wait_loadcnt_dscnt 0x502
	v_mul_f32_e32 v24, v139, v6
	v_dual_mul_f32 v135, v138, v6 :: v_dual_mul_f32 v136, v140, v8
	v_mul_f32_e32 v6, v141, v8
	s_delay_alu instid0(VALU_DEP_3) | instskip(NEXT) | instid1(VALU_DEP_3)
	v_fma_f32 v24, v138, v5, -v24
	v_dual_fmac_f32 v135, v139, v5 :: v_dual_fmac_f32 v136, v141, v7
	s_wait_loadcnt_dscnt 0x401
	v_mul_f32_e32 v139, v142, v2
	v_fma_f32 v138, v140, v7, -v6
	ds_load_b128 v[5:8], v21 offset:560
	s_wait_loadcnt_dscnt 0x301
	v_dual_mul_f32 v140, v144, v4 :: v_dual_mul_f32 v141, v146, v10
	v_dual_mul_f32 v4, v145, v4 :: v_dual_fmac_f32 v139, v143, v1
	v_mul_f32_e32 v10, v147, v10
	s_delay_alu instid0(VALU_DEP_3)
	v_dual_mul_f32 v150, v148, v12 :: v_dual_fmac_f32 v141, v147, v9
	v_mul_f32_e32 v12, v149, v12
	v_mul_f32_e32 v2, v143, v2
	v_fmac_f32_e32 v140, v145, v3
	v_fma_f32 v143, v144, v3, -v4
	v_fma_f32 v144, v146, v9, -v10
	v_fmac_f32_e32 v150, v149, v11
	v_fma_f32 v145, v148, v11, -v12
	ds_load_b128 v[9:12], v21 offset:576
	s_wait_loadcnt_dscnt 0x201
	v_dual_mul_f32 v147, v7, v16 :: v_dual_mul_f32 v146, v5, v14
	v_mul_f32_e32 v14, v6, v14
	v_mul_f32_e32 v16, v8, v16
	s_delay_alu instid0(VALU_DEP_3)
	v_fmac_f32_e32 v147, v8, v15
	v_fma_f32 v142, v142, v1, -v2
	scratch_load_b128 v[1:4], off, off offset:144
	v_fmac_f32_e32 v146, v6, v13
	v_fma_f32 v13, v5, v13, -v14
	v_fma_f32 v14, v7, v15, -v16
	ds_load_b128 v[5:8], v21 offset:592
	s_wait_loadcnt_dscnt 0x201
	v_mul_f32_e32 v15, v9, v18
	v_mul_f32_e32 v16, v10, v18
	;; [unrolled: 1-line block ×3, first 2 shown]
	s_delay_alu instid0(VALU_DEP_3) | instskip(NEXT) | instid1(VALU_DEP_3)
	v_dual_mul_f32 v20, v12, v20 :: v_dual_fmac_f32 v15, v10, v17
	v_fma_f32 v16, v9, v17, -v16
	s_delay_alu instid0(VALU_DEP_3) | instskip(NEXT) | instid1(VALU_DEP_3)
	v_fmac_f32_e32 v18, v12, v19
	v_fma_f32 v17, v11, v19, -v20
	scratch_load_b128 v[9:12], off, off offset:160
	s_wait_loadcnt_dscnt 0x100
	v_mul_f32_e32 v19, v5, v2
	v_mul_f32_e32 v2, v6, v2
	;; [unrolled: 1-line block ×3, first 2 shown]
	s_delay_alu instid0(VALU_DEP_3) | instskip(NEXT) | instid1(VALU_DEP_3)
	v_dual_mul_f32 v4, v8, v4 :: v_dual_fmac_f32 v19, v6, v1
	v_fma_f32 v148, v5, v1, -v2
	s_delay_alu instid0(VALU_DEP_3) | instskip(NEXT) | instid1(VALU_DEP_3)
	v_fmac_f32_e32 v20, v8, v3
	v_fma_f32 v149, v7, v3, -v4
	ds_load_b128 v[1:4], v21 offset:608
	ds_load_b128 v[5:8], v21 offset:624
	s_wait_loadcnt_dscnt 0x1
	v_mul_f32_e32 v151, v1, v10
	v_mul_f32_e32 v10, v2, v10
	s_delay_alu instid0(VALU_DEP_2) | instskip(NEXT) | instid1(VALU_DEP_2)
	v_dual_mul_f32 v152, v3, v12 :: v_dual_fmac_f32 v151, v2, v9
	v_fma_f32 v153, v1, v9, -v10
	v_mul_f32_e32 v1, v4, v12
	s_delay_alu instid0(VALU_DEP_3) | instskip(NEXT) | instid1(VALU_DEP_2)
	v_fmac_f32_e32 v152, v4, v11
	v_fma_f32 v154, v3, v11, -v1
	s_clause 0x1
	scratch_load_b128 v[1:4], off, off offset:176
	scratch_load_b128 v[9:12], off, off offset:192
	s_wait_loadcnt_dscnt 0x100
	v_mul_f32_e32 v155, v5, v2
	v_dual_mul_f32 v2, v6, v2 :: v_dual_mul_f32 v157, v7, v4
	s_delay_alu instid0(VALU_DEP_2) | instskip(NEXT) | instid1(VALU_DEP_2)
	v_fmac_f32_e32 v155, v6, v1
	v_fma_f32 v156, v5, v1, -v2
	v_mul_f32_e32 v1, v8, v4
	s_delay_alu instid0(VALU_DEP_4) | instskip(NEXT) | instid1(VALU_DEP_2)
	v_fmac_f32_e32 v157, v8, v3
	v_fma_f32 v158, v7, v3, -v1
	ds_load_b128 v[1:4], v21 offset:640
	ds_load_b128 v[5:8], v21 offset:656
	s_wait_loadcnt_dscnt 0x1
	v_mul_f32_e32 v159, v1, v10
	v_mul_f32_e32 v161, v3, v12
	s_delay_alu instid0(VALU_DEP_2) | instskip(NEXT) | instid1(VALU_DEP_2)
	v_fmac_f32_e32 v159, v2, v9
	v_dual_mul_f32 v2, v2, v10 :: v_dual_fmac_f32 v161, v4, v11
	s_delay_alu instid0(VALU_DEP_1) | instskip(SKIP_1) | instid1(VALU_DEP_1)
	v_fma_f32 v160, v1, v9, -v2
	v_mul_f32_e32 v1, v4, v12
	v_fma_f32 v162, v3, v11, -v1
	s_clause 0x1
	scratch_load_b128 v[1:4], off, off offset:208
	scratch_load_b128 v[9:12], off, off offset:224
	s_wait_loadcnt_dscnt 0x100
	v_mul_f32_e32 v163, v5, v2
	v_dual_mul_f32 v165, v7, v4 :: v_dual_mul_f32 v2, v6, v2
	s_delay_alu instid0(VALU_DEP_2) | instskip(NEXT) | instid1(VALU_DEP_2)
	v_fmac_f32_e32 v163, v6, v1
	v_fmac_f32_e32 v165, v8, v3
	s_delay_alu instid0(VALU_DEP_3) | instskip(SKIP_1) | instid1(VALU_DEP_1)
	v_fma_f32 v164, v5, v1, -v2
	v_mul_f32_e32 v1, v8, v4
	v_fma_f32 v166, v7, v3, -v1
	ds_load_b128 v[1:4], v21 offset:672
	ds_load_b128 v[5:8], v21 offset:688
	s_wait_loadcnt_dscnt 0x1
	v_mul_f32_e32 v167, v1, v10
	v_mul_f32_e32 v169, v3, v12
	s_delay_alu instid0(VALU_DEP_2) | instskip(NEXT) | instid1(VALU_DEP_2)
	v_fmac_f32_e32 v167, v2, v9
	v_dual_mul_f32 v2, v2, v10 :: v_dual_fmac_f32 v169, v4, v11
	s_delay_alu instid0(VALU_DEP_1) | instskip(SKIP_1) | instid1(VALU_DEP_1)
	v_fma_f32 v168, v1, v9, -v2
	v_mul_f32_e32 v1, v4, v12
	v_fma_f32 v170, v3, v11, -v1
	s_clause 0x1
	scratch_load_b128 v[1:4], off, off offset:240
	scratch_load_b128 v[9:12], off, off offset:256
	s_wait_loadcnt_dscnt 0x100
	v_mul_f32_e32 v171, v5, v2
	v_dual_mul_f32 v2, v6, v2 :: v_dual_mul_f32 v173, v7, v4
	s_delay_alu instid0(VALU_DEP_2) | instskip(NEXT) | instid1(VALU_DEP_2)
	v_fmac_f32_e32 v171, v6, v1
	v_fma_f32 v172, v5, v1, -v2
	v_mul_f32_e32 v1, v8, v4
	s_delay_alu instid0(VALU_DEP_4) | instskip(NEXT) | instid1(VALU_DEP_2)
	v_fmac_f32_e32 v173, v8, v3
	v_fma_f32 v174, v7, v3, -v1
	ds_load_b128 v[1:4], v21 offset:704
	ds_load_b128 v[5:8], v21 offset:720
	s_wait_loadcnt_dscnt 0x1
	v_mul_f32_e32 v175, v1, v10
	v_mul_f32_e32 v177, v3, v12
	s_delay_alu instid0(VALU_DEP_2) | instskip(NEXT) | instid1(VALU_DEP_2)
	v_fmac_f32_e32 v175, v2, v9
	v_dual_mul_f32 v2, v2, v10 :: v_dual_fmac_f32 v177, v4, v11
	s_delay_alu instid0(VALU_DEP_1) | instskip(SKIP_1) | instid1(VALU_DEP_1)
	v_fma_f32 v176, v1, v9, -v2
	v_mul_f32_e32 v1, v4, v12
	v_fma_f32 v178, v3, v11, -v1
	s_clause 0x1
	scratch_load_b128 v[1:4], off, off offset:272
	scratch_load_b128 v[9:12], off, off offset:288
	s_wait_loadcnt_dscnt 0x100
	v_mul_f32_e32 v179, v5, v2
	v_dual_mul_f32 v2, v6, v2 :: v_dual_mul_f32 v181, v7, v4
	s_delay_alu instid0(VALU_DEP_2) | instskip(NEXT) | instid1(VALU_DEP_2)
	v_fmac_f32_e32 v179, v6, v1
	v_fma_f32 v180, v5, v1, -v2
	v_mul_f32_e32 v1, v8, v4
	s_delay_alu instid0(VALU_DEP_4) | instskip(NEXT) | instid1(VALU_DEP_2)
	v_fmac_f32_e32 v181, v8, v3
	;; [unrolled: 25-line block ×3, first 2 shown]
	v_fma_f32 v190, v7, v3, -v1
	ds_load_b128 v[1:4], v21 offset:768
	ds_load_b128 v[5:8], v21 offset:784
	s_wait_loadcnt_dscnt 0x1
	v_mul_f32_e32 v191, v1, v10
	v_mul_f32_e32 v193, v3, v12
	s_delay_alu instid0(VALU_DEP_2) | instskip(NEXT) | instid1(VALU_DEP_2)
	v_fmac_f32_e32 v191, v2, v9
	v_dual_mul_f32 v2, v2, v10 :: v_dual_fmac_f32 v193, v4, v11
	s_delay_alu instid0(VALU_DEP_1) | instskip(SKIP_1) | instid1(VALU_DEP_1)
	v_fma_f32 v192, v1, v9, -v2
	v_mul_f32_e32 v1, v4, v12
	v_fma_f32 v194, v3, v11, -v1
	s_clause 0x1
	scratch_load_b128 v[1:4], off, off offset:336
	scratch_load_b128 v[9:12], off, off offset:352
	s_wait_loadcnt_dscnt 0x100
	v_mul_f32_e32 v195, v5, v2
	v_mul_f32_e32 v2, v6, v2
	s_delay_alu instid0(VALU_DEP_2) | instskip(NEXT) | instid1(VALU_DEP_2)
	v_fmac_f32_e32 v195, v6, v1
	v_fma_f32 v196, v5, v1, -v2
	v_dual_add_f32 v2, 0, v135 :: v_dual_mul_f32 v1, v8, v4
	s_delay_alu instid0(VALU_DEP_1) | instskip(NEXT) | instid1(VALU_DEP_2)
	v_add_f32_e32 v2, v2, v136
	v_fma_f32 v198, v7, v3, -v1
	s_delay_alu instid0(VALU_DEP_2) | instskip(NEXT) | instid1(VALU_DEP_1)
	v_dual_add_f32 v1, 0, v24 :: v_dual_add_f32 v2, v2, v139
	v_dual_add_f32 v1, v1, v138 :: v_dual_add_f32 v2, v2, v140
	s_delay_alu instid0(VALU_DEP_1) | instskip(NEXT) | instid1(VALU_DEP_1)
	v_add_f32_e32 v2, v2, v141
	v_add_f32_e32 v2, v2, v150
	s_delay_alu instid0(VALU_DEP_1) | instskip(NEXT) | instid1(VALU_DEP_1)
	v_add_f32_e32 v2, v2, v146
	v_dual_add_f32 v1, v1, v142 :: v_dual_add_f32 v2, v2, v147
	s_delay_alu instid0(VALU_DEP_1) | instskip(NEXT) | instid1(VALU_DEP_1)
	v_add_f32_e32 v2, v2, v15
	v_add_f32_e32 v2, v2, v18
	s_delay_alu instid0(VALU_DEP_1) | instskip(NEXT) | instid1(VALU_DEP_1)
	v_add_f32_e32 v2, v2, v19
	v_dual_add_f32 v2, v2, v20 :: v_dual_add_f32 v1, v1, v143
	s_delay_alu instid0(VALU_DEP_1) | instskip(NEXT) | instid1(VALU_DEP_1)
	v_dual_add_f32 v2, v2, v151 :: v_dual_add_f32 v1, v1, v144
	v_dual_add_f32 v2, v2, v152 :: v_dual_add_f32 v1, v1, v145
	s_delay_alu instid0(VALU_DEP_1) | instskip(NEXT) | instid1(VALU_DEP_1)
	v_dual_add_f32 v2, v2, v155 :: v_dual_add_f32 v1, v1, v13
	;; [unrolled: 3-line block ×3, first 2 shown]
	v_add_f32_e32 v2, v2, v161
	s_delay_alu instid0(VALU_DEP_1) | instskip(NEXT) | instid1(VALU_DEP_1)
	v_dual_add_f32 v1, v1, v17 :: v_dual_add_f32 v2, v2, v163
	v_dual_add_f32 v1, v1, v148 :: v_dual_add_f32 v2, v2, v165
	s_delay_alu instid0(VALU_DEP_1) | instskip(NEXT) | instid1(VALU_DEP_1)
	v_add_f32_e32 v1, v1, v149
	v_add_f32_e32 v1, v1, v153
	s_delay_alu instid0(VALU_DEP_1) | instskip(NEXT) | instid1(VALU_DEP_1)
	v_add_f32_e32 v1, v1, v154
	v_add_f32_e32 v1, v1, v156
	;; [unrolled: 3-line block ×6, first 2 shown]
	v_dual_add_f32 v2, v2, v167 :: v_dual_mul_f32 v197, v7, v4
	s_delay_alu instid0(VALU_DEP_2) | instskip(NEXT) | instid1(VALU_DEP_2)
	v_add_f32_e32 v14, v6, v174
	v_add_f32_e32 v5, v2, v169
	s_delay_alu instid0(VALU_DEP_1) | instskip(NEXT) | instid1(VALU_DEP_1)
	v_dual_add_f32 v14, v14, v176 :: v_dual_add_f32 v13, v5, v171
	v_add_f32_e32 v17, v14, v178
	s_delay_alu instid0(VALU_DEP_2) | instskip(NEXT) | instid1(VALU_DEP_2)
	v_add_f32_e32 v13, v13, v173
	v_add_f32_e32 v17, v17, v180
	s_delay_alu instid0(VALU_DEP_2)
	v_add_f32_e32 v13, v13, v175
	v_fmac_f32_e32 v197, v8, v3
	scratch_load_b128 v[1:4], off, off offset:368
	ds_load_b128 v[5:8], v21 offset:800
	v_add_f32_e32 v17, v17, v182
	v_add_f32_e32 v18, v13, v177
	ds_load_b128 v[13:16], v21 offset:816
	v_add_f32_e32 v17, v17, v184
	s_delay_alu instid0(VALU_DEP_1)
	v_add_f32_e32 v136, v17, v186
	s_wait_loadcnt_dscnt 0x101
	v_mul_f32_e32 v24, v5, v10
	v_mul_f32_e32 v10, v6, v10
	;; [unrolled: 1-line block ×4, first 2 shown]
	v_add_f32_e32 v18, v18, v179
	v_fmac_f32_e32 v24, v6, v9
	v_fma_f32 v145, v5, v9, -v10
	v_fmac_f32_e32 v144, v8, v11
	v_fma_f32 v146, v7, v11, -v12
	s_clause 0x1
	scratch_load_b128 v[5:8], off, off offset:384
	scratch_load_b128 v[9:12], off, off offset:400
	v_add_f32_e32 v18, v18, v181
	s_delay_alu instid0(VALU_DEP_1) | instskip(SKIP_4) | instid1(VALU_DEP_1)
	v_add_f32_e32 v135, v18, v183
	scratch_load_b128 v[17:20], off, off offset:416
	v_dual_add_f32 v139, v136, v188 :: v_dual_add_f32 v138, v135, v185
	scratch_load_b64 v[135:136], off, off offset:432
	v_dual_add_f32 v139, v139, v190 :: v_dual_add_f32 v138, v138, v187
	v_dual_add_f32 v139, v139, v192 :: v_dual_add_f32 v138, v138, v189
	s_wait_loadcnt_dscnt 0x400
	v_mul_f32_e32 v147, v13, v2
	v_mul_f32_e32 v2, v14, v2
	;; [unrolled: 1-line block ×3, first 2 shown]
	s_delay_alu instid0(VALU_DEP_3) | instskip(NEXT) | instid1(VALU_DEP_3)
	v_dual_mul_f32 v4, v16, v4 :: v_dual_fmac_f32 v147, v14, v1
	v_fma_f32 v149, v13, v1, -v2
	v_dual_add_f32 v13, v138, v191 :: v_dual_add_f32 v14, v139, v194
	s_delay_alu instid0(VALU_DEP_4) | instskip(NEXT) | instid1(VALU_DEP_4)
	v_fmac_f32_e32 v148, v16, v3
	v_fma_f32 v150, v15, v3, -v4
	ds_load_b128 v[1:4], v21 offset:832
	v_add_f32_e32 v138, v13, v193
	v_add_f32_e32 v142, v14, v196
	ds_load_b128 v[13:16], v21 offset:848
	v_add_f32_e32 v143, v138, v195
	v_add_f32_e32 v151, v142, v198
	;; [unrolled: 3-line block ×3, first 2 shown]
	ds_load_b64 v[142:143], v21 offset:880
	v_dual_add_f32 v24, v152, v24 :: v_dual_add_f32 v145, v145, v146
	s_wait_loadcnt_dscnt 0x303
	s_delay_alu instid0(VALU_DEP_1) | instskip(NEXT) | instid1(VALU_DEP_2)
	v_dual_mul_f32 v151, v1, v6 :: v_dual_add_f32 v24, v24, v144
	v_dual_mul_f32 v6, v2, v6 :: v_dual_add_f32 v145, v145, v149
	v_mul_f32_e32 v144, v3, v8
	v_mul_f32_e32 v8, v4, v8
	s_delay_alu instid0(VALU_DEP_4) | instskip(NEXT) | instid1(VALU_DEP_4)
	v_add_f32_e32 v24, v24, v147
	v_fma_f32 v1, v1, v5, -v6
	v_add_f32_e32 v145, v145, v150
	s_wait_loadcnt_dscnt 0x202
	v_dual_fmac_f32 v151, v2, v5 :: v_dual_mul_f32 v146, v13, v10
	v_add_f32_e32 v24, v24, v148
	v_fmac_f32_e32 v144, v4, v7
	v_fma_f32 v2, v3, v7, -v8
	v_mul_f32_e32 v3, v14, v10
	s_delay_alu instid0(VALU_DEP_4) | instskip(SKIP_2) | instid1(VALU_DEP_4)
	v_dual_add_f32 v1, v145, v1 :: v_dual_add_f32 v4, v24, v151
	v_mul_f32_e32 v147, v15, v12
	v_dual_mul_f32 v5, v16, v12 :: v_dual_fmac_f32 v146, v14, v9
	v_fma_f32 v3, v13, v9, -v3
	s_delay_alu instid0(VALU_DEP_4)
	v_dual_add_f32 v1, v1, v2 :: v_dual_add_f32 v2, v4, v144
	s_wait_loadcnt_dscnt 0x101
	v_mul_f32_e32 v149, v138, v18
	v_dual_mul_f32 v4, v139, v18 :: v_dual_fmac_f32 v147, v16, v11
	v_fma_f32 v5, v15, v11, -v5
	v_dual_add_f32 v1, v1, v3 :: v_dual_add_f32 v2, v2, v146
	v_mul_f32_e32 v150, v140, v20
	v_mul_f32_e32 v3, v141, v20
	v_fmac_f32_e32 v149, v139, v17
	v_fma_f32 v4, v138, v17, -v4
	v_dual_add_f32 v1, v1, v5 :: v_dual_add_f32 v2, v2, v147
	s_wait_loadcnt_dscnt 0x0
	v_mul_f32_e32 v148, v142, v136
	v_dual_mul_f32 v5, v143, v136 :: v_dual_fmac_f32 v150, v141, v19
	v_fma_f32 v3, v140, v19, -v3
	v_dual_add_f32 v1, v1, v4 :: v_dual_add_f32 v2, v2, v149
	s_delay_alu instid0(VALU_DEP_4) | instskip(NEXT) | instid1(VALU_DEP_4)
	v_fmac_f32_e32 v148, v143, v135
	v_fma_f32 v4, v142, v135, -v5
	s_delay_alu instid0(VALU_DEP_3) | instskip(NEXT) | instid1(VALU_DEP_1)
	v_dual_add_f32 v1, v1, v3 :: v_dual_add_f32 v2, v2, v150
	v_add_f32_e32 v1, v1, v4
	s_delay_alu instid0(VALU_DEP_2) | instskip(NEXT) | instid1(VALU_DEP_1)
	v_add_f32_e32 v2, v2, v148
	v_dual_sub_f32 v1, v22, v1 :: v_dual_sub_f32 v2, v23, v2
	scratch_store_b64 off, v[1:2], off offset:56
	v_cmpx_lt_u32_e32 6, v0
	s_cbranch_execz .LBB54_331
; %bb.330:
	scratch_load_b64 v[1:2], off, off offset:48
	v_mov_b32_e32 v22, v21
	scratch_store_b64 off, v[21:22], off offset:48
	s_wait_loadcnt 0x0
	ds_store_b64 v137, v[1:2]
.LBB54_331:
	s_wait_alu 0xfffe
	s_or_b32 exec_lo, exec_lo, s0
	s_wait_storecnt_dscnt 0x0
	s_barrier_signal -1
	s_barrier_wait -1
	global_inv scope:SCOPE_SE
	s_clause 0x4
	scratch_load_b128 v[5:8], off, off offset:56
	scratch_load_b128 v[1:4], off, off offset:72
	;; [unrolled: 1-line block ×5, first 2 shown]
	ds_load_2addr_b64 v[138:141], v21 offset0:63 offset1:64
	ds_load_2addr_b64 v[142:145], v21 offset0:65 offset1:66
	;; [unrolled: 1-line block ×3, first 2 shown]
	scratch_load_b64 v[135:136], off, off offset:48
	s_mov_b32 s0, exec_lo
	s_wait_loadcnt_dscnt 0x502
	v_mul_f32_e32 v22, v139, v6
	v_dual_mul_f32 v23, v138, v6 :: v_dual_mul_f32 v24, v140, v8
	v_mul_f32_e32 v6, v141, v8
	s_delay_alu instid0(VALU_DEP_3) | instskip(NEXT) | instid1(VALU_DEP_3)
	v_fma_f32 v22, v138, v5, -v22
	v_dual_fmac_f32 v23, v139, v5 :: v_dual_fmac_f32 v24, v141, v7
	s_wait_loadcnt_dscnt 0x401
	v_mul_f32_e32 v139, v142, v2
	v_fma_f32 v138, v140, v7, -v6
	ds_load_2addr_b64 v[5:8], v21 offset0:69 offset1:70
	s_wait_loadcnt_dscnt 0x301
	v_dual_mul_f32 v140, v144, v4 :: v_dual_mul_f32 v141, v146, v10
	v_dual_mul_f32 v4, v145, v4 :: v_dual_fmac_f32 v139, v143, v1
	v_mul_f32_e32 v10, v147, v10
	s_delay_alu instid0(VALU_DEP_3)
	v_dual_mul_f32 v150, v148, v12 :: v_dual_fmac_f32 v141, v147, v9
	v_mul_f32_e32 v12, v149, v12
	v_mul_f32_e32 v2, v143, v2
	v_fmac_f32_e32 v140, v145, v3
	v_fma_f32 v143, v144, v3, -v4
	v_fma_f32 v144, v146, v9, -v10
	v_fmac_f32_e32 v150, v149, v11
	v_fma_f32 v145, v148, v11, -v12
	ds_load_2addr_b64 v[9:12], v21 offset0:71 offset1:72
	s_wait_loadcnt_dscnt 0x201
	v_mul_f32_e32 v146, v5, v14
	v_dual_mul_f32 v14, v6, v14 :: v_dual_mul_f32 v147, v7, v16
	v_mul_f32_e32 v16, v8, v16
	s_delay_alu instid0(VALU_DEP_3) | instskip(NEXT) | instid1(VALU_DEP_3)
	v_fmac_f32_e32 v146, v6, v13
	v_fma_f32 v13, v5, v13, -v14
	s_delay_alu instid0(VALU_DEP_4) | instskip(NEXT) | instid1(VALU_DEP_4)
	v_fmac_f32_e32 v147, v8, v15
	v_fma_f32 v14, v7, v15, -v16
	ds_load_2addr_b64 v[5:8], v21 offset0:73 offset1:74
	s_wait_loadcnt_dscnt 0x101
	v_mul_f32_e32 v15, v9, v18
	v_mul_f32_e32 v16, v10, v18
	;; [unrolled: 1-line block ×3, first 2 shown]
	s_delay_alu instid0(VALU_DEP_3)
	v_dual_mul_f32 v20, v12, v20 :: v_dual_fmac_f32 v15, v10, v17
	v_fma_f32 v142, v142, v1, -v2
	scratch_load_b128 v[1:4], off, off offset:136
	v_fma_f32 v16, v9, v17, -v16
	v_fmac_f32_e32 v18, v12, v19
	v_fma_f32 v17, v11, v19, -v20
	scratch_load_b128 v[9:12], off, off offset:152
	s_wait_loadcnt_dscnt 0x100
	v_mul_f32_e32 v19, v5, v2
	v_mul_f32_e32 v2, v6, v2
	;; [unrolled: 1-line block ×3, first 2 shown]
	s_delay_alu instid0(VALU_DEP_3) | instskip(NEXT) | instid1(VALU_DEP_3)
	v_dual_mul_f32 v4, v8, v4 :: v_dual_fmac_f32 v19, v6, v1
	v_fma_f32 v148, v5, v1, -v2
	s_delay_alu instid0(VALU_DEP_3) | instskip(NEXT) | instid1(VALU_DEP_3)
	v_fmac_f32_e32 v20, v8, v3
	v_fma_f32 v149, v7, v3, -v4
	ds_load_2addr_b64 v[1:4], v21 offset0:75 offset1:76
	ds_load_2addr_b64 v[5:8], v21 offset0:77 offset1:78
	s_wait_loadcnt_dscnt 0x1
	v_mul_f32_e32 v151, v1, v10
	v_mul_f32_e32 v10, v2, v10
	s_delay_alu instid0(VALU_DEP_2) | instskip(NEXT) | instid1(VALU_DEP_2)
	v_dual_mul_f32 v152, v3, v12 :: v_dual_fmac_f32 v151, v2, v9
	v_fma_f32 v153, v1, v9, -v10
	v_mul_f32_e32 v1, v4, v12
	s_delay_alu instid0(VALU_DEP_3) | instskip(NEXT) | instid1(VALU_DEP_2)
	v_fmac_f32_e32 v152, v4, v11
	v_fma_f32 v154, v3, v11, -v1
	s_clause 0x1
	scratch_load_b128 v[1:4], off, off offset:168
	scratch_load_b128 v[9:12], off, off offset:184
	s_wait_loadcnt_dscnt 0x100
	v_mul_f32_e32 v155, v5, v2
	v_dual_mul_f32 v2, v6, v2 :: v_dual_mul_f32 v157, v7, v4
	s_delay_alu instid0(VALU_DEP_2) | instskip(NEXT) | instid1(VALU_DEP_2)
	v_fmac_f32_e32 v155, v6, v1
	v_fma_f32 v156, v5, v1, -v2
	v_mul_f32_e32 v1, v8, v4
	s_delay_alu instid0(VALU_DEP_4) | instskip(NEXT) | instid1(VALU_DEP_2)
	v_fmac_f32_e32 v157, v8, v3
	v_fma_f32 v158, v7, v3, -v1
	ds_load_2addr_b64 v[1:4], v21 offset0:79 offset1:80
	ds_load_2addr_b64 v[5:8], v21 offset0:81 offset1:82
	s_wait_loadcnt_dscnt 0x1
	v_mul_f32_e32 v159, v1, v10
	v_mul_f32_e32 v161, v3, v12
	s_delay_alu instid0(VALU_DEP_2) | instskip(NEXT) | instid1(VALU_DEP_2)
	v_fmac_f32_e32 v159, v2, v9
	v_dual_mul_f32 v2, v2, v10 :: v_dual_fmac_f32 v161, v4, v11
	s_delay_alu instid0(VALU_DEP_1) | instskip(SKIP_1) | instid1(VALU_DEP_1)
	v_fma_f32 v160, v1, v9, -v2
	v_mul_f32_e32 v1, v4, v12
	v_fma_f32 v162, v3, v11, -v1
	s_clause 0x1
	scratch_load_b128 v[1:4], off, off offset:200
	scratch_load_b128 v[9:12], off, off offset:216
	s_wait_loadcnt_dscnt 0x100
	v_mul_f32_e32 v163, v5, v2
	v_dual_mul_f32 v2, v6, v2 :: v_dual_mul_f32 v165, v7, v4
	s_delay_alu instid0(VALU_DEP_2) | instskip(NEXT) | instid1(VALU_DEP_2)
	v_fmac_f32_e32 v163, v6, v1
	v_fma_f32 v164, v5, v1, -v2
	v_mul_f32_e32 v1, v8, v4
	s_delay_alu instid0(VALU_DEP_4) | instskip(NEXT) | instid1(VALU_DEP_2)
	v_fmac_f32_e32 v165, v8, v3
	v_fma_f32 v166, v7, v3, -v1
	ds_load_2addr_b64 v[1:4], v21 offset0:83 offset1:84
	ds_load_2addr_b64 v[5:8], v21 offset0:85 offset1:86
	s_wait_loadcnt_dscnt 0x1
	v_mul_f32_e32 v167, v1, v10
	v_mul_f32_e32 v169, v3, v12
	s_delay_alu instid0(VALU_DEP_2) | instskip(NEXT) | instid1(VALU_DEP_2)
	v_fmac_f32_e32 v167, v2, v9
	v_dual_mul_f32 v2, v2, v10 :: v_dual_fmac_f32 v169, v4, v11
	s_delay_alu instid0(VALU_DEP_1) | instskip(SKIP_1) | instid1(VALU_DEP_1)
	v_fma_f32 v168, v1, v9, -v2
	v_mul_f32_e32 v1, v4, v12
	;; [unrolled: 25-line block ×6, first 2 shown]
	v_fma_f32 v202, v3, v11, -v1
	s_clause 0x1
	scratch_load_b128 v[1:4], off, off offset:360
	scratch_load_b128 v[9:12], off, off offset:376
	s_wait_loadcnt_dscnt 0x100
	v_mul_f32_e32 v203, v5, v2
	v_dual_mul_f32 v2, v6, v2 :: v_dual_mul_f32 v205, v7, v4
	s_delay_alu instid0(VALU_DEP_2) | instskip(NEXT) | instid1(VALU_DEP_2)
	v_fmac_f32_e32 v203, v6, v1
	v_fma_f32 v204, v5, v1, -v2
	v_add_f32_e32 v2, 0, v23
	s_delay_alu instid0(VALU_DEP_1) | instskip(NEXT) | instid1(VALU_DEP_1)
	v_dual_fmac_f32 v205, v8, v3 :: v_dual_add_f32 v2, v2, v24
	v_add_f32_e32 v2, v2, v139
	s_delay_alu instid0(VALU_DEP_1) | instskip(NEXT) | instid1(VALU_DEP_1)
	v_add_f32_e32 v2, v2, v140
	v_add_f32_e32 v2, v2, v141
	s_delay_alu instid0(VALU_DEP_1) | instskip(NEXT) | instid1(VALU_DEP_1)
	v_add_f32_e32 v2, v2, v150
	;; [unrolled: 3-line block ×3, first 2 shown]
	v_add_f32_e32 v2, v2, v15
	s_delay_alu instid0(VALU_DEP_1) | instskip(NEXT) | instid1(VALU_DEP_1)
	v_dual_add_f32 v2, v2, v18 :: v_dual_mul_f32 v1, v8, v4
	v_add_f32_e32 v2, v2, v19
	s_delay_alu instid0(VALU_DEP_2) | instskip(NEXT) | instid1(VALU_DEP_2)
	v_fma_f32 v206, v7, v3, -v1
	v_dual_add_f32 v1, 0, v22 :: v_dual_add_f32 v2, v2, v20
	s_delay_alu instid0(VALU_DEP_1) | instskip(NEXT) | instid1(VALU_DEP_1)
	v_dual_add_f32 v1, v1, v138 :: v_dual_add_f32 v2, v2, v151
	v_dual_add_f32 v1, v1, v142 :: v_dual_add_f32 v2, v2, v152
	s_delay_alu instid0(VALU_DEP_1) | instskip(NEXT) | instid1(VALU_DEP_1)
	v_add_f32_e32 v1, v1, v143
	v_dual_add_f32 v2, v2, v155 :: v_dual_add_f32 v1, v1, v144
	s_delay_alu instid0(VALU_DEP_1) | instskip(NEXT) | instid1(VALU_DEP_1)
	v_add_f32_e32 v2, v2, v157
	;; [unrolled: 3-line block ×3, first 2 shown]
	v_dual_add_f32 v2, v2, v161 :: v_dual_add_f32 v1, v1, v14
	s_delay_alu instid0(VALU_DEP_1) | instskip(NEXT) | instid1(VALU_DEP_1)
	v_dual_add_f32 v2, v2, v163 :: v_dual_add_f32 v1, v1, v16
	v_add_f32_e32 v2, v2, v165
	s_delay_alu instid0(VALU_DEP_2) | instskip(NEXT) | instid1(VALU_DEP_1)
	v_add_f32_e32 v1, v1, v17
	v_add_f32_e32 v1, v1, v148
	s_delay_alu instid0(VALU_DEP_1) | instskip(NEXT) | instid1(VALU_DEP_1)
	v_add_f32_e32 v1, v1, v149
	v_add_f32_e32 v1, v1, v153
	s_delay_alu instid0(VALU_DEP_1) | instskip(NEXT) | instid1(VALU_DEP_1)
	;; [unrolled: 3-line block ×7, first 2 shown]
	v_add_f32_e32 v1, v1, v174
	v_add_f32_e32 v1, v1, v176
	s_delay_alu instid0(VALU_DEP_1) | instskip(SKIP_1) | instid1(VALU_DEP_2)
	v_add_f32_e32 v6, v1, v178
	v_add_f32_e32 v2, v2, v167
	;; [unrolled: 1-line block ×3, first 2 shown]
	s_delay_alu instid0(VALU_DEP_2) | instskip(NEXT) | instid1(VALU_DEP_2)
	v_add_f32_e32 v2, v2, v169
	v_add_f32_e32 v13, v6, v182
	s_delay_alu instid0(VALU_DEP_1) | instskip(NEXT) | instid1(VALU_DEP_1)
	v_dual_add_f32 v2, v2, v171 :: v_dual_add_f32 v13, v13, v184
	v_dual_add_f32 v2, v2, v173 :: v_dual_add_f32 v13, v13, v186
	s_delay_alu instid0(VALU_DEP_1) | instskip(SKIP_3) | instid1(VALU_DEP_2)
	v_add_f32_e32 v5, v2, v175
	ds_load_2addr_b64 v[1:4], v21 offset0:103 offset1:104
	v_add_f32_e32 v13, v13, v188
	v_add_f32_e32 v5, v5, v177
	;; [unrolled: 1-line block ×3, first 2 shown]
	s_delay_alu instid0(VALU_DEP_1) | instskip(NEXT) | instid1(VALU_DEP_1)
	v_dual_add_f32 v5, v5, v179 :: v_dual_add_f32 v18, v18, v192
	v_add_f32_e32 v14, v5, v181
	ds_load_2addr_b64 v[5:8], v21 offset0:105 offset1:106
	v_add_f32_e32 v18, v18, v194
	s_wait_loadcnt_dscnt 0x1
	v_dual_mul_f32 v138, v1, v10 :: v_dual_mul_f32 v139, v3, v12
	v_mul_f32_e32 v10, v2, v10
	v_mul_f32_e32 v12, v4, v12
	v_add_f32_e32 v22, v18, v196
	s_delay_alu instid0(VALU_DEP_4) | instskip(NEXT) | instid1(VALU_DEP_4)
	v_dual_fmac_f32 v138, v2, v9 :: v_dual_fmac_f32 v139, v4, v11
	v_fma_f32 v140, v1, v9, -v10
	s_delay_alu instid0(VALU_DEP_4) | instskip(SKIP_4) | instid1(VALU_DEP_1)
	v_fma_f32 v141, v3, v11, -v12
	s_clause 0x1
	scratch_load_b128 v[1:4], off, off offset:392
	scratch_load_b128 v[9:12], off, off offset:408
	v_add_f32_e32 v142, v22, v198
	v_add_f32_e32 v142, v142, v200
	s_delay_alu instid0(VALU_DEP_1) | instskip(NEXT) | instid1(VALU_DEP_1)
	v_add_f32_e32 v142, v142, v202
	v_add_f32_e32 v142, v142, v204
	s_delay_alu instid0(VALU_DEP_1) | instskip(NEXT) | instid1(VALU_DEP_1)
	v_add_f32_e32 v142, v142, v206
	v_add_f32_e32 v140, v142, v140
	s_wait_loadcnt_dscnt 0x100
	v_mul_f32_e32 v144, v5, v2
	v_dual_add_f32 v14, v14, v183 :: v_dual_mul_f32 v145, v7, v4
	v_mul_f32_e32 v4, v8, v4
	v_mul_f32_e32 v2, v6, v2
	s_delay_alu instid0(VALU_DEP_4) | instskip(NEXT) | instid1(VALU_DEP_4)
	v_fmac_f32_e32 v144, v6, v1
	v_dual_add_f32 v14, v14, v185 :: v_dual_fmac_f32 v145, v8, v3
	s_delay_alu instid0(VALU_DEP_4) | instskip(NEXT) | instid1(VALU_DEP_4)
	v_fma_f32 v3, v7, v3, -v4
	v_fma_f32 v2, v5, v1, -v2
	v_add_f32_e32 v1, v140, v141
	s_delay_alu instid0(VALU_DEP_4) | instskip(SKIP_3) | instid1(VALU_DEP_2)
	v_add_f32_e32 v17, v14, v187
	scratch_load_b128 v[13:16], off, off offset:424
	v_add_f32_e32 v1, v1, v2
	v_add_f32_e32 v17, v17, v189
	;; [unrolled: 1-line block ×3, first 2 shown]
	s_delay_alu instid0(VALU_DEP_2) | instskip(NEXT) | instid1(VALU_DEP_1)
	v_add_f32_e32 v17, v17, v191
	v_add_f32_e32 v17, v17, v193
	s_delay_alu instid0(VALU_DEP_1)
	v_add_f32_e32 v23, v17, v195
	ds_load_2addr_b64 v[17:20], v21 offset0:107 offset1:108
	v_add_f32_e32 v143, v23, v197
	ds_load_2addr_b64 v[21:24], v21 offset0:109 offset1:110
	v_add_f32_e32 v143, v143, v199
	s_wait_loadcnt_dscnt 0x101
	s_delay_alu instid0(VALU_DEP_1) | instskip(SKIP_2) | instid1(VALU_DEP_2)
	v_dual_add_f32 v143, v143, v201 :: v_dual_mul_f32 v146, v17, v10
	v_dual_mul_f32 v6, v18, v10 :: v_dual_mul_f32 v147, v19, v12
	v_mul_f32_e32 v4, v20, v12
	v_dual_fmac_f32 v146, v18, v9 :: v_dual_fmac_f32 v147, v20, v11
	s_delay_alu instid0(VALU_DEP_2) | instskip(SKIP_3) | instid1(VALU_DEP_2)
	v_fma_f32 v4, v19, v11, -v4
	s_wait_loadcnt_dscnt 0x0
	v_mul_f32_e32 v142, v23, v16
	v_dual_add_f32 v143, v143, v203 :: v_dual_mul_f32 v148, v21, v14
	v_dual_mul_f32 v3, v22, v14 :: v_dual_fmac_f32 v142, v24, v15
	s_delay_alu instid0(VALU_DEP_2) | instskip(NEXT) | instid1(VALU_DEP_3)
	v_add_f32_e32 v143, v143, v205
	v_fmac_f32_e32 v148, v22, v13
	s_delay_alu instid0(VALU_DEP_3) | instskip(NEXT) | instid1(VALU_DEP_3)
	v_fma_f32 v3, v21, v13, -v3
	v_add_f32_e32 v138, v143, v138
	s_delay_alu instid0(VALU_DEP_1) | instskip(NEXT) | instid1(VALU_DEP_1)
	v_add_f32_e32 v5, v138, v139
	v_add_f32_e32 v2, v5, v144
	v_fma_f32 v5, v17, v9, -v6
	s_delay_alu instid0(VALU_DEP_2) | instskip(NEXT) | instid1(VALU_DEP_2)
	v_add_f32_e32 v2, v2, v145
	v_add_f32_e32 v1, v1, v5
	s_delay_alu instid0(VALU_DEP_2) | instskip(NEXT) | instid1(VALU_DEP_2)
	v_dual_mul_f32 v5, v24, v16 :: v_dual_add_f32 v2, v2, v146
	v_add_f32_e32 v1, v1, v4
	s_delay_alu instid0(VALU_DEP_2) | instskip(NEXT) | instid1(VALU_DEP_3)
	v_fma_f32 v4, v23, v15, -v5
	v_add_f32_e32 v2, v2, v147
	s_delay_alu instid0(VALU_DEP_1) | instskip(NEXT) | instid1(VALU_DEP_1)
	v_dual_add_f32 v1, v1, v3 :: v_dual_add_f32 v2, v2, v148
	v_dual_add_f32 v1, v1, v4 :: v_dual_add_f32 v2, v2, v142
	s_delay_alu instid0(VALU_DEP_1)
	v_dual_sub_f32 v1, v135, v1 :: v_dual_sub_f32 v2, v136, v2
	scratch_store_b64 off, v[1:2], off offset:48
	v_cmpx_lt_u32_e32 5, v0
	s_cbranch_execz .LBB54_333
; %bb.332:
	scratch_load_b64 v[1:2], off, off offset:40
	v_mov_b32_e32 v3, 0
	s_delay_alu instid0(VALU_DEP_1)
	v_mov_b32_e32 v4, v3
	scratch_store_b64 off, v[3:4], off offset:40
	s_wait_loadcnt 0x0
	ds_store_b64 v137, v[1:2]
.LBB54_333:
	s_wait_alu 0xfffe
	s_or_b32 exec_lo, exec_lo, s0
	s_wait_storecnt_dscnt 0x0
	s_barrier_signal -1
	s_barrier_wait -1
	global_inv scope:SCOPE_SE
	s_clause 0x4
	scratch_load_b128 v[5:8], off, off offset:48
	scratch_load_b128 v[1:4], off, off offset:64
	;; [unrolled: 1-line block ×5, first 2 shown]
	v_mov_b32_e32 v135, 0
	ds_load_b128 v[21:24], v135 offset:496
	ds_load_b128 v[138:141], v135 offset:512
	;; [unrolled: 1-line block ×3, first 2 shown]
	scratch_load_b64 v[146:147], off, off offset:40
	s_mov_b32 s0, exec_lo
	s_wait_loadcnt_dscnt 0x502
	v_mul_f32_e32 v136, v22, v6
	v_dual_mul_f32 v148, v21, v6 :: v_dual_mul_f32 v149, v23, v8
	v_mul_f32_e32 v6, v24, v8
	s_wait_loadcnt_dscnt 0x300
	v_mul_f32_e32 v150, v144, v12
	v_fma_f32 v21, v21, v5, -v136
	v_dual_fmac_f32 v148, v22, v5 :: v_dual_fmac_f32 v149, v24, v7
	v_fma_f32 v22, v23, v7, -v6
	ds_load_b128 v[5:8], v135 offset:544
	v_dual_mul_f32 v23, v138, v2 :: v_dual_mul_f32 v24, v140, v4
	v_mul_f32_e32 v4, v141, v4
	v_mul_f32_e32 v136, v142, v10
	;; [unrolled: 1-line block ×5, first 2 shown]
	v_dual_fmac_f32 v23, v139, v1 :: v_dual_fmac_f32 v24, v141, v3
	v_fma_f32 v139, v140, v3, -v4
	v_fmac_f32_e32 v136, v143, v9
	v_fma_f32 v140, v142, v9, -v10
	v_fmac_f32_e32 v150, v145, v11
	v_fma_f32 v141, v144, v11, -v12
	ds_load_b128 v[9:12], v135 offset:560
	s_wait_loadcnt_dscnt 0x201
	v_dual_mul_f32 v143, v7, v16 :: v_dual_mul_f32 v142, v5, v14
	v_mul_f32_e32 v14, v6, v14
	v_mul_f32_e32 v16, v8, v16
	s_delay_alu instid0(VALU_DEP_3)
	v_fmac_f32_e32 v143, v8, v15
	v_fma_f32 v138, v138, v1, -v2
	scratch_load_b128 v[1:4], off, off offset:128
	v_fmac_f32_e32 v142, v6, v13
	v_fma_f32 v13, v5, v13, -v14
	v_fma_f32 v14, v7, v15, -v16
	ds_load_b128 v[5:8], v135 offset:576
	s_wait_loadcnt_dscnt 0x201
	v_mul_f32_e32 v15, v9, v18
	v_mul_f32_e32 v16, v10, v18
	;; [unrolled: 1-line block ×3, first 2 shown]
	s_delay_alu instid0(VALU_DEP_3) | instskip(NEXT) | instid1(VALU_DEP_3)
	v_dual_mul_f32 v20, v12, v20 :: v_dual_fmac_f32 v15, v10, v17
	v_fma_f32 v16, v9, v17, -v16
	s_delay_alu instid0(VALU_DEP_3) | instskip(NEXT) | instid1(VALU_DEP_3)
	v_fmac_f32_e32 v18, v12, v19
	v_fma_f32 v17, v11, v19, -v20
	scratch_load_b128 v[9:12], off, off offset:144
	s_wait_loadcnt_dscnt 0x100
	v_mul_f32_e32 v19, v5, v2
	v_mul_f32_e32 v2, v6, v2
	v_mul_f32_e32 v20, v7, v4
	s_delay_alu instid0(VALU_DEP_3) | instskip(NEXT) | instid1(VALU_DEP_3)
	v_dual_mul_f32 v4, v8, v4 :: v_dual_fmac_f32 v19, v6, v1
	v_fma_f32 v144, v5, v1, -v2
	s_delay_alu instid0(VALU_DEP_3) | instskip(NEXT) | instid1(VALU_DEP_3)
	v_fmac_f32_e32 v20, v8, v3
	v_fma_f32 v145, v7, v3, -v4
	ds_load_b128 v[1:4], v135 offset:592
	ds_load_b128 v[5:8], v135 offset:608
	s_wait_loadcnt_dscnt 0x1
	v_mul_f32_e32 v151, v1, v10
	v_mul_f32_e32 v10, v2, v10
	s_delay_alu instid0(VALU_DEP_2) | instskip(NEXT) | instid1(VALU_DEP_2)
	v_dual_mul_f32 v152, v3, v12 :: v_dual_fmac_f32 v151, v2, v9
	v_fma_f32 v153, v1, v9, -v10
	v_mul_f32_e32 v1, v4, v12
	s_delay_alu instid0(VALU_DEP_3) | instskip(NEXT) | instid1(VALU_DEP_2)
	v_fmac_f32_e32 v152, v4, v11
	v_fma_f32 v154, v3, v11, -v1
	s_clause 0x1
	scratch_load_b128 v[1:4], off, off offset:160
	scratch_load_b128 v[9:12], off, off offset:176
	s_wait_loadcnt_dscnt 0x100
	v_mul_f32_e32 v155, v5, v2
	v_dual_mul_f32 v2, v6, v2 :: v_dual_mul_f32 v157, v7, v4
	s_delay_alu instid0(VALU_DEP_2) | instskip(NEXT) | instid1(VALU_DEP_2)
	v_fmac_f32_e32 v155, v6, v1
	v_fma_f32 v156, v5, v1, -v2
	v_mul_f32_e32 v1, v8, v4
	s_delay_alu instid0(VALU_DEP_4) | instskip(NEXT) | instid1(VALU_DEP_2)
	v_fmac_f32_e32 v157, v8, v3
	v_fma_f32 v158, v7, v3, -v1
	ds_load_b128 v[1:4], v135 offset:624
	ds_load_b128 v[5:8], v135 offset:640
	s_wait_loadcnt_dscnt 0x1
	v_mul_f32_e32 v159, v1, v10
	v_mul_f32_e32 v161, v3, v12
	s_delay_alu instid0(VALU_DEP_2) | instskip(NEXT) | instid1(VALU_DEP_2)
	v_fmac_f32_e32 v159, v2, v9
	v_dual_mul_f32 v2, v2, v10 :: v_dual_fmac_f32 v161, v4, v11
	s_delay_alu instid0(VALU_DEP_1) | instskip(SKIP_1) | instid1(VALU_DEP_1)
	v_fma_f32 v160, v1, v9, -v2
	v_mul_f32_e32 v1, v4, v12
	v_fma_f32 v162, v3, v11, -v1
	s_clause 0x1
	scratch_load_b128 v[1:4], off, off offset:192
	scratch_load_b128 v[9:12], off, off offset:208
	s_wait_loadcnt_dscnt 0x100
	v_mul_f32_e32 v163, v5, v2
	v_dual_mul_f32 v2, v6, v2 :: v_dual_mul_f32 v165, v7, v4
	s_delay_alu instid0(VALU_DEP_2) | instskip(NEXT) | instid1(VALU_DEP_2)
	v_fmac_f32_e32 v163, v6, v1
	v_fma_f32 v164, v5, v1, -v2
	v_mul_f32_e32 v1, v8, v4
	s_delay_alu instid0(VALU_DEP_4) | instskip(NEXT) | instid1(VALU_DEP_2)
	v_fmac_f32_e32 v165, v8, v3
	v_fma_f32 v166, v7, v3, -v1
	ds_load_b128 v[1:4], v135 offset:656
	ds_load_b128 v[5:8], v135 offset:672
	s_wait_loadcnt_dscnt 0x1
	v_mul_f32_e32 v167, v1, v10
	v_mul_f32_e32 v169, v3, v12
	s_delay_alu instid0(VALU_DEP_2) | instskip(NEXT) | instid1(VALU_DEP_2)
	v_fmac_f32_e32 v167, v2, v9
	v_dual_mul_f32 v2, v2, v10 :: v_dual_fmac_f32 v169, v4, v11
	s_delay_alu instid0(VALU_DEP_1) | instskip(SKIP_1) | instid1(VALU_DEP_1)
	v_fma_f32 v168, v1, v9, -v2
	v_mul_f32_e32 v1, v4, v12
	;; [unrolled: 25-line block ×6, first 2 shown]
	v_fma_f32 v202, v3, v11, -v1
	s_clause 0x1
	scratch_load_b128 v[1:4], off, off offset:352
	scratch_load_b128 v[9:12], off, off offset:368
	s_wait_loadcnt_dscnt 0x100
	v_mul_f32_e32 v203, v5, v2
	v_mul_f32_e32 v2, v6, v2
	s_delay_alu instid0(VALU_DEP_2) | instskip(NEXT) | instid1(VALU_DEP_2)
	v_fmac_f32_e32 v203, v6, v1
	v_fma_f32 v204, v5, v1, -v2
	v_add_f32_e32 v2, 0, v148
	s_delay_alu instid0(VALU_DEP_1) | instskip(NEXT) | instid1(VALU_DEP_1)
	v_dual_mul_f32 v1, v8, v4 :: v_dual_add_f32 v2, v2, v149
	v_fma_f32 v206, v7, v3, -v1
	s_delay_alu instid0(VALU_DEP_2) | instskip(NEXT) | instid1(VALU_DEP_1)
	v_dual_add_f32 v1, 0, v21 :: v_dual_add_f32 v2, v2, v23
	v_dual_add_f32 v1, v1, v22 :: v_dual_add_f32 v2, v2, v24
	s_delay_alu instid0(VALU_DEP_1) | instskip(NEXT) | instid1(VALU_DEP_1)
	v_add_f32_e32 v2, v2, v136
	v_add_f32_e32 v2, v2, v150
	s_delay_alu instid0(VALU_DEP_1) | instskip(NEXT) | instid1(VALU_DEP_1)
	v_add_f32_e32 v2, v2, v142
	v_dual_add_f32 v1, v1, v138 :: v_dual_add_f32 v2, v2, v143
	s_delay_alu instid0(VALU_DEP_1) | instskip(SKIP_2) | instid1(VALU_DEP_1)
	v_add_f32_e32 v1, v1, v139
	scratch_load_b64 v[138:139], off, off offset:432
	v_dual_add_f32 v2, v2, v15 :: v_dual_add_f32 v1, v1, v140
	v_dual_add_f32 v2, v2, v18 :: v_dual_add_f32 v1, v1, v141
	s_delay_alu instid0(VALU_DEP_1) | instskip(NEXT) | instid1(VALU_DEP_1)
	v_dual_add_f32 v2, v2, v19 :: v_dual_add_f32 v1, v1, v13
	v_dual_add_f32 v2, v2, v20 :: v_dual_add_f32 v1, v1, v14
	s_delay_alu instid0(VALU_DEP_1) | instskip(NEXT) | instid1(VALU_DEP_1)
	v_dual_add_f32 v2, v2, v151 :: v_dual_add_f32 v1, v1, v16
	v_dual_add_f32 v2, v2, v152 :: v_dual_add_f32 v1, v1, v17
	s_delay_alu instid0(VALU_DEP_1) | instskip(NEXT) | instid1(VALU_DEP_1)
	v_dual_add_f32 v2, v2, v155 :: v_dual_add_f32 v1, v1, v144
	v_add_f32_e32 v2, v2, v157
	s_delay_alu instid0(VALU_DEP_1) | instskip(NEXT) | instid1(VALU_DEP_1)
	v_dual_add_f32 v1, v1, v145 :: v_dual_add_f32 v2, v2, v159
	v_add_f32_e32 v1, v1, v153
	s_delay_alu instid0(VALU_DEP_1) | instskip(NEXT) | instid1(VALU_DEP_1)
	v_dual_add_f32 v2, v2, v161 :: v_dual_add_f32 v1, v1, v154
	v_dual_add_f32 v2, v2, v163 :: v_dual_add_f32 v1, v1, v156
	s_delay_alu instid0(VALU_DEP_1) | instskip(NEXT) | instid1(VALU_DEP_1)
	v_dual_add_f32 v2, v2, v165 :: v_dual_add_f32 v1, v1, v158
	v_dual_add_f32 v2, v2, v167 :: v_dual_add_f32 v1, v1, v160
	s_delay_alu instid0(VALU_DEP_1) | instskip(NEXT) | instid1(VALU_DEP_1)
	v_dual_add_f32 v2, v2, v169 :: v_dual_add_f32 v1, v1, v162
	v_add_f32_e32 v1, v1, v164
	s_delay_alu instid0(VALU_DEP_1) | instskip(NEXT) | instid1(VALU_DEP_1)
	v_add_f32_e32 v1, v1, v166
	v_add_f32_e32 v1, v1, v168
	s_delay_alu instid0(VALU_DEP_1) | instskip(NEXT) | instid1(VALU_DEP_1)
	v_add_f32_e32 v1, v1, v170
	;; [unrolled: 3-line block ×3, first 2 shown]
	v_add_f32_e32 v1, v1, v176
	s_delay_alu instid0(VALU_DEP_1) | instskip(SKIP_1) | instid1(VALU_DEP_2)
	v_add_f32_e32 v6, v1, v178
	v_add_f32_e32 v2, v2, v171
	v_add_f32_e32 v6, v6, v180
	s_delay_alu instid0(VALU_DEP_2) | instskip(NEXT) | instid1(VALU_DEP_2)
	v_add_f32_e32 v2, v2, v173
	v_add_f32_e32 v13, v6, v182
	s_delay_alu instid0(VALU_DEP_2) | instskip(NEXT) | instid1(VALU_DEP_2)
	v_add_f32_e32 v5, v2, v175
	v_add_f32_e32 v13, v13, v184
	;; [unrolled: 3-line block ×3, first 2 shown]
	s_delay_alu instid0(VALU_DEP_2) | instskip(SKIP_1) | instid1(VALU_DEP_3)
	v_add_f32_e32 v5, v5, v179
	v_mul_f32_e32 v205, v7, v4
	v_add_f32_e32 v13, v13, v188
	s_delay_alu instid0(VALU_DEP_2) | instskip(SKIP_3) | instid1(VALU_DEP_1)
	v_dual_add_f32 v14, v5, v181 :: v_dual_fmac_f32 v205, v8, v3
	ds_load_b128 v[1:4], v135 offset:816
	ds_load_b128 v[5:8], v135 offset:832
	v_add_f32_e32 v18, v13, v190
	v_add_f32_e32 v18, v18, v192
	s_delay_alu instid0(VALU_DEP_1) | instskip(NEXT) | instid1(VALU_DEP_1)
	v_add_f32_e32 v18, v18, v194
	v_add_f32_e32 v18, v18, v196
	s_wait_loadcnt_dscnt 0x101
	v_mul_f32_e32 v136, v1, v10
	v_mul_f32_e32 v10, v2, v10
	;; [unrolled: 1-line block ×4, first 2 shown]
	v_add_f32_e32 v14, v14, v183
	v_fmac_f32_e32 v136, v2, v9
	v_fma_f32 v143, v1, v9, -v10
	v_fmac_f32_e32 v142, v4, v11
	v_fma_f32 v144, v3, v11, -v12
	s_clause 0x1
	scratch_load_b128 v[1:4], off, off offset:384
	scratch_load_b128 v[9:12], off, off offset:400
	v_add_f32_e32 v14, v14, v185
	v_add_f32_e32 v18, v18, v198
	s_delay_alu instid0(VALU_DEP_2) | instskip(SKIP_2) | instid1(VALU_DEP_1)
	v_add_f32_e32 v17, v14, v187
	scratch_load_b128 v[13:16], off, off offset:416
	v_dual_add_f32 v140, v18, v200 :: v_dual_add_f32 v17, v17, v189
	v_add_f32_e32 v145, v140, v202
	s_delay_alu instid0(VALU_DEP_2) | instskip(NEXT) | instid1(VALU_DEP_2)
	v_add_f32_e32 v17, v17, v191
	v_add_f32_e32 v145, v145, v204
	s_delay_alu instid0(VALU_DEP_2) | instskip(NEXT) | instid1(VALU_DEP_2)
	v_add_f32_e32 v17, v17, v193
	;; [unrolled: 3-line block ×3, first 2 shown]
	v_add_f32_e32 v143, v145, v143
	s_delay_alu instid0(VALU_DEP_2)
	v_add_f32_e32 v21, v17, v197
	ds_load_b128 v[17:20], v135 offset:848
	v_add_f32_e32 v143, v143, v144
	s_wait_loadcnt_dscnt 0x201
	v_dual_mul_f32 v150, v7, v4 :: v_dual_add_f32 v141, v21, v199
	v_mul_f32_e32 v4, v8, v4
	ds_load_b128 v[21:24], v135 offset:864
	v_mul_f32_e32 v149, v5, v2
	v_mul_f32_e32 v2, v6, v2
	v_add_f32_e32 v148, v141, v201
	ds_load_b64 v[140:141], v135 offset:880
	s_wait_loadcnt_dscnt 0x102
	v_mul_f32_e32 v145, v17, v10
	v_fmac_f32_e32 v149, v6, v1
	v_fma_f32 v2, v5, v1, -v2
	v_add_f32_e32 v148, v148, v203
	v_fmac_f32_e32 v150, v8, v3
	v_fma_f32 v1, v7, v3, -v4
	v_mul_f32_e32 v3, v18, v10
	v_add_f32_e32 v2, v143, v2
	v_add_f32_e32 v148, v148, v205
	v_mul_f32_e32 v5, v20, v12
	v_fmac_f32_e32 v145, v18, v9
	v_fma_f32 v3, v17, v9, -v3
	s_delay_alu instid0(VALU_DEP_4) | instskip(SKIP_3) | instid1(VALU_DEP_3)
	v_dual_add_f32 v1, v2, v1 :: v_dual_add_f32 v136, v148, v136
	s_wait_loadcnt_dscnt 0x1
	v_dual_mul_f32 v148, v19, v12 :: v_dual_mul_f32 v151, v21, v14
	v_fma_f32 v5, v19, v11, -v5
	v_dual_add_f32 v1, v1, v3 :: v_dual_add_f32 v136, v136, v142
	s_delay_alu instid0(VALU_DEP_3)
	v_fmac_f32_e32 v148, v20, v11
	v_mul_f32_e32 v144, v23, v16
	v_mul_f32_e32 v3, v24, v16
	v_fmac_f32_e32 v151, v22, v13
	v_add_f32_e32 v4, v136, v149
	s_wait_dscnt 0x0
	v_dual_add_f32 v1, v1, v5 :: v_dual_mul_f32 v142, v140, v139
	v_mul_f32_e32 v5, v141, v139
	v_fmac_f32_e32 v144, v24, v15
	v_add_f32_e32 v2, v4, v150
	v_mul_f32_e32 v4, v22, v14
	v_fma_f32 v3, v23, v15, -v3
	v_fmac_f32_e32 v142, v141, v138
	s_delay_alu instid0(VALU_DEP_4) | instskip(NEXT) | instid1(VALU_DEP_4)
	v_add_f32_e32 v2, v2, v145
	v_fma_f32 v4, v21, v13, -v4
	s_delay_alu instid0(VALU_DEP_2) | instskip(NEXT) | instid1(VALU_DEP_2)
	v_add_f32_e32 v2, v2, v148
	v_add_f32_e32 v1, v1, v4
	v_fma_f32 v4, v140, v138, -v5
	s_delay_alu instid0(VALU_DEP_3) | instskip(NEXT) | instid1(VALU_DEP_1)
	v_add_f32_e32 v2, v2, v151
	v_dual_add_f32 v1, v1, v3 :: v_dual_add_f32 v2, v2, v144
	s_delay_alu instid0(VALU_DEP_1) | instskip(NEXT) | instid1(VALU_DEP_1)
	v_dual_add_f32 v1, v1, v4 :: v_dual_add_f32 v2, v2, v142
	v_dual_sub_f32 v1, v146, v1 :: v_dual_sub_f32 v2, v147, v2
	scratch_store_b64 off, v[1:2], off offset:40
	v_cmpx_lt_u32_e32 4, v0
	s_cbranch_execz .LBB54_335
; %bb.334:
	scratch_load_b64 v[1:2], off, off offset:32
	v_mov_b32_e32 v136, v135
	scratch_store_b64 off, v[135:136], off offset:32
	s_wait_loadcnt 0x0
	ds_store_b64 v137, v[1:2]
.LBB54_335:
	s_wait_alu 0xfffe
	s_or_b32 exec_lo, exec_lo, s0
	s_wait_storecnt_dscnt 0x0
	s_barrier_signal -1
	s_barrier_wait -1
	global_inv scope:SCOPE_SE
	s_clause 0x4
	scratch_load_b128 v[5:8], off, off offset:40
	scratch_load_b128 v[1:4], off, off offset:56
	;; [unrolled: 1-line block ×5, first 2 shown]
	ds_load_2addr_b64 v[21:24], v135 offset0:61 offset1:62
	ds_load_2addr_b64 v[138:141], v135 offset0:63 offset1:64
	ds_load_2addr_b64 v[142:145], v135 offset0:65 offset1:66
	scratch_load_b64 v[146:147], off, off offset:32
	s_mov_b32 s0, exec_lo
	s_wait_loadcnt_dscnt 0x502
	v_mul_f32_e32 v136, v21, v6
	v_mul_f32_e32 v148, v23, v8
	s_wait_loadcnt_dscnt 0x300
	v_dual_mul_f32 v8, v24, v8 :: v_dual_mul_f32 v149, v142, v10
	v_mul_f32_e32 v6, v22, v6
	v_fmac_f32_e32 v136, v22, v5
	v_mul_f32_e32 v10, v143, v10
	s_delay_alu instid0(VALU_DEP_4)
	v_fma_f32 v22, v23, v7, -v8
	v_dual_mul_f32 v23, v138, v2 :: v_dual_fmac_f32 v148, v24, v7
	v_fmac_f32_e32 v149, v143, v9
	v_fma_f32 v21, v21, v5, -v6
	ds_load_2addr_b64 v[5:8], v135 offset0:67 offset1:68
	v_mul_f32_e32 v24, v140, v4
	v_mul_f32_e32 v4, v141, v4
	;; [unrolled: 1-line block ×5, first 2 shown]
	v_dual_fmac_f32 v23, v139, v1 :: v_dual_fmac_f32 v24, v141, v3
	v_fma_f32 v139, v140, v3, -v4
	v_fma_f32 v140, v142, v9, -v10
	v_fmac_f32_e32 v150, v145, v11
	v_fma_f32 v141, v144, v11, -v12
	ds_load_2addr_b64 v[9:12], v135 offset0:69 offset1:70
	s_wait_loadcnt_dscnt 0x201
	v_dual_mul_f32 v143, v7, v16 :: v_dual_mul_f32 v142, v5, v14
	v_mul_f32_e32 v14, v6, v14
	v_mul_f32_e32 v16, v8, v16
	s_delay_alu instid0(VALU_DEP_3)
	v_fmac_f32_e32 v143, v8, v15
	v_fma_f32 v138, v138, v1, -v2
	scratch_load_b128 v[1:4], off, off offset:120
	v_fmac_f32_e32 v142, v6, v13
	v_fma_f32 v13, v5, v13, -v14
	v_fma_f32 v14, v7, v15, -v16
	ds_load_2addr_b64 v[5:8], v135 offset0:71 offset1:72
	s_wait_loadcnt_dscnt 0x201
	v_mul_f32_e32 v15, v9, v18
	v_mul_f32_e32 v16, v10, v18
	;; [unrolled: 1-line block ×3, first 2 shown]
	s_delay_alu instid0(VALU_DEP_3) | instskip(NEXT) | instid1(VALU_DEP_3)
	v_dual_mul_f32 v20, v12, v20 :: v_dual_fmac_f32 v15, v10, v17
	v_fma_f32 v16, v9, v17, -v16
	s_delay_alu instid0(VALU_DEP_3) | instskip(NEXT) | instid1(VALU_DEP_3)
	v_fmac_f32_e32 v18, v12, v19
	v_fma_f32 v17, v11, v19, -v20
	scratch_load_b128 v[9:12], off, off offset:136
	s_wait_loadcnt_dscnt 0x100
	v_mul_f32_e32 v19, v5, v2
	v_mul_f32_e32 v2, v6, v2
	;; [unrolled: 1-line block ×3, first 2 shown]
	s_delay_alu instid0(VALU_DEP_3) | instskip(NEXT) | instid1(VALU_DEP_3)
	v_dual_mul_f32 v4, v8, v4 :: v_dual_fmac_f32 v19, v6, v1
	v_fma_f32 v144, v5, v1, -v2
	s_delay_alu instid0(VALU_DEP_3) | instskip(NEXT) | instid1(VALU_DEP_3)
	v_fmac_f32_e32 v20, v8, v3
	v_fma_f32 v145, v7, v3, -v4
	ds_load_2addr_b64 v[1:4], v135 offset0:73 offset1:74
	ds_load_2addr_b64 v[5:8], v135 offset0:75 offset1:76
	s_wait_loadcnt_dscnt 0x1
	v_mul_f32_e32 v151, v1, v10
	v_mul_f32_e32 v10, v2, v10
	s_delay_alu instid0(VALU_DEP_2) | instskip(NEXT) | instid1(VALU_DEP_2)
	v_dual_mul_f32 v152, v3, v12 :: v_dual_fmac_f32 v151, v2, v9
	v_fma_f32 v153, v1, v9, -v10
	v_mul_f32_e32 v1, v4, v12
	s_delay_alu instid0(VALU_DEP_3) | instskip(NEXT) | instid1(VALU_DEP_2)
	v_fmac_f32_e32 v152, v4, v11
	v_fma_f32 v154, v3, v11, -v1
	s_clause 0x1
	scratch_load_b128 v[1:4], off, off offset:152
	scratch_load_b128 v[9:12], off, off offset:168
	s_wait_loadcnt_dscnt 0x100
	v_mul_f32_e32 v155, v5, v2
	v_dual_mul_f32 v2, v6, v2 :: v_dual_mul_f32 v157, v7, v4
	s_delay_alu instid0(VALU_DEP_2) | instskip(NEXT) | instid1(VALU_DEP_2)
	v_fmac_f32_e32 v155, v6, v1
	v_fma_f32 v156, v5, v1, -v2
	v_mul_f32_e32 v1, v8, v4
	s_delay_alu instid0(VALU_DEP_4) | instskip(NEXT) | instid1(VALU_DEP_2)
	v_fmac_f32_e32 v157, v8, v3
	v_fma_f32 v158, v7, v3, -v1
	ds_load_2addr_b64 v[1:4], v135 offset0:77 offset1:78
	ds_load_2addr_b64 v[5:8], v135 offset0:79 offset1:80
	s_wait_loadcnt_dscnt 0x1
	v_mul_f32_e32 v159, v1, v10
	v_mul_f32_e32 v161, v3, v12
	s_delay_alu instid0(VALU_DEP_2) | instskip(NEXT) | instid1(VALU_DEP_2)
	v_fmac_f32_e32 v159, v2, v9
	v_dual_mul_f32 v2, v2, v10 :: v_dual_fmac_f32 v161, v4, v11
	s_delay_alu instid0(VALU_DEP_1) | instskip(SKIP_1) | instid1(VALU_DEP_1)
	v_fma_f32 v160, v1, v9, -v2
	v_mul_f32_e32 v1, v4, v12
	v_fma_f32 v162, v3, v11, -v1
	s_clause 0x1
	scratch_load_b128 v[1:4], off, off offset:184
	scratch_load_b128 v[9:12], off, off offset:200
	s_wait_loadcnt_dscnt 0x100
	v_mul_f32_e32 v163, v5, v2
	v_dual_mul_f32 v2, v6, v2 :: v_dual_mul_f32 v165, v7, v4
	s_delay_alu instid0(VALU_DEP_2) | instskip(NEXT) | instid1(VALU_DEP_2)
	v_fmac_f32_e32 v163, v6, v1
	v_fma_f32 v164, v5, v1, -v2
	v_mul_f32_e32 v1, v8, v4
	s_delay_alu instid0(VALU_DEP_4) | instskip(NEXT) | instid1(VALU_DEP_2)
	v_fmac_f32_e32 v165, v8, v3
	v_fma_f32 v166, v7, v3, -v1
	ds_load_2addr_b64 v[1:4], v135 offset0:81 offset1:82
	ds_load_2addr_b64 v[5:8], v135 offset0:83 offset1:84
	s_wait_loadcnt_dscnt 0x1
	v_mul_f32_e32 v167, v1, v10
	v_mul_f32_e32 v169, v3, v12
	s_delay_alu instid0(VALU_DEP_2) | instskip(NEXT) | instid1(VALU_DEP_2)
	v_fmac_f32_e32 v167, v2, v9
	v_dual_mul_f32 v2, v2, v10 :: v_dual_fmac_f32 v169, v4, v11
	s_delay_alu instid0(VALU_DEP_1) | instskip(SKIP_1) | instid1(VALU_DEP_1)
	v_fma_f32 v168, v1, v9, -v2
	v_mul_f32_e32 v1, v4, v12
	;; [unrolled: 25-line block ×6, first 2 shown]
	v_fma_f32 v202, v3, v11, -v1
	s_clause 0x1
	scratch_load_b128 v[1:4], off, off offset:344
	scratch_load_b128 v[9:12], off, off offset:360
	s_wait_loadcnt_dscnt 0x100
	v_mul_f32_e32 v203, v5, v2
	v_mul_f32_e32 v2, v6, v2
	s_delay_alu instid0(VALU_DEP_2) | instskip(NEXT) | instid1(VALU_DEP_2)
	v_fmac_f32_e32 v203, v6, v1
	v_fma_f32 v204, v5, v1, -v2
	v_add_f32_e32 v2, 0, v136
	s_delay_alu instid0(VALU_DEP_1) | instskip(NEXT) | instid1(VALU_DEP_1)
	v_add_f32_e32 v2, v2, v148
	v_add_f32_e32 v2, v2, v23
	s_delay_alu instid0(VALU_DEP_1) | instskip(NEXT) | instid1(VALU_DEP_1)
	v_add_f32_e32 v2, v2, v24
	v_add_f32_e32 v2, v2, v149
	s_delay_alu instid0(VALU_DEP_1) | instskip(NEXT) | instid1(VALU_DEP_1)
	v_dual_add_f32 v2, v2, v150 :: v_dual_mul_f32 v1, v8, v4
	v_add_f32_e32 v2, v2, v142
	s_delay_alu instid0(VALU_DEP_2) | instskip(NEXT) | instid1(VALU_DEP_2)
	v_fma_f32 v206, v7, v3, -v1
	v_dual_add_f32 v1, 0, v21 :: v_dual_add_f32 v2, v2, v143
	s_delay_alu instid0(VALU_DEP_1) | instskip(NEXT) | instid1(VALU_DEP_1)
	v_dual_add_f32 v1, v1, v22 :: v_dual_add_f32 v2, v2, v15
	v_add_f32_e32 v1, v1, v138
	s_delay_alu instid0(VALU_DEP_1) | instskip(NEXT) | instid1(VALU_DEP_1)
	v_dual_add_f32 v2, v2, v18 :: v_dual_add_f32 v1, v1, v139
	v_dual_add_f32 v2, v2, v19 :: v_dual_add_f32 v1, v1, v140
	s_delay_alu instid0(VALU_DEP_1) | instskip(NEXT) | instid1(VALU_DEP_1)
	v_dual_add_f32 v2, v2, v20 :: v_dual_add_f32 v1, v1, v141
	v_dual_add_f32 v2, v2, v151 :: v_dual_add_f32 v1, v1, v13
	s_delay_alu instid0(VALU_DEP_1) | instskip(NEXT) | instid1(VALU_DEP_1)
	v_add_f32_e32 v2, v2, v152
	v_add_f32_e32 v2, v2, v155
	s_delay_alu instid0(VALU_DEP_1) | instskip(NEXT) | instid1(VALU_DEP_1)
	v_add_f32_e32 v2, v2, v157
	v_add_f32_e32 v2, v2, v159
	;; [unrolled: 3-line block ×4, first 2 shown]
	s_delay_alu instid0(VALU_DEP_1) | instskip(NEXT) | instid1(VALU_DEP_1)
	v_dual_add_f32 v2, v2, v169 :: v_dual_add_f32 v1, v1, v14
	v_add_f32_e32 v1, v1, v16
	s_delay_alu instid0(VALU_DEP_1) | instskip(NEXT) | instid1(VALU_DEP_1)
	v_add_f32_e32 v1, v1, v17
	v_add_f32_e32 v1, v1, v144
	s_delay_alu instid0(VALU_DEP_1) | instskip(NEXT) | instid1(VALU_DEP_1)
	v_add_f32_e32 v1, v1, v145
	;; [unrolled: 3-line block ×9, first 2 shown]
	v_add_f32_e32 v6, v1, v180
	v_add_f32_e32 v2, v2, v171
	s_delay_alu instid0(VALU_DEP_2) | instskip(NEXT) | instid1(VALU_DEP_2)
	v_add_f32_e32 v14, v6, v182
	v_dual_add_f32 v2, v2, v173 :: v_dual_mul_f32 v205, v7, v4
	s_delay_alu instid0(VALU_DEP_2) | instskip(NEXT) | instid1(VALU_DEP_2)
	v_add_f32_e32 v14, v14, v184
	v_add_f32_e32 v2, v2, v175
	s_delay_alu instid0(VALU_DEP_3) | instskip(NEXT) | instid1(VALU_DEP_3)
	v_fmac_f32_e32 v205, v8, v3
	v_add_f32_e32 v17, v14, v186
	s_delay_alu instid0(VALU_DEP_3)
	v_add_f32_e32 v5, v2, v177
	ds_load_2addr_b64 v[1:4], v135 offset0:101 offset1:102
	v_add_f32_e32 v17, v17, v188
	v_add_f32_e32 v13, v5, v179
	scratch_load_b128 v[5:8], off, off offset:376
	v_add_f32_e32 v17, v17, v190
	v_add_f32_e32 v13, v13, v181
	s_delay_alu instid0(VALU_DEP_2) | instskip(NEXT) | instid1(VALU_DEP_2)
	v_add_f32_e32 v17, v17, v192
	v_add_f32_e32 v13, v13, v183
	s_delay_alu instid0(VALU_DEP_2) | instskip(NEXT) | instid1(VALU_DEP_2)
	v_add_f32_e32 v22, v17, v194
	v_add_f32_e32 v18, v13, v185
	ds_load_2addr_b64 v[13:16], v135 offset0:103 offset1:104
	s_wait_loadcnt_dscnt 0x101
	v_mul_f32_e32 v138, v3, v12
	v_mul_f32_e32 v136, v1, v10
	v_mul_f32_e32 v10, v2, v10
	v_mul_f32_e32 v12, v4, v12
	v_add_f32_e32 v22, v22, v196
	v_fmac_f32_e32 v138, v4, v11
	v_add_f32_e32 v18, v18, v187
	v_fmac_f32_e32 v136, v2, v9
	v_fma_f32 v139, v1, v9, -v10
	v_fma_f32 v140, v3, v11, -v12
	scratch_load_b128 v[1:4], off, off offset:392
	v_add_f32_e32 v18, v18, v189
	scratch_load_b128 v[9:12], off, off offset:408
	v_add_f32_e32 v22, v22, v198
	s_wait_loadcnt_dscnt 0x200
	v_mul_f32_e32 v141, v13, v6
	v_mul_f32_e32 v6, v14, v6
	;; [unrolled: 1-line block ×3, first 2 shown]
	s_delay_alu instid0(VALU_DEP_3) | instskip(NEXT) | instid1(VALU_DEP_3)
	v_dual_mul_f32 v8, v16, v8 :: v_dual_fmac_f32 v141, v14, v5
	v_fma_f32 v143, v13, v5, -v6
	s_delay_alu instid0(VALU_DEP_3) | instskip(NEXT) | instid1(VALU_DEP_3)
	v_fmac_f32_e32 v142, v16, v7
	v_fma_f32 v144, v15, v7, -v8
	ds_load_2addr_b64 v[5:8], v135 offset0:105 offset1:106
	v_add_f32_e32 v21, v18, v191
	scratch_load_b128 v[17:20], off, off offset:424
	v_add_f32_e32 v21, v21, v193
	s_delay_alu instid0(VALU_DEP_1) | instskip(NEXT) | instid1(VALU_DEP_1)
	v_add_f32_e32 v21, v21, v195
	v_add_f32_e32 v13, v21, v197
	s_delay_alu instid0(VALU_DEP_1) | instskip(NEXT) | instid1(VALU_DEP_1)
	v_dual_add_f32 v21, v22, v200 :: v_dual_add_f32 v22, v13, v199
	v_add_f32_e32 v145, v21, v202
	ds_load_2addr_b64 v[13:16], v135 offset0:107 offset1:108
	v_add_f32_e32 v148, v22, v201
	ds_load_2addr_b64 v[21:24], v135 offset0:109 offset1:110
	v_add_f32_e32 v135, v145, v204
	s_wait_loadcnt_dscnt 0x202
	v_dual_add_f32 v145, v148, v203 :: v_dual_mul_f32 v148, v5, v2
	s_delay_alu instid0(VALU_DEP_2) | instskip(NEXT) | instid1(VALU_DEP_2)
	v_add_f32_e32 v135, v135, v206
	v_dual_mul_f32 v2, v6, v2 :: v_dual_add_f32 v145, v145, v205
	s_delay_alu instid0(VALU_DEP_2) | instskip(SKIP_2) | instid1(VALU_DEP_4)
	v_dual_fmac_f32 v148, v6, v1 :: v_dual_add_f32 v135, v135, v139
	v_mul_f32_e32 v139, v7, v4
	v_mul_f32_e32 v4, v8, v4
	v_add_f32_e32 v136, v145, v136
	v_fma_f32 v2, v5, v1, -v2
	v_add_f32_e32 v135, v135, v140
	s_wait_loadcnt_dscnt 0x101
	v_mul_f32_e32 v145, v13, v10
	v_mul_f32_e32 v6, v14, v10
	v_add_f32_e32 v136, v136, v138
	v_fmac_f32_e32 v139, v8, v3
	v_add_f32_e32 v135, v135, v143
	v_fma_f32 v3, v7, v3, -v4
	v_mul_f32_e32 v149, v15, v12
	v_dual_mul_f32 v4, v16, v12 :: v_dual_fmac_f32 v145, v14, v9
	s_delay_alu instid0(VALU_DEP_4) | instskip(NEXT) | instid1(VALU_DEP_3)
	v_add_f32_e32 v1, v135, v144
	v_fmac_f32_e32 v149, v16, v11
	s_delay_alu instid0(VALU_DEP_3) | instskip(NEXT) | instid1(VALU_DEP_3)
	v_fma_f32 v4, v15, v11, -v4
	v_add_f32_e32 v1, v1, v2
	s_delay_alu instid0(VALU_DEP_1) | instskip(SKIP_4) | instid1(VALU_DEP_2)
	v_add_f32_e32 v1, v1, v3
	s_wait_loadcnt_dscnt 0x0
	v_mul_f32_e32 v138, v21, v18
	v_dual_add_f32 v136, v136, v141 :: v_dual_mul_f32 v3, v22, v18
	v_mul_f32_e32 v140, v23, v20
	v_dual_fmac_f32 v138, v22, v17 :: v_dual_add_f32 v5, v136, v142
	s_delay_alu instid0(VALU_DEP_3) | instskip(NEXT) | instid1(VALU_DEP_3)
	v_fma_f32 v3, v21, v17, -v3
	v_fmac_f32_e32 v140, v24, v19
	s_delay_alu instid0(VALU_DEP_3) | instskip(SKIP_1) | instid1(VALU_DEP_1)
	v_add_f32_e32 v2, v5, v148
	v_fma_f32 v5, v13, v9, -v6
	v_dual_add_f32 v2, v2, v139 :: v_dual_add_f32 v1, v1, v5
	s_delay_alu instid0(VALU_DEP_1) | instskip(NEXT) | instid1(VALU_DEP_2)
	v_dual_mul_f32 v5, v24, v20 :: v_dual_add_f32 v2, v2, v145
	v_add_f32_e32 v1, v1, v4
	s_delay_alu instid0(VALU_DEP_2) | instskip(NEXT) | instid1(VALU_DEP_2)
	v_fma_f32 v4, v23, v19, -v5
	v_dual_add_f32 v2, v2, v149 :: v_dual_add_f32 v1, v1, v3
	s_delay_alu instid0(VALU_DEP_1) | instskip(NEXT) | instid1(VALU_DEP_1)
	v_dual_add_f32 v2, v2, v138 :: v_dual_add_f32 v1, v1, v4
	v_add_f32_e32 v2, v2, v140
	s_delay_alu instid0(VALU_DEP_1)
	v_dual_sub_f32 v1, v146, v1 :: v_dual_sub_f32 v2, v147, v2
	scratch_store_b64 off, v[1:2], off offset:32
	v_cmpx_lt_u32_e32 3, v0
	s_cbranch_execz .LBB54_337
; %bb.336:
	scratch_load_b64 v[1:2], off, off offset:24
	v_mov_b32_e32 v3, 0
	s_delay_alu instid0(VALU_DEP_1)
	v_mov_b32_e32 v4, v3
	scratch_store_b64 off, v[3:4], off offset:24
	s_wait_loadcnt 0x0
	ds_store_b64 v137, v[1:2]
.LBB54_337:
	s_wait_alu 0xfffe
	s_or_b32 exec_lo, exec_lo, s0
	s_wait_storecnt_dscnt 0x0
	s_barrier_signal -1
	s_barrier_wait -1
	global_inv scope:SCOPE_SE
	s_clause 0x4
	scratch_load_b128 v[5:8], off, off offset:32
	scratch_load_b128 v[1:4], off, off offset:48
	;; [unrolled: 1-line block ×5, first 2 shown]
	v_mov_b32_e32 v135, 0
	ds_load_b128 v[21:24], v135 offset:480
	ds_load_b128 v[138:141], v135 offset:496
	;; [unrolled: 1-line block ×3, first 2 shown]
	scratch_load_b64 v[146:147], off, off offset:24
	s_mov_b32 s0, exec_lo
	s_wait_loadcnt_dscnt 0x502
	v_mul_f32_e32 v136, v21, v6
	v_mul_f32_e32 v148, v23, v8
	s_wait_loadcnt_dscnt 0x300
	v_dual_mul_f32 v8, v24, v8 :: v_dual_mul_f32 v149, v142, v10
	v_mul_f32_e32 v6, v22, v6
	v_fmac_f32_e32 v136, v22, v5
	v_mul_f32_e32 v10, v143, v10
	s_delay_alu instid0(VALU_DEP_4) | instskip(SKIP_2) | instid1(VALU_DEP_2)
	v_fma_f32 v22, v23, v7, -v8
	v_dual_mul_f32 v23, v138, v2 :: v_dual_fmac_f32 v148, v24, v7
	v_dual_fmac_f32 v149, v143, v9 :: v_dual_mul_f32 v24, v140, v4
	v_dual_mul_f32 v4, v141, v4 :: v_dual_fmac_f32 v23, v139, v1
	v_fma_f32 v21, v21, v5, -v6
	ds_load_b128 v[5:8], v135 offset:528
	v_mul_f32_e32 v150, v144, v12
	v_mul_f32_e32 v12, v145, v12
	;; [unrolled: 1-line block ×3, first 2 shown]
	v_fmac_f32_e32 v24, v141, v3
	v_fma_f32 v139, v140, v3, -v4
	v_fma_f32 v140, v142, v9, -v10
	v_fmac_f32_e32 v150, v145, v11
	v_fma_f32 v141, v144, v11, -v12
	ds_load_b128 v[9:12], v135 offset:544
	s_wait_loadcnt_dscnt 0x201
	v_dual_mul_f32 v143, v7, v16 :: v_dual_mul_f32 v142, v5, v14
	v_mul_f32_e32 v14, v6, v14
	v_mul_f32_e32 v16, v8, v16
	s_delay_alu instid0(VALU_DEP_3)
	v_fmac_f32_e32 v143, v8, v15
	v_fma_f32 v138, v138, v1, -v2
	scratch_load_b128 v[1:4], off, off offset:112
	v_fmac_f32_e32 v142, v6, v13
	v_fma_f32 v13, v5, v13, -v14
	v_fma_f32 v14, v7, v15, -v16
	s_wait_loadcnt_dscnt 0x200
	v_mul_f32_e32 v15, v9, v18
	v_mul_f32_e32 v16, v10, v18
	;; [unrolled: 1-line block ×4, first 2 shown]
	ds_load_b128 v[5:8], v135 offset:560
	v_fmac_f32_e32 v15, v10, v17
	v_fma_f32 v16, v9, v17, -v16
	v_fmac_f32_e32 v18, v12, v19
	v_fma_f32 v17, v11, v19, -v20
	scratch_load_b128 v[9:12], off, off offset:128
	s_wait_loadcnt_dscnt 0x100
	v_mul_f32_e32 v19, v5, v2
	v_mul_f32_e32 v2, v6, v2
	;; [unrolled: 1-line block ×3, first 2 shown]
	s_delay_alu instid0(VALU_DEP_3) | instskip(NEXT) | instid1(VALU_DEP_3)
	v_dual_mul_f32 v4, v8, v4 :: v_dual_fmac_f32 v19, v6, v1
	v_fma_f32 v144, v5, v1, -v2
	s_delay_alu instid0(VALU_DEP_3) | instskip(NEXT) | instid1(VALU_DEP_3)
	v_fmac_f32_e32 v20, v8, v3
	v_fma_f32 v145, v7, v3, -v4
	ds_load_b128 v[1:4], v135 offset:576
	ds_load_b128 v[5:8], v135 offset:592
	s_wait_loadcnt_dscnt 0x1
	v_mul_f32_e32 v151, v1, v10
	v_mul_f32_e32 v10, v2, v10
	s_delay_alu instid0(VALU_DEP_2) | instskip(NEXT) | instid1(VALU_DEP_2)
	v_dual_mul_f32 v152, v3, v12 :: v_dual_fmac_f32 v151, v2, v9
	v_fma_f32 v153, v1, v9, -v10
	v_mul_f32_e32 v1, v4, v12
	s_delay_alu instid0(VALU_DEP_3) | instskip(NEXT) | instid1(VALU_DEP_2)
	v_fmac_f32_e32 v152, v4, v11
	v_fma_f32 v154, v3, v11, -v1
	s_clause 0x1
	scratch_load_b128 v[1:4], off, off offset:144
	scratch_load_b128 v[9:12], off, off offset:160
	s_wait_loadcnt_dscnt 0x100
	v_mul_f32_e32 v155, v5, v2
	v_dual_mul_f32 v2, v6, v2 :: v_dual_mul_f32 v157, v7, v4
	s_delay_alu instid0(VALU_DEP_2) | instskip(NEXT) | instid1(VALU_DEP_2)
	v_fmac_f32_e32 v155, v6, v1
	v_fma_f32 v156, v5, v1, -v2
	v_mul_f32_e32 v1, v8, v4
	s_delay_alu instid0(VALU_DEP_4) | instskip(NEXT) | instid1(VALU_DEP_2)
	v_fmac_f32_e32 v157, v8, v3
	v_fma_f32 v158, v7, v3, -v1
	ds_load_b128 v[1:4], v135 offset:608
	ds_load_b128 v[5:8], v135 offset:624
	s_wait_loadcnt_dscnt 0x1
	v_mul_f32_e32 v159, v1, v10
	v_mul_f32_e32 v161, v3, v12
	s_delay_alu instid0(VALU_DEP_2) | instskip(NEXT) | instid1(VALU_DEP_2)
	v_fmac_f32_e32 v159, v2, v9
	v_dual_mul_f32 v2, v2, v10 :: v_dual_fmac_f32 v161, v4, v11
	s_delay_alu instid0(VALU_DEP_1) | instskip(SKIP_1) | instid1(VALU_DEP_1)
	v_fma_f32 v160, v1, v9, -v2
	v_mul_f32_e32 v1, v4, v12
	v_fma_f32 v162, v3, v11, -v1
	s_clause 0x1
	scratch_load_b128 v[1:4], off, off offset:176
	scratch_load_b128 v[9:12], off, off offset:192
	s_wait_loadcnt_dscnt 0x100
	v_mul_f32_e32 v163, v5, v2
	v_dual_mul_f32 v2, v6, v2 :: v_dual_mul_f32 v165, v7, v4
	s_delay_alu instid0(VALU_DEP_2) | instskip(NEXT) | instid1(VALU_DEP_2)
	v_fmac_f32_e32 v163, v6, v1
	v_fma_f32 v164, v5, v1, -v2
	v_mul_f32_e32 v1, v8, v4
	s_delay_alu instid0(VALU_DEP_4) | instskip(NEXT) | instid1(VALU_DEP_2)
	v_fmac_f32_e32 v165, v8, v3
	v_fma_f32 v166, v7, v3, -v1
	ds_load_b128 v[1:4], v135 offset:640
	ds_load_b128 v[5:8], v135 offset:656
	s_wait_loadcnt_dscnt 0x1
	v_mul_f32_e32 v167, v1, v10
	v_mul_f32_e32 v169, v3, v12
	s_delay_alu instid0(VALU_DEP_2) | instskip(NEXT) | instid1(VALU_DEP_2)
	v_fmac_f32_e32 v167, v2, v9
	v_dual_mul_f32 v2, v2, v10 :: v_dual_fmac_f32 v169, v4, v11
	s_delay_alu instid0(VALU_DEP_1) | instskip(SKIP_1) | instid1(VALU_DEP_1)
	v_fma_f32 v168, v1, v9, -v2
	v_mul_f32_e32 v1, v4, v12
	;; [unrolled: 25-line block ×6, first 2 shown]
	v_fma_f32 v202, v3, v11, -v1
	s_clause 0x1
	scratch_load_b128 v[1:4], off, off offset:336
	scratch_load_b128 v[9:12], off, off offset:352
	s_wait_loadcnt_dscnt 0x100
	v_mul_f32_e32 v203, v5, v2
	v_mul_f32_e32 v2, v6, v2
	s_delay_alu instid0(VALU_DEP_2) | instskip(NEXT) | instid1(VALU_DEP_2)
	v_fmac_f32_e32 v203, v6, v1
	v_fma_f32 v204, v5, v1, -v2
	v_add_f32_e32 v2, 0, v136
	s_delay_alu instid0(VALU_DEP_1) | instskip(NEXT) | instid1(VALU_DEP_1)
	v_add_f32_e32 v2, v2, v148
	v_add_f32_e32 v2, v2, v23
	s_delay_alu instid0(VALU_DEP_1) | instskip(NEXT) | instid1(VALU_DEP_1)
	v_add_f32_e32 v2, v2, v24
	;; [unrolled: 3-line block ×3, first 2 shown]
	v_dual_add_f32 v2, v2, v142 :: v_dual_mul_f32 v1, v8, v4
	s_delay_alu instid0(VALU_DEP_1) | instskip(NEXT) | instid1(VALU_DEP_2)
	v_add_f32_e32 v2, v2, v143
	v_fma_f32 v206, v7, v3, -v1
	s_delay_alu instid0(VALU_DEP_2) | instskip(NEXT) | instid1(VALU_DEP_1)
	v_dual_add_f32 v1, 0, v21 :: v_dual_add_f32 v2, v2, v15
	v_add_f32_e32 v1, v1, v22
	s_delay_alu instid0(VALU_DEP_2) | instskip(NEXT) | instid1(VALU_DEP_1)
	v_add_f32_e32 v2, v2, v18
	v_dual_add_f32 v1, v1, v138 :: v_dual_add_f32 v2, v2, v19
	s_delay_alu instid0(VALU_DEP_1) | instskip(SKIP_2) | instid1(VALU_DEP_1)
	v_dual_add_f32 v2, v2, v20 :: v_dual_add_f32 v1, v1, v139
	scratch_load_b64 v[138:139], off, off offset:432
	v_dual_add_f32 v2, v2, v151 :: v_dual_add_f32 v1, v1, v140
	v_dual_add_f32 v2, v2, v152 :: v_dual_add_f32 v1, v1, v141
	s_delay_alu instid0(VALU_DEP_1) | instskip(NEXT) | instid1(VALU_DEP_1)
	v_dual_add_f32 v2, v2, v155 :: v_dual_add_f32 v1, v1, v13
	v_dual_add_f32 v2, v2, v157 :: v_dual_add_f32 v1, v1, v14
	s_delay_alu instid0(VALU_DEP_1) | instskip(NEXT) | instid1(VALU_DEP_1)
	v_dual_add_f32 v2, v2, v159 :: v_dual_add_f32 v1, v1, v16
	v_add_f32_e32 v2, v2, v161
	s_delay_alu instid0(VALU_DEP_1) | instskip(NEXT) | instid1(VALU_DEP_1)
	v_dual_add_f32 v1, v1, v17 :: v_dual_add_f32 v2, v2, v163
	v_dual_add_f32 v1, v1, v144 :: v_dual_add_f32 v2, v2, v165
	s_delay_alu instid0(VALU_DEP_1) | instskip(NEXT) | instid1(VALU_DEP_1)
	v_dual_add_f32 v1, v1, v145 :: v_dual_add_f32 v2, v2, v167
	v_add_f32_e32 v1, v1, v153
	s_delay_alu instid0(VALU_DEP_1) | instskip(NEXT) | instid1(VALU_DEP_1)
	v_dual_add_f32 v2, v2, v169 :: v_dual_add_f32 v1, v1, v154
	v_add_f32_e32 v1, v1, v156
	s_delay_alu instid0(VALU_DEP_1) | instskip(NEXT) | instid1(VALU_DEP_1)
	v_add_f32_e32 v1, v1, v158
	v_add_f32_e32 v1, v1, v160
	s_delay_alu instid0(VALU_DEP_1) | instskip(NEXT) | instid1(VALU_DEP_1)
	v_add_f32_e32 v1, v1, v162
	;; [unrolled: 3-line block ×6, first 2 shown]
	v_add_f32_e32 v6, v1, v180
	v_dual_add_f32 v2, v2, v171 :: v_dual_mul_f32 v205, v7, v4
	s_delay_alu instid0(VALU_DEP_2) | instskip(NEXT) | instid1(VALU_DEP_2)
	v_add_f32_e32 v14, v6, v182
	v_dual_add_f32 v2, v2, v173 :: v_dual_fmac_f32 v205, v8, v3
	s_delay_alu instid0(VALU_DEP_2) | instskip(NEXT) | instid1(VALU_DEP_2)
	v_add_f32_e32 v14, v14, v184
	v_add_f32_e32 v2, v2, v175
	s_delay_alu instid0(VALU_DEP_2) | instskip(NEXT) | instid1(VALU_DEP_2)
	v_add_f32_e32 v17, v14, v186
	v_add_f32_e32 v5, v2, v177
	scratch_load_b128 v[1:4], off, off offset:368
	v_add_f32_e32 v17, v17, v188
	v_add_f32_e32 v13, v5, v179
	ds_load_b128 v[5:8], v135 offset:800
	v_add_f32_e32 v17, v17, v190
	v_add_f32_e32 v13, v13, v181
	s_delay_alu instid0(VALU_DEP_2) | instskip(NEXT) | instid1(VALU_DEP_2)
	v_add_f32_e32 v17, v17, v192
	v_add_f32_e32 v13, v13, v183
	s_delay_alu instid0(VALU_DEP_2) | instskip(NEXT) | instid1(VALU_DEP_2)
	v_add_f32_e32 v22, v17, v194
	v_add_f32_e32 v18, v13, v185
	ds_load_b128 v[13:16], v135 offset:816
	v_add_f32_e32 v22, v22, v196
	s_wait_loadcnt_dscnt 0x201
	v_mul_f32_e32 v136, v5, v10
	v_mul_f32_e32 v10, v6, v10
	;; [unrolled: 1-line block ×4, first 2 shown]
	v_add_f32_e32 v22, v22, v198
	v_fmac_f32_e32 v136, v6, v9
	v_fma_f32 v143, v5, v9, -v10
	v_fmac_f32_e32 v142, v8, v11
	v_fma_f32 v144, v7, v11, -v12
	scratch_load_b128 v[5:8], off, off offset:384
	v_add_f32_e32 v18, v18, v187
	scratch_load_b128 v[9:12], off, off offset:400
	v_add_f32_e32 v22, v22, v200
	v_add_f32_e32 v18, v18, v189
	s_delay_alu instid0(VALU_DEP_1) | instskip(SKIP_3) | instid1(VALU_DEP_1)
	v_add_f32_e32 v21, v18, v191
	scratch_load_b128 v[17:20], off, off offset:416
	s_wait_loadcnt_dscnt 0x300
	v_dual_add_f32 v21, v21, v193 :: v_dual_mul_f32 v148, v15, v4
	v_add_f32_e32 v21, v21, v195
	v_mul_f32_e32 v145, v13, v2
	v_mul_f32_e32 v2, v14, v2
	;; [unrolled: 1-line block ×3, first 2 shown]
	s_delay_alu instid0(VALU_DEP_4) | instskip(NEXT) | instid1(VALU_DEP_4)
	v_dual_fmac_f32 v148, v16, v3 :: v_dual_add_f32 v21, v21, v197
	v_fmac_f32_e32 v145, v14, v1
	s_delay_alu instid0(VALU_DEP_4)
	v_fma_f32 v149, v13, v1, -v2
	v_add_f32_e32 v14, v22, v202
	v_fma_f32 v150, v15, v3, -v4
	v_add_f32_e32 v13, v21, v199
	ds_load_b128 v[1:4], v135 offset:832
	v_dual_add_f32 v140, v14, v204 :: v_dual_add_f32 v21, v13, v201
	ds_load_b128 v[13:16], v135 offset:848
	v_add_f32_e32 v151, v140, v206
	v_add_f32_e32 v141, v21, v203
	ds_load_b128 v[21:24], v135 offset:864
	v_dual_add_f32 v143, v151, v143 :: v_dual_add_f32 v152, v141, v205
	ds_load_b64 v[140:141], v135 offset:880
	v_add_f32_e32 v143, v143, v144
	s_wait_loadcnt_dscnt 0x203
	v_dual_add_f32 v136, v152, v136 :: v_dual_mul_f32 v151, v1, v6
	v_mul_f32_e32 v6, v2, v6
	s_delay_alu instid0(VALU_DEP_2) | instskip(SKIP_2) | instid1(VALU_DEP_4)
	v_dual_add_f32 v136, v136, v142 :: v_dual_add_f32 v143, v143, v149
	v_mul_f32_e32 v142, v3, v8
	v_mul_f32_e32 v8, v4, v8
	v_fma_f32 v1, v1, v5, -v6
	s_delay_alu instid0(VALU_DEP_4) | instskip(SKIP_3) | instid1(VALU_DEP_3)
	v_dual_add_f32 v136, v136, v145 :: v_dual_add_f32 v143, v143, v150
	s_wait_loadcnt_dscnt 0x102
	v_dual_fmac_f32 v151, v2, v5 :: v_dual_mul_f32 v144, v13, v10
	v_fmac_f32_e32 v142, v4, v7
	v_add_f32_e32 v136, v136, v148
	v_fma_f32 v2, v3, v7, -v8
	v_mul_f32_e32 v3, v14, v10
	v_add_f32_e32 v1, v143, v1
	s_delay_alu instid0(VALU_DEP_4) | instskip(SKIP_1) | instid1(VALU_DEP_4)
	v_dual_mul_f32 v145, v15, v12 :: v_dual_add_f32 v4, v136, v151
	v_dual_mul_f32 v5, v16, v12 :: v_dual_fmac_f32 v144, v14, v9
	v_fma_f32 v3, v13, v9, -v3
	s_delay_alu instid0(VALU_DEP_4) | instskip(NEXT) | instid1(VALU_DEP_4)
	v_add_f32_e32 v1, v1, v2
	v_add_f32_e32 v2, v4, v142
	s_wait_loadcnt_dscnt 0x1
	v_mul_f32_e32 v149, v21, v18
	v_dual_mul_f32 v4, v22, v18 :: v_dual_fmac_f32 v145, v16, v11
	v_fma_f32 v5, v15, v11, -v5
	v_dual_add_f32 v1, v1, v3 :: v_dual_add_f32 v2, v2, v144
	v_mul_f32_e32 v150, v23, v20
	v_mul_f32_e32 v3, v24, v20
	v_fmac_f32_e32 v149, v22, v17
	v_fma_f32 v4, v21, v17, -v4
	v_add_f32_e32 v1, v1, v5
	v_add_f32_e32 v2, v2, v145
	s_wait_dscnt 0x0
	v_mul_f32_e32 v148, v140, v139
	v_mul_f32_e32 v5, v141, v139
	v_fmac_f32_e32 v150, v24, v19
	v_fma_f32 v3, v23, v19, -v3
	v_dual_add_f32 v1, v1, v4 :: v_dual_add_f32 v2, v2, v149
	v_fmac_f32_e32 v148, v141, v138
	v_fma_f32 v4, v140, v138, -v5
	s_delay_alu instid0(VALU_DEP_3) | instskip(NEXT) | instid1(VALU_DEP_1)
	v_dual_add_f32 v1, v1, v3 :: v_dual_add_f32 v2, v2, v150
	v_add_f32_e32 v1, v1, v4
	s_delay_alu instid0(VALU_DEP_2) | instskip(NEXT) | instid1(VALU_DEP_1)
	v_add_f32_e32 v2, v2, v148
	v_dual_sub_f32 v1, v146, v1 :: v_dual_sub_f32 v2, v147, v2
	scratch_store_b64 off, v[1:2], off offset:24
	v_cmpx_lt_u32_e32 2, v0
	s_cbranch_execz .LBB54_339
; %bb.338:
	scratch_load_b64 v[1:2], off, off offset:16
	v_mov_b32_e32 v136, v135
	scratch_store_b64 off, v[135:136], off offset:16
	s_wait_loadcnt 0x0
	ds_store_b64 v137, v[1:2]
.LBB54_339:
	s_wait_alu 0xfffe
	s_or_b32 exec_lo, exec_lo, s0
	s_wait_storecnt_dscnt 0x0
	s_barrier_signal -1
	s_barrier_wait -1
	global_inv scope:SCOPE_SE
	s_clause 0x4
	scratch_load_b128 v[5:8], off, off offset:24
	scratch_load_b128 v[1:4], off, off offset:40
	;; [unrolled: 1-line block ×5, first 2 shown]
	ds_load_2addr_b64 v[21:24], v135 offset0:59 offset1:60
	ds_load_2addr_b64 v[138:141], v135 offset0:61 offset1:62
	;; [unrolled: 1-line block ×3, first 2 shown]
	scratch_load_b64 v[146:147], off, off offset:16
	s_mov_b32 s0, exec_lo
	s_wait_loadcnt_dscnt 0x502
	v_mul_f32_e32 v136, v21, v6
	v_mul_f32_e32 v148, v23, v8
	s_wait_loadcnt_dscnt 0x300
	v_dual_mul_f32 v8, v24, v8 :: v_dual_mul_f32 v149, v142, v10
	v_mul_f32_e32 v6, v22, v6
	v_fmac_f32_e32 v136, v22, v5
	v_mul_f32_e32 v10, v143, v10
	s_delay_alu instid0(VALU_DEP_4)
	v_fma_f32 v22, v23, v7, -v8
	v_dual_mul_f32 v23, v138, v2 :: v_dual_fmac_f32 v148, v24, v7
	v_fmac_f32_e32 v149, v143, v9
	v_fma_f32 v21, v21, v5, -v6
	ds_load_2addr_b64 v[5:8], v135 offset0:65 offset1:66
	v_mul_f32_e32 v24, v140, v4
	v_mul_f32_e32 v4, v141, v4
	v_mul_f32_e32 v150, v144, v12
	v_mul_f32_e32 v12, v145, v12
	v_mul_f32_e32 v2, v139, v2
	v_dual_fmac_f32 v23, v139, v1 :: v_dual_fmac_f32 v24, v141, v3
	v_fma_f32 v139, v140, v3, -v4
	v_fma_f32 v140, v142, v9, -v10
	v_fmac_f32_e32 v150, v145, v11
	v_fma_f32 v141, v144, v11, -v12
	ds_load_2addr_b64 v[9:12], v135 offset0:67 offset1:68
	s_wait_loadcnt_dscnt 0x201
	v_dual_mul_f32 v143, v7, v16 :: v_dual_mul_f32 v142, v5, v14
	v_mul_f32_e32 v14, v6, v14
	v_mul_f32_e32 v16, v8, v16
	s_delay_alu instid0(VALU_DEP_3)
	v_fmac_f32_e32 v143, v8, v15
	v_fma_f32 v138, v138, v1, -v2
	scratch_load_b128 v[1:4], off, off offset:104
	v_fmac_f32_e32 v142, v6, v13
	v_fma_f32 v13, v5, v13, -v14
	v_fma_f32 v14, v7, v15, -v16
	ds_load_2addr_b64 v[5:8], v135 offset0:69 offset1:70
	s_wait_loadcnt_dscnt 0x201
	v_mul_f32_e32 v15, v9, v18
	v_mul_f32_e32 v16, v10, v18
	;; [unrolled: 1-line block ×3, first 2 shown]
	s_delay_alu instid0(VALU_DEP_3) | instskip(NEXT) | instid1(VALU_DEP_3)
	v_dual_mul_f32 v20, v12, v20 :: v_dual_fmac_f32 v15, v10, v17
	v_fma_f32 v16, v9, v17, -v16
	s_delay_alu instid0(VALU_DEP_3) | instskip(NEXT) | instid1(VALU_DEP_3)
	v_fmac_f32_e32 v18, v12, v19
	v_fma_f32 v17, v11, v19, -v20
	scratch_load_b128 v[9:12], off, off offset:120
	s_wait_loadcnt_dscnt 0x100
	v_mul_f32_e32 v19, v5, v2
	v_mul_f32_e32 v2, v6, v2
	;; [unrolled: 1-line block ×3, first 2 shown]
	s_delay_alu instid0(VALU_DEP_3) | instskip(NEXT) | instid1(VALU_DEP_3)
	v_dual_mul_f32 v4, v8, v4 :: v_dual_fmac_f32 v19, v6, v1
	v_fma_f32 v144, v5, v1, -v2
	s_delay_alu instid0(VALU_DEP_3) | instskip(NEXT) | instid1(VALU_DEP_3)
	v_fmac_f32_e32 v20, v8, v3
	v_fma_f32 v145, v7, v3, -v4
	ds_load_2addr_b64 v[1:4], v135 offset0:71 offset1:72
	ds_load_2addr_b64 v[5:8], v135 offset0:73 offset1:74
	s_wait_loadcnt_dscnt 0x1
	v_mul_f32_e32 v151, v1, v10
	v_mul_f32_e32 v10, v2, v10
	s_delay_alu instid0(VALU_DEP_2) | instskip(NEXT) | instid1(VALU_DEP_2)
	v_dual_mul_f32 v152, v3, v12 :: v_dual_fmac_f32 v151, v2, v9
	v_fma_f32 v153, v1, v9, -v10
	v_mul_f32_e32 v1, v4, v12
	s_delay_alu instid0(VALU_DEP_3) | instskip(NEXT) | instid1(VALU_DEP_2)
	v_fmac_f32_e32 v152, v4, v11
	v_fma_f32 v154, v3, v11, -v1
	s_clause 0x1
	scratch_load_b128 v[1:4], off, off offset:136
	scratch_load_b128 v[9:12], off, off offset:152
	s_wait_loadcnt_dscnt 0x100
	v_mul_f32_e32 v155, v5, v2
	v_dual_mul_f32 v2, v6, v2 :: v_dual_mul_f32 v157, v7, v4
	s_delay_alu instid0(VALU_DEP_2) | instskip(NEXT) | instid1(VALU_DEP_2)
	v_fmac_f32_e32 v155, v6, v1
	v_fma_f32 v156, v5, v1, -v2
	v_mul_f32_e32 v1, v8, v4
	s_delay_alu instid0(VALU_DEP_4) | instskip(NEXT) | instid1(VALU_DEP_2)
	v_fmac_f32_e32 v157, v8, v3
	v_fma_f32 v158, v7, v3, -v1
	ds_load_2addr_b64 v[1:4], v135 offset0:75 offset1:76
	ds_load_2addr_b64 v[5:8], v135 offset0:77 offset1:78
	s_wait_loadcnt_dscnt 0x1
	v_mul_f32_e32 v159, v1, v10
	v_mul_f32_e32 v161, v3, v12
	s_delay_alu instid0(VALU_DEP_2) | instskip(NEXT) | instid1(VALU_DEP_2)
	v_fmac_f32_e32 v159, v2, v9
	v_dual_mul_f32 v2, v2, v10 :: v_dual_fmac_f32 v161, v4, v11
	s_delay_alu instid0(VALU_DEP_1) | instskip(SKIP_1) | instid1(VALU_DEP_1)
	v_fma_f32 v160, v1, v9, -v2
	v_mul_f32_e32 v1, v4, v12
	v_fma_f32 v162, v3, v11, -v1
	s_clause 0x1
	scratch_load_b128 v[1:4], off, off offset:168
	scratch_load_b128 v[9:12], off, off offset:184
	s_wait_loadcnt_dscnt 0x100
	v_mul_f32_e32 v163, v5, v2
	v_dual_mul_f32 v2, v6, v2 :: v_dual_mul_f32 v165, v7, v4
	s_delay_alu instid0(VALU_DEP_2) | instskip(NEXT) | instid1(VALU_DEP_2)
	v_fmac_f32_e32 v163, v6, v1
	v_fma_f32 v164, v5, v1, -v2
	v_mul_f32_e32 v1, v8, v4
	s_delay_alu instid0(VALU_DEP_4) | instskip(NEXT) | instid1(VALU_DEP_2)
	v_fmac_f32_e32 v165, v8, v3
	v_fma_f32 v166, v7, v3, -v1
	ds_load_2addr_b64 v[1:4], v135 offset0:79 offset1:80
	ds_load_2addr_b64 v[5:8], v135 offset0:81 offset1:82
	s_wait_loadcnt_dscnt 0x1
	v_mul_f32_e32 v167, v1, v10
	v_mul_f32_e32 v169, v3, v12
	s_delay_alu instid0(VALU_DEP_2) | instskip(NEXT) | instid1(VALU_DEP_2)
	v_fmac_f32_e32 v167, v2, v9
	v_dual_mul_f32 v2, v2, v10 :: v_dual_fmac_f32 v169, v4, v11
	s_delay_alu instid0(VALU_DEP_1) | instskip(SKIP_1) | instid1(VALU_DEP_1)
	v_fma_f32 v168, v1, v9, -v2
	v_mul_f32_e32 v1, v4, v12
	v_fma_f32 v170, v3, v11, -v1
	s_clause 0x1
	scratch_load_b128 v[1:4], off, off offset:200
	scratch_load_b128 v[9:12], off, off offset:216
	s_wait_loadcnt_dscnt 0x100
	v_mul_f32_e32 v171, v5, v2
	v_dual_mul_f32 v2, v6, v2 :: v_dual_mul_f32 v173, v7, v4
	s_delay_alu instid0(VALU_DEP_2) | instskip(NEXT) | instid1(VALU_DEP_2)
	v_fmac_f32_e32 v171, v6, v1
	v_fma_f32 v172, v5, v1, -v2
	v_mul_f32_e32 v1, v8, v4
	s_delay_alu instid0(VALU_DEP_4) | instskip(NEXT) | instid1(VALU_DEP_2)
	v_fmac_f32_e32 v173, v8, v3
	v_fma_f32 v174, v7, v3, -v1
	ds_load_2addr_b64 v[1:4], v135 offset0:83 offset1:84
	ds_load_2addr_b64 v[5:8], v135 offset0:85 offset1:86
	s_wait_loadcnt_dscnt 0x1
	v_mul_f32_e32 v175, v1, v10
	v_mul_f32_e32 v177, v3, v12
	s_delay_alu instid0(VALU_DEP_2) | instskip(NEXT) | instid1(VALU_DEP_2)
	v_fmac_f32_e32 v175, v2, v9
	v_dual_mul_f32 v2, v2, v10 :: v_dual_fmac_f32 v177, v4, v11
	s_delay_alu instid0(VALU_DEP_1) | instskip(SKIP_1) | instid1(VALU_DEP_1)
	v_fma_f32 v176, v1, v9, -v2
	v_mul_f32_e32 v1, v4, v12
	v_fma_f32 v178, v3, v11, -v1
	s_clause 0x1
	scratch_load_b128 v[1:4], off, off offset:232
	scratch_load_b128 v[9:12], off, off offset:248
	s_wait_loadcnt_dscnt 0x100
	v_mul_f32_e32 v179, v5, v2
	v_dual_mul_f32 v2, v6, v2 :: v_dual_mul_f32 v181, v7, v4
	s_delay_alu instid0(VALU_DEP_2) | instskip(NEXT) | instid1(VALU_DEP_2)
	v_fmac_f32_e32 v179, v6, v1
	v_fma_f32 v180, v5, v1, -v2
	v_mul_f32_e32 v1, v8, v4
	s_delay_alu instid0(VALU_DEP_4) | instskip(NEXT) | instid1(VALU_DEP_2)
	v_fmac_f32_e32 v181, v8, v3
	v_fma_f32 v182, v7, v3, -v1
	ds_load_2addr_b64 v[1:4], v135 offset0:87 offset1:88
	ds_load_2addr_b64 v[5:8], v135 offset0:89 offset1:90
	s_wait_loadcnt_dscnt 0x1
	v_mul_f32_e32 v183, v1, v10
	v_mul_f32_e32 v185, v3, v12
	s_delay_alu instid0(VALU_DEP_2) | instskip(NEXT) | instid1(VALU_DEP_2)
	v_fmac_f32_e32 v183, v2, v9
	v_dual_mul_f32 v2, v2, v10 :: v_dual_fmac_f32 v185, v4, v11
	s_delay_alu instid0(VALU_DEP_1) | instskip(SKIP_1) | instid1(VALU_DEP_1)
	v_fma_f32 v184, v1, v9, -v2
	v_mul_f32_e32 v1, v4, v12
	v_fma_f32 v186, v3, v11, -v1
	s_clause 0x1
	scratch_load_b128 v[1:4], off, off offset:264
	scratch_load_b128 v[9:12], off, off offset:280
	s_wait_loadcnt_dscnt 0x100
	v_mul_f32_e32 v187, v5, v2
	v_dual_mul_f32 v2, v6, v2 :: v_dual_mul_f32 v189, v7, v4
	s_delay_alu instid0(VALU_DEP_2) | instskip(NEXT) | instid1(VALU_DEP_2)
	v_fmac_f32_e32 v187, v6, v1
	v_fma_f32 v188, v5, v1, -v2
	v_mul_f32_e32 v1, v8, v4
	s_delay_alu instid0(VALU_DEP_4) | instskip(NEXT) | instid1(VALU_DEP_2)
	v_fmac_f32_e32 v189, v8, v3
	v_fma_f32 v190, v7, v3, -v1
	ds_load_2addr_b64 v[1:4], v135 offset0:91 offset1:92
	ds_load_2addr_b64 v[5:8], v135 offset0:93 offset1:94
	s_wait_loadcnt_dscnt 0x1
	v_mul_f32_e32 v191, v1, v10
	v_mul_f32_e32 v193, v3, v12
	s_delay_alu instid0(VALU_DEP_2) | instskip(NEXT) | instid1(VALU_DEP_2)
	v_fmac_f32_e32 v191, v2, v9
	v_dual_mul_f32 v2, v2, v10 :: v_dual_fmac_f32 v193, v4, v11
	s_delay_alu instid0(VALU_DEP_1) | instskip(SKIP_1) | instid1(VALU_DEP_1)
	v_fma_f32 v192, v1, v9, -v2
	v_mul_f32_e32 v1, v4, v12
	v_fma_f32 v194, v3, v11, -v1
	s_clause 0x1
	scratch_load_b128 v[1:4], off, off offset:296
	scratch_load_b128 v[9:12], off, off offset:312
	s_wait_loadcnt_dscnt 0x100
	v_mul_f32_e32 v195, v5, v2
	v_dual_mul_f32 v2, v6, v2 :: v_dual_mul_f32 v197, v7, v4
	s_delay_alu instid0(VALU_DEP_2) | instskip(NEXT) | instid1(VALU_DEP_2)
	v_fmac_f32_e32 v195, v6, v1
	v_fma_f32 v196, v5, v1, -v2
	v_mul_f32_e32 v1, v8, v4
	s_delay_alu instid0(VALU_DEP_4) | instskip(NEXT) | instid1(VALU_DEP_2)
	v_fmac_f32_e32 v197, v8, v3
	v_fma_f32 v198, v7, v3, -v1
	ds_load_2addr_b64 v[1:4], v135 offset0:95 offset1:96
	ds_load_2addr_b64 v[5:8], v135 offset0:97 offset1:98
	s_wait_loadcnt_dscnt 0x1
	v_mul_f32_e32 v199, v1, v10
	v_mul_f32_e32 v201, v3, v12
	s_delay_alu instid0(VALU_DEP_2) | instskip(NEXT) | instid1(VALU_DEP_2)
	v_fmac_f32_e32 v199, v2, v9
	v_dual_mul_f32 v2, v2, v10 :: v_dual_fmac_f32 v201, v4, v11
	s_delay_alu instid0(VALU_DEP_1) | instskip(SKIP_1) | instid1(VALU_DEP_1)
	v_fma_f32 v200, v1, v9, -v2
	v_mul_f32_e32 v1, v4, v12
	v_fma_f32 v202, v3, v11, -v1
	s_clause 0x1
	scratch_load_b128 v[1:4], off, off offset:328
	scratch_load_b128 v[9:12], off, off offset:344
	s_wait_loadcnt_dscnt 0x100
	v_mul_f32_e32 v203, v5, v2
	v_dual_mul_f32 v2, v6, v2 :: v_dual_mul_f32 v205, v7, v4
	s_delay_alu instid0(VALU_DEP_2) | instskip(NEXT) | instid1(VALU_DEP_2)
	v_fmac_f32_e32 v203, v6, v1
	v_fma_f32 v204, v5, v1, -v2
	v_mul_f32_e32 v1, v8, v4
	s_delay_alu instid0(VALU_DEP_4) | instskip(NEXT) | instid1(VALU_DEP_2)
	v_fmac_f32_e32 v205, v8, v3
	v_fma_f32 v206, v7, v3, -v1
	ds_load_2addr_b64 v[1:4], v135 offset0:99 offset1:100
	ds_load_2addr_b64 v[5:8], v135 offset0:101 offset1:102
	s_wait_loadcnt_dscnt 0x1
	v_mul_f32_e32 v207, v1, v10
	v_mul_f32_e32 v209, v3, v12
	s_delay_alu instid0(VALU_DEP_2) | instskip(NEXT) | instid1(VALU_DEP_2)
	v_fmac_f32_e32 v207, v2, v9
	v_dual_mul_f32 v2, v2, v10 :: v_dual_fmac_f32 v209, v4, v11
	s_delay_alu instid0(VALU_DEP_1) | instskip(SKIP_1) | instid1(VALU_DEP_1)
	v_fma_f32 v208, v1, v9, -v2
	v_mul_f32_e32 v1, v4, v12
	v_fma_f32 v210, v3, v11, -v1
	s_clause 0x1
	scratch_load_b128 v[1:4], off, off offset:360
	scratch_load_b128 v[9:12], off, off offset:376
	s_wait_loadcnt_dscnt 0x100
	v_mul_f32_e32 v211, v5, v2
	v_mul_f32_e32 v2, v6, v2
	s_delay_alu instid0(VALU_DEP_2) | instskip(NEXT) | instid1(VALU_DEP_2)
	v_fmac_f32_e32 v211, v6, v1
	v_fma_f32 v212, v5, v1, -v2
	v_add_f32_e32 v2, 0, v136
	v_mul_f32_e32 v1, v8, v4
	s_delay_alu instid0(VALU_DEP_2) | instskip(NEXT) | instid1(VALU_DEP_2)
	v_add_f32_e32 v2, v2, v148
	v_fma_f32 v214, v7, v3, -v1
	s_delay_alu instid0(VALU_DEP_2) | instskip(NEXT) | instid1(VALU_DEP_1)
	v_dual_add_f32 v1, 0, v21 :: v_dual_add_f32 v2, v2, v23
	v_add_f32_e32 v2, v2, v24
	s_delay_alu instid0(VALU_DEP_1) | instskip(NEXT) | instid1(VALU_DEP_1)
	v_add_f32_e32 v2, v2, v149
	v_add_f32_e32 v2, v2, v150
	s_delay_alu instid0(VALU_DEP_1) | instskip(NEXT) | instid1(VALU_DEP_1)
	v_add_f32_e32 v2, v2, v142
	;; [unrolled: 3-line block ×4, first 2 shown]
	v_dual_add_f32 v2, v2, v20 :: v_dual_add_f32 v1, v1, v22
	s_delay_alu instid0(VALU_DEP_1) | instskip(NEXT) | instid1(VALU_DEP_1)
	v_dual_add_f32 v2, v2, v151 :: v_dual_add_f32 v1, v1, v138
	v_dual_add_f32 v2, v2, v152 :: v_dual_add_f32 v1, v1, v139
	s_delay_alu instid0(VALU_DEP_1) | instskip(NEXT) | instid1(VALU_DEP_1)
	v_dual_add_f32 v2, v2, v155 :: v_dual_add_f32 v1, v1, v140
	v_add_f32_e32 v2, v2, v157
	s_delay_alu instid0(VALU_DEP_1) | instskip(NEXT) | instid1(VALU_DEP_1)
	v_dual_add_f32 v1, v1, v141 :: v_dual_add_f32 v2, v2, v159
	v_add_f32_e32 v1, v1, v13
	s_delay_alu instid0(VALU_DEP_1) | instskip(NEXT) | instid1(VALU_DEP_1)
	v_dual_add_f32 v2, v2, v161 :: v_dual_add_f32 v1, v1, v14
	v_dual_add_f32 v2, v2, v163 :: v_dual_add_f32 v1, v1, v16
	s_delay_alu instid0(VALU_DEP_1) | instskip(NEXT) | instid1(VALU_DEP_1)
	v_add_f32_e32 v2, v2, v165
	v_dual_add_f32 v1, v1, v17 :: v_dual_add_f32 v2, v2, v167
	s_delay_alu instid0(VALU_DEP_1) | instskip(NEXT) | instid1(VALU_DEP_1)
	v_dual_add_f32 v1, v1, v144 :: v_dual_add_f32 v2, v2, v169
	v_add_f32_e32 v1, v1, v145
	s_delay_alu instid0(VALU_DEP_1) | instskip(NEXT) | instid1(VALU_DEP_1)
	v_add_f32_e32 v1, v1, v153
	v_add_f32_e32 v1, v1, v154
	s_delay_alu instid0(VALU_DEP_1) | instskip(NEXT) | instid1(VALU_DEP_1)
	v_add_f32_e32 v1, v1, v156
	v_add_f32_e32 v1, v1, v158
	s_delay_alu instid0(VALU_DEP_1) | instskip(NEXT) | instid1(VALU_DEP_1)
	v_add_f32_e32 v1, v1, v160
	v_add_f32_e32 v1, v1, v162
	s_delay_alu instid0(VALU_DEP_1) | instskip(NEXT) | instid1(VALU_DEP_1)
	v_add_f32_e32 v1, v1, v164
	v_add_f32_e32 v1, v1, v166
	s_delay_alu instid0(VALU_DEP_1) | instskip(NEXT) | instid1(VALU_DEP_1)
	v_add_f32_e32 v1, v1, v168
	v_add_f32_e32 v1, v1, v170
	s_delay_alu instid0(VALU_DEP_1) | instskip(NEXT) | instid1(VALU_DEP_1)
	v_add_f32_e32 v1, v1, v172
	v_add_f32_e32 v1, v1, v174
	s_delay_alu instid0(VALU_DEP_1) | instskip(NEXT) | instid1(VALU_DEP_1)
	v_add_f32_e32 v1, v1, v176
	v_add_f32_e32 v1, v1, v178
	s_delay_alu instid0(VALU_DEP_1) | instskip(NEXT) | instid1(VALU_DEP_1)
	v_add_f32_e32 v1, v1, v180
	v_add_f32_e32 v1, v1, v182
	s_delay_alu instid0(VALU_DEP_1) | instskip(NEXT) | instid1(VALU_DEP_1)
	v_add_f32_e32 v1, v1, v184
	v_add_f32_e32 v6, v1, v186
	v_add_f32_e32 v2, v2, v171
	s_delay_alu instid0(VALU_DEP_2) | instskip(NEXT) | instid1(VALU_DEP_2)
	v_add_f32_e32 v6, v6, v188
	v_add_f32_e32 v2, v2, v173
	s_delay_alu instid0(VALU_DEP_2) | instskip(NEXT) | instid1(VALU_DEP_1)
	v_add_f32_e32 v13, v6, v190
	v_dual_add_f32 v2, v2, v175 :: v_dual_add_f32 v13, v13, v192
	s_delay_alu instid0(VALU_DEP_1) | instskip(NEXT) | instid1(VALU_DEP_1)
	v_dual_add_f32 v2, v2, v177 :: v_dual_add_f32 v13, v13, v194
	v_dual_add_f32 v2, v2, v179 :: v_dual_add_f32 v13, v13, v196
	s_delay_alu instid0(VALU_DEP_1) | instskip(NEXT) | instid1(VALU_DEP_1)
	v_add_f32_e32 v2, v2, v181
	v_dual_add_f32 v18, v13, v198 :: v_dual_add_f32 v5, v2, v183
	s_delay_alu instid0(VALU_DEP_1) | instskip(NEXT) | instid1(VALU_DEP_1)
	v_dual_add_f32 v18, v18, v200 :: v_dual_add_f32 v5, v5, v185
	v_dual_add_f32 v18, v18, v202 :: v_dual_add_f32 v5, v5, v187
	s_delay_alu instid0(VALU_DEP_1) | instskip(SKIP_1) | instid1(VALU_DEP_2)
	v_dual_add_f32 v21, v18, v204 :: v_dual_add_f32 v14, v5, v189
	v_mul_f32_e32 v213, v7, v4
	v_dual_add_f32 v141, v21, v206 :: v_dual_add_f32 v14, v14, v191
	s_delay_alu instid0(VALU_DEP_2) | instskip(SKIP_3) | instid1(VALU_DEP_1)
	v_fmac_f32_e32 v213, v8, v3
	ds_load_2addr_b64 v[1:4], v135 offset0:103 offset1:104
	ds_load_2addr_b64 v[5:8], v135 offset0:105 offset1:106
	v_add_f32_e32 v14, v14, v193
	v_add_f32_e32 v17, v14, v195
	scratch_load_b128 v[13:16], off, off offset:424
	v_add_f32_e32 v17, v17, v197
	s_delay_alu instid0(VALU_DEP_1)
	v_add_f32_e32 v17, v17, v199
	s_wait_loadcnt_dscnt 0x101
	v_mul_f32_e32 v136, v1, v10
	v_mul_f32_e32 v138, v3, v12
	;; [unrolled: 1-line block ×3, first 2 shown]
	v_dual_mul_f32 v12, v4, v12 :: v_dual_add_f32 v17, v17, v201
	s_delay_alu instid0(VALU_DEP_4) | instskip(NEXT) | instid1(VALU_DEP_4)
	v_fmac_f32_e32 v136, v2, v9
	v_fmac_f32_e32 v138, v4, v11
	s_delay_alu instid0(VALU_DEP_4) | instskip(NEXT) | instid1(VALU_DEP_4)
	v_fma_f32 v139, v1, v9, -v10
	v_fma_f32 v140, v3, v11, -v12
	s_clause 0x1
	scratch_load_b128 v[1:4], off, off offset:392
	scratch_load_b128 v[9:12], off, off offset:408
	v_add_f32_e32 v22, v17, v203
	ds_load_2addr_b64 v[17:20], v135 offset0:107 offset1:108
	v_add_f32_e32 v142, v22, v205
	ds_load_2addr_b64 v[21:24], v135 offset0:109 offset1:110
	v_add_f32_e32 v135, v141, v208
	s_delay_alu instid0(VALU_DEP_1) | instskip(NEXT) | instid1(VALU_DEP_1)
	v_add_f32_e32 v135, v135, v210
	v_add_f32_e32 v135, v135, v212
	s_delay_alu instid0(VALU_DEP_1) | instskip(SKIP_1) | instid1(VALU_DEP_1)
	v_add_f32_e32 v135, v135, v214
	s_wait_loadcnt_dscnt 0x200
	v_dual_add_f32 v135, v135, v139 :: v_dual_mul_f32 v148, v21, v14
	v_add_f32_e32 v141, v142, v207
	s_delay_alu instid0(VALU_DEP_2) | instskip(NEXT) | instid1(VALU_DEP_2)
	v_dual_mul_f32 v139, v23, v16 :: v_dual_fmac_f32 v148, v22, v13
	v_add_f32_e32 v141, v141, v209
	s_delay_alu instid0(VALU_DEP_2) | instskip(SKIP_2) | instid1(VALU_DEP_3)
	v_fmac_f32_e32 v139, v24, v15
	s_wait_loadcnt 0x1
	v_mul_f32_e32 v143, v7, v4
	v_dual_mul_f32 v4, v8, v4 :: v_dual_add_f32 v141, v141, v211
	v_mul_f32_e32 v142, v5, v2
	v_mul_f32_e32 v2, v6, v2
	s_wait_loadcnt 0x0
	v_dual_mul_f32 v144, v17, v10 :: v_dual_fmac_f32 v143, v8, v3
	v_add_f32_e32 v141, v141, v213
	v_fmac_f32_e32 v142, v6, v1
	v_fma_f32 v2, v5, v1, -v2
	v_dual_add_f32 v1, v135, v140 :: v_dual_mul_f32 v6, v18, v10
	s_delay_alu instid0(VALU_DEP_4) | instskip(SKIP_2) | instid1(VALU_DEP_4)
	v_add_f32_e32 v136, v141, v136
	v_fma_f32 v3, v7, v3, -v4
	v_mul_f32_e32 v145, v19, v12
	v_dual_add_f32 v1, v1, v2 :: v_dual_mul_f32 v4, v20, v12
	s_delay_alu instid0(VALU_DEP_4) | instskip(NEXT) | instid1(VALU_DEP_3)
	v_dual_add_f32 v5, v136, v138 :: v_dual_fmac_f32 v144, v18, v9
	v_fmac_f32_e32 v145, v20, v11
	s_delay_alu instid0(VALU_DEP_3) | instskip(SKIP_1) | instid1(VALU_DEP_4)
	v_add_f32_e32 v1, v1, v3
	v_mul_f32_e32 v3, v22, v14
	v_add_f32_e32 v2, v5, v142
	v_fma_f32 v5, v17, v9, -v6
	v_fma_f32 v4, v19, v11, -v4
	s_delay_alu instid0(VALU_DEP_4) | instskip(NEXT) | instid1(VALU_DEP_3)
	v_fma_f32 v3, v21, v13, -v3
	v_dual_add_f32 v2, v2, v143 :: v_dual_add_f32 v1, v1, v5
	v_mul_f32_e32 v5, v24, v16
	s_delay_alu instid0(VALU_DEP_2) | instskip(NEXT) | instid1(VALU_DEP_3)
	v_add_f32_e32 v2, v2, v144
	v_add_f32_e32 v1, v1, v4
	s_delay_alu instid0(VALU_DEP_3) | instskip(NEXT) | instid1(VALU_DEP_2)
	v_fma_f32 v4, v23, v15, -v5
	v_dual_add_f32 v2, v2, v145 :: v_dual_add_f32 v1, v1, v3
	s_delay_alu instid0(VALU_DEP_1) | instskip(NEXT) | instid1(VALU_DEP_1)
	v_add_f32_e32 v2, v2, v148
	v_dual_add_f32 v1, v1, v4 :: v_dual_add_f32 v2, v2, v139
	s_delay_alu instid0(VALU_DEP_1)
	v_dual_sub_f32 v1, v146, v1 :: v_dual_sub_f32 v2, v147, v2
	scratch_store_b64 off, v[1:2], off offset:16
	v_cmpx_lt_u32_e32 1, v0
	s_cbranch_execz .LBB54_341
; %bb.340:
	scratch_load_b64 v[1:2], off, off offset:8
	v_mov_b32_e32 v3, 0
	s_delay_alu instid0(VALU_DEP_1)
	v_mov_b32_e32 v4, v3
	scratch_store_b64 off, v[3:4], off offset:8
	s_wait_loadcnt 0x0
	ds_store_b64 v137, v[1:2]
.LBB54_341:
	s_wait_alu 0xfffe
	s_or_b32 exec_lo, exec_lo, s0
	s_wait_storecnt_dscnt 0x0
	s_barrier_signal -1
	s_barrier_wait -1
	global_inv scope:SCOPE_SE
	s_clause 0x4
	scratch_load_b128 v[5:8], off, off offset:16
	scratch_load_b128 v[1:4], off, off offset:32
	;; [unrolled: 1-line block ×5, first 2 shown]
	v_mov_b32_e32 v135, 0
	ds_load_b128 v[21:24], v135 offset:464
	ds_load_b128 v[138:141], v135 offset:480
	;; [unrolled: 1-line block ×3, first 2 shown]
	scratch_load_b64 v[146:147], off, off offset:8
	s_mov_b32 s0, exec_lo
	s_wait_loadcnt_dscnt 0x502
	v_mul_f32_e32 v136, v21, v6
	v_mul_f32_e32 v148, v23, v8
	s_wait_loadcnt_dscnt 0x300
	v_dual_mul_f32 v8, v24, v8 :: v_dual_mul_f32 v149, v142, v10
	v_mul_f32_e32 v6, v22, v6
	v_fmac_f32_e32 v136, v22, v5
	v_mul_f32_e32 v150, v144, v12
	s_delay_alu instid0(VALU_DEP_4) | instskip(SKIP_2) | instid1(VALU_DEP_2)
	v_fma_f32 v22, v23, v7, -v8
	v_dual_mul_f32 v23, v138, v2 :: v_dual_fmac_f32 v148, v24, v7
	v_dual_fmac_f32 v149, v143, v9 :: v_dual_mul_f32 v24, v140, v4
	v_dual_mul_f32 v4, v141, v4 :: v_dual_fmac_f32 v23, v139, v1
	v_fma_f32 v21, v21, v5, -v6
	ds_load_b128 v[5:8], v135 offset:512
	v_mul_f32_e32 v10, v143, v10
	v_mul_f32_e32 v12, v145, v12
	;; [unrolled: 1-line block ×3, first 2 shown]
	v_fmac_f32_e32 v24, v141, v3
	v_fma_f32 v139, v140, v3, -v4
	v_fmac_f32_e32 v150, v145, v11
	v_fma_f32 v140, v142, v9, -v10
	v_fma_f32 v141, v144, v11, -v12
	ds_load_b128 v[9:12], v135 offset:528
	s_wait_loadcnt_dscnt 0x201
	v_dual_mul_f32 v143, v7, v16 :: v_dual_mul_f32 v142, v5, v14
	v_mul_f32_e32 v14, v6, v14
	v_mul_f32_e32 v16, v8, v16
	s_delay_alu instid0(VALU_DEP_3)
	v_fmac_f32_e32 v143, v8, v15
	v_fma_f32 v138, v138, v1, -v2
	scratch_load_b128 v[1:4], off, off offset:96
	v_fmac_f32_e32 v142, v6, v13
	v_fma_f32 v13, v5, v13, -v14
	v_fma_f32 v14, v7, v15, -v16
	s_wait_loadcnt_dscnt 0x200
	v_mul_f32_e32 v15, v9, v18
	v_mul_f32_e32 v16, v10, v18
	v_mul_f32_e32 v18, v11, v20
	v_mul_f32_e32 v20, v12, v20
	ds_load_b128 v[5:8], v135 offset:544
	v_fmac_f32_e32 v15, v10, v17
	v_fma_f32 v16, v9, v17, -v16
	v_fmac_f32_e32 v18, v12, v19
	v_fma_f32 v17, v11, v19, -v20
	scratch_load_b128 v[9:12], off, off offset:112
	s_wait_loadcnt_dscnt 0x100
	v_mul_f32_e32 v19, v5, v2
	v_mul_f32_e32 v2, v6, v2
	;; [unrolled: 1-line block ×3, first 2 shown]
	s_delay_alu instid0(VALU_DEP_3) | instskip(NEXT) | instid1(VALU_DEP_3)
	v_dual_mul_f32 v4, v8, v4 :: v_dual_fmac_f32 v19, v6, v1
	v_fma_f32 v144, v5, v1, -v2
	s_delay_alu instid0(VALU_DEP_3) | instskip(NEXT) | instid1(VALU_DEP_3)
	v_fmac_f32_e32 v20, v8, v3
	v_fma_f32 v145, v7, v3, -v4
	ds_load_b128 v[1:4], v135 offset:560
	ds_load_b128 v[5:8], v135 offset:576
	s_wait_loadcnt_dscnt 0x1
	v_mul_f32_e32 v151, v1, v10
	v_mul_f32_e32 v10, v2, v10
	s_delay_alu instid0(VALU_DEP_2) | instskip(NEXT) | instid1(VALU_DEP_2)
	v_dual_mul_f32 v152, v3, v12 :: v_dual_fmac_f32 v151, v2, v9
	v_fma_f32 v153, v1, v9, -v10
	v_mul_f32_e32 v1, v4, v12
	s_delay_alu instid0(VALU_DEP_3) | instskip(NEXT) | instid1(VALU_DEP_2)
	v_fmac_f32_e32 v152, v4, v11
	v_fma_f32 v154, v3, v11, -v1
	s_clause 0x1
	scratch_load_b128 v[1:4], off, off offset:128
	scratch_load_b128 v[9:12], off, off offset:144
	s_wait_loadcnt_dscnt 0x100
	v_mul_f32_e32 v155, v5, v2
	v_dual_mul_f32 v2, v6, v2 :: v_dual_mul_f32 v157, v7, v4
	s_delay_alu instid0(VALU_DEP_2) | instskip(NEXT) | instid1(VALU_DEP_2)
	v_fmac_f32_e32 v155, v6, v1
	v_fma_f32 v156, v5, v1, -v2
	v_mul_f32_e32 v1, v8, v4
	s_delay_alu instid0(VALU_DEP_4) | instskip(NEXT) | instid1(VALU_DEP_2)
	v_fmac_f32_e32 v157, v8, v3
	v_fma_f32 v158, v7, v3, -v1
	ds_load_b128 v[1:4], v135 offset:592
	ds_load_b128 v[5:8], v135 offset:608
	s_wait_loadcnt_dscnt 0x1
	v_mul_f32_e32 v159, v1, v10
	v_mul_f32_e32 v161, v3, v12
	s_delay_alu instid0(VALU_DEP_2) | instskip(NEXT) | instid1(VALU_DEP_2)
	v_fmac_f32_e32 v159, v2, v9
	v_dual_mul_f32 v2, v2, v10 :: v_dual_fmac_f32 v161, v4, v11
	s_delay_alu instid0(VALU_DEP_1) | instskip(SKIP_1) | instid1(VALU_DEP_1)
	v_fma_f32 v160, v1, v9, -v2
	v_mul_f32_e32 v1, v4, v12
	v_fma_f32 v162, v3, v11, -v1
	s_clause 0x1
	scratch_load_b128 v[1:4], off, off offset:160
	scratch_load_b128 v[9:12], off, off offset:176
	s_wait_loadcnt_dscnt 0x100
	v_mul_f32_e32 v163, v5, v2
	v_dual_mul_f32 v2, v6, v2 :: v_dual_mul_f32 v165, v7, v4
	s_delay_alu instid0(VALU_DEP_2) | instskip(NEXT) | instid1(VALU_DEP_2)
	v_fmac_f32_e32 v163, v6, v1
	v_fma_f32 v164, v5, v1, -v2
	v_mul_f32_e32 v1, v8, v4
	s_delay_alu instid0(VALU_DEP_4) | instskip(NEXT) | instid1(VALU_DEP_2)
	v_fmac_f32_e32 v165, v8, v3
	v_fma_f32 v166, v7, v3, -v1
	ds_load_b128 v[1:4], v135 offset:624
	ds_load_b128 v[5:8], v135 offset:640
	s_wait_loadcnt_dscnt 0x1
	v_mul_f32_e32 v167, v1, v10
	v_mul_f32_e32 v169, v3, v12
	s_delay_alu instid0(VALU_DEP_2) | instskip(NEXT) | instid1(VALU_DEP_2)
	v_fmac_f32_e32 v167, v2, v9
	v_dual_mul_f32 v2, v2, v10 :: v_dual_fmac_f32 v169, v4, v11
	s_delay_alu instid0(VALU_DEP_1) | instskip(SKIP_1) | instid1(VALU_DEP_1)
	v_fma_f32 v168, v1, v9, -v2
	v_mul_f32_e32 v1, v4, v12
	;; [unrolled: 25-line block ×7, first 2 shown]
	v_fma_f32 v210, v3, v11, -v1
	s_clause 0x1
	scratch_load_b128 v[1:4], off, off offset:352
	scratch_load_b128 v[9:12], off, off offset:368
	s_wait_loadcnt_dscnt 0x100
	v_mul_f32_e32 v211, v5, v2
	v_dual_mul_f32 v2, v6, v2 :: v_dual_mul_f32 v213, v7, v4
	s_delay_alu instid0(VALU_DEP_2) | instskip(NEXT) | instid1(VALU_DEP_2)
	v_fmac_f32_e32 v211, v6, v1
	v_fma_f32 v212, v5, v1, -v2
	s_delay_alu instid0(VALU_DEP_3) | instskip(NEXT) | instid1(VALU_DEP_1)
	v_dual_add_f32 v2, 0, v136 :: v_dual_fmac_f32 v213, v8, v3
	v_add_f32_e32 v2, v2, v148
	s_delay_alu instid0(VALU_DEP_1) | instskip(NEXT) | instid1(VALU_DEP_1)
	v_add_f32_e32 v2, v2, v23
	v_add_f32_e32 v2, v2, v24
	s_delay_alu instid0(VALU_DEP_1) | instskip(NEXT) | instid1(VALU_DEP_1)
	v_add_f32_e32 v2, v2, v149
	;; [unrolled: 3-line block ×5, first 2 shown]
	v_add_f32_e32 v2, v2, v20
	s_delay_alu instid0(VALU_DEP_1) | instskip(NEXT) | instid1(VALU_DEP_1)
	v_dual_mul_f32 v1, v8, v4 :: v_dual_add_f32 v2, v2, v151
	v_fma_f32 v214, v7, v3, -v1
	s_delay_alu instid0(VALU_DEP_2) | instskip(NEXT) | instid1(VALU_DEP_1)
	v_dual_add_f32 v1, 0, v21 :: v_dual_add_f32 v2, v2, v152
	v_dual_add_f32 v1, v1, v22 :: v_dual_add_f32 v2, v2, v155
	s_delay_alu instid0(VALU_DEP_1) | instskip(NEXT) | instid1(VALU_DEP_1)
	v_dual_add_f32 v1, v1, v138 :: v_dual_add_f32 v2, v2, v157
	v_add_f32_e32 v1, v1, v139
	scratch_load_b64 v[138:139], off, off offset:432
	v_dual_add_f32 v2, v2, v159 :: v_dual_add_f32 v1, v1, v140
	s_delay_alu instid0(VALU_DEP_1) | instskip(NEXT) | instid1(VALU_DEP_1)
	v_add_f32_e32 v2, v2, v161
	v_dual_add_f32 v1, v1, v141 :: v_dual_add_f32 v2, v2, v163
	s_delay_alu instid0(VALU_DEP_1) | instskip(NEXT) | instid1(VALU_DEP_1)
	v_add_f32_e32 v1, v1, v13
	v_dual_add_f32 v2, v2, v165 :: v_dual_add_f32 v1, v1, v14
	s_delay_alu instid0(VALU_DEP_1) | instskip(NEXT) | instid1(VALU_DEP_1)
	v_dual_add_f32 v2, v2, v167 :: v_dual_add_f32 v1, v1, v16
	v_add_f32_e32 v2, v2, v169
	s_delay_alu instid0(VALU_DEP_2) | instskip(NEXT) | instid1(VALU_DEP_1)
	v_add_f32_e32 v1, v1, v17
	v_add_f32_e32 v1, v1, v144
	s_delay_alu instid0(VALU_DEP_1) | instskip(NEXT) | instid1(VALU_DEP_1)
	v_add_f32_e32 v1, v1, v145
	v_add_f32_e32 v1, v1, v153
	s_delay_alu instid0(VALU_DEP_1) | instskip(NEXT) | instid1(VALU_DEP_1)
	;; [unrolled: 3-line block ×9, first 2 shown]
	v_add_f32_e32 v1, v1, v182
	v_add_f32_e32 v1, v1, v184
	s_delay_alu instid0(VALU_DEP_1) | instskip(SKIP_1) | instid1(VALU_DEP_2)
	v_add_f32_e32 v6, v1, v186
	v_add_f32_e32 v2, v2, v171
	;; [unrolled: 1-line block ×3, first 2 shown]
	s_delay_alu instid0(VALU_DEP_2) | instskip(NEXT) | instid1(VALU_DEP_2)
	v_add_f32_e32 v2, v2, v173
	v_add_f32_e32 v13, v6, v190
	s_delay_alu instid0(VALU_DEP_1) | instskip(NEXT) | instid1(VALU_DEP_1)
	v_dual_add_f32 v2, v2, v175 :: v_dual_add_f32 v13, v13, v192
	v_dual_add_f32 v2, v2, v177 :: v_dual_add_f32 v13, v13, v194
	s_delay_alu instid0(VALU_DEP_1) | instskip(NEXT) | instid1(VALU_DEP_1)
	v_dual_add_f32 v2, v2, v179 :: v_dual_add_f32 v13, v13, v196
	v_add_f32_e32 v2, v2, v181
	s_delay_alu instid0(VALU_DEP_1) | instskip(SKIP_2) | instid1(VALU_DEP_1)
	v_dual_add_f32 v18, v13, v198 :: v_dual_add_f32 v5, v2, v183
	ds_load_b128 v[1:4], v135 offset:816
	v_dual_add_f32 v18, v18, v200 :: v_dual_add_f32 v5, v5, v185
	v_dual_add_f32 v18, v18, v202 :: v_dual_add_f32 v5, v5, v187
	s_delay_alu instid0(VALU_DEP_1) | instskip(NEXT) | instid1(VALU_DEP_2)
	v_add_f32_e32 v18, v18, v204
	v_add_f32_e32 v14, v5, v189
	ds_load_b128 v[5:8], v135 offset:832
	v_add_f32_e32 v18, v18, v206
	v_add_f32_e32 v14, v14, v191
	s_wait_loadcnt_dscnt 0x101
	v_mul_f32_e32 v136, v1, v10
	v_mul_f32_e32 v10, v2, v10
	;; [unrolled: 1-line block ×4, first 2 shown]
	v_add_f32_e32 v14, v14, v193
	v_fmac_f32_e32 v136, v2, v9
	v_fma_f32 v143, v1, v9, -v10
	v_fmac_f32_e32 v142, v4, v11
	v_fma_f32 v144, v3, v11, -v12
	s_clause 0x1
	scratch_load_b128 v[1:4], off, off offset:384
	scratch_load_b128 v[9:12], off, off offset:400
	v_add_f32_e32 v17, v14, v195
	scratch_load_b128 v[13:16], off, off offset:416
	v_dual_add_f32 v140, v18, v208 :: v_dual_add_f32 v17, v17, v197
	s_delay_alu instid0(VALU_DEP_1) | instskip(NEXT) | instid1(VALU_DEP_1)
	v_add_f32_e32 v145, v140, v210
	v_add_f32_e32 v145, v145, v212
	s_delay_alu instid0(VALU_DEP_1) | instskip(NEXT) | instid1(VALU_DEP_1)
	v_add_f32_e32 v145, v145, v214
	v_add_f32_e32 v143, v145, v143
	s_delay_alu instid0(VALU_DEP_1) | instskip(SKIP_4) | instid1(VALU_DEP_3)
	v_add_f32_e32 v143, v143, v144
	s_wait_loadcnt_dscnt 0x200
	v_dual_mul_f32 v150, v7, v4 :: v_dual_add_f32 v17, v17, v199
	v_dual_mul_f32 v4, v8, v4 :: v_dual_mul_f32 v149, v5, v2
	v_mul_f32_e32 v2, v6, v2
	v_dual_fmac_f32 v150, v8, v3 :: v_dual_add_f32 v17, v17, v201
	s_delay_alu instid0(VALU_DEP_3) | instskip(NEXT) | instid1(VALU_DEP_3)
	v_fmac_f32_e32 v149, v6, v1
	v_fma_f32 v2, v5, v1, -v2
	v_fma_f32 v1, v7, v3, -v4
	s_delay_alu instid0(VALU_DEP_2) | instskip(NEXT) | instid1(VALU_DEP_1)
	v_dual_add_f32 v17, v17, v203 :: v_dual_add_f32 v2, v143, v2
	v_add_f32_e32 v21, v17, v205
	ds_load_b128 v[17:20], v135 offset:848
	v_add_f32_e32 v1, v2, v1
	v_add_f32_e32 v141, v21, v207
	ds_load_b128 v[21:24], v135 offset:864
	v_add_f32_e32 v148, v141, v209
	ds_load_b64 v[140:141], v135 offset:880
	v_add_f32_e32 v148, v148, v211
	s_wait_loadcnt_dscnt 0x102
	s_delay_alu instid0(VALU_DEP_1) | instskip(SKIP_2) | instid1(VALU_DEP_3)
	v_dual_add_f32 v148, v148, v213 :: v_dual_mul_f32 v145, v17, v10
	v_mul_f32_e32 v3, v18, v10
	v_mul_f32_e32 v5, v20, v12
	v_add_f32_e32 v136, v148, v136
	s_delay_alu instid0(VALU_DEP_4) | instskip(NEXT) | instid1(VALU_DEP_4)
	v_dual_mul_f32 v148, v19, v12 :: v_dual_fmac_f32 v145, v18, v9
	v_fma_f32 v3, v17, v9, -v3
	s_wait_loadcnt_dscnt 0x1
	v_mul_f32_e32 v151, v21, v14
	v_add_f32_e32 v136, v136, v142
	v_fmac_f32_e32 v148, v20, v11
	v_fma_f32 v5, v19, v11, -v5
	v_dual_add_f32 v1, v1, v3 :: v_dual_mul_f32 v144, v23, v16
	s_delay_alu instid0(VALU_DEP_4)
	v_add_f32_e32 v4, v136, v149
	v_mul_f32_e32 v3, v24, v16
	v_fmac_f32_e32 v151, v22, v13
	s_wait_dscnt 0x0
	v_dual_add_f32 v1, v1, v5 :: v_dual_mul_f32 v142, v140, v139
	v_add_f32_e32 v2, v4, v150
	v_dual_mul_f32 v4, v22, v14 :: v_dual_mul_f32 v5, v141, v139
	v_fmac_f32_e32 v144, v24, v15
	v_fma_f32 v3, v23, v15, -v3
	s_delay_alu instid0(VALU_DEP_4) | instskip(NEXT) | instid1(VALU_DEP_4)
	v_add_f32_e32 v2, v2, v145
	v_fma_f32 v4, v21, v13, -v4
	v_fmac_f32_e32 v142, v141, v138
	s_delay_alu instid0(VALU_DEP_3) | instskip(NEXT) | instid1(VALU_DEP_3)
	v_add_f32_e32 v2, v2, v148
	v_add_f32_e32 v1, v1, v4
	v_fma_f32 v4, v140, v138, -v5
	s_delay_alu instid0(VALU_DEP_3) | instskip(NEXT) | instid1(VALU_DEP_1)
	v_add_f32_e32 v2, v2, v151
	v_dual_add_f32 v1, v1, v3 :: v_dual_add_f32 v2, v2, v144
	s_delay_alu instid0(VALU_DEP_1) | instskip(NEXT) | instid1(VALU_DEP_1)
	v_dual_add_f32 v1, v1, v4 :: v_dual_add_f32 v2, v2, v142
	v_dual_sub_f32 v1, v146, v1 :: v_dual_sub_f32 v2, v147, v2
	scratch_store_b64 off, v[1:2], off offset:8
	v_cmpx_ne_u32_e32 0, v0
	s_cbranch_execz .LBB54_343
; %bb.342:
	scratch_load_b64 v[0:1], off, off
	v_mov_b32_e32 v136, v135
	scratch_store_b64 off, v[135:136], off
	s_wait_loadcnt 0x0
	ds_store_b64 v137, v[0:1]
.LBB54_343:
	s_wait_alu 0xfffe
	s_or_b32 exec_lo, exec_lo, s0
	s_wait_storecnt_dscnt 0x0
	s_barrier_signal -1
	s_barrier_wait -1
	global_inv scope:SCOPE_SE
	s_clause 0x6
	scratch_load_b128 v[0:3], off, off offset:8
	scratch_load_b128 v[4:7], off, off offset:24
	;; [unrolled: 1-line block ×7, first 2 shown]
	ds_load_2addr_b64 v[140:143], v135 offset0:57 offset1:58
	ds_load_2addr_b64 v[144:147], v135 offset0:59 offset1:60
	scratch_load_b64 v[148:149], off, off
	s_and_b32 vcc_lo, exec_lo, s18
	s_wait_loadcnt_dscnt 0x701
	v_mul_f32_e32 v24, v140, v1
	v_dual_mul_f32 v150, v142, v3 :: v_dual_mul_f32 v1, v141, v1
	s_delay_alu instid0(VALU_DEP_2) | instskip(NEXT) | instid1(VALU_DEP_2)
	v_dual_mul_f32 v3, v143, v3 :: v_dual_fmac_f32 v24, v141, v0
	v_fmac_f32_e32 v150, v143, v2
	s_delay_alu instid0(VALU_DEP_3) | instskip(NEXT) | instid1(VALU_DEP_3)
	v_fma_f32 v140, v140, v0, -v1
	v_fma_f32 v141, v142, v2, -v3
	ds_load_2addr_b64 v[0:3], v135 offset0:61 offset1:62
	s_wait_loadcnt_dscnt 0x601
	v_dual_mul_f32 v142, v144, v5 :: v_dual_mul_f32 v143, v146, v7
	v_mul_f32_e32 v5, v145, v5
	s_delay_alu instid0(VALU_DEP_2) | instskip(NEXT) | instid1(VALU_DEP_3)
	v_dual_mul_f32 v7, v147, v7 :: v_dual_fmac_f32 v142, v145, v4
	v_fmac_f32_e32 v143, v147, v6
	s_delay_alu instid0(VALU_DEP_3) | instskip(NEXT) | instid1(VALU_DEP_3)
	v_fma_f32 v144, v144, v4, -v5
	v_fma_f32 v145, v146, v6, -v7
	ds_load_2addr_b64 v[4:7], v135 offset0:63 offset1:64
	s_wait_loadcnt_dscnt 0x501
	v_dual_mul_f32 v146, v0, v9 :: v_dual_mul_f32 v147, v2, v11
	v_mul_f32_e32 v9, v1, v9
	s_delay_alu instid0(VALU_DEP_2) | instskip(NEXT) | instid1(VALU_DEP_3)
	v_dual_mul_f32 v11, v3, v11 :: v_dual_fmac_f32 v146, v1, v8
	v_fmac_f32_e32 v147, v3, v10
	s_delay_alu instid0(VALU_DEP_3) | instskip(NEXT) | instid1(VALU_DEP_3)
	v_fma_f32 v151, v0, v8, -v9
	v_fma_f32 v152, v2, v10, -v11
	ds_load_2addr_b64 v[0:3], v135 offset0:65 offset1:66
	s_wait_loadcnt_dscnt 0x401
	v_mul_f32_e32 v153, v4, v13
	v_dual_mul_f32 v8, v5, v13 :: v_dual_mul_f32 v13, v6, v15
	v_mul_f32_e32 v9, v7, v15
	s_delay_alu instid0(VALU_DEP_3) | instskip(NEXT) | instid1(VALU_DEP_3)
	v_fmac_f32_e32 v153, v5, v12
	v_fma_f32 v12, v4, v12, -v8
	s_delay_alu instid0(VALU_DEP_4) | instskip(NEXT) | instid1(VALU_DEP_4)
	v_fmac_f32_e32 v13, v7, v14
	v_fma_f32 v14, v6, v14, -v9
	ds_load_2addr_b64 v[4:7], v135 offset0:67 offset1:68
	s_wait_loadcnt_dscnt 0x301
	v_mul_f32_e32 v15, v0, v17
	v_dual_mul_f32 v8, v1, v17 :: v_dual_mul_f32 v17, v2, v19
	v_mul_f32_e32 v9, v3, v19
	s_delay_alu instid0(VALU_DEP_3) | instskip(NEXT) | instid1(VALU_DEP_3)
	v_fmac_f32_e32 v15, v1, v16
	v_fma_f32 v16, v0, v16, -v8
	s_delay_alu instid0(VALU_DEP_4) | instskip(NEXT) | instid1(VALU_DEP_4)
	v_fmac_f32_e32 v17, v3, v18
	;; [unrolled: 11-line block ×4, first 2 shown]
	v_fma_f32 v138, v2, v138, -v9
	s_clause 0x1
	scratch_load_b128 v[0:3], off, off offset:120
	scratch_load_b128 v[8:11], off, off offset:136
	s_wait_loadcnt_dscnt 0x100
	v_mul_f32_e32 v139, v4, v1
	v_mul_f32_e32 v1, v5, v1
	;; [unrolled: 1-line block ×3, first 2 shown]
	s_delay_alu instid0(VALU_DEP_3) | instskip(NEXT) | instid1(VALU_DEP_3)
	v_fmac_f32_e32 v139, v5, v0
	v_fma_f32 v154, v4, v0, -v1
	v_mul_f32_e32 v0, v7, v3
	s_delay_alu instid0(VALU_DEP_4) | instskip(NEXT) | instid1(VALU_DEP_2)
	v_fmac_f32_e32 v155, v7, v2
	v_fma_f32 v156, v6, v2, -v0
	ds_load_2addr_b64 v[0:3], v135 offset0:73 offset1:74
	ds_load_2addr_b64 v[4:7], v135 offset0:75 offset1:76
	s_wait_loadcnt_dscnt 0x1
	v_mul_f32_e32 v157, v0, v9
	v_mul_f32_e32 v159, v2, v11
	s_delay_alu instid0(VALU_DEP_2) | instskip(SKIP_1) | instid1(VALU_DEP_3)
	v_fmac_f32_e32 v157, v1, v8
	v_mul_f32_e32 v1, v1, v9
	v_fmac_f32_e32 v159, v3, v10
	s_delay_alu instid0(VALU_DEP_2) | instskip(SKIP_1) | instid1(VALU_DEP_1)
	v_fma_f32 v158, v0, v8, -v1
	v_mul_f32_e32 v0, v3, v11
	v_fma_f32 v160, v2, v10, -v0
	s_clause 0x1
	scratch_load_b128 v[0:3], off, off offset:152
	scratch_load_b128 v[8:11], off, off offset:168
	s_wait_loadcnt_dscnt 0x100
	v_mul_f32_e32 v161, v4, v1
	v_mul_f32_e32 v1, v5, v1
	;; [unrolled: 1-line block ×3, first 2 shown]
	s_delay_alu instid0(VALU_DEP_3) | instskip(NEXT) | instid1(VALU_DEP_3)
	v_fmac_f32_e32 v161, v5, v0
	v_fma_f32 v162, v4, v0, -v1
	v_mul_f32_e32 v0, v7, v3
	s_delay_alu instid0(VALU_DEP_4) | instskip(NEXT) | instid1(VALU_DEP_2)
	v_fmac_f32_e32 v163, v7, v2
	v_fma_f32 v164, v6, v2, -v0
	ds_load_2addr_b64 v[0:3], v135 offset0:77 offset1:78
	ds_load_2addr_b64 v[4:7], v135 offset0:79 offset1:80
	s_wait_loadcnt_dscnt 0x1
	v_mul_f32_e32 v165, v0, v9
	v_mul_f32_e32 v167, v2, v11
	s_delay_alu instid0(VALU_DEP_2) | instskip(SKIP_1) | instid1(VALU_DEP_1)
	v_fmac_f32_e32 v165, v1, v8
	v_mul_f32_e32 v1, v1, v9
	v_fma_f32 v166, v0, v8, -v1
	v_mul_f32_e32 v0, v3, v11
	s_delay_alu instid0(VALU_DEP_1)
	v_fma_f32 v168, v2, v10, -v0
	v_fmac_f32_e32 v167, v3, v10
	s_clause 0x1
	scratch_load_b128 v[0:3], off, off offset:184
	scratch_load_b128 v[8:11], off, off offset:200
	s_wait_loadcnt_dscnt 0x100
	v_mul_f32_e32 v169, v4, v1
	v_mul_f32_e32 v1, v5, v1
	s_delay_alu instid0(VALU_DEP_2) | instskip(NEXT) | instid1(VALU_DEP_2)
	v_fmac_f32_e32 v169, v5, v0
	v_fma_f32 v170, v4, v0, -v1
	v_mul_f32_e32 v0, v7, v3
	s_delay_alu instid0(VALU_DEP_1) | instskip(SKIP_1) | instid1(VALU_DEP_1)
	v_fma_f32 v172, v6, v2, -v0
	v_mul_f32_e32 v171, v6, v3
	v_fmac_f32_e32 v171, v7, v2
	ds_load_2addr_b64 v[0:3], v135 offset0:81 offset1:82
	ds_load_2addr_b64 v[4:7], v135 offset0:83 offset1:84
	s_wait_loadcnt_dscnt 0x1
	v_mul_f32_e32 v173, v0, v9
	v_mul_f32_e32 v175, v2, v11
	s_delay_alu instid0(VALU_DEP_2) | instskip(SKIP_1) | instid1(VALU_DEP_3)
	v_fmac_f32_e32 v173, v1, v8
	v_mul_f32_e32 v1, v1, v9
	v_fmac_f32_e32 v175, v3, v10
	s_delay_alu instid0(VALU_DEP_2) | instskip(SKIP_1) | instid1(VALU_DEP_1)
	v_fma_f32 v174, v0, v8, -v1
	v_mul_f32_e32 v0, v3, v11
	v_fma_f32 v176, v2, v10, -v0
	s_clause 0x1
	scratch_load_b128 v[0:3], off, off offset:216
	scratch_load_b128 v[8:11], off, off offset:232
	s_wait_loadcnt_dscnt 0x100
	v_mul_f32_e32 v177, v4, v1
	v_mul_f32_e32 v1, v5, v1
	v_mul_f32_e32 v179, v6, v3
	s_delay_alu instid0(VALU_DEP_3) | instskip(NEXT) | instid1(VALU_DEP_3)
	v_fmac_f32_e32 v177, v5, v0
	v_fma_f32 v178, v4, v0, -v1
	v_mul_f32_e32 v0, v7, v3
	s_delay_alu instid0(VALU_DEP_4) | instskip(NEXT) | instid1(VALU_DEP_2)
	v_fmac_f32_e32 v179, v7, v2
	v_fma_f32 v180, v6, v2, -v0
	ds_load_2addr_b64 v[0:3], v135 offset0:85 offset1:86
	ds_load_2addr_b64 v[4:7], v135 offset0:87 offset1:88
	s_wait_loadcnt_dscnt 0x1
	v_mul_f32_e32 v181, v0, v9
	v_mul_f32_e32 v183, v2, v11
	s_delay_alu instid0(VALU_DEP_2) | instskip(SKIP_1) | instid1(VALU_DEP_3)
	v_fmac_f32_e32 v181, v1, v8
	v_mul_f32_e32 v1, v1, v9
	v_fmac_f32_e32 v183, v3, v10
	s_delay_alu instid0(VALU_DEP_2) | instskip(SKIP_1) | instid1(VALU_DEP_1)
	v_fma_f32 v182, v0, v8, -v1
	v_mul_f32_e32 v0, v3, v11
	v_fma_f32 v184, v2, v10, -v0
	s_clause 0x1
	scratch_load_b128 v[0:3], off, off offset:248
	scratch_load_b128 v[8:11], off, off offset:264
	s_wait_loadcnt_dscnt 0x100
	v_mul_f32_e32 v185, v4, v1
	v_mul_f32_e32 v1, v5, v1
	v_mul_f32_e32 v187, v6, v3
	s_delay_alu instid0(VALU_DEP_3) | instskip(NEXT) | instid1(VALU_DEP_3)
	v_fmac_f32_e32 v185, v5, v0
	v_fma_f32 v186, v4, v0, -v1
	v_mul_f32_e32 v0, v7, v3
	s_delay_alu instid0(VALU_DEP_4) | instskip(NEXT) | instid1(VALU_DEP_2)
	v_fmac_f32_e32 v187, v7, v2
	v_fma_f32 v188, v6, v2, -v0
	;; [unrolled: 27-line block ×4, first 2 shown]
	ds_load_2addr_b64 v[0:3], v135 offset0:97 offset1:98
	ds_load_2addr_b64 v[4:7], v135 offset0:99 offset1:100
	s_wait_loadcnt_dscnt 0x1
	v_mul_f32_e32 v205, v0, v9
	v_mul_f32_e32 v207, v2, v11
	s_delay_alu instid0(VALU_DEP_2) | instskip(SKIP_1) | instid1(VALU_DEP_3)
	v_fmac_f32_e32 v205, v1, v8
	v_mul_f32_e32 v1, v1, v9
	v_fmac_f32_e32 v207, v3, v10
	s_delay_alu instid0(VALU_DEP_2) | instskip(SKIP_1) | instid1(VALU_DEP_1)
	v_fma_f32 v206, v0, v8, -v1
	v_mul_f32_e32 v0, v3, v11
	v_fma_f32 v208, v2, v10, -v0
	s_clause 0x1
	scratch_load_b128 v[0:3], off, off offset:344
	scratch_load_b128 v[8:11], off, off offset:360
	s_wait_loadcnt_dscnt 0x100
	v_mul_f32_e32 v209, v4, v1
	v_mul_f32_e32 v1, v5, v1
	;; [unrolled: 1-line block ×3, first 2 shown]
	s_delay_alu instid0(VALU_DEP_3) | instskip(NEXT) | instid1(VALU_DEP_3)
	v_fmac_f32_e32 v209, v5, v0
	v_fma_f32 v210, v4, v0, -v1
	v_dual_mul_f32 v0, v7, v3 :: v_dual_add_f32 v1, 0, v24
	s_delay_alu instid0(VALU_DEP_4) | instskip(NEXT) | instid1(VALU_DEP_2)
	v_fmac_f32_e32 v211, v7, v2
	v_fma_f32 v212, v6, v2, -v0
	s_delay_alu instid0(VALU_DEP_3) | instskip(NEXT) | instid1(VALU_DEP_1)
	v_dual_add_f32 v0, 0, v140 :: v_dual_add_f32 v1, v1, v150
	v_dual_add_f32 v0, v0, v141 :: v_dual_add_f32 v1, v1, v142
	s_delay_alu instid0(VALU_DEP_1) | instskip(NEXT) | instid1(VALU_DEP_1)
	v_dual_add_f32 v0, v0, v144 :: v_dual_add_f32 v1, v1, v143
	v_dual_add_f32 v0, v0, v145 :: v_dual_add_f32 v1, v1, v146
	s_delay_alu instid0(VALU_DEP_1) | instskip(NEXT) | instid1(VALU_DEP_1)
	v_add_f32_e32 v0, v0, v151
	v_dual_add_f32 v1, v1, v147 :: v_dual_add_f32 v0, v0, v152
	s_delay_alu instid0(VALU_DEP_1) | instskip(NEXT) | instid1(VALU_DEP_1)
	v_dual_add_f32 v1, v1, v153 :: v_dual_add_f32 v0, v0, v12
	v_dual_add_f32 v1, v1, v13 :: v_dual_add_f32 v0, v0, v14
	s_delay_alu instid0(VALU_DEP_1) | instskip(NEXT) | instid1(VALU_DEP_1)
	v_dual_add_f32 v1, v1, v15 :: v_dual_add_f32 v0, v0, v16
	;; [unrolled: 3-line block ×9, first 2 shown]
	v_add_f32_e32 v0, v0, v172
	s_delay_alu instid0(VALU_DEP_1) | instskip(NEXT) | instid1(VALU_DEP_1)
	v_add_f32_e32 v0, v0, v174
	v_dual_add_f32 v0, v0, v176 :: v_dual_add_f32 v1, v1, v171
	s_delay_alu instid0(VALU_DEP_1) | instskip(NEXT) | instid1(VALU_DEP_1)
	v_dual_add_f32 v0, v0, v178 :: v_dual_add_f32 v1, v1, v173
	v_add_f32_e32 v0, v0, v180
	s_delay_alu instid0(VALU_DEP_1) | instskip(NEXT) | instid1(VALU_DEP_1)
	v_add_f32_e32 v4, v0, v182
	v_dual_add_f32 v4, v4, v184 :: v_dual_add_f32 v1, v1, v175
	s_delay_alu instid0(VALU_DEP_1) | instskip(NEXT) | instid1(VALU_DEP_1)
	v_dual_add_f32 v4, v4, v186 :: v_dual_add_f32 v1, v1, v177
	v_add_f32_e32 v13, v4, v188
	s_delay_alu instid0(VALU_DEP_2) | instskip(NEXT) | instid1(VALU_DEP_2)
	v_add_f32_e32 v1, v1, v179
	v_add_f32_e32 v13, v13, v190
	s_delay_alu instid0(VALU_DEP_2) | instskip(SKIP_3) | instid1(VALU_DEP_2)
	v_add_f32_e32 v5, v1, v181
	ds_load_2addr_b64 v[0:3], v135 offset0:101 offset1:102
	v_add_f32_e32 v13, v13, v192
	v_add_f32_e32 v5, v5, v183
	;; [unrolled: 1-line block ×3, first 2 shown]
	s_delay_alu instid0(VALU_DEP_1) | instskip(NEXT) | instid1(VALU_DEP_1)
	v_add_f32_e32 v16, v13, v196
	v_add_f32_e32 v20, v16, v198
	s_delay_alu instid0(VALU_DEP_4)
	v_add_f32_e32 v12, v5, v185
	ds_load_2addr_b64 v[4:7], v135 offset0:103 offset1:104
	s_wait_loadcnt_dscnt 0x1
	v_mul_f32_e32 v24, v0, v9
	v_dual_mul_f32 v9, v1, v9 :: v_dual_add_f32 v20, v20, v200
	v_mul_f32_e32 v144, v2, v11
	s_delay_alu instid0(VALU_DEP_3) | instskip(NEXT) | instid1(VALU_DEP_3)
	v_dual_mul_f32 v11, v3, v11 :: v_dual_fmac_f32 v24, v1, v8
	v_fma_f32 v145, v0, v8, -v9
	s_delay_alu instid0(VALU_DEP_4) | instskip(NEXT) | instid1(VALU_DEP_4)
	v_add_f32_e32 v20, v20, v202
	v_fmac_f32_e32 v144, v3, v10
	s_delay_alu instid0(VALU_DEP_4)
	v_fma_f32 v146, v2, v10, -v11
	s_clause 0x1
	scratch_load_b128 v[0:3], off, off offset:376
	scratch_load_b128 v[8:11], off, off offset:392
	v_add_f32_e32 v20, v20, v204
	v_add_f32_e32 v12, v12, v187
	s_delay_alu instid0(VALU_DEP_2) | instskip(NEXT) | instid1(VALU_DEP_2)
	v_add_f32_e32 v137, v20, v206
	v_add_f32_e32 v12, v12, v189
	s_delay_alu instid0(VALU_DEP_2) | instskip(NEXT) | instid1(VALU_DEP_2)
	;; [unrolled: 3-line block ×3, first 2 shown]
	v_add_f32_e32 v150, v140, v210
	v_add_f32_e32 v12, v12, v193
	ds_load_2addr_b64 v[140:143], v135 offset0:109 offset1:110
	v_dual_add_f32 v150, v150, v212 :: v_dual_add_f32 v17, v12, v195
	scratch_load_b128 v[12:15], off, off offset:408
	v_add_f32_e32 v145, v150, v145
	v_add_f32_e32 v21, v17, v197
	scratch_load_b128 v[16:19], off, off offset:424
	v_add_f32_e32 v21, v21, v199
	s_delay_alu instid0(VALU_DEP_1) | instskip(NEXT) | instid1(VALU_DEP_1)
	v_add_f32_e32 v21, v21, v201
	v_add_f32_e32 v136, v21, v203
	ds_load_2addr_b64 v[20:23], v135 offset0:105 offset1:106
	v_add_f32_e32 v136, v136, v205
	s_delay_alu instid0(VALU_DEP_1) | instskip(SKIP_2) | instid1(VALU_DEP_1)
	v_add_f32_e32 v147, v136, v207
	ds_load_2addr_b64 v[136:139], v135 offset0:107 offset1:108
	v_add_f32_e32 v135, v147, v209
	v_add_f32_e32 v135, v135, v211
	s_wait_loadcnt_dscnt 0x303
	s_delay_alu instid0(VALU_DEP_1)
	v_dual_add_f32 v24, v135, v24 :: v_dual_mul_f32 v147, v4, v1
	v_mul_f32_e32 v1, v5, v1
	v_mul_f32_e32 v151, v6, v3
	s_wait_loadcnt_dscnt 0x201
	v_dual_mul_f32 v3, v7, v3 :: v_dual_mul_f32 v150, v20, v9
	v_fmac_f32_e32 v147, v5, v0
	v_fma_f32 v0, v4, v0, -v1
	v_dual_add_f32 v4, v145, v146 :: v_dual_add_f32 v5, v24, v144
	v_fmac_f32_e32 v151, v7, v2
	v_fma_f32 v1, v6, v2, -v3
	s_delay_alu instid0(VALU_DEP_3) | instskip(NEXT) | instid1(VALU_DEP_4)
	v_dual_mul_f32 v7, v21, v9 :: v_dual_add_f32 v0, v4, v0
	v_add_f32_e32 v4, v5, v147
	v_mul_f32_e32 v135, v22, v11
	v_dual_mul_f32 v5, v23, v11 :: v_dual_fmac_f32 v150, v21, v8
	s_delay_alu instid0(VALU_DEP_4) | instskip(SKIP_4) | instid1(VALU_DEP_4)
	v_fma_f32 v7, v20, v8, -v7
	v_add_f32_e32 v0, v0, v1
	v_add_f32_e32 v1, v4, v151
	v_fmac_f32_e32 v135, v23, v10
	v_fma_f32 v5, v22, v10, -v5
	v_add_f32_e32 v0, v0, v7
	s_wait_loadcnt_dscnt 0x100
	v_mul_f32_e32 v2, v136, v13
	v_mul_f32_e32 v4, v137, v13
	v_add_f32_e32 v1, v1, v150
	v_mul_f32_e32 v3, v138, v15
	s_delay_alu instid0(VALU_DEP_4) | instskip(NEXT) | instid1(VALU_DEP_4)
	v_dual_mul_f32 v7, v139, v15 :: v_dual_fmac_f32 v2, v137, v12
	v_fma_f32 v4, v136, v12, -v4
	s_delay_alu instid0(VALU_DEP_4)
	v_dual_add_f32 v0, v0, v5 :: v_dual_add_f32 v1, v1, v135
	s_wait_loadcnt 0x0
	v_mul_f32_e32 v6, v140, v17
	v_mul_f32_e32 v5, v141, v17
	v_fmac_f32_e32 v3, v139, v14
	v_fma_f32 v7, v138, v14, -v7
	v_dual_add_f32 v0, v0, v4 :: v_dual_add_f32 v1, v1, v2
	v_mul_f32_e32 v9, v142, v19
	v_mul_f32_e32 v2, v143, v19
	v_fmac_f32_e32 v6, v141, v16
	v_fma_f32 v4, v140, v16, -v5
	v_add_f32_e32 v0, v0, v7
	v_add_f32_e32 v1, v1, v3
	v_fmac_f32_e32 v9, v143, v18
	v_fma_f32 v2, v142, v18, -v2
	s_delay_alu instid0(VALU_DEP_3) | instskip(NEXT) | instid1(VALU_DEP_1)
	v_dual_add_f32 v0, v0, v4 :: v_dual_add_f32 v1, v1, v6
	v_dual_add_f32 v0, v0, v2 :: v_dual_add_f32 v1, v1, v9
	s_delay_alu instid0(VALU_DEP_1)
	v_dual_sub_f32 v0, v148, v0 :: v_dual_sub_f32 v1, v149, v1
	scratch_store_b64 off, v[0:1], off
	s_wait_alu 0xfffe
	s_cbranch_vccz .LBB54_452
; %bb.344:
	v_mov_b32_e32 v0, 0
	global_load_b32 v1, v0, s[2:3] offset:212
	s_wait_loadcnt 0x0
	v_cmp_ne_u32_e32 vcc_lo, 54, v1
	s_cbranch_vccz .LBB54_346
; %bb.345:
	v_lshlrev_b32_e32 v1, 3, v1
	s_delay_alu instid0(VALU_DEP_1)
	v_mov_b32_e32 v5, v1
	scratch_load_b64 v[1:2], v5, off offset:-8
	scratch_load_b64 v[3:4], off, off offset:424
	s_wait_loadcnt 0x1
	scratch_store_b64 off, v[1:2], off offset:424
	s_wait_loadcnt 0x0
	scratch_store_b64 v5, v[3:4], off offset:-8
.LBB54_346:
	global_load_b32 v0, v0, s[2:3] offset:208
	s_wait_loadcnt 0x0
	v_cmp_eq_u32_e32 vcc_lo, 53, v0
	s_cbranch_vccnz .LBB54_348
; %bb.347:
	v_lshlrev_b32_e32 v0, 3, v0
	s_delay_alu instid0(VALU_DEP_1)
	v_mov_b32_e32 v4, v0
	scratch_load_b64 v[0:1], v4, off offset:-8
	scratch_load_b64 v[2:3], off, off offset:416
	s_wait_loadcnt 0x1
	scratch_store_b64 off, v[0:1], off offset:416
	s_wait_loadcnt 0x0
	scratch_store_b64 v4, v[2:3], off offset:-8
.LBB54_348:
	v_mov_b32_e32 v0, 0
	global_load_b32 v1, v0, s[2:3] offset:204
	s_wait_loadcnt 0x0
	v_cmp_eq_u32_e32 vcc_lo, 52, v1
	s_cbranch_vccnz .LBB54_350
; %bb.349:
	v_lshlrev_b32_e32 v1, 3, v1
	s_delay_alu instid0(VALU_DEP_1)
	v_mov_b32_e32 v5, v1
	scratch_load_b64 v[1:2], v5, off offset:-8
	scratch_load_b64 v[3:4], off, off offset:408
	s_wait_loadcnt 0x1
	scratch_store_b64 off, v[1:2], off offset:408
	s_wait_loadcnt 0x0
	scratch_store_b64 v5, v[3:4], off offset:-8
.LBB54_350:
	global_load_b32 v0, v0, s[2:3] offset:200
	s_wait_loadcnt 0x0
	v_cmp_eq_u32_e32 vcc_lo, 51, v0
	s_cbranch_vccnz .LBB54_352
; %bb.351:
	v_lshlrev_b32_e32 v0, 3, v0
	s_delay_alu instid0(VALU_DEP_1)
	v_mov_b32_e32 v4, v0
	scratch_load_b64 v[0:1], v4, off offset:-8
	scratch_load_b64 v[2:3], off, off offset:400
	s_wait_loadcnt 0x1
	scratch_store_b64 off, v[0:1], off offset:400
	s_wait_loadcnt 0x0
	scratch_store_b64 v4, v[2:3], off offset:-8
.LBB54_352:
	v_mov_b32_e32 v0, 0
	global_load_b32 v1, v0, s[2:3] offset:196
	s_wait_loadcnt 0x0
	v_cmp_eq_u32_e32 vcc_lo, 50, v1
	s_cbranch_vccnz .LBB54_354
; %bb.353:
	v_lshlrev_b32_e32 v1, 3, v1
	s_delay_alu instid0(VALU_DEP_1)
	v_mov_b32_e32 v5, v1
	scratch_load_b64 v[1:2], v5, off offset:-8
	scratch_load_b64 v[3:4], off, off offset:392
	s_wait_loadcnt 0x1
	scratch_store_b64 off, v[1:2], off offset:392
	s_wait_loadcnt 0x0
	scratch_store_b64 v5, v[3:4], off offset:-8
.LBB54_354:
	global_load_b32 v0, v0, s[2:3] offset:192
	s_wait_loadcnt 0x0
	v_cmp_eq_u32_e32 vcc_lo, 49, v0
	s_cbranch_vccnz .LBB54_356
; %bb.355:
	v_lshlrev_b32_e32 v0, 3, v0
	s_delay_alu instid0(VALU_DEP_1)
	v_mov_b32_e32 v4, v0
	scratch_load_b64 v[0:1], v4, off offset:-8
	scratch_load_b64 v[2:3], off, off offset:384
	s_wait_loadcnt 0x1
	scratch_store_b64 off, v[0:1], off offset:384
	s_wait_loadcnt 0x0
	scratch_store_b64 v4, v[2:3], off offset:-8
.LBB54_356:
	v_mov_b32_e32 v0, 0
	global_load_b32 v1, v0, s[2:3] offset:188
	s_wait_loadcnt 0x0
	v_cmp_eq_u32_e32 vcc_lo, 48, v1
	s_cbranch_vccnz .LBB54_358
; %bb.357:
	v_lshlrev_b32_e32 v1, 3, v1
	s_delay_alu instid0(VALU_DEP_1)
	v_mov_b32_e32 v5, v1
	scratch_load_b64 v[1:2], v5, off offset:-8
	scratch_load_b64 v[3:4], off, off offset:376
	s_wait_loadcnt 0x1
	scratch_store_b64 off, v[1:2], off offset:376
	s_wait_loadcnt 0x0
	scratch_store_b64 v5, v[3:4], off offset:-8
.LBB54_358:
	global_load_b32 v0, v0, s[2:3] offset:184
	s_wait_loadcnt 0x0
	v_cmp_eq_u32_e32 vcc_lo, 47, v0
	s_cbranch_vccnz .LBB54_360
; %bb.359:
	v_lshlrev_b32_e32 v0, 3, v0
	s_delay_alu instid0(VALU_DEP_1)
	v_mov_b32_e32 v4, v0
	scratch_load_b64 v[0:1], v4, off offset:-8
	scratch_load_b64 v[2:3], off, off offset:368
	s_wait_loadcnt 0x1
	scratch_store_b64 off, v[0:1], off offset:368
	s_wait_loadcnt 0x0
	scratch_store_b64 v4, v[2:3], off offset:-8
.LBB54_360:
	v_mov_b32_e32 v0, 0
	global_load_b32 v1, v0, s[2:3] offset:180
	s_wait_loadcnt 0x0
	v_cmp_eq_u32_e32 vcc_lo, 46, v1
	s_cbranch_vccnz .LBB54_362
; %bb.361:
	v_lshlrev_b32_e32 v1, 3, v1
	s_delay_alu instid0(VALU_DEP_1)
	v_mov_b32_e32 v5, v1
	scratch_load_b64 v[1:2], v5, off offset:-8
	scratch_load_b64 v[3:4], off, off offset:360
	s_wait_loadcnt 0x1
	scratch_store_b64 off, v[1:2], off offset:360
	s_wait_loadcnt 0x0
	scratch_store_b64 v5, v[3:4], off offset:-8
.LBB54_362:
	global_load_b32 v0, v0, s[2:3] offset:176
	s_wait_loadcnt 0x0
	v_cmp_eq_u32_e32 vcc_lo, 45, v0
	s_cbranch_vccnz .LBB54_364
; %bb.363:
	v_lshlrev_b32_e32 v0, 3, v0
	s_delay_alu instid0(VALU_DEP_1)
	v_mov_b32_e32 v4, v0
	scratch_load_b64 v[0:1], v4, off offset:-8
	scratch_load_b64 v[2:3], off, off offset:352
	s_wait_loadcnt 0x1
	scratch_store_b64 off, v[0:1], off offset:352
	s_wait_loadcnt 0x0
	scratch_store_b64 v4, v[2:3], off offset:-8
.LBB54_364:
	v_mov_b32_e32 v0, 0
	global_load_b32 v1, v0, s[2:3] offset:172
	s_wait_loadcnt 0x0
	v_cmp_eq_u32_e32 vcc_lo, 44, v1
	s_cbranch_vccnz .LBB54_366
; %bb.365:
	v_lshlrev_b32_e32 v1, 3, v1
	s_delay_alu instid0(VALU_DEP_1)
	v_mov_b32_e32 v5, v1
	scratch_load_b64 v[1:2], v5, off offset:-8
	scratch_load_b64 v[3:4], off, off offset:344
	s_wait_loadcnt 0x1
	scratch_store_b64 off, v[1:2], off offset:344
	s_wait_loadcnt 0x0
	scratch_store_b64 v5, v[3:4], off offset:-8
.LBB54_366:
	global_load_b32 v0, v0, s[2:3] offset:168
	s_wait_loadcnt 0x0
	v_cmp_eq_u32_e32 vcc_lo, 43, v0
	s_cbranch_vccnz .LBB54_368
; %bb.367:
	v_lshlrev_b32_e32 v0, 3, v0
	s_delay_alu instid0(VALU_DEP_1)
	v_mov_b32_e32 v4, v0
	scratch_load_b64 v[0:1], v4, off offset:-8
	scratch_load_b64 v[2:3], off, off offset:336
	s_wait_loadcnt 0x1
	scratch_store_b64 off, v[0:1], off offset:336
	s_wait_loadcnt 0x0
	scratch_store_b64 v4, v[2:3], off offset:-8
.LBB54_368:
	v_mov_b32_e32 v0, 0
	global_load_b32 v1, v0, s[2:3] offset:164
	s_wait_loadcnt 0x0
	v_cmp_eq_u32_e32 vcc_lo, 42, v1
	s_cbranch_vccnz .LBB54_370
; %bb.369:
	v_lshlrev_b32_e32 v1, 3, v1
	s_delay_alu instid0(VALU_DEP_1)
	v_mov_b32_e32 v5, v1
	scratch_load_b64 v[1:2], v5, off offset:-8
	scratch_load_b64 v[3:4], off, off offset:328
	s_wait_loadcnt 0x1
	scratch_store_b64 off, v[1:2], off offset:328
	s_wait_loadcnt 0x0
	scratch_store_b64 v5, v[3:4], off offset:-8
.LBB54_370:
	global_load_b32 v0, v0, s[2:3] offset:160
	s_wait_loadcnt 0x0
	v_cmp_eq_u32_e32 vcc_lo, 41, v0
	s_cbranch_vccnz .LBB54_372
; %bb.371:
	v_lshlrev_b32_e32 v0, 3, v0
	s_delay_alu instid0(VALU_DEP_1)
	v_mov_b32_e32 v4, v0
	scratch_load_b64 v[0:1], v4, off offset:-8
	scratch_load_b64 v[2:3], off, off offset:320
	s_wait_loadcnt 0x1
	scratch_store_b64 off, v[0:1], off offset:320
	s_wait_loadcnt 0x0
	scratch_store_b64 v4, v[2:3], off offset:-8
.LBB54_372:
	v_mov_b32_e32 v0, 0
	global_load_b32 v1, v0, s[2:3] offset:156
	s_wait_loadcnt 0x0
	v_cmp_eq_u32_e32 vcc_lo, 40, v1
	s_cbranch_vccnz .LBB54_374
; %bb.373:
	v_lshlrev_b32_e32 v1, 3, v1
	s_delay_alu instid0(VALU_DEP_1)
	v_mov_b32_e32 v5, v1
	scratch_load_b64 v[1:2], v5, off offset:-8
	scratch_load_b64 v[3:4], off, off offset:312
	s_wait_loadcnt 0x1
	scratch_store_b64 off, v[1:2], off offset:312
	s_wait_loadcnt 0x0
	scratch_store_b64 v5, v[3:4], off offset:-8
.LBB54_374:
	global_load_b32 v0, v0, s[2:3] offset:152
	s_wait_loadcnt 0x0
	v_cmp_eq_u32_e32 vcc_lo, 39, v0
	s_cbranch_vccnz .LBB54_376
; %bb.375:
	v_lshlrev_b32_e32 v0, 3, v0
	s_delay_alu instid0(VALU_DEP_1)
	v_mov_b32_e32 v4, v0
	scratch_load_b64 v[0:1], v4, off offset:-8
	scratch_load_b64 v[2:3], off, off offset:304
	s_wait_loadcnt 0x1
	scratch_store_b64 off, v[0:1], off offset:304
	s_wait_loadcnt 0x0
	scratch_store_b64 v4, v[2:3], off offset:-8
.LBB54_376:
	v_mov_b32_e32 v0, 0
	global_load_b32 v1, v0, s[2:3] offset:148
	s_wait_loadcnt 0x0
	v_cmp_eq_u32_e32 vcc_lo, 38, v1
	s_cbranch_vccnz .LBB54_378
; %bb.377:
	v_lshlrev_b32_e32 v1, 3, v1
	s_delay_alu instid0(VALU_DEP_1)
	v_mov_b32_e32 v5, v1
	scratch_load_b64 v[1:2], v5, off offset:-8
	scratch_load_b64 v[3:4], off, off offset:296
	s_wait_loadcnt 0x1
	scratch_store_b64 off, v[1:2], off offset:296
	s_wait_loadcnt 0x0
	scratch_store_b64 v5, v[3:4], off offset:-8
.LBB54_378:
	global_load_b32 v0, v0, s[2:3] offset:144
	s_wait_loadcnt 0x0
	v_cmp_eq_u32_e32 vcc_lo, 37, v0
	s_cbranch_vccnz .LBB54_380
; %bb.379:
	v_lshlrev_b32_e32 v0, 3, v0
	s_delay_alu instid0(VALU_DEP_1)
	v_mov_b32_e32 v4, v0
	scratch_load_b64 v[0:1], v4, off offset:-8
	scratch_load_b64 v[2:3], off, off offset:288
	s_wait_loadcnt 0x1
	scratch_store_b64 off, v[0:1], off offset:288
	s_wait_loadcnt 0x0
	scratch_store_b64 v4, v[2:3], off offset:-8
.LBB54_380:
	v_mov_b32_e32 v0, 0
	global_load_b32 v1, v0, s[2:3] offset:140
	s_wait_loadcnt 0x0
	v_cmp_eq_u32_e32 vcc_lo, 36, v1
	s_cbranch_vccnz .LBB54_382
; %bb.381:
	v_lshlrev_b32_e32 v1, 3, v1
	s_delay_alu instid0(VALU_DEP_1)
	v_mov_b32_e32 v5, v1
	scratch_load_b64 v[1:2], v5, off offset:-8
	scratch_load_b64 v[3:4], off, off offset:280
	s_wait_loadcnt 0x1
	scratch_store_b64 off, v[1:2], off offset:280
	s_wait_loadcnt 0x0
	scratch_store_b64 v5, v[3:4], off offset:-8
.LBB54_382:
	global_load_b32 v0, v0, s[2:3] offset:136
	s_wait_loadcnt 0x0
	v_cmp_eq_u32_e32 vcc_lo, 35, v0
	s_cbranch_vccnz .LBB54_384
; %bb.383:
	v_lshlrev_b32_e32 v0, 3, v0
	s_delay_alu instid0(VALU_DEP_1)
	v_mov_b32_e32 v4, v0
	scratch_load_b64 v[0:1], v4, off offset:-8
	scratch_load_b64 v[2:3], off, off offset:272
	s_wait_loadcnt 0x1
	scratch_store_b64 off, v[0:1], off offset:272
	s_wait_loadcnt 0x0
	scratch_store_b64 v4, v[2:3], off offset:-8
.LBB54_384:
	v_mov_b32_e32 v0, 0
	global_load_b32 v1, v0, s[2:3] offset:132
	s_wait_loadcnt 0x0
	v_cmp_eq_u32_e32 vcc_lo, 34, v1
	s_cbranch_vccnz .LBB54_386
; %bb.385:
	v_lshlrev_b32_e32 v1, 3, v1
	s_delay_alu instid0(VALU_DEP_1)
	v_mov_b32_e32 v5, v1
	scratch_load_b64 v[1:2], v5, off offset:-8
	scratch_load_b64 v[3:4], off, off offset:264
	s_wait_loadcnt 0x1
	scratch_store_b64 off, v[1:2], off offset:264
	s_wait_loadcnt 0x0
	scratch_store_b64 v5, v[3:4], off offset:-8
.LBB54_386:
	global_load_b32 v0, v0, s[2:3] offset:128
	s_wait_loadcnt 0x0
	v_cmp_eq_u32_e32 vcc_lo, 33, v0
	s_cbranch_vccnz .LBB54_388
; %bb.387:
	v_lshlrev_b32_e32 v0, 3, v0
	s_delay_alu instid0(VALU_DEP_1)
	v_mov_b32_e32 v4, v0
	scratch_load_b64 v[0:1], v4, off offset:-8
	scratch_load_b64 v[2:3], off, off offset:256
	s_wait_loadcnt 0x1
	scratch_store_b64 off, v[0:1], off offset:256
	s_wait_loadcnt 0x0
	scratch_store_b64 v4, v[2:3], off offset:-8
.LBB54_388:
	v_mov_b32_e32 v0, 0
	global_load_b32 v1, v0, s[2:3] offset:124
	s_wait_loadcnt 0x0
	v_cmp_eq_u32_e32 vcc_lo, 32, v1
	s_cbranch_vccnz .LBB54_390
; %bb.389:
	v_lshlrev_b32_e32 v1, 3, v1
	s_delay_alu instid0(VALU_DEP_1)
	v_mov_b32_e32 v5, v1
	scratch_load_b64 v[1:2], v5, off offset:-8
	scratch_load_b64 v[3:4], off, off offset:248
	s_wait_loadcnt 0x1
	scratch_store_b64 off, v[1:2], off offset:248
	s_wait_loadcnt 0x0
	scratch_store_b64 v5, v[3:4], off offset:-8
.LBB54_390:
	global_load_b32 v0, v0, s[2:3] offset:120
	s_wait_loadcnt 0x0
	v_cmp_eq_u32_e32 vcc_lo, 31, v0
	s_cbranch_vccnz .LBB54_392
; %bb.391:
	v_lshlrev_b32_e32 v0, 3, v0
	s_delay_alu instid0(VALU_DEP_1)
	v_mov_b32_e32 v4, v0
	scratch_load_b64 v[0:1], v4, off offset:-8
	scratch_load_b64 v[2:3], off, off offset:240
	s_wait_loadcnt 0x1
	scratch_store_b64 off, v[0:1], off offset:240
	s_wait_loadcnt 0x0
	scratch_store_b64 v4, v[2:3], off offset:-8
.LBB54_392:
	v_mov_b32_e32 v0, 0
	global_load_b32 v1, v0, s[2:3] offset:116
	s_wait_loadcnt 0x0
	v_cmp_eq_u32_e32 vcc_lo, 30, v1
	s_cbranch_vccnz .LBB54_394
; %bb.393:
	v_lshlrev_b32_e32 v1, 3, v1
	s_delay_alu instid0(VALU_DEP_1)
	v_mov_b32_e32 v5, v1
	scratch_load_b64 v[1:2], v5, off offset:-8
	scratch_load_b64 v[3:4], off, off offset:232
	s_wait_loadcnt 0x1
	scratch_store_b64 off, v[1:2], off offset:232
	s_wait_loadcnt 0x0
	scratch_store_b64 v5, v[3:4], off offset:-8
.LBB54_394:
	global_load_b32 v0, v0, s[2:3] offset:112
	s_wait_loadcnt 0x0
	v_cmp_eq_u32_e32 vcc_lo, 29, v0
	s_cbranch_vccnz .LBB54_396
; %bb.395:
	v_lshlrev_b32_e32 v0, 3, v0
	s_delay_alu instid0(VALU_DEP_1)
	v_mov_b32_e32 v4, v0
	scratch_load_b64 v[0:1], v4, off offset:-8
	scratch_load_b64 v[2:3], off, off offset:224
	s_wait_loadcnt 0x1
	scratch_store_b64 off, v[0:1], off offset:224
	s_wait_loadcnt 0x0
	scratch_store_b64 v4, v[2:3], off offset:-8
.LBB54_396:
	v_mov_b32_e32 v0, 0
	global_load_b32 v1, v0, s[2:3] offset:108
	s_wait_loadcnt 0x0
	v_cmp_eq_u32_e32 vcc_lo, 28, v1
	s_cbranch_vccnz .LBB54_398
; %bb.397:
	v_lshlrev_b32_e32 v1, 3, v1
	s_delay_alu instid0(VALU_DEP_1)
	v_mov_b32_e32 v5, v1
	scratch_load_b64 v[1:2], v5, off offset:-8
	scratch_load_b64 v[3:4], off, off offset:216
	s_wait_loadcnt 0x1
	scratch_store_b64 off, v[1:2], off offset:216
	s_wait_loadcnt 0x0
	scratch_store_b64 v5, v[3:4], off offset:-8
.LBB54_398:
	global_load_b32 v0, v0, s[2:3] offset:104
	s_wait_loadcnt 0x0
	v_cmp_eq_u32_e32 vcc_lo, 27, v0
	s_cbranch_vccnz .LBB54_400
; %bb.399:
	v_lshlrev_b32_e32 v0, 3, v0
	s_delay_alu instid0(VALU_DEP_1)
	v_mov_b32_e32 v4, v0
	scratch_load_b64 v[0:1], v4, off offset:-8
	scratch_load_b64 v[2:3], off, off offset:208
	s_wait_loadcnt 0x1
	scratch_store_b64 off, v[0:1], off offset:208
	s_wait_loadcnt 0x0
	scratch_store_b64 v4, v[2:3], off offset:-8
.LBB54_400:
	v_mov_b32_e32 v0, 0
	global_load_b32 v1, v0, s[2:3] offset:100
	s_wait_loadcnt 0x0
	v_cmp_eq_u32_e32 vcc_lo, 26, v1
	s_cbranch_vccnz .LBB54_402
; %bb.401:
	v_lshlrev_b32_e32 v1, 3, v1
	s_delay_alu instid0(VALU_DEP_1)
	v_mov_b32_e32 v5, v1
	scratch_load_b64 v[1:2], v5, off offset:-8
	scratch_load_b64 v[3:4], off, off offset:200
	s_wait_loadcnt 0x1
	scratch_store_b64 off, v[1:2], off offset:200
	s_wait_loadcnt 0x0
	scratch_store_b64 v5, v[3:4], off offset:-8
.LBB54_402:
	global_load_b32 v0, v0, s[2:3] offset:96
	s_wait_loadcnt 0x0
	v_cmp_eq_u32_e32 vcc_lo, 25, v0
	s_cbranch_vccnz .LBB54_404
; %bb.403:
	v_lshlrev_b32_e32 v0, 3, v0
	s_delay_alu instid0(VALU_DEP_1)
	v_mov_b32_e32 v4, v0
	scratch_load_b64 v[0:1], v4, off offset:-8
	scratch_load_b64 v[2:3], off, off offset:192
	s_wait_loadcnt 0x1
	scratch_store_b64 off, v[0:1], off offset:192
	s_wait_loadcnt 0x0
	scratch_store_b64 v4, v[2:3], off offset:-8
.LBB54_404:
	v_mov_b32_e32 v0, 0
	global_load_b32 v1, v0, s[2:3] offset:92
	s_wait_loadcnt 0x0
	v_cmp_eq_u32_e32 vcc_lo, 24, v1
	s_cbranch_vccnz .LBB54_406
; %bb.405:
	v_lshlrev_b32_e32 v1, 3, v1
	s_delay_alu instid0(VALU_DEP_1)
	v_mov_b32_e32 v5, v1
	scratch_load_b64 v[1:2], v5, off offset:-8
	scratch_load_b64 v[3:4], off, off offset:184
	s_wait_loadcnt 0x1
	scratch_store_b64 off, v[1:2], off offset:184
	s_wait_loadcnt 0x0
	scratch_store_b64 v5, v[3:4], off offset:-8
.LBB54_406:
	global_load_b32 v0, v0, s[2:3] offset:88
	s_wait_loadcnt 0x0
	v_cmp_eq_u32_e32 vcc_lo, 23, v0
	s_cbranch_vccnz .LBB54_408
; %bb.407:
	v_lshlrev_b32_e32 v0, 3, v0
	s_delay_alu instid0(VALU_DEP_1)
	v_mov_b32_e32 v4, v0
	scratch_load_b64 v[0:1], v4, off offset:-8
	scratch_load_b64 v[2:3], off, off offset:176
	s_wait_loadcnt 0x1
	scratch_store_b64 off, v[0:1], off offset:176
	s_wait_loadcnt 0x0
	scratch_store_b64 v4, v[2:3], off offset:-8
.LBB54_408:
	v_mov_b32_e32 v0, 0
	global_load_b32 v1, v0, s[2:3] offset:84
	s_wait_loadcnt 0x0
	v_cmp_eq_u32_e32 vcc_lo, 22, v1
	s_cbranch_vccnz .LBB54_410
; %bb.409:
	v_lshlrev_b32_e32 v1, 3, v1
	s_delay_alu instid0(VALU_DEP_1)
	v_mov_b32_e32 v5, v1
	scratch_load_b64 v[1:2], v5, off offset:-8
	scratch_load_b64 v[3:4], off, off offset:168
	s_wait_loadcnt 0x1
	scratch_store_b64 off, v[1:2], off offset:168
	s_wait_loadcnt 0x0
	scratch_store_b64 v5, v[3:4], off offset:-8
.LBB54_410:
	global_load_b32 v0, v0, s[2:3] offset:80
	s_wait_loadcnt 0x0
	v_cmp_eq_u32_e32 vcc_lo, 21, v0
	s_cbranch_vccnz .LBB54_412
; %bb.411:
	v_lshlrev_b32_e32 v0, 3, v0
	s_delay_alu instid0(VALU_DEP_1)
	v_mov_b32_e32 v4, v0
	scratch_load_b64 v[0:1], v4, off offset:-8
	scratch_load_b64 v[2:3], off, off offset:160
	s_wait_loadcnt 0x1
	scratch_store_b64 off, v[0:1], off offset:160
	s_wait_loadcnt 0x0
	scratch_store_b64 v4, v[2:3], off offset:-8
.LBB54_412:
	v_mov_b32_e32 v0, 0
	global_load_b32 v1, v0, s[2:3] offset:76
	s_wait_loadcnt 0x0
	v_cmp_eq_u32_e32 vcc_lo, 20, v1
	s_cbranch_vccnz .LBB54_414
; %bb.413:
	v_lshlrev_b32_e32 v1, 3, v1
	s_delay_alu instid0(VALU_DEP_1)
	v_mov_b32_e32 v5, v1
	scratch_load_b64 v[1:2], v5, off offset:-8
	scratch_load_b64 v[3:4], off, off offset:152
	s_wait_loadcnt 0x1
	scratch_store_b64 off, v[1:2], off offset:152
	s_wait_loadcnt 0x0
	scratch_store_b64 v5, v[3:4], off offset:-8
.LBB54_414:
	global_load_b32 v0, v0, s[2:3] offset:72
	s_wait_loadcnt 0x0
	v_cmp_eq_u32_e32 vcc_lo, 19, v0
	s_cbranch_vccnz .LBB54_416
; %bb.415:
	v_lshlrev_b32_e32 v0, 3, v0
	s_delay_alu instid0(VALU_DEP_1)
	v_mov_b32_e32 v4, v0
	scratch_load_b64 v[0:1], v4, off offset:-8
	scratch_load_b64 v[2:3], off, off offset:144
	s_wait_loadcnt 0x1
	scratch_store_b64 off, v[0:1], off offset:144
	s_wait_loadcnt 0x0
	scratch_store_b64 v4, v[2:3], off offset:-8
.LBB54_416:
	v_mov_b32_e32 v0, 0
	global_load_b32 v1, v0, s[2:3] offset:68
	s_wait_loadcnt 0x0
	v_cmp_eq_u32_e32 vcc_lo, 18, v1
	s_cbranch_vccnz .LBB54_418
; %bb.417:
	v_lshlrev_b32_e32 v1, 3, v1
	s_delay_alu instid0(VALU_DEP_1)
	v_mov_b32_e32 v5, v1
	scratch_load_b64 v[1:2], v5, off offset:-8
	scratch_load_b64 v[3:4], off, off offset:136
	s_wait_loadcnt 0x1
	scratch_store_b64 off, v[1:2], off offset:136
	s_wait_loadcnt 0x0
	scratch_store_b64 v5, v[3:4], off offset:-8
.LBB54_418:
	global_load_b32 v0, v0, s[2:3] offset:64
	s_wait_loadcnt 0x0
	v_cmp_eq_u32_e32 vcc_lo, 17, v0
	s_cbranch_vccnz .LBB54_420
; %bb.419:
	v_lshlrev_b32_e32 v0, 3, v0
	s_delay_alu instid0(VALU_DEP_1)
	v_mov_b32_e32 v4, v0
	scratch_load_b64 v[0:1], v4, off offset:-8
	scratch_load_b64 v[2:3], off, off offset:128
	s_wait_loadcnt 0x1
	scratch_store_b64 off, v[0:1], off offset:128
	s_wait_loadcnt 0x0
	scratch_store_b64 v4, v[2:3], off offset:-8
.LBB54_420:
	v_mov_b32_e32 v0, 0
	global_load_b32 v1, v0, s[2:3] offset:60
	s_wait_loadcnt 0x0
	v_cmp_eq_u32_e32 vcc_lo, 16, v1
	s_cbranch_vccnz .LBB54_422
; %bb.421:
	v_lshlrev_b32_e32 v1, 3, v1
	s_delay_alu instid0(VALU_DEP_1)
	v_mov_b32_e32 v5, v1
	scratch_load_b64 v[1:2], v5, off offset:-8
	scratch_load_b64 v[3:4], off, off offset:120
	s_wait_loadcnt 0x1
	scratch_store_b64 off, v[1:2], off offset:120
	s_wait_loadcnt 0x0
	scratch_store_b64 v5, v[3:4], off offset:-8
.LBB54_422:
	global_load_b32 v0, v0, s[2:3] offset:56
	s_wait_loadcnt 0x0
	v_cmp_eq_u32_e32 vcc_lo, 15, v0
	s_cbranch_vccnz .LBB54_424
; %bb.423:
	v_lshlrev_b32_e32 v0, 3, v0
	s_delay_alu instid0(VALU_DEP_1)
	v_mov_b32_e32 v4, v0
	scratch_load_b64 v[0:1], v4, off offset:-8
	scratch_load_b64 v[2:3], off, off offset:112
	s_wait_loadcnt 0x1
	scratch_store_b64 off, v[0:1], off offset:112
	s_wait_loadcnt 0x0
	scratch_store_b64 v4, v[2:3], off offset:-8
.LBB54_424:
	v_mov_b32_e32 v0, 0
	global_load_b32 v1, v0, s[2:3] offset:52
	s_wait_loadcnt 0x0
	v_cmp_eq_u32_e32 vcc_lo, 14, v1
	s_cbranch_vccnz .LBB54_426
; %bb.425:
	v_lshlrev_b32_e32 v1, 3, v1
	s_delay_alu instid0(VALU_DEP_1)
	v_mov_b32_e32 v5, v1
	scratch_load_b64 v[1:2], v5, off offset:-8
	scratch_load_b64 v[3:4], off, off offset:104
	s_wait_loadcnt 0x1
	scratch_store_b64 off, v[1:2], off offset:104
	s_wait_loadcnt 0x0
	scratch_store_b64 v5, v[3:4], off offset:-8
.LBB54_426:
	global_load_b32 v0, v0, s[2:3] offset:48
	s_wait_loadcnt 0x0
	v_cmp_eq_u32_e32 vcc_lo, 13, v0
	s_cbranch_vccnz .LBB54_428
; %bb.427:
	v_lshlrev_b32_e32 v0, 3, v0
	s_delay_alu instid0(VALU_DEP_1)
	v_mov_b32_e32 v4, v0
	scratch_load_b64 v[0:1], v4, off offset:-8
	scratch_load_b64 v[2:3], off, off offset:96
	s_wait_loadcnt 0x1
	scratch_store_b64 off, v[0:1], off offset:96
	s_wait_loadcnt 0x0
	scratch_store_b64 v4, v[2:3], off offset:-8
.LBB54_428:
	v_mov_b32_e32 v0, 0
	global_load_b32 v1, v0, s[2:3] offset:44
	s_wait_loadcnt 0x0
	v_cmp_eq_u32_e32 vcc_lo, 12, v1
	s_cbranch_vccnz .LBB54_430
; %bb.429:
	v_lshlrev_b32_e32 v1, 3, v1
	s_delay_alu instid0(VALU_DEP_1)
	v_mov_b32_e32 v5, v1
	scratch_load_b64 v[1:2], v5, off offset:-8
	scratch_load_b64 v[3:4], off, off offset:88
	s_wait_loadcnt 0x1
	scratch_store_b64 off, v[1:2], off offset:88
	s_wait_loadcnt 0x0
	scratch_store_b64 v5, v[3:4], off offset:-8
.LBB54_430:
	global_load_b32 v0, v0, s[2:3] offset:40
	s_wait_loadcnt 0x0
	v_cmp_eq_u32_e32 vcc_lo, 11, v0
	s_cbranch_vccnz .LBB54_432
; %bb.431:
	v_lshlrev_b32_e32 v0, 3, v0
	s_delay_alu instid0(VALU_DEP_1)
	v_mov_b32_e32 v4, v0
	scratch_load_b64 v[0:1], v4, off offset:-8
	scratch_load_b64 v[2:3], off, off offset:80
	s_wait_loadcnt 0x1
	scratch_store_b64 off, v[0:1], off offset:80
	s_wait_loadcnt 0x0
	scratch_store_b64 v4, v[2:3], off offset:-8
.LBB54_432:
	v_mov_b32_e32 v0, 0
	global_load_b32 v1, v0, s[2:3] offset:36
	s_wait_loadcnt 0x0
	v_cmp_eq_u32_e32 vcc_lo, 10, v1
	s_cbranch_vccnz .LBB54_434
; %bb.433:
	v_lshlrev_b32_e32 v1, 3, v1
	s_delay_alu instid0(VALU_DEP_1)
	v_mov_b32_e32 v5, v1
	scratch_load_b64 v[1:2], v5, off offset:-8
	scratch_load_b64 v[3:4], off, off offset:72
	s_wait_loadcnt 0x1
	scratch_store_b64 off, v[1:2], off offset:72
	s_wait_loadcnt 0x0
	scratch_store_b64 v5, v[3:4], off offset:-8
.LBB54_434:
	global_load_b32 v0, v0, s[2:3] offset:32
	s_wait_loadcnt 0x0
	v_cmp_eq_u32_e32 vcc_lo, 9, v0
	s_cbranch_vccnz .LBB54_436
; %bb.435:
	v_lshlrev_b32_e32 v0, 3, v0
	s_delay_alu instid0(VALU_DEP_1)
	v_mov_b32_e32 v4, v0
	scratch_load_b64 v[0:1], v4, off offset:-8
	scratch_load_b64 v[2:3], off, off offset:64
	s_wait_loadcnt 0x1
	scratch_store_b64 off, v[0:1], off offset:64
	s_wait_loadcnt 0x0
	scratch_store_b64 v4, v[2:3], off offset:-8
.LBB54_436:
	v_mov_b32_e32 v0, 0
	global_load_b32 v1, v0, s[2:3] offset:28
	s_wait_loadcnt 0x0
	v_cmp_eq_u32_e32 vcc_lo, 8, v1
	s_cbranch_vccnz .LBB54_438
; %bb.437:
	v_lshlrev_b32_e32 v1, 3, v1
	s_delay_alu instid0(VALU_DEP_1)
	v_mov_b32_e32 v5, v1
	scratch_load_b64 v[1:2], v5, off offset:-8
	scratch_load_b64 v[3:4], off, off offset:56
	s_wait_loadcnt 0x1
	scratch_store_b64 off, v[1:2], off offset:56
	s_wait_loadcnt 0x0
	scratch_store_b64 v5, v[3:4], off offset:-8
.LBB54_438:
	global_load_b32 v0, v0, s[2:3] offset:24
	s_wait_loadcnt 0x0
	v_cmp_eq_u32_e32 vcc_lo, 7, v0
	s_cbranch_vccnz .LBB54_440
; %bb.439:
	v_lshlrev_b32_e32 v0, 3, v0
	s_delay_alu instid0(VALU_DEP_1)
	v_mov_b32_e32 v4, v0
	scratch_load_b64 v[0:1], v4, off offset:-8
	scratch_load_b64 v[2:3], off, off offset:48
	s_wait_loadcnt 0x1
	scratch_store_b64 off, v[0:1], off offset:48
	s_wait_loadcnt 0x0
	scratch_store_b64 v4, v[2:3], off offset:-8
.LBB54_440:
	v_mov_b32_e32 v0, 0
	global_load_b32 v1, v0, s[2:3] offset:20
	s_wait_loadcnt 0x0
	v_cmp_eq_u32_e32 vcc_lo, 6, v1
	s_cbranch_vccnz .LBB54_442
; %bb.441:
	v_lshlrev_b32_e32 v1, 3, v1
	s_delay_alu instid0(VALU_DEP_1)
	v_mov_b32_e32 v5, v1
	scratch_load_b64 v[1:2], v5, off offset:-8
	scratch_load_b64 v[3:4], off, off offset:40
	s_wait_loadcnt 0x1
	scratch_store_b64 off, v[1:2], off offset:40
	s_wait_loadcnt 0x0
	scratch_store_b64 v5, v[3:4], off offset:-8
.LBB54_442:
	global_load_b32 v0, v0, s[2:3] offset:16
	s_wait_loadcnt 0x0
	v_cmp_eq_u32_e32 vcc_lo, 5, v0
	s_cbranch_vccnz .LBB54_444
; %bb.443:
	v_lshlrev_b32_e32 v0, 3, v0
	s_delay_alu instid0(VALU_DEP_1)
	v_mov_b32_e32 v4, v0
	scratch_load_b64 v[0:1], v4, off offset:-8
	scratch_load_b64 v[2:3], off, off offset:32
	s_wait_loadcnt 0x1
	scratch_store_b64 off, v[0:1], off offset:32
	s_wait_loadcnt 0x0
	scratch_store_b64 v4, v[2:3], off offset:-8
.LBB54_444:
	v_mov_b32_e32 v0, 0
	global_load_b32 v1, v0, s[2:3] offset:12
	s_wait_loadcnt 0x0
	v_cmp_eq_u32_e32 vcc_lo, 4, v1
	s_cbranch_vccnz .LBB54_446
; %bb.445:
	v_lshlrev_b32_e32 v1, 3, v1
	s_delay_alu instid0(VALU_DEP_1)
	v_mov_b32_e32 v5, v1
	scratch_load_b64 v[1:2], v5, off offset:-8
	scratch_load_b64 v[3:4], off, off offset:24
	s_wait_loadcnt 0x1
	scratch_store_b64 off, v[1:2], off offset:24
	s_wait_loadcnt 0x0
	scratch_store_b64 v5, v[3:4], off offset:-8
.LBB54_446:
	global_load_b32 v0, v0, s[2:3] offset:8
	s_wait_loadcnt 0x0
	v_cmp_eq_u32_e32 vcc_lo, 3, v0
	s_cbranch_vccnz .LBB54_448
; %bb.447:
	v_lshlrev_b32_e32 v0, 3, v0
	s_delay_alu instid0(VALU_DEP_1)
	v_mov_b32_e32 v4, v0
	scratch_load_b64 v[0:1], v4, off offset:-8
	scratch_load_b64 v[2:3], off, off offset:16
	s_wait_loadcnt 0x1
	scratch_store_b64 off, v[0:1], off offset:16
	s_wait_loadcnt 0x0
	scratch_store_b64 v4, v[2:3], off offset:-8
.LBB54_448:
	v_mov_b32_e32 v0, 0
	global_load_b32 v1, v0, s[2:3] offset:4
	s_wait_loadcnt 0x0
	v_cmp_eq_u32_e32 vcc_lo, 2, v1
	s_cbranch_vccnz .LBB54_450
; %bb.449:
	v_lshlrev_b32_e32 v1, 3, v1
	s_delay_alu instid0(VALU_DEP_1)
	v_mov_b32_e32 v5, v1
	scratch_load_b64 v[1:2], v5, off offset:-8
	scratch_load_b64 v[3:4], off, off offset:8
	s_wait_loadcnt 0x1
	scratch_store_b64 off, v[1:2], off offset:8
	s_wait_loadcnt 0x0
	scratch_store_b64 v5, v[3:4], off offset:-8
.LBB54_450:
	global_load_b32 v0, v0, s[2:3]
	s_wait_loadcnt 0x0
	v_cmp_eq_u32_e32 vcc_lo, 1, v0
	s_cbranch_vccnz .LBB54_452
; %bb.451:
	v_lshlrev_b32_e32 v0, 3, v0
	s_delay_alu instid0(VALU_DEP_1)
	v_mov_b32_e32 v4, v0
	scratch_load_b64 v[0:1], v4, off offset:-8
	scratch_load_b64 v[2:3], off, off
	s_wait_loadcnt 0x1
	scratch_store_b64 off, v[0:1], off
	s_wait_loadcnt 0x0
	scratch_store_b64 v4, v[2:3], off offset:-8
.LBB54_452:
	s_clause 0x1b
	scratch_load_b128 v[0:3], off, off
	scratch_load_b128 v[4:7], off, off offset:16
	scratch_load_b128 v[8:11], off, off offset:32
	;; [unrolled: 1-line block ×26, first 2 shown]
	scratch_load_b64 v[219:220], off, off offset:432
	s_wait_loadcnt 0x1b
	s_clause 0x1
	global_store_b64 v[25:26], v[0:1], off
	global_store_b64 v[27:28], v[2:3], off
	s_wait_loadcnt 0x1a
	s_clause 0x1
	global_store_b64 v[29:30], v[4:5], off
	global_store_b64 v[31:32], v[6:7], off
	;; [unrolled: 4-line block ×27, first 2 shown]
	s_wait_loadcnt 0x0
	global_store_b64 v[133:134], v[219:220], off
	s_nop 0
	s_sendmsg sendmsg(MSG_DEALLOC_VGPRS)
	s_endpgm
	.section	.rodata,"a",@progbits
	.p2align	6, 0x0
	.amdhsa_kernel _ZN9rocsolver6v33100L18getri_kernel_smallILi55E19rocblas_complex_numIfEPS3_EEvT1_iilPiilS6_bb
		.amdhsa_group_segment_fixed_size 888
		.amdhsa_private_segment_fixed_size 448
		.amdhsa_kernarg_size 60
		.amdhsa_user_sgpr_count 2
		.amdhsa_user_sgpr_dispatch_ptr 0
		.amdhsa_user_sgpr_queue_ptr 0
		.amdhsa_user_sgpr_kernarg_segment_ptr 1
		.amdhsa_user_sgpr_dispatch_id 0
		.amdhsa_user_sgpr_private_segment_size 0
		.amdhsa_wavefront_size32 1
		.amdhsa_uses_dynamic_stack 0
		.amdhsa_enable_private_segment 1
		.amdhsa_system_sgpr_workgroup_id_x 1
		.amdhsa_system_sgpr_workgroup_id_y 0
		.amdhsa_system_sgpr_workgroup_id_z 0
		.amdhsa_system_sgpr_workgroup_info 0
		.amdhsa_system_vgpr_workitem_id 0
		.amdhsa_next_free_vgpr 254
		.amdhsa_next_free_sgpr 19
		.amdhsa_reserve_vcc 1
		.amdhsa_float_round_mode_32 0
		.amdhsa_float_round_mode_16_64 0
		.amdhsa_float_denorm_mode_32 3
		.amdhsa_float_denorm_mode_16_64 3
		.amdhsa_fp16_overflow 0
		.amdhsa_workgroup_processor_mode 1
		.amdhsa_memory_ordered 1
		.amdhsa_forward_progress 1
		.amdhsa_inst_pref_size 255
		.amdhsa_round_robin_scheduling 0
		.amdhsa_exception_fp_ieee_invalid_op 0
		.amdhsa_exception_fp_denorm_src 0
		.amdhsa_exception_fp_ieee_div_zero 0
		.amdhsa_exception_fp_ieee_overflow 0
		.amdhsa_exception_fp_ieee_underflow 0
		.amdhsa_exception_fp_ieee_inexact 0
		.amdhsa_exception_int_div_zero 0
	.end_amdhsa_kernel
	.section	.text._ZN9rocsolver6v33100L18getri_kernel_smallILi55E19rocblas_complex_numIfEPS3_EEvT1_iilPiilS6_bb,"axG",@progbits,_ZN9rocsolver6v33100L18getri_kernel_smallILi55E19rocblas_complex_numIfEPS3_EEvT1_iilPiilS6_bb,comdat
.Lfunc_end54:
	.size	_ZN9rocsolver6v33100L18getri_kernel_smallILi55E19rocblas_complex_numIfEPS3_EEvT1_iilPiilS6_bb, .Lfunc_end54-_ZN9rocsolver6v33100L18getri_kernel_smallILi55E19rocblas_complex_numIfEPS3_EEvT1_iilPiilS6_bb
                                        ; -- End function
	.set _ZN9rocsolver6v33100L18getri_kernel_smallILi55E19rocblas_complex_numIfEPS3_EEvT1_iilPiilS6_bb.num_vgpr, 254
	.set _ZN9rocsolver6v33100L18getri_kernel_smallILi55E19rocblas_complex_numIfEPS3_EEvT1_iilPiilS6_bb.num_agpr, 0
	.set _ZN9rocsolver6v33100L18getri_kernel_smallILi55E19rocblas_complex_numIfEPS3_EEvT1_iilPiilS6_bb.numbered_sgpr, 19
	.set _ZN9rocsolver6v33100L18getri_kernel_smallILi55E19rocblas_complex_numIfEPS3_EEvT1_iilPiilS6_bb.num_named_barrier, 0
	.set _ZN9rocsolver6v33100L18getri_kernel_smallILi55E19rocblas_complex_numIfEPS3_EEvT1_iilPiilS6_bb.private_seg_size, 448
	.set _ZN9rocsolver6v33100L18getri_kernel_smallILi55E19rocblas_complex_numIfEPS3_EEvT1_iilPiilS6_bb.uses_vcc, 1
	.set _ZN9rocsolver6v33100L18getri_kernel_smallILi55E19rocblas_complex_numIfEPS3_EEvT1_iilPiilS6_bb.uses_flat_scratch, 1
	.set _ZN9rocsolver6v33100L18getri_kernel_smallILi55E19rocblas_complex_numIfEPS3_EEvT1_iilPiilS6_bb.has_dyn_sized_stack, 0
	.set _ZN9rocsolver6v33100L18getri_kernel_smallILi55E19rocblas_complex_numIfEPS3_EEvT1_iilPiilS6_bb.has_recursion, 0
	.set _ZN9rocsolver6v33100L18getri_kernel_smallILi55E19rocblas_complex_numIfEPS3_EEvT1_iilPiilS6_bb.has_indirect_call, 0
	.section	.AMDGPU.csdata,"",@progbits
; Kernel info:
; codeLenInByte = 100060
; TotalNumSgprs: 21
; NumVgprs: 254
; ScratchSize: 448
; MemoryBound: 0
; FloatMode: 240
; IeeeMode: 1
; LDSByteSize: 888 bytes/workgroup (compile time only)
; SGPRBlocks: 0
; VGPRBlocks: 31
; NumSGPRsForWavesPerEU: 21
; NumVGPRsForWavesPerEU: 254
; Occupancy: 5
; WaveLimiterHint : 1
; COMPUTE_PGM_RSRC2:SCRATCH_EN: 1
; COMPUTE_PGM_RSRC2:USER_SGPR: 2
; COMPUTE_PGM_RSRC2:TRAP_HANDLER: 0
; COMPUTE_PGM_RSRC2:TGID_X_EN: 1
; COMPUTE_PGM_RSRC2:TGID_Y_EN: 0
; COMPUTE_PGM_RSRC2:TGID_Z_EN: 0
; COMPUTE_PGM_RSRC2:TIDIG_COMP_CNT: 0
	.section	.text._ZN9rocsolver6v33100L18getri_kernel_smallILi56E19rocblas_complex_numIfEPS3_EEvT1_iilPiilS6_bb,"axG",@progbits,_ZN9rocsolver6v33100L18getri_kernel_smallILi56E19rocblas_complex_numIfEPS3_EEvT1_iilPiilS6_bb,comdat
	.globl	_ZN9rocsolver6v33100L18getri_kernel_smallILi56E19rocblas_complex_numIfEPS3_EEvT1_iilPiilS6_bb ; -- Begin function _ZN9rocsolver6v33100L18getri_kernel_smallILi56E19rocblas_complex_numIfEPS3_EEvT1_iilPiilS6_bb
	.p2align	8
	.type	_ZN9rocsolver6v33100L18getri_kernel_smallILi56E19rocblas_complex_numIfEPS3_EEvT1_iilPiilS6_bb,@function
_ZN9rocsolver6v33100L18getri_kernel_smallILi56E19rocblas_complex_numIfEPS3_EEvT1_iilPiilS6_bb: ; @_ZN9rocsolver6v33100L18getri_kernel_smallILi56E19rocblas_complex_numIfEPS3_EEvT1_iilPiilS6_bb
; %bb.0:
	s_mov_b32 s2, exec_lo
	v_cmpx_gt_u32_e32 56, v0
	s_cbranch_execz .LBB55_238
; %bb.1:
	s_clause 0x2
	s_load_b32 s2, s[0:1], 0x38
	s_load_b128 s[12:15], s[0:1], 0x10
	s_load_b128 s[4:7], s[0:1], 0x28
	s_mov_b32 s16, ttmp9
	s_wait_kmcnt 0x0
	s_bitcmp1_b32 s2, 8
	s_cselect_b32 s18, -1, 0
	s_bfe_u32 s2, s2, 0x10008
	s_ashr_i32 s17, ttmp9, 31
	s_cmp_eq_u32 s2, 0
                                        ; implicit-def: $sgpr2_sgpr3
	s_cbranch_scc1 .LBB55_3
; %bb.2:
	s_load_b32 s2, s[0:1], 0x20
	s_mul_u64 s[4:5], s[4:5], s[16:17]
	s_delay_alu instid0(SALU_CYCLE_1) | instskip(NEXT) | instid1(SALU_CYCLE_1)
	s_lshl_b64 s[4:5], s[4:5], 2
	s_add_nc_u64 s[4:5], s[14:15], s[4:5]
	s_wait_kmcnt 0x0
	s_ashr_i32 s3, s2, 31
	s_delay_alu instid0(SALU_CYCLE_1) | instskip(NEXT) | instid1(SALU_CYCLE_1)
	s_lshl_b64 s[2:3], s[2:3], 2
	s_add_nc_u64 s[2:3], s[4:5], s[2:3]
.LBB55_3:
	s_clause 0x1
	s_load_b128 s[8:11], s[0:1], 0x0
	s_load_b32 s4, s[0:1], 0x38
	s_mul_u64 s[0:1], s[12:13], s[16:17]
	v_lshlrev_b32_e32 v13, 3, v0
	s_lshl_b64 s[0:1], s[0:1], 3
	s_wait_kmcnt 0x0
	v_add3_u32 v3, s11, s11, v0
	s_ashr_i32 s13, s10, 31
	s_mov_b32 s12, s10
	s_add_nc_u64 s[0:1], s[8:9], s[0:1]
	s_lshl_b64 s[12:13], s[12:13], 3
	v_add_nc_u32_e32 v5, s11, v3
	v_ashrrev_i32_e32 v4, 31, v3
	s_add_nc_u64 s[0:1], s[0:1], s[12:13]
	s_ashr_i32 s9, s11, 31
	v_add_co_u32 v32, s5, s0, v13
	v_add_nc_u32_e32 v7, s11, v5
	s_mov_b32 s8, s11
	v_lshlrev_b64_e32 v[3:4], 3, v[3:4]
	v_add_co_ci_u32_e64 v33, null, s1, 0, s5
	s_delay_alu instid0(VALU_DEP_3) | instskip(SKIP_3) | instid1(VALU_DEP_1)
	v_add_nc_u32_e32 v9, s11, v7
	s_lshl_b64 s[8:9], s[8:9], 3
	v_ashrrev_i32_e32 v6, 31, v5
	v_add_co_u32 v34, vcc_lo, v32, s8
	v_add_co_ci_u32_e64 v35, null, s9, v33, vcc_lo
	v_add_co_u32 v36, vcc_lo, s0, v3
	v_add_nc_u32_e32 v3, s11, v9
	v_lshlrev_b64_e32 v[5:6], 3, v[5:6]
	v_ashrrev_i32_e32 v8, 31, v7
	v_ashrrev_i32_e32 v10, 31, v9
	s_wait_alu 0xfffd
	v_add_co_ci_u32_e64 v37, null, s1, v4, vcc_lo
	v_add_nc_u32_e32 v11, s11, v3
	v_ashrrev_i32_e32 v4, 31, v3
	v_lshlrev_b64_e32 v[7:8], 3, v[7:8]
	v_add_co_u32 v38, vcc_lo, s0, v5
	s_wait_alu 0xfffd
	v_add_co_ci_u32_e64 v39, null, s1, v6, vcc_lo
	v_lshlrev_b64_e32 v[5:6], 3, v[9:10]
	v_add_nc_u32_e32 v16, s11, v11
	v_lshlrev_b64_e32 v[14:15], 3, v[3:4]
	v_ashrrev_i32_e32 v12, 31, v11
	v_add_co_u32 v40, vcc_lo, s0, v7
	s_delay_alu instid0(VALU_DEP_4)
	v_ashrrev_i32_e32 v17, 31, v16
	v_add_nc_u32_e32 v18, s11, v16
	s_wait_alu 0xfffd
	v_add_co_ci_u32_e64 v41, null, s1, v8, vcc_lo
	v_add_co_u32 v42, vcc_lo, s0, v5
	v_lshlrev_b64_e32 v[11:12], 3, v[11:12]
	s_wait_alu 0xfffd
	v_add_co_ci_u32_e64 v43, null, s1, v6, vcc_lo
	v_add_co_u32 v44, vcc_lo, s0, v14
	s_wait_alu 0xfffd
	v_add_co_ci_u32_e64 v45, null, s1, v15, vcc_lo
	v_lshlrev_b64_e32 v[14:15], 3, v[16:17]
	v_ashrrev_i32_e32 v19, 31, v18
	v_add_nc_u32_e32 v16, s11, v18
	v_add_co_u32 v46, vcc_lo, s0, v11
	s_wait_alu 0xfffd
	v_add_co_ci_u32_e64 v47, null, s1, v12, vcc_lo
	v_lshlrev_b64_e32 v[11:12], 3, v[18:19]
	v_ashrrev_i32_e32 v17, 31, v16
	v_add_nc_u32_e32 v18, s11, v16
	;; [unrolled: 6-line block ×24, first 2 shown]
	v_add_co_u32 v92, vcc_lo, s0, v14
	s_wait_alu 0xfffd
	v_add_co_ci_u32_e64 v93, null, s1, v15, vcc_lo
	v_lshlrev_b64_e32 v[14:15], 3, v[16:17]
	v_add_nc_u32_e32 v16, s11, v18
	v_ashrrev_i32_e32 v19, 31, v18
	v_add_co_u32 v94, vcc_lo, s0, v11
	s_wait_alu 0xfffd
	v_add_co_ci_u32_e64 v95, null, s1, v12, vcc_lo
	v_add_nc_u32_e32 v30, s11, v16
	v_lshlrev_b64_e32 v[11:12], 3, v[18:19]
	v_add_co_u32 v96, vcc_lo, s0, v14
	s_wait_alu 0xfffd
	v_add_co_ci_u32_e64 v97, null, s1, v15, vcc_lo
	v_ashrrev_i32_e32 v31, 31, v30
	s_delay_alu instid0(VALU_DEP_4) | instskip(SKIP_2) | instid1(VALU_DEP_3)
	v_add_co_u32 v98, vcc_lo, s0, v11
	s_wait_alu 0xfffd
	v_add_co_ci_u32_e64 v99, null, s1, v12, vcc_lo
	v_lshlrev_b64_e32 v[11:12], 3, v[30:31]
	v_add_nc_u32_e32 v30, s11, v30
	v_ashrrev_i32_e32 v17, 31, v16
	s_clause 0x4
	global_load_b64 v[1:2], v13, s[0:1]
	global_load_b64 v[3:4], v[34:35], off
	global_load_b64 v[5:6], v[36:37], off
	;; [unrolled: 1-line block ×4, first 2 shown]
	s_bitcmp0_b32 s4, 0
	v_add_nc_u32_e32 v106, s11, v30
	v_ashrrev_i32_e32 v31, 31, v30
	v_lshlrev_b64_e32 v[14:15], 3, v[16:17]
	s_delay_alu instid0(VALU_DEP_3) | instskip(NEXT) | instid1(VALU_DEP_3)
	v_add_nc_u32_e32 v108, s11, v106
	v_lshlrev_b64_e32 v[30:31], 3, v[30:31]
	v_ashrrev_i32_e32 v107, 31, v106
	s_delay_alu instid0(VALU_DEP_4)
	v_add_co_u32 v100, vcc_lo, s0, v14
	s_wait_alu 0xfffd
	v_add_co_ci_u32_e64 v101, null, s1, v15, vcc_lo
	v_add_co_u32 v102, vcc_lo, s0, v11
	v_add_nc_u32_e32 v110, s11, v108
	s_wait_alu 0xfffd
	v_add_co_ci_u32_e64 v103, null, s1, v12, vcc_lo
	v_add_co_u32 v104, vcc_lo, s0, v30
	s_wait_alu 0xfffd
	v_add_co_ci_u32_e64 v105, null, s1, v31, vcc_lo
	v_lshlrev_b64_e32 v[30:31], 3, v[106:107]
	v_ashrrev_i32_e32 v109, 31, v108
	v_add_nc_u32_e32 v112, s11, v110
	v_ashrrev_i32_e32 v111, 31, v110
	s_clause 0x13
	global_load_b64 v[11:12], v[42:43], off
	global_load_b64 v[14:15], v[44:45], off
	;; [unrolled: 1-line block ×20, first 2 shown]
	v_lshlrev_b64_e32 v[108:109], 3, v[108:109]
	v_add_co_u32 v106, vcc_lo, s0, v30
	v_ashrrev_i32_e32 v113, 31, v112
	s_wait_alu 0xfffd
	v_add_co_ci_u32_e64 v107, null, s1, v31, vcc_lo
	v_lshlrev_b64_e32 v[30:31], 3, v[110:111]
	v_add_nc_u32_e32 v115, s11, v112
	v_lshlrev_b64_e32 v[113:114], 3, v[112:113]
	v_add_co_u32 v108, vcc_lo, s0, v108
	s_wait_alu 0xfffd
	v_add_co_ci_u32_e64 v109, null, s1, v109, vcc_lo
	v_add_co_u32 v110, vcc_lo, s0, v30
	v_ashrrev_i32_e32 v116, 31, v115
	v_add_nc_u32_e32 v30, s11, v115
	s_wait_alu 0xfffd
	v_add_co_ci_u32_e64 v111, null, s1, v31, vcc_lo
	v_add_co_u32 v112, vcc_lo, s0, v113
	s_wait_alu 0xfffd
	v_add_co_ci_u32_e64 v113, null, s1, v114, vcc_lo
	v_lshlrev_b64_e32 v[114:115], 3, v[115:116]
	v_add_nc_u32_e32 v116, s11, v30
	v_ashrrev_i32_e32 v31, 31, v30
	s_clause 0xb
	global_load_b64 v[166:167], v[82:83], off
	global_load_b64 v[168:169], v[84:85], off
	;; [unrolled: 1-line block ×12, first 2 shown]
	v_add_nc_u32_e32 v118, s11, v116
	v_lshlrev_b64_e32 v[30:31], 3, v[30:31]
	v_ashrrev_i32_e32 v117, 31, v116
	v_add_co_u32 v114, vcc_lo, s0, v114
	s_delay_alu instid0(VALU_DEP_4)
	v_add_nc_u32_e32 v122, s11, v118
	v_ashrrev_i32_e32 v119, 31, v118
	s_wait_alu 0xfffd
	v_add_co_ci_u32_e64 v115, null, s1, v115, vcc_lo
	v_lshlrev_b64_e32 v[120:121], 3, v[116:117]
	v_add_co_u32 v116, vcc_lo, s0, v30
	v_add_nc_u32_e32 v124, s11, v122
	s_wait_alu 0xfffd
	v_add_co_ci_u32_e64 v117, null, s1, v31, vcc_lo
	v_lshlrev_b64_e32 v[30:31], 3, v[118:119]
	v_ashrrev_i32_e32 v123, 31, v122
	v_add_co_u32 v118, vcc_lo, s0, v120
	v_add_nc_u32_e32 v126, s11, v124
	s_wait_alu 0xfffd
	v_add_co_ci_u32_e64 v119, null, s1, v121, vcc_lo
	v_add_co_u32 v120, vcc_lo, s0, v30
	s_wait_alu 0xfffd
	v_add_co_ci_u32_e64 v121, null, s1, v31, vcc_lo
	v_lshlrev_b64_e32 v[30:31], 3, v[122:123]
	v_ashrrev_i32_e32 v125, 31, v124
	v_add_nc_u32_e32 v128, s11, v126
	v_ashrrev_i32_e32 v127, 31, v126
	s_clause 0x7
	global_load_b64 v[190:191], v[106:107], off
	global_load_b64 v[192:193], v[108:109], off
	;; [unrolled: 1-line block ×8, first 2 shown]
	v_lshlrev_b64_e32 v[124:125], 3, v[124:125]
	v_add_co_u32 v122, vcc_lo, s0, v30
	v_ashrrev_i32_e32 v129, 31, v128
	s_wait_alu 0xfffd
	v_add_co_ci_u32_e64 v123, null, s1, v31, vcc_lo
	v_lshlrev_b64_e32 v[30:31], 3, v[126:127]
	v_add_nc_u32_e32 v131, s11, v128
	v_lshlrev_b64_e32 v[129:130], 3, v[128:129]
	v_add_co_u32 v124, vcc_lo, s0, v124
	s_wait_alu 0xfffd
	v_add_co_ci_u32_e64 v125, null, s1, v125, vcc_lo
	v_add_co_u32 v126, vcc_lo, s0, v30
	v_ashrrev_i32_e32 v132, 31, v131
	v_add_nc_u32_e32 v30, s11, v131
	s_wait_alu 0xfffd
	v_add_co_ci_u32_e64 v127, null, s1, v31, vcc_lo
	v_add_co_u32 v128, vcc_lo, s0, v129
	s_wait_alu 0xfffd
	v_add_co_ci_u32_e64 v129, null, s1, v130, vcc_lo
	v_lshlrev_b64_e32 v[130:131], 3, v[131:132]
	v_add_nc_u32_e32 v132, s11, v30
	v_ashrrev_i32_e32 v31, 31, v30
	s_clause 0x3
	global_load_b64 v[206:207], v[122:123], off
	global_load_b64 v[208:209], v[124:125], off
	;; [unrolled: 1-line block ×4, first 2 shown]
	v_add_nc_u32_e32 v134, s11, v132
	v_lshlrev_b64_e32 v[30:31], 3, v[30:31]
	v_ashrrev_i32_e32 v133, 31, v132
	v_add_co_u32 v130, vcc_lo, s0, v130
	s_delay_alu instid0(VALU_DEP_4)
	v_add_nc_u32_e32 v138, s11, v134
	v_ashrrev_i32_e32 v135, 31, v134
	s_wait_alu 0xfffd
	v_add_co_ci_u32_e64 v131, null, s1, v131, vcc_lo
	v_lshlrev_b64_e32 v[136:137], 3, v[132:133]
	v_add_nc_u32_e32 v140, s11, v138
	v_add_co_u32 v132, vcc_lo, s0, v30
	s_wait_alu 0xfffd
	v_add_co_ci_u32_e64 v133, null, s1, v31, vcc_lo
	v_lshlrev_b64_e32 v[30:31], 3, v[134:135]
	v_add_nc_u32_e32 v142, s11, v140
	v_ashrrev_i32_e32 v139, 31, v138
	v_ashrrev_i32_e32 v141, 31, v140
	v_add_co_u32 v134, vcc_lo, s0, v136
	s_delay_alu instid0(VALU_DEP_4)
	v_ashrrev_i32_e32 v143, 31, v142
	s_wait_alu 0xfffd
	v_add_co_ci_u32_e64 v135, null, s1, v137, vcc_lo
	v_lshlrev_b64_e32 v[138:139], 3, v[138:139]
	v_add_co_u32 v136, vcc_lo, s0, v30
	s_wait_alu 0xfffd
	v_add_co_ci_u32_e64 v137, null, s1, v31, vcc_lo
	v_lshlrev_b64_e32 v[30:31], 3, v[140:141]
	v_lshlrev_b64_e32 v[142:143], 3, v[142:143]
	v_add_co_u32 v138, vcc_lo, s0, v138
	s_wait_alu 0xfffd
	v_add_co_ci_u32_e64 v139, null, s1, v139, vcc_lo
	s_delay_alu instid0(VALU_DEP_4)
	v_add_co_u32 v140, vcc_lo, s0, v30
	s_wait_alu 0xfffd
	v_add_co_ci_u32_e64 v141, null, s1, v31, vcc_lo
	v_add_co_u32 v142, vcc_lo, s0, v142
	s_wait_alu 0xfffd
	v_add_co_ci_u32_e64 v143, null, s1, v143, vcc_lo
	s_clause 0x6
	global_load_b64 v[214:215], v[130:131], off
	global_load_b64 v[216:217], v[132:133], off
	;; [unrolled: 1-line block ×7, first 2 shown]
	s_mov_b32 s1, -1
	s_wait_loadcnt 0x36
	scratch_store_b128 off, v[1:4], off
	s_wait_loadcnt 0x34
	scratch_store_b128 off, v[5:8], off offset:16
	s_wait_loadcnt 0x32
	scratch_store_b128 off, v[9:12], off offset:32
	s_wait_loadcnt 0x30
	scratch_store_b128 off, v[14:17], off offset:48
	s_wait_loadcnt 0x2e
	scratch_store_b128 off, v[18:21], off offset:64
	s_wait_loadcnt 0x2c
	scratch_store_b128 off, v[22:25], off offset:80
	s_wait_loadcnt 0x2a
	scratch_store_b128 off, v[26:29], off offset:96
	s_wait_loadcnt 0x28
	scratch_store_b128 off, v[144:147], off offset:112
	s_wait_loadcnt 0x26
	scratch_store_b128 off, v[148:151], off offset:128
	s_wait_loadcnt 0x24
	scratch_store_b128 off, v[152:155], off offset:144
	s_wait_loadcnt 0x22
	scratch_store_b128 off, v[156:159], off offset:160
	s_wait_loadcnt 0x20
	scratch_store_b128 off, v[160:163], off offset:176
	s_wait_loadcnt 0x1e
	scratch_store_b128 off, v[164:167], off offset:192
	s_wait_loadcnt 0x1c
	scratch_store_b128 off, v[168:171], off offset:208
	s_wait_loadcnt 0x1a
	scratch_store_b128 off, v[172:175], off offset:224
	s_wait_loadcnt 0x18
	scratch_store_b128 off, v[176:179], off offset:240
	s_wait_loadcnt 0x16
	scratch_store_b128 off, v[180:183], off offset:256
	s_wait_loadcnt 0x14
	scratch_store_b128 off, v[184:187], off offset:272
	s_wait_loadcnt 0x12
	scratch_store_b128 off, v[188:191], off offset:288
	s_wait_loadcnt 0x10
	scratch_store_b128 off, v[192:195], off offset:304
	s_wait_loadcnt 0xe
	scratch_store_b128 off, v[196:199], off offset:320
	s_wait_loadcnt 0xc
	scratch_store_b128 off, v[200:203], off offset:336
	s_wait_loadcnt 0xa
	scratch_store_b128 off, v[204:207], off offset:352
	s_wait_loadcnt 0x8
	scratch_store_b128 off, v[208:211], off offset:368
	s_wait_loadcnt 0x6
	scratch_store_b128 off, v[212:215], off offset:384
	s_wait_loadcnt 0x4
	scratch_store_b128 off, v[216:219], off offset:400
	s_wait_loadcnt 0x2
	scratch_store_b128 off, v[220:223], off offset:416
	s_wait_loadcnt 0x0
	scratch_store_b128 off, v[224:227], off offset:432
	s_cbranch_scc1 .LBB55_236
; %bb.4:
	v_cmp_eq_u32_e64 s0, 0, v0
	s_and_saveexec_b32 s1, s0
; %bb.5:
	v_mov_b32_e32 v1, 0
	ds_store_b32 v1, v1 offset:896
; %bb.6:
	s_wait_alu 0xfffe
	s_or_b32 exec_lo, exec_lo, s1
	s_wait_storecnt_dscnt 0x0
	s_barrier_signal -1
	s_barrier_wait -1
	global_inv scope:SCOPE_SE
	scratch_load_b64 v[1:2], v13, off
	s_wait_loadcnt 0x0
	v_cmp_eq_f32_e32 vcc_lo, 0, v1
	v_cmp_eq_f32_e64 s1, 0, v2
	s_and_b32 s1, vcc_lo, s1
	s_wait_alu 0xfffe
	s_and_saveexec_b32 s4, s1
	s_cbranch_execz .LBB55_10
; %bb.7:
	v_mov_b32_e32 v1, 0
	s_mov_b32 s5, 0
	ds_load_b32 v2, v1 offset:896
	s_wait_dscnt 0x0
	v_readfirstlane_b32 s1, v2
	v_add_nc_u32_e32 v2, 1, v0
	s_cmp_eq_u32 s1, 0
	s_delay_alu instid0(VALU_DEP_1)
	v_cmp_gt_i32_e32 vcc_lo, s1, v2
	s_cselect_b32 s8, -1, 0
	s_wait_alu 0xfffe
	s_or_b32 s8, s8, vcc_lo
	s_wait_alu 0xfffe
	s_and_b32 exec_lo, exec_lo, s8
	s_cbranch_execz .LBB55_10
; %bb.8:
	v_mov_b32_e32 v3, s1
.LBB55_9:                               ; =>This Inner Loop Header: Depth=1
	ds_cmpstore_rtn_b32 v3, v1, v2, v3 offset:896
	s_wait_dscnt 0x0
	v_cmp_ne_u32_e32 vcc_lo, 0, v3
	v_cmp_le_i32_e64 s1, v3, v2
	s_and_b32 s1, vcc_lo, s1
	s_wait_alu 0xfffe
	s_and_b32 s1, exec_lo, s1
	s_wait_alu 0xfffe
	s_or_b32 s5, s1, s5
	s_wait_alu 0xfffe
	s_and_not1_b32 exec_lo, exec_lo, s5
	s_cbranch_execnz .LBB55_9
.LBB55_10:
	s_wait_alu 0xfffe
	s_or_b32 exec_lo, exec_lo, s4
	v_mov_b32_e32 v1, 0
	s_barrier_signal -1
	s_barrier_wait -1
	global_inv scope:SCOPE_SE
	ds_load_b32 v2, v1 offset:896
	s_and_saveexec_b32 s1, s0
	s_cbranch_execz .LBB55_12
; %bb.11:
	s_lshl_b64 s[4:5], s[16:17], 2
	s_wait_alu 0xfffe
	s_add_nc_u64 s[4:5], s[6:7], s[4:5]
	s_wait_dscnt 0x0
	global_store_b32 v1, v2, s[4:5]
.LBB55_12:
	s_wait_alu 0xfffe
	s_or_b32 exec_lo, exec_lo, s1
	s_wait_dscnt 0x0
	v_cmp_ne_u32_e32 vcc_lo, 0, v2
	s_mov_b32 s1, 0
	s_cbranch_vccnz .LBB55_236
; %bb.13:
	v_mov_b32_e32 v7, v13
                                        ; implicit-def: $vgpr3
                                        ; implicit-def: $vgpr5
	scratch_load_b64 v[1:2], v7, off
	s_wait_loadcnt 0x0
	v_cmp_ngt_f32_e64 s1, |v1|, |v2|
	s_wait_alu 0xfffe
	s_and_saveexec_b32 s4, s1
	s_wait_alu 0xfffe
	s_xor_b32 s1, exec_lo, s4
	s_cbranch_execz .LBB55_15
; %bb.14:
	v_div_scale_f32 v3, null, v2, v2, v1
	v_div_scale_f32 v6, vcc_lo, v1, v2, v1
	s_delay_alu instid0(VALU_DEP_2) | instskip(NEXT) | instid1(TRANS32_DEP_1)
	v_rcp_f32_e32 v4, v3
	v_fma_f32 v5, -v3, v4, 1.0
	s_delay_alu instid0(VALU_DEP_1) | instskip(NEXT) | instid1(VALU_DEP_1)
	v_fmac_f32_e32 v4, v5, v4
	v_mul_f32_e32 v5, v6, v4
	s_delay_alu instid0(VALU_DEP_1) | instskip(NEXT) | instid1(VALU_DEP_1)
	v_fma_f32 v8, -v3, v5, v6
	v_fmac_f32_e32 v5, v8, v4
	s_delay_alu instid0(VALU_DEP_1) | instskip(SKIP_1) | instid1(VALU_DEP_1)
	v_fma_f32 v3, -v3, v5, v6
	s_wait_alu 0xfffd
	v_div_fmas_f32 v3, v3, v4, v5
	s_delay_alu instid0(VALU_DEP_1) | instskip(NEXT) | instid1(VALU_DEP_1)
	v_div_fixup_f32 v3, v3, v2, v1
	v_fmac_f32_e32 v2, v1, v3
	s_delay_alu instid0(VALU_DEP_1) | instskip(NEXT) | instid1(VALU_DEP_1)
	v_div_scale_f32 v1, null, v2, v2, 1.0
	v_rcp_f32_e32 v4, v1
	s_delay_alu instid0(TRANS32_DEP_1) | instskip(NEXT) | instid1(VALU_DEP_1)
	v_fma_f32 v5, -v1, v4, 1.0
	v_fmac_f32_e32 v4, v5, v4
	v_div_scale_f32 v5, vcc_lo, 1.0, v2, 1.0
	s_delay_alu instid0(VALU_DEP_1) | instskip(NEXT) | instid1(VALU_DEP_1)
	v_mul_f32_e32 v6, v5, v4
	v_fma_f32 v8, -v1, v6, v5
	s_delay_alu instid0(VALU_DEP_1) | instskip(NEXT) | instid1(VALU_DEP_1)
	v_fmac_f32_e32 v6, v8, v4
	v_fma_f32 v1, -v1, v6, v5
	s_wait_alu 0xfffd
	s_delay_alu instid0(VALU_DEP_1) | instskip(NEXT) | instid1(VALU_DEP_1)
	v_div_fmas_f32 v1, v1, v4, v6
	v_div_fixup_f32 v1, v1, v2, 1.0
	s_delay_alu instid0(VALU_DEP_1) | instskip(SKIP_1) | instid1(VALU_DEP_2)
	v_mul_f32_e32 v3, v3, v1
	v_xor_b32_e32 v4, 0x80000000, v1
                                        ; implicit-def: $vgpr1_vgpr2
	v_xor_b32_e32 v5, 0x80000000, v3
.LBB55_15:
	s_wait_alu 0xfffe
	s_and_not1_saveexec_b32 s1, s1
	s_cbranch_execz .LBB55_17
; %bb.16:
	v_div_scale_f32 v3, null, v1, v1, v2
	v_div_scale_f32 v6, vcc_lo, v2, v1, v2
	s_delay_alu instid0(VALU_DEP_2) | instskip(NEXT) | instid1(TRANS32_DEP_1)
	v_rcp_f32_e32 v4, v3
	v_fma_f32 v5, -v3, v4, 1.0
	s_delay_alu instid0(VALU_DEP_1) | instskip(NEXT) | instid1(VALU_DEP_1)
	v_fmac_f32_e32 v4, v5, v4
	v_mul_f32_e32 v5, v6, v4
	s_delay_alu instid0(VALU_DEP_1) | instskip(NEXT) | instid1(VALU_DEP_1)
	v_fma_f32 v8, -v3, v5, v6
	v_fmac_f32_e32 v5, v8, v4
	s_delay_alu instid0(VALU_DEP_1) | instskip(SKIP_1) | instid1(VALU_DEP_1)
	v_fma_f32 v3, -v3, v5, v6
	s_wait_alu 0xfffd
	v_div_fmas_f32 v3, v3, v4, v5
	s_delay_alu instid0(VALU_DEP_1) | instskip(NEXT) | instid1(VALU_DEP_1)
	v_div_fixup_f32 v4, v3, v1, v2
	v_fmac_f32_e32 v1, v2, v4
	s_delay_alu instid0(VALU_DEP_1) | instskip(SKIP_1) | instid1(VALU_DEP_2)
	v_div_scale_f32 v2, null, v1, v1, 1.0
	v_div_scale_f32 v6, vcc_lo, 1.0, v1, 1.0
	v_rcp_f32_e32 v3, v2
	s_delay_alu instid0(TRANS32_DEP_1) | instskip(NEXT) | instid1(VALU_DEP_1)
	v_fma_f32 v5, -v2, v3, 1.0
	v_fmac_f32_e32 v3, v5, v3
	s_delay_alu instid0(VALU_DEP_1) | instskip(NEXT) | instid1(VALU_DEP_1)
	v_mul_f32_e32 v5, v6, v3
	v_fma_f32 v8, -v2, v5, v6
	s_delay_alu instid0(VALU_DEP_1) | instskip(NEXT) | instid1(VALU_DEP_1)
	v_fmac_f32_e32 v5, v8, v3
	v_fma_f32 v2, -v2, v5, v6
	s_wait_alu 0xfffd
	s_delay_alu instid0(VALU_DEP_1) | instskip(NEXT) | instid1(VALU_DEP_1)
	v_div_fmas_f32 v2, v2, v3, v5
	v_div_fixup_f32 v3, v2, v1, 1.0
	s_delay_alu instid0(VALU_DEP_1)
	v_xor_b32_e32 v5, 0x80000000, v3
	v_mul_f32_e64 v4, v4, -v3
.LBB55_17:
	s_wait_alu 0xfffe
	s_or_b32 exec_lo, exec_lo, s1
	scratch_store_b64 v7, v[3:4], off
	scratch_load_b64 v[2:3], off, off offset:8
	v_xor_b32_e32 v6, 0x80000000, v4
	v_add_nc_u32_e32 v1, 0x1c0, v13
	s_wait_loadcnt 0x0
	ds_store_2addr_b64 v13, v[5:6], v[2:3] offset1:56
	s_wait_storecnt_dscnt 0x0
	s_barrier_signal -1
	s_barrier_wait -1
	global_inv scope:SCOPE_SE
	s_and_saveexec_b32 s1, s0
	s_cbranch_execz .LBB55_19
; %bb.18:
	scratch_load_b64 v[2:3], v7, off
	ds_load_b64 v[4:5], v1
	v_mov_b32_e32 v6, 0
	ds_load_b64 v[8:9], v6 offset:8
	s_wait_loadcnt_dscnt 0x1
	v_mul_f32_e32 v6, v4, v3
	v_mul_f32_e32 v3, v5, v3
	s_delay_alu instid0(VALU_DEP_2) | instskip(NEXT) | instid1(VALU_DEP_2)
	v_fmac_f32_e32 v6, v5, v2
	v_fma_f32 v2, v4, v2, -v3
	s_delay_alu instid0(VALU_DEP_2) | instskip(SKIP_1) | instid1(VALU_DEP_1)
	v_add_f32_e32 v4, 0, v6
	s_wait_dscnt 0x0
	v_dual_add_f32 v2, 0, v2 :: v_dual_mul_f32 v5, v4, v9
	s_delay_alu instid0(VALU_DEP_1) | instskip(NEXT) | instid1(VALU_DEP_1)
	v_mul_f32_e32 v3, v2, v9
	v_fmac_f32_e32 v3, v4, v8
	s_delay_alu instid0(VALU_DEP_3)
	v_fma_f32 v2, v2, v8, -v5
	scratch_store_b64 off, v[2:3], off offset:8
.LBB55_19:
	s_wait_alu 0xfffe
	s_or_b32 exec_lo, exec_lo, s1
	s_wait_loadcnt 0x0
	s_wait_storecnt 0x0
	s_barrier_signal -1
	s_barrier_wait -1
	global_inv scope:SCOPE_SE
	scratch_load_b64 v[2:3], off, off offset:16
	s_mov_b32 s1, exec_lo
	s_wait_loadcnt 0x0
	ds_store_b64 v1, v[2:3]
	s_wait_dscnt 0x0
	s_barrier_signal -1
	s_barrier_wait -1
	global_inv scope:SCOPE_SE
	v_cmpx_gt_u32_e32 2, v0
	s_cbranch_execz .LBB55_23
; %bb.20:
	scratch_load_b64 v[2:3], v7, off
	ds_load_b64 v[4:5], v1
	s_wait_loadcnt_dscnt 0x0
	v_mul_f32_e32 v6, v5, v3
	v_mul_f32_e32 v8, v4, v3
	s_delay_alu instid0(VALU_DEP_2) | instskip(NEXT) | instid1(VALU_DEP_1)
	v_fma_f32 v3, v4, v2, -v6
	v_dual_fmac_f32 v8, v5, v2 :: v_dual_add_f32 v3, 0, v3
	s_delay_alu instid0(VALU_DEP_1)
	v_add_f32_e32 v2, 0, v8
	s_and_saveexec_b32 s4, s0
	s_cbranch_execz .LBB55_22
; %bb.21:
	scratch_load_b64 v[4:5], off, off offset:8
	v_mov_b32_e32 v6, 0
	ds_load_b64 v[8:9], v6 offset:456
	s_wait_loadcnt_dscnt 0x0
	v_mul_f32_e32 v6, v8, v5
	v_mul_f32_e32 v5, v9, v5
	s_delay_alu instid0(VALU_DEP_2) | instskip(NEXT) | instid1(VALU_DEP_2)
	v_fmac_f32_e32 v6, v9, v4
	v_fma_f32 v4, v8, v4, -v5
	s_delay_alu instid0(VALU_DEP_1)
	v_dual_add_f32 v2, v2, v6 :: v_dual_add_f32 v3, v3, v4
.LBB55_22:
	s_wait_alu 0xfffe
	s_or_b32 exec_lo, exec_lo, s4
	v_mov_b32_e32 v4, 0
	ds_load_b64 v[4:5], v4 offset:16
	s_wait_dscnt 0x0
	v_mul_f32_e32 v8, v2, v5
	v_mul_f32_e32 v6, v3, v5
	s_delay_alu instid0(VALU_DEP_2) | instskip(NEXT) | instid1(VALU_DEP_2)
	v_fma_f32 v5, v3, v4, -v8
	v_fmac_f32_e32 v6, v2, v4
	scratch_store_b64 off, v[5:6], off offset:16
.LBB55_23:
	s_wait_alu 0xfffe
	s_or_b32 exec_lo, exec_lo, s1
	s_wait_loadcnt 0x0
	s_wait_storecnt 0x0
	s_barrier_signal -1
	s_barrier_wait -1
	global_inv scope:SCOPE_SE
	scratch_load_b64 v[3:4], off, off offset:24
	v_add_nc_u32_e32 v2, -1, v0
	s_mov_b32 s0, exec_lo
	s_wait_loadcnt 0x0
	ds_store_b64 v1, v[3:4]
	s_wait_dscnt 0x0
	s_barrier_signal -1
	s_barrier_wait -1
	global_inv scope:SCOPE_SE
	v_cmpx_gt_u32_e32 3, v0
	s_cbranch_execz .LBB55_27
; %bb.24:
	v_dual_mov_b32 v3, 0 :: v_dual_add_nc_u32 v4, -1, v0
	v_dual_mov_b32 v6, v13 :: v_dual_add_nc_u32 v5, 0x1c0, v13
	v_mov_b32_e32 v8, 0
	s_mov_b32 s1, 0
.LBB55_25:                              ; =>This Inner Loop Header: Depth=1
	scratch_load_b64 v[9:10], v6, off
	ds_load_b64 v[11:12], v5
	v_add_nc_u32_e32 v6, 8, v6
	s_wait_loadcnt_dscnt 0x0
	v_dual_mul_f32 v14, v12, v10 :: v_dual_add_nc_u32 v5, 8, v5
	v_mul_f32_e32 v10, v11, v10
	s_delay_alu instid0(VALU_DEP_2) | instskip(NEXT) | instid1(VALU_DEP_2)
	v_fma_f32 v11, v11, v9, -v14
	v_fmac_f32_e32 v10, v12, v9
	v_add_nc_u32_e32 v4, 1, v4
	s_delay_alu instid0(VALU_DEP_2) | instskip(NEXT) | instid1(VALU_DEP_2)
	v_dual_add_f32 v8, v8, v11 :: v_dual_add_f32 v3, v3, v10
	v_cmp_lt_u32_e32 vcc_lo, 1, v4
	s_wait_alu 0xfffe
	s_or_b32 s1, vcc_lo, s1
	s_wait_alu 0xfffe
	s_and_not1_b32 exec_lo, exec_lo, s1
	s_cbranch_execnz .LBB55_25
; %bb.26:
	s_or_b32 exec_lo, exec_lo, s1
	v_mov_b32_e32 v4, 0
	ds_load_b64 v[4:5], v4 offset:24
	s_wait_dscnt 0x0
	v_mul_f32_e32 v9, v3, v5
	v_mul_f32_e32 v6, v8, v5
	s_delay_alu instid0(VALU_DEP_2) | instskip(NEXT) | instid1(VALU_DEP_2)
	v_fma_f32 v5, v8, v4, -v9
	v_fmac_f32_e32 v6, v3, v4
	scratch_store_b64 off, v[5:6], off offset:24
.LBB55_27:
	s_wait_alu 0xfffe
	s_or_b32 exec_lo, exec_lo, s0
	s_wait_loadcnt 0x0
	s_wait_storecnt 0x0
	s_barrier_signal -1
	s_barrier_wait -1
	global_inv scope:SCOPE_SE
	scratch_load_b64 v[3:4], off, off offset:32
	s_mov_b32 s0, exec_lo
	s_wait_loadcnt 0x0
	ds_store_b64 v1, v[3:4]
	s_wait_dscnt 0x0
	s_barrier_signal -1
	s_barrier_wait -1
	global_inv scope:SCOPE_SE
	v_cmpx_gt_u32_e32 4, v0
	s_cbranch_execz .LBB55_31
; %bb.28:
	v_dual_mov_b32 v3, 0 :: v_dual_add_nc_u32 v4, -1, v0
	v_dual_mov_b32 v6, v13 :: v_dual_add_nc_u32 v5, 0x1c0, v13
	v_mov_b32_e32 v8, 0
	s_mov_b32 s1, 0
.LBB55_29:                              ; =>This Inner Loop Header: Depth=1
	scratch_load_b64 v[9:10], v6, off
	ds_load_b64 v[11:12], v5
	v_add_nc_u32_e32 v6, 8, v6
	s_wait_loadcnt_dscnt 0x0
	v_dual_mul_f32 v14, v12, v10 :: v_dual_add_nc_u32 v5, 8, v5
	v_mul_f32_e32 v10, v11, v10
	s_delay_alu instid0(VALU_DEP_2) | instskip(NEXT) | instid1(VALU_DEP_2)
	v_fma_f32 v11, v11, v9, -v14
	v_fmac_f32_e32 v10, v12, v9
	v_add_nc_u32_e32 v4, 1, v4
	s_delay_alu instid0(VALU_DEP_2) | instskip(NEXT) | instid1(VALU_DEP_2)
	v_dual_add_f32 v8, v8, v11 :: v_dual_add_f32 v3, v3, v10
	v_cmp_lt_u32_e32 vcc_lo, 2, v4
	s_wait_alu 0xfffe
	s_or_b32 s1, vcc_lo, s1
	s_wait_alu 0xfffe
	s_and_not1_b32 exec_lo, exec_lo, s1
	s_cbranch_execnz .LBB55_29
; %bb.30:
	s_or_b32 exec_lo, exec_lo, s1
	v_mov_b32_e32 v4, 0
	ds_load_b64 v[4:5], v4 offset:32
	s_wait_dscnt 0x0
	v_mul_f32_e32 v9, v3, v5
	v_mul_f32_e32 v6, v8, v5
	s_delay_alu instid0(VALU_DEP_2) | instskip(NEXT) | instid1(VALU_DEP_2)
	v_fma_f32 v5, v8, v4, -v9
	v_fmac_f32_e32 v6, v3, v4
	scratch_store_b64 off, v[5:6], off offset:32
.LBB55_31:
	s_wait_alu 0xfffe
	s_or_b32 exec_lo, exec_lo, s0
	s_wait_loadcnt 0x0
	s_wait_storecnt 0x0
	s_barrier_signal -1
	s_barrier_wait -1
	global_inv scope:SCOPE_SE
	scratch_load_b64 v[3:4], off, off offset:40
	;; [unrolled: 53-line block ×19, first 2 shown]
	s_mov_b32 s0, exec_lo
	s_wait_loadcnt 0x0
	ds_store_b64 v1, v[3:4]
	s_wait_dscnt 0x0
	s_barrier_signal -1
	s_barrier_wait -1
	global_inv scope:SCOPE_SE
	v_cmpx_gt_u32_e32 22, v0
	s_cbranch_execz .LBB55_103
; %bb.100:
	v_dual_mov_b32 v3, 0 :: v_dual_add_nc_u32 v4, -1, v0
	v_dual_mov_b32 v6, v13 :: v_dual_add_nc_u32 v5, 0x1c0, v13
	v_mov_b32_e32 v8, 0
	s_mov_b32 s1, 0
.LBB55_101:                             ; =>This Inner Loop Header: Depth=1
	scratch_load_b64 v[9:10], v6, off
	ds_load_b64 v[11:12], v5
	v_add_nc_u32_e32 v6, 8, v6
	s_wait_loadcnt_dscnt 0x0
	v_dual_mul_f32 v14, v12, v10 :: v_dual_add_nc_u32 v5, 8, v5
	v_mul_f32_e32 v10, v11, v10
	s_delay_alu instid0(VALU_DEP_2) | instskip(NEXT) | instid1(VALU_DEP_2)
	v_fma_f32 v11, v11, v9, -v14
	v_fmac_f32_e32 v10, v12, v9
	v_add_nc_u32_e32 v4, 1, v4
	s_delay_alu instid0(VALU_DEP_2) | instskip(NEXT) | instid1(VALU_DEP_2)
	v_dual_add_f32 v8, v8, v11 :: v_dual_add_f32 v3, v3, v10
	v_cmp_lt_u32_e32 vcc_lo, 20, v4
	s_wait_alu 0xfffe
	s_or_b32 s1, vcc_lo, s1
	s_wait_alu 0xfffe
	s_and_not1_b32 exec_lo, exec_lo, s1
	s_cbranch_execnz .LBB55_101
; %bb.102:
	s_or_b32 exec_lo, exec_lo, s1
	v_mov_b32_e32 v4, 0
	ds_load_b64 v[4:5], v4 offset:176
	s_wait_dscnt 0x0
	v_mul_f32_e32 v9, v3, v5
	v_mul_f32_e32 v6, v8, v5
	s_delay_alu instid0(VALU_DEP_2) | instskip(NEXT) | instid1(VALU_DEP_2)
	v_fma_f32 v5, v8, v4, -v9
	v_fmac_f32_e32 v6, v3, v4
	scratch_store_b64 off, v[5:6], off offset:176
.LBB55_103:
	s_wait_alu 0xfffe
	s_or_b32 exec_lo, exec_lo, s0
	s_wait_loadcnt 0x0
	s_wait_storecnt 0x0
	s_barrier_signal -1
	s_barrier_wait -1
	global_inv scope:SCOPE_SE
	scratch_load_b64 v[3:4], off, off offset:184
	s_mov_b32 s0, exec_lo
	s_wait_loadcnt 0x0
	ds_store_b64 v1, v[3:4]
	s_wait_dscnt 0x0
	s_barrier_signal -1
	s_barrier_wait -1
	global_inv scope:SCOPE_SE
	v_cmpx_gt_u32_e32 23, v0
	s_cbranch_execz .LBB55_107
; %bb.104:
	v_dual_mov_b32 v3, 0 :: v_dual_add_nc_u32 v4, -1, v0
	v_dual_mov_b32 v6, v13 :: v_dual_add_nc_u32 v5, 0x1c0, v13
	v_mov_b32_e32 v8, 0
	s_mov_b32 s1, 0
.LBB55_105:                             ; =>This Inner Loop Header: Depth=1
	scratch_load_b64 v[9:10], v6, off
	ds_load_b64 v[11:12], v5
	v_add_nc_u32_e32 v6, 8, v6
	s_wait_loadcnt_dscnt 0x0
	v_dual_mul_f32 v14, v12, v10 :: v_dual_add_nc_u32 v5, 8, v5
	v_mul_f32_e32 v10, v11, v10
	s_delay_alu instid0(VALU_DEP_2) | instskip(NEXT) | instid1(VALU_DEP_2)
	v_fma_f32 v11, v11, v9, -v14
	v_fmac_f32_e32 v10, v12, v9
	v_add_nc_u32_e32 v4, 1, v4
	s_delay_alu instid0(VALU_DEP_2) | instskip(NEXT) | instid1(VALU_DEP_2)
	v_dual_add_f32 v8, v8, v11 :: v_dual_add_f32 v3, v3, v10
	v_cmp_lt_u32_e32 vcc_lo, 21, v4
	s_wait_alu 0xfffe
	s_or_b32 s1, vcc_lo, s1
	s_wait_alu 0xfffe
	s_and_not1_b32 exec_lo, exec_lo, s1
	s_cbranch_execnz .LBB55_105
; %bb.106:
	s_or_b32 exec_lo, exec_lo, s1
	v_mov_b32_e32 v4, 0
	ds_load_b64 v[4:5], v4 offset:184
	s_wait_dscnt 0x0
	v_mul_f32_e32 v9, v3, v5
	v_mul_f32_e32 v6, v8, v5
	s_delay_alu instid0(VALU_DEP_2) | instskip(NEXT) | instid1(VALU_DEP_2)
	v_fma_f32 v5, v8, v4, -v9
	v_fmac_f32_e32 v6, v3, v4
	scratch_store_b64 off, v[5:6], off offset:184
.LBB55_107:
	s_wait_alu 0xfffe
	s_or_b32 exec_lo, exec_lo, s0
	s_wait_loadcnt 0x0
	s_wait_storecnt 0x0
	s_barrier_signal -1
	s_barrier_wait -1
	global_inv scope:SCOPE_SE
	scratch_load_b64 v[3:4], off, off offset:192
	;; [unrolled: 53-line block ×32, first 2 shown]
	s_mov_b32 s0, exec_lo
	s_wait_loadcnt 0x0
	ds_store_b64 v1, v[3:4]
	s_wait_dscnt 0x0
	s_barrier_signal -1
	s_barrier_wait -1
	global_inv scope:SCOPE_SE
	v_cmpx_gt_u32_e32 54, v0
	s_cbranch_execz .LBB55_231
; %bb.228:
	v_dual_mov_b32 v3, 0 :: v_dual_add_nc_u32 v4, -1, v0
	v_dual_mov_b32 v6, v13 :: v_dual_add_nc_u32 v5, 0x1c0, v13
	v_mov_b32_e32 v8, 0
	s_mov_b32 s1, 0
.LBB55_229:                             ; =>This Inner Loop Header: Depth=1
	scratch_load_b64 v[9:10], v6, off
	ds_load_b64 v[11:12], v5
	v_add_nc_u32_e32 v6, 8, v6
	v_add_nc_u32_e32 v4, 1, v4
	;; [unrolled: 1-line block ×3, first 2 shown]
	s_delay_alu instid0(VALU_DEP_2)
	v_cmp_lt_u32_e32 vcc_lo, 52, v4
	s_wait_alu 0xfffe
	s_or_b32 s1, vcc_lo, s1
	s_wait_loadcnt_dscnt 0x0
	v_mul_f32_e32 v13, v12, v10
	v_mul_f32_e32 v10, v11, v10
	s_delay_alu instid0(VALU_DEP_2) | instskip(NEXT) | instid1(VALU_DEP_2)
	v_fma_f32 v11, v11, v9, -v13
	v_fmac_f32_e32 v10, v12, v9
	s_delay_alu instid0(VALU_DEP_1)
	v_dual_add_f32 v8, v8, v11 :: v_dual_add_f32 v3, v3, v10
	s_wait_alu 0xfffe
	s_and_not1_b32 exec_lo, exec_lo, s1
	s_cbranch_execnz .LBB55_229
; %bb.230:
	s_or_b32 exec_lo, exec_lo, s1
	v_mov_b32_e32 v4, 0
	ds_load_b64 v[4:5], v4 offset:432
	s_wait_dscnt 0x0
	v_mul_f32_e32 v9, v3, v5
	v_mul_f32_e32 v6, v8, v5
	s_delay_alu instid0(VALU_DEP_2) | instskip(NEXT) | instid1(VALU_DEP_2)
	v_fma_f32 v5, v8, v4, -v9
	v_fmac_f32_e32 v6, v3, v4
	scratch_store_b64 off, v[5:6], off offset:432
.LBB55_231:
	s_wait_alu 0xfffe
	s_or_b32 exec_lo, exec_lo, s0
	s_wait_loadcnt 0x0
	s_wait_storecnt 0x0
	s_barrier_signal -1
	s_barrier_wait -1
	global_inv scope:SCOPE_SE
	scratch_load_b64 v[3:4], off, off offset:440
	s_mov_b32 s0, exec_lo
	s_wait_loadcnt 0x0
	ds_store_b64 v1, v[3:4]
	s_wait_dscnt 0x0
	s_barrier_signal -1
	s_barrier_wait -1
	global_inv scope:SCOPE_SE
	v_cmpx_ne_u32_e32 55, v0
	s_cbranch_execz .LBB55_235
; %bb.232:
	v_dual_mov_b32 v3, 0 :: v_dual_mov_b32 v4, 0
	s_mov_b32 s1, 0
.LBB55_233:                             ; =>This Inner Loop Header: Depth=1
	scratch_load_b64 v[5:6], v7, off
	ds_load_b64 v[8:9], v1
	v_add_nc_u32_e32 v2, 1, v2
	v_add_nc_u32_e32 v1, 8, v1
	;; [unrolled: 1-line block ×3, first 2 shown]
	s_delay_alu instid0(VALU_DEP_3)
	v_cmp_lt_u32_e32 vcc_lo, 53, v2
	s_wait_alu 0xfffe
	s_or_b32 s1, vcc_lo, s1
	s_wait_loadcnt_dscnt 0x0
	v_mul_f32_e32 v10, v9, v6
	v_mul_f32_e32 v6, v8, v6
	s_delay_alu instid0(VALU_DEP_2) | instskip(NEXT) | instid1(VALU_DEP_2)
	v_fma_f32 v8, v8, v5, -v10
	v_fmac_f32_e32 v6, v9, v5
	s_delay_alu instid0(VALU_DEP_1)
	v_dual_add_f32 v4, v4, v8 :: v_dual_add_f32 v3, v3, v6
	s_wait_alu 0xfffe
	s_and_not1_b32 exec_lo, exec_lo, s1
	s_cbranch_execnz .LBB55_233
; %bb.234:
	s_or_b32 exec_lo, exec_lo, s1
	v_mov_b32_e32 v1, 0
	ds_load_b64 v[1:2], v1 offset:440
	s_wait_dscnt 0x0
	v_mul_f32_e32 v6, v3, v2
	v_mul_f32_e32 v5, v4, v2
	s_delay_alu instid0(VALU_DEP_2) | instskip(NEXT) | instid1(VALU_DEP_2)
	v_fma_f32 v4, v4, v1, -v6
	v_fmac_f32_e32 v5, v3, v1
	scratch_store_b64 off, v[4:5], off offset:440
.LBB55_235:
	s_wait_alu 0xfffe
	s_or_b32 exec_lo, exec_lo, s0
	s_mov_b32 s1, -1
	s_wait_loadcnt 0x0
	s_wait_storecnt 0x0
	s_barrier_signal -1
	s_barrier_wait -1
	global_inv scope:SCOPE_SE
.LBB55_236:
	s_wait_alu 0xfffe
	s_and_b32 vcc_lo, exec_lo, s1
	s_wait_alu 0xfffe
	s_cbranch_vccz .LBB55_238
; %bb.237:
	v_mov_b32_e32 v1, 0
	s_lshl_b64 s[0:1], s[16:17], 2
	s_wait_alu 0xfffe
	s_add_nc_u64 s[0:1], s[6:7], s[0:1]
	global_load_b32 v1, v1, s[0:1]
	s_wait_loadcnt 0x0
	v_cmp_ne_u32_e32 vcc_lo, 0, v1
	s_cbranch_vccz .LBB55_239
.LBB55_238:
	s_nop 0
	s_sendmsg sendmsg(MSG_DEALLOC_VGPRS)
	s_endpgm
.LBB55_239:
	v_lshl_add_u32 v27, v0, 3, 0x1c0
	s_mov_b32 s0, exec_lo
	v_cmpx_eq_u32_e32 55, v0
	s_cbranch_execz .LBB55_241
; %bb.240:
	scratch_load_b64 v[1:2], off, off offset:432
	v_mov_b32_e32 v3, 0
	s_delay_alu instid0(VALU_DEP_1)
	v_mov_b32_e32 v4, v3
	scratch_store_b64 off, v[3:4], off offset:432
	s_wait_loadcnt 0x0
	ds_store_b64 v27, v[1:2]
.LBB55_241:
	s_wait_alu 0xfffe
	s_or_b32 exec_lo, exec_lo, s0
	s_wait_storecnt_dscnt 0x0
	s_barrier_signal -1
	s_barrier_wait -1
	global_inv scope:SCOPE_SE
	s_clause 0x1
	scratch_load_b64 v[2:3], off, off offset:440
	scratch_load_b64 v[4:5], off, off offset:432
	v_mov_b32_e32 v1, 0
	s_mov_b32 s0, exec_lo
	ds_load_b64 v[6:7], v1 offset:888
	s_wait_loadcnt_dscnt 0x100
	v_mul_f32_e32 v8, v7, v3
	v_mul_f32_e32 v3, v6, v3
	s_delay_alu instid0(VALU_DEP_2) | instskip(NEXT) | instid1(VALU_DEP_2)
	v_fma_f32 v6, v6, v2, -v8
	v_fmac_f32_e32 v3, v7, v2
	s_delay_alu instid0(VALU_DEP_1) | instskip(SKIP_1) | instid1(VALU_DEP_1)
	v_dual_add_f32 v2, 0, v6 :: v_dual_add_f32 v3, 0, v3
	s_wait_loadcnt 0x0
	v_dual_sub_f32 v2, v4, v2 :: v_dual_sub_f32 v3, v5, v3
	scratch_store_b64 off, v[2:3], off offset:432
	v_cmpx_lt_u32_e32 53, v0
	s_cbranch_execz .LBB55_243
; %bb.242:
	scratch_load_b64 v[3:4], off, off offset:424
	v_mov_b32_e32 v2, v1
	scratch_store_b64 off, v[1:2], off offset:424
	s_wait_loadcnt 0x0
	ds_store_b64 v27, v[3:4]
.LBB55_243:
	s_wait_alu 0xfffe
	s_or_b32 exec_lo, exec_lo, s0
	s_wait_storecnt_dscnt 0x0
	s_barrier_signal -1
	s_barrier_wait -1
	global_inv scope:SCOPE_SE
	s_clause 0x1
	scratch_load_b128 v[2:5], off, off offset:432
	scratch_load_b64 v[10:11], off, off offset:424
	ds_load_b128 v[6:9], v1 offset:880
	s_mov_b32 s0, exec_lo
	s_wait_loadcnt_dscnt 0x100
	v_dual_mul_f32 v1, v7, v3 :: v_dual_mul_f32 v12, v8, v5
	v_mul_f32_e32 v3, v6, v3
	s_delay_alu instid0(VALU_DEP_2) | instskip(NEXT) | instid1(VALU_DEP_2)
	v_fma_f32 v1, v6, v2, -v1
	v_dual_fmac_f32 v12, v9, v4 :: v_dual_fmac_f32 v3, v7, v2
	s_delay_alu instid0(VALU_DEP_2) | instskip(NEXT) | instid1(VALU_DEP_2)
	v_add_f32_e32 v1, 0, v1
	v_add_f32_e32 v3, 0, v3
	v_mul_f32_e32 v5, v9, v5
	s_delay_alu instid0(VALU_DEP_1) | instskip(NEXT) | instid1(VALU_DEP_1)
	v_fma_f32 v2, v8, v4, -v5
	v_dual_add_f32 v1, v1, v2 :: v_dual_add_f32 v2, v3, v12
	s_wait_loadcnt 0x0
	s_delay_alu instid0(VALU_DEP_1)
	v_dual_sub_f32 v1, v10, v1 :: v_dual_sub_f32 v2, v11, v2
	scratch_store_b64 off, v[1:2], off offset:424
	v_cmpx_lt_u32_e32 52, v0
	s_cbranch_execz .LBB55_245
; %bb.244:
	scratch_load_b64 v[1:2], off, off offset:416
	v_mov_b32_e32 v3, 0
	s_delay_alu instid0(VALU_DEP_1)
	v_mov_b32_e32 v4, v3
	scratch_store_b64 off, v[3:4], off offset:416
	s_wait_loadcnt 0x0
	ds_store_b64 v27, v[1:2]
.LBB55_245:
	s_wait_alu 0xfffe
	s_or_b32 exec_lo, exec_lo, s0
	s_wait_storecnt_dscnt 0x0
	s_barrier_signal -1
	s_barrier_wait -1
	global_inv scope:SCOPE_SE
	s_clause 0x2
	scratch_load_b128 v[2:5], off, off offset:424
	scratch_load_b64 v[10:11], off, off offset:440
	scratch_load_b64 v[12:13], off, off offset:416
	v_mov_b32_e32 v1, 0
	ds_load_2addr_b64 v[6:9], v1 offset0:109 offset1:110
	ds_load_b64 v[14:15], v1 offset:888
	s_mov_b32 s0, exec_lo
	s_wait_loadcnt_dscnt 0x201
	v_dual_mul_f32 v16, v7, v3 :: v_dual_mul_f32 v17, v8, v5
	s_wait_loadcnt_dscnt 0x100
	v_mul_f32_e32 v18, v14, v11
	v_mul_f32_e32 v3, v6, v3
	;; [unrolled: 1-line block ×3, first 2 shown]
	v_fma_f32 v6, v6, v2, -v16
	s_delay_alu instid0(VALU_DEP_4) | instskip(NEXT) | instid1(VALU_DEP_4)
	v_fmac_f32_e32 v18, v15, v10
	v_fmac_f32_e32 v3, v7, v2
	v_mul_f32_e32 v2, v15, v11
	s_delay_alu instid0(VALU_DEP_1) | instskip(SKIP_3) | instid1(VALU_DEP_1)
	v_fma_f32 v2, v14, v10, -v2
	v_fmac_f32_e32 v17, v9, v4
	v_fma_f32 v4, v8, v4, -v5
	v_add_f32_e32 v5, 0, v6
	v_add_f32_e32 v4, v5, v4
	s_delay_alu instid0(VALU_DEP_1) | instskip(SKIP_1) | instid1(VALU_DEP_1)
	v_dual_add_f32 v2, v4, v2 :: v_dual_add_f32 v3, 0, v3
	s_wait_loadcnt 0x0
	v_dual_sub_f32 v2, v12, v2 :: v_dual_add_f32 v3, v3, v17
	s_delay_alu instid0(VALU_DEP_1) | instskip(NEXT) | instid1(VALU_DEP_1)
	v_add_f32_e32 v3, v3, v18
	v_sub_f32_e32 v3, v13, v3
	scratch_store_b64 off, v[2:3], off offset:416
	v_cmpx_lt_u32_e32 51, v0
	s_cbranch_execz .LBB55_247
; %bb.246:
	scratch_load_b64 v[3:4], off, off offset:408
	v_mov_b32_e32 v2, v1
	scratch_store_b64 off, v[1:2], off offset:408
	s_wait_loadcnt 0x0
	ds_store_b64 v27, v[3:4]
.LBB55_247:
	s_wait_alu 0xfffe
	s_or_b32 exec_lo, exec_lo, s0
	s_wait_storecnt_dscnt 0x0
	s_barrier_signal -1
	s_barrier_wait -1
	global_inv scope:SCOPE_SE
	s_clause 0x2
	scratch_load_b128 v[2:5], off, off offset:416
	scratch_load_b128 v[6:9], off, off offset:432
	scratch_load_b64 v[18:19], off, off offset:408
	ds_load_b128 v[10:13], v1 offset:864
	ds_load_b128 v[14:17], v1 offset:880
	s_mov_b32 s0, exec_lo
	s_wait_loadcnt_dscnt 0x201
	v_dual_mul_f32 v1, v10, v3 :: v_dual_mul_f32 v20, v12, v5
	s_wait_loadcnt_dscnt 0x100
	v_dual_mul_f32 v3, v11, v3 :: v_dual_mul_f32 v22, v16, v9
	v_mul_f32_e32 v5, v13, v5
	s_delay_alu instid0(VALU_DEP_3) | instskip(NEXT) | instid1(VALU_DEP_3)
	v_dual_mul_f32 v21, v14, v7 :: v_dual_fmac_f32 v20, v13, v4
	v_fma_f32 v3, v10, v2, -v3
	s_delay_alu instid0(VALU_DEP_4) | instskip(SKIP_2) | instid1(VALU_DEP_4)
	v_dual_fmac_f32 v1, v11, v2 :: v_dual_fmac_f32 v22, v17, v8
	v_mul_f32_e32 v2, v15, v7
	v_fma_f32 v4, v12, v4, -v5
	v_add_f32_e32 v3, 0, v3
	v_fmac_f32_e32 v21, v15, v6
	s_delay_alu instid0(VALU_DEP_4) | instskip(NEXT) | instid1(VALU_DEP_3)
	v_fma_f32 v2, v14, v6, -v2
	v_add_f32_e32 v3, v3, v4
	s_delay_alu instid0(VALU_DEP_1) | instskip(NEXT) | instid1(VALU_DEP_1)
	v_dual_add_f32 v1, 0, v1 :: v_dual_add_f32 v2, v3, v2
	v_add_f32_e32 v1, v1, v20
	s_delay_alu instid0(VALU_DEP_1) | instskip(NEXT) | instid1(VALU_DEP_1)
	v_add_f32_e32 v1, v1, v21
	v_add_f32_e32 v3, v1, v22
	v_mul_f32_e32 v5, v17, v9
	s_delay_alu instid0(VALU_DEP_1) | instskip(NEXT) | instid1(VALU_DEP_1)
	v_fma_f32 v4, v16, v8, -v5
	v_add_f32_e32 v2, v2, v4
	s_wait_loadcnt 0x0
	s_delay_alu instid0(VALU_DEP_1)
	v_dual_sub_f32 v1, v18, v2 :: v_dual_sub_f32 v2, v19, v3
	scratch_store_b64 off, v[1:2], off offset:408
	v_cmpx_lt_u32_e32 50, v0
	s_cbranch_execz .LBB55_249
; %bb.248:
	scratch_load_b64 v[1:2], off, off offset:400
	v_mov_b32_e32 v3, 0
	s_delay_alu instid0(VALU_DEP_1)
	v_mov_b32_e32 v4, v3
	scratch_store_b64 off, v[3:4], off offset:400
	s_wait_loadcnt 0x0
	ds_store_b64 v27, v[1:2]
.LBB55_249:
	s_wait_alu 0xfffe
	s_or_b32 exec_lo, exec_lo, s0
	s_wait_storecnt_dscnt 0x0
	s_barrier_signal -1
	s_barrier_wait -1
	global_inv scope:SCOPE_SE
	s_clause 0x3
	scratch_load_b128 v[2:5], off, off offset:408
	scratch_load_b128 v[6:9], off, off offset:424
	scratch_load_b64 v[18:19], off, off offset:440
	scratch_load_b64 v[20:21], off, off offset:400
	v_mov_b32_e32 v1, 0
	ds_load_2addr_b64 v[10:13], v1 offset0:107 offset1:108
	ds_load_2addr_b64 v[14:17], v1 offset0:109 offset1:110
	ds_load_b64 v[22:23], v1 offset:888
	s_mov_b32 s0, exec_lo
	s_wait_loadcnt_dscnt 0x302
	v_mul_f32_e32 v24, v10, v3
	s_wait_loadcnt_dscnt 0x201
	v_dual_mul_f32 v3, v11, v3 :: v_dual_mul_f32 v28, v16, v9
	v_dual_mul_f32 v25, v12, v5 :: v_dual_mul_f32 v26, v14, v7
	s_wait_loadcnt_dscnt 0x100
	v_dual_mul_f32 v29, v22, v19 :: v_dual_fmac_f32 v24, v11, v2
	v_mul_f32_e32 v5, v13, v5
	v_fma_f32 v3, v10, v2, -v3
	v_dual_mul_f32 v2, v15, v7 :: v_dual_fmac_f32 v25, v13, v4
	v_fmac_f32_e32 v26, v15, v6
	s_delay_alu instid0(VALU_DEP_4) | instskip(SKIP_1) | instid1(VALU_DEP_4)
	v_fma_f32 v4, v12, v4, -v5
	v_fmac_f32_e32 v29, v23, v18
	v_fma_f32 v2, v14, v6, -v2
	v_add_f32_e32 v5, 0, v24
	v_dual_add_f32 v3, 0, v3 :: v_dual_fmac_f32 v28, v17, v8
	s_delay_alu instid0(VALU_DEP_1) | instskip(NEXT) | instid1(VALU_DEP_1)
	v_add_f32_e32 v3, v3, v4
	v_dual_add_f32 v2, v3, v2 :: v_dual_mul_f32 v7, v17, v9
	s_delay_alu instid0(VALU_DEP_4) | instskip(NEXT) | instid1(VALU_DEP_2)
	v_dual_add_f32 v4, v5, v25 :: v_dual_mul_f32 v5, v23, v19
	v_fma_f32 v6, v16, v8, -v7
	s_delay_alu instid0(VALU_DEP_1) | instskip(NEXT) | instid1(VALU_DEP_3)
	v_add_f32_e32 v2, v2, v6
	v_add_f32_e32 v3, v4, v26
	s_delay_alu instid0(VALU_DEP_4) | instskip(NEXT) | instid1(VALU_DEP_1)
	v_fma_f32 v4, v22, v18, -v5
	v_add_f32_e32 v2, v2, v4
	s_wait_loadcnt 0x0
	s_delay_alu instid0(VALU_DEP_1) | instskip(NEXT) | instid1(VALU_DEP_1)
	v_dual_add_f32 v3, v3, v28 :: v_dual_sub_f32 v2, v20, v2
	v_add_f32_e32 v3, v3, v29
	s_delay_alu instid0(VALU_DEP_1)
	v_sub_f32_e32 v3, v21, v3
	scratch_store_b64 off, v[2:3], off offset:400
	v_cmpx_lt_u32_e32 49, v0
	s_cbranch_execz .LBB55_251
; %bb.250:
	scratch_load_b64 v[3:4], off, off offset:392
	v_mov_b32_e32 v2, v1
	scratch_store_b64 off, v[1:2], off offset:392
	s_wait_loadcnt 0x0
	ds_store_b64 v27, v[3:4]
.LBB55_251:
	s_wait_alu 0xfffe
	s_or_b32 exec_lo, exec_lo, s0
	s_wait_storecnt_dscnt 0x0
	s_barrier_signal -1
	s_barrier_wait -1
	global_inv scope:SCOPE_SE
	s_clause 0x3
	scratch_load_b128 v[2:5], off, off offset:400
	scratch_load_b128 v[6:9], off, off offset:416
	;; [unrolled: 1-line block ×3, first 2 shown]
	scratch_load_b64 v[28:29], off, off offset:392
	ds_load_b128 v[14:17], v1 offset:848
	ds_load_b128 v[18:21], v1 offset:864
	;; [unrolled: 1-line block ×3, first 2 shown]
	s_mov_b32 s0, exec_lo
	s_wait_loadcnt_dscnt 0x302
	v_dual_mul_f32 v1, v14, v3 :: v_dual_mul_f32 v26, v16, v5
	v_mul_f32_e32 v3, v15, v3
	s_wait_loadcnt_dscnt 0x201
	v_dual_mul_f32 v5, v17, v5 :: v_dual_mul_f32 v30, v18, v7
	s_delay_alu instid0(VALU_DEP_3) | instskip(NEXT) | instid1(VALU_DEP_3)
	v_dual_mul_f32 v31, v20, v9 :: v_dual_fmac_f32 v26, v17, v4
	v_fma_f32 v3, v14, v2, -v3
	v_fmac_f32_e32 v1, v15, v2
	v_mul_f32_e32 v2, v19, v7
	v_fma_f32 v4, v16, v4, -v5
	s_delay_alu instid0(VALU_DEP_4)
	v_dual_fmac_f32 v30, v19, v6 :: v_dual_add_f32 v3, 0, v3
	s_wait_loadcnt_dscnt 0x100
	v_dual_mul_f32 v144, v22, v11 :: v_dual_mul_f32 v145, v24, v13
	v_fma_f32 v2, v18, v6, -v2
	v_fmac_f32_e32 v31, v21, v8
	v_add_f32_e32 v3, v3, v4
	s_delay_alu instid0(VALU_DEP_4) | instskip(SKIP_1) | instid1(VALU_DEP_3)
	v_dual_mul_f32 v5, v21, v9 :: v_dual_fmac_f32 v144, v23, v10
	v_dual_fmac_f32 v145, v25, v12 :: v_dual_mul_f32 v4, v23, v11
	v_add_f32_e32 v2, v3, v2
	s_delay_alu instid0(VALU_DEP_3) | instskip(SKIP_1) | instid1(VALU_DEP_4)
	v_fma_f32 v5, v20, v8, -v5
	v_mul_f32_e32 v3, v25, v13
	v_fma_f32 v4, v22, v10, -v4
	s_delay_alu instid0(VALU_DEP_3) | instskip(SKIP_1) | instid1(VALU_DEP_4)
	v_add_f32_e32 v2, v2, v5
	v_add_f32_e32 v1, 0, v1
	v_fma_f32 v3, v24, v12, -v3
	s_delay_alu instid0(VALU_DEP_2) | instskip(NEXT) | instid1(VALU_DEP_1)
	v_dual_add_f32 v2, v2, v4 :: v_dual_add_f32 v1, v1, v26
	v_dual_add_f32 v2, v2, v3 :: v_dual_add_f32 v1, v1, v30
	s_delay_alu instid0(VALU_DEP_1) | instskip(NEXT) | instid1(VALU_DEP_1)
	v_add_f32_e32 v1, v1, v31
	v_add_f32_e32 v1, v1, v144
	s_delay_alu instid0(VALU_DEP_1) | instskip(SKIP_1) | instid1(VALU_DEP_1)
	v_add_f32_e32 v3, v1, v145
	s_wait_loadcnt 0x0
	v_dual_sub_f32 v1, v28, v2 :: v_dual_sub_f32 v2, v29, v3
	scratch_store_b64 off, v[1:2], off offset:392
	v_cmpx_lt_u32_e32 48, v0
	s_cbranch_execz .LBB55_253
; %bb.252:
	scratch_load_b64 v[1:2], off, off offset:384
	v_mov_b32_e32 v3, 0
	s_delay_alu instid0(VALU_DEP_1)
	v_mov_b32_e32 v4, v3
	scratch_store_b64 off, v[3:4], off offset:384
	s_wait_loadcnt 0x0
	ds_store_b64 v27, v[1:2]
.LBB55_253:
	s_wait_alu 0xfffe
	s_or_b32 exec_lo, exec_lo, s0
	s_wait_storecnt_dscnt 0x0
	s_barrier_signal -1
	s_barrier_wait -1
	global_inv scope:SCOPE_SE
	s_clause 0x4
	scratch_load_b128 v[2:5], off, off offset:392
	scratch_load_b128 v[6:9], off, off offset:408
	;; [unrolled: 1-line block ×3, first 2 shown]
	scratch_load_b64 v[28:29], off, off offset:440
	scratch_load_b64 v[30:31], off, off offset:384
	v_mov_b32_e32 v1, 0
	ds_load_2addr_b64 v[14:17], v1 offset0:105 offset1:106
	ds_load_2addr_b64 v[18:21], v1 offset0:107 offset1:108
	;; [unrolled: 1-line block ×3, first 2 shown]
	ds_load_b64 v[144:145], v1 offset:888
	s_mov_b32 s0, exec_lo
	s_wait_loadcnt_dscnt 0x403
	v_mul_f32_e32 v26, v14, v3
	s_wait_loadcnt_dscnt 0x302
	v_dual_mul_f32 v148, v20, v9 :: v_dual_mul_f32 v3, v15, v3
	v_dual_mul_f32 v146, v16, v5 :: v_dual_mul_f32 v147, v18, v7
	s_wait_loadcnt_dscnt 0x100
	v_dual_mul_f32 v151, v144, v29 :: v_dual_fmac_f32 v26, v15, v2
	v_mul_f32_e32 v5, v17, v5
	v_fma_f32 v3, v14, v2, -v3
	v_mul_f32_e32 v2, v19, v7
	v_dual_fmac_f32 v146, v17, v4 :: v_dual_fmac_f32 v147, v19, v6
	s_delay_alu instid0(VALU_DEP_4) | instskip(NEXT) | instid1(VALU_DEP_4)
	v_fma_f32 v4, v16, v4, -v5
	v_add_f32_e32 v3, 0, v3
	v_dual_add_f32 v5, 0, v26 :: v_dual_fmac_f32 v148, v21, v8
	v_fma_f32 v2, v18, v6, -v2
	v_dual_mul_f32 v149, v22, v11 :: v_dual_mul_f32 v150, v24, v13
	s_delay_alu instid0(VALU_DEP_3) | instskip(SKIP_1) | instid1(VALU_DEP_3)
	v_dual_add_f32 v3, v3, v4 :: v_dual_add_f32 v4, v5, v146
	v_mul_f32_e32 v7, v21, v9
	v_dual_fmac_f32 v149, v23, v10 :: v_dual_fmac_f32 v150, v25, v12
	s_delay_alu instid0(VALU_DEP_3) | instskip(NEXT) | instid1(VALU_DEP_3)
	v_dual_add_f32 v2, v3, v2 :: v_dual_add_f32 v3, v4, v147
	v_fma_f32 v6, v20, v8, -v7
	v_dual_mul_f32 v5, v23, v11 :: v_dual_mul_f32 v4, v25, v13
	s_delay_alu instid0(VALU_DEP_2) | instskip(NEXT) | instid1(VALU_DEP_2)
	v_add_f32_e32 v2, v2, v6
	v_fma_f32 v5, v22, v10, -v5
	v_dual_mul_f32 v6, v145, v29 :: v_dual_add_f32 v3, v3, v148
	s_delay_alu instid0(VALU_DEP_4) | instskip(NEXT) | instid1(VALU_DEP_3)
	v_fma_f32 v4, v24, v12, -v4
	v_add_f32_e32 v2, v2, v5
	s_delay_alu instid0(VALU_DEP_3) | instskip(NEXT) | instid1(VALU_DEP_2)
	v_fma_f32 v5, v144, v28, -v6
	v_dual_add_f32 v3, v3, v149 :: v_dual_add_f32 v2, v2, v4
	v_fmac_f32_e32 v151, v145, v28
	s_delay_alu instid0(VALU_DEP_2) | instskip(SKIP_1) | instid1(VALU_DEP_1)
	v_dual_add_f32 v3, v3, v150 :: v_dual_add_f32 v2, v2, v5
	s_wait_loadcnt 0x0
	v_dual_add_f32 v3, v3, v151 :: v_dual_sub_f32 v2, v30, v2
	s_delay_alu instid0(VALU_DEP_1)
	v_sub_f32_e32 v3, v31, v3
	scratch_store_b64 off, v[2:3], off offset:384
	v_cmpx_lt_u32_e32 47, v0
	s_cbranch_execz .LBB55_255
; %bb.254:
	scratch_load_b64 v[3:4], off, off offset:376
	v_mov_b32_e32 v2, v1
	scratch_store_b64 off, v[1:2], off offset:376
	s_wait_loadcnt 0x0
	ds_store_b64 v27, v[3:4]
.LBB55_255:
	s_wait_alu 0xfffe
	s_or_b32 exec_lo, exec_lo, s0
	s_wait_storecnt_dscnt 0x0
	s_barrier_signal -1
	s_barrier_wait -1
	global_inv scope:SCOPE_SE
	s_clause 0x4
	scratch_load_b128 v[2:5], off, off offset:384
	scratch_load_b128 v[6:9], off, off offset:400
	;; [unrolled: 1-line block ×4, first 2 shown]
	scratch_load_b64 v[148:149], off, off offset:376
	ds_load_b128 v[18:21], v1 offset:832
	ds_load_b128 v[22:25], v1 offset:848
	;; [unrolled: 1-line block ×4, first 2 shown]
	s_mov_b32 s0, exec_lo
	s_wait_loadcnt_dscnt 0x403
	v_dual_mul_f32 v1, v18, v3 :: v_dual_mul_f32 v26, v20, v5
	v_mul_f32_e32 v3, v19, v3
	s_wait_loadcnt_dscnt 0x302
	v_dual_mul_f32 v5, v21, v5 :: v_dual_mul_f32 v150, v22, v7
	s_delay_alu instid0(VALU_DEP_3) | instskip(NEXT) | instid1(VALU_DEP_3)
	v_dual_mul_f32 v151, v24, v9 :: v_dual_fmac_f32 v26, v21, v4
	v_fma_f32 v3, v18, v2, -v3
	v_fmac_f32_e32 v1, v19, v2
	v_mul_f32_e32 v2, v23, v7
	v_fma_f32 v4, v20, v4, -v5
	s_wait_loadcnt_dscnt 0x201
	v_dual_mul_f32 v152, v28, v11 :: v_dual_mul_f32 v153, v30, v13
	v_dual_add_f32 v3, 0, v3 :: v_dual_fmac_f32 v150, v23, v6
	v_fma_f32 v2, v22, v6, -v2
	s_delay_alu instid0(VALU_DEP_3)
	v_fmac_f32_e32 v152, v29, v10
	s_wait_loadcnt_dscnt 0x100
	v_dual_mul_f32 v154, v144, v15 :: v_dual_mul_f32 v155, v146, v17
	v_dual_add_f32 v3, v3, v4 :: v_dual_mul_f32 v4, v29, v11
	v_add_f32_e32 v1, 0, v1
	v_fmac_f32_e32 v151, v25, v8
	s_delay_alu instid0(VALU_DEP_4) | instskip(NEXT) | instid1(VALU_DEP_4)
	v_fmac_f32_e32 v154, v145, v14
	v_add_f32_e32 v2, v3, v2
	v_fma_f32 v4, v28, v10, -v4
	v_mul_f32_e32 v5, v25, v9
	v_mul_f32_e32 v3, v31, v13
	v_fmac_f32_e32 v155, v147, v16
	s_delay_alu instid0(VALU_DEP_3) | instskip(SKIP_1) | instid1(VALU_DEP_4)
	v_fma_f32 v5, v24, v8, -v5
	v_add_f32_e32 v1, v1, v26
	v_fma_f32 v3, v30, v12, -v3
	s_delay_alu instid0(VALU_DEP_3) | instskip(NEXT) | instid1(VALU_DEP_1)
	v_dual_add_f32 v2, v2, v5 :: v_dual_mul_f32 v5, v145, v15
	v_dual_add_f32 v2, v2, v4 :: v_dual_add_f32 v1, v1, v150
	v_mul_f32_e32 v4, v147, v17
	s_delay_alu instid0(VALU_DEP_3) | instskip(NEXT) | instid1(VALU_DEP_3)
	v_fma_f32 v5, v144, v14, -v5
	v_add_f32_e32 v2, v2, v3
	s_delay_alu instid0(VALU_DEP_4) | instskip(NEXT) | instid1(VALU_DEP_4)
	v_add_f32_e32 v1, v1, v151
	v_fma_f32 v3, v146, v16, -v4
	s_delay_alu instid0(VALU_DEP_3) | instskip(NEXT) | instid1(VALU_DEP_1)
	v_dual_add_f32 v2, v2, v5 :: v_dual_fmac_f32 v153, v31, v12
	v_dual_add_f32 v1, v1, v152 :: v_dual_add_f32 v2, v2, v3
	s_delay_alu instid0(VALU_DEP_1) | instskip(NEXT) | instid1(VALU_DEP_1)
	v_add_f32_e32 v1, v1, v153
	v_add_f32_e32 v1, v1, v154
	s_delay_alu instid0(VALU_DEP_1) | instskip(SKIP_1) | instid1(VALU_DEP_1)
	v_add_f32_e32 v3, v1, v155
	s_wait_loadcnt 0x0
	v_dual_sub_f32 v1, v148, v2 :: v_dual_sub_f32 v2, v149, v3
	scratch_store_b64 off, v[1:2], off offset:376
	v_cmpx_lt_u32_e32 46, v0
	s_cbranch_execz .LBB55_257
; %bb.256:
	scratch_load_b64 v[1:2], off, off offset:368
	v_mov_b32_e32 v3, 0
	s_delay_alu instid0(VALU_DEP_1)
	v_mov_b32_e32 v4, v3
	scratch_store_b64 off, v[3:4], off offset:368
	s_wait_loadcnt 0x0
	ds_store_b64 v27, v[1:2]
.LBB55_257:
	s_wait_alu 0xfffe
	s_or_b32 exec_lo, exec_lo, s0
	s_wait_storecnt_dscnt 0x0
	s_barrier_signal -1
	s_barrier_wait -1
	global_inv scope:SCOPE_SE
	s_clause 0x5
	scratch_load_b128 v[2:5], off, off offset:376
	scratch_load_b128 v[6:9], off, off offset:392
	;; [unrolled: 1-line block ×4, first 2 shown]
	scratch_load_b64 v[148:149], off, off offset:440
	scratch_load_b64 v[150:151], off, off offset:368
	v_mov_b32_e32 v1, 0
	ds_load_2addr_b64 v[18:21], v1 offset0:103 offset1:104
	ds_load_2addr_b64 v[22:25], v1 offset0:105 offset1:106
	ds_load_2addr_b64 v[28:31], v1 offset0:107 offset1:108
	ds_load_2addr_b64 v[144:147], v1 offset0:109 offset1:110
	ds_load_b64 v[152:153], v1 offset:888
	s_mov_b32 s0, exec_lo
	s_wait_loadcnt_dscnt 0x504
	v_mul_f32_e32 v26, v18, v3
	s_wait_loadcnt_dscnt 0x403
	v_dual_mul_f32 v156, v24, v9 :: v_dual_mul_f32 v3, v19, v3
	v_dual_mul_f32 v154, v20, v5 :: v_dual_mul_f32 v155, v22, v7
	s_wait_loadcnt_dscnt 0x100
	v_dual_mul_f32 v161, v152, v149 :: v_dual_fmac_f32 v26, v19, v2
	v_mul_f32_e32 v5, v21, v5
	v_fma_f32 v3, v18, v2, -v3
	v_mul_f32_e32 v2, v23, v7
	v_fmac_f32_e32 v154, v21, v4
	v_fmac_f32_e32 v156, v25, v8
	v_fma_f32 v4, v20, v4, -v5
	v_add_f32_e32 v3, 0, v3
	v_add_f32_e32 v5, 0, v26
	v_fma_f32 v2, v22, v6, -v2
	v_fmac_f32_e32 v155, v23, v6
	v_dual_mul_f32 v157, v28, v11 :: v_dual_mul_f32 v158, v30, v13
	s_delay_alu instid0(VALU_DEP_4) | instskip(SKIP_1) | instid1(VALU_DEP_3)
	v_dual_add_f32 v3, v3, v4 :: v_dual_add_f32 v4, v5, v154
	v_mul_f32_e32 v7, v25, v9
	v_dual_mul_f32 v5, v29, v11 :: v_dual_fmac_f32 v158, v31, v12
	s_delay_alu instid0(VALU_DEP_3) | instskip(SKIP_1) | instid1(VALU_DEP_4)
	v_dual_add_f32 v2, v3, v2 :: v_dual_mul_f32 v159, v144, v15
	v_mul_f32_e32 v160, v146, v17
	v_fma_f32 v6, v24, v8, -v7
	s_delay_alu instid0(VALU_DEP_2) | instskip(NEXT) | instid1(VALU_DEP_2)
	v_dual_fmac_f32 v159, v145, v14 :: v_dual_fmac_f32 v160, v147, v16
	v_add_f32_e32 v2, v2, v6
	v_mul_f32_e32 v6, v145, v15
	v_dual_add_f32 v3, v4, v155 :: v_dual_mul_f32 v4, v31, v13
	v_fma_f32 v5, v28, v10, -v5
	s_delay_alu instid0(VALU_DEP_3) | instskip(NEXT) | instid1(VALU_DEP_3)
	v_fma_f32 v6, v144, v14, -v6
	v_add_f32_e32 v3, v3, v156
	s_delay_alu instid0(VALU_DEP_3) | instskip(SKIP_1) | instid1(VALU_DEP_1)
	v_dual_fmac_f32 v157, v29, v10 :: v_dual_add_f32 v2, v2, v5
	v_fma_f32 v4, v30, v12, -v4
	v_dual_add_f32 v3, v3, v157 :: v_dual_add_f32 v2, v2, v4
	v_mul_f32_e32 v5, v147, v17
	s_delay_alu instid0(VALU_DEP_2) | instskip(NEXT) | instid1(VALU_DEP_3)
	v_dual_mul_f32 v4, v153, v149 :: v_dual_add_f32 v3, v3, v158
	v_add_f32_e32 v2, v2, v6
	s_delay_alu instid0(VALU_DEP_3) | instskip(NEXT) | instid1(VALU_DEP_3)
	v_fma_f32 v5, v146, v16, -v5
	v_fma_f32 v4, v152, v148, -v4
	s_delay_alu instid0(VALU_DEP_2) | instskip(NEXT) | instid1(VALU_DEP_1)
	v_dual_add_f32 v3, v3, v159 :: v_dual_add_f32 v2, v2, v5
	v_add_f32_e32 v3, v3, v160
	s_delay_alu instid0(VALU_DEP_2) | instskip(SKIP_1) | instid1(VALU_DEP_1)
	v_add_f32_e32 v2, v2, v4
	s_wait_loadcnt 0x0
	v_dual_fmac_f32 v161, v153, v148 :: v_dual_sub_f32 v2, v150, v2
	s_delay_alu instid0(VALU_DEP_1) | instskip(NEXT) | instid1(VALU_DEP_1)
	v_add_f32_e32 v3, v3, v161
	v_sub_f32_e32 v3, v151, v3
	scratch_store_b64 off, v[2:3], off offset:368
	v_cmpx_lt_u32_e32 45, v0
	s_cbranch_execz .LBB55_259
; %bb.258:
	scratch_load_b64 v[3:4], off, off offset:360
	v_mov_b32_e32 v2, v1
	scratch_store_b64 off, v[1:2], off offset:360
	s_wait_loadcnt 0x0
	ds_store_b64 v27, v[3:4]
.LBB55_259:
	s_wait_alu 0xfffe
	s_or_b32 exec_lo, exec_lo, s0
	s_wait_storecnt_dscnt 0x0
	s_barrier_signal -1
	s_barrier_wait -1
	global_inv scope:SCOPE_SE
	s_clause 0x5
	scratch_load_b128 v[2:5], off, off offset:368
	scratch_load_b128 v[6:9], off, off offset:384
	scratch_load_b128 v[10:13], off, off offset:400
	scratch_load_b128 v[14:17], off, off offset:416
	scratch_load_b128 v[18:21], off, off offset:432
	scratch_load_b64 v[156:157], off, off offset:360
	ds_load_b128 v[22:25], v1 offset:816
	ds_load_b128 v[28:31], v1 offset:832
	;; [unrolled: 1-line block ×5, first 2 shown]
	s_mov_b32 s0, exec_lo
	s_wait_loadcnt_dscnt 0x504
	v_dual_mul_f32 v1, v22, v3 :: v_dual_mul_f32 v26, v24, v5
	v_mul_f32_e32 v3, v23, v3
	s_wait_loadcnt_dscnt 0x403
	v_dual_mul_f32 v158, v28, v7 :: v_dual_mul_f32 v159, v30, v9
	s_delay_alu instid0(VALU_DEP_3) | instskip(NEXT) | instid1(VALU_DEP_3)
	v_dual_fmac_f32 v1, v23, v2 :: v_dual_fmac_f32 v26, v25, v4
	v_fma_f32 v3, v22, v2, -v3
	v_mul_f32_e32 v2, v29, v7
	s_wait_loadcnt_dscnt 0x302
	v_dual_mul_f32 v160, v144, v11 :: v_dual_mul_f32 v161, v146, v13
	s_delay_alu instid0(VALU_DEP_3) | instskip(NEXT) | instid1(VALU_DEP_3)
	v_dual_fmac_f32 v158, v29, v6 :: v_dual_add_f32 v3, 0, v3
	v_fma_f32 v2, v28, v6, -v2
	v_mul_f32_e32 v5, v25, v5
	s_delay_alu instid0(VALU_DEP_4) | instskip(SKIP_2) | instid1(VALU_DEP_3)
	v_dual_fmac_f32 v160, v145, v10 :: v_dual_add_f32 v1, 0, v1
	s_wait_loadcnt_dscnt 0x100
	v_dual_mul_f32 v164, v152, v19 :: v_dual_mul_f32 v165, v154, v21
	v_fma_f32 v4, v24, v4, -v5
	v_dual_mul_f32 v5, v31, v9 :: v_dual_mul_f32 v162, v148, v15
	s_delay_alu instid0(VALU_DEP_3) | instskip(SKIP_1) | instid1(VALU_DEP_3)
	v_dual_mul_f32 v163, v150, v17 :: v_dual_fmac_f32 v164, v153, v18
	v_fmac_f32_e32 v159, v31, v8
	v_fma_f32 v5, v30, v8, -v5
	v_dual_add_f32 v3, v3, v4 :: v_dual_mul_f32 v4, v145, v11
	s_delay_alu instid0(VALU_DEP_4) | instskip(SKIP_1) | instid1(VALU_DEP_3)
	v_dual_fmac_f32 v162, v149, v14 :: v_dual_fmac_f32 v163, v151, v16
	v_fmac_f32_e32 v165, v155, v20
	v_add_f32_e32 v2, v3, v2
	s_delay_alu instid0(VALU_DEP_4) | instskip(SKIP_1) | instid1(VALU_DEP_3)
	v_fma_f32 v4, v144, v10, -v4
	v_mul_f32_e32 v3, v147, v13
	v_dual_add_f32 v2, v2, v5 :: v_dual_add_f32 v1, v1, v26
	s_delay_alu instid0(VALU_DEP_2) | instskip(NEXT) | instid1(VALU_DEP_2)
	v_fma_f32 v3, v146, v12, -v3
	v_dual_add_f32 v2, v2, v4 :: v_dual_add_f32 v1, v1, v158
	v_mul_f32_e32 v4, v151, v17
	s_delay_alu instid0(VALU_DEP_2) | instskip(SKIP_1) | instid1(VALU_DEP_3)
	v_dual_fmac_f32 v161, v147, v12 :: v_dual_add_f32 v2, v2, v3
	v_mul_f32_e32 v3, v153, v19
	v_fma_f32 v4, v150, v16, -v4
	v_mul_f32_e32 v5, v149, v15
	s_delay_alu instid0(VALU_DEP_3) | instskip(NEXT) | instid1(VALU_DEP_2)
	v_fma_f32 v3, v152, v18, -v3
	v_fma_f32 v5, v148, v14, -v5
	s_delay_alu instid0(VALU_DEP_1) | instskip(NEXT) | instid1(VALU_DEP_1)
	v_dual_add_f32 v1, v1, v159 :: v_dual_add_f32 v2, v2, v5
	v_dual_mul_f32 v5, v155, v21 :: v_dual_add_f32 v2, v2, v4
	s_delay_alu instid0(VALU_DEP_2) | instskip(NEXT) | instid1(VALU_DEP_2)
	v_add_f32_e32 v1, v1, v160
	v_fma_f32 v4, v154, v20, -v5
	s_delay_alu instid0(VALU_DEP_2) | instskip(NEXT) | instid1(VALU_DEP_1)
	v_dual_add_f32 v2, v2, v3 :: v_dual_add_f32 v1, v1, v161
	v_dual_add_f32 v2, v2, v4 :: v_dual_add_f32 v1, v1, v162
	s_delay_alu instid0(VALU_DEP_1) | instskip(NEXT) | instid1(VALU_DEP_1)
	v_add_f32_e32 v1, v1, v163
	v_add_f32_e32 v1, v1, v164
	s_delay_alu instid0(VALU_DEP_1) | instskip(SKIP_1) | instid1(VALU_DEP_1)
	v_add_f32_e32 v3, v1, v165
	s_wait_loadcnt 0x0
	v_dual_sub_f32 v1, v156, v2 :: v_dual_sub_f32 v2, v157, v3
	scratch_store_b64 off, v[1:2], off offset:360
	v_cmpx_lt_u32_e32 44, v0
	s_cbranch_execz .LBB55_261
; %bb.260:
	scratch_load_b64 v[1:2], off, off offset:352
	v_mov_b32_e32 v3, 0
	s_delay_alu instid0(VALU_DEP_1)
	v_mov_b32_e32 v4, v3
	scratch_store_b64 off, v[3:4], off offset:352
	s_wait_loadcnt 0x0
	ds_store_b64 v27, v[1:2]
.LBB55_261:
	s_wait_alu 0xfffe
	s_or_b32 exec_lo, exec_lo, s0
	s_wait_storecnt_dscnt 0x0
	s_barrier_signal -1
	s_barrier_wait -1
	global_inv scope:SCOPE_SE
	s_clause 0x6
	scratch_load_b128 v[2:5], off, off offset:360
	scratch_load_b128 v[6:9], off, off offset:376
	;; [unrolled: 1-line block ×5, first 2 shown]
	scratch_load_b64 v[156:157], off, off offset:440
	scratch_load_b64 v[158:159], off, off offset:352
	v_mov_b32_e32 v1, 0
	ds_load_2addr_b64 v[22:25], v1 offset0:101 offset1:102
	ds_load_2addr_b64 v[28:31], v1 offset0:103 offset1:104
	;; [unrolled: 1-line block ×5, first 2 shown]
	ds_load_b64 v[160:161], v1 offset:888
	s_mov_b32 s0, exec_lo
	s_wait_loadcnt_dscnt 0x605
	v_mul_f32_e32 v26, v22, v3
	v_dual_mul_f32 v162, v24, v5 :: v_dual_mul_f32 v3, v23, v3
	s_wait_loadcnt_dscnt 0x504
	v_dual_mul_f32 v163, v28, v7 :: v_dual_mul_f32 v164, v30, v9
	v_mul_f32_e32 v5, v25, v5
	s_wait_loadcnt_dscnt 0x100
	v_dual_mul_f32 v171, v160, v157 :: v_dual_fmac_f32 v26, v23, v2
	v_fma_f32 v3, v22, v2, -v3
	v_mul_f32_e32 v2, v29, v7
	v_fmac_f32_e32 v162, v25, v4
	v_fmac_f32_e32 v164, v31, v8
	v_fma_f32 v4, v24, v4, -v5
	v_add_f32_e32 v3, 0, v3
	v_add_f32_e32 v5, 0, v26
	v_mul_f32_e32 v7, v31, v9
	v_fma_f32 v2, v28, v6, -v2
	v_fmac_f32_e32 v163, v29, v6
	s_delay_alu instid0(VALU_DEP_4) | instskip(SKIP_3) | instid1(VALU_DEP_4)
	v_dual_add_f32 v3, v3, v4 :: v_dual_add_f32 v4, v5, v162
	v_mul_f32_e32 v5, v145, v11
	v_fma_f32 v6, v30, v8, -v7
	v_dual_mul_f32 v165, v144, v11 :: v_dual_mul_f32 v166, v146, v13
	v_dual_add_f32 v2, v3, v2 :: v_dual_add_f32 v3, v4, v163
	v_mul_f32_e32 v4, v147, v13
	v_fma_f32 v5, v144, v10, -v5
	s_delay_alu instid0(VALU_DEP_4) | instskip(NEXT) | instid1(VALU_DEP_4)
	v_fmac_f32_e32 v166, v147, v12
	v_add_f32_e32 v2, v2, v6
	v_fmac_f32_e32 v165, v145, v10
	v_dual_add_f32 v3, v3, v164 :: v_dual_mul_f32 v6, v149, v15
	v_fma_f32 v4, v146, v12, -v4
	s_delay_alu instid0(VALU_DEP_4) | instskip(SKIP_1) | instid1(VALU_DEP_4)
	v_dual_add_f32 v2, v2, v5 :: v_dual_mul_f32 v167, v148, v15
	v_mul_f32_e32 v168, v150, v17
	v_add_f32_e32 v3, v3, v165
	v_mul_f32_e32 v5, v151, v17
	v_fma_f32 v6, v148, v14, -v6
	v_dual_add_f32 v2, v2, v4 :: v_dual_fmac_f32 v167, v149, v14
	v_fmac_f32_e32 v168, v151, v16
	v_mul_f32_e32 v4, v153, v19
	v_fma_f32 v5, v150, v16, -v5
	s_delay_alu instid0(VALU_DEP_4) | instskip(SKIP_4) | instid1(VALU_DEP_4)
	v_add_f32_e32 v2, v2, v6
	v_add_f32_e32 v3, v3, v166
	v_dual_mul_f32 v169, v152, v19 :: v_dual_mul_f32 v170, v154, v21
	v_mul_f32_e32 v6, v155, v21
	v_fma_f32 v4, v152, v18, -v4
	v_dual_add_f32 v2, v2, v5 :: v_dual_add_f32 v3, v3, v167
	s_delay_alu instid0(VALU_DEP_4) | instskip(SKIP_2) | instid1(VALU_DEP_4)
	v_fmac_f32_e32 v169, v153, v18
	v_dual_mul_f32 v5, v161, v157 :: v_dual_fmac_f32 v170, v155, v20
	v_fma_f32 v6, v154, v20, -v6
	v_add_f32_e32 v2, v2, v4
	v_add_f32_e32 v3, v3, v168
	s_delay_alu instid0(VALU_DEP_4) | instskip(NEXT) | instid1(VALU_DEP_2)
	v_fma_f32 v4, v160, v156, -v5
	v_dual_add_f32 v2, v2, v6 :: v_dual_add_f32 v3, v3, v169
	s_delay_alu instid0(VALU_DEP_1) | instskip(SKIP_1) | instid1(VALU_DEP_1)
	v_dual_add_f32 v2, v2, v4 :: v_dual_add_f32 v3, v3, v170
	s_wait_loadcnt 0x0
	v_dual_fmac_f32 v171, v161, v156 :: v_dual_sub_f32 v2, v158, v2
	s_delay_alu instid0(VALU_DEP_1) | instskip(NEXT) | instid1(VALU_DEP_1)
	v_add_f32_e32 v3, v3, v171
	v_sub_f32_e32 v3, v159, v3
	scratch_store_b64 off, v[2:3], off offset:352
	v_cmpx_lt_u32_e32 43, v0
	s_cbranch_execz .LBB55_263
; %bb.262:
	scratch_load_b64 v[3:4], off, off offset:344
	v_mov_b32_e32 v2, v1
	scratch_store_b64 off, v[1:2], off offset:344
	s_wait_loadcnt 0x0
	ds_store_b64 v27, v[3:4]
.LBB55_263:
	s_wait_alu 0xfffe
	s_or_b32 exec_lo, exec_lo, s0
	s_wait_storecnt_dscnt 0x0
	s_barrier_signal -1
	s_barrier_wait -1
	global_inv scope:SCOPE_SE
	s_clause 0x6
	scratch_load_b128 v[2:5], off, off offset:352
	scratch_load_b128 v[6:9], off, off offset:368
	;; [unrolled: 1-line block ×6, first 2 shown]
	scratch_load_b64 v[164:165], off, off offset:344
	ds_load_b128 v[28:31], v1 offset:800
	ds_load_b128 v[144:147], v1 offset:816
	;; [unrolled: 1-line block ×6, first 2 shown]
	s_mov_b32 s0, exec_lo
	s_wait_loadcnt_dscnt 0x605
	v_dual_mul_f32 v1, v28, v3 :: v_dual_mul_f32 v26, v30, v5
	v_mul_f32_e32 v3, v29, v3
	s_wait_loadcnt_dscnt 0x504
	v_dual_mul_f32 v5, v31, v5 :: v_dual_mul_f32 v166, v144, v7
	s_delay_alu instid0(VALU_DEP_3) | instskip(NEXT) | instid1(VALU_DEP_3)
	v_dual_mul_f32 v167, v146, v9 :: v_dual_fmac_f32 v26, v31, v4
	v_fma_f32 v3, v28, v2, -v3
	v_fmac_f32_e32 v1, v29, v2
	v_mul_f32_e32 v2, v145, v7
	v_fma_f32 v4, v30, v4, -v5
	s_wait_loadcnt_dscnt 0x403
	v_dual_mul_f32 v168, v148, v11 :: v_dual_mul_f32 v169, v150, v13
	v_dual_add_f32 v3, 0, v3 :: v_dual_fmac_f32 v166, v145, v6
	s_wait_loadcnt_dscnt 0x302
	v_dual_mul_f32 v170, v152, v15 :: v_dual_mul_f32 v171, v154, v17
	s_delay_alu instid0(VALU_DEP_3) | instskip(SKIP_1) | instid1(VALU_DEP_3)
	v_dual_mul_f32 v5, v147, v9 :: v_dual_fmac_f32 v168, v149, v10
	v_fma_f32 v2, v144, v6, -v2
	v_dual_add_f32 v3, v3, v4 :: v_dual_fmac_f32 v170, v153, v14
	s_delay_alu instid0(VALU_DEP_3)
	v_fma_f32 v5, v146, v8, -v5
	v_mul_f32_e32 v4, v149, v11
	s_wait_loadcnt_dscnt 0x201
	v_dual_mul_f32 v172, v156, v19 :: v_dual_mul_f32 v173, v158, v21
	v_add_f32_e32 v2, v3, v2
	v_mul_f32_e32 v3, v151, v13
	v_fma_f32 v4, v148, v10, -v4
	s_delay_alu instid0(VALU_DEP_4)
	v_fmac_f32_e32 v172, v157, v18
	s_wait_loadcnt_dscnt 0x100
	v_dual_mul_f32 v174, v160, v23 :: v_dual_mul_f32 v175, v162, v25
	v_add_f32_e32 v2, v2, v5
	v_add_f32_e32 v1, 0, v1
	v_fma_f32 v3, v150, v12, -v3
	v_fmac_f32_e32 v171, v155, v16
	v_fmac_f32_e32 v173, v159, v20
	s_delay_alu instid0(VALU_DEP_4) | instskip(SKIP_2) | instid1(VALU_DEP_3)
	v_dual_add_f32 v2, v2, v4 :: v_dual_add_f32 v1, v1, v26
	v_mul_f32_e32 v4, v155, v17
	v_fmac_f32_e32 v167, v147, v8
	v_dual_fmac_f32 v175, v163, v24 :: v_dual_add_f32 v2, v2, v3
	s_delay_alu instid0(VALU_DEP_4) | instskip(NEXT) | instid1(VALU_DEP_4)
	v_add_f32_e32 v1, v1, v166
	v_fma_f32 v4, v154, v16, -v4
	v_mul_f32_e32 v5, v153, v15
	v_fmac_f32_e32 v174, v161, v22
	s_delay_alu instid0(VALU_DEP_4) | instskip(NEXT) | instid1(VALU_DEP_3)
	v_add_f32_e32 v1, v1, v167
	v_fma_f32 v5, v152, v14, -v5
	s_delay_alu instid0(VALU_DEP_1) | instskip(NEXT) | instid1(VALU_DEP_1)
	v_dual_fmac_f32 v169, v151, v12 :: v_dual_add_f32 v2, v2, v5
	v_dual_mul_f32 v5, v159, v21 :: v_dual_add_f32 v2, v2, v4
	s_delay_alu instid0(VALU_DEP_1) | instskip(SKIP_2) | instid1(VALU_DEP_2)
	v_fma_f32 v5, v158, v20, -v5
	v_mul_f32_e32 v3, v157, v19
	v_mul_f32_e32 v4, v161, v23
	v_fma_f32 v3, v156, v18, -v3
	v_add_f32_e32 v1, v1, v168
	s_delay_alu instid0(VALU_DEP_3) | instskip(NEXT) | instid1(VALU_DEP_3)
	v_fma_f32 v4, v160, v22, -v4
	v_dual_add_f32 v2, v2, v3 :: v_dual_mul_f32 v3, v163, v25
	s_delay_alu instid0(VALU_DEP_1) | instskip(NEXT) | instid1(VALU_DEP_4)
	v_add_f32_e32 v2, v2, v5
	v_add_f32_e32 v1, v1, v169
	s_delay_alu instid0(VALU_DEP_3) | instskip(NEXT) | instid1(VALU_DEP_2)
	v_fma_f32 v3, v162, v24, -v3
	v_dual_add_f32 v2, v2, v4 :: v_dual_add_f32 v1, v1, v170
	s_delay_alu instid0(VALU_DEP_1) | instskip(NEXT) | instid1(VALU_DEP_2)
	v_add_f32_e32 v2, v2, v3
	v_add_f32_e32 v1, v1, v171
	s_delay_alu instid0(VALU_DEP_1) | instskip(NEXT) | instid1(VALU_DEP_1)
	v_add_f32_e32 v1, v1, v172
	v_add_f32_e32 v1, v1, v173
	s_delay_alu instid0(VALU_DEP_1) | instskip(NEXT) | instid1(VALU_DEP_1)
	v_add_f32_e32 v1, v1, v174
	v_add_f32_e32 v3, v1, v175
	s_wait_loadcnt 0x0
	s_delay_alu instid0(VALU_DEP_1)
	v_dual_sub_f32 v1, v164, v2 :: v_dual_sub_f32 v2, v165, v3
	scratch_store_b64 off, v[1:2], off offset:344
	v_cmpx_lt_u32_e32 42, v0
	s_cbranch_execz .LBB55_265
; %bb.264:
	scratch_load_b64 v[1:2], off, off offset:336
	v_mov_b32_e32 v3, 0
	s_delay_alu instid0(VALU_DEP_1)
	v_mov_b32_e32 v4, v3
	scratch_store_b64 off, v[3:4], off offset:336
	s_wait_loadcnt 0x0
	ds_store_b64 v27, v[1:2]
.LBB55_265:
	s_wait_alu 0xfffe
	s_or_b32 exec_lo, exec_lo, s0
	s_wait_storecnt_dscnt 0x0
	s_barrier_signal -1
	s_barrier_wait -1
	global_inv scope:SCOPE_SE
	s_clause 0x7
	scratch_load_b128 v[2:5], off, off offset:344
	scratch_load_b128 v[6:9], off, off offset:360
	;; [unrolled: 1-line block ×6, first 2 shown]
	scratch_load_b64 v[164:165], off, off offset:440
	scratch_load_b64 v[166:167], off, off offset:336
	v_mov_b32_e32 v1, 0
	ds_load_2addr_b64 v[28:31], v1 offset0:99 offset1:100
	ds_load_2addr_b64 v[144:147], v1 offset0:101 offset1:102
	;; [unrolled: 1-line block ×6, first 2 shown]
	ds_load_b64 v[168:169], v1 offset:888
	s_mov_b32 s0, exec_lo
	s_wait_loadcnt_dscnt 0x706
	v_mul_f32_e32 v26, v28, v3
	v_dual_mul_f32 v3, v29, v3 :: v_dual_mul_f32 v170, v30, v5
	s_wait_loadcnt_dscnt 0x302
	v_dual_mul_f32 v171, v144, v7 :: v_dual_mul_f32 v178, v158, v21
	v_mul_f32_e32 v5, v31, v5
	s_delay_alu instid0(VALU_DEP_3)
	v_fma_f32 v3, v28, v2, -v3
	v_dual_mul_f32 v172, v146, v9 :: v_dual_mul_f32 v173, v148, v11
	s_wait_loadcnt_dscnt 0x100
	v_dual_mul_f32 v181, v168, v165 :: v_dual_fmac_f32 v26, v29, v2
	v_mul_f32_e32 v2, v145, v7
	v_dual_fmac_f32 v170, v31, v4 :: v_dual_add_f32 v3, 0, v3
	v_fma_f32 v4, v30, v4, -v5
	s_delay_alu instid0(VALU_DEP_4) | instskip(SKIP_2) | instid1(VALU_DEP_4)
	v_dual_add_f32 v5, 0, v26 :: v_dual_fmac_f32 v172, v147, v8
	v_mul_f32_e32 v7, v147, v9
	v_fma_f32 v2, v144, v6, -v2
	v_add_f32_e32 v3, v3, v4
	v_fmac_f32_e32 v171, v145, v6
	v_add_f32_e32 v4, v5, v170
	v_mul_f32_e32 v5, v149, v11
	v_fma_f32 v6, v146, v8, -v7
	v_add_f32_e32 v2, v3, v2
	v_dual_mul_f32 v174, v150, v13 :: v_dual_mul_f32 v175, v152, v15
	v_dual_add_f32 v3, v4, v171 :: v_dual_mul_f32 v4, v151, v13
	v_fma_f32 v5, v148, v10, -v5
	s_delay_alu instid0(VALU_DEP_4)
	v_add_f32_e32 v2, v2, v6
	v_fmac_f32_e32 v173, v149, v10
	v_mul_f32_e32 v6, v153, v15
	v_fmac_f32_e32 v174, v151, v12
	v_add_f32_e32 v3, v3, v172
	v_fma_f32 v4, v150, v12, -v4
	v_add_f32_e32 v2, v2, v5
	v_dual_mul_f32 v176, v154, v17 :: v_dual_mul_f32 v177, v156, v19
	s_delay_alu instid0(VALU_DEP_4)
	v_add_f32_e32 v3, v3, v173
	v_mul_f32_e32 v5, v155, v17
	v_fma_f32 v6, v152, v14, -v6
	v_dual_add_f32 v2, v2, v4 :: v_dual_fmac_f32 v175, v153, v14
	v_fmac_f32_e32 v176, v155, v16
	v_mul_f32_e32 v4, v157, v19
	v_fma_f32 v5, v154, v16, -v5
	s_delay_alu instid0(VALU_DEP_4) | instskip(SKIP_3) | instid1(VALU_DEP_3)
	v_add_f32_e32 v2, v2, v6
	v_add_f32_e32 v3, v3, v174
	v_dual_mul_f32 v6, v159, v21 :: v_dual_fmac_f32 v177, v157, v18
	v_fma_f32 v4, v156, v18, -v4
	v_dual_add_f32 v2, v2, v5 :: v_dual_add_f32 v3, v3, v175
	s_delay_alu instid0(VALU_DEP_3) | instskip(SKIP_1) | instid1(VALU_DEP_3)
	v_fma_f32 v6, v158, v20, -v6
	v_dual_mul_f32 v179, v160, v23 :: v_dual_mul_f32 v180, v162, v25
	v_add_f32_e32 v2, v2, v4
	s_delay_alu instid0(VALU_DEP_4) | instskip(SKIP_1) | instid1(VALU_DEP_4)
	v_add_f32_e32 v3, v3, v176
	v_dual_mul_f32 v5, v161, v23 :: v_dual_fmac_f32 v178, v159, v20
	v_dual_mul_f32 v4, v163, v25 :: v_dual_fmac_f32 v179, v161, v22
	s_delay_alu instid0(VALU_DEP_3) | instskip(NEXT) | instid1(VALU_DEP_3)
	v_dual_add_f32 v2, v2, v6 :: v_dual_add_f32 v3, v3, v177
	v_fma_f32 v5, v160, v22, -v5
	v_mul_f32_e32 v6, v169, v165
	v_fmac_f32_e32 v180, v163, v24
	v_fma_f32 v4, v162, v24, -v4
	s_delay_alu instid0(VALU_DEP_4) | instskip(NEXT) | instid1(VALU_DEP_4)
	v_dual_add_f32 v3, v3, v178 :: v_dual_add_f32 v2, v2, v5
	v_fma_f32 v5, v168, v164, -v6
	s_delay_alu instid0(VALU_DEP_2) | instskip(NEXT) | instid1(VALU_DEP_1)
	v_add_f32_e32 v3, v3, v179
	v_add_f32_e32 v3, v3, v180
	s_delay_alu instid0(VALU_DEP_4) | instskip(NEXT) | instid1(VALU_DEP_1)
	v_add_f32_e32 v2, v2, v4
	v_dual_fmac_f32 v181, v169, v164 :: v_dual_add_f32 v2, v2, v5
	s_wait_loadcnt 0x0
	s_delay_alu instid0(VALU_DEP_1) | instskip(NEXT) | instid1(VALU_DEP_1)
	v_dual_sub_f32 v2, v166, v2 :: v_dual_add_f32 v3, v3, v181
	v_sub_f32_e32 v3, v167, v3
	scratch_store_b64 off, v[2:3], off offset:336
	v_cmpx_lt_u32_e32 41, v0
	s_cbranch_execz .LBB55_267
; %bb.266:
	scratch_load_b64 v[3:4], off, off offset:328
	v_mov_b32_e32 v2, v1
	scratch_store_b64 off, v[1:2], off offset:328
	s_wait_loadcnt 0x0
	ds_store_b64 v27, v[3:4]
.LBB55_267:
	s_wait_alu 0xfffe
	s_or_b32 exec_lo, exec_lo, s0
	s_wait_storecnt_dscnt 0x0
	s_barrier_signal -1
	s_barrier_wait -1
	global_inv scope:SCOPE_SE
	s_clause 0x7
	scratch_load_b128 v[2:5], off, off offset:336
	scratch_load_b128 v[6:9], off, off offset:352
	;; [unrolled: 1-line block ×7, first 2 shown]
	scratch_load_b64 v[172:173], off, off offset:328
	ds_load_b128 v[144:147], v1 offset:784
	ds_load_b128 v[148:151], v1 offset:800
	;; [unrolled: 1-line block ×7, first 2 shown]
	s_mov_b32 s0, exec_lo
	s_wait_loadcnt_dscnt 0x706
	v_dual_mul_f32 v1, v144, v3 :: v_dual_mul_f32 v26, v146, v5
	v_mul_f32_e32 v3, v145, v3
	s_wait_loadcnt_dscnt 0x605
	v_dual_mul_f32 v5, v147, v5 :: v_dual_mul_f32 v174, v148, v7
	v_mul_f32_e32 v175, v150, v9
	s_wait_loadcnt_dscnt 0x100
	v_mul_f32_e32 v184, v168, v29
	v_fma_f32 v3, v144, v2, -v3
	v_dual_mul_f32 v185, v170, v31 :: v_dual_fmac_f32 v26, v147, v4
	v_fmac_f32_e32 v1, v145, v2
	v_mul_f32_e32 v2, v149, v7
	v_fma_f32 v4, v146, v4, -v5
	v_dual_add_f32 v3, 0, v3 :: v_dual_fmac_f32 v174, v149, v6
	v_dual_mul_f32 v176, v152, v11 :: v_dual_mul_f32 v177, v154, v13
	v_dual_mul_f32 v178, v156, v15 :: v_dual_mul_f32 v179, v158, v17
	s_delay_alu instid0(VALU_DEP_2) | instskip(SKIP_1) | instid1(VALU_DEP_3)
	v_dual_mul_f32 v5, v151, v9 :: v_dual_fmac_f32 v176, v153, v10
	v_fma_f32 v2, v148, v6, -v2
	v_dual_add_f32 v3, v3, v4 :: v_dual_fmac_f32 v178, v157, v14
	s_delay_alu instid0(VALU_DEP_3) | instskip(SKIP_2) | instid1(VALU_DEP_4)
	v_fma_f32 v5, v150, v8, -v5
	v_mul_f32_e32 v4, v153, v11
	v_dual_mul_f32 v180, v160, v19 :: v_dual_mul_f32 v181, v162, v21
	v_add_f32_e32 v2, v3, v2
	v_mul_f32_e32 v3, v155, v13
	s_delay_alu instid0(VALU_DEP_4) | instskip(NEXT) | instid1(VALU_DEP_4)
	v_fma_f32 v4, v152, v10, -v4
	v_fmac_f32_e32 v180, v161, v18
	v_dual_mul_f32 v182, v164, v23 :: v_dual_mul_f32 v183, v166, v25
	v_add_f32_e32 v2, v2, v5
	v_add_f32_e32 v1, 0, v1
	v_fma_f32 v3, v154, v12, -v3
	v_fmac_f32_e32 v179, v159, v16
	v_fmac_f32_e32 v183, v167, v24
	s_delay_alu instid0(VALU_DEP_4) | instskip(SKIP_2) | instid1(VALU_DEP_3)
	v_dual_add_f32 v2, v2, v4 :: v_dual_add_f32 v1, v1, v26
	v_mul_f32_e32 v4, v159, v17
	v_fmac_f32_e32 v175, v151, v8
	v_dual_fmac_f32 v185, v171, v30 :: v_dual_add_f32 v2, v2, v3
	s_delay_alu instid0(VALU_DEP_4) | instskip(NEXT) | instid1(VALU_DEP_4)
	v_add_f32_e32 v1, v1, v174
	v_fma_f32 v4, v158, v16, -v4
	v_mul_f32_e32 v5, v157, v15
	v_fmac_f32_e32 v182, v165, v22
	v_fmac_f32_e32 v184, v169, v28
	v_add_f32_e32 v1, v1, v175
	s_delay_alu instid0(VALU_DEP_4) | instskip(NEXT) | instid1(VALU_DEP_1)
	v_fma_f32 v5, v156, v14, -v5
	v_dual_fmac_f32 v177, v155, v12 :: v_dual_add_f32 v2, v2, v5
	s_delay_alu instid0(VALU_DEP_1) | instskip(NEXT) | instid1(VALU_DEP_1)
	v_dual_mul_f32 v5, v163, v21 :: v_dual_add_f32 v2, v2, v4
	v_fma_f32 v5, v162, v20, -v5
	v_mul_f32_e32 v3, v161, v19
	v_mul_f32_e32 v4, v165, v23
	s_delay_alu instid0(VALU_DEP_2) | instskip(SKIP_1) | instid1(VALU_DEP_3)
	v_fma_f32 v3, v160, v18, -v3
	v_add_f32_e32 v1, v1, v176
	v_fma_f32 v4, v164, v22, -v4
	s_delay_alu instid0(VALU_DEP_3) | instskip(NEXT) | instid1(VALU_DEP_1)
	v_dual_add_f32 v2, v2, v3 :: v_dual_mul_f32 v3, v167, v25
	v_add_f32_e32 v2, v2, v5
	s_delay_alu instid0(VALU_DEP_4) | instskip(SKIP_1) | instid1(VALU_DEP_4)
	v_add_f32_e32 v1, v1, v177
	v_mul_f32_e32 v5, v169, v29
	v_fma_f32 v3, v166, v24, -v3
	s_delay_alu instid0(VALU_DEP_3) | instskip(SKIP_3) | instid1(VALU_DEP_4)
	v_dual_add_f32 v2, v2, v4 :: v_dual_add_f32 v1, v1, v178
	v_mul_f32_e32 v4, v171, v31
	v_fmac_f32_e32 v181, v163, v20
	v_fma_f32 v5, v168, v28, -v5
	v_add_f32_e32 v2, v2, v3
	v_add_f32_e32 v1, v1, v179
	v_fma_f32 v3, v170, v30, -v4
	s_delay_alu instid0(VALU_DEP_2) | instskip(NEXT) | instid1(VALU_DEP_1)
	v_dual_add_f32 v2, v2, v5 :: v_dual_add_f32 v1, v1, v180
	v_dual_add_f32 v2, v2, v3 :: v_dual_add_f32 v1, v1, v181
	s_delay_alu instid0(VALU_DEP_1) | instskip(NEXT) | instid1(VALU_DEP_1)
	v_add_f32_e32 v1, v1, v182
	v_add_f32_e32 v1, v1, v183
	s_delay_alu instid0(VALU_DEP_1) | instskip(NEXT) | instid1(VALU_DEP_1)
	v_add_f32_e32 v1, v1, v184
	v_add_f32_e32 v3, v1, v185
	s_wait_loadcnt 0x0
	s_delay_alu instid0(VALU_DEP_1)
	v_dual_sub_f32 v1, v172, v2 :: v_dual_sub_f32 v2, v173, v3
	scratch_store_b64 off, v[1:2], off offset:328
	v_cmpx_lt_u32_e32 40, v0
	s_cbranch_execz .LBB55_269
; %bb.268:
	scratch_load_b64 v[1:2], off, off offset:320
	v_mov_b32_e32 v3, 0
	s_delay_alu instid0(VALU_DEP_1)
	v_mov_b32_e32 v4, v3
	scratch_store_b64 off, v[3:4], off offset:320
	s_wait_loadcnt 0x0
	ds_store_b64 v27, v[1:2]
.LBB55_269:
	s_wait_alu 0xfffe
	s_or_b32 exec_lo, exec_lo, s0
	s_wait_storecnt_dscnt 0x0
	s_barrier_signal -1
	s_barrier_wait -1
	global_inv scope:SCOPE_SE
	s_clause 0x8
	scratch_load_b128 v[2:5], off, off offset:328
	scratch_load_b128 v[6:9], off, off offset:344
	;; [unrolled: 1-line block ×7, first 2 shown]
	scratch_load_b64 v[172:173], off, off offset:440
	scratch_load_b64 v[174:175], off, off offset:320
	v_mov_b32_e32 v1, 0
	ds_load_2addr_b64 v[144:147], v1 offset0:97 offset1:98
	ds_load_2addr_b64 v[148:151], v1 offset0:99 offset1:100
	;; [unrolled: 1-line block ×7, first 2 shown]
	ds_load_b64 v[176:177], v1 offset:888
	s_mov_b32 s0, exec_lo
	s_wait_loadcnt_dscnt 0x807
	v_mul_f32_e32 v26, v144, v3
	v_dual_mul_f32 v3, v145, v3 :: v_dual_mul_f32 v178, v146, v5
	s_wait_loadcnt_dscnt 0x706
	v_mul_f32_e32 v179, v148, v7
	v_mul_f32_e32 v5, v147, v5
	s_wait_loadcnt_dscnt 0x302
	v_mul_f32_e32 v188, v166, v25
	v_fma_f32 v3, v144, v2, -v3
	v_dual_mul_f32 v180, v150, v9 :: v_dual_mul_f32 v181, v152, v11
	s_wait_loadcnt_dscnt 0x100
	v_dual_mul_f32 v191, v176, v173 :: v_dual_fmac_f32 v26, v145, v2
	v_mul_f32_e32 v2, v149, v7
	v_dual_fmac_f32 v178, v147, v4 :: v_dual_add_f32 v3, 0, v3
	v_fma_f32 v4, v146, v4, -v5
	s_delay_alu instid0(VALU_DEP_4) | instskip(SKIP_2) | instid1(VALU_DEP_4)
	v_dual_add_f32 v5, 0, v26 :: v_dual_fmac_f32 v180, v151, v8
	v_mul_f32_e32 v7, v151, v9
	v_fma_f32 v2, v148, v6, -v2
	v_add_f32_e32 v3, v3, v4
	v_fmac_f32_e32 v179, v149, v6
	v_add_f32_e32 v4, v5, v178
	v_mul_f32_e32 v5, v153, v11
	v_fma_f32 v6, v150, v8, -v7
	v_add_f32_e32 v2, v3, v2
	v_dual_mul_f32 v182, v154, v13 :: v_dual_mul_f32 v183, v156, v15
	v_dual_add_f32 v3, v4, v179 :: v_dual_mul_f32 v4, v155, v13
	v_fma_f32 v5, v152, v10, -v5
	s_delay_alu instid0(VALU_DEP_4)
	v_add_f32_e32 v2, v2, v6
	v_fmac_f32_e32 v181, v153, v10
	v_mul_f32_e32 v6, v157, v15
	v_fmac_f32_e32 v182, v155, v12
	v_add_f32_e32 v3, v3, v180
	v_fma_f32 v4, v154, v12, -v4
	v_add_f32_e32 v2, v2, v5
	v_dual_mul_f32 v184, v158, v17 :: v_dual_mul_f32 v185, v160, v19
	s_delay_alu instid0(VALU_DEP_4)
	v_add_f32_e32 v3, v3, v181
	v_mul_f32_e32 v5, v159, v17
	v_fma_f32 v6, v156, v14, -v6
	v_dual_add_f32 v2, v2, v4 :: v_dual_fmac_f32 v183, v157, v14
	v_fmac_f32_e32 v184, v159, v16
	v_mul_f32_e32 v4, v161, v19
	v_fma_f32 v5, v158, v16, -v5
	s_delay_alu instid0(VALU_DEP_4) | instskip(SKIP_3) | instid1(VALU_DEP_3)
	v_add_f32_e32 v2, v2, v6
	v_add_f32_e32 v3, v3, v182
	v_dual_mul_f32 v6, v163, v21 :: v_dual_fmac_f32 v185, v161, v18
	v_fma_f32 v4, v160, v18, -v4
	v_dual_add_f32 v2, v2, v5 :: v_dual_add_f32 v3, v3, v183
	v_dual_mul_f32 v186, v162, v21 :: v_dual_mul_f32 v187, v164, v23
	s_delay_alu instid0(VALU_DEP_4) | instskip(NEXT) | instid1(VALU_DEP_3)
	v_fma_f32 v6, v162, v20, -v6
	v_add_f32_e32 v2, v2, v4
	s_delay_alu instid0(VALU_DEP_4) | instskip(NEXT) | instid1(VALU_DEP_4)
	v_add_f32_e32 v3, v3, v184
	v_dual_mul_f32 v5, v165, v23 :: v_dual_fmac_f32 v186, v163, v20
	v_dual_mul_f32 v4, v167, v25 :: v_dual_fmac_f32 v187, v165, v22
	s_delay_alu instid0(VALU_DEP_3) | instskip(NEXT) | instid1(VALU_DEP_3)
	v_dual_add_f32 v2, v2, v6 :: v_dual_add_f32 v3, v3, v185
	v_fma_f32 v5, v164, v22, -v5
	v_dual_mul_f32 v189, v168, v29 :: v_dual_mul_f32 v190, v170, v31
	s_delay_alu instid0(VALU_DEP_3) | instskip(SKIP_2) | instid1(VALU_DEP_4)
	v_dual_mul_f32 v6, v169, v29 :: v_dual_add_f32 v3, v3, v186
	v_fmac_f32_e32 v188, v167, v24
	v_fma_f32 v4, v166, v24, -v4
	v_dual_add_f32 v2, v2, v5 :: v_dual_fmac_f32 v189, v169, v28
	v_fmac_f32_e32 v190, v171, v30
	v_add_f32_e32 v3, v3, v187
	s_delay_alu instid0(VALU_DEP_3) | instskip(SKIP_1) | instid1(VALU_DEP_3)
	v_dual_mul_f32 v5, v171, v31 :: v_dual_add_f32 v2, v2, v4
	v_fma_f32 v6, v168, v28, -v6
	v_dual_mul_f32 v4, v177, v173 :: v_dual_add_f32 v3, v3, v188
	s_delay_alu instid0(VALU_DEP_3) | instskip(NEXT) | instid1(VALU_DEP_3)
	v_fma_f32 v5, v170, v30, -v5
	v_add_f32_e32 v2, v2, v6
	s_delay_alu instid0(VALU_DEP_3) | instskip(NEXT) | instid1(VALU_DEP_4)
	v_fma_f32 v4, v176, v172, -v4
	v_add_f32_e32 v3, v3, v189
	s_delay_alu instid0(VALU_DEP_3) | instskip(NEXT) | instid1(VALU_DEP_1)
	v_dual_fmac_f32 v191, v177, v172 :: v_dual_add_f32 v2, v2, v5
	v_dual_add_f32 v3, v3, v190 :: v_dual_add_f32 v2, v2, v4
	s_wait_loadcnt 0x0
	s_delay_alu instid0(VALU_DEP_1) | instskip(NEXT) | instid1(VALU_DEP_1)
	v_dual_add_f32 v3, v3, v191 :: v_dual_sub_f32 v2, v174, v2
	v_sub_f32_e32 v3, v175, v3
	scratch_store_b64 off, v[2:3], off offset:320
	v_cmpx_lt_u32_e32 39, v0
	s_cbranch_execz .LBB55_271
; %bb.270:
	scratch_load_b64 v[3:4], off, off offset:312
	v_mov_b32_e32 v2, v1
	scratch_store_b64 off, v[1:2], off offset:312
	s_wait_loadcnt 0x0
	ds_store_b64 v27, v[3:4]
.LBB55_271:
	s_wait_alu 0xfffe
	s_or_b32 exec_lo, exec_lo, s0
	s_wait_storecnt_dscnt 0x0
	s_barrier_signal -1
	s_barrier_wait -1
	global_inv scope:SCOPE_SE
	s_clause 0x8
	scratch_load_b128 v[2:5], off, off offset:320
	scratch_load_b128 v[6:9], off, off offset:336
	;; [unrolled: 1-line block ×8, first 2 shown]
	scratch_load_b64 v[180:181], off, off offset:312
	ds_load_b128 v[148:151], v1 offset:768
	ds_load_b128 v[152:155], v1 offset:784
	;; [unrolled: 1-line block ×8, first 2 shown]
	s_mov_b32 s0, exec_lo
	s_wait_loadcnt_dscnt 0x807
	v_dual_mul_f32 v1, v148, v3 :: v_dual_mul_f32 v26, v150, v5
	v_mul_f32_e32 v3, v149, v3
	s_wait_loadcnt_dscnt 0x706
	v_dual_mul_f32 v5, v151, v5 :: v_dual_mul_f32 v182, v152, v7
	v_mul_f32_e32 v183, v154, v9
	s_wait_loadcnt_dscnt 0x201
	v_mul_f32_e32 v192, v172, v29
	v_fma_f32 v3, v148, v2, -v3
	s_wait_loadcnt_dscnt 0x100
	v_dual_mul_f32 v195, v178, v147 :: v_dual_fmac_f32 v26, v151, v4
	v_fmac_f32_e32 v1, v149, v2
	v_mul_f32_e32 v2, v153, v7
	v_fma_f32 v4, v150, v4, -v5
	v_dual_add_f32 v3, 0, v3 :: v_dual_fmac_f32 v182, v153, v6
	v_dual_mul_f32 v184, v156, v11 :: v_dual_mul_f32 v185, v158, v13
	v_dual_mul_f32 v186, v160, v15 :: v_dual_mul_f32 v187, v162, v17
	s_delay_alu instid0(VALU_DEP_2) | instskip(SKIP_1) | instid1(VALU_DEP_3)
	v_dual_mul_f32 v5, v155, v9 :: v_dual_fmac_f32 v184, v157, v10
	v_fma_f32 v2, v152, v6, -v2
	v_dual_add_f32 v3, v3, v4 :: v_dual_fmac_f32 v186, v161, v14
	s_delay_alu instid0(VALU_DEP_3) | instskip(SKIP_1) | instid1(VALU_DEP_3)
	v_fma_f32 v5, v154, v8, -v5
	v_dual_mul_f32 v188, v164, v19 :: v_dual_mul_f32 v189, v166, v21
	v_add_f32_e32 v2, v3, v2
	v_dual_mul_f32 v4, v157, v11 :: v_dual_mul_f32 v3, v159, v13
	s_delay_alu instid0(VALU_DEP_3) | instskip(SKIP_1) | instid1(VALU_DEP_4)
	v_fmac_f32_e32 v188, v165, v18
	v_dual_mul_f32 v190, v168, v23 :: v_dual_mul_f32 v191, v170, v25
	v_add_f32_e32 v2, v2, v5
	v_add_f32_e32 v1, 0, v1
	v_fma_f32 v4, v156, v10, -v4
	v_fma_f32 v3, v158, v12, -v3
	v_fmac_f32_e32 v187, v163, v16
	v_fmac_f32_e32 v191, v171, v24
	s_delay_alu instid0(VALU_DEP_4) | instskip(SKIP_3) | instid1(VALU_DEP_4)
	v_dual_add_f32 v1, v1, v26 :: v_dual_add_f32 v2, v2, v4
	v_mul_f32_e32 v4, v163, v17
	v_fmac_f32_e32 v183, v155, v8
	v_dual_mul_f32 v193, v174, v31 :: v_dual_mul_f32 v194, v176, v145
	v_add_f32_e32 v1, v1, v182
	s_delay_alu instid0(VALU_DEP_4) | instskip(SKIP_1) | instid1(VALU_DEP_4)
	v_fma_f32 v4, v162, v16, -v4
	v_mul_f32_e32 v5, v161, v15
	v_dual_add_f32 v2, v2, v3 :: v_dual_fmac_f32 v193, v175, v30
	v_fmac_f32_e32 v194, v177, v144
	v_add_f32_e32 v1, v1, v183
	s_delay_alu instid0(VALU_DEP_4) | instskip(SKIP_2) | instid1(VALU_DEP_3)
	v_fma_f32 v5, v160, v14, -v5
	v_dual_fmac_f32 v185, v159, v12 :: v_dual_fmac_f32 v190, v169, v22
	v_dual_fmac_f32 v195, v179, v146 :: v_dual_fmac_f32 v192, v173, v28
	v_add_f32_e32 v2, v2, v5
	s_delay_alu instid0(VALU_DEP_1) | instskip(NEXT) | instid1(VALU_DEP_1)
	v_dual_mul_f32 v5, v167, v21 :: v_dual_add_f32 v2, v2, v4
	v_fma_f32 v5, v166, v20, -v5
	v_mul_f32_e32 v3, v165, v19
	v_mul_f32_e32 v4, v169, v23
	s_delay_alu instid0(VALU_DEP_2) | instskip(SKIP_1) | instid1(VALU_DEP_3)
	v_fma_f32 v3, v164, v18, -v3
	v_add_f32_e32 v1, v1, v184
	v_fma_f32 v4, v168, v22, -v4
	s_delay_alu instid0(VALU_DEP_3) | instskip(NEXT) | instid1(VALU_DEP_1)
	v_dual_add_f32 v2, v2, v3 :: v_dual_mul_f32 v3, v171, v25
	v_add_f32_e32 v2, v2, v5
	s_delay_alu instid0(VALU_DEP_4) | instskip(NEXT) | instid1(VALU_DEP_3)
	v_add_f32_e32 v1, v1, v185
	v_fma_f32 v3, v170, v24, -v3
	s_delay_alu instid0(VALU_DEP_2) | instskip(SKIP_1) | instid1(VALU_DEP_2)
	v_dual_add_f32 v2, v2, v4 :: v_dual_add_f32 v1, v1, v186
	v_mul_f32_e32 v4, v175, v31
	v_dual_fmac_f32 v189, v167, v20 :: v_dual_add_f32 v2, v2, v3
	v_mul_f32_e32 v3, v177, v145
	s_delay_alu instid0(VALU_DEP_3) | instskip(SKIP_1) | instid1(VALU_DEP_3)
	v_fma_f32 v4, v174, v30, -v4
	v_mul_f32_e32 v5, v173, v29
	v_fma_f32 v3, v176, v144, -v3
	s_delay_alu instid0(VALU_DEP_2) | instskip(NEXT) | instid1(VALU_DEP_1)
	v_fma_f32 v5, v172, v28, -v5
	v_dual_add_f32 v1, v1, v187 :: v_dual_add_f32 v2, v2, v5
	s_delay_alu instid0(VALU_DEP_1) | instskip(NEXT) | instid1(VALU_DEP_2)
	v_dual_mul_f32 v5, v179, v147 :: v_dual_add_f32 v2, v2, v4
	v_add_f32_e32 v1, v1, v188
	s_delay_alu instid0(VALU_DEP_2) | instskip(NEXT) | instid1(VALU_DEP_2)
	v_fma_f32 v4, v178, v146, -v5
	v_dual_add_f32 v2, v2, v3 :: v_dual_add_f32 v1, v1, v189
	s_delay_alu instid0(VALU_DEP_1) | instskip(NEXT) | instid1(VALU_DEP_1)
	v_dual_add_f32 v2, v2, v4 :: v_dual_add_f32 v1, v1, v190
	v_add_f32_e32 v1, v1, v191
	s_delay_alu instid0(VALU_DEP_1) | instskip(NEXT) | instid1(VALU_DEP_1)
	v_add_f32_e32 v1, v1, v192
	v_add_f32_e32 v1, v1, v193
	s_delay_alu instid0(VALU_DEP_1) | instskip(NEXT) | instid1(VALU_DEP_1)
	v_add_f32_e32 v1, v1, v194
	v_add_f32_e32 v3, v1, v195
	s_wait_loadcnt 0x0
	s_delay_alu instid0(VALU_DEP_1)
	v_dual_sub_f32 v1, v180, v2 :: v_dual_sub_f32 v2, v181, v3
	scratch_store_b64 off, v[1:2], off offset:312
	v_cmpx_lt_u32_e32 38, v0
	s_cbranch_execz .LBB55_273
; %bb.272:
	scratch_load_b64 v[1:2], off, off offset:304
	v_mov_b32_e32 v3, 0
	s_delay_alu instid0(VALU_DEP_1)
	v_mov_b32_e32 v4, v3
	scratch_store_b64 off, v[3:4], off offset:304
	s_wait_loadcnt 0x0
	ds_store_b64 v27, v[1:2]
.LBB55_273:
	s_wait_alu 0xfffe
	s_or_b32 exec_lo, exec_lo, s0
	s_wait_storecnt_dscnt 0x0
	s_barrier_signal -1
	s_barrier_wait -1
	global_inv scope:SCOPE_SE
	s_clause 0x9
	scratch_load_b128 v[2:5], off, off offset:312
	scratch_load_b128 v[6:9], off, off offset:328
	;; [unrolled: 1-line block ×8, first 2 shown]
	scratch_load_b64 v[180:181], off, off offset:440
	scratch_load_b64 v[182:183], off, off offset:304
	v_mov_b32_e32 v1, 0
	ds_load_2addr_b64 v[148:151], v1 offset0:95 offset1:96
	ds_load_2addr_b64 v[152:155], v1 offset0:97 offset1:98
	;; [unrolled: 1-line block ×8, first 2 shown]
	ds_load_b64 v[184:185], v1 offset:888
	s_mov_b32 s0, exec_lo
	s_wait_loadcnt_dscnt 0x908
	v_mul_f32_e32 v26, v148, v3
	v_dual_mul_f32 v3, v149, v3 :: v_dual_mul_f32 v186, v150, v5
	s_wait_loadcnt_dscnt 0x807
	v_mul_f32_e32 v187, v152, v7
	v_mul_f32_e32 v5, v151, v5
	s_wait_loadcnt_dscnt 0x403
	v_mul_f32_e32 v196, v170, v25
	v_fma_f32 v3, v148, v2, -v3
	v_dual_mul_f32 v188, v154, v9 :: v_dual_mul_f32 v189, v156, v11
	s_wait_loadcnt_dscnt 0x100
	v_dual_mul_f32 v201, v184, v181 :: v_dual_fmac_f32 v26, v149, v2
	v_mul_f32_e32 v2, v153, v7
	v_dual_fmac_f32 v186, v151, v4 :: v_dual_add_f32 v3, 0, v3
	v_fma_f32 v4, v150, v4, -v5
	s_delay_alu instid0(VALU_DEP_4) | instskip(SKIP_2) | instid1(VALU_DEP_4)
	v_dual_add_f32 v5, 0, v26 :: v_dual_fmac_f32 v188, v155, v8
	v_mul_f32_e32 v7, v155, v9
	v_fma_f32 v2, v152, v6, -v2
	v_add_f32_e32 v3, v3, v4
	v_fmac_f32_e32 v187, v153, v6
	v_add_f32_e32 v4, v5, v186
	v_mul_f32_e32 v5, v157, v11
	v_fma_f32 v6, v154, v8, -v7
	v_add_f32_e32 v2, v3, v2
	v_dual_mul_f32 v190, v158, v13 :: v_dual_mul_f32 v191, v160, v15
	v_dual_add_f32 v3, v4, v187 :: v_dual_mul_f32 v4, v159, v13
	v_fma_f32 v5, v156, v10, -v5
	s_delay_alu instid0(VALU_DEP_4)
	v_add_f32_e32 v2, v2, v6
	v_fmac_f32_e32 v189, v157, v10
	v_mul_f32_e32 v6, v161, v15
	v_fmac_f32_e32 v190, v159, v12
	v_add_f32_e32 v3, v3, v188
	v_fma_f32 v4, v158, v12, -v4
	v_add_f32_e32 v2, v2, v5
	v_dual_mul_f32 v192, v162, v17 :: v_dual_mul_f32 v193, v164, v19
	s_delay_alu instid0(VALU_DEP_4)
	v_add_f32_e32 v3, v3, v189
	v_mul_f32_e32 v5, v163, v17
	v_fma_f32 v6, v160, v14, -v6
	v_dual_add_f32 v2, v2, v4 :: v_dual_fmac_f32 v191, v161, v14
	v_fmac_f32_e32 v192, v163, v16
	v_mul_f32_e32 v4, v165, v19
	v_fma_f32 v5, v162, v16, -v5
	s_delay_alu instid0(VALU_DEP_4) | instskip(SKIP_3) | instid1(VALU_DEP_3)
	v_add_f32_e32 v2, v2, v6
	v_add_f32_e32 v3, v3, v190
	v_dual_mul_f32 v6, v167, v21 :: v_dual_fmac_f32 v193, v165, v18
	v_fma_f32 v4, v164, v18, -v4
	v_dual_add_f32 v2, v2, v5 :: v_dual_add_f32 v3, v3, v191
	v_dual_mul_f32 v194, v166, v21 :: v_dual_mul_f32 v195, v168, v23
	v_mul_f32_e32 v5, v169, v23
	v_fma_f32 v6, v166, v20, -v6
	s_delay_alu instid0(VALU_DEP_4) | instskip(SKIP_4) | instid1(VALU_DEP_4)
	v_add_f32_e32 v2, v2, v4
	v_add_f32_e32 v3, v3, v192
	v_fmac_f32_e32 v194, v167, v20
	v_dual_mul_f32 v4, v171, v25 :: v_dual_fmac_f32 v195, v169, v22
	v_fma_f32 v5, v168, v22, -v5
	v_dual_add_f32 v2, v2, v6 :: v_dual_add_f32 v3, v3, v193
	v_mul_f32_e32 v6, v173, v29
	s_delay_alu instid0(VALU_DEP_4) | instskip(SKIP_1) | instid1(VALU_DEP_4)
	v_fma_f32 v4, v170, v24, -v4
	v_dual_mul_f32 v197, v172, v29 :: v_dual_mul_f32 v198, v174, v31
	v_dual_add_f32 v3, v3, v194 :: v_dual_add_f32 v2, v2, v5
	s_delay_alu instid0(VALU_DEP_4) | instskip(SKIP_1) | instid1(VALU_DEP_4)
	v_fma_f32 v6, v172, v28, -v6
	v_fmac_f32_e32 v196, v171, v24
	v_dual_fmac_f32 v197, v173, v28 :: v_dual_fmac_f32 v198, v175, v30
	s_delay_alu instid0(VALU_DEP_4) | instskip(SKIP_3) | instid1(VALU_DEP_3)
	v_add_f32_e32 v3, v3, v195
	v_dual_mul_f32 v5, v175, v31 :: v_dual_add_f32 v2, v2, v4
	v_dual_mul_f32 v199, v176, v145 :: v_dual_mul_f32 v200, v178, v147
	v_mul_f32_e32 v4, v177, v145
	v_fma_f32 v5, v174, v30, -v5
	s_delay_alu instid0(VALU_DEP_4) | instskip(NEXT) | instid1(VALU_DEP_4)
	v_add_f32_e32 v2, v2, v6
	v_dual_mul_f32 v6, v179, v147 :: v_dual_fmac_f32 v199, v177, v144
	s_delay_alu instid0(VALU_DEP_4) | instskip(SKIP_1) | instid1(VALU_DEP_4)
	v_fma_f32 v4, v176, v144, -v4
	v_dual_fmac_f32 v200, v179, v146 :: v_dual_fmac_f32 v201, v185, v180
	v_add_f32_e32 v2, v2, v5
	v_mul_f32_e32 v5, v185, v181
	v_add_f32_e32 v3, v3, v196
	v_fma_f32 v6, v178, v146, -v6
	s_delay_alu instid0(VALU_DEP_2) | instskip(NEXT) | instid1(VALU_DEP_1)
	v_add_f32_e32 v3, v3, v197
	v_dual_add_f32 v3, v3, v198 :: v_dual_add_f32 v2, v2, v4
	v_fma_f32 v4, v184, v180, -v5
	s_delay_alu instid0(VALU_DEP_2) | instskip(NEXT) | instid1(VALU_DEP_1)
	v_dual_add_f32 v3, v3, v199 :: v_dual_add_f32 v2, v2, v6
	v_add_f32_e32 v3, v3, v200
	s_delay_alu instid0(VALU_DEP_1) | instskip(SKIP_1) | instid1(VALU_DEP_1)
	v_dual_add_f32 v2, v2, v4 :: v_dual_add_f32 v3, v3, v201
	s_wait_loadcnt 0x0
	v_dual_sub_f32 v2, v182, v2 :: v_dual_sub_f32 v3, v183, v3
	scratch_store_b64 off, v[2:3], off offset:304
	v_cmpx_lt_u32_e32 37, v0
	s_cbranch_execz .LBB55_275
; %bb.274:
	scratch_load_b64 v[3:4], off, off offset:296
	v_mov_b32_e32 v2, v1
	scratch_store_b64 off, v[1:2], off offset:296
	s_wait_loadcnt 0x0
	ds_store_b64 v27, v[3:4]
.LBB55_275:
	s_wait_alu 0xfffe
	s_or_b32 exec_lo, exec_lo, s0
	s_wait_storecnt_dscnt 0x0
	s_barrier_signal -1
	s_barrier_wait -1
	global_inv scope:SCOPE_SE
	s_clause 0x9
	scratch_load_b128 v[2:5], off, off offset:304
	scratch_load_b128 v[6:9], off, off offset:320
	;; [unrolled: 1-line block ×9, first 2 shown]
	scratch_load_b64 v[188:189], off, off offset:296
	ds_load_b128 v[152:155], v1 offset:752
	ds_load_b128 v[156:159], v1 offset:768
	;; [unrolled: 1-line block ×9, first 2 shown]
	s_mov_b32 s0, exec_lo
	s_wait_loadcnt_dscnt 0x908
	v_dual_mul_f32 v1, v152, v3 :: v_dual_mul_f32 v26, v154, v5
	v_mul_f32_e32 v5, v155, v5
	v_mul_f32_e32 v3, v153, v3
	s_wait_loadcnt_dscnt 0x807
	v_dual_mul_f32 v190, v156, v7 :: v_dual_mul_f32 v191, v158, v9
	s_wait_loadcnt_dscnt 0x201
	v_dual_fmac_f32 v1, v153, v2 :: v_dual_mul_f32 v202, v180, v145
	v_fma_f32 v3, v152, v2, -v3
	s_wait_loadcnt_dscnt 0x100
	v_dual_mul_f32 v205, v186, v151 :: v_dual_fmac_f32 v26, v155, v4
	v_mul_f32_e32 v2, v157, v7
	v_fma_f32 v4, v154, v4, -v5
	v_dual_add_f32 v3, 0, v3 :: v_dual_fmac_f32 v190, v157, v6
	v_dual_mul_f32 v192, v160, v11 :: v_dual_mul_f32 v193, v162, v13
	v_dual_mul_f32 v194, v164, v15 :: v_dual_mul_f32 v195, v166, v17
	s_delay_alu instid0(VALU_DEP_2) | instskip(SKIP_1) | instid1(VALU_DEP_3)
	v_dual_mul_f32 v5, v159, v9 :: v_dual_fmac_f32 v192, v161, v10
	v_fma_f32 v2, v156, v6, -v2
	v_dual_add_f32 v3, v3, v4 :: v_dual_fmac_f32 v194, v165, v14
	s_delay_alu instid0(VALU_DEP_3) | instskip(SKIP_1) | instid1(VALU_DEP_3)
	v_fma_f32 v5, v158, v8, -v5
	v_dual_mul_f32 v196, v168, v19 :: v_dual_mul_f32 v197, v170, v21
	v_add_f32_e32 v2, v3, v2
	v_dual_mul_f32 v4, v161, v11 :: v_dual_mul_f32 v3, v163, v13
	s_delay_alu instid0(VALU_DEP_3) | instskip(SKIP_1) | instid1(VALU_DEP_4)
	v_fmac_f32_e32 v196, v169, v18
	v_dual_mul_f32 v198, v172, v23 :: v_dual_mul_f32 v199, v174, v25
	v_add_f32_e32 v2, v2, v5
	v_add_f32_e32 v1, 0, v1
	v_fma_f32 v4, v160, v10, -v4
	v_fma_f32 v3, v162, v12, -v3
	v_dual_fmac_f32 v195, v167, v16 :: v_dual_mul_f32 v200, v176, v29
	v_mul_f32_e32 v201, v178, v31
	s_delay_alu instid0(VALU_DEP_4) | instskip(SKIP_3) | instid1(VALU_DEP_4)
	v_dual_add_f32 v1, v1, v26 :: v_dual_add_f32 v2, v2, v4
	v_mul_f32_e32 v4, v167, v17
	v_fmac_f32_e32 v191, v159, v8
	v_dual_mul_f32 v203, v182, v147 :: v_dual_mul_f32 v204, v184, v149
	v_add_f32_e32 v1, v1, v190
	s_delay_alu instid0(VALU_DEP_4) | instskip(SKIP_2) | instid1(VALU_DEP_4)
	v_fma_f32 v4, v166, v16, -v4
	v_mul_f32_e32 v5, v165, v15
	v_dual_add_f32 v2, v2, v3 :: v_dual_fmac_f32 v199, v175, v24
	v_add_f32_e32 v1, v1, v191
	v_dual_fmac_f32 v201, v179, v30 :: v_dual_fmac_f32 v202, v181, v144
	s_delay_alu instid0(VALU_DEP_4) | instskip(SKIP_2) | instid1(VALU_DEP_3)
	v_fma_f32 v5, v164, v14, -v5
	v_dual_fmac_f32 v193, v163, v12 :: v_dual_fmac_f32 v198, v173, v22
	v_dual_fmac_f32 v205, v187, v150 :: v_dual_fmac_f32 v200, v177, v28
	v_add_f32_e32 v2, v2, v5
	v_dual_mul_f32 v5, v171, v21 :: v_dual_fmac_f32 v204, v185, v148
	s_delay_alu instid0(VALU_DEP_2) | instskip(NEXT) | instid1(VALU_DEP_2)
	v_add_f32_e32 v2, v2, v4
	v_fma_f32 v5, v170, v20, -v5
	v_mul_f32_e32 v3, v169, v19
	v_mul_f32_e32 v4, v173, v23
	s_delay_alu instid0(VALU_DEP_2) | instskip(SKIP_1) | instid1(VALU_DEP_3)
	v_fma_f32 v3, v168, v18, -v3
	v_add_f32_e32 v1, v1, v192
	v_fma_f32 v4, v172, v22, -v4
	s_delay_alu instid0(VALU_DEP_3) | instskip(NEXT) | instid1(VALU_DEP_1)
	v_dual_add_f32 v2, v2, v3 :: v_dual_mul_f32 v3, v175, v25
	v_add_f32_e32 v2, v2, v5
	s_delay_alu instid0(VALU_DEP_4) | instskip(NEXT) | instid1(VALU_DEP_3)
	v_add_f32_e32 v1, v1, v193
	v_fma_f32 v3, v174, v24, -v3
	s_delay_alu instid0(VALU_DEP_2) | instskip(SKIP_1) | instid1(VALU_DEP_2)
	v_dual_add_f32 v2, v2, v4 :: v_dual_add_f32 v1, v1, v194
	v_mul_f32_e32 v4, v179, v31
	v_dual_fmac_f32 v197, v171, v20 :: v_dual_add_f32 v2, v2, v3
	v_mul_f32_e32 v3, v181, v145
	s_delay_alu instid0(VALU_DEP_3) | instskip(SKIP_1) | instid1(VALU_DEP_3)
	v_fma_f32 v4, v178, v30, -v4
	v_mul_f32_e32 v5, v177, v29
	v_fma_f32 v3, v180, v144, -v3
	s_delay_alu instid0(VALU_DEP_2) | instskip(NEXT) | instid1(VALU_DEP_1)
	v_fma_f32 v5, v176, v28, -v5
	v_dual_add_f32 v1, v1, v195 :: v_dual_add_f32 v2, v2, v5
	s_delay_alu instid0(VALU_DEP_1) | instskip(NEXT) | instid1(VALU_DEP_2)
	v_dual_mul_f32 v5, v183, v147 :: v_dual_add_f32 v2, v2, v4
	v_add_f32_e32 v1, v1, v196
	v_mul_f32_e32 v4, v185, v149
	s_delay_alu instid0(VALU_DEP_3) | instskip(NEXT) | instid1(VALU_DEP_4)
	v_fma_f32 v5, v182, v146, -v5
	v_dual_add_f32 v2, v2, v3 :: v_dual_fmac_f32 v203, v183, v146
	v_mul_f32_e32 v3, v187, v151
	s_delay_alu instid0(VALU_DEP_4) | instskip(NEXT) | instid1(VALU_DEP_3)
	v_fma_f32 v4, v184, v148, -v4
	v_add_f32_e32 v2, v2, v5
	v_add_f32_e32 v1, v1, v197
	s_delay_alu instid0(VALU_DEP_4) | instskip(NEXT) | instid1(VALU_DEP_2)
	v_fma_f32 v3, v186, v150, -v3
	v_dual_add_f32 v2, v2, v4 :: v_dual_add_f32 v1, v1, v198
	s_delay_alu instid0(VALU_DEP_1) | instskip(NEXT) | instid1(VALU_DEP_2)
	v_add_f32_e32 v2, v2, v3
	v_add_f32_e32 v1, v1, v199
	s_delay_alu instid0(VALU_DEP_1) | instskip(NEXT) | instid1(VALU_DEP_1)
	v_add_f32_e32 v1, v1, v200
	v_add_f32_e32 v1, v1, v201
	s_delay_alu instid0(VALU_DEP_1) | instskip(NEXT) | instid1(VALU_DEP_1)
	;; [unrolled: 3-line block ×3, first 2 shown]
	v_add_f32_e32 v1, v1, v204
	v_add_f32_e32 v3, v1, v205
	s_wait_loadcnt 0x0
	s_delay_alu instid0(VALU_DEP_1)
	v_dual_sub_f32 v1, v188, v2 :: v_dual_sub_f32 v2, v189, v3
	scratch_store_b64 off, v[1:2], off offset:296
	v_cmpx_lt_u32_e32 36, v0
	s_cbranch_execz .LBB55_277
; %bb.276:
	scratch_load_b64 v[1:2], off, off offset:288
	v_mov_b32_e32 v3, 0
	s_delay_alu instid0(VALU_DEP_1)
	v_mov_b32_e32 v4, v3
	scratch_store_b64 off, v[3:4], off offset:288
	s_wait_loadcnt 0x0
	ds_store_b64 v27, v[1:2]
.LBB55_277:
	s_wait_alu 0xfffe
	s_or_b32 exec_lo, exec_lo, s0
	s_wait_storecnt_dscnt 0x0
	s_barrier_signal -1
	s_barrier_wait -1
	global_inv scope:SCOPE_SE
	s_clause 0xa
	scratch_load_b128 v[2:5], off, off offset:296
	scratch_load_b128 v[6:9], off, off offset:312
	;; [unrolled: 1-line block ×9, first 2 shown]
	scratch_load_b64 v[188:189], off, off offset:440
	scratch_load_b64 v[190:191], off, off offset:288
	v_mov_b32_e32 v1, 0
	ds_load_2addr_b64 v[152:155], v1 offset0:93 offset1:94
	ds_load_2addr_b64 v[156:159], v1 offset0:95 offset1:96
	;; [unrolled: 1-line block ×9, first 2 shown]
	ds_load_b64 v[192:193], v1 offset:888
	s_mov_b32 s0, exec_lo
	s_wait_loadcnt_dscnt 0xa09
	v_mul_f32_e32 v26, v152, v3
	v_dual_mul_f32 v3, v153, v3 :: v_dual_mul_f32 v194, v154, v5
	s_wait_loadcnt_dscnt 0x908
	v_mul_f32_e32 v195, v156, v7
	v_mul_f32_e32 v5, v155, v5
	s_wait_loadcnt_dscnt 0x504
	v_mul_f32_e32 v204, v174, v25
	v_fma_f32 v3, v152, v2, -v3
	v_dual_mul_f32 v196, v158, v9 :: v_dual_mul_f32 v197, v160, v11
	s_wait_loadcnt_dscnt 0x100
	v_dual_mul_f32 v211, v192, v189 :: v_dual_fmac_f32 v26, v153, v2
	v_mul_f32_e32 v2, v157, v7
	v_dual_fmac_f32 v194, v155, v4 :: v_dual_add_f32 v3, 0, v3
	v_fma_f32 v4, v154, v4, -v5
	s_delay_alu instid0(VALU_DEP_4) | instskip(SKIP_2) | instid1(VALU_DEP_4)
	v_dual_add_f32 v5, 0, v26 :: v_dual_fmac_f32 v196, v159, v8
	v_mul_f32_e32 v7, v159, v9
	v_fma_f32 v2, v156, v6, -v2
	v_add_f32_e32 v3, v3, v4
	v_fmac_f32_e32 v195, v157, v6
	v_add_f32_e32 v4, v5, v194
	v_mul_f32_e32 v5, v161, v11
	v_fma_f32 v6, v158, v8, -v7
	v_add_f32_e32 v2, v3, v2
	v_dual_mul_f32 v198, v162, v13 :: v_dual_mul_f32 v199, v164, v15
	v_dual_add_f32 v3, v4, v195 :: v_dual_mul_f32 v4, v163, v13
	v_fma_f32 v5, v160, v10, -v5
	s_delay_alu instid0(VALU_DEP_4)
	v_add_f32_e32 v2, v2, v6
	v_fmac_f32_e32 v197, v161, v10
	v_mul_f32_e32 v6, v165, v15
	v_fmac_f32_e32 v198, v163, v12
	v_add_f32_e32 v3, v3, v196
	v_fma_f32 v4, v162, v12, -v4
	v_add_f32_e32 v2, v2, v5
	v_dual_mul_f32 v200, v166, v17 :: v_dual_mul_f32 v201, v168, v19
	s_delay_alu instid0(VALU_DEP_4)
	v_add_f32_e32 v3, v3, v197
	v_mul_f32_e32 v5, v167, v17
	v_fma_f32 v6, v164, v14, -v6
	v_dual_add_f32 v2, v2, v4 :: v_dual_fmac_f32 v199, v165, v14
	v_fmac_f32_e32 v200, v167, v16
	v_mul_f32_e32 v4, v169, v19
	v_fma_f32 v5, v166, v16, -v5
	s_delay_alu instid0(VALU_DEP_4) | instskip(SKIP_3) | instid1(VALU_DEP_3)
	v_add_f32_e32 v2, v2, v6
	v_add_f32_e32 v3, v3, v198
	v_dual_mul_f32 v6, v171, v21 :: v_dual_fmac_f32 v201, v169, v18
	v_fma_f32 v4, v168, v18, -v4
	v_dual_add_f32 v2, v2, v5 :: v_dual_add_f32 v3, v3, v199
	v_dual_mul_f32 v202, v170, v21 :: v_dual_mul_f32 v203, v172, v23
	v_mul_f32_e32 v5, v173, v23
	v_fma_f32 v6, v170, v20, -v6
	s_delay_alu instid0(VALU_DEP_4) | instskip(SKIP_4) | instid1(VALU_DEP_4)
	v_add_f32_e32 v2, v2, v4
	v_add_f32_e32 v3, v3, v200
	v_fmac_f32_e32 v202, v171, v20
	v_dual_mul_f32 v4, v175, v25 :: v_dual_fmac_f32 v203, v173, v22
	v_fma_f32 v5, v172, v22, -v5
	v_dual_add_f32 v2, v2, v6 :: v_dual_add_f32 v3, v3, v201
	v_mul_f32_e32 v6, v177, v29
	s_delay_alu instid0(VALU_DEP_4) | instskip(SKIP_1) | instid1(VALU_DEP_4)
	v_fma_f32 v4, v174, v24, -v4
	v_dual_mul_f32 v205, v176, v29 :: v_dual_mul_f32 v206, v178, v31
	v_dual_add_f32 v3, v3, v202 :: v_dual_add_f32 v2, v2, v5
	s_delay_alu instid0(VALU_DEP_4) | instskip(SKIP_1) | instid1(VALU_DEP_4)
	v_fma_f32 v6, v176, v28, -v6
	v_fmac_f32_e32 v204, v175, v24
	v_dual_fmac_f32 v205, v177, v28 :: v_dual_fmac_f32 v206, v179, v30
	s_delay_alu instid0(VALU_DEP_4) | instskip(SKIP_3) | instid1(VALU_DEP_3)
	v_add_f32_e32 v3, v3, v203
	v_dual_mul_f32 v5, v179, v31 :: v_dual_add_f32 v2, v2, v4
	v_dual_mul_f32 v207, v180, v145 :: v_dual_mul_f32 v208, v182, v147
	v_mul_f32_e32 v4, v181, v145
	v_fma_f32 v5, v178, v30, -v5
	s_delay_alu instid0(VALU_DEP_4) | instskip(NEXT) | instid1(VALU_DEP_4)
	v_add_f32_e32 v2, v2, v6
	v_dual_mul_f32 v6, v183, v147 :: v_dual_fmac_f32 v207, v181, v144
	s_delay_alu instid0(VALU_DEP_4) | instskip(SKIP_1) | instid1(VALU_DEP_4)
	v_fma_f32 v4, v180, v144, -v4
	v_dual_mul_f32 v209, v184, v149 :: v_dual_mul_f32 v210, v186, v151
	v_add_f32_e32 v2, v2, v5
	v_mul_f32_e32 v5, v185, v149
	v_add_f32_e32 v3, v3, v204
	s_delay_alu instid0(VALU_DEP_4) | instskip(SKIP_1) | instid1(VALU_DEP_4)
	v_dual_fmac_f32 v208, v183, v146 :: v_dual_fmac_f32 v209, v185, v148
	v_fma_f32 v6, v182, v146, -v6
	v_fma_f32 v5, v184, v148, -v5
	s_delay_alu instid0(VALU_DEP_4) | instskip(SKIP_1) | instid1(VALU_DEP_2)
	v_add_f32_e32 v3, v3, v205
	v_dual_fmac_f32 v210, v187, v150 :: v_dual_fmac_f32 v211, v193, v188
	v_dual_add_f32 v3, v3, v206 :: v_dual_add_f32 v2, v2, v4
	v_mul_f32_e32 v4, v187, v151
	s_delay_alu instid0(VALU_DEP_2) | instskip(NEXT) | instid1(VALU_DEP_2)
	v_dual_add_f32 v3, v3, v207 :: v_dual_add_f32 v2, v2, v6
	v_fma_f32 v4, v186, v150, -v4
	s_delay_alu instid0(VALU_DEP_2) | instskip(NEXT) | instid1(VALU_DEP_1)
	v_add_f32_e32 v3, v3, v208
	v_add_f32_e32 v3, v3, v209
	s_delay_alu instid0(VALU_DEP_1) | instskip(SKIP_1) | instid1(VALU_DEP_2)
	v_dual_mul_f32 v6, v193, v189 :: v_dual_add_f32 v3, v3, v210
	v_add_f32_e32 v2, v2, v5
	v_fma_f32 v5, v192, v188, -v6
	s_delay_alu instid0(VALU_DEP_2) | instskip(SKIP_1) | instid1(VALU_DEP_1)
	v_dual_add_f32 v3, v3, v211 :: v_dual_add_f32 v2, v2, v4
	s_wait_loadcnt 0x0
	v_dual_sub_f32 v3, v191, v3 :: v_dual_add_f32 v2, v2, v5
	s_delay_alu instid0(VALU_DEP_1)
	v_sub_f32_e32 v2, v190, v2
	scratch_store_b64 off, v[2:3], off offset:288
	v_cmpx_lt_u32_e32 35, v0
	s_cbranch_execz .LBB55_279
; %bb.278:
	scratch_load_b64 v[3:4], off, off offset:280
	v_mov_b32_e32 v2, v1
	scratch_store_b64 off, v[1:2], off offset:280
	s_wait_loadcnt 0x0
	ds_store_b64 v27, v[3:4]
.LBB55_279:
	s_wait_alu 0xfffe
	s_or_b32 exec_lo, exec_lo, s0
	s_wait_storecnt_dscnt 0x0
	s_barrier_signal -1
	s_barrier_wait -1
	global_inv scope:SCOPE_SE
	s_clause 0xa
	scratch_load_b128 v[2:5], off, off offset:288
	scratch_load_b128 v[6:9], off, off offset:304
	;; [unrolled: 1-line block ×10, first 2 shown]
	scratch_load_b64 v[196:197], off, off offset:280
	ds_load_b128 v[156:159], v1 offset:736
	ds_load_b128 v[160:163], v1 offset:752
	;; [unrolled: 1-line block ×10, first 2 shown]
	s_mov_b32 s0, exec_lo
	s_wait_loadcnt_dscnt 0xa09
	v_dual_mul_f32 v1, v156, v3 :: v_dual_mul_f32 v26, v158, v5
	s_wait_loadcnt_dscnt 0x908
	v_dual_mul_f32 v5, v159, v5 :: v_dual_mul_f32 v198, v160, v7
	v_mul_f32_e32 v199, v162, v9
	v_mul_f32_e32 v3, v157, v3
	v_dual_fmac_f32 v1, v157, v2 :: v_dual_fmac_f32 v26, v159, v4
	s_wait_loadcnt_dscnt 0x100
	v_dual_mul_f32 v212, v188, v149 :: v_dual_mul_f32 v215, v194, v155
	s_delay_alu instid0(VALU_DEP_3) | instskip(SKIP_3) | instid1(VALU_DEP_4)
	v_fma_f32 v3, v156, v2, -v3
	v_mul_f32_e32 v2, v161, v7
	v_fma_f32 v4, v158, v4, -v5
	v_dual_mul_f32 v200, v164, v11 :: v_dual_mul_f32 v201, v166, v13
	v_dual_add_f32 v3, 0, v3 :: v_dual_fmac_f32 v198, v161, v6
	v_dual_mul_f32 v202, v168, v15 :: v_dual_mul_f32 v203, v170, v17
	s_delay_alu instid0(VALU_DEP_3) | instskip(SKIP_1) | instid1(VALU_DEP_3)
	v_dual_mul_f32 v5, v163, v9 :: v_dual_fmac_f32 v200, v165, v10
	v_fma_f32 v2, v160, v6, -v2
	v_dual_add_f32 v3, v3, v4 :: v_dual_fmac_f32 v202, v169, v14
	s_delay_alu instid0(VALU_DEP_3) | instskip(SKIP_1) | instid1(VALU_DEP_3)
	v_fma_f32 v5, v162, v8, -v5
	v_dual_mul_f32 v204, v172, v19 :: v_dual_mul_f32 v205, v174, v21
	v_add_f32_e32 v2, v3, v2
	v_dual_mul_f32 v3, v167, v13 :: v_dual_mul_f32 v4, v165, v11
	s_delay_alu instid0(VALU_DEP_3) | instskip(SKIP_1) | instid1(VALU_DEP_4)
	v_fmac_f32_e32 v204, v173, v18
	v_dual_mul_f32 v206, v176, v23 :: v_dual_mul_f32 v207, v178, v25
	v_add_f32_e32 v2, v2, v5
	v_add_f32_e32 v1, 0, v1
	v_fma_f32 v4, v164, v10, -v4
	v_fma_f32 v3, v166, v12, -v3
	v_dual_fmac_f32 v203, v171, v16 :: v_dual_mul_f32 v208, v180, v29
	v_mul_f32_e32 v209, v182, v31
	s_delay_alu instid0(VALU_DEP_4) | instskip(SKIP_3) | instid1(VALU_DEP_4)
	v_dual_add_f32 v1, v1, v26 :: v_dual_add_f32 v2, v2, v4
	v_mul_f32_e32 v4, v171, v17
	v_dual_fmac_f32 v199, v163, v8 :: v_dual_mul_f32 v210, v184, v145
	v_mul_f32_e32 v211, v186, v147
	v_add_f32_e32 v1, v1, v198
	s_delay_alu instid0(VALU_DEP_4) | instskip(SKIP_2) | instid1(VALU_DEP_4)
	v_fma_f32 v4, v170, v16, -v4
	v_mul_f32_e32 v5, v169, v15
	v_dual_add_f32 v2, v2, v3 :: v_dual_fmac_f32 v207, v179, v24
	v_add_f32_e32 v1, v1, v199
	v_dual_mul_f32 v213, v190, v151 :: v_dual_mul_f32 v214, v192, v153
	s_delay_alu instid0(VALU_DEP_4) | instskip(SKIP_2) | instid1(VALU_DEP_3)
	v_fma_f32 v5, v168, v14, -v5
	v_dual_fmac_f32 v201, v167, v12 :: v_dual_fmac_f32 v206, v177, v22
	v_dual_fmac_f32 v209, v183, v30 :: v_dual_fmac_f32 v210, v185, v144
	v_add_f32_e32 v2, v2, v5
	v_mul_f32_e32 v5, v175, v21
	v_fmac_f32_e32 v213, v191, v150
	v_dual_fmac_f32 v215, v195, v154 :: v_dual_fmac_f32 v208, v181, v28
	s_delay_alu instid0(VALU_DEP_4) | instskip(NEXT) | instid1(VALU_DEP_4)
	v_add_f32_e32 v2, v2, v4
	v_fma_f32 v5, v174, v20, -v5
	v_mul_f32_e32 v3, v173, v19
	v_mul_f32_e32 v4, v177, v23
	v_fmac_f32_e32 v212, v189, v148
	v_fmac_f32_e32 v214, v193, v152
	s_delay_alu instid0(VALU_DEP_4) | instskip(SKIP_2) | instid1(VALU_DEP_3)
	v_fma_f32 v3, v172, v18, -v3
	v_add_f32_e32 v1, v1, v200
	v_fma_f32 v4, v176, v22, -v4
	v_dual_add_f32 v2, v2, v3 :: v_dual_mul_f32 v3, v179, v25
	s_delay_alu instid0(VALU_DEP_1) | instskip(NEXT) | instid1(VALU_DEP_4)
	v_add_f32_e32 v2, v2, v5
	v_add_f32_e32 v1, v1, v201
	s_delay_alu instid0(VALU_DEP_3) | instskip(NEXT) | instid1(VALU_DEP_2)
	v_fma_f32 v3, v178, v24, -v3
	v_dual_add_f32 v2, v2, v4 :: v_dual_add_f32 v1, v1, v202
	v_mul_f32_e32 v4, v183, v31
	s_delay_alu instid0(VALU_DEP_2) | instskip(SKIP_1) | instid1(VALU_DEP_3)
	v_dual_fmac_f32 v205, v175, v20 :: v_dual_add_f32 v2, v2, v3
	v_mul_f32_e32 v3, v185, v145
	v_fma_f32 v4, v182, v30, -v4
	v_mul_f32_e32 v5, v181, v29
	s_delay_alu instid0(VALU_DEP_3) | instskip(NEXT) | instid1(VALU_DEP_2)
	v_fma_f32 v3, v184, v144, -v3
	v_fma_f32 v5, v180, v28, -v5
	s_delay_alu instid0(VALU_DEP_1) | instskip(NEXT) | instid1(VALU_DEP_1)
	v_dual_add_f32 v1, v1, v203 :: v_dual_add_f32 v2, v2, v5
	v_dual_mul_f32 v5, v187, v147 :: v_dual_add_f32 v2, v2, v4
	s_delay_alu instid0(VALU_DEP_2) | instskip(SKIP_1) | instid1(VALU_DEP_3)
	v_add_f32_e32 v1, v1, v204
	v_mul_f32_e32 v4, v189, v149
	v_fma_f32 v5, v186, v146, -v5
	s_delay_alu instid0(VALU_DEP_4) | instskip(SKIP_1) | instid1(VALU_DEP_4)
	v_dual_add_f32 v2, v2, v3 :: v_dual_fmac_f32 v211, v187, v146
	v_mul_f32_e32 v3, v191, v151
	v_fma_f32 v4, v188, v148, -v4
	s_delay_alu instid0(VALU_DEP_3) | instskip(SKIP_1) | instid1(VALU_DEP_4)
	v_add_f32_e32 v2, v2, v5
	v_add_f32_e32 v1, v1, v205
	v_fma_f32 v3, v190, v150, -v3
	s_delay_alu instid0(VALU_DEP_2) | instskip(SKIP_1) | instid1(VALU_DEP_2)
	v_dual_add_f32 v2, v2, v4 :: v_dual_add_f32 v1, v1, v206
	v_dual_mul_f32 v4, v195, v155 :: v_dual_mul_f32 v5, v193, v153
	v_add_f32_e32 v2, v2, v3
	s_delay_alu instid0(VALU_DEP_2) | instskip(NEXT) | instid1(VALU_DEP_3)
	v_fma_f32 v3, v194, v154, -v4
	v_fma_f32 v5, v192, v152, -v5
	s_delay_alu instid0(VALU_DEP_1) | instskip(NEXT) | instid1(VALU_DEP_1)
	v_dual_add_f32 v1, v1, v207 :: v_dual_add_f32 v2, v2, v5
	v_dual_add_f32 v1, v1, v208 :: v_dual_add_f32 v2, v2, v3
	s_delay_alu instid0(VALU_DEP_1) | instskip(NEXT) | instid1(VALU_DEP_1)
	v_add_f32_e32 v1, v1, v209
	v_add_f32_e32 v1, v1, v210
	s_delay_alu instid0(VALU_DEP_1) | instskip(NEXT) | instid1(VALU_DEP_1)
	v_add_f32_e32 v1, v1, v211
	v_add_f32_e32 v1, v1, v212
	;; [unrolled: 3-line block ×3, first 2 shown]
	s_delay_alu instid0(VALU_DEP_1) | instskip(SKIP_1) | instid1(VALU_DEP_1)
	v_add_f32_e32 v3, v1, v215
	s_wait_loadcnt 0x0
	v_dual_sub_f32 v1, v196, v2 :: v_dual_sub_f32 v2, v197, v3
	scratch_store_b64 off, v[1:2], off offset:280
	v_cmpx_lt_u32_e32 34, v0
	s_cbranch_execz .LBB55_281
; %bb.280:
	scratch_load_b64 v[1:2], off, off offset:272
	v_mov_b32_e32 v3, 0
	s_delay_alu instid0(VALU_DEP_1)
	v_mov_b32_e32 v4, v3
	scratch_store_b64 off, v[3:4], off offset:272
	s_wait_loadcnt 0x0
	ds_store_b64 v27, v[1:2]
.LBB55_281:
	s_wait_alu 0xfffe
	s_or_b32 exec_lo, exec_lo, s0
	s_wait_storecnt_dscnt 0x0
	s_barrier_signal -1
	s_barrier_wait -1
	global_inv scope:SCOPE_SE
	s_clause 0xb
	scratch_load_b128 v[2:5], off, off offset:280
	scratch_load_b128 v[6:9], off, off offset:296
	;; [unrolled: 1-line block ×10, first 2 shown]
	scratch_load_b64 v[196:197], off, off offset:440
	scratch_load_b64 v[198:199], off, off offset:272
	v_mov_b32_e32 v1, 0
	ds_load_2addr_b64 v[156:159], v1 offset0:91 offset1:92
	ds_load_2addr_b64 v[160:163], v1 offset0:93 offset1:94
	;; [unrolled: 1-line block ×10, first 2 shown]
	ds_load_b64 v[200:201], v1 offset:888
	s_mov_b32 s0, exec_lo
	s_wait_loadcnt_dscnt 0xb0a
	v_mul_f32_e32 v26, v156, v3
	v_dual_mul_f32 v3, v157, v3 :: v_dual_mul_f32 v202, v158, v5
	s_wait_loadcnt_dscnt 0xa09
	v_mul_f32_e32 v203, v160, v7
	v_mul_f32_e32 v5, v159, v5
	s_wait_loadcnt_dscnt 0x605
	v_mul_f32_e32 v212, v178, v25
	v_fma_f32 v3, v156, v2, -v3
	v_dual_mul_f32 v204, v162, v9 :: v_dual_mul_f32 v205, v164, v11
	s_wait_loadcnt_dscnt 0x100
	v_dual_fmac_f32 v26, v157, v2 :: v_dual_mul_f32 v221, v200, v197
	v_mul_f32_e32 v2, v161, v7
	v_dual_fmac_f32 v202, v159, v4 :: v_dual_add_f32 v3, 0, v3
	v_fma_f32 v4, v158, v4, -v5
	s_delay_alu instid0(VALU_DEP_4) | instskip(SKIP_2) | instid1(VALU_DEP_4)
	v_dual_add_f32 v5, 0, v26 :: v_dual_fmac_f32 v204, v163, v8
	v_mul_f32_e32 v7, v163, v9
	v_fma_f32 v2, v160, v6, -v2
	v_add_f32_e32 v3, v3, v4
	v_fmac_f32_e32 v203, v161, v6
	v_add_f32_e32 v4, v5, v202
	v_mul_f32_e32 v5, v165, v11
	v_fma_f32 v6, v162, v8, -v7
	v_add_f32_e32 v2, v3, v2
	v_dual_mul_f32 v206, v166, v13 :: v_dual_mul_f32 v207, v168, v15
	v_dual_add_f32 v3, v4, v203 :: v_dual_mul_f32 v4, v167, v13
	v_fma_f32 v5, v164, v10, -v5
	s_delay_alu instid0(VALU_DEP_4)
	v_add_f32_e32 v2, v2, v6
	v_fmac_f32_e32 v205, v165, v10
	v_mul_f32_e32 v6, v169, v15
	v_fmac_f32_e32 v206, v167, v12
	v_add_f32_e32 v3, v3, v204
	v_fma_f32 v4, v166, v12, -v4
	v_add_f32_e32 v2, v2, v5
	v_dual_mul_f32 v208, v170, v17 :: v_dual_mul_f32 v209, v172, v19
	s_delay_alu instid0(VALU_DEP_4)
	v_add_f32_e32 v3, v3, v205
	v_mul_f32_e32 v5, v171, v17
	v_fma_f32 v6, v168, v14, -v6
	v_dual_add_f32 v2, v2, v4 :: v_dual_fmac_f32 v207, v169, v14
	v_fmac_f32_e32 v208, v171, v16
	v_mul_f32_e32 v4, v173, v19
	v_fma_f32 v5, v170, v16, -v5
	s_delay_alu instid0(VALU_DEP_4) | instskip(SKIP_3) | instid1(VALU_DEP_3)
	v_add_f32_e32 v2, v2, v6
	v_add_f32_e32 v3, v3, v206
	v_dual_mul_f32 v6, v175, v21 :: v_dual_fmac_f32 v209, v173, v18
	v_fma_f32 v4, v172, v18, -v4
	v_dual_add_f32 v2, v2, v5 :: v_dual_add_f32 v3, v3, v207
	v_dual_mul_f32 v210, v174, v21 :: v_dual_mul_f32 v211, v176, v23
	v_mul_f32_e32 v5, v177, v23
	v_fma_f32 v6, v174, v20, -v6
	s_delay_alu instid0(VALU_DEP_4) | instskip(SKIP_4) | instid1(VALU_DEP_4)
	v_add_f32_e32 v2, v2, v4
	v_add_f32_e32 v3, v3, v208
	v_fmac_f32_e32 v210, v175, v20
	v_dual_mul_f32 v4, v179, v25 :: v_dual_fmac_f32 v211, v177, v22
	v_fma_f32 v5, v176, v22, -v5
	v_dual_add_f32 v2, v2, v6 :: v_dual_add_f32 v3, v3, v209
	v_mul_f32_e32 v6, v181, v29
	s_delay_alu instid0(VALU_DEP_4) | instskip(SKIP_1) | instid1(VALU_DEP_4)
	v_fma_f32 v4, v178, v24, -v4
	v_dual_mul_f32 v213, v180, v29 :: v_dual_mul_f32 v214, v182, v31
	v_dual_add_f32 v3, v3, v210 :: v_dual_add_f32 v2, v2, v5
	s_delay_alu instid0(VALU_DEP_4) | instskip(SKIP_1) | instid1(VALU_DEP_4)
	v_fma_f32 v6, v180, v28, -v6
	v_fmac_f32_e32 v212, v179, v24
	v_dual_fmac_f32 v213, v181, v28 :: v_dual_fmac_f32 v214, v183, v30
	s_delay_alu instid0(VALU_DEP_4) | instskip(SKIP_3) | instid1(VALU_DEP_3)
	v_add_f32_e32 v3, v3, v211
	v_dual_mul_f32 v5, v183, v31 :: v_dual_add_f32 v2, v2, v4
	v_dual_mul_f32 v215, v184, v145 :: v_dual_mul_f32 v216, v186, v147
	v_mul_f32_e32 v4, v185, v145
	v_fma_f32 v5, v182, v30, -v5
	s_delay_alu instid0(VALU_DEP_4) | instskip(NEXT) | instid1(VALU_DEP_4)
	v_add_f32_e32 v2, v2, v6
	v_dual_mul_f32 v6, v187, v147 :: v_dual_fmac_f32 v215, v185, v144
	s_delay_alu instid0(VALU_DEP_4) | instskip(SKIP_1) | instid1(VALU_DEP_4)
	v_fma_f32 v4, v184, v144, -v4
	v_dual_mul_f32 v217, v188, v149 :: v_dual_mul_f32 v218, v190, v151
	v_add_f32_e32 v2, v2, v5
	v_mul_f32_e32 v5, v189, v149
	v_add_f32_e32 v3, v3, v212
	s_delay_alu instid0(VALU_DEP_4) | instskip(SKIP_2) | instid1(VALU_DEP_4)
	v_dual_fmac_f32 v216, v187, v146 :: v_dual_fmac_f32 v217, v189, v148
	v_fma_f32 v6, v186, v146, -v6
	v_dual_mul_f32 v219, v192, v153 :: v_dual_mul_f32 v220, v194, v155
	v_add_f32_e32 v3, v3, v213
	v_fma_f32 v5, v188, v148, -v5
	v_dual_fmac_f32 v218, v191, v150 :: v_dual_fmac_f32 v221, v201, v196
	s_delay_alu instid0(VALU_DEP_4) | instskip(NEXT) | instid1(VALU_DEP_4)
	v_fmac_f32_e32 v219, v193, v152
	v_dual_add_f32 v3, v3, v214 :: v_dual_add_f32 v2, v2, v4
	v_mul_f32_e32 v4, v191, v151
	v_fmac_f32_e32 v220, v195, v154
	s_delay_alu instid0(VALU_DEP_3) | instskip(NEXT) | instid1(VALU_DEP_3)
	v_dual_add_f32 v3, v3, v215 :: v_dual_add_f32 v2, v2, v6
	v_fma_f32 v4, v190, v150, -v4
	s_delay_alu instid0(VALU_DEP_2) | instskip(NEXT) | instid1(VALU_DEP_1)
	v_dual_mul_f32 v6, v193, v153 :: v_dual_add_f32 v3, v3, v216
	v_add_f32_e32 v3, v3, v217
	s_delay_alu instid0(VALU_DEP_4) | instskip(NEXT) | instid1(VALU_DEP_3)
	v_dual_add_f32 v2, v2, v5 :: v_dual_mul_f32 v5, v195, v155
	v_fma_f32 v6, v192, v152, -v6
	s_delay_alu instid0(VALU_DEP_2) | instskip(SKIP_1) | instid1(VALU_DEP_4)
	v_dual_add_f32 v3, v3, v218 :: v_dual_add_f32 v2, v2, v4
	v_mul_f32_e32 v4, v201, v197
	v_fma_f32 v5, v194, v154, -v5
	s_delay_alu instid0(VALU_DEP_3) | instskip(NEXT) | instid1(VALU_DEP_3)
	v_dual_add_f32 v3, v3, v219 :: v_dual_add_f32 v2, v2, v6
	v_fma_f32 v4, v200, v196, -v4
	s_delay_alu instid0(VALU_DEP_2) | instskip(NEXT) | instid1(VALU_DEP_1)
	v_add_f32_e32 v3, v3, v220
	v_add_f32_e32 v3, v3, v221
	s_wait_loadcnt 0x0
	s_delay_alu instid0(VALU_DEP_1) | instskip(NEXT) | instid1(VALU_DEP_1)
	v_dual_add_f32 v2, v2, v5 :: v_dual_sub_f32 v3, v199, v3
	v_add_f32_e32 v2, v2, v4
	s_delay_alu instid0(VALU_DEP_1)
	v_sub_f32_e32 v2, v198, v2
	scratch_store_b64 off, v[2:3], off offset:272
	v_cmpx_lt_u32_e32 33, v0
	s_cbranch_execz .LBB55_283
; %bb.282:
	scratch_load_b64 v[3:4], off, off offset:264
	v_mov_b32_e32 v2, v1
	scratch_store_b64 off, v[1:2], off offset:264
	s_wait_loadcnt 0x0
	ds_store_b64 v27, v[3:4]
.LBB55_283:
	s_wait_alu 0xfffe
	s_or_b32 exec_lo, exec_lo, s0
	s_wait_storecnt_dscnt 0x0
	s_barrier_signal -1
	s_barrier_wait -1
	global_inv scope:SCOPE_SE
	s_clause 0xb
	scratch_load_b128 v[2:5], off, off offset:272
	scratch_load_b128 v[6:9], off, off offset:288
	;; [unrolled: 1-line block ×11, first 2 shown]
	scratch_load_b64 v[204:205], off, off offset:264
	ds_load_b128 v[160:163], v1 offset:720
	ds_load_b128 v[164:167], v1 offset:736
	;; [unrolled: 1-line block ×11, first 2 shown]
	s_mov_b32 s0, exec_lo
	s_wait_loadcnt_dscnt 0xb0a
	v_dual_mul_f32 v1, v160, v3 :: v_dual_mul_f32 v26, v162, v5
	s_wait_loadcnt_dscnt 0xa09
	v_dual_mul_f32 v5, v163, v5 :: v_dual_mul_f32 v206, v164, v7
	v_mul_f32_e32 v207, v166, v9
	v_mul_f32_e32 v3, v161, v3
	v_dual_fmac_f32 v1, v161, v2 :: v_dual_fmac_f32 v26, v163, v4
	s_wait_loadcnt_dscnt 0x908
	v_dual_mul_f32 v208, v168, v11 :: v_dual_mul_f32 v209, v170, v13
	s_wait_loadcnt_dscnt 0x201
	v_mul_f32_e32 v222, v196, v153
	v_fma_f32 v3, v160, v2, -v3
	s_wait_loadcnt_dscnt 0x100
	v_mul_f32_e32 v225, v202, v159
	v_mul_f32_e32 v2, v165, v7
	v_fma_f32 v4, v162, v4, -v5
	v_dual_mul_f32 v210, v172, v15 :: v_dual_mul_f32 v211, v174, v17
	v_dual_add_f32 v3, 0, v3 :: v_dual_fmac_f32 v206, v165, v6
	v_dual_mul_f32 v5, v167, v9 :: v_dual_fmac_f32 v208, v169, v10
	v_fma_f32 v2, v164, v6, -v2
	s_delay_alu instid0(VALU_DEP_3) | instskip(NEXT) | instid1(VALU_DEP_3)
	v_dual_add_f32 v3, v3, v4 :: v_dual_fmac_f32 v210, v173, v14
	v_fma_f32 v5, v166, v8, -v5
	v_dual_mul_f32 v212, v176, v19 :: v_dual_mul_f32 v213, v178, v21
	s_delay_alu instid0(VALU_DEP_3) | instskip(SKIP_2) | instid1(VALU_DEP_3)
	v_add_f32_e32 v2, v3, v2
	v_dual_mul_f32 v3, v171, v13 :: v_dual_mul_f32 v214, v180, v23
	v_dual_mul_f32 v215, v182, v25 :: v_dual_mul_f32 v4, v169, v11
	v_add_f32_e32 v2, v2, v5
	v_dual_add_f32 v1, 0, v1 :: v_dual_fmac_f32 v212, v177, v18
	s_delay_alu instid0(VALU_DEP_4) | instskip(NEXT) | instid1(VALU_DEP_4)
	v_fma_f32 v3, v170, v12, -v3
	v_fma_f32 v4, v168, v10, -v4
	v_fmac_f32_e32 v211, v175, v16
	s_delay_alu instid0(VALU_DEP_4) | instskip(SKIP_1) | instid1(VALU_DEP_4)
	v_dual_add_f32 v1, v1, v26 :: v_dual_mul_f32 v216, v184, v29
	v_mul_f32_e32 v217, v186, v31
	v_add_f32_e32 v2, v2, v4
	s_delay_alu instid0(VALU_DEP_3) | instskip(SKIP_2) | instid1(VALU_DEP_3)
	v_dual_mul_f32 v4, v175, v17 :: v_dual_add_f32 v1, v1, v206
	v_dual_fmac_f32 v207, v167, v8 :: v_dual_mul_f32 v220, v192, v149
	v_mul_f32_e32 v221, v194, v151
	v_fma_f32 v4, v174, v16, -v4
	v_mul_f32_e32 v5, v173, v15
	v_add_f32_e32 v2, v2, v3
	v_dual_add_f32 v1, v1, v207 :: v_dual_mul_f32 v218, v188, v145
	v_mul_f32_e32 v219, v190, v147
	s_delay_alu instid0(VALU_DEP_4) | instskip(SKIP_3) | instid1(VALU_DEP_4)
	v_fma_f32 v5, v172, v14, -v5
	v_dual_fmac_f32 v209, v171, v12 :: v_dual_fmac_f32 v214, v181, v22
	v_fmac_f32_e32 v215, v183, v24
	v_dual_fmac_f32 v217, v187, v30 :: v_dual_fmac_f32 v218, v189, v144
	v_add_f32_e32 v2, v2, v5
	v_mul_f32_e32 v5, v179, v21
	v_dual_mul_f32 v223, v198, v155 :: v_dual_mul_f32 v224, v200, v157
	s_delay_alu instid0(VALU_DEP_3) | instskip(NEXT) | instid1(VALU_DEP_3)
	v_dual_fmac_f32 v221, v195, v150 :: v_dual_add_f32 v2, v2, v4
	v_fma_f32 v5, v178, v20, -v5
	v_mul_f32_e32 v3, v177, v19
	v_mul_f32_e32 v4, v181, v23
	v_dual_fmac_f32 v224, v201, v156 :: v_dual_fmac_f32 v223, v199, v154
	v_fmac_f32_e32 v216, v185, v28
	s_delay_alu instid0(VALU_DEP_4) | instskip(SKIP_3) | instid1(VALU_DEP_4)
	v_fma_f32 v3, v176, v18, -v3
	v_add_f32_e32 v1, v1, v208
	v_fma_f32 v4, v180, v22, -v4
	v_dual_fmac_f32 v225, v203, v158 :: v_dual_fmac_f32 v220, v193, v148
	v_dual_add_f32 v2, v2, v3 :: v_dual_mul_f32 v3, v183, v25
	v_fmac_f32_e32 v222, v197, v152
	s_delay_alu instid0(VALU_DEP_2) | instskip(SKIP_1) | instid1(VALU_DEP_4)
	v_add_f32_e32 v2, v2, v5
	v_add_f32_e32 v1, v1, v209
	v_fma_f32 v3, v182, v24, -v3
	s_delay_alu instid0(VALU_DEP_2) | instskip(SKIP_1) | instid1(VALU_DEP_2)
	v_dual_add_f32 v2, v2, v4 :: v_dual_add_f32 v1, v1, v210
	v_mul_f32_e32 v4, v187, v31
	v_dual_fmac_f32 v213, v179, v20 :: v_dual_add_f32 v2, v2, v3
	v_mul_f32_e32 v3, v189, v145
	s_delay_alu instid0(VALU_DEP_3) | instskip(SKIP_1) | instid1(VALU_DEP_3)
	v_fma_f32 v4, v186, v30, -v4
	v_mul_f32_e32 v5, v185, v29
	v_fma_f32 v3, v188, v144, -v3
	s_delay_alu instid0(VALU_DEP_2) | instskip(NEXT) | instid1(VALU_DEP_1)
	v_fma_f32 v5, v184, v28, -v5
	v_dual_add_f32 v1, v1, v211 :: v_dual_add_f32 v2, v2, v5
	s_delay_alu instid0(VALU_DEP_1) | instskip(NEXT) | instid1(VALU_DEP_2)
	v_dual_mul_f32 v5, v191, v147 :: v_dual_add_f32 v2, v2, v4
	v_add_f32_e32 v1, v1, v212
	v_mul_f32_e32 v4, v193, v149
	s_delay_alu instid0(VALU_DEP_3) | instskip(NEXT) | instid1(VALU_DEP_4)
	v_fma_f32 v5, v190, v146, -v5
	v_dual_add_f32 v2, v2, v3 :: v_dual_fmac_f32 v219, v191, v146
	v_mul_f32_e32 v3, v195, v151
	s_delay_alu instid0(VALU_DEP_4) | instskip(NEXT) | instid1(VALU_DEP_3)
	v_fma_f32 v4, v192, v148, -v4
	v_add_f32_e32 v2, v2, v5
	v_add_f32_e32 v1, v1, v213
	s_delay_alu instid0(VALU_DEP_4) | instskip(NEXT) | instid1(VALU_DEP_3)
	v_fma_f32 v3, v194, v150, -v3
	v_dual_add_f32 v2, v2, v4 :: v_dual_mul_f32 v5, v197, v153
	s_delay_alu instid0(VALU_DEP_3) | instskip(NEXT) | instid1(VALU_DEP_2)
	v_dual_add_f32 v1, v1, v214 :: v_dual_mul_f32 v4, v199, v155
	v_add_f32_e32 v2, v2, v3
	s_delay_alu instid0(VALU_DEP_3) | instskip(NEXT) | instid1(VALU_DEP_3)
	v_fma_f32 v5, v196, v152, -v5
	v_add_f32_e32 v1, v1, v215
	v_mul_f32_e32 v3, v201, v157
	v_fma_f32 v4, v198, v154, -v4
	s_delay_alu instid0(VALU_DEP_4) | instskip(NEXT) | instid1(VALU_DEP_3)
	v_dual_add_f32 v2, v2, v5 :: v_dual_mul_f32 v5, v203, v159
	v_fma_f32 v3, v200, v156, -v3
	s_delay_alu instid0(VALU_DEP_2) | instskip(SKIP_1) | instid1(VALU_DEP_4)
	v_add_f32_e32 v2, v2, v4
	v_add_f32_e32 v1, v1, v216
	v_fma_f32 v4, v202, v158, -v5
	s_delay_alu instid0(VALU_DEP_2) | instskip(NEXT) | instid1(VALU_DEP_1)
	v_dual_add_f32 v2, v2, v3 :: v_dual_add_f32 v1, v1, v217
	v_dual_add_f32 v2, v2, v4 :: v_dual_add_f32 v1, v1, v218
	s_delay_alu instid0(VALU_DEP_1) | instskip(NEXT) | instid1(VALU_DEP_1)
	v_add_f32_e32 v1, v1, v219
	v_add_f32_e32 v1, v1, v220
	s_delay_alu instid0(VALU_DEP_1) | instskip(NEXT) | instid1(VALU_DEP_1)
	v_add_f32_e32 v1, v1, v221
	v_add_f32_e32 v1, v1, v222
	;; [unrolled: 3-line block ×3, first 2 shown]
	s_delay_alu instid0(VALU_DEP_1) | instskip(SKIP_1) | instid1(VALU_DEP_1)
	v_add_f32_e32 v3, v1, v225
	s_wait_loadcnt 0x0
	v_dual_sub_f32 v1, v204, v2 :: v_dual_sub_f32 v2, v205, v3
	scratch_store_b64 off, v[1:2], off offset:264
	v_cmpx_lt_u32_e32 32, v0
	s_cbranch_execz .LBB55_285
; %bb.284:
	scratch_load_b64 v[1:2], off, off offset:256
	v_mov_b32_e32 v3, 0
	s_delay_alu instid0(VALU_DEP_1)
	v_mov_b32_e32 v4, v3
	scratch_store_b64 off, v[3:4], off offset:256
	s_wait_loadcnt 0x0
	ds_store_b64 v27, v[1:2]
.LBB55_285:
	s_wait_alu 0xfffe
	s_or_b32 exec_lo, exec_lo, s0
	s_wait_storecnt_dscnt 0x0
	s_barrier_signal -1
	s_barrier_wait -1
	global_inv scope:SCOPE_SE
	s_clause 0xc
	scratch_load_b128 v[2:5], off, off offset:264
	scratch_load_b128 v[6:9], off, off offset:280
	;; [unrolled: 1-line block ×11, first 2 shown]
	scratch_load_b64 v[204:205], off, off offset:440
	scratch_load_b64 v[206:207], off, off offset:256
	v_mov_b32_e32 v1, 0
	ds_load_2addr_b64 v[160:163], v1 offset0:89 offset1:90
	ds_load_2addr_b64 v[164:167], v1 offset0:91 offset1:92
	;; [unrolled: 1-line block ×11, first 2 shown]
	ds_load_b64 v[208:209], v1 offset:888
	s_mov_b32 s0, exec_lo
	s_wait_loadcnt_dscnt 0xc0b
	v_mul_f32_e32 v26, v160, v3
	v_dual_mul_f32 v3, v161, v3 :: v_dual_mul_f32 v210, v162, v5
	s_wait_loadcnt_dscnt 0xb0a
	v_mul_f32_e32 v211, v164, v7
	v_mul_f32_e32 v5, v163, v5
	s_wait_loadcnt_dscnt 0x706
	v_mul_f32_e32 v220, v182, v25
	v_fma_f32 v3, v160, v2, -v3
	v_dual_mul_f32 v212, v166, v9 :: v_dual_mul_f32 v213, v168, v11
	v_fmac_f32_e32 v26, v161, v2
	s_wait_loadcnt_dscnt 0x100
	v_dual_mul_f32 v2, v165, v7 :: v_dual_mul_f32 v231, v208, v205
	v_dual_fmac_f32 v210, v163, v4 :: v_dual_add_f32 v3, 0, v3
	v_fma_f32 v4, v162, v4, -v5
	v_dual_add_f32 v5, 0, v26 :: v_dual_fmac_f32 v212, v167, v8
	v_mul_f32_e32 v7, v167, v9
	v_fma_f32 v2, v164, v6, -v2
	s_delay_alu instid0(VALU_DEP_4)
	v_add_f32_e32 v3, v3, v4
	v_fmac_f32_e32 v211, v165, v6
	v_add_f32_e32 v4, v5, v210
	v_mul_f32_e32 v5, v169, v11
	v_fma_f32 v6, v166, v8, -v7
	v_add_f32_e32 v2, v3, v2
	v_dual_mul_f32 v214, v170, v13 :: v_dual_mul_f32 v215, v172, v15
	v_dual_add_f32 v3, v4, v211 :: v_dual_mul_f32 v4, v171, v13
	v_fma_f32 v5, v168, v10, -v5
	s_delay_alu instid0(VALU_DEP_4)
	v_add_f32_e32 v2, v2, v6
	v_fmac_f32_e32 v213, v169, v10
	v_mul_f32_e32 v6, v173, v15
	v_fmac_f32_e32 v214, v171, v12
	v_add_f32_e32 v3, v3, v212
	v_fma_f32 v4, v170, v12, -v4
	v_add_f32_e32 v2, v2, v5
	v_dual_mul_f32 v216, v174, v17 :: v_dual_mul_f32 v217, v176, v19
	s_delay_alu instid0(VALU_DEP_4)
	v_add_f32_e32 v3, v3, v213
	v_mul_f32_e32 v5, v175, v17
	v_fma_f32 v6, v172, v14, -v6
	v_dual_add_f32 v2, v2, v4 :: v_dual_fmac_f32 v215, v173, v14
	v_fmac_f32_e32 v216, v175, v16
	v_mul_f32_e32 v4, v177, v19
	v_fma_f32 v5, v174, v16, -v5
	s_delay_alu instid0(VALU_DEP_4) | instskip(SKIP_3) | instid1(VALU_DEP_3)
	v_add_f32_e32 v2, v2, v6
	v_add_f32_e32 v3, v3, v214
	v_dual_mul_f32 v6, v179, v21 :: v_dual_fmac_f32 v217, v177, v18
	v_fma_f32 v4, v176, v18, -v4
	v_dual_add_f32 v2, v2, v5 :: v_dual_add_f32 v3, v3, v215
	v_dual_mul_f32 v218, v178, v21 :: v_dual_mul_f32 v219, v180, v23
	v_mul_f32_e32 v5, v181, v23
	v_fma_f32 v6, v178, v20, -v6
	s_delay_alu instid0(VALU_DEP_4) | instskip(SKIP_4) | instid1(VALU_DEP_4)
	v_add_f32_e32 v2, v2, v4
	v_add_f32_e32 v3, v3, v216
	v_fmac_f32_e32 v218, v179, v20
	v_dual_mul_f32 v4, v183, v25 :: v_dual_fmac_f32 v219, v181, v22
	v_fma_f32 v5, v180, v22, -v5
	v_dual_add_f32 v2, v2, v6 :: v_dual_add_f32 v3, v3, v217
	v_mul_f32_e32 v6, v185, v29
	s_delay_alu instid0(VALU_DEP_4) | instskip(SKIP_1) | instid1(VALU_DEP_4)
	v_fma_f32 v4, v182, v24, -v4
	v_dual_mul_f32 v221, v184, v29 :: v_dual_mul_f32 v222, v186, v31
	v_dual_add_f32 v3, v3, v218 :: v_dual_add_f32 v2, v2, v5
	s_delay_alu instid0(VALU_DEP_4) | instskip(SKIP_1) | instid1(VALU_DEP_4)
	v_fma_f32 v6, v184, v28, -v6
	v_fmac_f32_e32 v220, v183, v24
	v_dual_fmac_f32 v221, v185, v28 :: v_dual_fmac_f32 v222, v187, v30
	s_delay_alu instid0(VALU_DEP_4) | instskip(SKIP_3) | instid1(VALU_DEP_3)
	v_add_f32_e32 v3, v3, v219
	v_dual_mul_f32 v5, v187, v31 :: v_dual_add_f32 v2, v2, v4
	v_dual_mul_f32 v223, v188, v145 :: v_dual_mul_f32 v224, v190, v147
	v_mul_f32_e32 v4, v189, v145
	v_fma_f32 v5, v186, v30, -v5
	s_delay_alu instid0(VALU_DEP_4) | instskip(NEXT) | instid1(VALU_DEP_4)
	v_add_f32_e32 v2, v2, v6
	v_dual_mul_f32 v6, v191, v147 :: v_dual_fmac_f32 v223, v189, v144
	s_delay_alu instid0(VALU_DEP_4) | instskip(SKIP_1) | instid1(VALU_DEP_4)
	v_fma_f32 v4, v188, v144, -v4
	v_dual_mul_f32 v225, v192, v149 :: v_dual_mul_f32 v226, v194, v151
	v_add_f32_e32 v2, v2, v5
	v_mul_f32_e32 v5, v193, v149
	v_add_f32_e32 v3, v3, v220
	s_delay_alu instid0(VALU_DEP_4) | instskip(SKIP_2) | instid1(VALU_DEP_4)
	v_dual_fmac_f32 v224, v191, v146 :: v_dual_fmac_f32 v225, v193, v148
	v_fma_f32 v6, v190, v146, -v6
	v_dual_mul_f32 v227, v196, v153 :: v_dual_mul_f32 v228, v198, v155
	v_add_f32_e32 v3, v3, v221
	v_dual_mul_f32 v229, v200, v157 :: v_dual_mul_f32 v230, v202, v159
	v_fma_f32 v5, v192, v148, -v5
	v_fmac_f32_e32 v226, v195, v150
	s_delay_alu instid0(VALU_DEP_4) | instskip(SKIP_2) | instid1(VALU_DEP_3)
	v_dual_add_f32 v3, v3, v222 :: v_dual_add_f32 v2, v2, v4
	v_dual_mul_f32 v4, v195, v151 :: v_dual_fmac_f32 v227, v197, v152
	v_fmac_f32_e32 v229, v201, v156
	v_dual_add_f32 v3, v3, v223 :: v_dual_add_f32 v2, v2, v6
	v_mul_f32_e32 v6, v197, v153
	s_delay_alu instid0(VALU_DEP_4) | instskip(SKIP_1) | instid1(VALU_DEP_4)
	v_fma_f32 v4, v194, v150, -v4
	v_fmac_f32_e32 v228, v199, v154
	v_add_f32_e32 v3, v3, v224
	v_dual_fmac_f32 v230, v203, v158 :: v_dual_fmac_f32 v231, v209, v204
	s_delay_alu instid0(VALU_DEP_2) | instskip(SKIP_2) | instid1(VALU_DEP_2)
	v_add_f32_e32 v3, v3, v225
	v_dual_add_f32 v2, v2, v5 :: v_dual_mul_f32 v5, v199, v155
	v_fma_f32 v6, v196, v152, -v6
	v_dual_add_f32 v3, v3, v226 :: v_dual_add_f32 v2, v2, v4
	v_mul_f32_e32 v4, v201, v157
	s_delay_alu instid0(VALU_DEP_4) | instskip(NEXT) | instid1(VALU_DEP_3)
	v_fma_f32 v5, v198, v154, -v5
	v_dual_add_f32 v3, v3, v227 :: v_dual_add_f32 v2, v2, v6
	v_mul_f32_e32 v6, v203, v159
	s_delay_alu instid0(VALU_DEP_4) | instskip(NEXT) | instid1(VALU_DEP_3)
	v_fma_f32 v4, v200, v156, -v4
	v_add_f32_e32 v2, v2, v5
	v_mul_f32_e32 v5, v209, v205
	v_add_f32_e32 v3, v3, v228
	v_fma_f32 v6, v202, v158, -v6
	s_delay_alu instid0(VALU_DEP_2) | instskip(NEXT) | instid1(VALU_DEP_1)
	v_add_f32_e32 v3, v3, v229
	v_dual_add_f32 v3, v3, v230 :: v_dual_add_f32 v2, v2, v4
	v_fma_f32 v4, v208, v204, -v5
	s_delay_alu instid0(VALU_DEP_2) | instskip(SKIP_1) | instid1(VALU_DEP_1)
	v_dual_add_f32 v3, v3, v231 :: v_dual_add_f32 v2, v2, v6
	s_wait_loadcnt 0x0
	v_dual_sub_f32 v3, v207, v3 :: v_dual_add_f32 v2, v2, v4
	s_delay_alu instid0(VALU_DEP_1)
	v_sub_f32_e32 v2, v206, v2
	scratch_store_b64 off, v[2:3], off offset:256
	v_cmpx_lt_u32_e32 31, v0
	s_cbranch_execz .LBB55_287
; %bb.286:
	scratch_load_b64 v[3:4], off, off offset:248
	v_mov_b32_e32 v2, v1
	scratch_store_b64 off, v[1:2], off offset:248
	s_wait_loadcnt 0x0
	ds_store_b64 v27, v[3:4]
.LBB55_287:
	s_wait_alu 0xfffe
	s_or_b32 exec_lo, exec_lo, s0
	s_wait_storecnt_dscnt 0x0
	s_barrier_signal -1
	s_barrier_wait -1
	global_inv scope:SCOPE_SE
	s_clause 0xc
	scratch_load_b128 v[2:5], off, off offset:256
	scratch_load_b128 v[6:9], off, off offset:272
	;; [unrolled: 1-line block ×12, first 2 shown]
	scratch_load_b64 v[212:213], off, off offset:248
	ds_load_b128 v[164:167], v1 offset:704
	ds_load_b128 v[168:171], v1 offset:720
	;; [unrolled: 1-line block ×12, first 2 shown]
	s_mov_b32 s0, exec_lo
	s_wait_loadcnt_dscnt 0xc0b
	v_dual_mul_f32 v1, v164, v3 :: v_dual_mul_f32 v26, v166, v5
	s_wait_loadcnt_dscnt 0xb0a
	v_dual_mul_f32 v5, v167, v5 :: v_dual_mul_f32 v214, v168, v7
	v_mul_f32_e32 v215, v170, v9
	s_delay_alu instid0(VALU_DEP_3)
	v_fmac_f32_e32 v1, v165, v2
	v_dual_mul_f32 v3, v165, v3 :: v_dual_fmac_f32 v26, v167, v4
	s_wait_loadcnt_dscnt 0xa09
	v_dual_mul_f32 v216, v172, v11 :: v_dual_mul_f32 v217, v174, v13
	s_wait_loadcnt_dscnt 0x201
	v_mul_f32_e32 v232, v204, v157
	v_fma_f32 v3, v164, v2, -v3
	s_wait_loadcnt_dscnt 0x100
	v_mul_f32_e32 v235, v210, v163
	v_mul_f32_e32 v2, v169, v7
	v_fma_f32 v4, v166, v4, -v5
	v_dual_mul_f32 v218, v176, v15 :: v_dual_mul_f32 v219, v178, v17
	v_dual_add_f32 v3, 0, v3 :: v_dual_fmac_f32 v214, v169, v6
	v_dual_mul_f32 v5, v171, v9 :: v_dual_fmac_f32 v216, v173, v10
	v_fma_f32 v2, v168, v6, -v2
	s_delay_alu instid0(VALU_DEP_3) | instskip(NEXT) | instid1(VALU_DEP_3)
	v_dual_add_f32 v3, v3, v4 :: v_dual_fmac_f32 v218, v177, v14
	v_fma_f32 v5, v170, v8, -v5
	v_dual_mul_f32 v220, v180, v19 :: v_dual_mul_f32 v221, v182, v21
	s_delay_alu instid0(VALU_DEP_3) | instskip(SKIP_2) | instid1(VALU_DEP_3)
	v_add_f32_e32 v2, v3, v2
	v_dual_mul_f32 v3, v175, v13 :: v_dual_mul_f32 v222, v184, v23
	v_dual_mul_f32 v223, v186, v25 :: v_dual_mul_f32 v4, v173, v11
	v_add_f32_e32 v2, v2, v5
	v_dual_add_f32 v1, 0, v1 :: v_dual_fmac_f32 v220, v181, v18
	s_delay_alu instid0(VALU_DEP_4) | instskip(NEXT) | instid1(VALU_DEP_4)
	v_fma_f32 v3, v174, v12, -v3
	v_fma_f32 v4, v172, v10, -v4
	v_fmac_f32_e32 v219, v179, v16
	s_delay_alu instid0(VALU_DEP_4) | instskip(SKIP_1) | instid1(VALU_DEP_4)
	v_dual_add_f32 v1, v1, v26 :: v_dual_mul_f32 v224, v188, v29
	v_mul_f32_e32 v225, v190, v31
	v_add_f32_e32 v2, v2, v4
	s_delay_alu instid0(VALU_DEP_3) | instskip(SKIP_2) | instid1(VALU_DEP_3)
	v_dual_mul_f32 v4, v179, v17 :: v_dual_add_f32 v1, v1, v214
	v_dual_fmac_f32 v215, v171, v8 :: v_dual_mul_f32 v228, v196, v149
	v_mul_f32_e32 v229, v198, v151
	v_fma_f32 v4, v178, v16, -v4
	v_mul_f32_e32 v5, v177, v15
	v_add_f32_e32 v2, v2, v3
	v_dual_add_f32 v1, v1, v215 :: v_dual_mul_f32 v226, v192, v145
	v_mul_f32_e32 v227, v194, v147
	s_delay_alu instid0(VALU_DEP_4) | instskip(SKIP_3) | instid1(VALU_DEP_4)
	v_fma_f32 v5, v176, v14, -v5
	v_fmac_f32_e32 v217, v175, v12
	v_dual_fmac_f32 v223, v187, v24 :: v_dual_fmac_f32 v222, v185, v22
	v_dual_mul_f32 v230, v200, v153 :: v_dual_mul_f32 v231, v202, v155
	v_add_f32_e32 v2, v2, v5
	v_mul_f32_e32 v5, v183, v21
	v_dual_mul_f32 v233, v206, v159 :: v_dual_mul_f32 v234, v208, v161
	v_dual_fmac_f32 v225, v191, v30 :: v_dual_fmac_f32 v226, v193, v144
	s_delay_alu instid0(VALU_DEP_3) | instskip(SKIP_3) | instid1(VALU_DEP_3)
	v_fma_f32 v5, v182, v20, -v5
	v_dual_mul_f32 v3, v181, v19 :: v_dual_add_f32 v2, v2, v4
	v_dual_mul_f32 v4, v185, v23 :: v_dual_fmac_f32 v231, v203, v154
	v_dual_fmac_f32 v229, v199, v150 :: v_dual_fmac_f32 v232, v205, v156
	v_fma_f32 v3, v180, v18, -v3
	v_add_f32_e32 v1, v1, v216
	s_delay_alu instid0(VALU_DEP_4) | instskip(SKIP_1) | instid1(VALU_DEP_4)
	v_fma_f32 v4, v184, v22, -v4
	v_dual_fmac_f32 v224, v189, v28 :: v_dual_fmac_f32 v235, v211, v162
	v_dual_add_f32 v2, v2, v3 :: v_dual_mul_f32 v3, v187, v25
	v_fmac_f32_e32 v228, v197, v148
	v_fmac_f32_e32 v230, v201, v152
	;; [unrolled: 1-line block ×3, first 2 shown]
	s_delay_alu instid0(VALU_DEP_4) | instskip(SKIP_2) | instid1(VALU_DEP_2)
	v_add_f32_e32 v2, v2, v5
	v_add_f32_e32 v1, v1, v217
	v_fma_f32 v3, v186, v24, -v3
	v_dual_add_f32 v2, v2, v4 :: v_dual_add_f32 v1, v1, v218
	v_mul_f32_e32 v4, v191, v31
	s_delay_alu instid0(VALU_DEP_2) | instskip(SKIP_1) | instid1(VALU_DEP_3)
	v_dual_fmac_f32 v221, v183, v20 :: v_dual_add_f32 v2, v2, v3
	v_mul_f32_e32 v3, v193, v145
	v_fma_f32 v4, v190, v30, -v4
	v_mul_f32_e32 v5, v189, v29
	s_delay_alu instid0(VALU_DEP_3) | instskip(NEXT) | instid1(VALU_DEP_2)
	v_fma_f32 v3, v192, v144, -v3
	v_fma_f32 v5, v188, v28, -v5
	s_delay_alu instid0(VALU_DEP_1) | instskip(NEXT) | instid1(VALU_DEP_1)
	v_dual_add_f32 v1, v1, v219 :: v_dual_add_f32 v2, v2, v5
	v_dual_mul_f32 v5, v195, v147 :: v_dual_add_f32 v2, v2, v4
	s_delay_alu instid0(VALU_DEP_2) | instskip(SKIP_1) | instid1(VALU_DEP_3)
	v_add_f32_e32 v1, v1, v220
	v_mul_f32_e32 v4, v197, v149
	v_fma_f32 v5, v194, v146, -v5
	s_delay_alu instid0(VALU_DEP_4) | instskip(SKIP_1) | instid1(VALU_DEP_4)
	v_dual_add_f32 v2, v2, v3 :: v_dual_fmac_f32 v227, v195, v146
	v_mul_f32_e32 v3, v199, v151
	v_fma_f32 v4, v196, v148, -v4
	s_delay_alu instid0(VALU_DEP_3) | instskip(SKIP_1) | instid1(VALU_DEP_4)
	v_add_f32_e32 v2, v2, v5
	v_add_f32_e32 v1, v1, v221
	v_fma_f32 v3, v198, v150, -v3
	s_delay_alu instid0(VALU_DEP_3) | instskip(NEXT) | instid1(VALU_DEP_3)
	v_dual_add_f32 v2, v2, v4 :: v_dual_mul_f32 v5, v201, v153
	v_dual_add_f32 v1, v1, v222 :: v_dual_mul_f32 v4, v203, v155
	s_delay_alu instid0(VALU_DEP_2) | instskip(NEXT) | instid1(VALU_DEP_3)
	v_add_f32_e32 v2, v2, v3
	v_fma_f32 v5, v200, v152, -v5
	s_delay_alu instid0(VALU_DEP_3) | instskip(SKIP_2) | instid1(VALU_DEP_4)
	v_add_f32_e32 v1, v1, v223
	v_mul_f32_e32 v3, v205, v157
	v_fma_f32 v4, v202, v154, -v4
	v_dual_add_f32 v2, v2, v5 :: v_dual_mul_f32 v5, v207, v159
	s_delay_alu instid0(VALU_DEP_3) | instskip(NEXT) | instid1(VALU_DEP_2)
	v_fma_f32 v3, v204, v156, -v3
	v_add_f32_e32 v2, v2, v4
	v_add_f32_e32 v1, v1, v224
	v_mul_f32_e32 v4, v209, v161
	v_fma_f32 v5, v206, v158, -v5
	s_delay_alu instid0(VALU_DEP_4) | instskip(SKIP_1) | instid1(VALU_DEP_4)
	v_dual_add_f32 v2, v2, v3 :: v_dual_fmac_f32 v233, v207, v158
	v_mul_f32_e32 v3, v211, v163
	v_fma_f32 v4, v208, v160, -v4
	s_delay_alu instid0(VALU_DEP_3) | instskip(SKIP_1) | instid1(VALU_DEP_4)
	v_add_f32_e32 v2, v2, v5
	v_add_f32_e32 v1, v1, v225
	v_fma_f32 v3, v210, v162, -v3
	s_delay_alu instid0(VALU_DEP_2) | instskip(NEXT) | instid1(VALU_DEP_1)
	v_dual_add_f32 v2, v2, v4 :: v_dual_add_f32 v1, v1, v226
	v_add_f32_e32 v2, v2, v3
	s_delay_alu instid0(VALU_DEP_2) | instskip(NEXT) | instid1(VALU_DEP_1)
	v_add_f32_e32 v1, v1, v227
	v_add_f32_e32 v1, v1, v228
	s_delay_alu instid0(VALU_DEP_1) | instskip(NEXT) | instid1(VALU_DEP_1)
	v_add_f32_e32 v1, v1, v229
	v_add_f32_e32 v1, v1, v230
	s_delay_alu instid0(VALU_DEP_1) | instskip(NEXT) | instid1(VALU_DEP_1)
	;; [unrolled: 3-line block ×3, first 2 shown]
	v_add_f32_e32 v1, v1, v233
	v_add_f32_e32 v1, v1, v234
	s_delay_alu instid0(VALU_DEP_1) | instskip(SKIP_1) | instid1(VALU_DEP_1)
	v_add_f32_e32 v3, v1, v235
	s_wait_loadcnt 0x0
	v_dual_sub_f32 v1, v212, v2 :: v_dual_sub_f32 v2, v213, v3
	scratch_store_b64 off, v[1:2], off offset:248
	v_cmpx_lt_u32_e32 30, v0
	s_cbranch_execz .LBB55_289
; %bb.288:
	scratch_load_b64 v[1:2], off, off offset:240
	v_mov_b32_e32 v3, 0
	s_delay_alu instid0(VALU_DEP_1)
	v_mov_b32_e32 v4, v3
	scratch_store_b64 off, v[3:4], off offset:240
	s_wait_loadcnt 0x0
	ds_store_b64 v27, v[1:2]
.LBB55_289:
	s_wait_alu 0xfffe
	s_or_b32 exec_lo, exec_lo, s0
	s_wait_storecnt_dscnt 0x0
	s_barrier_signal -1
	s_barrier_wait -1
	global_inv scope:SCOPE_SE
	s_clause 0xd
	scratch_load_b128 v[2:5], off, off offset:248
	scratch_load_b128 v[6:9], off, off offset:264
	;; [unrolled: 1-line block ×12, first 2 shown]
	scratch_load_b64 v[212:213], off, off offset:440
	scratch_load_b64 v[214:215], off, off offset:240
	v_mov_b32_e32 v1, 0
	ds_load_2addr_b64 v[164:167], v1 offset0:87 offset1:88
	ds_load_2addr_b64 v[168:171], v1 offset0:89 offset1:90
	;; [unrolled: 1-line block ×12, first 2 shown]
	ds_load_b64 v[216:217], v1 offset:888
	s_mov_b32 s0, exec_lo
	s_wait_loadcnt_dscnt 0xd0c
	v_mul_f32_e32 v26, v164, v3
	v_dual_mul_f32 v3, v165, v3 :: v_dual_mul_f32 v218, v166, v5
	s_wait_loadcnt_dscnt 0xc0b
	v_mul_f32_e32 v219, v168, v7
	v_mul_f32_e32 v5, v167, v5
	s_wait_loadcnt_dscnt 0x807
	v_mul_f32_e32 v228, v186, v25
	v_fma_f32 v3, v164, v2, -v3
	v_dual_mul_f32 v220, v170, v9 :: v_dual_mul_f32 v221, v172, v11
	v_fmac_f32_e32 v26, v165, v2
	v_mul_f32_e32 v2, v169, v7
	s_delay_alu instid0(VALU_DEP_4)
	v_dual_fmac_f32 v218, v167, v4 :: v_dual_add_f32 v3, 0, v3
	s_wait_loadcnt_dscnt 0x100
	v_mul_f32_e32 v241, v216, v213
	v_fma_f32 v4, v166, v4, -v5
	v_dual_add_f32 v5, 0, v26 :: v_dual_fmac_f32 v220, v171, v8
	v_mul_f32_e32 v7, v171, v9
	v_fma_f32 v2, v168, v6, -v2
	s_delay_alu instid0(VALU_DEP_4)
	v_add_f32_e32 v3, v3, v4
	v_fmac_f32_e32 v219, v169, v6
	v_add_f32_e32 v4, v5, v218
	v_mul_f32_e32 v5, v173, v11
	v_fma_f32 v6, v170, v8, -v7
	v_add_f32_e32 v2, v3, v2
	v_dual_mul_f32 v222, v174, v13 :: v_dual_mul_f32 v223, v176, v15
	v_dual_add_f32 v3, v4, v219 :: v_dual_mul_f32 v4, v175, v13
	v_fma_f32 v5, v172, v10, -v5
	s_delay_alu instid0(VALU_DEP_4)
	v_add_f32_e32 v2, v2, v6
	v_fmac_f32_e32 v221, v173, v10
	v_mul_f32_e32 v6, v177, v15
	v_fmac_f32_e32 v222, v175, v12
	v_add_f32_e32 v3, v3, v220
	v_fma_f32 v4, v174, v12, -v4
	v_add_f32_e32 v2, v2, v5
	v_dual_mul_f32 v224, v178, v17 :: v_dual_mul_f32 v225, v180, v19
	s_delay_alu instid0(VALU_DEP_4)
	v_add_f32_e32 v3, v3, v221
	v_mul_f32_e32 v5, v179, v17
	v_fma_f32 v6, v176, v14, -v6
	v_dual_add_f32 v2, v2, v4 :: v_dual_fmac_f32 v223, v177, v14
	v_fmac_f32_e32 v224, v179, v16
	v_mul_f32_e32 v4, v181, v19
	v_fma_f32 v5, v178, v16, -v5
	s_delay_alu instid0(VALU_DEP_4) | instskip(SKIP_3) | instid1(VALU_DEP_3)
	v_add_f32_e32 v2, v2, v6
	v_add_f32_e32 v3, v3, v222
	v_dual_mul_f32 v6, v183, v21 :: v_dual_fmac_f32 v225, v181, v18
	v_fma_f32 v4, v180, v18, -v4
	v_dual_add_f32 v2, v2, v5 :: v_dual_add_f32 v3, v3, v223
	v_dual_mul_f32 v226, v182, v21 :: v_dual_mul_f32 v227, v184, v23
	v_mul_f32_e32 v5, v185, v23
	v_fma_f32 v6, v182, v20, -v6
	s_delay_alu instid0(VALU_DEP_4) | instskip(SKIP_4) | instid1(VALU_DEP_4)
	v_add_f32_e32 v2, v2, v4
	v_add_f32_e32 v3, v3, v224
	v_fmac_f32_e32 v226, v183, v20
	v_dual_mul_f32 v4, v187, v25 :: v_dual_fmac_f32 v227, v185, v22
	v_fma_f32 v5, v184, v22, -v5
	v_dual_add_f32 v2, v2, v6 :: v_dual_add_f32 v3, v3, v225
	v_mul_f32_e32 v6, v189, v29
	s_delay_alu instid0(VALU_DEP_4) | instskip(SKIP_1) | instid1(VALU_DEP_4)
	v_fma_f32 v4, v186, v24, -v4
	v_dual_mul_f32 v229, v188, v29 :: v_dual_mul_f32 v230, v190, v31
	v_dual_add_f32 v3, v3, v226 :: v_dual_add_f32 v2, v2, v5
	s_delay_alu instid0(VALU_DEP_4) | instskip(SKIP_1) | instid1(VALU_DEP_4)
	v_fma_f32 v6, v188, v28, -v6
	v_fmac_f32_e32 v228, v187, v24
	v_dual_fmac_f32 v229, v189, v28 :: v_dual_fmac_f32 v230, v191, v30
	s_delay_alu instid0(VALU_DEP_4) | instskip(SKIP_3) | instid1(VALU_DEP_3)
	v_add_f32_e32 v3, v3, v227
	v_dual_mul_f32 v5, v191, v31 :: v_dual_add_f32 v2, v2, v4
	v_dual_mul_f32 v231, v192, v145 :: v_dual_mul_f32 v232, v194, v147
	v_mul_f32_e32 v4, v193, v145
	v_fma_f32 v5, v190, v30, -v5
	s_delay_alu instid0(VALU_DEP_4) | instskip(NEXT) | instid1(VALU_DEP_4)
	v_add_f32_e32 v2, v2, v6
	v_dual_mul_f32 v6, v195, v147 :: v_dual_fmac_f32 v231, v193, v144
	s_delay_alu instid0(VALU_DEP_4) | instskip(SKIP_1) | instid1(VALU_DEP_4)
	v_fma_f32 v4, v192, v144, -v4
	v_dual_mul_f32 v233, v196, v149 :: v_dual_mul_f32 v234, v198, v151
	v_add_f32_e32 v2, v2, v5
	v_mul_f32_e32 v5, v197, v149
	v_add_f32_e32 v3, v3, v228
	s_delay_alu instid0(VALU_DEP_4) | instskip(SKIP_2) | instid1(VALU_DEP_4)
	v_dual_fmac_f32 v232, v195, v146 :: v_dual_fmac_f32 v233, v197, v148
	v_fma_f32 v6, v194, v146, -v6
	v_dual_mul_f32 v235, v200, v153 :: v_dual_mul_f32 v236, v202, v155
	v_add_f32_e32 v3, v3, v229
	v_dual_mul_f32 v237, v204, v157 :: v_dual_mul_f32 v238, v206, v159
	v_fma_f32 v5, v196, v148, -v5
	v_fmac_f32_e32 v234, v199, v150
	s_delay_alu instid0(VALU_DEP_4) | instskip(SKIP_2) | instid1(VALU_DEP_3)
	v_dual_add_f32 v3, v3, v230 :: v_dual_add_f32 v2, v2, v4
	v_dual_mul_f32 v4, v199, v151 :: v_dual_fmac_f32 v235, v201, v152
	v_fmac_f32_e32 v237, v205, v156
	v_dual_add_f32 v3, v3, v231 :: v_dual_add_f32 v2, v2, v6
	v_mul_f32_e32 v6, v201, v153
	s_delay_alu instid0(VALU_DEP_4) | instskip(SKIP_1) | instid1(VALU_DEP_4)
	v_fma_f32 v4, v198, v150, -v4
	v_fmac_f32_e32 v236, v203, v154
	v_add_f32_e32 v3, v3, v232
	v_dual_mul_f32 v239, v208, v161 :: v_dual_mul_f32 v240, v210, v163
	v_dual_fmac_f32 v238, v207, v158 :: v_dual_fmac_f32 v241, v217, v212
	s_delay_alu instid0(VALU_DEP_3) | instskip(SKIP_3) | instid1(VALU_DEP_3)
	v_add_f32_e32 v3, v3, v233
	v_dual_add_f32 v2, v2, v5 :: v_dual_mul_f32 v5, v203, v155
	v_fma_f32 v6, v200, v152, -v6
	v_fmac_f32_e32 v239, v209, v160
	v_dual_add_f32 v3, v3, v234 :: v_dual_add_f32 v2, v2, v4
	v_mul_f32_e32 v4, v205, v157
	v_fma_f32 v5, v202, v154, -v5
	v_fmac_f32_e32 v240, v211, v162
	s_delay_alu instid0(VALU_DEP_4) | instskip(SKIP_2) | instid1(VALU_DEP_3)
	v_dual_add_f32 v3, v3, v235 :: v_dual_add_f32 v2, v2, v6
	v_mul_f32_e32 v6, v207, v159
	v_fma_f32 v4, v204, v156, -v4
	v_add_f32_e32 v2, v2, v5
	v_mul_f32_e32 v5, v209, v161
	v_add_f32_e32 v3, v3, v236
	v_fma_f32 v6, v206, v158, -v6
	s_delay_alu instid0(VALU_DEP_3) | instskip(NEXT) | instid1(VALU_DEP_3)
	v_fma_f32 v5, v208, v160, -v5
	v_add_f32_e32 v3, v3, v237
	s_delay_alu instid0(VALU_DEP_1) | instskip(SKIP_1) | instid1(VALU_DEP_2)
	v_dual_add_f32 v3, v3, v238 :: v_dual_add_f32 v2, v2, v4
	v_mul_f32_e32 v4, v211, v163
	v_dual_add_f32 v3, v3, v239 :: v_dual_add_f32 v2, v2, v6
	v_mul_f32_e32 v6, v217, v213
	s_delay_alu instid0(VALU_DEP_3) | instskip(NEXT) | instid1(VALU_DEP_3)
	v_fma_f32 v4, v210, v162, -v4
	v_add_f32_e32 v3, v3, v240
	s_delay_alu instid0(VALU_DEP_1) | instskip(SKIP_3) | instid1(VALU_DEP_2)
	v_add_f32_e32 v3, v3, v241
	v_add_f32_e32 v2, v2, v5
	v_fma_f32 v5, v216, v212, -v6
	s_wait_loadcnt 0x0
	v_dual_sub_f32 v3, v215, v3 :: v_dual_add_f32 v2, v2, v4
	s_delay_alu instid0(VALU_DEP_1) | instskip(NEXT) | instid1(VALU_DEP_1)
	v_add_f32_e32 v2, v2, v5
	v_sub_f32_e32 v2, v214, v2
	scratch_store_b64 off, v[2:3], off offset:240
	v_cmpx_lt_u32_e32 29, v0
	s_cbranch_execz .LBB55_291
; %bb.290:
	scratch_load_b64 v[3:4], off, off offset:232
	v_mov_b32_e32 v2, v1
	scratch_store_b64 off, v[1:2], off offset:232
	s_wait_loadcnt 0x0
	ds_store_b64 v27, v[3:4]
.LBB55_291:
	s_wait_alu 0xfffe
	s_or_b32 exec_lo, exec_lo, s0
	s_wait_storecnt_dscnt 0x0
	s_barrier_signal -1
	s_barrier_wait -1
	global_inv scope:SCOPE_SE
	s_clause 0xd
	scratch_load_b128 v[2:5], off, off offset:240
	scratch_load_b128 v[6:9], off, off offset:256
	;; [unrolled: 1-line block ×13, first 2 shown]
	scratch_load_b64 v[220:221], off, off offset:232
	ds_load_b128 v[168:171], v1 offset:688
	ds_load_b128 v[172:175], v1 offset:704
	;; [unrolled: 1-line block ×13, first 2 shown]
	s_mov_b32 s0, exec_lo
	s_wait_loadcnt_dscnt 0xd0c
	v_dual_mul_f32 v1, v168, v3 :: v_dual_mul_f32 v26, v170, v5
	s_wait_loadcnt_dscnt 0xc0b
	v_dual_mul_f32 v5, v171, v5 :: v_dual_mul_f32 v222, v172, v7
	v_mul_f32_e32 v223, v174, v9
	s_wait_loadcnt_dscnt 0xb0a
	v_dual_fmac_f32 v1, v169, v2 :: v_dual_mul_f32 v224, v176, v11
	v_mul_f32_e32 v225, v178, v13
	v_dual_mul_f32 v3, v169, v3 :: v_dual_fmac_f32 v26, v171, v4
	s_wait_loadcnt_dscnt 0xa09
	v_dual_mul_f32 v226, v180, v15 :: v_dual_mul_f32 v227, v182, v17
	s_wait_loadcnt_dscnt 0x201
	v_mul_f32_e32 v242, v212, v161
	v_fma_f32 v3, v168, v2, -v3
	s_wait_loadcnt_dscnt 0x100
	v_mul_f32_e32 v245, v218, v167
	v_mul_f32_e32 v2, v173, v7
	v_fma_f32 v4, v170, v4, -v5
	v_dual_mul_f32 v5, v175, v9 :: v_dual_fmac_f32 v224, v177, v10
	v_dual_add_f32 v3, 0, v3 :: v_dual_fmac_f32 v222, v173, v6
	s_delay_alu instid0(VALU_DEP_4) | instskip(NEXT) | instid1(VALU_DEP_3)
	v_fma_f32 v2, v172, v6, -v2
	v_fma_f32 v5, v174, v8, -v5
	s_delay_alu instid0(VALU_DEP_3) | instskip(SKIP_2) | instid1(VALU_DEP_3)
	v_dual_fmac_f32 v226, v181, v14 :: v_dual_add_f32 v3, v3, v4
	v_dual_mul_f32 v228, v184, v19 :: v_dual_mul_f32 v229, v186, v21
	v_dual_mul_f32 v230, v188, v23 :: v_dual_mul_f32 v231, v190, v25
	v_add_f32_e32 v2, v3, v2
	s_delay_alu instid0(VALU_DEP_3) | instskip(SKIP_1) | instid1(VALU_DEP_3)
	v_dual_mul_f32 v3, v179, v13 :: v_dual_fmac_f32 v228, v185, v18
	v_dual_mul_f32 v4, v177, v11 :: v_dual_fmac_f32 v227, v183, v16
	v_add_f32_e32 v2, v2, v5
	v_add_f32_e32 v1, 0, v1
	s_delay_alu instid0(VALU_DEP_4) | instskip(NEXT) | instid1(VALU_DEP_4)
	v_fma_f32 v3, v178, v12, -v3
	v_fma_f32 v4, v176, v10, -v4
	v_dual_mul_f32 v232, v192, v29 :: v_dual_mul_f32 v233, v194, v31
	s_delay_alu instid0(VALU_DEP_4) | instskip(SKIP_1) | instid1(VALU_DEP_4)
	v_dual_add_f32 v1, v1, v26 :: v_dual_mul_f32 v236, v200, v149
	v_mul_f32_e32 v237, v202, v151
	v_add_f32_e32 v2, v2, v4
	s_delay_alu instid0(VALU_DEP_3) | instskip(SKIP_2) | instid1(VALU_DEP_3)
	v_dual_mul_f32 v4, v183, v17 :: v_dual_add_f32 v1, v1, v222
	v_dual_fmac_f32 v223, v175, v8 :: v_dual_mul_f32 v234, v196, v145
	v_mul_f32_e32 v235, v198, v147
	v_fma_f32 v4, v182, v16, -v4
	v_mul_f32_e32 v5, v181, v15
	v_add_f32_e32 v2, v2, v3
	v_add_f32_e32 v1, v1, v223
	v_dual_fmac_f32 v231, v191, v24 :: v_dual_mul_f32 v238, v204, v153
	v_mul_f32_e32 v239, v206, v155
	v_fma_f32 v5, v180, v14, -v5
	v_dual_fmac_f32 v225, v179, v12 :: v_dual_fmac_f32 v230, v189, v22
	v_dual_mul_f32 v240, v208, v157 :: v_dual_mul_f32 v241, v210, v159
	s_delay_alu instid0(VALU_DEP_3) | instskip(SKIP_2) | instid1(VALU_DEP_3)
	v_add_f32_e32 v2, v2, v5
	v_mul_f32_e32 v5, v187, v21
	v_dual_fmac_f32 v233, v195, v30 :: v_dual_fmac_f32 v234, v197, v144
	v_dual_fmac_f32 v239, v207, v154 :: v_dual_add_f32 v2, v2, v4
	s_delay_alu instid0(VALU_DEP_3) | instskip(SKIP_4) | instid1(VALU_DEP_4)
	v_fma_f32 v5, v186, v20, -v5
	v_mul_f32_e32 v3, v185, v19
	v_mul_f32_e32 v4, v189, v23
	v_dual_mul_f32 v243, v214, v163 :: v_dual_mul_f32 v244, v216, v165
	v_fmac_f32_e32 v232, v193, v28
	v_fma_f32 v3, v184, v18, -v3
	v_add_f32_e32 v1, v1, v224
	v_fma_f32 v4, v188, v22, -v4
	v_dual_fmac_f32 v237, v203, v150 :: v_dual_fmac_f32 v240, v209, v156
	s_delay_alu instid0(VALU_DEP_4) | instskip(SKIP_2) | instid1(VALU_DEP_3)
	v_dual_add_f32 v2, v2, v3 :: v_dual_mul_f32 v3, v191, v25
	v_fmac_f32_e32 v243, v215, v162
	v_dual_fmac_f32 v245, v219, v166 :: v_dual_fmac_f32 v236, v201, v148
	v_add_f32_e32 v2, v2, v5
	v_add_f32_e32 v1, v1, v225
	v_fma_f32 v3, v190, v24, -v3
	v_fmac_f32_e32 v238, v205, v152
	v_fmac_f32_e32 v242, v213, v160
	s_delay_alu instid0(VALU_DEP_4) | instskip(SKIP_3) | instid1(VALU_DEP_4)
	v_dual_add_f32 v2, v2, v4 :: v_dual_add_f32 v1, v1, v226
	v_mul_f32_e32 v4, v195, v31
	v_fmac_f32_e32 v229, v187, v20
	v_fmac_f32_e32 v244, v217, v164
	v_dual_add_f32 v2, v2, v3 :: v_dual_mul_f32 v3, v197, v145
	s_delay_alu instid0(VALU_DEP_4) | instskip(SKIP_1) | instid1(VALU_DEP_3)
	v_fma_f32 v4, v194, v30, -v4
	v_mul_f32_e32 v5, v193, v29
	v_fma_f32 v3, v196, v144, -v3
	s_delay_alu instid0(VALU_DEP_2) | instskip(NEXT) | instid1(VALU_DEP_1)
	v_fma_f32 v5, v192, v28, -v5
	v_dual_add_f32 v1, v1, v227 :: v_dual_add_f32 v2, v2, v5
	s_delay_alu instid0(VALU_DEP_1) | instskip(NEXT) | instid1(VALU_DEP_2)
	v_dual_mul_f32 v5, v199, v147 :: v_dual_add_f32 v2, v2, v4
	v_add_f32_e32 v1, v1, v228
	v_mul_f32_e32 v4, v201, v149
	s_delay_alu instid0(VALU_DEP_3) | instskip(NEXT) | instid1(VALU_DEP_4)
	v_fma_f32 v5, v198, v146, -v5
	v_dual_add_f32 v2, v2, v3 :: v_dual_fmac_f32 v235, v199, v146
	v_mul_f32_e32 v3, v203, v151
	s_delay_alu instid0(VALU_DEP_4) | instskip(NEXT) | instid1(VALU_DEP_3)
	v_fma_f32 v4, v200, v148, -v4
	v_add_f32_e32 v2, v2, v5
	v_add_f32_e32 v1, v1, v229
	s_delay_alu instid0(VALU_DEP_4) | instskip(NEXT) | instid1(VALU_DEP_3)
	v_fma_f32 v3, v202, v150, -v3
	v_dual_add_f32 v2, v2, v4 :: v_dual_mul_f32 v5, v205, v153
	s_delay_alu instid0(VALU_DEP_3) | instskip(NEXT) | instid1(VALU_DEP_2)
	v_dual_add_f32 v1, v1, v230 :: v_dual_mul_f32 v4, v207, v155
	v_add_f32_e32 v2, v2, v3
	s_delay_alu instid0(VALU_DEP_3) | instskip(NEXT) | instid1(VALU_DEP_3)
	v_fma_f32 v5, v204, v152, -v5
	v_add_f32_e32 v1, v1, v231
	v_mul_f32_e32 v3, v209, v157
	v_fma_f32 v4, v206, v154, -v4
	s_delay_alu instid0(VALU_DEP_4) | instskip(NEXT) | instid1(VALU_DEP_3)
	v_dual_add_f32 v2, v2, v5 :: v_dual_mul_f32 v5, v211, v159
	v_fma_f32 v3, v208, v156, -v3
	s_delay_alu instid0(VALU_DEP_2) | instskip(SKIP_3) | instid1(VALU_DEP_4)
	v_add_f32_e32 v2, v2, v4
	v_add_f32_e32 v1, v1, v232
	v_mul_f32_e32 v4, v213, v161
	v_fma_f32 v5, v210, v158, -v5
	v_dual_add_f32 v2, v2, v3 :: v_dual_fmac_f32 v241, v211, v158
	v_mul_f32_e32 v3, v215, v163
	s_delay_alu instid0(VALU_DEP_4) | instskip(NEXT) | instid1(VALU_DEP_3)
	v_fma_f32 v4, v212, v160, -v4
	v_add_f32_e32 v2, v2, v5
	v_add_f32_e32 v1, v1, v233
	s_delay_alu instid0(VALU_DEP_4) | instskip(NEXT) | instid1(VALU_DEP_2)
	v_fma_f32 v3, v214, v162, -v3
	v_dual_add_f32 v2, v2, v4 :: v_dual_add_f32 v1, v1, v234
	v_dual_mul_f32 v4, v219, v167 :: v_dual_mul_f32 v5, v217, v165
	s_delay_alu instid0(VALU_DEP_2) | instskip(NEXT) | instid1(VALU_DEP_2)
	v_add_f32_e32 v2, v2, v3
	v_fma_f32 v3, v218, v166, -v4
	s_delay_alu instid0(VALU_DEP_3) | instskip(NEXT) | instid1(VALU_DEP_1)
	v_fma_f32 v5, v216, v164, -v5
	v_dual_add_f32 v1, v1, v235 :: v_dual_add_f32 v2, v2, v5
	s_delay_alu instid0(VALU_DEP_1) | instskip(NEXT) | instid1(VALU_DEP_1)
	v_dual_add_f32 v1, v1, v236 :: v_dual_add_f32 v2, v2, v3
	v_add_f32_e32 v1, v1, v237
	s_delay_alu instid0(VALU_DEP_1) | instskip(NEXT) | instid1(VALU_DEP_1)
	v_add_f32_e32 v1, v1, v238
	v_add_f32_e32 v1, v1, v239
	s_delay_alu instid0(VALU_DEP_1) | instskip(NEXT) | instid1(VALU_DEP_1)
	v_add_f32_e32 v1, v1, v240
	;; [unrolled: 3-line block ×4, first 2 shown]
	v_add_f32_e32 v3, v1, v245
	s_wait_loadcnt 0x0
	s_delay_alu instid0(VALU_DEP_1)
	v_dual_sub_f32 v1, v220, v2 :: v_dual_sub_f32 v2, v221, v3
	scratch_store_b64 off, v[1:2], off offset:232
	v_cmpx_lt_u32_e32 28, v0
	s_cbranch_execz .LBB55_293
; %bb.292:
	scratch_load_b64 v[1:2], off, off offset:224
	v_mov_b32_e32 v3, 0
	s_delay_alu instid0(VALU_DEP_1)
	v_mov_b32_e32 v4, v3
	scratch_store_b64 off, v[3:4], off offset:224
	s_wait_loadcnt 0x0
	ds_store_b64 v27, v[1:2]
.LBB55_293:
	s_wait_alu 0xfffe
	s_or_b32 exec_lo, exec_lo, s0
	s_wait_storecnt_dscnt 0x0
	s_barrier_signal -1
	s_barrier_wait -1
	global_inv scope:SCOPE_SE
	s_clause 0xe
	scratch_load_b128 v[2:5], off, off offset:232
	scratch_load_b128 v[6:9], off, off offset:248
	;; [unrolled: 1-line block ×13, first 2 shown]
	scratch_load_b64 v[220:221], off, off offset:440
	scratch_load_b64 v[222:223], off, off offset:224
	v_mov_b32_e32 v1, 0
	ds_load_2addr_b64 v[168:171], v1 offset0:85 offset1:86
	ds_load_2addr_b64 v[172:175], v1 offset0:87 offset1:88
	;; [unrolled: 1-line block ×13, first 2 shown]
	ds_load_b64 v[224:225], v1 offset:888
	s_mov_b32 s0, exec_lo
	s_wait_loadcnt_dscnt 0xe0d
	v_mul_f32_e32 v26, v168, v3
	v_dual_mul_f32 v3, v169, v3 :: v_dual_mul_f32 v226, v170, v5
	s_wait_loadcnt_dscnt 0xd0c
	v_mul_f32_e32 v227, v172, v7
	v_mul_f32_e32 v5, v171, v5
	s_wait_loadcnt_dscnt 0x908
	v_mul_f32_e32 v236, v190, v25
	v_fma_f32 v3, v168, v2, -v3
	v_dual_mul_f32 v228, v174, v9 :: v_dual_mul_f32 v229, v176, v11
	v_fmac_f32_e32 v26, v169, v2
	v_mul_f32_e32 v2, v173, v7
	s_delay_alu instid0(VALU_DEP_4)
	v_dual_fmac_f32 v226, v171, v4 :: v_dual_add_f32 v3, 0, v3
	s_wait_loadcnt_dscnt 0x100
	v_mul_f32_e32 v251, v224, v221
	v_fma_f32 v4, v170, v4, -v5
	v_dual_add_f32 v5, 0, v26 :: v_dual_fmac_f32 v228, v175, v8
	v_mul_f32_e32 v7, v175, v9
	v_fma_f32 v2, v172, v6, -v2
	s_delay_alu instid0(VALU_DEP_4)
	v_add_f32_e32 v3, v3, v4
	v_fmac_f32_e32 v227, v173, v6
	v_add_f32_e32 v4, v5, v226
	v_mul_f32_e32 v5, v177, v11
	v_fma_f32 v6, v174, v8, -v7
	v_add_f32_e32 v2, v3, v2
	v_dual_mul_f32 v230, v178, v13 :: v_dual_mul_f32 v231, v180, v15
	v_dual_add_f32 v3, v4, v227 :: v_dual_mul_f32 v4, v179, v13
	v_fma_f32 v5, v176, v10, -v5
	s_delay_alu instid0(VALU_DEP_4)
	v_add_f32_e32 v2, v2, v6
	v_fmac_f32_e32 v229, v177, v10
	v_mul_f32_e32 v6, v181, v15
	v_fmac_f32_e32 v230, v179, v12
	v_add_f32_e32 v3, v3, v228
	v_fma_f32 v4, v178, v12, -v4
	v_add_f32_e32 v2, v2, v5
	v_dual_mul_f32 v232, v182, v17 :: v_dual_mul_f32 v233, v184, v19
	s_delay_alu instid0(VALU_DEP_4)
	v_add_f32_e32 v3, v3, v229
	v_mul_f32_e32 v5, v183, v17
	v_fma_f32 v6, v180, v14, -v6
	v_dual_add_f32 v2, v2, v4 :: v_dual_fmac_f32 v231, v181, v14
	v_fmac_f32_e32 v232, v183, v16
	v_mul_f32_e32 v4, v185, v19
	v_fma_f32 v5, v182, v16, -v5
	s_delay_alu instid0(VALU_DEP_4) | instskip(SKIP_3) | instid1(VALU_DEP_3)
	v_add_f32_e32 v2, v2, v6
	v_add_f32_e32 v3, v3, v230
	v_dual_mul_f32 v6, v187, v21 :: v_dual_fmac_f32 v233, v185, v18
	v_fma_f32 v4, v184, v18, -v4
	v_dual_add_f32 v2, v2, v5 :: v_dual_add_f32 v3, v3, v231
	v_dual_mul_f32 v234, v186, v21 :: v_dual_mul_f32 v235, v188, v23
	v_mul_f32_e32 v5, v189, v23
	v_fma_f32 v6, v186, v20, -v6
	s_delay_alu instid0(VALU_DEP_4) | instskip(SKIP_4) | instid1(VALU_DEP_4)
	v_add_f32_e32 v2, v2, v4
	v_add_f32_e32 v3, v3, v232
	v_fmac_f32_e32 v234, v187, v20
	v_dual_mul_f32 v4, v191, v25 :: v_dual_fmac_f32 v235, v189, v22
	v_fma_f32 v5, v188, v22, -v5
	v_dual_add_f32 v2, v2, v6 :: v_dual_add_f32 v3, v3, v233
	v_mul_f32_e32 v6, v193, v29
	s_delay_alu instid0(VALU_DEP_4) | instskip(SKIP_1) | instid1(VALU_DEP_4)
	v_fma_f32 v4, v190, v24, -v4
	v_dual_mul_f32 v237, v192, v29 :: v_dual_mul_f32 v238, v194, v31
	v_dual_add_f32 v3, v3, v234 :: v_dual_add_f32 v2, v2, v5
	s_delay_alu instid0(VALU_DEP_4) | instskip(SKIP_1) | instid1(VALU_DEP_4)
	v_fma_f32 v6, v192, v28, -v6
	v_fmac_f32_e32 v236, v191, v24
	v_dual_fmac_f32 v237, v193, v28 :: v_dual_fmac_f32 v238, v195, v30
	s_delay_alu instid0(VALU_DEP_4) | instskip(SKIP_3) | instid1(VALU_DEP_3)
	v_add_f32_e32 v3, v3, v235
	v_dual_mul_f32 v5, v195, v31 :: v_dual_add_f32 v2, v2, v4
	v_dual_mul_f32 v239, v196, v145 :: v_dual_mul_f32 v240, v198, v147
	v_mul_f32_e32 v4, v197, v145
	v_fma_f32 v5, v194, v30, -v5
	s_delay_alu instid0(VALU_DEP_4) | instskip(NEXT) | instid1(VALU_DEP_4)
	v_add_f32_e32 v2, v2, v6
	v_dual_mul_f32 v6, v199, v147 :: v_dual_fmac_f32 v239, v197, v144
	s_delay_alu instid0(VALU_DEP_4) | instskip(SKIP_1) | instid1(VALU_DEP_4)
	v_fma_f32 v4, v196, v144, -v4
	v_dual_mul_f32 v241, v200, v149 :: v_dual_mul_f32 v242, v202, v151
	v_add_f32_e32 v2, v2, v5
	v_mul_f32_e32 v5, v201, v149
	v_add_f32_e32 v3, v3, v236
	s_delay_alu instid0(VALU_DEP_4) | instskip(SKIP_2) | instid1(VALU_DEP_4)
	v_dual_fmac_f32 v240, v199, v146 :: v_dual_fmac_f32 v241, v201, v148
	v_fma_f32 v6, v198, v146, -v6
	v_dual_mul_f32 v243, v204, v153 :: v_dual_mul_f32 v244, v206, v155
	v_add_f32_e32 v3, v3, v237
	v_dual_mul_f32 v245, v208, v157 :: v_dual_mul_f32 v246, v210, v159
	v_fma_f32 v5, v200, v148, -v5
	v_fmac_f32_e32 v242, v203, v150
	s_delay_alu instid0(VALU_DEP_4) | instskip(SKIP_2) | instid1(VALU_DEP_3)
	v_dual_add_f32 v3, v3, v238 :: v_dual_add_f32 v2, v2, v4
	v_dual_mul_f32 v4, v203, v151 :: v_dual_fmac_f32 v243, v205, v152
	v_fmac_f32_e32 v245, v209, v156
	v_dual_add_f32 v3, v3, v239 :: v_dual_add_f32 v2, v2, v6
	v_mul_f32_e32 v6, v205, v153
	s_delay_alu instid0(VALU_DEP_4) | instskip(SKIP_1) | instid1(VALU_DEP_4)
	v_fma_f32 v4, v202, v150, -v4
	v_dual_mul_f32 v249, v216, v165 :: v_dual_mul_f32 v250, v218, v167
	v_add_f32_e32 v3, v3, v240
	v_dual_fmac_f32 v244, v207, v154 :: v_dual_mul_f32 v247, v212, v161
	v_mul_f32_e32 v248, v214, v163
	s_delay_alu instid0(VALU_DEP_4) | instskip(NEXT) | instid1(VALU_DEP_4)
	v_dual_fmac_f32 v246, v211, v158 :: v_dual_fmac_f32 v249, v217, v164
	v_add_f32_e32 v3, v3, v241
	v_dual_add_f32 v2, v2, v5 :: v_dual_mul_f32 v5, v207, v155
	v_fma_f32 v6, v204, v152, -v6
	v_fmac_f32_e32 v247, v213, v160
	s_delay_alu instid0(VALU_DEP_3) | instskip(SKIP_3) | instid1(VALU_DEP_4)
	v_dual_add_f32 v3, v3, v242 :: v_dual_add_f32 v2, v2, v4
	v_mul_f32_e32 v4, v209, v157
	v_fma_f32 v5, v206, v154, -v5
	v_fmac_f32_e32 v248, v215, v162
	v_dual_add_f32 v3, v3, v243 :: v_dual_add_f32 v2, v2, v6
	v_mul_f32_e32 v6, v211, v159
	v_fma_f32 v4, v208, v156, -v4
	v_dual_fmac_f32 v251, v225, v220 :: v_dual_fmac_f32 v250, v219, v166
	s_delay_alu instid0(VALU_DEP_4) | instskip(SKIP_3) | instid1(VALU_DEP_3)
	v_add_f32_e32 v2, v2, v5
	v_mul_f32_e32 v5, v213, v161
	v_add_f32_e32 v3, v3, v244
	v_fma_f32 v6, v210, v158, -v6
	v_fma_f32 v5, v212, v160, -v5
	s_delay_alu instid0(VALU_DEP_3) | instskip(NEXT) | instid1(VALU_DEP_1)
	v_add_f32_e32 v3, v3, v245
	v_dual_add_f32 v3, v3, v246 :: v_dual_add_f32 v2, v2, v4
	v_mul_f32_e32 v4, v215, v163
	s_delay_alu instid0(VALU_DEP_2) | instskip(SKIP_1) | instid1(VALU_DEP_3)
	v_dual_add_f32 v3, v3, v247 :: v_dual_add_f32 v2, v2, v6
	v_mul_f32_e32 v6, v217, v165
	v_fma_f32 v4, v214, v162, -v4
	s_delay_alu instid0(VALU_DEP_3) | instskip(SKIP_1) | instid1(VALU_DEP_4)
	v_dual_add_f32 v3, v3, v248 :: v_dual_add_f32 v2, v2, v5
	v_mul_f32_e32 v5, v219, v167
	v_fma_f32 v6, v216, v164, -v6
	s_delay_alu instid0(VALU_DEP_3) | instskip(SKIP_1) | instid1(VALU_DEP_4)
	v_dual_add_f32 v3, v3, v249 :: v_dual_add_f32 v2, v2, v4
	v_mul_f32_e32 v4, v225, v221
	v_fma_f32 v5, v218, v166, -v5
	s_delay_alu instid0(VALU_DEP_3) | instskip(NEXT) | instid1(VALU_DEP_4)
	v_add_f32_e32 v3, v3, v250
	v_add_f32_e32 v2, v2, v6
	s_delay_alu instid0(VALU_DEP_4) | instskip(NEXT) | instid1(VALU_DEP_2)
	v_fma_f32 v4, v224, v220, -v4
	v_dual_add_f32 v3, v3, v251 :: v_dual_add_f32 v2, v2, v5
	s_wait_loadcnt 0x0
	s_delay_alu instid0(VALU_DEP_1) | instskip(NEXT) | instid1(VALU_DEP_1)
	v_dual_sub_f32 v3, v223, v3 :: v_dual_add_f32 v2, v2, v4
	v_sub_f32_e32 v2, v222, v2
	scratch_store_b64 off, v[2:3], off offset:224
	v_cmpx_lt_u32_e32 27, v0
	s_cbranch_execz .LBB55_295
; %bb.294:
	scratch_load_b64 v[3:4], off, off offset:216
	v_mov_b32_e32 v2, v1
	scratch_store_b64 off, v[1:2], off offset:216
	s_wait_loadcnt 0x0
	ds_store_b64 v27, v[3:4]
.LBB55_295:
	s_wait_alu 0xfffe
	s_or_b32 exec_lo, exec_lo, s0
	s_wait_storecnt_dscnt 0x0
	s_barrier_signal -1
	s_barrier_wait -1
	global_inv scope:SCOPE_SE
	s_clause 0x4
	scratch_load_b128 v[2:5], off, off offset:224
	scratch_load_b128 v[6:9], off, off offset:240
	;; [unrolled: 1-line block ×5, first 2 shown]
	ds_load_b128 v[22:25], v1 offset:672
	ds_load_b128 v[28:31], v1 offset:688
	;; [unrolled: 1-line block ×3, first 2 shown]
	scratch_load_b64 v[148:149], off, off offset:216
	s_mov_b32 s0, exec_lo
	s_wait_loadcnt_dscnt 0x502
	v_dual_mul_f32 v26, v23, v3 :: v_dual_mul_f32 v151, v24, v5
	v_dual_mul_f32 v150, v22, v3 :: v_dual_mul_f32 v3, v25, v5
	s_wait_loadcnt_dscnt 0x300
	v_mul_f32_e32 v152, v146, v13
	s_delay_alu instid0(VALU_DEP_3) | instskip(NEXT) | instid1(VALU_DEP_3)
	v_fma_f32 v22, v22, v2, -v26
	v_dual_fmac_f32 v151, v25, v4 :: v_dual_fmac_f32 v150, v23, v2
	v_fma_f32 v23, v24, v4, -v3
	ds_load_b128 v[2:5], v1 offset:720
	v_dual_mul_f32 v24, v28, v7 :: v_dual_mul_f32 v25, v30, v9
	v_mul_f32_e32 v7, v29, v7
	v_dual_mul_f32 v9, v31, v9 :: v_dual_mul_f32 v26, v144, v11
	v_dual_mul_f32 v11, v145, v11 :: v_dual_fmac_f32 v152, v147, v12
	s_delay_alu instid0(VALU_DEP_4) | instskip(SKIP_1) | instid1(VALU_DEP_4)
	v_dual_mul_f32 v13, v147, v13 :: v_dual_fmac_f32 v24, v29, v6
	v_fmac_f32_e32 v25, v31, v8
	v_fma_f32 v29, v30, v8, -v9
	v_fmac_f32_e32 v26, v145, v10
	v_fma_f32 v30, v144, v10, -v11
	v_fma_f32 v31, v146, v12, -v13
	ds_load_b128 v[10:13], v1 offset:736
	v_fma_f32 v28, v28, v6, -v7
	scratch_load_b128 v[6:9], off, off offset:304
	s_wait_loadcnt_dscnt 0x301
	v_dual_mul_f32 v144, v2, v15 :: v_dual_mul_f32 v145, v4, v17
	v_mul_f32_e32 v15, v3, v15
	s_delay_alu instid0(VALU_DEP_2) | instskip(NEXT) | instid1(VALU_DEP_3)
	v_dual_mul_f32 v17, v5, v17 :: v_dual_fmac_f32 v144, v3, v14
	v_fmac_f32_e32 v145, v5, v16
	s_delay_alu instid0(VALU_DEP_3) | instskip(NEXT) | instid1(VALU_DEP_3)
	v_fma_f32 v14, v2, v14, -v15
	v_fma_f32 v15, v4, v16, -v17
	ds_load_b128 v[2:5], v1 offset:752
	s_wait_loadcnt_dscnt 0x201
	v_mul_f32_e32 v16, v10, v19
	v_mul_f32_e32 v17, v11, v19
	;; [unrolled: 1-line block ×3, first 2 shown]
	s_delay_alu instid0(VALU_DEP_3) | instskip(NEXT) | instid1(VALU_DEP_3)
	v_dual_mul_f32 v21, v13, v21 :: v_dual_fmac_f32 v16, v11, v18
	v_fma_f32 v17, v10, v18, -v17
	s_delay_alu instid0(VALU_DEP_3) | instskip(NEXT) | instid1(VALU_DEP_3)
	v_fmac_f32_e32 v19, v13, v20
	v_fma_f32 v18, v12, v20, -v21
	scratch_load_b128 v[10:13], off, off offset:320
	s_wait_loadcnt_dscnt 0x100
	v_mul_f32_e32 v20, v2, v7
	v_mul_f32_e32 v7, v3, v7
	;; [unrolled: 1-line block ×3, first 2 shown]
	s_delay_alu instid0(VALU_DEP_3) | instskip(NEXT) | instid1(VALU_DEP_3)
	v_dual_mul_f32 v9, v5, v9 :: v_dual_fmac_f32 v20, v3, v6
	v_fma_f32 v146, v2, v6, -v7
	s_delay_alu instid0(VALU_DEP_3) | instskip(NEXT) | instid1(VALU_DEP_3)
	v_fmac_f32_e32 v21, v5, v8
	v_fma_f32 v147, v4, v8, -v9
	ds_load_b128 v[2:5], v1 offset:768
	ds_load_b128 v[6:9], v1 offset:784
	s_wait_loadcnt_dscnt 0x1
	v_mul_f32_e32 v153, v2, v11
	v_dual_mul_f32 v11, v3, v11 :: v_dual_mul_f32 v154, v4, v13
	s_delay_alu instid0(VALU_DEP_2) | instskip(NEXT) | instid1(VALU_DEP_2)
	v_fmac_f32_e32 v153, v3, v10
	v_fma_f32 v155, v2, v10, -v11
	v_mul_f32_e32 v2, v5, v13
	s_delay_alu instid0(VALU_DEP_4) | instskip(NEXT) | instid1(VALU_DEP_2)
	v_fmac_f32_e32 v154, v5, v12
	v_fma_f32 v156, v4, v12, -v2
	s_clause 0x1
	scratch_load_b128 v[2:5], off, off offset:336
	scratch_load_b128 v[10:13], off, off offset:352
	s_wait_loadcnt_dscnt 0x100
	v_mul_f32_e32 v157, v6, v3
	v_mul_f32_e32 v3, v7, v3
	;; [unrolled: 1-line block ×3, first 2 shown]
	s_delay_alu instid0(VALU_DEP_3) | instskip(NEXT) | instid1(VALU_DEP_3)
	v_fmac_f32_e32 v157, v7, v2
	v_fma_f32 v158, v6, v2, -v3
	v_mul_f32_e32 v2, v9, v5
	s_delay_alu instid0(VALU_DEP_4) | instskip(NEXT) | instid1(VALU_DEP_2)
	v_fmac_f32_e32 v159, v9, v4
	v_fma_f32 v160, v8, v4, -v2
	ds_load_b128 v[2:5], v1 offset:800
	ds_load_b128 v[6:9], v1 offset:816
	s_wait_loadcnt_dscnt 0x1
	v_mul_f32_e32 v161, v2, v11
	v_mul_f32_e32 v163, v4, v13
	s_delay_alu instid0(VALU_DEP_2) | instskip(SKIP_1) | instid1(VALU_DEP_3)
	v_fmac_f32_e32 v161, v3, v10
	v_mul_f32_e32 v3, v3, v11
	v_fmac_f32_e32 v163, v5, v12
	s_delay_alu instid0(VALU_DEP_2) | instskip(SKIP_1) | instid1(VALU_DEP_1)
	v_fma_f32 v162, v2, v10, -v3
	v_mul_f32_e32 v2, v5, v13
	v_fma_f32 v164, v4, v12, -v2
	s_clause 0x1
	scratch_load_b128 v[2:5], off, off offset:368
	scratch_load_b128 v[10:13], off, off offset:384
	s_wait_loadcnt_dscnt 0x100
	v_mul_f32_e32 v165, v6, v3
	v_mul_f32_e32 v3, v7, v3
	s_delay_alu instid0(VALU_DEP_2) | instskip(NEXT) | instid1(VALU_DEP_2)
	v_fmac_f32_e32 v165, v7, v2
	v_fma_f32 v166, v6, v2, -v3
	v_dual_mul_f32 v2, v9, v5 :: v_dual_add_f32 v3, 0, v150
	s_delay_alu instid0(VALU_DEP_1) | instskip(NEXT) | instid1(VALU_DEP_2)
	v_fma_f32 v168, v8, v4, -v2
	v_dual_add_f32 v2, 0, v22 :: v_dual_add_f32 v3, v3, v151
	s_delay_alu instid0(VALU_DEP_1) | instskip(NEXT) | instid1(VALU_DEP_1)
	v_dual_add_f32 v2, v2, v23 :: v_dual_add_f32 v3, v3, v24
	v_dual_add_f32 v2, v2, v28 :: v_dual_add_f32 v3, v3, v25
	s_delay_alu instid0(VALU_DEP_1) | instskip(NEXT) | instid1(VALU_DEP_2)
	v_add_f32_e32 v2, v2, v29
	v_add_f32_e32 v6, v3, v26
	s_delay_alu instid0(VALU_DEP_2) | instskip(NEXT) | instid1(VALU_DEP_2)
	v_add_f32_e32 v2, v2, v30
	v_add_f32_e32 v6, v6, v152
	s_delay_alu instid0(VALU_DEP_2) | instskip(NEXT) | instid1(VALU_DEP_1)
	v_add_f32_e32 v7, v2, v31
	v_dual_add_f32 v6, v6, v144 :: v_dual_add_f32 v7, v7, v14
	s_delay_alu instid0(VALU_DEP_1) | instskip(NEXT) | instid1(VALU_DEP_1)
	v_dual_add_f32 v14, v7, v15 :: v_dual_add_f32 v15, v6, v145
	v_dual_add_f32 v14, v14, v17 :: v_dual_add_f32 v15, v15, v16
	s_delay_alu instid0(VALU_DEP_1) | instskip(NEXT) | instid1(VALU_DEP_1)
	v_dual_add_f32 v14, v14, v18 :: v_dual_add_f32 v15, v15, v19
	v_dual_mul_f32 v167, v8, v5 :: v_dual_add_f32 v14, v14, v146
	s_delay_alu instid0(VALU_DEP_2) | instskip(NEXT) | instid1(VALU_DEP_2)
	v_add_f32_e32 v18, v15, v20
	v_fmac_f32_e32 v167, v9, v4
	ds_load_b128 v[2:5], v1 offset:832
	ds_load_b128 v[6:9], v1 offset:848
	v_add_f32_e32 v19, v14, v147
	scratch_load_b128 v[14:17], off, off offset:432
	v_dual_add_f32 v18, v18, v21 :: v_dual_add_f32 v19, v19, v155
	s_delay_alu instid0(VALU_DEP_1) | instskip(NEXT) | instid1(VALU_DEP_1)
	v_dual_add_f32 v18, v18, v153 :: v_dual_add_f32 v19, v19, v156
	v_add_f32_e32 v18, v18, v154
	s_delay_alu instid0(VALU_DEP_1)
	v_dual_add_f32 v22, v19, v158 :: v_dual_add_f32 v23, v18, v157
	ds_load_b128 v[18:21], v1 offset:864
	s_wait_loadcnt_dscnt 0x102
	v_dual_mul_f32 v28, v4, v13 :: v_dual_add_f32 v31, v22, v160
	v_mul_f32_e32 v26, v2, v11
	v_add_f32_e32 v144, v23, v159
	ds_load_b128 v[22:25], v1 offset:880
	v_dual_fmac_f32 v28, v5, v12 :: v_dual_add_f32 v1, v31, v162
	v_dual_fmac_f32 v26, v3, v10 :: v_dual_add_f32 v31, v144, v161
	s_wait_loadcnt_dscnt 0x0
	s_delay_alu instid0(VALU_DEP_2) | instskip(NEXT) | instid1(VALU_DEP_1)
	v_dual_mul_f32 v150, v22, v15 :: v_dual_add_f32 v1, v1, v164
	v_fmac_f32_e32 v150, v23, v14
	s_delay_alu instid0(VALU_DEP_3) | instskip(NEXT) | instid1(VALU_DEP_3)
	v_add_f32_e32 v31, v31, v163
	v_add_f32_e32 v1, v1, v166
	s_delay_alu instid0(VALU_DEP_2) | instskip(NEXT) | instid1(VALU_DEP_2)
	v_add_f32_e32 v31, v31, v165
	v_add_f32_e32 v1, v1, v168
	s_delay_alu instid0(VALU_DEP_2) | instskip(NEXT) | instid1(VALU_DEP_1)
	v_add_f32_e32 v31, v31, v167
	v_dual_mul_f32 v13, v5, v13 :: v_dual_add_f32 v26, v31, v26
	v_mul_f32_e32 v11, v3, v11
	s_delay_alu instid0(VALU_DEP_2) | instskip(NEXT) | instid1(VALU_DEP_2)
	v_fma_f32 v30, v4, v12, -v13
	v_fma_f32 v29, v2, v10, -v11
	s_clause 0x1
	scratch_load_b128 v[2:5], off, off offset:400
	scratch_load_b128 v[10:13], off, off offset:416
	v_add_f32_e32 v1, v1, v29
	v_mul_f32_e32 v29, v24, v17
	s_delay_alu instid0(VALU_DEP_2) | instskip(SKIP_1) | instid1(VALU_DEP_2)
	v_add_f32_e32 v1, v1, v30
	s_wait_loadcnt 0x1
	v_dual_fmac_f32 v29, v25, v16 :: v_dual_mul_f32 v144, v6, v3
	v_mul_f32_e32 v3, v7, v3
	v_mul_f32_e32 v145, v8, v5
	s_wait_loadcnt 0x0
	v_dual_mul_f32 v5, v9, v5 :: v_dual_mul_f32 v146, v18, v11
	v_fmac_f32_e32 v144, v7, v2
	v_fma_f32 v3, v6, v2, -v3
	v_add_f32_e32 v2, v26, v28
	v_dual_mul_f32 v6, v19, v11 :: v_dual_fmac_f32 v145, v9, v4
	v_fma_f32 v4, v8, v4, -v5
	s_delay_alu instid0(VALU_DEP_3) | instskip(SKIP_3) | instid1(VALU_DEP_4)
	v_dual_add_f32 v1, v1, v3 :: v_dual_add_f32 v2, v2, v144
	v_mul_f32_e32 v147, v20, v13
	v_dual_mul_f32 v3, v21, v13 :: v_dual_fmac_f32 v146, v19, v10
	v_fma_f32 v5, v18, v10, -v6
	v_dual_add_f32 v1, v1, v4 :: v_dual_add_f32 v2, v2, v145
	s_delay_alu instid0(VALU_DEP_4) | instskip(NEXT) | instid1(VALU_DEP_4)
	v_dual_mul_f32 v4, v23, v15 :: v_dual_fmac_f32 v147, v21, v12
	v_fma_f32 v3, v20, v12, -v3
	s_delay_alu instid0(VALU_DEP_3) | instskip(SKIP_1) | instid1(VALU_DEP_4)
	v_dual_add_f32 v1, v1, v5 :: v_dual_add_f32 v2, v2, v146
	v_mul_f32_e32 v5, v25, v17
	v_fma_f32 v4, v22, v14, -v4
	s_delay_alu instid0(VALU_DEP_3) | instskip(NEXT) | instid1(VALU_DEP_4)
	v_add_f32_e32 v1, v1, v3
	v_add_f32_e32 v2, v2, v147
	s_delay_alu instid0(VALU_DEP_4) | instskip(NEXT) | instid1(VALU_DEP_2)
	v_fma_f32 v3, v24, v16, -v5
	v_dual_add_f32 v1, v1, v4 :: v_dual_add_f32 v2, v2, v150
	s_delay_alu instid0(VALU_DEP_1) | instskip(NEXT) | instid1(VALU_DEP_1)
	v_dual_add_f32 v1, v1, v3 :: v_dual_add_f32 v2, v2, v29
	v_dual_sub_f32 v1, v148, v1 :: v_dual_sub_f32 v2, v149, v2
	scratch_store_b64 off, v[1:2], off offset:216
	v_cmpx_lt_u32_e32 26, v0
	s_cbranch_execz .LBB55_297
; %bb.296:
	scratch_load_b64 v[1:2], off, off offset:208
	v_mov_b32_e32 v3, 0
	s_delay_alu instid0(VALU_DEP_1)
	v_mov_b32_e32 v4, v3
	scratch_store_b64 off, v[3:4], off offset:208
	s_wait_loadcnt 0x0
	ds_store_b64 v27, v[1:2]
.LBB55_297:
	s_wait_alu 0xfffe
	s_or_b32 exec_lo, exec_lo, s0
	s_wait_storecnt_dscnt 0x0
	s_barrier_signal -1
	s_barrier_wait -1
	global_inv scope:SCOPE_SE
	s_clause 0x4
	scratch_load_b128 v[2:5], off, off offset:216
	scratch_load_b128 v[6:9], off, off offset:232
	;; [unrolled: 1-line block ×5, first 2 shown]
	v_mov_b32_e32 v1, 0
	ds_load_2addr_b64 v[22:25], v1 offset0:83 offset1:84
	ds_load_2addr_b64 v[28:31], v1 offset0:85 offset1:86
	;; [unrolled: 1-line block ×3, first 2 shown]
	scratch_load_b64 v[148:149], off, off offset:208
	s_mov_b32 s0, exec_lo
	s_wait_loadcnt_dscnt 0x502
	v_mul_f32_e32 v26, v23, v3
	v_dual_mul_f32 v150, v22, v3 :: v_dual_mul_f32 v151, v24, v5
	v_mul_f32_e32 v3, v25, v5
	s_wait_loadcnt_dscnt 0x300
	v_mul_f32_e32 v152, v146, v13
	v_fma_f32 v22, v22, v2, -v26
	v_dual_fmac_f32 v150, v23, v2 :: v_dual_fmac_f32 v151, v25, v4
	v_fma_f32 v23, v24, v4, -v3
	ds_load_2addr_b64 v[2:5], v1 offset0:89 offset1:90
	v_mul_f32_e32 v24, v28, v7
	v_mul_f32_e32 v7, v29, v7
	v_dual_mul_f32 v25, v30, v9 :: v_dual_mul_f32 v26, v144, v11
	s_delay_alu instid0(VALU_DEP_3) | instskip(SKIP_2) | instid1(VALU_DEP_4)
	v_dual_mul_f32 v9, v31, v9 :: v_dual_fmac_f32 v24, v29, v6
	v_dual_mul_f32 v11, v145, v11 :: v_dual_fmac_f32 v152, v147, v12
	v_mul_f32_e32 v13, v147, v13
	v_dual_fmac_f32 v25, v31, v8 :: v_dual_fmac_f32 v26, v145, v10
	s_delay_alu instid0(VALU_DEP_4) | instskip(NEXT) | instid1(VALU_DEP_4)
	v_fma_f32 v29, v30, v8, -v9
	v_fma_f32 v30, v144, v10, -v11
	s_delay_alu instid0(VALU_DEP_4)
	v_fma_f32 v31, v146, v12, -v13
	ds_load_2addr_b64 v[10:13], v1 offset0:91 offset1:92
	v_fma_f32 v28, v28, v6, -v7
	scratch_load_b128 v[6:9], off, off offset:296
	s_wait_loadcnt_dscnt 0x301
	v_mul_f32_e32 v144, v2, v15
	v_mul_f32_e32 v15, v3, v15
	;; [unrolled: 1-line block ×3, first 2 shown]
	s_delay_alu instid0(VALU_DEP_3) | instskip(NEXT) | instid1(VALU_DEP_3)
	v_dual_mul_f32 v17, v5, v17 :: v_dual_fmac_f32 v144, v3, v14
	v_fma_f32 v14, v2, v14, -v15
	s_delay_alu instid0(VALU_DEP_3) | instskip(NEXT) | instid1(VALU_DEP_3)
	v_fmac_f32_e32 v145, v5, v16
	v_fma_f32 v15, v4, v16, -v17
	ds_load_2addr_b64 v[2:5], v1 offset0:93 offset1:94
	s_wait_loadcnt_dscnt 0x201
	v_mul_f32_e32 v16, v10, v19
	v_mul_f32_e32 v17, v11, v19
	;; [unrolled: 1-line block ×3, first 2 shown]
	s_delay_alu instid0(VALU_DEP_3) | instskip(NEXT) | instid1(VALU_DEP_3)
	v_dual_mul_f32 v21, v13, v21 :: v_dual_fmac_f32 v16, v11, v18
	v_fma_f32 v17, v10, v18, -v17
	s_delay_alu instid0(VALU_DEP_3) | instskip(NEXT) | instid1(VALU_DEP_3)
	v_fmac_f32_e32 v19, v13, v20
	v_fma_f32 v18, v12, v20, -v21
	scratch_load_b128 v[10:13], off, off offset:312
	s_wait_loadcnt_dscnt 0x100
	v_mul_f32_e32 v20, v2, v7
	v_mul_f32_e32 v7, v3, v7
	;; [unrolled: 1-line block ×3, first 2 shown]
	s_delay_alu instid0(VALU_DEP_3) | instskip(NEXT) | instid1(VALU_DEP_3)
	v_dual_mul_f32 v9, v5, v9 :: v_dual_fmac_f32 v20, v3, v6
	v_fma_f32 v146, v2, v6, -v7
	s_delay_alu instid0(VALU_DEP_3) | instskip(NEXT) | instid1(VALU_DEP_3)
	v_fmac_f32_e32 v21, v5, v8
	v_fma_f32 v147, v4, v8, -v9
	ds_load_2addr_b64 v[2:5], v1 offset0:95 offset1:96
	ds_load_2addr_b64 v[6:9], v1 offset0:97 offset1:98
	s_wait_loadcnt_dscnt 0x1
	v_mul_f32_e32 v153, v2, v11
	v_dual_mul_f32 v11, v3, v11 :: v_dual_mul_f32 v154, v4, v13
	s_delay_alu instid0(VALU_DEP_2) | instskip(NEXT) | instid1(VALU_DEP_2)
	v_fmac_f32_e32 v153, v3, v10
	v_fma_f32 v155, v2, v10, -v11
	v_mul_f32_e32 v2, v5, v13
	s_delay_alu instid0(VALU_DEP_4) | instskip(NEXT) | instid1(VALU_DEP_2)
	v_fmac_f32_e32 v154, v5, v12
	v_fma_f32 v156, v4, v12, -v2
	s_clause 0x1
	scratch_load_b128 v[2:5], off, off offset:328
	scratch_load_b128 v[10:13], off, off offset:344
	s_wait_loadcnt_dscnt 0x100
	v_mul_f32_e32 v157, v6, v3
	v_mul_f32_e32 v3, v7, v3
	;; [unrolled: 1-line block ×3, first 2 shown]
	s_delay_alu instid0(VALU_DEP_3) | instskip(NEXT) | instid1(VALU_DEP_3)
	v_fmac_f32_e32 v157, v7, v2
	v_fma_f32 v158, v6, v2, -v3
	v_mul_f32_e32 v2, v9, v5
	s_delay_alu instid0(VALU_DEP_4) | instskip(NEXT) | instid1(VALU_DEP_2)
	v_fmac_f32_e32 v159, v9, v4
	v_fma_f32 v160, v8, v4, -v2
	ds_load_2addr_b64 v[2:5], v1 offset0:99 offset1:100
	ds_load_2addr_b64 v[6:9], v1 offset0:101 offset1:102
	s_wait_loadcnt_dscnt 0x1
	v_mul_f32_e32 v161, v2, v11
	v_mul_f32_e32 v163, v4, v13
	s_delay_alu instid0(VALU_DEP_2) | instskip(SKIP_1) | instid1(VALU_DEP_3)
	v_fmac_f32_e32 v161, v3, v10
	v_mul_f32_e32 v3, v3, v11
	v_fmac_f32_e32 v163, v5, v12
	s_delay_alu instid0(VALU_DEP_2) | instskip(SKIP_1) | instid1(VALU_DEP_1)
	v_fma_f32 v162, v2, v10, -v3
	v_mul_f32_e32 v2, v5, v13
	v_fma_f32 v164, v4, v12, -v2
	s_clause 0x1
	scratch_load_b128 v[2:5], off, off offset:360
	scratch_load_b128 v[10:13], off, off offset:376
	s_wait_loadcnt_dscnt 0x100
	v_mul_f32_e32 v165, v6, v3
	v_mul_f32_e32 v3, v7, v3
	s_delay_alu instid0(VALU_DEP_2) | instskip(NEXT) | instid1(VALU_DEP_2)
	v_fmac_f32_e32 v165, v7, v2
	v_fma_f32 v166, v6, v2, -v3
	v_dual_mul_f32 v2, v9, v5 :: v_dual_add_f32 v3, 0, v150
	s_delay_alu instid0(VALU_DEP_1) | instskip(NEXT) | instid1(VALU_DEP_2)
	v_fma_f32 v168, v8, v4, -v2
	v_dual_add_f32 v2, 0, v22 :: v_dual_add_f32 v3, v3, v151
	s_delay_alu instid0(VALU_DEP_1) | instskip(NEXT) | instid1(VALU_DEP_1)
	v_add_f32_e32 v2, v2, v23
	v_add_f32_e32 v2, v2, v28
	s_delay_alu instid0(VALU_DEP_1) | instskip(SKIP_2) | instid1(VALU_DEP_1)
	v_add_f32_e32 v2, v2, v29
	scratch_load_b64 v[28:29], off, off offset:440
	v_add_f32_e32 v2, v2, v30
	v_add_f32_e32 v7, v2, v31
	s_delay_alu instid0(VALU_DEP_1) | instskip(NEXT) | instid1(VALU_DEP_1)
	v_add_f32_e32 v7, v7, v14
	v_add_f32_e32 v14, v7, v15
	s_delay_alu instid0(VALU_DEP_1) | instskip(NEXT) | instid1(VALU_DEP_1)
	v_dual_add_f32 v3, v3, v24 :: v_dual_add_f32 v14, v14, v17
	v_dual_add_f32 v3, v3, v25 :: v_dual_add_f32 v14, v14, v18
	s_delay_alu instid0(VALU_DEP_1) | instskip(NEXT) | instid1(VALU_DEP_2)
	v_add_f32_e32 v6, v3, v26
	v_add_f32_e32 v14, v14, v146
	s_delay_alu instid0(VALU_DEP_2) | instskip(NEXT) | instid1(VALU_DEP_1)
	v_add_f32_e32 v6, v6, v152
	v_add_f32_e32 v6, v6, v144
	s_delay_alu instid0(VALU_DEP_1) | instskip(NEXT) | instid1(VALU_DEP_1)
	v_add_f32_e32 v15, v6, v145
	v_add_f32_e32 v15, v15, v16
	s_delay_alu instid0(VALU_DEP_1) | instskip(NEXT) | instid1(VALU_DEP_1)
	v_add_f32_e32 v15, v15, v19
	v_dual_mul_f32 v167, v8, v5 :: v_dual_add_f32 v18, v15, v20
	s_delay_alu instid0(VALU_DEP_1)
	v_dual_add_f32 v18, v18, v21 :: v_dual_fmac_f32 v167, v9, v4
	ds_load_2addr_b64 v[2:5], v1 offset0:103 offset1:104
	ds_load_2addr_b64 v[6:9], v1 offset0:105 offset1:106
	v_add_f32_e32 v19, v14, v147
	v_add_f32_e32 v18, v18, v153
	scratch_load_b128 v[14:17], off, off offset:424
	v_add_f32_e32 v18, v18, v154
	s_delay_alu instid0(VALU_DEP_1) | instskip(NEXT) | instid1(VALU_DEP_1)
	v_add_f32_e32 v18, v18, v157
	v_add_f32_e32 v22, v18, v159
	s_wait_loadcnt_dscnt 0x201
	v_mul_f32_e32 v26, v2, v11
	v_mul_f32_e32 v144, v4, v13
	s_delay_alu instid0(VALU_DEP_3) | instskip(SKIP_3) | instid1(VALU_DEP_1)
	v_add_f32_e32 v31, v22, v161
	ds_load_2addr_b64 v[22:25], v1 offset0:109 offset1:110
	v_fmac_f32_e32 v26, v3, v10
	v_dual_fmac_f32 v144, v5, v12 :: v_dual_add_f32 v147, v31, v163
	v_add_f32_e32 v147, v147, v165
	s_delay_alu instid0(VALU_DEP_1) | instskip(NEXT) | instid1(VALU_DEP_1)
	v_add_f32_e32 v147, v147, v167
	v_add_f32_e32 v26, v147, v26
	s_delay_alu instid0(VALU_DEP_1) | instskip(NEXT) | instid1(VALU_DEP_1)
	v_dual_add_f32 v19, v19, v155 :: v_dual_add_f32 v26, v26, v144
	v_add_f32_e32 v19, v19, v156
	s_delay_alu instid0(VALU_DEP_1) | instskip(NEXT) | instid1(VALU_DEP_1)
	v_add_f32_e32 v19, v19, v158
	v_add_f32_e32 v19, v19, v160
	s_delay_alu instid0(VALU_DEP_1) | instskip(SKIP_3) | instid1(VALU_DEP_2)
	v_add_f32_e32 v30, v19, v162
	ds_load_2addr_b64 v[18:21], v1 offset0:107 offset1:108
	v_dual_mul_f32 v13, v5, v13 :: v_dual_add_f32 v146, v30, v164
	v_mul_f32_e32 v11, v3, v11
	v_fma_f32 v150, v4, v12, -v13
	ds_load_b64 v[30:31], v1 offset:888
	v_add_f32_e32 v146, v146, v166
	v_fma_f32 v145, v2, v10, -v11
	s_clause 0x1
	scratch_load_b128 v[2:5], off, off offset:392
	scratch_load_b128 v[10:13], off, off offset:408
	v_add_f32_e32 v146, v146, v168
	s_wait_loadcnt_dscnt 0x300
	v_mul_f32_e32 v144, v30, v29
	s_delay_alu instid0(VALU_DEP_1) | instskip(SKIP_1) | instid1(VALU_DEP_1)
	v_dual_add_f32 v145, v146, v145 :: v_dual_fmac_f32 v144, v31, v28
	s_wait_loadcnt 0x2
	v_dual_add_f32 v145, v145, v150 :: v_dual_mul_f32 v150, v24, v17
	s_delay_alu instid0(VALU_DEP_1)
	v_dual_mul_f32 v153, v22, v15 :: v_dual_fmac_f32 v150, v25, v16
	s_wait_loadcnt 0x1
	v_mul_f32_e32 v152, v8, v5
	s_wait_loadcnt 0x0
	v_mul_f32_e32 v146, v18, v11
	v_mul_f32_e32 v151, v6, v3
	s_delay_alu instid0(VALU_DEP_3) | instskip(NEXT) | instid1(VALU_DEP_3)
	v_dual_mul_f32 v3, v7, v3 :: v_dual_fmac_f32 v152, v9, v4
	v_fmac_f32_e32 v146, v19, v10
	s_delay_alu instid0(VALU_DEP_3) | instskip(NEXT) | instid1(VALU_DEP_3)
	v_fmac_f32_e32 v151, v7, v2
	v_fma_f32 v3, v6, v2, -v3
	v_mul_f32_e32 v6, v21, v13
	s_delay_alu instid0(VALU_DEP_2) | instskip(SKIP_1) | instid1(VALU_DEP_3)
	v_add_f32_e32 v3, v145, v3
	v_mul_f32_e32 v5, v9, v5
	v_fma_f32 v6, v20, v12, -v6
	s_delay_alu instid0(VALU_DEP_2) | instskip(SKIP_1) | instid1(VALU_DEP_2)
	v_fma_f32 v2, v8, v4, -v5
	v_mul_f32_e32 v4, v19, v11
	v_dual_add_f32 v5, v26, v151 :: v_dual_add_f32 v2, v3, v2
	s_delay_alu instid0(VALU_DEP_2) | instskip(NEXT) | instid1(VALU_DEP_2)
	v_fma_f32 v4, v18, v10, -v4
	v_add_f32_e32 v3, v5, v152
	s_delay_alu instid0(VALU_DEP_2) | instskip(SKIP_1) | instid1(VALU_DEP_2)
	v_dual_mul_f32 v5, v23, v15 :: v_dual_add_f32 v2, v2, v4
	v_mul_f32_e32 v4, v25, v17
	v_fma_f32 v5, v22, v14, -v5
	s_delay_alu instid0(VALU_DEP_4) | instskip(NEXT) | instid1(VALU_DEP_4)
	v_add_f32_e32 v3, v3, v146
	v_add_f32_e32 v2, v2, v6
	s_delay_alu instid0(VALU_DEP_4) | instskip(SKIP_1) | instid1(VALU_DEP_3)
	v_fma_f32 v4, v24, v16, -v4
	v_mul_f32_e32 v6, v31, v29
	v_dual_fmac_f32 v153, v23, v14 :: v_dual_add_f32 v2, v2, v5
	v_mul_f32_e32 v147, v20, v13
	s_delay_alu instid0(VALU_DEP_3) | instskip(NEXT) | instid1(VALU_DEP_3)
	v_fma_f32 v5, v30, v28, -v6
	v_add_f32_e32 v2, v2, v4
	s_delay_alu instid0(VALU_DEP_1) | instskip(NEXT) | instid1(VALU_DEP_1)
	v_dual_fmac_f32 v147, v21, v12 :: v_dual_add_f32 v2, v2, v5
	v_dual_add_f32 v3, v3, v147 :: v_dual_sub_f32 v2, v148, v2
	s_delay_alu instid0(VALU_DEP_1) | instskip(NEXT) | instid1(VALU_DEP_1)
	v_add_f32_e32 v3, v3, v153
	v_add_f32_e32 v3, v3, v150
	s_delay_alu instid0(VALU_DEP_1) | instskip(NEXT) | instid1(VALU_DEP_1)
	v_add_f32_e32 v3, v3, v144
	v_sub_f32_e32 v3, v149, v3
	scratch_store_b64 off, v[2:3], off offset:208
	v_cmpx_lt_u32_e32 25, v0
	s_cbranch_execz .LBB55_299
; %bb.298:
	scratch_load_b64 v[3:4], off, off offset:200
	v_mov_b32_e32 v2, v1
	scratch_store_b64 off, v[1:2], off offset:200
	s_wait_loadcnt 0x0
	ds_store_b64 v27, v[3:4]
.LBB55_299:
	s_wait_alu 0xfffe
	s_or_b32 exec_lo, exec_lo, s0
	s_wait_storecnt_dscnt 0x0
	s_barrier_signal -1
	s_barrier_wait -1
	global_inv scope:SCOPE_SE
	s_clause 0x4
	scratch_load_b128 v[2:5], off, off offset:208
	scratch_load_b128 v[6:9], off, off offset:224
	;; [unrolled: 1-line block ×5, first 2 shown]
	ds_load_b128 v[22:25], v1 offset:656
	ds_load_b128 v[28:31], v1 offset:672
	;; [unrolled: 1-line block ×3, first 2 shown]
	scratch_load_b64 v[148:149], off, off offset:200
	s_mov_b32 s0, exec_lo
	s_wait_loadcnt_dscnt 0x502
	v_dual_mul_f32 v26, v23, v3 :: v_dual_mul_f32 v151, v24, v5
	v_dual_mul_f32 v150, v22, v3 :: v_dual_mul_f32 v3, v25, v5
	s_wait_loadcnt_dscnt 0x300
	v_mul_f32_e32 v152, v146, v13
	s_delay_alu instid0(VALU_DEP_3) | instskip(NEXT) | instid1(VALU_DEP_3)
	v_fma_f32 v22, v22, v2, -v26
	v_dual_fmac_f32 v151, v25, v4 :: v_dual_fmac_f32 v150, v23, v2
	v_fma_f32 v23, v24, v4, -v3
	ds_load_b128 v[2:5], v1 offset:704
	v_dual_mul_f32 v24, v28, v7 :: v_dual_mul_f32 v25, v30, v9
	v_mul_f32_e32 v7, v29, v7
	v_dual_mul_f32 v9, v31, v9 :: v_dual_mul_f32 v26, v144, v11
	v_dual_mul_f32 v11, v145, v11 :: v_dual_fmac_f32 v152, v147, v12
	s_delay_alu instid0(VALU_DEP_4) | instskip(SKIP_1) | instid1(VALU_DEP_4)
	v_dual_mul_f32 v13, v147, v13 :: v_dual_fmac_f32 v24, v29, v6
	v_fmac_f32_e32 v25, v31, v8
	v_fma_f32 v29, v30, v8, -v9
	v_fmac_f32_e32 v26, v145, v10
	v_fma_f32 v30, v144, v10, -v11
	v_fma_f32 v31, v146, v12, -v13
	ds_load_b128 v[10:13], v1 offset:720
	v_fma_f32 v28, v28, v6, -v7
	scratch_load_b128 v[6:9], off, off offset:288
	s_wait_loadcnt_dscnt 0x301
	v_dual_mul_f32 v144, v2, v15 :: v_dual_mul_f32 v145, v4, v17
	v_mul_f32_e32 v15, v3, v15
	s_delay_alu instid0(VALU_DEP_2) | instskip(NEXT) | instid1(VALU_DEP_3)
	v_dual_mul_f32 v17, v5, v17 :: v_dual_fmac_f32 v144, v3, v14
	v_fmac_f32_e32 v145, v5, v16
	s_delay_alu instid0(VALU_DEP_3) | instskip(NEXT) | instid1(VALU_DEP_3)
	v_fma_f32 v14, v2, v14, -v15
	v_fma_f32 v15, v4, v16, -v17
	ds_load_b128 v[2:5], v1 offset:736
	s_wait_loadcnt_dscnt 0x201
	v_mul_f32_e32 v16, v10, v19
	v_mul_f32_e32 v17, v11, v19
	;; [unrolled: 1-line block ×3, first 2 shown]
	s_delay_alu instid0(VALU_DEP_3) | instskip(NEXT) | instid1(VALU_DEP_3)
	v_dual_mul_f32 v21, v13, v21 :: v_dual_fmac_f32 v16, v11, v18
	v_fma_f32 v17, v10, v18, -v17
	s_delay_alu instid0(VALU_DEP_3) | instskip(NEXT) | instid1(VALU_DEP_3)
	v_fmac_f32_e32 v19, v13, v20
	v_fma_f32 v18, v12, v20, -v21
	scratch_load_b128 v[10:13], off, off offset:304
	s_wait_loadcnt_dscnt 0x100
	v_mul_f32_e32 v20, v2, v7
	v_mul_f32_e32 v7, v3, v7
	;; [unrolled: 1-line block ×3, first 2 shown]
	s_delay_alu instid0(VALU_DEP_3) | instskip(NEXT) | instid1(VALU_DEP_3)
	v_dual_mul_f32 v9, v5, v9 :: v_dual_fmac_f32 v20, v3, v6
	v_fma_f32 v146, v2, v6, -v7
	s_delay_alu instid0(VALU_DEP_3) | instskip(NEXT) | instid1(VALU_DEP_3)
	v_fmac_f32_e32 v21, v5, v8
	v_fma_f32 v147, v4, v8, -v9
	ds_load_b128 v[2:5], v1 offset:752
	ds_load_b128 v[6:9], v1 offset:768
	s_wait_loadcnt_dscnt 0x1
	v_mul_f32_e32 v153, v2, v11
	v_dual_mul_f32 v11, v3, v11 :: v_dual_mul_f32 v154, v4, v13
	s_delay_alu instid0(VALU_DEP_2) | instskip(NEXT) | instid1(VALU_DEP_2)
	v_fmac_f32_e32 v153, v3, v10
	v_fma_f32 v155, v2, v10, -v11
	v_mul_f32_e32 v2, v5, v13
	s_delay_alu instid0(VALU_DEP_4) | instskip(NEXT) | instid1(VALU_DEP_2)
	v_fmac_f32_e32 v154, v5, v12
	v_fma_f32 v156, v4, v12, -v2
	s_clause 0x1
	scratch_load_b128 v[2:5], off, off offset:320
	scratch_load_b128 v[10:13], off, off offset:336
	s_wait_loadcnt_dscnt 0x100
	v_mul_f32_e32 v157, v6, v3
	v_mul_f32_e32 v3, v7, v3
	;; [unrolled: 1-line block ×3, first 2 shown]
	s_delay_alu instid0(VALU_DEP_3) | instskip(NEXT) | instid1(VALU_DEP_3)
	v_fmac_f32_e32 v157, v7, v2
	v_fma_f32 v158, v6, v2, -v3
	v_mul_f32_e32 v2, v9, v5
	s_delay_alu instid0(VALU_DEP_4) | instskip(NEXT) | instid1(VALU_DEP_2)
	v_fmac_f32_e32 v159, v9, v4
	v_fma_f32 v160, v8, v4, -v2
	ds_load_b128 v[2:5], v1 offset:784
	ds_load_b128 v[6:9], v1 offset:800
	s_wait_loadcnt_dscnt 0x1
	v_mul_f32_e32 v161, v2, v11
	v_mul_f32_e32 v163, v4, v13
	s_delay_alu instid0(VALU_DEP_2) | instskip(SKIP_1) | instid1(VALU_DEP_3)
	v_fmac_f32_e32 v161, v3, v10
	v_mul_f32_e32 v3, v3, v11
	v_fmac_f32_e32 v163, v5, v12
	s_delay_alu instid0(VALU_DEP_2) | instskip(SKIP_1) | instid1(VALU_DEP_1)
	v_fma_f32 v162, v2, v10, -v3
	v_mul_f32_e32 v2, v5, v13
	v_fma_f32 v164, v4, v12, -v2
	s_clause 0x1
	scratch_load_b128 v[2:5], off, off offset:352
	scratch_load_b128 v[10:13], off, off offset:368
	s_wait_loadcnt_dscnt 0x100
	v_mul_f32_e32 v165, v6, v3
	v_mul_f32_e32 v3, v7, v3
	v_mul_f32_e32 v167, v8, v5
	s_delay_alu instid0(VALU_DEP_3) | instskip(NEXT) | instid1(VALU_DEP_3)
	v_fmac_f32_e32 v165, v7, v2
	v_fma_f32 v166, v6, v2, -v3
	v_dual_mul_f32 v2, v9, v5 :: v_dual_add_f32 v3, 0, v150
	s_delay_alu instid0(VALU_DEP_1) | instskip(NEXT) | instid1(VALU_DEP_2)
	v_fma_f32 v168, v8, v4, -v2
	v_dual_add_f32 v2, 0, v22 :: v_dual_add_f32 v3, v3, v151
	s_delay_alu instid0(VALU_DEP_1) | instskip(NEXT) | instid1(VALU_DEP_1)
	v_add_f32_e32 v2, v2, v23
	v_add_f32_e32 v2, v2, v28
	s_delay_alu instid0(VALU_DEP_1) | instskip(NEXT) | instid1(VALU_DEP_1)
	v_dual_add_f32 v3, v3, v24 :: v_dual_add_f32 v2, v2, v29
	v_dual_add_f32 v3, v3, v25 :: v_dual_add_f32 v2, v2, v30
	s_delay_alu instid0(VALU_DEP_1) | instskip(NEXT) | instid1(VALU_DEP_1)
	v_dual_add_f32 v3, v3, v26 :: v_dual_add_f32 v2, v2, v31
	v_dual_add_f32 v6, v3, v152 :: v_dual_add_f32 v7, v2, v14
	s_delay_alu instid0(VALU_DEP_1) | instskip(NEXT) | instid1(VALU_DEP_1)
	v_dual_add_f32 v14, v6, v144 :: v_dual_add_f32 v15, v7, v15
	v_add_f32_e32 v14, v14, v145
	s_delay_alu instid0(VALU_DEP_1) | instskip(NEXT) | instid1(VALU_DEP_1)
	v_dual_add_f32 v15, v15, v17 :: v_dual_add_f32 v14, v14, v16
	v_add_f32_e32 v18, v15, v18
	s_delay_alu instid0(VALU_DEP_1) | instskip(NEXT) | instid1(VALU_DEP_1)
	v_add_f32_e32 v18, v18, v146
	v_dual_add_f32 v18, v18, v147 :: v_dual_fmac_f32 v167, v9, v4
	scratch_load_b128 v[6:9], off, off offset:384
	ds_load_b128 v[2:5], v1 offset:816
	v_add_f32_e32 v18, v18, v155
	s_delay_alu instid0(VALU_DEP_1) | instskip(NEXT) | instid1(VALU_DEP_1)
	v_add_f32_e32 v23, v18, v156
	v_add_f32_e32 v23, v23, v158
	s_delay_alu instid0(VALU_DEP_1)
	v_add_f32_e32 v23, v23, v160
	v_add_f32_e32 v19, v14, v19
	ds_load_b128 v[14:17], v1 offset:832
	s_wait_loadcnt_dscnt 0x101
	v_mul_f32_e32 v26, v2, v11
	v_dual_mul_f32 v11, v3, v11 :: v_dual_mul_f32 v28, v4, v13
	s_delay_alu instid0(VALU_DEP_2) | instskip(NEXT) | instid1(VALU_DEP_2)
	v_dual_mul_f32 v13, v5, v13 :: v_dual_fmac_f32 v26, v3, v10
	v_fma_f32 v29, v2, v10, -v11
	s_delay_alu instid0(VALU_DEP_3) | instskip(NEXT) | instid1(VALU_DEP_3)
	v_fmac_f32_e32 v28, v5, v12
	v_fma_f32 v30, v4, v12, -v13
	s_clause 0x1
	scratch_load_b128 v[10:13], off, off offset:416
	scratch_load_b128 v[2:5], off, off offset:400
	s_wait_loadcnt_dscnt 0x200
	v_dual_mul_f32 v31, v14, v7 :: v_dual_mul_f32 v144, v16, v9
	v_mul_f32_e32 v7, v15, v7
	s_delay_alu instid0(VALU_DEP_2) | instskip(SKIP_1) | instid1(VALU_DEP_4)
	v_fmac_f32_e32 v31, v15, v6
	v_add_f32_e32 v19, v19, v20
	v_fmac_f32_e32 v144, v17, v8
	s_delay_alu instid0(VALU_DEP_4) | instskip(NEXT) | instid1(VALU_DEP_3)
	v_fma_f32 v145, v14, v6, -v7
	v_add_f32_e32 v19, v19, v21
	s_delay_alu instid0(VALU_DEP_1) | instskip(SKIP_2) | instid1(VALU_DEP_1)
	v_add_f32_e32 v22, v19, v153
	scratch_load_b128 v[18:21], off, off offset:432
	v_dual_mul_f32 v9, v17, v9 :: v_dual_add_f32 v22, v22, v154
	v_fma_f32 v146, v16, v8, -v9
	ds_load_b128 v[6:9], v1 offset:848
	v_add_f32_e32 v22, v22, v157
	s_delay_alu instid0(VALU_DEP_1) | instskip(NEXT) | instid1(VALU_DEP_1)
	v_add_f32_e32 v14, v22, v159
	v_dual_add_f32 v22, v23, v162 :: v_dual_add_f32 v23, v14, v161
	ds_load_b128 v[14:17], v1 offset:864
	v_dual_add_f32 v147, v22, v164 :: v_dual_add_f32 v150, v23, v163
	ds_load_b128 v[22:25], v1 offset:880
	s_wait_loadcnt_dscnt 0x201
	v_mul_f32_e32 v151, v16, v13
	s_delay_alu instid0(VALU_DEP_1)
	v_fmac_f32_e32 v151, v17, v12
	v_add_f32_e32 v1, v147, v166
	v_add_f32_e32 v147, v150, v165
	s_wait_loadcnt 0x1
	v_mul_f32_e32 v150, v6, v3
	v_mul_f32_e32 v3, v7, v3
	v_add_f32_e32 v1, v1, v168
	v_add_f32_e32 v147, v147, v167
	s_delay_alu instid0(VALU_DEP_4) | instskip(NEXT) | instid1(VALU_DEP_4)
	v_fmac_f32_e32 v150, v7, v2
	v_fma_f32 v3, v6, v2, -v3
	s_delay_alu instid0(VALU_DEP_4) | instskip(NEXT) | instid1(VALU_DEP_4)
	v_dual_mul_f32 v6, v15, v11 :: v_dual_add_f32 v1, v1, v29
	v_dual_add_f32 v26, v147, v26 :: v_dual_mul_f32 v29, v8, v5
	v_mul_f32_e32 v5, v9, v5
	v_mul_f32_e32 v147, v14, v11
	s_delay_alu instid0(VALU_DEP_3) | instskip(NEXT) | instid1(VALU_DEP_4)
	v_dual_add_f32 v1, v1, v30 :: v_dual_add_f32 v26, v26, v28
	v_fmac_f32_e32 v29, v9, v4
	s_delay_alu instid0(VALU_DEP_4) | instskip(NEXT) | instid1(VALU_DEP_4)
	v_fma_f32 v4, v8, v4, -v5
	v_fmac_f32_e32 v147, v15, v10
	s_delay_alu instid0(VALU_DEP_4) | instskip(SKIP_1) | instid1(VALU_DEP_2)
	v_dual_add_f32 v1, v1, v145 :: v_dual_add_f32 v26, v26, v31
	v_fma_f32 v5, v14, v10, -v6
	v_dual_add_f32 v1, v1, v146 :: v_dual_add_f32 v2, v26, v144
	s_delay_alu instid0(VALU_DEP_1) | instskip(SKIP_1) | instid1(VALU_DEP_2)
	v_dual_add_f32 v1, v1, v3 :: v_dual_add_f32 v2, v2, v150
	v_mul_f32_e32 v3, v17, v13
	v_dual_add_f32 v1, v1, v4 :: v_dual_add_f32 v2, v2, v29
	s_delay_alu instid0(VALU_DEP_2) | instskip(NEXT) | instid1(VALU_DEP_2)
	v_fma_f32 v3, v16, v12, -v3
	v_dual_add_f32 v1, v1, v5 :: v_dual_add_f32 v2, v2, v147
	s_delay_alu instid0(VALU_DEP_1) | instskip(NEXT) | instid1(VALU_DEP_2)
	v_add_f32_e32 v1, v1, v3
	v_add_f32_e32 v2, v2, v151
	s_wait_loadcnt_dscnt 0x0
	v_mul_f32_e32 v28, v22, v19
	v_mul_f32_e32 v4, v23, v19
	;; [unrolled: 1-line block ×3, first 2 shown]
	s_delay_alu instid0(VALU_DEP_3) | instskip(NEXT) | instid1(VALU_DEP_3)
	v_dual_mul_f32 v5, v25, v21 :: v_dual_fmac_f32 v28, v23, v18
	v_fma_f32 v4, v22, v18, -v4
	s_delay_alu instid0(VALU_DEP_3) | instskip(NEXT) | instid1(VALU_DEP_3)
	v_fmac_f32_e32 v30, v25, v20
	v_fma_f32 v3, v24, v20, -v5
	s_delay_alu instid0(VALU_DEP_4) | instskip(NEXT) | instid1(VALU_DEP_1)
	v_add_f32_e32 v2, v2, v28
	v_dual_add_f32 v1, v1, v4 :: v_dual_add_f32 v2, v2, v30
	s_delay_alu instid0(VALU_DEP_1) | instskip(NEXT) | instid1(VALU_DEP_1)
	v_add_f32_e32 v1, v1, v3
	v_dual_sub_f32 v2, v149, v2 :: v_dual_sub_f32 v1, v148, v1
	scratch_store_b64 off, v[1:2], off offset:200
	v_cmpx_lt_u32_e32 24, v0
	s_cbranch_execz .LBB55_301
; %bb.300:
	scratch_load_b64 v[1:2], off, off offset:192
	v_mov_b32_e32 v3, 0
	s_delay_alu instid0(VALU_DEP_1)
	v_mov_b32_e32 v4, v3
	scratch_store_b64 off, v[3:4], off offset:192
	s_wait_loadcnt 0x0
	ds_store_b64 v27, v[1:2]
.LBB55_301:
	s_wait_alu 0xfffe
	s_or_b32 exec_lo, exec_lo, s0
	s_wait_storecnt_dscnt 0x0
	s_barrier_signal -1
	s_barrier_wait -1
	global_inv scope:SCOPE_SE
	s_clause 0x4
	scratch_load_b128 v[5:8], off, off offset:200
	scratch_load_b128 v[1:4], off, off offset:216
	;; [unrolled: 1-line block ×5, first 2 shown]
	v_mov_b32_e32 v21, 0
	ds_load_2addr_b64 v[22:25], v21 offset0:81 offset1:82
	ds_load_2addr_b64 v[28:31], v21 offset0:83 offset1:84
	;; [unrolled: 1-line block ×3, first 2 shown]
	scratch_load_b64 v[148:149], off, off offset:192
	s_mov_b32 s0, exec_lo
	s_wait_loadcnt_dscnt 0x502
	v_dual_mul_f32 v150, v22, v6 :: v_dual_mul_f32 v151, v24, v8
	v_mul_f32_e32 v26, v23, v6
	v_mul_f32_e32 v6, v25, v8
	s_wait_loadcnt_dscnt 0x300
	v_mul_f32_e32 v152, v146, v12
	v_dual_fmac_f32 v150, v23, v5 :: v_dual_fmac_f32 v151, v25, v7
	v_mul_f32_e32 v25, v30, v4
	v_fma_f32 v22, v22, v5, -v26
	v_mul_f32_e32 v26, v144, v10
	v_mul_f32_e32 v4, v31, v4
	s_delay_alu instid0(VALU_DEP_4)
	v_dual_mul_f32 v10, v145, v10 :: v_dual_fmac_f32 v25, v31, v3
	v_fma_f32 v23, v24, v7, -v6
	ds_load_2addr_b64 v[5:8], v21 offset0:87 offset1:88
	v_mul_f32_e32 v24, v28, v2
	v_mul_f32_e32 v12, v147, v12
	v_mul_f32_e32 v2, v29, v2
	v_fmac_f32_e32 v26, v145, v9
	v_fmac_f32_e32 v152, v147, v11
	;; [unrolled: 1-line block ×3, first 2 shown]
	v_fma_f32 v29, v30, v3, -v4
	v_fma_f32 v30, v144, v9, -v10
	;; [unrolled: 1-line block ×3, first 2 shown]
	ds_load_2addr_b64 v[9:12], v21 offset0:89 offset1:90
	s_wait_loadcnt_dscnt 0x201
	v_dual_mul_f32 v145, v7, v16 :: v_dual_mul_f32 v144, v5, v14
	v_mul_f32_e32 v14, v6, v14
	v_mul_f32_e32 v16, v8, v16
	s_delay_alu instid0(VALU_DEP_3)
	v_fmac_f32_e32 v145, v8, v15
	v_fma_f32 v28, v28, v1, -v2
	scratch_load_b128 v[1:4], off, off offset:280
	v_fmac_f32_e32 v144, v6, v13
	v_fma_f32 v13, v5, v13, -v14
	v_fma_f32 v14, v7, v15, -v16
	s_wait_loadcnt_dscnt 0x200
	v_mul_f32_e32 v15, v9, v18
	v_mul_f32_e32 v16, v10, v18
	;; [unrolled: 1-line block ×4, first 2 shown]
	ds_load_2addr_b64 v[5:8], v21 offset0:91 offset1:92
	v_fmac_f32_e32 v15, v10, v17
	v_fma_f32 v16, v9, v17, -v16
	v_fmac_f32_e32 v18, v12, v19
	v_fma_f32 v17, v11, v19, -v20
	scratch_load_b128 v[9:12], off, off offset:296
	s_wait_loadcnt_dscnt 0x100
	v_mul_f32_e32 v19, v5, v2
	v_mul_f32_e32 v2, v6, v2
	v_mul_f32_e32 v20, v7, v4
	s_delay_alu instid0(VALU_DEP_3) | instskip(NEXT) | instid1(VALU_DEP_3)
	v_dual_mul_f32 v4, v8, v4 :: v_dual_fmac_f32 v19, v6, v1
	v_fma_f32 v146, v5, v1, -v2
	s_delay_alu instid0(VALU_DEP_3) | instskip(NEXT) | instid1(VALU_DEP_3)
	v_fmac_f32_e32 v20, v8, v3
	v_fma_f32 v147, v7, v3, -v4
	ds_load_2addr_b64 v[1:4], v21 offset0:93 offset1:94
	ds_load_2addr_b64 v[5:8], v21 offset0:95 offset1:96
	s_wait_loadcnt_dscnt 0x1
	v_mul_f32_e32 v153, v1, v10
	v_mul_f32_e32 v10, v2, v10
	s_delay_alu instid0(VALU_DEP_2) | instskip(NEXT) | instid1(VALU_DEP_2)
	v_dual_mul_f32 v154, v3, v12 :: v_dual_fmac_f32 v153, v2, v9
	v_fma_f32 v155, v1, v9, -v10
	v_mul_f32_e32 v1, v4, v12
	s_delay_alu instid0(VALU_DEP_3) | instskip(NEXT) | instid1(VALU_DEP_2)
	v_fmac_f32_e32 v154, v4, v11
	v_fma_f32 v156, v3, v11, -v1
	s_clause 0x1
	scratch_load_b128 v[1:4], off, off offset:312
	scratch_load_b128 v[9:12], off, off offset:328
	s_wait_loadcnt_dscnt 0x100
	v_mul_f32_e32 v157, v5, v2
	v_dual_mul_f32 v2, v6, v2 :: v_dual_mul_f32 v159, v7, v4
	s_delay_alu instid0(VALU_DEP_2) | instskip(NEXT) | instid1(VALU_DEP_2)
	v_fmac_f32_e32 v157, v6, v1
	v_fma_f32 v158, v5, v1, -v2
	v_mul_f32_e32 v1, v8, v4
	s_delay_alu instid0(VALU_DEP_4) | instskip(NEXT) | instid1(VALU_DEP_2)
	v_fmac_f32_e32 v159, v8, v3
	v_fma_f32 v160, v7, v3, -v1
	ds_load_2addr_b64 v[1:4], v21 offset0:97 offset1:98
	ds_load_2addr_b64 v[5:8], v21 offset0:99 offset1:100
	s_wait_loadcnt_dscnt 0x1
	v_mul_f32_e32 v161, v1, v10
	v_mul_f32_e32 v163, v3, v12
	s_delay_alu instid0(VALU_DEP_2) | instskip(NEXT) | instid1(VALU_DEP_2)
	v_fmac_f32_e32 v161, v2, v9
	v_dual_mul_f32 v2, v2, v10 :: v_dual_fmac_f32 v163, v4, v11
	s_delay_alu instid0(VALU_DEP_1) | instskip(SKIP_1) | instid1(VALU_DEP_1)
	v_fma_f32 v162, v1, v9, -v2
	v_mul_f32_e32 v1, v4, v12
	v_fma_f32 v164, v3, v11, -v1
	s_clause 0x1
	scratch_load_b128 v[1:4], off, off offset:344
	scratch_load_b128 v[9:12], off, off offset:360
	s_wait_loadcnt_dscnt 0x100
	v_mul_f32_e32 v165, v5, v2
	v_dual_mul_f32 v2, v6, v2 :: v_dual_mul_f32 v167, v7, v4
	s_delay_alu instid0(VALU_DEP_2) | instskip(NEXT) | instid1(VALU_DEP_2)
	v_fmac_f32_e32 v165, v6, v1
	v_fma_f32 v166, v5, v1, -v2
	v_mul_f32_e32 v1, v8, v4
	s_delay_alu instid0(VALU_DEP_4) | instskip(NEXT) | instid1(VALU_DEP_2)
	v_fmac_f32_e32 v167, v8, v3
	v_fma_f32 v168, v7, v3, -v1
	v_add_f32_e32 v1, 0, v22
	s_delay_alu instid0(VALU_DEP_1) | instskip(NEXT) | instid1(VALU_DEP_1)
	v_add_f32_e32 v1, v1, v23
	v_dual_add_f32 v1, v1, v28 :: v_dual_add_f32 v2, 0, v150
	s_delay_alu instid0(VALU_DEP_1) | instskip(SKIP_2) | instid1(VALU_DEP_1)
	v_dual_add_f32 v1, v1, v29 :: v_dual_add_f32 v2, v2, v151
	scratch_load_b64 v[28:29], off, off offset:440
	v_dual_add_f32 v1, v1, v30 :: v_dual_add_f32 v2, v2, v24
	v_dual_add_f32 v1, v1, v31 :: v_dual_add_f32 v2, v2, v25
	s_delay_alu instid0(VALU_DEP_1) | instskip(NEXT) | instid1(VALU_DEP_2)
	v_add_f32_e32 v6, v1, v13
	v_add_f32_e32 v2, v2, v26
	s_delay_alu instid0(VALU_DEP_1) | instskip(SKIP_2) | instid1(VALU_DEP_1)
	v_add_f32_e32 v5, v2, v152
	scratch_load_b128 v[1:4], off, off offset:376
	v_add_f32_e32 v13, v5, v144
	v_dual_add_f32 v13, v13, v145 :: v_dual_add_f32 v14, v6, v14
	ds_load_2addr_b64 v[5:8], v21 offset0:101 offset1:102
	v_dual_add_f32 v13, v13, v15 :: v_dual_add_f32 v14, v14, v16
	s_delay_alu instid0(VALU_DEP_1) | instskip(SKIP_3) | instid1(VALU_DEP_1)
	v_dual_add_f32 v18, v13, v18 :: v_dual_add_f32 v17, v14, v17
	ds_load_2addr_b64 v[13:16], v21 offset0:103 offset1:104
	v_add_f32_e32 v17, v17, v146
	s_wait_loadcnt_dscnt 0x201
	v_dual_add_f32 v17, v17, v147 :: v_dual_mul_f32 v144, v7, v12
	s_delay_alu instid0(VALU_DEP_1) | instskip(SKIP_1) | instid1(VALU_DEP_2)
	v_dual_mul_f32 v12, v8, v12 :: v_dual_add_f32 v17, v17, v155
	v_add_f32_e32 v18, v18, v19
	v_fma_f32 v146, v7, v11, -v12
	s_delay_alu instid0(VALU_DEP_3) | instskip(NEXT) | instid1(VALU_DEP_1)
	v_dual_add_f32 v23, v17, v156 :: v_dual_fmac_f32 v144, v8, v11
	v_add_f32_e32 v23, v23, v158
	v_mul_f32_e32 v26, v5, v10
	s_delay_alu instid0(VALU_DEP_2) | instskip(NEXT) | instid1(VALU_DEP_2)
	v_dual_mul_f32 v10, v6, v10 :: v_dual_add_f32 v23, v23, v160
	v_fmac_f32_e32 v26, v6, v9
	s_delay_alu instid0(VALU_DEP_2)
	v_fma_f32 v145, v5, v9, -v10
	s_clause 0x1
	scratch_load_b128 v[5:8], off, off offset:392
	scratch_load_b128 v[9:12], off, off offset:408
	v_dual_add_f32 v18, v18, v20 :: v_dual_add_f32 v23, v23, v162
	s_wait_loadcnt_dscnt 0x200
	v_dual_mul_f32 v147, v13, v2 :: v_dual_mul_f32 v150, v15, v4
	s_delay_alu instid0(VALU_DEP_1) | instskip(NEXT) | instid1(VALU_DEP_2)
	v_dual_mul_f32 v4, v16, v4 :: v_dual_fmac_f32 v147, v14, v1
	v_fmac_f32_e32 v150, v16, v3
	s_delay_alu instid0(VALU_DEP_2) | instskip(SKIP_2) | instid1(VALU_DEP_2)
	v_fma_f32 v152, v15, v3, -v4
	v_mul_f32_e32 v2, v14, v2
	v_add_f32_e32 v14, v23, v164
	v_fma_f32 v151, v13, v1, -v2
	ds_load_2addr_b64 v[1:4], v21 offset0:105 offset1:106
	v_add_f32_e32 v22, v18, v153
	scratch_load_b128 v[17:20], off, off offset:424
	v_add_f32_e32 v30, v14, v166
	s_delay_alu instid0(VALU_DEP_1) | instskip(NEXT) | instid1(VALU_DEP_1)
	v_add_f32_e32 v153, v30, v168
	v_add_f32_e32 v145, v153, v145
	s_delay_alu instid0(VALU_DEP_1) | instskip(NEXT) | instid1(VALU_DEP_1)
	v_add_f32_e32 v145, v145, v146
	v_dual_add_f32 v22, v22, v154 :: v_dual_add_f32 v145, v145, v151
	s_delay_alu instid0(VALU_DEP_1) | instskip(NEXT) | instid1(VALU_DEP_1)
	v_dual_add_f32 v22, v22, v157 :: v_dual_add_f32 v145, v145, v152
	v_add_f32_e32 v22, v22, v159
	s_delay_alu instid0(VALU_DEP_1) | instskip(NEXT) | instid1(VALU_DEP_1)
	v_add_f32_e32 v13, v22, v161
	v_add_f32_e32 v22, v13, v163
	ds_load_2addr_b64 v[13:16], v21 offset0:107 offset1:108
	s_wait_loadcnt_dscnt 0x201
	v_mul_f32_e32 v153, v1, v6
	v_mul_f32_e32 v6, v2, v6
	s_delay_alu instid0(VALU_DEP_2)
	v_fmac_f32_e32 v153, v2, v5
	v_add_f32_e32 v31, v22, v165
	ds_load_2addr_b64 v[22:25], v21 offset0:109 offset1:110
	v_fma_f32 v1, v1, v5, -v6
	v_add_f32_e32 v154, v31, v167
	ds_load_b64 v[30:31], v21 offset:888
	v_dual_add_f32 v1, v145, v1 :: v_dual_add_f32 v26, v154, v26
	s_wait_loadcnt_dscnt 0x102
	v_mul_f32_e32 v5, v16, v12
	s_delay_alu instid0(VALU_DEP_2) | instskip(SKIP_2) | instid1(VALU_DEP_4)
	v_add_f32_e32 v26, v26, v144
	v_mul_f32_e32 v144, v3, v8
	v_mul_f32_e32 v8, v4, v8
	v_fma_f32 v5, v15, v11, -v5
	s_delay_alu instid0(VALU_DEP_2) | instskip(SKIP_1) | instid1(VALU_DEP_2)
	v_fma_f32 v2, v3, v7, -v8
	v_mul_f32_e32 v3, v14, v10
	v_dual_add_f32 v1, v1, v2 :: v_dual_add_f32 v26, v26, v147
	s_delay_alu instid0(VALU_DEP_2) | instskip(SKIP_1) | instid1(VALU_DEP_2)
	v_fma_f32 v3, v13, v9, -v3
	v_mul_f32_e32 v147, v15, v12
	v_add_f32_e32 v1, v1, v3
	s_delay_alu instid0(VALU_DEP_2) | instskip(NEXT) | instid1(VALU_DEP_2)
	v_fmac_f32_e32 v147, v16, v11
	v_add_f32_e32 v1, v1, v5
	s_wait_dscnt 0x0
	v_mul_f32_e32 v5, v31, v29
	s_wait_loadcnt 0x0
	v_dual_mul_f32 v3, v25, v20 :: v_dual_add_f32 v26, v26, v150
	v_mul_f32_e32 v151, v22, v18
	v_mul_f32_e32 v146, v13, v10
	;; [unrolled: 1-line block ×3, first 2 shown]
	v_fmac_f32_e32 v144, v4, v7
	v_fma_f32 v3, v24, v19, -v3
	v_add_f32_e32 v4, v26, v153
	v_fmac_f32_e32 v151, v23, v17
	v_fmac_f32_e32 v146, v14, v9
	;; [unrolled: 1-line block ×3, first 2 shown]
	s_delay_alu instid0(VALU_DEP_4) | instskip(SKIP_1) | instid1(VALU_DEP_2)
	v_add_f32_e32 v2, v4, v144
	v_mul_f32_e32 v4, v23, v18
	v_add_f32_e32 v2, v2, v146
	s_delay_alu instid0(VALU_DEP_2) | instskip(SKIP_1) | instid1(VALU_DEP_2)
	v_fma_f32 v4, v22, v17, -v4
	v_mul_f32_e32 v150, v30, v29
	v_dual_add_f32 v2, v2, v147 :: v_dual_add_f32 v1, v1, v4
	s_delay_alu instid0(VALU_DEP_2) | instskip(SKIP_1) | instid1(VALU_DEP_3)
	v_fmac_f32_e32 v150, v31, v28
	v_fma_f32 v4, v30, v28, -v5
	v_add_f32_e32 v2, v2, v151
	s_delay_alu instid0(VALU_DEP_1) | instskip(NEXT) | instid1(VALU_DEP_1)
	v_dual_add_f32 v1, v1, v3 :: v_dual_add_f32 v2, v2, v152
	v_dual_add_f32 v1, v1, v4 :: v_dual_add_f32 v2, v2, v150
	s_delay_alu instid0(VALU_DEP_1)
	v_dual_sub_f32 v1, v148, v1 :: v_dual_sub_f32 v2, v149, v2
	scratch_store_b64 off, v[1:2], off offset:192
	v_cmpx_lt_u32_e32 23, v0
	s_cbranch_execz .LBB55_303
; %bb.302:
	scratch_load_b64 v[1:2], off, off offset:184
	v_mov_b32_e32 v22, v21
	scratch_store_b64 off, v[21:22], off offset:184
	s_wait_loadcnt 0x0
	ds_store_b64 v27, v[1:2]
.LBB55_303:
	s_wait_alu 0xfffe
	s_or_b32 exec_lo, exec_lo, s0
	s_wait_storecnt_dscnt 0x0
	s_barrier_signal -1
	s_barrier_wait -1
	global_inv scope:SCOPE_SE
	s_clause 0x4
	scratch_load_b128 v[5:8], off, off offset:192
	scratch_load_b128 v[1:4], off, off offset:208
	;; [unrolled: 1-line block ×5, first 2 shown]
	ds_load_b128 v[22:25], v21 offset:640
	ds_load_b128 v[28:31], v21 offset:656
	;; [unrolled: 1-line block ×3, first 2 shown]
	scratch_load_b64 v[148:149], off, off offset:184
	s_mov_b32 s0, exec_lo
	s_wait_loadcnt_dscnt 0x502
	v_dual_mul_f32 v26, v23, v6 :: v_dual_mul_f32 v151, v24, v8
	v_mul_f32_e32 v150, v22, v6
	v_mul_f32_e32 v6, v25, v8
	s_wait_loadcnt_dscnt 0x300
	v_mul_f32_e32 v152, v146, v12
	v_fma_f32 v22, v22, v5, -v26
	v_dual_fmac_f32 v151, v25, v7 :: v_dual_fmac_f32 v150, v23, v5
	v_mul_f32_e32 v25, v30, v4
	v_mul_f32_e32 v4, v31, v4
	;; [unrolled: 1-line block ×5, first 2 shown]
	v_fmac_f32_e32 v25, v31, v3
	v_fma_f32 v23, v24, v7, -v6
	ds_load_b128 v[5:8], v21 offset:688
	v_mul_f32_e32 v24, v28, v2
	v_mul_f32_e32 v2, v29, v2
	v_fmac_f32_e32 v26, v145, v9
	v_fmac_f32_e32 v152, v147, v11
	v_fma_f32 v31, v146, v11, -v12
	v_fmac_f32_e32 v24, v29, v1
	v_fma_f32 v29, v30, v3, -v4
	v_fma_f32 v30, v144, v9, -v10
	ds_load_b128 v[9:12], v21 offset:704
	s_wait_loadcnt_dscnt 0x201
	v_dual_mul_f32 v145, v7, v16 :: v_dual_mul_f32 v144, v5, v14
	v_mul_f32_e32 v14, v6, v14
	v_mul_f32_e32 v16, v8, v16
	s_delay_alu instid0(VALU_DEP_3)
	v_fmac_f32_e32 v145, v8, v15
	v_fma_f32 v28, v28, v1, -v2
	scratch_load_b128 v[1:4], off, off offset:272
	v_fmac_f32_e32 v144, v6, v13
	v_fma_f32 v13, v5, v13, -v14
	v_fma_f32 v14, v7, v15, -v16
	s_wait_loadcnt_dscnt 0x200
	v_mul_f32_e32 v15, v9, v18
	v_mul_f32_e32 v16, v10, v18
	;; [unrolled: 1-line block ×4, first 2 shown]
	ds_load_b128 v[5:8], v21 offset:720
	v_fmac_f32_e32 v15, v10, v17
	v_fma_f32 v16, v9, v17, -v16
	v_fmac_f32_e32 v18, v12, v19
	v_fma_f32 v17, v11, v19, -v20
	scratch_load_b128 v[9:12], off, off offset:288
	s_wait_loadcnt_dscnt 0x100
	v_mul_f32_e32 v19, v5, v2
	v_mul_f32_e32 v2, v6, v2
	v_mul_f32_e32 v20, v7, v4
	s_delay_alu instid0(VALU_DEP_3) | instskip(NEXT) | instid1(VALU_DEP_3)
	v_dual_mul_f32 v4, v8, v4 :: v_dual_fmac_f32 v19, v6, v1
	v_fma_f32 v146, v5, v1, -v2
	s_delay_alu instid0(VALU_DEP_3) | instskip(NEXT) | instid1(VALU_DEP_3)
	v_fmac_f32_e32 v20, v8, v3
	v_fma_f32 v147, v7, v3, -v4
	ds_load_b128 v[1:4], v21 offset:736
	ds_load_b128 v[5:8], v21 offset:752
	s_wait_loadcnt_dscnt 0x1
	v_mul_f32_e32 v153, v1, v10
	v_mul_f32_e32 v10, v2, v10
	s_delay_alu instid0(VALU_DEP_2) | instskip(NEXT) | instid1(VALU_DEP_2)
	v_dual_mul_f32 v154, v3, v12 :: v_dual_fmac_f32 v153, v2, v9
	v_fma_f32 v155, v1, v9, -v10
	v_mul_f32_e32 v1, v4, v12
	s_delay_alu instid0(VALU_DEP_3) | instskip(NEXT) | instid1(VALU_DEP_2)
	v_fmac_f32_e32 v154, v4, v11
	v_fma_f32 v156, v3, v11, -v1
	s_clause 0x1
	scratch_load_b128 v[1:4], off, off offset:304
	scratch_load_b128 v[9:12], off, off offset:320
	s_wait_loadcnt_dscnt 0x100
	v_mul_f32_e32 v157, v5, v2
	v_dual_mul_f32 v2, v6, v2 :: v_dual_mul_f32 v159, v7, v4
	s_delay_alu instid0(VALU_DEP_2) | instskip(NEXT) | instid1(VALU_DEP_2)
	v_fmac_f32_e32 v157, v6, v1
	v_fma_f32 v158, v5, v1, -v2
	v_mul_f32_e32 v1, v8, v4
	s_delay_alu instid0(VALU_DEP_4) | instskip(NEXT) | instid1(VALU_DEP_2)
	v_fmac_f32_e32 v159, v8, v3
	v_fma_f32 v160, v7, v3, -v1
	ds_load_b128 v[1:4], v21 offset:768
	ds_load_b128 v[5:8], v21 offset:784
	s_wait_loadcnt_dscnt 0x1
	v_mul_f32_e32 v161, v1, v10
	v_mul_f32_e32 v163, v3, v12
	s_delay_alu instid0(VALU_DEP_2) | instskip(NEXT) | instid1(VALU_DEP_2)
	v_fmac_f32_e32 v161, v2, v9
	v_dual_mul_f32 v2, v2, v10 :: v_dual_fmac_f32 v163, v4, v11
	s_delay_alu instid0(VALU_DEP_1) | instskip(SKIP_1) | instid1(VALU_DEP_1)
	v_fma_f32 v162, v1, v9, -v2
	v_mul_f32_e32 v1, v4, v12
	v_fma_f32 v164, v3, v11, -v1
	s_clause 0x1
	scratch_load_b128 v[1:4], off, off offset:336
	scratch_load_b128 v[9:12], off, off offset:352
	s_wait_loadcnt_dscnt 0x100
	v_mul_f32_e32 v165, v5, v2
	v_dual_mul_f32 v2, v6, v2 :: v_dual_mul_f32 v167, v7, v4
	s_delay_alu instid0(VALU_DEP_2) | instskip(NEXT) | instid1(VALU_DEP_2)
	v_fmac_f32_e32 v165, v6, v1
	v_fma_f32 v166, v5, v1, -v2
	v_mul_f32_e32 v1, v8, v4
	s_delay_alu instid0(VALU_DEP_4) | instskip(NEXT) | instid1(VALU_DEP_2)
	v_fmac_f32_e32 v167, v8, v3
	v_fma_f32 v168, v7, v3, -v1
	ds_load_b128 v[1:4], v21 offset:800
	ds_load_b128 v[5:8], v21 offset:816
	s_wait_loadcnt_dscnt 0x1
	v_mul_f32_e32 v169, v1, v10
	v_mul_f32_e32 v171, v3, v12
	s_delay_alu instid0(VALU_DEP_2) | instskip(NEXT) | instid1(VALU_DEP_2)
	v_fmac_f32_e32 v169, v2, v9
	v_dual_mul_f32 v2, v2, v10 :: v_dual_fmac_f32 v171, v4, v11
	s_delay_alu instid0(VALU_DEP_1) | instskip(SKIP_1) | instid1(VALU_DEP_1)
	v_fma_f32 v170, v1, v9, -v2
	v_mul_f32_e32 v1, v4, v12
	v_fma_f32 v172, v3, v11, -v1
	s_clause 0x1
	scratch_load_b128 v[1:4], off, off offset:368
	scratch_load_b128 v[9:12], off, off offset:384
	s_wait_loadcnt_dscnt 0x100
	v_mul_f32_e32 v173, v5, v2
	v_dual_mul_f32 v2, v6, v2 :: v_dual_mul_f32 v175, v7, v4
	s_delay_alu instid0(VALU_DEP_1) | instskip(NEXT) | instid1(VALU_DEP_2)
	v_fma_f32 v174, v5, v1, -v2
	v_dual_fmac_f32 v175, v8, v3 :: v_dual_add_f32 v2, 0, v150
	s_delay_alu instid0(VALU_DEP_1) | instskip(NEXT) | instid1(VALU_DEP_1)
	v_add_f32_e32 v2, v2, v151
	v_add_f32_e32 v2, v2, v24
	s_delay_alu instid0(VALU_DEP_1) | instskip(NEXT) | instid1(VALU_DEP_1)
	v_add_f32_e32 v2, v2, v25
	v_add_f32_e32 v2, v2, v26
	;; [unrolled: 3-line block ×5, first 2 shown]
	v_fmac_f32_e32 v173, v6, v1
	v_mul_f32_e32 v1, v8, v4
	s_delay_alu instid0(VALU_DEP_1) | instskip(SKIP_1) | instid1(VALU_DEP_1)
	v_fma_f32 v176, v7, v3, -v1
	v_add_f32_e32 v1, 0, v22
	v_add_f32_e32 v1, v1, v23
	s_delay_alu instid0(VALU_DEP_1) | instskip(NEXT) | instid1(VALU_DEP_1)
	v_add_f32_e32 v1, v1, v28
	v_add_f32_e32 v1, v1, v29
	s_delay_alu instid0(VALU_DEP_1) | instskip(NEXT) | instid1(VALU_DEP_1)
	;; [unrolled: 3-line block ×3, first 2 shown]
	v_add_f32_e32 v1, v1, v13
	v_add_f32_e32 v1, v1, v14
	;; [unrolled: 1-line block ×3, first 2 shown]
	s_delay_alu instid0(VALU_DEP_1) | instskip(NEXT) | instid1(VALU_DEP_1)
	v_dual_add_f32 v1, v1, v16 :: v_dual_add_f32 v14, v14, v153
	v_add_f32_e32 v6, v1, v17
	ds_load_b128 v[1:4], v21 offset:832
	v_add_f32_e32 v14, v14, v154
	v_add_f32_e32 v6, v6, v146
	s_delay_alu instid0(VALU_DEP_2) | instskip(NEXT) | instid1(VALU_DEP_2)
	v_add_f32_e32 v17, v14, v157
	v_add_f32_e32 v13, v6, v147
	ds_load_b128 v[5:8], v21 offset:848
	s_wait_loadcnt_dscnt 0x1
	v_dual_mul_f32 v26, v3, v12 :: v_dual_mul_f32 v25, v1, v10
	v_mul_f32_e32 v10, v2, v10
	v_mul_f32_e32 v12, v4, v12
	s_delay_alu instid0(VALU_DEP_3) | instskip(NEXT) | instid1(VALU_DEP_3)
	v_dual_fmac_f32 v26, v4, v11 :: v_dual_fmac_f32 v25, v2, v9
	v_fma_f32 v28, v1, v9, -v10
	s_delay_alu instid0(VALU_DEP_3)
	v_fma_f32 v29, v3, v11, -v12
	s_clause 0x1
	scratch_load_b128 v[1:4], off, off offset:400
	scratch_load_b128 v[9:12], off, off offset:416
	s_wait_loadcnt_dscnt 0x100
	v_mul_f32_e32 v144, v5, v2
	v_add_f32_e32 v13, v13, v155
	v_dual_mul_f32 v145, v7, v4 :: v_dual_mul_f32 v2, v6, v2
	v_mul_f32_e32 v4, v8, v4
	s_delay_alu instid0(VALU_DEP_3) | instskip(NEXT) | instid1(VALU_DEP_3)
	v_dual_fmac_f32 v144, v6, v1 :: v_dual_add_f32 v13, v13, v156
	v_fma_f32 v2, v5, v1, -v2
	s_delay_alu instid0(VALU_DEP_2) | instskip(NEXT) | instid1(VALU_DEP_1)
	v_add_f32_e32 v13, v13, v158
	v_add_f32_e32 v18, v13, v160
	scratch_load_b128 v[13:16], off, off offset:432
	v_add_f32_e32 v18, v18, v162
	s_delay_alu instid0(VALU_DEP_1) | instskip(NEXT) | instid1(VALU_DEP_1)
	v_add_f32_e32 v18, v18, v164
	v_dual_add_f32 v22, v18, v166 :: v_dual_add_f32 v17, v17, v159
	s_delay_alu instid0(VALU_DEP_1) | instskip(NEXT) | instid1(VALU_DEP_1)
	v_dual_add_f32 v30, v22, v168 :: v_dual_add_f32 v17, v17, v161
	v_dual_add_f32 v30, v30, v170 :: v_dual_add_f32 v17, v17, v163
	s_delay_alu instid0(VALU_DEP_1) | instskip(SKIP_4) | instid1(VALU_DEP_1)
	v_dual_add_f32 v30, v30, v172 :: v_dual_add_f32 v23, v17, v165
	ds_load_b128 v[17:20], v21 offset:864
	v_dual_add_f32 v30, v30, v174 :: v_dual_add_f32 v31, v23, v167
	ds_load_b128 v[21:24], v21 offset:880
	v_add_f32_e32 v30, v30, v176
	v_add_f32_e32 v28, v30, v28
	s_wait_loadcnt_dscnt 0x101
	s_delay_alu instid0(VALU_DEP_1) | instskip(SKIP_4) | instid1(VALU_DEP_4)
	v_dual_add_f32 v1, v28, v29 :: v_dual_mul_f32 v146, v17, v10
	v_add_f32_e32 v31, v31, v169
	v_fmac_f32_e32 v145, v8, v3
	v_fma_f32 v3, v7, v3, -v4
	v_mul_f32_e32 v4, v20, v12
	v_dual_fmac_f32 v146, v18, v9 :: v_dual_add_f32 v31, v31, v171
	v_dual_mul_f32 v147, v19, v12 :: v_dual_mul_f32 v6, v18, v10
	s_delay_alu instid0(VALU_DEP_3) | instskip(SKIP_1) | instid1(VALU_DEP_4)
	v_fma_f32 v4, v19, v11, -v4
	v_add_f32_e32 v1, v1, v2
	v_add_f32_e32 v31, v31, v173
	s_delay_alu instid0(VALU_DEP_1) | instskip(NEXT) | instid1(VALU_DEP_1)
	v_add_f32_e32 v31, v31, v175
	v_add_f32_e32 v25, v31, v25
	s_delay_alu instid0(VALU_DEP_1) | instskip(NEXT) | instid1(VALU_DEP_1)
	v_add_f32_e32 v5, v25, v26
	v_add_f32_e32 v2, v5, v144
	v_fma_f32 v5, v17, v9, -v6
	s_delay_alu instid0(VALU_DEP_2) | instskip(NEXT) | instid1(VALU_DEP_1)
	v_dual_add_f32 v2, v2, v145 :: v_dual_add_f32 v1, v1, v3
	v_add_f32_e32 v2, v2, v146
	s_wait_loadcnt_dscnt 0x0
	v_mul_f32_e32 v30, v23, v16
	v_dual_mul_f32 v150, v21, v14 :: v_dual_fmac_f32 v147, v20, v11
	s_delay_alu instid0(VALU_DEP_2) | instskip(NEXT) | instid1(VALU_DEP_2)
	v_dual_mul_f32 v3, v22, v14 :: v_dual_fmac_f32 v30, v24, v15
	v_fmac_f32_e32 v150, v22, v13
	s_delay_alu instid0(VALU_DEP_3) | instskip(SKIP_1) | instid1(VALU_DEP_4)
	v_dual_add_f32 v1, v1, v5 :: v_dual_add_f32 v2, v2, v147
	v_mul_f32_e32 v5, v24, v16
	v_fma_f32 v3, v21, v13, -v3
	s_delay_alu instid0(VALU_DEP_3) | instskip(NEXT) | instid1(VALU_DEP_3)
	v_dual_add_f32 v2, v2, v150 :: v_dual_add_f32 v1, v1, v4
	v_fma_f32 v4, v23, v15, -v5
	s_delay_alu instid0(VALU_DEP_2) | instskip(NEXT) | instid1(VALU_DEP_1)
	v_dual_add_f32 v2, v2, v30 :: v_dual_add_f32 v1, v1, v3
	v_sub_f32_e32 v2, v149, v2
	s_delay_alu instid0(VALU_DEP_2) | instskip(NEXT) | instid1(VALU_DEP_1)
	v_add_f32_e32 v1, v1, v4
	v_sub_f32_e32 v1, v148, v1
	scratch_store_b64 off, v[1:2], off offset:184
	v_cmpx_lt_u32_e32 22, v0
	s_cbranch_execz .LBB55_305
; %bb.304:
	scratch_load_b64 v[1:2], off, off offset:176
	v_mov_b32_e32 v3, 0
	s_delay_alu instid0(VALU_DEP_1)
	v_mov_b32_e32 v4, v3
	scratch_store_b64 off, v[3:4], off offset:176
	s_wait_loadcnt 0x0
	ds_store_b64 v27, v[1:2]
.LBB55_305:
	s_wait_alu 0xfffe
	s_or_b32 exec_lo, exec_lo, s0
	s_wait_storecnt_dscnt 0x0
	s_barrier_signal -1
	s_barrier_wait -1
	global_inv scope:SCOPE_SE
	s_clause 0x4
	scratch_load_b128 v[5:8], off, off offset:184
	scratch_load_b128 v[1:4], off, off offset:200
	;; [unrolled: 1-line block ×5, first 2 shown]
	v_mov_b32_e32 v21, 0
	ds_load_2addr_b64 v[22:25], v21 offset0:79 offset1:80
	ds_load_2addr_b64 v[28:31], v21 offset0:81 offset1:82
	;; [unrolled: 1-line block ×3, first 2 shown]
	scratch_load_b64 v[148:149], off, off offset:176
	s_mov_b32 s0, exec_lo
	s_wait_loadcnt_dscnt 0x502
	v_dual_mul_f32 v150, v22, v6 :: v_dual_mul_f32 v151, v24, v8
	v_mul_f32_e32 v26, v23, v6
	v_mul_f32_e32 v6, v25, v8
	s_wait_loadcnt_dscnt 0x300
	v_mul_f32_e32 v152, v146, v12
	v_dual_fmac_f32 v150, v23, v5 :: v_dual_fmac_f32 v151, v25, v7
	v_mul_f32_e32 v25, v30, v4
	v_fma_f32 v22, v22, v5, -v26
	v_mul_f32_e32 v26, v144, v10
	v_mul_f32_e32 v4, v31, v4
	s_delay_alu instid0(VALU_DEP_4)
	v_dual_mul_f32 v10, v145, v10 :: v_dual_fmac_f32 v25, v31, v3
	v_fma_f32 v23, v24, v7, -v6
	ds_load_2addr_b64 v[5:8], v21 offset0:85 offset1:86
	v_mul_f32_e32 v24, v28, v2
	v_mul_f32_e32 v12, v147, v12
	;; [unrolled: 1-line block ×3, first 2 shown]
	v_fmac_f32_e32 v26, v145, v9
	v_fmac_f32_e32 v152, v147, v11
	;; [unrolled: 1-line block ×3, first 2 shown]
	v_fma_f32 v29, v30, v3, -v4
	v_fma_f32 v30, v144, v9, -v10
	v_fma_f32 v31, v146, v11, -v12
	ds_load_2addr_b64 v[9:12], v21 offset0:87 offset1:88
	s_wait_loadcnt_dscnt 0x201
	v_dual_mul_f32 v145, v7, v16 :: v_dual_mul_f32 v144, v5, v14
	v_mul_f32_e32 v14, v6, v14
	v_mul_f32_e32 v16, v8, v16
	s_delay_alu instid0(VALU_DEP_3)
	v_fmac_f32_e32 v145, v8, v15
	v_fma_f32 v28, v28, v1, -v2
	scratch_load_b128 v[1:4], off, off offset:264
	v_fmac_f32_e32 v144, v6, v13
	v_fma_f32 v13, v5, v13, -v14
	v_fma_f32 v14, v7, v15, -v16
	s_wait_loadcnt_dscnt 0x200
	v_mul_f32_e32 v15, v9, v18
	v_mul_f32_e32 v16, v10, v18
	;; [unrolled: 1-line block ×4, first 2 shown]
	ds_load_2addr_b64 v[5:8], v21 offset0:89 offset1:90
	v_fmac_f32_e32 v15, v10, v17
	v_fma_f32 v16, v9, v17, -v16
	v_fmac_f32_e32 v18, v12, v19
	v_fma_f32 v17, v11, v19, -v20
	scratch_load_b128 v[9:12], off, off offset:280
	s_wait_loadcnt_dscnt 0x100
	v_mul_f32_e32 v19, v5, v2
	v_mul_f32_e32 v2, v6, v2
	;; [unrolled: 1-line block ×3, first 2 shown]
	s_delay_alu instid0(VALU_DEP_3) | instskip(NEXT) | instid1(VALU_DEP_3)
	v_dual_mul_f32 v4, v8, v4 :: v_dual_fmac_f32 v19, v6, v1
	v_fma_f32 v146, v5, v1, -v2
	s_delay_alu instid0(VALU_DEP_3) | instskip(NEXT) | instid1(VALU_DEP_3)
	v_fmac_f32_e32 v20, v8, v3
	v_fma_f32 v147, v7, v3, -v4
	ds_load_2addr_b64 v[1:4], v21 offset0:91 offset1:92
	ds_load_2addr_b64 v[5:8], v21 offset0:93 offset1:94
	s_wait_loadcnt_dscnt 0x1
	v_mul_f32_e32 v153, v1, v10
	v_mul_f32_e32 v10, v2, v10
	s_delay_alu instid0(VALU_DEP_2) | instskip(NEXT) | instid1(VALU_DEP_2)
	v_dual_mul_f32 v154, v3, v12 :: v_dual_fmac_f32 v153, v2, v9
	v_fma_f32 v155, v1, v9, -v10
	v_mul_f32_e32 v1, v4, v12
	s_delay_alu instid0(VALU_DEP_3) | instskip(NEXT) | instid1(VALU_DEP_2)
	v_fmac_f32_e32 v154, v4, v11
	v_fma_f32 v156, v3, v11, -v1
	s_clause 0x1
	scratch_load_b128 v[1:4], off, off offset:296
	scratch_load_b128 v[9:12], off, off offset:312
	s_wait_loadcnt_dscnt 0x100
	v_mul_f32_e32 v157, v5, v2
	v_dual_mul_f32 v2, v6, v2 :: v_dual_mul_f32 v159, v7, v4
	s_delay_alu instid0(VALU_DEP_2) | instskip(NEXT) | instid1(VALU_DEP_2)
	v_fmac_f32_e32 v157, v6, v1
	v_fma_f32 v158, v5, v1, -v2
	v_mul_f32_e32 v1, v8, v4
	s_delay_alu instid0(VALU_DEP_4) | instskip(NEXT) | instid1(VALU_DEP_2)
	v_fmac_f32_e32 v159, v8, v3
	v_fma_f32 v160, v7, v3, -v1
	ds_load_2addr_b64 v[1:4], v21 offset0:95 offset1:96
	ds_load_2addr_b64 v[5:8], v21 offset0:97 offset1:98
	s_wait_loadcnt_dscnt 0x1
	v_mul_f32_e32 v161, v1, v10
	v_mul_f32_e32 v163, v3, v12
	s_delay_alu instid0(VALU_DEP_2) | instskip(NEXT) | instid1(VALU_DEP_2)
	v_fmac_f32_e32 v161, v2, v9
	v_dual_mul_f32 v2, v2, v10 :: v_dual_fmac_f32 v163, v4, v11
	s_delay_alu instid0(VALU_DEP_1) | instskip(SKIP_1) | instid1(VALU_DEP_1)
	v_fma_f32 v162, v1, v9, -v2
	v_mul_f32_e32 v1, v4, v12
	v_fma_f32 v164, v3, v11, -v1
	s_clause 0x1
	scratch_load_b128 v[1:4], off, off offset:328
	scratch_load_b128 v[9:12], off, off offset:344
	s_wait_loadcnt_dscnt 0x100
	v_mul_f32_e32 v165, v5, v2
	v_dual_mul_f32 v2, v6, v2 :: v_dual_mul_f32 v167, v7, v4
	s_delay_alu instid0(VALU_DEP_2) | instskip(NEXT) | instid1(VALU_DEP_2)
	v_fmac_f32_e32 v165, v6, v1
	v_fma_f32 v166, v5, v1, -v2
	v_mul_f32_e32 v1, v8, v4
	s_delay_alu instid0(VALU_DEP_4) | instskip(NEXT) | instid1(VALU_DEP_2)
	v_fmac_f32_e32 v167, v8, v3
	v_fma_f32 v168, v7, v3, -v1
	ds_load_2addr_b64 v[1:4], v21 offset0:99 offset1:100
	ds_load_2addr_b64 v[5:8], v21 offset0:101 offset1:102
	s_wait_loadcnt_dscnt 0x1
	v_mul_f32_e32 v169, v1, v10
	v_mul_f32_e32 v171, v3, v12
	s_delay_alu instid0(VALU_DEP_2) | instskip(NEXT) | instid1(VALU_DEP_2)
	v_fmac_f32_e32 v169, v2, v9
	v_dual_mul_f32 v2, v2, v10 :: v_dual_fmac_f32 v171, v4, v11
	s_delay_alu instid0(VALU_DEP_1) | instskip(SKIP_1) | instid1(VALU_DEP_1)
	v_fma_f32 v170, v1, v9, -v2
	v_mul_f32_e32 v1, v4, v12
	v_fma_f32 v172, v3, v11, -v1
	s_clause 0x1
	scratch_load_b128 v[1:4], off, off offset:360
	scratch_load_b128 v[9:12], off, off offset:376
	s_wait_loadcnt_dscnt 0x100
	v_mul_f32_e32 v173, v5, v2
	v_dual_mul_f32 v2, v6, v2 :: v_dual_mul_f32 v175, v7, v4
	s_delay_alu instid0(VALU_DEP_1) | instskip(SKIP_1) | instid1(VALU_DEP_1)
	v_fma_f32 v174, v5, v1, -v2
	v_add_f32_e32 v2, 0, v150
	v_add_f32_e32 v2, v2, v151
	s_delay_alu instid0(VALU_DEP_1) | instskip(NEXT) | instid1(VALU_DEP_1)
	v_dual_fmac_f32 v175, v8, v3 :: v_dual_add_f32 v2, v2, v24
	v_add_f32_e32 v2, v2, v25
	s_delay_alu instid0(VALU_DEP_1) | instskip(NEXT) | instid1(VALU_DEP_1)
	v_add_f32_e32 v2, v2, v26
	v_add_f32_e32 v2, v2, v152
	s_delay_alu instid0(VALU_DEP_1) | instskip(NEXT) | instid1(VALU_DEP_1)
	v_add_f32_e32 v2, v2, v144
	;; [unrolled: 3-line block ×3, first 2 shown]
	v_add_f32_e32 v5, v5, v18
	s_delay_alu instid0(VALU_DEP_1) | instskip(SKIP_2) | instid1(VALU_DEP_1)
	v_add_f32_e32 v5, v5, v19
	v_fmac_f32_e32 v173, v6, v1
	v_mul_f32_e32 v1, v8, v4
	v_fma_f32 v176, v7, v3, -v1
	v_add_f32_e32 v1, 0, v22
	s_delay_alu instid0(VALU_DEP_1) | instskip(NEXT) | instid1(VALU_DEP_1)
	v_add_f32_e32 v1, v1, v23
	v_add_f32_e32 v1, v1, v28
	s_delay_alu instid0(VALU_DEP_1) | instskip(SKIP_2) | instid1(VALU_DEP_1)
	v_add_f32_e32 v1, v1, v29
	scratch_load_b64 v[28:29], off, off offset:440
	v_add_f32_e32 v1, v1, v30
	v_add_f32_e32 v1, v1, v31
	s_delay_alu instid0(VALU_DEP_1) | instskip(NEXT) | instid1(VALU_DEP_1)
	v_add_f32_e32 v1, v1, v13
	v_add_f32_e32 v1, v1, v14
	;; [unrolled: 1-line block ×3, first 2 shown]
	s_delay_alu instid0(VALU_DEP_1) | instskip(NEXT) | instid1(VALU_DEP_1)
	v_dual_add_f32 v1, v1, v16 :: v_dual_add_f32 v14, v14, v153
	v_add_f32_e32 v6, v1, v17
	ds_load_2addr_b64 v[1:4], v21 offset0:103 offset1:104
	v_add_f32_e32 v14, v14, v154
	v_add_f32_e32 v6, v6, v146
	s_delay_alu instid0(VALU_DEP_1)
	v_add_f32_e32 v13, v6, v147
	ds_load_2addr_b64 v[5:8], v21 offset0:105 offset1:106
	s_wait_loadcnt_dscnt 0x101
	v_mul_f32_e32 v26, v1, v10
	v_dual_add_f32 v13, v13, v155 :: v_dual_mul_f32 v10, v2, v10
	v_mul_f32_e32 v144, v3, v12
	v_mul_f32_e32 v12, v4, v12
	s_delay_alu instid0(VALU_DEP_3) | instskip(NEXT) | instid1(VALU_DEP_4)
	v_dual_fmac_f32 v26, v2, v9 :: v_dual_add_f32 v13, v13, v156
	v_fma_f32 v145, v1, v9, -v10
	s_delay_alu instid0(VALU_DEP_4) | instskip(NEXT) | instid1(VALU_DEP_4)
	v_fmac_f32_e32 v144, v4, v11
	v_fma_f32 v146, v3, v11, -v12
	s_clause 0x1
	scratch_load_b128 v[1:4], off, off offset:392
	scratch_load_b128 v[9:12], off, off offset:408
	v_add_f32_e32 v13, v13, v158
	s_delay_alu instid0(VALU_DEP_1) | instskip(SKIP_2) | instid1(VALU_DEP_1)
	v_dual_add_f32 v17, v14, v157 :: v_dual_add_f32 v18, v13, v160
	scratch_load_b128 v[13:16], off, off offset:424
	v_add_f32_e32 v18, v18, v162
	v_dual_add_f32 v18, v18, v164 :: v_dual_add_f32 v17, v17, v159
	s_delay_alu instid0(VALU_DEP_1) | instskip(NEXT) | instid1(VALU_DEP_1)
	v_dual_add_f32 v18, v18, v166 :: v_dual_add_f32 v17, v17, v161
	v_dual_add_f32 v18, v18, v168 :: v_dual_add_f32 v17, v17, v163
	s_delay_alu instid0(VALU_DEP_1) | instskip(NEXT) | instid1(VALU_DEP_1)
	v_dual_add_f32 v30, v18, v170 :: v_dual_add_f32 v17, v17, v165
	v_dual_add_f32 v147, v30, v172 :: v_dual_add_f32 v22, v17, v167
	ds_load_2addr_b64 v[17:20], v21 offset0:107 offset1:108
	v_add_f32_e32 v31, v22, v169
	ds_load_2addr_b64 v[22:25], v21 offset0:109 offset1:110
	s_wait_loadcnt_dscnt 0x202
	v_mul_f32_e32 v152, v7, v4
	v_add_f32_e32 v150, v31, v171
	v_add_f32_e32 v147, v147, v174
	ds_load_b64 v[30:31], v21 offset:888
	v_fmac_f32_e32 v152, v8, v3
	v_dual_add_f32 v150, v150, v173 :: v_dual_mul_f32 v151, v5, v2
	v_dual_add_f32 v147, v147, v176 :: v_dual_mul_f32 v2, v6, v2
	v_mul_f32_e32 v4, v8, v4
	s_delay_alu instid0(VALU_DEP_3) | instskip(NEXT) | instid1(VALU_DEP_4)
	v_add_f32_e32 v150, v150, v175
	v_fmac_f32_e32 v151, v6, v1
	s_delay_alu instid0(VALU_DEP_4)
	v_add_f32_e32 v145, v147, v145
	v_fma_f32 v2, v5, v1, -v2
	s_wait_loadcnt_dscnt 0x102
	v_dual_mul_f32 v5, v20, v12 :: v_dual_add_f32 v26, v150, v26
	v_dual_mul_f32 v147, v17, v10 :: v_dual_mul_f32 v150, v19, v12
	v_add_f32_e32 v145, v145, v146
	v_fma_f32 v1, v7, v3, -v4
	s_delay_alu instid0(VALU_DEP_4) | instskip(NEXT) | instid1(VALU_DEP_4)
	v_add_f32_e32 v26, v26, v144
	v_fmac_f32_e32 v147, v18, v9
	v_fma_f32 v5, v19, v11, -v5
	v_add_f32_e32 v2, v145, v2
	s_wait_loadcnt_dscnt 0x1
	v_dual_mul_f32 v153, v22, v14 :: v_dual_mul_f32 v146, v24, v16
	v_add_f32_e32 v4, v26, v151
	v_mul_f32_e32 v3, v18, v10
	v_dual_add_f32 v1, v2, v1 :: v_dual_fmac_f32 v150, v20, v11
	s_delay_alu instid0(VALU_DEP_3) | instskip(NEXT) | instid1(VALU_DEP_3)
	v_dual_fmac_f32 v153, v23, v13 :: v_dual_add_f32 v2, v4, v152
	v_fma_f32 v3, v17, v9, -v3
	v_mul_f32_e32 v4, v23, v14
	s_wait_dscnt 0x0
	s_delay_alu instid0(VALU_DEP_2) | instskip(SKIP_1) | instid1(VALU_DEP_3)
	v_dual_mul_f32 v144, v30, v29 :: v_dual_add_f32 v1, v1, v3
	v_dual_add_f32 v2, v2, v147 :: v_dual_mul_f32 v3, v25, v16
	v_fma_f32 v4, v22, v13, -v4
	s_delay_alu instid0(VALU_DEP_2) | instskip(SKIP_1) | instid1(VALU_DEP_4)
	v_dual_add_f32 v1, v1, v5 :: v_dual_add_f32 v2, v2, v150
	v_mul_f32_e32 v5, v31, v29
	v_fma_f32 v3, v24, v15, -v3
	s_delay_alu instid0(VALU_DEP_3) | instskip(SKIP_1) | instid1(VALU_DEP_4)
	v_dual_add_f32 v1, v1, v4 :: v_dual_add_f32 v2, v2, v153
	v_fmac_f32_e32 v144, v31, v28
	v_fma_f32 v4, v30, v28, -v5
	s_delay_alu instid0(VALU_DEP_3) | instskip(NEXT) | instid1(VALU_DEP_1)
	v_add_f32_e32 v1, v1, v3
	v_add_f32_e32 v1, v1, v4
	s_delay_alu instid0(VALU_DEP_1) | instskip(NEXT) | instid1(VALU_DEP_1)
	v_dual_fmac_f32 v146, v25, v15 :: v_dual_sub_f32 v1, v148, v1
	v_add_f32_e32 v2, v2, v146
	s_delay_alu instid0(VALU_DEP_1) | instskip(NEXT) | instid1(VALU_DEP_1)
	v_add_f32_e32 v2, v2, v144
	v_sub_f32_e32 v2, v149, v2
	scratch_store_b64 off, v[1:2], off offset:176
	v_cmpx_lt_u32_e32 21, v0
	s_cbranch_execz .LBB55_307
; %bb.306:
	scratch_load_b64 v[1:2], off, off offset:168
	v_mov_b32_e32 v22, v21
	scratch_store_b64 off, v[21:22], off offset:168
	s_wait_loadcnt 0x0
	ds_store_b64 v27, v[1:2]
.LBB55_307:
	s_wait_alu 0xfffe
	s_or_b32 exec_lo, exec_lo, s0
	s_wait_storecnt_dscnt 0x0
	s_barrier_signal -1
	s_barrier_wait -1
	global_inv scope:SCOPE_SE
	s_clause 0x4
	scratch_load_b128 v[5:8], off, off offset:176
	scratch_load_b128 v[1:4], off, off offset:192
	;; [unrolled: 1-line block ×5, first 2 shown]
	ds_load_b128 v[22:25], v21 offset:624
	ds_load_b128 v[28:31], v21 offset:640
	;; [unrolled: 1-line block ×3, first 2 shown]
	scratch_load_b64 v[148:149], off, off offset:168
	s_mov_b32 s0, exec_lo
	s_wait_loadcnt_dscnt 0x502
	v_dual_mul_f32 v26, v23, v6 :: v_dual_mul_f32 v151, v24, v8
	v_mul_f32_e32 v150, v22, v6
	v_mul_f32_e32 v6, v25, v8
	s_wait_loadcnt_dscnt 0x300
	v_mul_f32_e32 v152, v146, v12
	v_fma_f32 v22, v22, v5, -v26
	v_dual_fmac_f32 v151, v25, v7 :: v_dual_fmac_f32 v150, v23, v5
	v_mul_f32_e32 v25, v30, v4
	v_mul_f32_e32 v4, v31, v4
	;; [unrolled: 1-line block ×5, first 2 shown]
	v_fmac_f32_e32 v25, v31, v3
	v_fma_f32 v23, v24, v7, -v6
	ds_load_b128 v[5:8], v21 offset:672
	v_mul_f32_e32 v24, v28, v2
	v_mul_f32_e32 v2, v29, v2
	v_fmac_f32_e32 v26, v145, v9
	v_fmac_f32_e32 v152, v147, v11
	v_fma_f32 v31, v146, v11, -v12
	v_fmac_f32_e32 v24, v29, v1
	v_fma_f32 v29, v30, v3, -v4
	v_fma_f32 v30, v144, v9, -v10
	ds_load_b128 v[9:12], v21 offset:688
	s_wait_loadcnt_dscnt 0x201
	v_dual_mul_f32 v145, v7, v16 :: v_dual_mul_f32 v144, v5, v14
	v_mul_f32_e32 v14, v6, v14
	v_mul_f32_e32 v16, v8, v16
	s_delay_alu instid0(VALU_DEP_3)
	v_fmac_f32_e32 v145, v8, v15
	v_fma_f32 v28, v28, v1, -v2
	scratch_load_b128 v[1:4], off, off offset:256
	v_fmac_f32_e32 v144, v6, v13
	v_fma_f32 v13, v5, v13, -v14
	v_fma_f32 v14, v7, v15, -v16
	s_wait_loadcnt_dscnt 0x200
	v_mul_f32_e32 v15, v9, v18
	v_mul_f32_e32 v16, v10, v18
	;; [unrolled: 1-line block ×4, first 2 shown]
	ds_load_b128 v[5:8], v21 offset:704
	v_fmac_f32_e32 v15, v10, v17
	v_fma_f32 v16, v9, v17, -v16
	v_fmac_f32_e32 v18, v12, v19
	v_fma_f32 v17, v11, v19, -v20
	scratch_load_b128 v[9:12], off, off offset:272
	s_wait_loadcnt_dscnt 0x100
	v_mul_f32_e32 v19, v5, v2
	v_mul_f32_e32 v2, v6, v2
	;; [unrolled: 1-line block ×3, first 2 shown]
	s_delay_alu instid0(VALU_DEP_3) | instskip(NEXT) | instid1(VALU_DEP_3)
	v_dual_mul_f32 v4, v8, v4 :: v_dual_fmac_f32 v19, v6, v1
	v_fma_f32 v146, v5, v1, -v2
	s_delay_alu instid0(VALU_DEP_3) | instskip(NEXT) | instid1(VALU_DEP_3)
	v_fmac_f32_e32 v20, v8, v3
	v_fma_f32 v147, v7, v3, -v4
	ds_load_b128 v[1:4], v21 offset:720
	ds_load_b128 v[5:8], v21 offset:736
	s_wait_loadcnt_dscnt 0x1
	v_mul_f32_e32 v153, v1, v10
	v_mul_f32_e32 v10, v2, v10
	s_delay_alu instid0(VALU_DEP_2) | instskip(NEXT) | instid1(VALU_DEP_2)
	v_dual_mul_f32 v154, v3, v12 :: v_dual_fmac_f32 v153, v2, v9
	v_fma_f32 v155, v1, v9, -v10
	v_mul_f32_e32 v1, v4, v12
	s_delay_alu instid0(VALU_DEP_3) | instskip(NEXT) | instid1(VALU_DEP_2)
	v_fmac_f32_e32 v154, v4, v11
	v_fma_f32 v156, v3, v11, -v1
	s_clause 0x1
	scratch_load_b128 v[1:4], off, off offset:288
	scratch_load_b128 v[9:12], off, off offset:304
	s_wait_loadcnt_dscnt 0x100
	v_mul_f32_e32 v157, v5, v2
	v_dual_mul_f32 v2, v6, v2 :: v_dual_mul_f32 v159, v7, v4
	s_delay_alu instid0(VALU_DEP_2) | instskip(NEXT) | instid1(VALU_DEP_2)
	v_fmac_f32_e32 v157, v6, v1
	v_fma_f32 v158, v5, v1, -v2
	v_mul_f32_e32 v1, v8, v4
	s_delay_alu instid0(VALU_DEP_4) | instskip(NEXT) | instid1(VALU_DEP_2)
	v_fmac_f32_e32 v159, v8, v3
	v_fma_f32 v160, v7, v3, -v1
	ds_load_b128 v[1:4], v21 offset:752
	ds_load_b128 v[5:8], v21 offset:768
	s_wait_loadcnt_dscnt 0x1
	v_mul_f32_e32 v161, v1, v10
	v_mul_f32_e32 v163, v3, v12
	s_delay_alu instid0(VALU_DEP_2) | instskip(NEXT) | instid1(VALU_DEP_2)
	v_fmac_f32_e32 v161, v2, v9
	v_dual_mul_f32 v2, v2, v10 :: v_dual_fmac_f32 v163, v4, v11
	s_delay_alu instid0(VALU_DEP_1) | instskip(SKIP_1) | instid1(VALU_DEP_1)
	v_fma_f32 v162, v1, v9, -v2
	v_mul_f32_e32 v1, v4, v12
	v_fma_f32 v164, v3, v11, -v1
	s_clause 0x1
	scratch_load_b128 v[1:4], off, off offset:320
	scratch_load_b128 v[9:12], off, off offset:336
	s_wait_loadcnt_dscnt 0x100
	v_mul_f32_e32 v165, v5, v2
	v_dual_mul_f32 v2, v6, v2 :: v_dual_mul_f32 v167, v7, v4
	s_delay_alu instid0(VALU_DEP_2) | instskip(NEXT) | instid1(VALU_DEP_2)
	v_fmac_f32_e32 v165, v6, v1
	v_fma_f32 v166, v5, v1, -v2
	v_mul_f32_e32 v1, v8, v4
	s_delay_alu instid0(VALU_DEP_4) | instskip(NEXT) | instid1(VALU_DEP_2)
	v_fmac_f32_e32 v167, v8, v3
	v_fma_f32 v168, v7, v3, -v1
	ds_load_b128 v[1:4], v21 offset:784
	ds_load_b128 v[5:8], v21 offset:800
	s_wait_loadcnt_dscnt 0x1
	v_mul_f32_e32 v169, v1, v10
	v_mul_f32_e32 v171, v3, v12
	s_delay_alu instid0(VALU_DEP_2) | instskip(NEXT) | instid1(VALU_DEP_2)
	v_fmac_f32_e32 v169, v2, v9
	v_dual_mul_f32 v2, v2, v10 :: v_dual_fmac_f32 v171, v4, v11
	s_delay_alu instid0(VALU_DEP_1) | instskip(SKIP_1) | instid1(VALU_DEP_1)
	v_fma_f32 v170, v1, v9, -v2
	v_mul_f32_e32 v1, v4, v12
	v_fma_f32 v172, v3, v11, -v1
	s_clause 0x1
	scratch_load_b128 v[1:4], off, off offset:352
	scratch_load_b128 v[9:12], off, off offset:368
	s_wait_loadcnt_dscnt 0x100
	v_mul_f32_e32 v173, v5, v2
	v_dual_mul_f32 v2, v6, v2 :: v_dual_mul_f32 v175, v7, v4
	s_delay_alu instid0(VALU_DEP_1) | instskip(NEXT) | instid1(VALU_DEP_2)
	v_fma_f32 v174, v5, v1, -v2
	v_dual_fmac_f32 v175, v8, v3 :: v_dual_add_f32 v2, 0, v150
	s_delay_alu instid0(VALU_DEP_1) | instskip(SKIP_1) | instid1(VALU_DEP_2)
	v_add_f32_e32 v2, v2, v151
	v_fmac_f32_e32 v173, v6, v1
	v_add_f32_e32 v2, v2, v24
	s_delay_alu instid0(VALU_DEP_1) | instskip(NEXT) | instid1(VALU_DEP_1)
	v_dual_mul_f32 v1, v8, v4 :: v_dual_add_f32 v2, v2, v25
	v_fma_f32 v176, v7, v3, -v1
	s_delay_alu instid0(VALU_DEP_2) | instskip(NEXT) | instid1(VALU_DEP_1)
	v_add_f32_e32 v2, v2, v26
	v_dual_add_f32 v1, 0, v22 :: v_dual_add_f32 v2, v2, v152
	s_delay_alu instid0(VALU_DEP_1) | instskip(NEXT) | instid1(VALU_DEP_1)
	v_dual_add_f32 v1, v1, v23 :: v_dual_add_f32 v2, v2, v144
	v_dual_add_f32 v1, v1, v28 :: v_dual_add_f32 v2, v2, v145
	s_delay_alu instid0(VALU_DEP_1) | instskip(NEXT) | instid1(VALU_DEP_1)
	v_dual_add_f32 v1, v1, v29 :: v_dual_add_f32 v2, v2, v15
	v_add_f32_e32 v1, v1, v30
	s_delay_alu instid0(VALU_DEP_2) | instskip(NEXT) | instid1(VALU_DEP_2)
	v_add_f32_e32 v5, v2, v18
	v_add_f32_e32 v1, v1, v31
	s_delay_alu instid0(VALU_DEP_1) | instskip(NEXT) | instid1(VALU_DEP_3)
	v_add_f32_e32 v1, v1, v13
	v_add_f32_e32 v13, v5, v19
	s_delay_alu instid0(VALU_DEP_2) | instskip(NEXT) | instid1(VALU_DEP_1)
	v_add_f32_e32 v1, v1, v14
	v_add_f32_e32 v1, v1, v16
	s_delay_alu instid0(VALU_DEP_1) | instskip(NEXT) | instid1(VALU_DEP_1)
	v_add_f32_e32 v1, v1, v17
	v_add_f32_e32 v6, v1, v146
	ds_load_b128 v[1:4], v21 offset:816
	v_dual_add_f32 v13, v13, v20 :: v_dual_add_f32 v14, v6, v147
	scratch_load_b128 v[5:8], off, off offset:384
	v_dual_add_f32 v13, v13, v153 :: v_dual_add_f32 v14, v14, v155
	s_delay_alu instid0(VALU_DEP_1) | instskip(SKIP_4) | instid1(VALU_DEP_2)
	v_dual_add_f32 v18, v13, v154 :: v_dual_add_f32 v17, v14, v156
	ds_load_b128 v[13:16], v21 offset:832
	v_add_f32_e32 v18, v18, v157
	s_wait_loadcnt_dscnt 0x101
	v_mul_f32_e32 v26, v3, v12
	v_dual_add_f32 v18, v18, v159 :: v_dual_add_f32 v17, v17, v158
	v_mul_f32_e32 v12, v4, v12
	s_delay_alu instid0(VALU_DEP_3) | instskip(NEXT) | instid1(VALU_DEP_3)
	v_fmac_f32_e32 v26, v4, v11
	v_dual_add_f32 v22, v18, v161 :: v_dual_mul_f32 v25, v1, v10
	v_mul_f32_e32 v10, v2, v10
	s_delay_alu instid0(VALU_DEP_4) | instskip(NEXT) | instid1(VALU_DEP_3)
	v_fma_f32 v29, v3, v11, -v12
	v_add_f32_e32 v22, v22, v163
	s_delay_alu instid0(VALU_DEP_4) | instskip(NEXT) | instid1(VALU_DEP_4)
	v_fmac_f32_e32 v25, v2, v9
	v_fma_f32 v28, v1, v9, -v10
	scratch_load_b128 v[1:4], off, off offset:400
	v_add_f32_e32 v17, v17, v160
	scratch_load_b128 v[9:12], off, off offset:416
	v_add_f32_e32 v22, v22, v165
	s_wait_loadcnt_dscnt 0x200
	v_mul_f32_e32 v30, v13, v6
	v_mul_f32_e32 v6, v14, v6
	v_add_f32_e32 v17, v17, v162
	v_mul_f32_e32 v31, v15, v8
	v_mul_f32_e32 v8, v16, v8
	v_fmac_f32_e32 v30, v14, v5
	v_fma_f32 v144, v13, v5, -v6
	v_add_f32_e32 v23, v17, v164
	scratch_load_b128 v[17:20], off, off offset:432
	v_fma_f32 v145, v15, v7, -v8
	v_add_f32_e32 v23, v23, v166
	s_delay_alu instid0(VALU_DEP_1) | instskip(NEXT) | instid1(VALU_DEP_1)
	v_add_f32_e32 v23, v23, v168
	v_dual_add_f32 v13, v22, v167 :: v_dual_add_f32 v22, v23, v170
	s_delay_alu instid0(VALU_DEP_1) | instskip(NEXT) | instid1(VALU_DEP_1)
	v_dual_add_f32 v23, v13, v169 :: v_dual_add_f32 v146, v22, v172
	v_dual_add_f32 v146, v146, v174 :: v_dual_fmac_f32 v31, v16, v7
	ds_load_b128 v[5:8], v21 offset:848
	ds_load_b128 v[13:16], v21 offset:864
	v_dual_add_f32 v146, v146, v176 :: v_dual_add_f32 v147, v23, v171
	ds_load_b128 v[21:24], v21 offset:880
	v_dual_add_f32 v28, v146, v28 :: v_dual_add_f32 v147, v147, v173
	s_delay_alu instid0(VALU_DEP_1) | instskip(SKIP_1) | instid1(VALU_DEP_1)
	v_dual_add_f32 v28, v28, v29 :: v_dual_add_f32 v147, v147, v175
	s_wait_loadcnt_dscnt 0x202
	v_dual_add_f32 v25, v147, v25 :: v_dual_mul_f32 v150, v5, v2
	v_mul_f32_e32 v2, v6, v2
	s_wait_loadcnt_dscnt 0x101
	v_dual_mul_f32 v146, v7, v4 :: v_dual_mul_f32 v147, v13, v10
	s_delay_alu instid0(VALU_DEP_3) | instskip(SKIP_2) | instid1(VALU_DEP_3)
	v_dual_add_f32 v25, v25, v26 :: v_dual_mul_f32 v4, v8, v4
	v_add_f32_e32 v28, v28, v144
	v_dual_mul_f32 v151, v15, v12 :: v_dual_fmac_f32 v150, v6, v1
	v_add_f32_e32 v25, v25, v30
	v_fma_f32 v2, v5, v1, -v2
	v_fmac_f32_e32 v146, v8, v3
	v_fma_f32 v3, v7, v3, -v4
	s_delay_alu instid0(VALU_DEP_4) | instskip(SKIP_3) | instid1(VALU_DEP_4)
	v_dual_mul_f32 v4, v16, v12 :: v_dual_add_f32 v5, v25, v31
	v_add_f32_e32 v1, v28, v145
	v_fmac_f32_e32 v147, v14, v9
	v_mul_f32_e32 v6, v14, v10
	v_fma_f32 v4, v15, v11, -v4
	s_delay_alu instid0(VALU_DEP_4) | instskip(SKIP_1) | instid1(VALU_DEP_4)
	v_add_f32_e32 v1, v1, v2
	v_add_f32_e32 v2, v5, v150
	v_fma_f32 v5, v13, v9, -v6
	s_delay_alu instid0(VALU_DEP_2) | instskip(NEXT) | instid1(VALU_DEP_1)
	v_dual_add_f32 v1, v1, v3 :: v_dual_add_f32 v2, v2, v146
	v_dual_add_f32 v1, v1, v5 :: v_dual_add_f32 v2, v2, v147
	s_wait_loadcnt_dscnt 0x0
	v_dual_mul_f32 v29, v23, v20 :: v_dual_mul_f32 v26, v21, v18
	v_mul_f32_e32 v3, v22, v18
	v_fmac_f32_e32 v151, v16, v11
	s_delay_alu instid0(VALU_DEP_3) | instskip(NEXT) | instid1(VALU_DEP_2)
	v_dual_fmac_f32 v29, v24, v19 :: v_dual_fmac_f32 v26, v22, v17
	v_dual_mul_f32 v5, v24, v20 :: v_dual_add_f32 v2, v2, v151
	s_delay_alu instid0(VALU_DEP_4) | instskip(SKIP_1) | instid1(VALU_DEP_3)
	v_fma_f32 v3, v21, v17, -v3
	v_add_f32_e32 v1, v1, v4
	v_fma_f32 v4, v23, v19, -v5
	s_delay_alu instid0(VALU_DEP_2) | instskip(NEXT) | instid1(VALU_DEP_1)
	v_dual_add_f32 v2, v2, v26 :: v_dual_add_f32 v1, v1, v3
	v_dual_add_f32 v2, v2, v29 :: v_dual_add_f32 v1, v1, v4
	s_delay_alu instid0(VALU_DEP_1)
	v_dual_sub_f32 v2, v149, v2 :: v_dual_sub_f32 v1, v148, v1
	scratch_store_b64 off, v[1:2], off offset:168
	v_cmpx_lt_u32_e32 20, v0
	s_cbranch_execz .LBB55_309
; %bb.308:
	scratch_load_b64 v[1:2], off, off offset:160
	v_mov_b32_e32 v3, 0
	s_delay_alu instid0(VALU_DEP_1)
	v_mov_b32_e32 v4, v3
	scratch_store_b64 off, v[3:4], off offset:160
	s_wait_loadcnt 0x0
	ds_store_b64 v27, v[1:2]
.LBB55_309:
	s_wait_alu 0xfffe
	s_or_b32 exec_lo, exec_lo, s0
	s_wait_storecnt_dscnt 0x0
	s_barrier_signal -1
	s_barrier_wait -1
	global_inv scope:SCOPE_SE
	s_clause 0x4
	scratch_load_b128 v[5:8], off, off offset:168
	scratch_load_b128 v[1:4], off, off offset:184
	;; [unrolled: 1-line block ×5, first 2 shown]
	v_mov_b32_e32 v21, 0
	ds_load_2addr_b64 v[22:25], v21 offset0:77 offset1:78
	ds_load_2addr_b64 v[28:31], v21 offset0:79 offset1:80
	;; [unrolled: 1-line block ×3, first 2 shown]
	scratch_load_b64 v[148:149], off, off offset:160
	s_mov_b32 s0, exec_lo
	s_wait_loadcnt_dscnt 0x502
	v_dual_mul_f32 v150, v22, v6 :: v_dual_mul_f32 v151, v24, v8
	v_mul_f32_e32 v26, v23, v6
	v_mul_f32_e32 v6, v25, v8
	s_wait_loadcnt_dscnt 0x300
	v_mul_f32_e32 v152, v146, v12
	v_dual_fmac_f32 v150, v23, v5 :: v_dual_fmac_f32 v151, v25, v7
	v_mul_f32_e32 v25, v30, v4
	v_fma_f32 v22, v22, v5, -v26
	v_mul_f32_e32 v26, v144, v10
	v_mul_f32_e32 v4, v31, v4
	s_delay_alu instid0(VALU_DEP_4)
	v_dual_mul_f32 v10, v145, v10 :: v_dual_fmac_f32 v25, v31, v3
	v_fma_f32 v23, v24, v7, -v6
	ds_load_2addr_b64 v[5:8], v21 offset0:83 offset1:84
	v_mul_f32_e32 v24, v28, v2
	v_mul_f32_e32 v12, v147, v12
	;; [unrolled: 1-line block ×3, first 2 shown]
	v_fmac_f32_e32 v26, v145, v9
	v_fmac_f32_e32 v152, v147, v11
	v_fmac_f32_e32 v24, v29, v1
	v_fma_f32 v29, v30, v3, -v4
	v_fma_f32 v30, v144, v9, -v10
	;; [unrolled: 1-line block ×3, first 2 shown]
	ds_load_2addr_b64 v[9:12], v21 offset0:85 offset1:86
	s_wait_loadcnt_dscnt 0x201
	v_dual_mul_f32 v145, v7, v16 :: v_dual_mul_f32 v144, v5, v14
	v_mul_f32_e32 v14, v6, v14
	v_mul_f32_e32 v16, v8, v16
	s_delay_alu instid0(VALU_DEP_3)
	v_fmac_f32_e32 v145, v8, v15
	v_fma_f32 v28, v28, v1, -v2
	scratch_load_b128 v[1:4], off, off offset:248
	v_fmac_f32_e32 v144, v6, v13
	v_fma_f32 v13, v5, v13, -v14
	v_fma_f32 v14, v7, v15, -v16
	s_wait_loadcnt_dscnt 0x200
	v_mul_f32_e32 v15, v9, v18
	v_mul_f32_e32 v16, v10, v18
	;; [unrolled: 1-line block ×4, first 2 shown]
	ds_load_2addr_b64 v[5:8], v21 offset0:87 offset1:88
	v_fmac_f32_e32 v15, v10, v17
	v_fma_f32 v16, v9, v17, -v16
	v_fmac_f32_e32 v18, v12, v19
	v_fma_f32 v17, v11, v19, -v20
	scratch_load_b128 v[9:12], off, off offset:264
	s_wait_loadcnt_dscnt 0x100
	v_mul_f32_e32 v19, v5, v2
	v_mul_f32_e32 v2, v6, v2
	;; [unrolled: 1-line block ×3, first 2 shown]
	s_delay_alu instid0(VALU_DEP_3) | instskip(NEXT) | instid1(VALU_DEP_3)
	v_dual_mul_f32 v4, v8, v4 :: v_dual_fmac_f32 v19, v6, v1
	v_fma_f32 v146, v5, v1, -v2
	s_delay_alu instid0(VALU_DEP_3) | instskip(NEXT) | instid1(VALU_DEP_3)
	v_fmac_f32_e32 v20, v8, v3
	v_fma_f32 v147, v7, v3, -v4
	ds_load_2addr_b64 v[1:4], v21 offset0:89 offset1:90
	ds_load_2addr_b64 v[5:8], v21 offset0:91 offset1:92
	s_wait_loadcnt_dscnt 0x1
	v_mul_f32_e32 v153, v1, v10
	v_mul_f32_e32 v10, v2, v10
	s_delay_alu instid0(VALU_DEP_2) | instskip(NEXT) | instid1(VALU_DEP_2)
	v_dual_mul_f32 v154, v3, v12 :: v_dual_fmac_f32 v153, v2, v9
	v_fma_f32 v155, v1, v9, -v10
	v_mul_f32_e32 v1, v4, v12
	s_delay_alu instid0(VALU_DEP_3) | instskip(NEXT) | instid1(VALU_DEP_2)
	v_fmac_f32_e32 v154, v4, v11
	v_fma_f32 v156, v3, v11, -v1
	s_clause 0x1
	scratch_load_b128 v[1:4], off, off offset:280
	scratch_load_b128 v[9:12], off, off offset:296
	s_wait_loadcnt_dscnt 0x100
	v_mul_f32_e32 v157, v5, v2
	v_dual_mul_f32 v2, v6, v2 :: v_dual_mul_f32 v159, v7, v4
	s_delay_alu instid0(VALU_DEP_2) | instskip(NEXT) | instid1(VALU_DEP_2)
	v_fmac_f32_e32 v157, v6, v1
	v_fma_f32 v158, v5, v1, -v2
	v_mul_f32_e32 v1, v8, v4
	s_delay_alu instid0(VALU_DEP_4) | instskip(NEXT) | instid1(VALU_DEP_2)
	v_fmac_f32_e32 v159, v8, v3
	v_fma_f32 v160, v7, v3, -v1
	ds_load_2addr_b64 v[1:4], v21 offset0:93 offset1:94
	ds_load_2addr_b64 v[5:8], v21 offset0:95 offset1:96
	s_wait_loadcnt_dscnt 0x1
	v_mul_f32_e32 v161, v1, v10
	v_mul_f32_e32 v163, v3, v12
	s_delay_alu instid0(VALU_DEP_2) | instskip(NEXT) | instid1(VALU_DEP_2)
	v_fmac_f32_e32 v161, v2, v9
	v_dual_mul_f32 v2, v2, v10 :: v_dual_fmac_f32 v163, v4, v11
	s_delay_alu instid0(VALU_DEP_1) | instskip(SKIP_1) | instid1(VALU_DEP_1)
	v_fma_f32 v162, v1, v9, -v2
	v_mul_f32_e32 v1, v4, v12
	v_fma_f32 v164, v3, v11, -v1
	s_clause 0x1
	scratch_load_b128 v[1:4], off, off offset:312
	scratch_load_b128 v[9:12], off, off offset:328
	s_wait_loadcnt_dscnt 0x100
	v_mul_f32_e32 v165, v5, v2
	v_dual_mul_f32 v2, v6, v2 :: v_dual_mul_f32 v167, v7, v4
	s_delay_alu instid0(VALU_DEP_2) | instskip(NEXT) | instid1(VALU_DEP_2)
	v_fmac_f32_e32 v165, v6, v1
	v_fma_f32 v166, v5, v1, -v2
	v_mul_f32_e32 v1, v8, v4
	s_delay_alu instid0(VALU_DEP_4) | instskip(NEXT) | instid1(VALU_DEP_2)
	v_fmac_f32_e32 v167, v8, v3
	v_fma_f32 v168, v7, v3, -v1
	ds_load_2addr_b64 v[1:4], v21 offset0:97 offset1:98
	ds_load_2addr_b64 v[5:8], v21 offset0:99 offset1:100
	s_wait_loadcnt_dscnt 0x1
	v_mul_f32_e32 v169, v1, v10
	v_mul_f32_e32 v171, v3, v12
	s_delay_alu instid0(VALU_DEP_2) | instskip(NEXT) | instid1(VALU_DEP_2)
	v_fmac_f32_e32 v169, v2, v9
	v_dual_mul_f32 v2, v2, v10 :: v_dual_fmac_f32 v171, v4, v11
	s_delay_alu instid0(VALU_DEP_1) | instskip(SKIP_1) | instid1(VALU_DEP_1)
	v_fma_f32 v170, v1, v9, -v2
	v_mul_f32_e32 v1, v4, v12
	v_fma_f32 v172, v3, v11, -v1
	s_clause 0x1
	scratch_load_b128 v[1:4], off, off offset:344
	scratch_load_b128 v[9:12], off, off offset:360
	s_wait_loadcnt_dscnt 0x100
	v_mul_f32_e32 v173, v5, v2
	v_dual_mul_f32 v2, v6, v2 :: v_dual_mul_f32 v175, v7, v4
	s_delay_alu instid0(VALU_DEP_1) | instskip(SKIP_1) | instid1(VALU_DEP_1)
	v_fma_f32 v174, v5, v1, -v2
	v_add_f32_e32 v2, 0, v150
	v_add_f32_e32 v2, v2, v151
	s_delay_alu instid0(VALU_DEP_4) | instskip(SKIP_1) | instid1(VALU_DEP_3)
	v_fmac_f32_e32 v175, v8, v3
	v_fmac_f32_e32 v173, v6, v1
	v_add_f32_e32 v2, v2, v24
	s_delay_alu instid0(VALU_DEP_1) | instskip(NEXT) | instid1(VALU_DEP_1)
	v_dual_mul_f32 v1, v8, v4 :: v_dual_add_f32 v2, v2, v25
	v_fma_f32 v176, v7, v3, -v1
	s_delay_alu instid0(VALU_DEP_2) | instskip(NEXT) | instid1(VALU_DEP_1)
	v_add_f32_e32 v2, v2, v26
	v_dual_add_f32 v1, 0, v22 :: v_dual_add_f32 v2, v2, v152
	s_delay_alu instid0(VALU_DEP_1) | instskip(NEXT) | instid1(VALU_DEP_1)
	v_dual_add_f32 v1, v1, v23 :: v_dual_add_f32 v2, v2, v144
	v_dual_add_f32 v1, v1, v28 :: v_dual_add_f32 v2, v2, v145
	s_delay_alu instid0(VALU_DEP_1) | instskip(SKIP_2) | instid1(VALU_DEP_1)
	v_add_f32_e32 v1, v1, v29
	scratch_load_b64 v[28:29], off, off offset:440
	v_dual_add_f32 v2, v2, v15 :: v_dual_add_f32 v1, v1, v30
	v_add_f32_e32 v5, v2, v18
	s_delay_alu instid0(VALU_DEP_2) | instskip(NEXT) | instid1(VALU_DEP_1)
	v_add_f32_e32 v1, v1, v31
	v_add_f32_e32 v1, v1, v13
	s_delay_alu instid0(VALU_DEP_3) | instskip(NEXT) | instid1(VALU_DEP_1)
	v_add_f32_e32 v13, v5, v19
	v_add_f32_e32 v13, v13, v20
	s_delay_alu instid0(VALU_DEP_1) | instskip(NEXT) | instid1(VALU_DEP_1)
	v_add_f32_e32 v13, v13, v153
	v_add_f32_e32 v18, v13, v154
	s_delay_alu instid0(VALU_DEP_1) | instskip(NEXT) | instid1(VALU_DEP_1)
	v_dual_add_f32 v1, v1, v14 :: v_dual_add_f32 v18, v18, v157
	v_dual_add_f32 v1, v1, v16 :: v_dual_add_f32 v18, v18, v159
	s_delay_alu instid0(VALU_DEP_1) | instskip(NEXT) | instid1(VALU_DEP_2)
	v_add_f32_e32 v1, v1, v17
	v_add_f32_e32 v22, v18, v161
	s_delay_alu instid0(VALU_DEP_2)
	v_add_f32_e32 v6, v1, v146
	scratch_load_b128 v[1:4], off, off offset:376
	v_add_f32_e32 v22, v22, v163
	v_add_f32_e32 v14, v6, v147
	ds_load_2addr_b64 v[5:8], v21 offset0:101 offset1:102
	v_add_f32_e32 v22, v22, v165
	v_add_f32_e32 v14, v14, v155
	s_delay_alu instid0(VALU_DEP_2) | instskip(NEXT) | instid1(VALU_DEP_2)
	v_add_f32_e32 v22, v22, v167
	v_add_f32_e32 v17, v14, v156
	ds_load_2addr_b64 v[13:16], v21 offset0:103 offset1:104
	s_wait_loadcnt_dscnt 0x201
	v_mul_f32_e32 v26, v5, v10
	v_mul_f32_e32 v10, v6, v10
	;; [unrolled: 1-line block ×3, first 2 shown]
	v_dual_mul_f32 v12, v8, v12 :: v_dual_add_f32 v17, v17, v158
	s_delay_alu instid0(VALU_DEP_4) | instskip(NEXT) | instid1(VALU_DEP_4)
	v_fmac_f32_e32 v26, v6, v9
	v_fma_f32 v145, v5, v9, -v10
	s_delay_alu instid0(VALU_DEP_4) | instskip(NEXT) | instid1(VALU_DEP_4)
	v_fmac_f32_e32 v144, v8, v11
	v_fma_f32 v146, v7, v11, -v12
	scratch_load_b128 v[5:8], off, off offset:392
	v_add_f32_e32 v17, v17, v160
	scratch_load_b128 v[9:12], off, off offset:408
	v_add_f32_e32 v17, v17, v162
	s_delay_alu instid0(VALU_DEP_1)
	v_add_f32_e32 v23, v17, v164
	scratch_load_b128 v[17:20], off, off offset:424
	s_wait_loadcnt_dscnt 0x300
	v_dual_mul_f32 v147, v13, v2 :: v_dual_mul_f32 v150, v15, v4
	v_mul_f32_e32 v2, v14, v2
	v_dual_add_f32 v23, v23, v166 :: v_dual_mul_f32 v4, v16, v4
	s_delay_alu instid0(VALU_DEP_3) | instskip(NEXT) | instid1(VALU_DEP_3)
	v_dual_fmac_f32 v147, v14, v1 :: v_dual_fmac_f32 v150, v16, v3
	v_fma_f32 v151, v13, v1, -v2
	s_delay_alu instid0(VALU_DEP_3) | instskip(NEXT) | instid1(VALU_DEP_4)
	v_add_f32_e32 v23, v23, v168
	v_fma_f32 v152, v15, v3, -v4
	ds_load_2addr_b64 v[1:4], v21 offset0:105 offset1:106
	v_add_f32_e32 v23, v23, v170
	s_delay_alu instid0(VALU_DEP_1) | instskip(NEXT) | instid1(VALU_DEP_1)
	v_dual_add_f32 v13, v22, v169 :: v_dual_add_f32 v14, v23, v172
	v_add_f32_e32 v30, v14, v174
	s_delay_alu instid0(VALU_DEP_2)
	v_add_f32_e32 v22, v13, v171
	ds_load_2addr_b64 v[13:16], v21 offset0:107 offset1:108
	v_add_f32_e32 v153, v30, v176
	v_add_f32_e32 v31, v22, v173
	ds_load_2addr_b64 v[22:25], v21 offset0:109 offset1:110
	v_dual_add_f32 v145, v153, v145 :: v_dual_add_f32 v154, v31, v175
	s_wait_loadcnt_dscnt 0x202
	v_mul_f32_e32 v153, v1, v6
	ds_load_b64 v[30:31], v21 offset:888
	v_mul_f32_e32 v6, v2, v6
	v_add_f32_e32 v145, v145, v146
	v_add_f32_e32 v26, v154, v26
	v_fmac_f32_e32 v153, v2, v5
	s_delay_alu instid0(VALU_DEP_2)
	v_dual_add_f32 v145, v145, v151 :: v_dual_add_f32 v26, v26, v144
	v_mul_f32_e32 v144, v3, v8
	v_mul_f32_e32 v8, v4, v8
	s_wait_loadcnt_dscnt 0x102
	v_mul_f32_e32 v146, v13, v10
	v_dual_add_f32 v145, v145, v152 :: v_dual_add_f32 v26, v26, v147
	v_mul_f32_e32 v147, v15, v12
	v_fma_f32 v1, v1, v5, -v6
	s_wait_loadcnt_dscnt 0x1
	v_dual_mul_f32 v151, v22, v18 :: v_dual_mul_f32 v152, v24, v20
	v_add_f32_e32 v26, v26, v150
	v_fma_f32 v2, v3, v7, -v8
	v_mul_f32_e32 v3, v14, v10
	v_add_f32_e32 v1, v145, v1
	s_wait_dscnt 0x0
	v_dual_mul_f32 v150, v30, v29 :: v_dual_mul_f32 v5, v16, v12
	v_fmac_f32_e32 v144, v4, v7
	v_dual_add_f32 v4, v26, v153 :: v_dual_fmac_f32 v147, v16, v11
	v_fma_f32 v3, v13, v9, -v3
	v_dual_add_f32 v1, v1, v2 :: v_dual_fmac_f32 v146, v14, v9
	s_delay_alu instid0(VALU_DEP_3) | instskip(SKIP_2) | instid1(VALU_DEP_3)
	v_dual_add_f32 v2, v4, v144 :: v_dual_fmac_f32 v151, v23, v17
	v_mul_f32_e32 v4, v23, v18
	v_fma_f32 v5, v15, v11, -v5
	v_dual_add_f32 v1, v1, v3 :: v_dual_add_f32 v2, v2, v146
	v_mul_f32_e32 v3, v25, v20
	s_delay_alu instid0(VALU_DEP_4) | instskip(NEXT) | instid1(VALU_DEP_3)
	v_fma_f32 v4, v22, v17, -v4
	v_dual_add_f32 v1, v1, v5 :: v_dual_add_f32 v2, v2, v147
	v_mul_f32_e32 v5, v31, v29
	s_delay_alu instid0(VALU_DEP_4) | instskip(NEXT) | instid1(VALU_DEP_3)
	v_fma_f32 v3, v24, v19, -v3
	v_dual_add_f32 v1, v1, v4 :: v_dual_add_f32 v2, v2, v151
	v_fmac_f32_e32 v150, v31, v28
	s_delay_alu instid0(VALU_DEP_4) | instskip(NEXT) | instid1(VALU_DEP_3)
	v_fma_f32 v4, v30, v28, -v5
	v_add_f32_e32 v1, v1, v3
	s_delay_alu instid0(VALU_DEP_1) | instskip(NEXT) | instid1(VALU_DEP_1)
	v_add_f32_e32 v1, v1, v4
	v_dual_fmac_f32 v152, v25, v19 :: v_dual_sub_f32 v1, v148, v1
	s_delay_alu instid0(VALU_DEP_1) | instskip(NEXT) | instid1(VALU_DEP_1)
	v_add_f32_e32 v2, v2, v152
	v_add_f32_e32 v2, v2, v150
	s_delay_alu instid0(VALU_DEP_1)
	v_sub_f32_e32 v2, v149, v2
	scratch_store_b64 off, v[1:2], off offset:160
	v_cmpx_lt_u32_e32 19, v0
	s_cbranch_execz .LBB55_311
; %bb.310:
	scratch_load_b64 v[1:2], off, off offset:152
	v_mov_b32_e32 v22, v21
	scratch_store_b64 off, v[21:22], off offset:152
	s_wait_loadcnt 0x0
	ds_store_b64 v27, v[1:2]
.LBB55_311:
	s_wait_alu 0xfffe
	s_or_b32 exec_lo, exec_lo, s0
	s_wait_storecnt_dscnt 0x0
	s_barrier_signal -1
	s_barrier_wait -1
	global_inv scope:SCOPE_SE
	s_clause 0x4
	scratch_load_b128 v[5:8], off, off offset:160
	scratch_load_b128 v[1:4], off, off offset:176
	scratch_load_b128 v[9:12], off, off offset:192
	scratch_load_b128 v[13:16], off, off offset:208
	scratch_load_b128 v[17:20], off, off offset:224
	ds_load_b128 v[22:25], v21 offset:608
	ds_load_b128 v[28:31], v21 offset:624
	;; [unrolled: 1-line block ×3, first 2 shown]
	scratch_load_b64 v[148:149], off, off offset:152
	s_mov_b32 s0, exec_lo
	s_wait_loadcnt_dscnt 0x502
	v_dual_mul_f32 v26, v23, v6 :: v_dual_mul_f32 v151, v24, v8
	v_mul_f32_e32 v150, v22, v6
	v_mul_f32_e32 v6, v25, v8
	s_wait_loadcnt_dscnt 0x300
	v_mul_f32_e32 v152, v146, v12
	v_fma_f32 v22, v22, v5, -v26
	v_dual_fmac_f32 v151, v25, v7 :: v_dual_fmac_f32 v150, v23, v5
	v_mul_f32_e32 v25, v30, v4
	v_mul_f32_e32 v4, v31, v4
	;; [unrolled: 1-line block ×5, first 2 shown]
	v_fmac_f32_e32 v25, v31, v3
	v_fma_f32 v23, v24, v7, -v6
	ds_load_b128 v[5:8], v21 offset:656
	v_mul_f32_e32 v24, v28, v2
	v_mul_f32_e32 v2, v29, v2
	v_fmac_f32_e32 v26, v145, v9
	v_fmac_f32_e32 v152, v147, v11
	v_fma_f32 v31, v146, v11, -v12
	v_fmac_f32_e32 v24, v29, v1
	v_fma_f32 v29, v30, v3, -v4
	v_fma_f32 v30, v144, v9, -v10
	ds_load_b128 v[9:12], v21 offset:672
	s_wait_loadcnt_dscnt 0x201
	v_dual_mul_f32 v145, v7, v16 :: v_dual_mul_f32 v144, v5, v14
	v_mul_f32_e32 v14, v6, v14
	v_mul_f32_e32 v16, v8, v16
	s_delay_alu instid0(VALU_DEP_3)
	v_fmac_f32_e32 v145, v8, v15
	v_fma_f32 v28, v28, v1, -v2
	scratch_load_b128 v[1:4], off, off offset:240
	v_fmac_f32_e32 v144, v6, v13
	v_fma_f32 v13, v5, v13, -v14
	v_fma_f32 v14, v7, v15, -v16
	s_wait_loadcnt_dscnt 0x200
	v_mul_f32_e32 v15, v9, v18
	v_mul_f32_e32 v16, v10, v18
	;; [unrolled: 1-line block ×4, first 2 shown]
	ds_load_b128 v[5:8], v21 offset:688
	v_fmac_f32_e32 v15, v10, v17
	v_fma_f32 v16, v9, v17, -v16
	v_fmac_f32_e32 v18, v12, v19
	v_fma_f32 v17, v11, v19, -v20
	scratch_load_b128 v[9:12], off, off offset:256
	s_wait_loadcnt_dscnt 0x100
	v_mul_f32_e32 v19, v5, v2
	v_mul_f32_e32 v2, v6, v2
	;; [unrolled: 1-line block ×3, first 2 shown]
	s_delay_alu instid0(VALU_DEP_3) | instskip(NEXT) | instid1(VALU_DEP_3)
	v_dual_mul_f32 v4, v8, v4 :: v_dual_fmac_f32 v19, v6, v1
	v_fma_f32 v146, v5, v1, -v2
	s_delay_alu instid0(VALU_DEP_3) | instskip(NEXT) | instid1(VALU_DEP_3)
	v_fmac_f32_e32 v20, v8, v3
	v_fma_f32 v147, v7, v3, -v4
	ds_load_b128 v[1:4], v21 offset:704
	ds_load_b128 v[5:8], v21 offset:720
	s_wait_loadcnt_dscnt 0x1
	v_mul_f32_e32 v153, v1, v10
	v_mul_f32_e32 v10, v2, v10
	s_delay_alu instid0(VALU_DEP_2) | instskip(NEXT) | instid1(VALU_DEP_2)
	v_dual_mul_f32 v154, v3, v12 :: v_dual_fmac_f32 v153, v2, v9
	v_fma_f32 v155, v1, v9, -v10
	v_mul_f32_e32 v1, v4, v12
	s_delay_alu instid0(VALU_DEP_3) | instskip(NEXT) | instid1(VALU_DEP_2)
	v_fmac_f32_e32 v154, v4, v11
	v_fma_f32 v156, v3, v11, -v1
	s_clause 0x1
	scratch_load_b128 v[1:4], off, off offset:272
	scratch_load_b128 v[9:12], off, off offset:288
	s_wait_loadcnt_dscnt 0x100
	v_mul_f32_e32 v157, v5, v2
	v_dual_mul_f32 v2, v6, v2 :: v_dual_mul_f32 v159, v7, v4
	s_delay_alu instid0(VALU_DEP_2) | instskip(NEXT) | instid1(VALU_DEP_2)
	v_fmac_f32_e32 v157, v6, v1
	v_fma_f32 v158, v5, v1, -v2
	v_mul_f32_e32 v1, v8, v4
	s_delay_alu instid0(VALU_DEP_4) | instskip(NEXT) | instid1(VALU_DEP_2)
	v_fmac_f32_e32 v159, v8, v3
	v_fma_f32 v160, v7, v3, -v1
	ds_load_b128 v[1:4], v21 offset:736
	ds_load_b128 v[5:8], v21 offset:752
	s_wait_loadcnt_dscnt 0x1
	v_mul_f32_e32 v161, v1, v10
	v_mul_f32_e32 v163, v3, v12
	s_delay_alu instid0(VALU_DEP_2) | instskip(NEXT) | instid1(VALU_DEP_2)
	v_fmac_f32_e32 v161, v2, v9
	v_dual_mul_f32 v2, v2, v10 :: v_dual_fmac_f32 v163, v4, v11
	s_delay_alu instid0(VALU_DEP_1) | instskip(SKIP_1) | instid1(VALU_DEP_1)
	v_fma_f32 v162, v1, v9, -v2
	v_mul_f32_e32 v1, v4, v12
	v_fma_f32 v164, v3, v11, -v1
	s_clause 0x1
	scratch_load_b128 v[1:4], off, off offset:304
	scratch_load_b128 v[9:12], off, off offset:320
	s_wait_loadcnt_dscnt 0x100
	v_mul_f32_e32 v165, v5, v2
	v_dual_mul_f32 v2, v6, v2 :: v_dual_mul_f32 v167, v7, v4
	s_delay_alu instid0(VALU_DEP_2) | instskip(NEXT) | instid1(VALU_DEP_2)
	v_fmac_f32_e32 v165, v6, v1
	v_fma_f32 v166, v5, v1, -v2
	v_mul_f32_e32 v1, v8, v4
	s_delay_alu instid0(VALU_DEP_4) | instskip(NEXT) | instid1(VALU_DEP_2)
	v_fmac_f32_e32 v167, v8, v3
	v_fma_f32 v168, v7, v3, -v1
	ds_load_b128 v[1:4], v21 offset:768
	ds_load_b128 v[5:8], v21 offset:784
	s_wait_loadcnt_dscnt 0x1
	v_mul_f32_e32 v169, v1, v10
	v_mul_f32_e32 v171, v3, v12
	s_delay_alu instid0(VALU_DEP_2) | instskip(NEXT) | instid1(VALU_DEP_2)
	v_fmac_f32_e32 v169, v2, v9
	v_dual_mul_f32 v2, v2, v10 :: v_dual_fmac_f32 v171, v4, v11
	s_delay_alu instid0(VALU_DEP_1) | instskip(SKIP_1) | instid1(VALU_DEP_1)
	v_fma_f32 v170, v1, v9, -v2
	v_mul_f32_e32 v1, v4, v12
	;; [unrolled: 25-line block ×3, first 2 shown]
	v_fma_f32 v180, v3, v11, -v1
	s_clause 0x1
	scratch_load_b128 v[1:4], off, off offset:368
	scratch_load_b128 v[9:12], off, off offset:384
	s_wait_loadcnt_dscnt 0x100
	v_mul_f32_e32 v181, v5, v2
	v_mul_f32_e32 v2, v6, v2
	s_delay_alu instid0(VALU_DEP_1) | instskip(SKIP_1) | instid1(VALU_DEP_1)
	v_fma_f32 v182, v5, v1, -v2
	v_add_f32_e32 v2, 0, v150
	v_add_f32_e32 v2, v2, v151
	s_delay_alu instid0(VALU_DEP_1) | instskip(NEXT) | instid1(VALU_DEP_1)
	v_add_f32_e32 v2, v2, v24
	v_add_f32_e32 v2, v2, v25
	s_delay_alu instid0(VALU_DEP_1) | instskip(NEXT) | instid1(VALU_DEP_1)
	;; [unrolled: 3-line block ×3, first 2 shown]
	v_add_f32_e32 v2, v2, v144
	v_dual_add_f32 v2, v2, v145 :: v_dual_mul_f32 v183, v7, v4
	s_delay_alu instid0(VALU_DEP_1) | instskip(NEXT) | instid1(VALU_DEP_1)
	v_add_f32_e32 v2, v2, v15
	v_dual_fmac_f32 v183, v8, v3 :: v_dual_add_f32 v2, v2, v18
	s_delay_alu instid0(VALU_DEP_1) | instskip(NEXT) | instid1(VALU_DEP_1)
	v_add_f32_e32 v2, v2, v19
	v_add_f32_e32 v2, v2, v20
	s_delay_alu instid0(VALU_DEP_1) | instskip(NEXT) | instid1(VALU_DEP_1)
	v_add_f32_e32 v5, v2, v153
	v_add_f32_e32 v5, v5, v154
	s_delay_alu instid0(VALU_DEP_1) | instskip(SKIP_2) | instid1(VALU_DEP_1)
	v_add_f32_e32 v5, v5, v157
	v_fmac_f32_e32 v181, v6, v1
	v_mul_f32_e32 v1, v8, v4
	v_fma_f32 v184, v7, v3, -v1
	v_add_f32_e32 v1, 0, v22
	s_delay_alu instid0(VALU_DEP_1) | instskip(NEXT) | instid1(VALU_DEP_1)
	v_add_f32_e32 v1, v1, v23
	v_add_f32_e32 v1, v1, v28
	s_delay_alu instid0(VALU_DEP_1) | instskip(NEXT) | instid1(VALU_DEP_1)
	v_add_f32_e32 v1, v1, v29
	;; [unrolled: 3-line block ×6, first 2 shown]
	v_add_f32_e32 v1, v1, v155
	s_delay_alu instid0(VALU_DEP_1) | instskip(SKIP_2) | instid1(VALU_DEP_1)
	v_add_f32_e32 v6, v1, v156
	ds_load_b128 v[1:4], v21 offset:832
	v_add_f32_e32 v6, v6, v158
	v_add_f32_e32 v13, v6, v160
	s_delay_alu instid0(VALU_DEP_1) | instskip(NEXT) | instid1(VALU_DEP_1)
	v_add_f32_e32 v13, v13, v162
	v_add_f32_e32 v13, v13, v164
	s_delay_alu instid0(VALU_DEP_1) | instskip(NEXT) | instid1(VALU_DEP_1)
	;; [unrolled: 3-line block ×5, first 2 shown]
	v_add_f32_e32 v30, v30, v178
	v_add_f32_e32 v30, v30, v180
	;; [unrolled: 1-line block ×3, first 2 shown]
	ds_load_b128 v[5:8], v21 offset:848
	s_wait_loadcnt_dscnt 0x1
	v_dual_mul_f32 v25, v1, v10 :: v_dual_mul_f32 v26, v3, v12
	v_mul_f32_e32 v10, v2, v10
	v_add_f32_e32 v14, v14, v161
	v_mul_f32_e32 v12, v4, v12
	v_add_f32_e32 v30, v30, v182
	v_fmac_f32_e32 v26, v4, v11
	v_fma_f32 v28, v1, v9, -v10
	v_add_f32_e32 v14, v14, v163
	v_fma_f32 v29, v3, v11, -v12
	v_add_f32_e32 v30, v30, v184
	s_delay_alu instid0(VALU_DEP_3) | instskip(SKIP_2) | instid1(VALU_DEP_1)
	v_add_f32_e32 v17, v14, v165
	scratch_load_b128 v[13:16], off, off offset:432
	v_dual_add_f32 v28, v30, v28 :: v_dual_add_f32 v17, v17, v167
	v_add_f32_e32 v17, v17, v169
	s_delay_alu instid0(VALU_DEP_1) | instskip(NEXT) | instid1(VALU_DEP_1)
	v_add_f32_e32 v17, v17, v171
	v_add_f32_e32 v23, v17, v173
	ds_load_b128 v[17:20], v21 offset:864
	v_fmac_f32_e32 v25, v2, v9
	s_clause 0x1
	scratch_load_b128 v[1:4], off, off offset:400
	scratch_load_b128 v[9:12], off, off offset:416
	s_wait_loadcnt_dscnt 0x101
	v_mul_f32_e32 v144, v5, v2
	v_mul_f32_e32 v2, v6, v2
	s_wait_loadcnt_dscnt 0x0
	v_mul_f32_e32 v146, v17, v10
	s_delay_alu instid0(VALU_DEP_3)
	v_fmac_f32_e32 v144, v6, v1
	v_dual_mul_f32 v6, v18, v10 :: v_dual_add_f32 v31, v23, v175
	ds_load_b128 v[21:24], v21 offset:880
	v_fmac_f32_e32 v146, v18, v9
	v_fma_f32 v2, v5, v1, -v2
	s_wait_dscnt 0x0
	v_dual_add_f32 v31, v31, v177 :: v_dual_mul_f32 v150, v21, v14
	v_mul_f32_e32 v145, v7, v4
	v_mul_f32_e32 v4, v8, v4
	;; [unrolled: 1-line block ×3, first 2 shown]
	s_delay_alu instid0(VALU_DEP_3) | instskip(NEXT) | instid1(VALU_DEP_3)
	v_dual_fmac_f32 v150, v22, v13 :: v_dual_fmac_f32 v145, v8, v3
	v_fma_f32 v3, v7, v3, -v4
	v_dual_mul_f32 v4, v20, v12 :: v_dual_add_f32 v31, v31, v179
	s_delay_alu instid0(VALU_DEP_4) | instskip(SKIP_1) | instid1(VALU_DEP_3)
	v_fmac_f32_e32 v30, v24, v15
	v_add_f32_e32 v1, v28, v29
	v_fma_f32 v4, v19, v11, -v4
	s_delay_alu instid0(VALU_DEP_4) | instskip(NEXT) | instid1(VALU_DEP_3)
	v_add_f32_e32 v31, v31, v181
	v_add_f32_e32 v1, v1, v2
	s_delay_alu instid0(VALU_DEP_2) | instskip(NEXT) | instid1(VALU_DEP_2)
	v_add_f32_e32 v31, v31, v183
	v_add_f32_e32 v1, v1, v3
	v_mul_f32_e32 v3, v22, v14
	s_delay_alu instid0(VALU_DEP_3) | instskip(NEXT) | instid1(VALU_DEP_2)
	v_add_f32_e32 v25, v31, v25
	v_fma_f32 v3, v21, v13, -v3
	s_delay_alu instid0(VALU_DEP_2) | instskip(NEXT) | instid1(VALU_DEP_1)
	v_add_f32_e32 v5, v25, v26
	v_add_f32_e32 v2, v5, v144
	v_mul_f32_e32 v147, v19, v12
	v_fma_f32 v5, v17, v9, -v6
	s_delay_alu instid0(VALU_DEP_2) | instskip(NEXT) | instid1(VALU_DEP_2)
	v_dual_add_f32 v2, v2, v145 :: v_dual_fmac_f32 v147, v20, v11
	v_add_f32_e32 v1, v1, v5
	s_delay_alu instid0(VALU_DEP_2) | instskip(NEXT) | instid1(VALU_DEP_2)
	v_dual_mul_f32 v5, v24, v16 :: v_dual_add_f32 v2, v2, v146
	v_add_f32_e32 v1, v1, v4
	s_delay_alu instid0(VALU_DEP_2) | instskip(NEXT) | instid1(VALU_DEP_3)
	v_fma_f32 v4, v23, v15, -v5
	v_add_f32_e32 v2, v2, v147
	s_delay_alu instid0(VALU_DEP_1) | instskip(NEXT) | instid1(VALU_DEP_1)
	v_dual_add_f32 v1, v1, v3 :: v_dual_add_f32 v2, v2, v150
	v_dual_add_f32 v1, v1, v4 :: v_dual_add_f32 v2, v2, v30
	s_delay_alu instid0(VALU_DEP_1)
	v_dual_sub_f32 v1, v148, v1 :: v_dual_sub_f32 v2, v149, v2
	scratch_store_b64 off, v[1:2], off offset:152
	v_cmpx_lt_u32_e32 18, v0
	s_cbranch_execz .LBB55_313
; %bb.312:
	scratch_load_b64 v[1:2], off, off offset:144
	v_mov_b32_e32 v3, 0
	s_delay_alu instid0(VALU_DEP_1)
	v_mov_b32_e32 v4, v3
	scratch_store_b64 off, v[3:4], off offset:144
	s_wait_loadcnt 0x0
	ds_store_b64 v27, v[1:2]
.LBB55_313:
	s_wait_alu 0xfffe
	s_or_b32 exec_lo, exec_lo, s0
	s_wait_storecnt_dscnt 0x0
	s_barrier_signal -1
	s_barrier_wait -1
	global_inv scope:SCOPE_SE
	s_clause 0x4
	scratch_load_b128 v[5:8], off, off offset:152
	scratch_load_b128 v[1:4], off, off offset:168
	;; [unrolled: 1-line block ×5, first 2 shown]
	v_mov_b32_e32 v21, 0
	ds_load_2addr_b64 v[22:25], v21 offset0:75 offset1:76
	ds_load_2addr_b64 v[28:31], v21 offset0:77 offset1:78
	;; [unrolled: 1-line block ×3, first 2 shown]
	scratch_load_b64 v[148:149], off, off offset:144
	s_mov_b32 s0, exec_lo
	s_wait_loadcnt_dscnt 0x502
	v_dual_mul_f32 v150, v22, v6 :: v_dual_mul_f32 v151, v24, v8
	v_mul_f32_e32 v26, v23, v6
	v_mul_f32_e32 v6, v25, v8
	s_wait_loadcnt_dscnt 0x300
	v_mul_f32_e32 v152, v146, v12
	v_dual_fmac_f32 v150, v23, v5 :: v_dual_fmac_f32 v151, v25, v7
	v_mul_f32_e32 v25, v30, v4
	v_fma_f32 v22, v22, v5, -v26
	v_mul_f32_e32 v26, v144, v10
	v_mul_f32_e32 v4, v31, v4
	s_delay_alu instid0(VALU_DEP_4)
	v_dual_mul_f32 v10, v145, v10 :: v_dual_fmac_f32 v25, v31, v3
	v_fma_f32 v23, v24, v7, -v6
	ds_load_2addr_b64 v[5:8], v21 offset0:81 offset1:82
	v_mul_f32_e32 v24, v28, v2
	v_mul_f32_e32 v12, v147, v12
	;; [unrolled: 1-line block ×3, first 2 shown]
	v_fmac_f32_e32 v26, v145, v9
	v_fmac_f32_e32 v152, v147, v11
	;; [unrolled: 1-line block ×3, first 2 shown]
	v_fma_f32 v29, v30, v3, -v4
	v_fma_f32 v30, v144, v9, -v10
	;; [unrolled: 1-line block ×3, first 2 shown]
	ds_load_2addr_b64 v[9:12], v21 offset0:83 offset1:84
	s_wait_loadcnt_dscnt 0x201
	v_dual_mul_f32 v145, v7, v16 :: v_dual_mul_f32 v144, v5, v14
	v_mul_f32_e32 v14, v6, v14
	v_mul_f32_e32 v16, v8, v16
	s_delay_alu instid0(VALU_DEP_3)
	v_fmac_f32_e32 v145, v8, v15
	v_fma_f32 v28, v28, v1, -v2
	scratch_load_b128 v[1:4], off, off offset:232
	v_fmac_f32_e32 v144, v6, v13
	v_fma_f32 v13, v5, v13, -v14
	v_fma_f32 v14, v7, v15, -v16
	s_wait_loadcnt_dscnt 0x200
	v_mul_f32_e32 v15, v9, v18
	v_mul_f32_e32 v16, v10, v18
	;; [unrolled: 1-line block ×4, first 2 shown]
	ds_load_2addr_b64 v[5:8], v21 offset0:85 offset1:86
	v_fmac_f32_e32 v15, v10, v17
	v_fma_f32 v16, v9, v17, -v16
	v_fmac_f32_e32 v18, v12, v19
	v_fma_f32 v17, v11, v19, -v20
	scratch_load_b128 v[9:12], off, off offset:248
	s_wait_loadcnt_dscnt 0x100
	v_mul_f32_e32 v19, v5, v2
	v_mul_f32_e32 v2, v6, v2
	;; [unrolled: 1-line block ×3, first 2 shown]
	s_delay_alu instid0(VALU_DEP_3) | instskip(NEXT) | instid1(VALU_DEP_3)
	v_dual_mul_f32 v4, v8, v4 :: v_dual_fmac_f32 v19, v6, v1
	v_fma_f32 v146, v5, v1, -v2
	s_delay_alu instid0(VALU_DEP_3) | instskip(NEXT) | instid1(VALU_DEP_3)
	v_fmac_f32_e32 v20, v8, v3
	v_fma_f32 v147, v7, v3, -v4
	ds_load_2addr_b64 v[1:4], v21 offset0:87 offset1:88
	ds_load_2addr_b64 v[5:8], v21 offset0:89 offset1:90
	s_wait_loadcnt_dscnt 0x1
	v_mul_f32_e32 v153, v1, v10
	v_mul_f32_e32 v10, v2, v10
	s_delay_alu instid0(VALU_DEP_2) | instskip(NEXT) | instid1(VALU_DEP_2)
	v_dual_mul_f32 v154, v3, v12 :: v_dual_fmac_f32 v153, v2, v9
	v_fma_f32 v155, v1, v9, -v10
	v_mul_f32_e32 v1, v4, v12
	s_delay_alu instid0(VALU_DEP_3) | instskip(NEXT) | instid1(VALU_DEP_2)
	v_fmac_f32_e32 v154, v4, v11
	v_fma_f32 v156, v3, v11, -v1
	s_clause 0x1
	scratch_load_b128 v[1:4], off, off offset:264
	scratch_load_b128 v[9:12], off, off offset:280
	s_wait_loadcnt_dscnt 0x100
	v_mul_f32_e32 v157, v5, v2
	v_dual_mul_f32 v2, v6, v2 :: v_dual_mul_f32 v159, v7, v4
	s_delay_alu instid0(VALU_DEP_2) | instskip(NEXT) | instid1(VALU_DEP_2)
	v_fmac_f32_e32 v157, v6, v1
	v_fma_f32 v158, v5, v1, -v2
	v_mul_f32_e32 v1, v8, v4
	s_delay_alu instid0(VALU_DEP_4) | instskip(NEXT) | instid1(VALU_DEP_2)
	v_fmac_f32_e32 v159, v8, v3
	v_fma_f32 v160, v7, v3, -v1
	ds_load_2addr_b64 v[1:4], v21 offset0:91 offset1:92
	ds_load_2addr_b64 v[5:8], v21 offset0:93 offset1:94
	s_wait_loadcnt_dscnt 0x1
	v_mul_f32_e32 v161, v1, v10
	v_mul_f32_e32 v163, v3, v12
	s_delay_alu instid0(VALU_DEP_2) | instskip(NEXT) | instid1(VALU_DEP_2)
	v_fmac_f32_e32 v161, v2, v9
	v_dual_mul_f32 v2, v2, v10 :: v_dual_fmac_f32 v163, v4, v11
	s_delay_alu instid0(VALU_DEP_1) | instskip(SKIP_1) | instid1(VALU_DEP_1)
	v_fma_f32 v162, v1, v9, -v2
	v_mul_f32_e32 v1, v4, v12
	v_fma_f32 v164, v3, v11, -v1
	s_clause 0x1
	scratch_load_b128 v[1:4], off, off offset:296
	scratch_load_b128 v[9:12], off, off offset:312
	s_wait_loadcnt_dscnt 0x100
	v_mul_f32_e32 v165, v5, v2
	v_dual_mul_f32 v2, v6, v2 :: v_dual_mul_f32 v167, v7, v4
	s_delay_alu instid0(VALU_DEP_2) | instskip(NEXT) | instid1(VALU_DEP_2)
	v_fmac_f32_e32 v165, v6, v1
	v_fma_f32 v166, v5, v1, -v2
	v_mul_f32_e32 v1, v8, v4
	s_delay_alu instid0(VALU_DEP_4) | instskip(NEXT) | instid1(VALU_DEP_2)
	v_fmac_f32_e32 v167, v8, v3
	v_fma_f32 v168, v7, v3, -v1
	ds_load_2addr_b64 v[1:4], v21 offset0:95 offset1:96
	ds_load_2addr_b64 v[5:8], v21 offset0:97 offset1:98
	s_wait_loadcnt_dscnt 0x1
	v_mul_f32_e32 v169, v1, v10
	v_mul_f32_e32 v171, v3, v12
	s_delay_alu instid0(VALU_DEP_2) | instskip(NEXT) | instid1(VALU_DEP_2)
	v_fmac_f32_e32 v169, v2, v9
	v_dual_mul_f32 v2, v2, v10 :: v_dual_fmac_f32 v171, v4, v11
	s_delay_alu instid0(VALU_DEP_1) | instskip(SKIP_1) | instid1(VALU_DEP_1)
	v_fma_f32 v170, v1, v9, -v2
	v_mul_f32_e32 v1, v4, v12
	v_fma_f32 v172, v3, v11, -v1
	s_clause 0x1
	scratch_load_b128 v[1:4], off, off offset:328
	scratch_load_b128 v[9:12], off, off offset:344
	s_wait_loadcnt_dscnt 0x100
	v_mul_f32_e32 v173, v5, v2
	v_dual_mul_f32 v2, v6, v2 :: v_dual_mul_f32 v175, v7, v4
	s_delay_alu instid0(VALU_DEP_2) | instskip(NEXT) | instid1(VALU_DEP_2)
	v_fmac_f32_e32 v173, v6, v1
	v_fma_f32 v174, v5, v1, -v2
	v_mul_f32_e32 v1, v8, v4
	s_delay_alu instid0(VALU_DEP_4) | instskip(NEXT) | instid1(VALU_DEP_2)
	v_fmac_f32_e32 v175, v8, v3
	v_fma_f32 v176, v7, v3, -v1
	ds_load_2addr_b64 v[1:4], v21 offset0:99 offset1:100
	ds_load_2addr_b64 v[5:8], v21 offset0:101 offset1:102
	s_wait_loadcnt_dscnt 0x1
	v_mul_f32_e32 v177, v1, v10
	v_mul_f32_e32 v179, v3, v12
	s_delay_alu instid0(VALU_DEP_2) | instskip(NEXT) | instid1(VALU_DEP_2)
	v_fmac_f32_e32 v177, v2, v9
	v_dual_mul_f32 v2, v2, v10 :: v_dual_fmac_f32 v179, v4, v11
	s_delay_alu instid0(VALU_DEP_1) | instskip(SKIP_1) | instid1(VALU_DEP_1)
	v_fma_f32 v178, v1, v9, -v2
	v_mul_f32_e32 v1, v4, v12
	v_fma_f32 v180, v3, v11, -v1
	s_clause 0x1
	scratch_load_b128 v[1:4], off, off offset:360
	scratch_load_b128 v[9:12], off, off offset:376
	s_wait_loadcnt_dscnt 0x100
	v_mul_f32_e32 v181, v5, v2
	v_mul_f32_e32 v2, v6, v2
	s_delay_alu instid0(VALU_DEP_1) | instskip(SKIP_1) | instid1(VALU_DEP_1)
	v_fma_f32 v182, v5, v1, -v2
	v_add_f32_e32 v2, 0, v150
	v_add_f32_e32 v2, v2, v151
	s_delay_alu instid0(VALU_DEP_1) | instskip(NEXT) | instid1(VALU_DEP_1)
	v_add_f32_e32 v2, v2, v24
	v_add_f32_e32 v2, v2, v25
	s_delay_alu instid0(VALU_DEP_1) | instskip(NEXT) | instid1(VALU_DEP_1)
	v_add_f32_e32 v2, v2, v26
	v_add_f32_e32 v2, v2, v152
	v_fmac_f32_e32 v181, v6, v1
	s_delay_alu instid0(VALU_DEP_2) | instskip(NEXT) | instid1(VALU_DEP_1)
	v_add_f32_e32 v2, v2, v144
	v_dual_add_f32 v2, v2, v145 :: v_dual_mul_f32 v183, v7, v4
	s_delay_alu instid0(VALU_DEP_1) | instskip(NEXT) | instid1(VALU_DEP_1)
	v_add_f32_e32 v2, v2, v15
	v_dual_fmac_f32 v183, v8, v3 :: v_dual_add_f32 v2, v2, v18
	s_delay_alu instid0(VALU_DEP_1) | instskip(NEXT) | instid1(VALU_DEP_1)
	v_dual_mul_f32 v1, v8, v4 :: v_dual_add_f32 v2, v2, v19
	v_fma_f32 v184, v7, v3, -v1
	s_delay_alu instid0(VALU_DEP_2) | instskip(NEXT) | instid1(VALU_DEP_1)
	v_dual_add_f32 v1, 0, v22 :: v_dual_add_f32 v2, v2, v20
	v_add_f32_e32 v1, v1, v23
	s_delay_alu instid0(VALU_DEP_2) | instskip(NEXT) | instid1(VALU_DEP_2)
	v_add_f32_e32 v5, v2, v153
	v_add_f32_e32 v1, v1, v28
	s_delay_alu instid0(VALU_DEP_2) | instskip(NEXT) | instid1(VALU_DEP_2)
	v_add_f32_e32 v5, v5, v154
	v_add_f32_e32 v1, v1, v29
	scratch_load_b64 v[28:29], off, off offset:440
	v_add_f32_e32 v5, v5, v157
	v_add_f32_e32 v1, v1, v30
	s_delay_alu instid0(VALU_DEP_1) | instskip(NEXT) | instid1(VALU_DEP_1)
	v_add_f32_e32 v1, v1, v31
	v_add_f32_e32 v1, v1, v13
	s_delay_alu instid0(VALU_DEP_1) | instskip(SKIP_1) | instid1(VALU_DEP_1)
	v_add_f32_e32 v1, v1, v14
	v_add_f32_e32 v14, v5, v159
	v_dual_add_f32 v1, v1, v16 :: v_dual_add_f32 v14, v14, v161
	s_delay_alu instid0(VALU_DEP_1) | instskip(NEXT) | instid1(VALU_DEP_1)
	v_dual_add_f32 v1, v1, v17 :: v_dual_add_f32 v14, v14, v163
	v_add_f32_e32 v1, v1, v146
	s_delay_alu instid0(VALU_DEP_2) | instskip(NEXT) | instid1(VALU_DEP_2)
	v_add_f32_e32 v17, v14, v165
	v_add_f32_e32 v1, v1, v147
	s_delay_alu instid0(VALU_DEP_2) | instskip(NEXT) | instid1(VALU_DEP_2)
	v_add_f32_e32 v17, v17, v167
	;; [unrolled: 3-line block ×3, first 2 shown]
	v_add_f32_e32 v6, v1, v156
	ds_load_2addr_b64 v[1:4], v21 offset0:103 offset1:104
	v_dual_add_f32 v17, v17, v171 :: v_dual_add_f32 v6, v6, v158
	s_delay_alu instid0(VALU_DEP_1) | instskip(NEXT) | instid1(VALU_DEP_2)
	v_add_f32_e32 v17, v17, v173
	v_add_f32_e32 v13, v6, v160
	ds_load_2addr_b64 v[5:8], v21 offset0:105 offset1:106
	v_add_f32_e32 v22, v17, v175
	s_delay_alu instid0(VALU_DEP_1)
	v_add_f32_e32 v31, v22, v177
	v_add_f32_e32 v13, v13, v162
	ds_load_2addr_b64 v[22:25], v21 offset0:109 offset1:110
	s_wait_loadcnt_dscnt 0x102
	v_mul_f32_e32 v26, v1, v10
	v_mul_f32_e32 v10, v2, v10
	v_mul_f32_e32 v144, v3, v12
	v_mul_f32_e32 v12, v4, v12
	v_add_f32_e32 v150, v31, v179
	v_fmac_f32_e32 v26, v2, v9
	v_fma_f32 v145, v1, v9, -v10
	v_fmac_f32_e32 v144, v4, v11
	v_fma_f32 v146, v3, v11, -v12
	s_clause 0x1
	scratch_load_b128 v[1:4], off, off offset:392
	scratch_load_b128 v[9:12], off, off offset:408
	v_dual_add_f32 v13, v13, v164 :: v_dual_add_f32 v150, v150, v181
	s_delay_alu instid0(VALU_DEP_1) | instskip(NEXT) | instid1(VALU_DEP_1)
	v_dual_add_f32 v13, v13, v166 :: v_dual_add_f32 v150, v150, v183
	v_add_f32_e32 v18, v13, v168
	scratch_load_b128 v[13:16], off, off offset:424
	v_add_f32_e32 v26, v150, v26
	v_add_f32_e32 v18, v18, v170
	s_delay_alu instid0(VALU_DEP_2) | instskip(NEXT) | instid1(VALU_DEP_2)
	v_add_f32_e32 v26, v26, v144
	v_add_f32_e32 v18, v18, v172
	s_delay_alu instid0(VALU_DEP_1) | instskip(NEXT) | instid1(VALU_DEP_1)
	v_add_f32_e32 v18, v18, v174
	v_add_f32_e32 v18, v18, v176
	s_delay_alu instid0(VALU_DEP_1)
	v_add_f32_e32 v30, v18, v178
	ds_load_2addr_b64 v[17:20], v21 offset0:107 offset1:108
	s_wait_loadcnt_dscnt 0x202
	v_mul_f32_e32 v152, v7, v4
	v_add_f32_e32 v147, v30, v180
	ds_load_b64 v[30:31], v21 offset:888
	v_mul_f32_e32 v151, v5, v2
	v_mul_f32_e32 v2, v6, v2
	v_dual_fmac_f32 v152, v8, v3 :: v_dual_add_f32 v147, v147, v182
	v_mul_f32_e32 v4, v8, v4
	s_wait_loadcnt_dscnt 0x101
	v_mul_f32_e32 v150, v19, v12
	v_fma_f32 v2, v5, v1, -v2
	v_add_f32_e32 v147, v147, v184
	s_wait_loadcnt 0x0
	s_delay_alu instid0(VALU_DEP_3)
	v_dual_mul_f32 v153, v22, v14 :: v_dual_fmac_f32 v150, v20, v11
	s_wait_dscnt 0x0
	v_mul_f32_e32 v144, v30, v29
	v_fmac_f32_e32 v151, v6, v1
	v_add_f32_e32 v145, v147, v145
	v_fma_f32 v1, v7, v3, -v4
	s_delay_alu instid0(VALU_DEP_4) | instskip(NEXT) | instid1(VALU_DEP_3)
	v_fmac_f32_e32 v144, v31, v28
	v_dual_add_f32 v4, v26, v151 :: v_dual_add_f32 v145, v145, v146
	v_dual_mul_f32 v147, v17, v10 :: v_dual_mul_f32 v146, v24, v16
	v_mul_f32_e32 v3, v18, v10
	s_delay_alu instid0(VALU_DEP_3) | instskip(NEXT) | instid1(VALU_DEP_3)
	v_add_f32_e32 v2, v145, v2
	v_dual_fmac_f32 v146, v25, v15 :: v_dual_fmac_f32 v153, v23, v13
	s_delay_alu instid0(VALU_DEP_3) | instskip(NEXT) | instid1(VALU_DEP_3)
	v_fma_f32 v3, v17, v9, -v3
	v_dual_add_f32 v1, v2, v1 :: v_dual_add_f32 v2, v4, v152
	v_dual_fmac_f32 v147, v18, v9 :: v_dual_mul_f32 v4, v23, v14
	s_delay_alu instid0(VALU_DEP_1) | instskip(NEXT) | instid1(VALU_DEP_2)
	v_dual_add_f32 v2, v2, v147 :: v_dual_mul_f32 v5, v20, v12
	v_fma_f32 v4, v22, v13, -v4
	s_delay_alu instid0(VALU_DEP_2) | instskip(NEXT) | instid1(VALU_DEP_3)
	v_add_f32_e32 v2, v2, v150
	v_fma_f32 v5, v19, v11, -v5
	s_delay_alu instid0(VALU_DEP_2) | instskip(NEXT) | instid1(VALU_DEP_1)
	v_add_f32_e32 v2, v2, v153
	v_add_f32_e32 v2, v2, v146
	s_delay_alu instid0(VALU_DEP_1) | instskip(NEXT) | instid1(VALU_DEP_1)
	v_add_f32_e32 v2, v2, v144
	v_sub_f32_e32 v2, v149, v2
	v_add_f32_e32 v1, v1, v3
	v_mul_f32_e32 v3, v25, v16
	s_delay_alu instid0(VALU_DEP_2) | instskip(SKIP_1) | instid1(VALU_DEP_3)
	v_add_f32_e32 v1, v1, v5
	v_mul_f32_e32 v5, v31, v29
	v_fma_f32 v3, v24, v15, -v3
	s_delay_alu instid0(VALU_DEP_3) | instskip(NEXT) | instid1(VALU_DEP_3)
	v_add_f32_e32 v1, v1, v4
	v_fma_f32 v4, v30, v28, -v5
	s_delay_alu instid0(VALU_DEP_2) | instskip(NEXT) | instid1(VALU_DEP_1)
	v_add_f32_e32 v1, v1, v3
	v_add_f32_e32 v1, v1, v4
	s_delay_alu instid0(VALU_DEP_1)
	v_sub_f32_e32 v1, v148, v1
	scratch_store_b64 off, v[1:2], off offset:144
	v_cmpx_lt_u32_e32 17, v0
	s_cbranch_execz .LBB55_315
; %bb.314:
	scratch_load_b64 v[1:2], off, off offset:136
	v_mov_b32_e32 v22, v21
	scratch_store_b64 off, v[21:22], off offset:136
	s_wait_loadcnt 0x0
	ds_store_b64 v27, v[1:2]
.LBB55_315:
	s_wait_alu 0xfffe
	s_or_b32 exec_lo, exec_lo, s0
	s_wait_storecnt_dscnt 0x0
	s_barrier_signal -1
	s_barrier_wait -1
	global_inv scope:SCOPE_SE
	s_clause 0x4
	scratch_load_b128 v[5:8], off, off offset:144
	scratch_load_b128 v[1:4], off, off offset:160
	;; [unrolled: 1-line block ×5, first 2 shown]
	ds_load_b128 v[22:25], v21 offset:592
	ds_load_b128 v[28:31], v21 offset:608
	;; [unrolled: 1-line block ×3, first 2 shown]
	scratch_load_b64 v[148:149], off, off offset:136
	s_mov_b32 s0, exec_lo
	s_wait_loadcnt_dscnt 0x502
	v_dual_mul_f32 v26, v23, v6 :: v_dual_mul_f32 v151, v24, v8
	v_mul_f32_e32 v150, v22, v6
	v_mul_f32_e32 v6, v25, v8
	s_wait_loadcnt_dscnt 0x300
	v_mul_f32_e32 v152, v146, v12
	v_fma_f32 v22, v22, v5, -v26
	v_dual_fmac_f32 v151, v25, v7 :: v_dual_fmac_f32 v150, v23, v5
	v_mul_f32_e32 v25, v30, v4
	v_mul_f32_e32 v4, v31, v4
	;; [unrolled: 1-line block ×5, first 2 shown]
	v_fmac_f32_e32 v25, v31, v3
	v_fma_f32 v23, v24, v7, -v6
	ds_load_b128 v[5:8], v21 offset:640
	v_mul_f32_e32 v24, v28, v2
	v_mul_f32_e32 v2, v29, v2
	v_fmac_f32_e32 v26, v145, v9
	v_fmac_f32_e32 v152, v147, v11
	v_fma_f32 v31, v146, v11, -v12
	v_fmac_f32_e32 v24, v29, v1
	v_fma_f32 v29, v30, v3, -v4
	v_fma_f32 v30, v144, v9, -v10
	ds_load_b128 v[9:12], v21 offset:656
	s_wait_loadcnt_dscnt 0x201
	v_dual_mul_f32 v145, v7, v16 :: v_dual_mul_f32 v144, v5, v14
	v_mul_f32_e32 v14, v6, v14
	v_mul_f32_e32 v16, v8, v16
	s_delay_alu instid0(VALU_DEP_3)
	v_fmac_f32_e32 v145, v8, v15
	v_fma_f32 v28, v28, v1, -v2
	scratch_load_b128 v[1:4], off, off offset:224
	v_fmac_f32_e32 v144, v6, v13
	v_fma_f32 v13, v5, v13, -v14
	v_fma_f32 v14, v7, v15, -v16
	s_wait_loadcnt_dscnt 0x200
	v_mul_f32_e32 v15, v9, v18
	v_mul_f32_e32 v16, v10, v18
	;; [unrolled: 1-line block ×4, first 2 shown]
	ds_load_b128 v[5:8], v21 offset:672
	v_fmac_f32_e32 v15, v10, v17
	v_fma_f32 v16, v9, v17, -v16
	v_fmac_f32_e32 v18, v12, v19
	v_fma_f32 v17, v11, v19, -v20
	scratch_load_b128 v[9:12], off, off offset:240
	s_wait_loadcnt_dscnt 0x100
	v_mul_f32_e32 v19, v5, v2
	v_mul_f32_e32 v2, v6, v2
	;; [unrolled: 1-line block ×3, first 2 shown]
	s_delay_alu instid0(VALU_DEP_3) | instskip(NEXT) | instid1(VALU_DEP_3)
	v_dual_mul_f32 v4, v8, v4 :: v_dual_fmac_f32 v19, v6, v1
	v_fma_f32 v146, v5, v1, -v2
	s_delay_alu instid0(VALU_DEP_3) | instskip(NEXT) | instid1(VALU_DEP_3)
	v_fmac_f32_e32 v20, v8, v3
	v_fma_f32 v147, v7, v3, -v4
	ds_load_b128 v[1:4], v21 offset:688
	ds_load_b128 v[5:8], v21 offset:704
	s_wait_loadcnt_dscnt 0x1
	v_mul_f32_e32 v153, v1, v10
	v_mul_f32_e32 v10, v2, v10
	s_delay_alu instid0(VALU_DEP_2) | instskip(NEXT) | instid1(VALU_DEP_2)
	v_dual_mul_f32 v154, v3, v12 :: v_dual_fmac_f32 v153, v2, v9
	v_fma_f32 v155, v1, v9, -v10
	v_mul_f32_e32 v1, v4, v12
	s_delay_alu instid0(VALU_DEP_3) | instskip(NEXT) | instid1(VALU_DEP_2)
	v_fmac_f32_e32 v154, v4, v11
	v_fma_f32 v156, v3, v11, -v1
	s_clause 0x1
	scratch_load_b128 v[1:4], off, off offset:256
	scratch_load_b128 v[9:12], off, off offset:272
	s_wait_loadcnt_dscnt 0x100
	v_mul_f32_e32 v157, v5, v2
	v_dual_mul_f32 v2, v6, v2 :: v_dual_mul_f32 v159, v7, v4
	s_delay_alu instid0(VALU_DEP_2) | instskip(NEXT) | instid1(VALU_DEP_2)
	v_fmac_f32_e32 v157, v6, v1
	v_fma_f32 v158, v5, v1, -v2
	v_mul_f32_e32 v1, v8, v4
	s_delay_alu instid0(VALU_DEP_4) | instskip(NEXT) | instid1(VALU_DEP_2)
	v_fmac_f32_e32 v159, v8, v3
	v_fma_f32 v160, v7, v3, -v1
	ds_load_b128 v[1:4], v21 offset:720
	ds_load_b128 v[5:8], v21 offset:736
	s_wait_loadcnt_dscnt 0x1
	v_mul_f32_e32 v161, v1, v10
	v_mul_f32_e32 v163, v3, v12
	s_delay_alu instid0(VALU_DEP_2) | instskip(NEXT) | instid1(VALU_DEP_2)
	v_fmac_f32_e32 v161, v2, v9
	v_dual_mul_f32 v2, v2, v10 :: v_dual_fmac_f32 v163, v4, v11
	s_delay_alu instid0(VALU_DEP_1) | instskip(SKIP_1) | instid1(VALU_DEP_1)
	v_fma_f32 v162, v1, v9, -v2
	v_mul_f32_e32 v1, v4, v12
	v_fma_f32 v164, v3, v11, -v1
	s_clause 0x1
	scratch_load_b128 v[1:4], off, off offset:288
	scratch_load_b128 v[9:12], off, off offset:304
	s_wait_loadcnt_dscnt 0x100
	v_mul_f32_e32 v165, v5, v2
	v_dual_mul_f32 v2, v6, v2 :: v_dual_mul_f32 v167, v7, v4
	s_delay_alu instid0(VALU_DEP_2) | instskip(NEXT) | instid1(VALU_DEP_2)
	v_fmac_f32_e32 v165, v6, v1
	v_fma_f32 v166, v5, v1, -v2
	v_mul_f32_e32 v1, v8, v4
	s_delay_alu instid0(VALU_DEP_4) | instskip(NEXT) | instid1(VALU_DEP_2)
	v_fmac_f32_e32 v167, v8, v3
	v_fma_f32 v168, v7, v3, -v1
	ds_load_b128 v[1:4], v21 offset:752
	ds_load_b128 v[5:8], v21 offset:768
	s_wait_loadcnt_dscnt 0x1
	v_mul_f32_e32 v169, v1, v10
	v_mul_f32_e32 v171, v3, v12
	s_delay_alu instid0(VALU_DEP_2) | instskip(NEXT) | instid1(VALU_DEP_2)
	v_fmac_f32_e32 v169, v2, v9
	v_dual_mul_f32 v2, v2, v10 :: v_dual_fmac_f32 v171, v4, v11
	s_delay_alu instid0(VALU_DEP_1) | instskip(SKIP_1) | instid1(VALU_DEP_1)
	v_fma_f32 v170, v1, v9, -v2
	v_mul_f32_e32 v1, v4, v12
	;; [unrolled: 25-line block ×3, first 2 shown]
	v_fma_f32 v180, v3, v11, -v1
	s_clause 0x1
	scratch_load_b128 v[1:4], off, off offset:352
	scratch_load_b128 v[9:12], off, off offset:368
	s_wait_loadcnt_dscnt 0x100
	v_mul_f32_e32 v181, v5, v2
	v_mul_f32_e32 v2, v6, v2
	s_delay_alu instid0(VALU_DEP_1) | instskip(SKIP_1) | instid1(VALU_DEP_1)
	v_fma_f32 v182, v5, v1, -v2
	v_add_f32_e32 v2, 0, v150
	v_add_f32_e32 v2, v2, v151
	s_delay_alu instid0(VALU_DEP_1) | instskip(NEXT) | instid1(VALU_DEP_1)
	v_add_f32_e32 v2, v2, v24
	v_add_f32_e32 v2, v2, v25
	s_delay_alu instid0(VALU_DEP_1) | instskip(NEXT) | instid1(VALU_DEP_1)
	v_add_f32_e32 v2, v2, v26
	v_add_f32_e32 v2, v2, v152
	v_fmac_f32_e32 v181, v6, v1
	s_delay_alu instid0(VALU_DEP_2) | instskip(NEXT) | instid1(VALU_DEP_1)
	v_add_f32_e32 v2, v2, v144
	v_dual_add_f32 v2, v2, v145 :: v_dual_mul_f32 v183, v7, v4
	s_delay_alu instid0(VALU_DEP_1) | instskip(NEXT) | instid1(VALU_DEP_1)
	v_add_f32_e32 v2, v2, v15
	v_dual_fmac_f32 v183, v8, v3 :: v_dual_add_f32 v2, v2, v18
	s_delay_alu instid0(VALU_DEP_1) | instskip(NEXT) | instid1(VALU_DEP_1)
	v_dual_mul_f32 v1, v8, v4 :: v_dual_add_f32 v2, v2, v19
	v_fma_f32 v184, v7, v3, -v1
	s_delay_alu instid0(VALU_DEP_2) | instskip(NEXT) | instid1(VALU_DEP_1)
	v_dual_add_f32 v1, 0, v22 :: v_dual_add_f32 v2, v2, v20
	v_dual_add_f32 v1, v1, v23 :: v_dual_add_f32 v2, v2, v153
	s_delay_alu instid0(VALU_DEP_1) | instskip(NEXT) | instid1(VALU_DEP_2)
	v_add_f32_e32 v1, v1, v28
	v_add_f32_e32 v5, v2, v154
	s_delay_alu instid0(VALU_DEP_2) | instskip(NEXT) | instid1(VALU_DEP_1)
	v_add_f32_e32 v1, v1, v29
	v_add_f32_e32 v1, v1, v30
	s_delay_alu instid0(VALU_DEP_1) | instskip(NEXT) | instid1(VALU_DEP_1)
	v_add_f32_e32 v1, v1, v31
	v_add_f32_e32 v1, v1, v13
	;; [unrolled: 1-line block ×3, first 2 shown]
	s_delay_alu instid0(VALU_DEP_2) | instskip(NEXT) | instid1(VALU_DEP_2)
	v_add_f32_e32 v1, v1, v14
	v_add_f32_e32 v13, v13, v159
	s_delay_alu instid0(VALU_DEP_2) | instskip(NEXT) | instid1(VALU_DEP_2)
	v_add_f32_e32 v1, v1, v16
	v_add_f32_e32 v13, v13, v161
	;; [unrolled: 3-line block ×3, first 2 shown]
	s_delay_alu instid0(VALU_DEP_1) | instskip(NEXT) | instid1(VALU_DEP_1)
	v_dual_add_f32 v18, v18, v165 :: v_dual_add_f32 v1, v1, v146
	v_add_f32_e32 v18, v18, v167
	s_delay_alu instid0(VALU_DEP_1) | instskip(NEXT) | instid1(VALU_DEP_1)
	v_dual_add_f32 v1, v1, v147 :: v_dual_add_f32 v22, v18, v169
	v_add_f32_e32 v1, v1, v155
	;; [unrolled: 3-line block ×3, first 2 shown]
	s_delay_alu instid0(VALU_DEP_2) | instskip(SKIP_4) | instid1(VALU_DEP_1)
	v_add_f32_e32 v6, v1, v158
	ds_load_b128 v[1:4], v21 offset:816
	v_add_f32_e32 v14, v6, v160
	scratch_load_b128 v[5:8], off, off offset:384
	v_add_f32_e32 v14, v14, v162
	v_add_f32_e32 v17, v14, v164
	ds_load_b128 v[13:16], v21 offset:832
	s_wait_loadcnt_dscnt 0x101
	v_mul_f32_e32 v25, v1, v10
	v_mul_f32_e32 v10, v2, v10
	;; [unrolled: 1-line block ×3, first 2 shown]
	s_delay_alu instid0(VALU_DEP_3) | instskip(NEXT) | instid1(VALU_DEP_3)
	v_dual_mul_f32 v12, v4, v12 :: v_dual_fmac_f32 v25, v2, v9
	v_fma_f32 v28, v1, v9, -v10
	s_delay_alu instid0(VALU_DEP_3) | instskip(NEXT) | instid1(VALU_DEP_3)
	v_fmac_f32_e32 v26, v4, v11
	v_fma_f32 v29, v3, v11, -v12
	s_clause 0x1
	scratch_load_b128 v[1:4], off, off offset:400
	scratch_load_b128 v[9:12], off, off offset:416
	s_wait_loadcnt_dscnt 0x200
	v_mul_f32_e32 v30, v13, v6
	v_add_f32_e32 v17, v17, v166
	v_mul_f32_e32 v6, v14, v6
	s_delay_alu instid0(VALU_DEP_2) | instskip(NEXT) | instid1(VALU_DEP_2)
	v_dual_fmac_f32 v30, v14, v5 :: v_dual_add_f32 v17, v17, v168
	v_fma_f32 v144, v13, v5, -v6
	s_delay_alu instid0(VALU_DEP_2) | instskip(NEXT) | instid1(VALU_DEP_1)
	v_add_f32_e32 v17, v17, v170
	v_add_f32_e32 v23, v17, v172
	scratch_load_b128 v[17:20], off, off offset:432
	v_mul_f32_e32 v31, v15, v8
	v_mul_f32_e32 v8, v16, v8
	s_delay_alu instid0(VALU_DEP_2) | instskip(NEXT) | instid1(VALU_DEP_2)
	v_fmac_f32_e32 v31, v16, v7
	v_fma_f32 v145, v15, v7, -v8
	ds_load_b128 v[5:8], v21 offset:848
	v_add_f32_e32 v23, v23, v174
	v_add_f32_e32 v13, v22, v175
	s_delay_alu instid0(VALU_DEP_2) | instskip(NEXT) | instid1(VALU_DEP_1)
	v_add_f32_e32 v23, v23, v176
	v_add_f32_e32 v22, v23, v178
	s_delay_alu instid0(VALU_DEP_1) | instskip(NEXT) | instid1(VALU_DEP_1)
	v_add_f32_e32 v146, v22, v180
	v_add_f32_e32 v146, v146, v182
	s_delay_alu instid0(VALU_DEP_1) | instskip(NEXT) | instid1(VALU_DEP_1)
	v_add_f32_e32 v146, v146, v184
	v_add_f32_e32 v28, v146, v28
	s_delay_alu instid0(VALU_DEP_1)
	v_add_f32_e32 v28, v28, v29
	v_add_f32_e32 v23, v13, v177
	ds_load_b128 v[13:16], v21 offset:864
	s_wait_loadcnt_dscnt 0x201
	v_mul_f32_e32 v150, v5, v2
	v_mul_f32_e32 v146, v7, v4
	v_dual_add_f32 v28, v28, v144 :: v_dual_add_f32 v147, v23, v179
	v_mul_f32_e32 v2, v6, v2
	s_delay_alu instid0(VALU_DEP_4) | instskip(NEXT) | instid1(VALU_DEP_4)
	v_fmac_f32_e32 v150, v6, v1
	v_fmac_f32_e32 v146, v8, v3
	ds_load_b128 v[21:24], v21 offset:880
	v_mul_f32_e32 v4, v8, v4
	v_fma_f32 v2, v5, v1, -v2
	v_add_f32_e32 v1, v28, v145
	s_delay_alu instid0(VALU_DEP_3) | instskip(NEXT) | instid1(VALU_DEP_2)
	v_fma_f32 v3, v7, v3, -v4
	v_add_f32_e32 v1, v1, v2
	s_wait_loadcnt_dscnt 0x101
	v_dual_mul_f32 v6, v14, v10 :: v_dual_add_f32 v147, v147, v181
	s_delay_alu instid0(VALU_DEP_2) | instskip(NEXT) | instid1(VALU_DEP_2)
	v_dual_mul_f32 v4, v16, v12 :: v_dual_add_f32 v1, v1, v3
	v_add_f32_e32 v147, v147, v183
	s_delay_alu instid0(VALU_DEP_2) | instskip(NEXT) | instid1(VALU_DEP_2)
	v_fma_f32 v4, v15, v11, -v4
	v_add_f32_e32 v25, v147, v25
	s_delay_alu instid0(VALU_DEP_1) | instskip(NEXT) | instid1(VALU_DEP_1)
	v_add_f32_e32 v25, v25, v26
	v_add_f32_e32 v25, v25, v30
	s_delay_alu instid0(VALU_DEP_1) | instskip(NEXT) | instid1(VALU_DEP_1)
	v_add_f32_e32 v5, v25, v31
	v_dual_add_f32 v2, v5, v150 :: v_dual_mul_f32 v151, v15, v12
	v_fma_f32 v5, v13, v9, -v6
	s_delay_alu instid0(VALU_DEP_2) | instskip(NEXT) | instid1(VALU_DEP_2)
	v_dual_add_f32 v2, v2, v146 :: v_dual_fmac_f32 v151, v16, v11
	v_add_f32_e32 v1, v1, v5
	s_delay_alu instid0(VALU_DEP_1) | instskip(SKIP_4) | instid1(VALU_DEP_3)
	v_add_f32_e32 v1, v1, v4
	s_wait_loadcnt_dscnt 0x0
	v_mul_f32_e32 v26, v21, v18
	v_mul_f32_e32 v147, v13, v10
	;; [unrolled: 1-line block ×3, first 2 shown]
	v_dual_mul_f32 v5, v24, v20 :: v_dual_fmac_f32 v26, v22, v17
	s_delay_alu instid0(VALU_DEP_3) | instskip(NEXT) | instid1(VALU_DEP_3)
	v_fmac_f32_e32 v147, v14, v9
	v_fma_f32 v3, v21, v17, -v3
	s_delay_alu instid0(VALU_DEP_3) | instskip(NEXT) | instid1(VALU_DEP_3)
	v_fma_f32 v4, v23, v19, -v5
	v_add_f32_e32 v2, v2, v147
	s_delay_alu instid0(VALU_DEP_3) | instskip(NEXT) | instid1(VALU_DEP_2)
	v_add_f32_e32 v1, v1, v3
	v_dual_add_f32 v2, v2, v151 :: v_dual_mul_f32 v29, v23, v20
	s_delay_alu instid0(VALU_DEP_1) | instskip(NEXT) | instid1(VALU_DEP_2)
	v_dual_add_f32 v1, v1, v4 :: v_dual_add_f32 v2, v2, v26
	v_fmac_f32_e32 v29, v24, v19
	s_delay_alu instid0(VALU_DEP_2) | instskip(NEXT) | instid1(VALU_DEP_2)
	v_sub_f32_e32 v1, v148, v1
	v_add_f32_e32 v2, v2, v29
	s_delay_alu instid0(VALU_DEP_1)
	v_sub_f32_e32 v2, v149, v2
	scratch_store_b64 off, v[1:2], off offset:136
	v_cmpx_lt_u32_e32 16, v0
	s_cbranch_execz .LBB55_317
; %bb.316:
	scratch_load_b64 v[1:2], off, off offset:128
	v_mov_b32_e32 v3, 0
	s_delay_alu instid0(VALU_DEP_1)
	v_mov_b32_e32 v4, v3
	scratch_store_b64 off, v[3:4], off offset:128
	s_wait_loadcnt 0x0
	ds_store_b64 v27, v[1:2]
.LBB55_317:
	s_wait_alu 0xfffe
	s_or_b32 exec_lo, exec_lo, s0
	s_wait_storecnt_dscnt 0x0
	s_barrier_signal -1
	s_barrier_wait -1
	global_inv scope:SCOPE_SE
	s_clause 0x4
	scratch_load_b128 v[5:8], off, off offset:136
	scratch_load_b128 v[1:4], off, off offset:152
	;; [unrolled: 1-line block ×5, first 2 shown]
	v_mov_b32_e32 v21, 0
	ds_load_2addr_b64 v[22:25], v21 offset0:73 offset1:74
	ds_load_2addr_b64 v[28:31], v21 offset0:75 offset1:76
	ds_load_2addr_b64 v[144:147], v21 offset0:77 offset1:78
	scratch_load_b64 v[148:149], off, off offset:128
	s_mov_b32 s0, exec_lo
	s_wait_loadcnt_dscnt 0x502
	v_dual_mul_f32 v150, v22, v6 :: v_dual_mul_f32 v151, v24, v8
	v_mul_f32_e32 v26, v23, v6
	v_mul_f32_e32 v6, v25, v8
	s_wait_loadcnt_dscnt 0x300
	v_mul_f32_e32 v152, v146, v12
	v_dual_fmac_f32 v150, v23, v5 :: v_dual_fmac_f32 v151, v25, v7
	v_mul_f32_e32 v25, v30, v4
	v_fma_f32 v22, v22, v5, -v26
	v_mul_f32_e32 v26, v144, v10
	v_mul_f32_e32 v4, v31, v4
	s_delay_alu instid0(VALU_DEP_4)
	v_dual_mul_f32 v10, v145, v10 :: v_dual_fmac_f32 v25, v31, v3
	v_fma_f32 v23, v24, v7, -v6
	ds_load_2addr_b64 v[5:8], v21 offset0:79 offset1:80
	v_mul_f32_e32 v24, v28, v2
	v_mul_f32_e32 v12, v147, v12
	;; [unrolled: 1-line block ×3, first 2 shown]
	v_fmac_f32_e32 v26, v145, v9
	v_fmac_f32_e32 v152, v147, v11
	;; [unrolled: 1-line block ×3, first 2 shown]
	v_fma_f32 v29, v30, v3, -v4
	v_fma_f32 v30, v144, v9, -v10
	;; [unrolled: 1-line block ×3, first 2 shown]
	ds_load_2addr_b64 v[9:12], v21 offset0:81 offset1:82
	s_wait_loadcnt_dscnt 0x201
	v_dual_mul_f32 v145, v7, v16 :: v_dual_mul_f32 v144, v5, v14
	v_mul_f32_e32 v14, v6, v14
	v_mul_f32_e32 v16, v8, v16
	s_delay_alu instid0(VALU_DEP_3)
	v_fmac_f32_e32 v145, v8, v15
	v_fma_f32 v28, v28, v1, -v2
	scratch_load_b128 v[1:4], off, off offset:216
	v_fmac_f32_e32 v144, v6, v13
	v_fma_f32 v13, v5, v13, -v14
	v_fma_f32 v14, v7, v15, -v16
	s_wait_loadcnt_dscnt 0x200
	v_mul_f32_e32 v15, v9, v18
	v_mul_f32_e32 v16, v10, v18
	;; [unrolled: 1-line block ×4, first 2 shown]
	ds_load_2addr_b64 v[5:8], v21 offset0:83 offset1:84
	v_fmac_f32_e32 v15, v10, v17
	v_fma_f32 v16, v9, v17, -v16
	v_fmac_f32_e32 v18, v12, v19
	v_fma_f32 v17, v11, v19, -v20
	scratch_load_b128 v[9:12], off, off offset:232
	s_wait_loadcnt_dscnt 0x100
	v_mul_f32_e32 v19, v5, v2
	v_mul_f32_e32 v2, v6, v2
	;; [unrolled: 1-line block ×3, first 2 shown]
	s_delay_alu instid0(VALU_DEP_3) | instskip(NEXT) | instid1(VALU_DEP_3)
	v_dual_mul_f32 v4, v8, v4 :: v_dual_fmac_f32 v19, v6, v1
	v_fma_f32 v146, v5, v1, -v2
	s_delay_alu instid0(VALU_DEP_3) | instskip(NEXT) | instid1(VALU_DEP_3)
	v_fmac_f32_e32 v20, v8, v3
	v_fma_f32 v147, v7, v3, -v4
	ds_load_2addr_b64 v[1:4], v21 offset0:85 offset1:86
	ds_load_2addr_b64 v[5:8], v21 offset0:87 offset1:88
	s_wait_loadcnt_dscnt 0x1
	v_mul_f32_e32 v153, v1, v10
	v_mul_f32_e32 v10, v2, v10
	s_delay_alu instid0(VALU_DEP_2) | instskip(NEXT) | instid1(VALU_DEP_2)
	v_dual_mul_f32 v154, v3, v12 :: v_dual_fmac_f32 v153, v2, v9
	v_fma_f32 v155, v1, v9, -v10
	v_mul_f32_e32 v1, v4, v12
	s_delay_alu instid0(VALU_DEP_3) | instskip(NEXT) | instid1(VALU_DEP_2)
	v_fmac_f32_e32 v154, v4, v11
	v_fma_f32 v156, v3, v11, -v1
	s_clause 0x1
	scratch_load_b128 v[1:4], off, off offset:248
	scratch_load_b128 v[9:12], off, off offset:264
	s_wait_loadcnt_dscnt 0x100
	v_mul_f32_e32 v157, v5, v2
	v_dual_mul_f32 v2, v6, v2 :: v_dual_mul_f32 v159, v7, v4
	s_delay_alu instid0(VALU_DEP_2) | instskip(NEXT) | instid1(VALU_DEP_2)
	v_fmac_f32_e32 v157, v6, v1
	v_fma_f32 v158, v5, v1, -v2
	v_mul_f32_e32 v1, v8, v4
	s_delay_alu instid0(VALU_DEP_4) | instskip(NEXT) | instid1(VALU_DEP_2)
	v_fmac_f32_e32 v159, v8, v3
	v_fma_f32 v160, v7, v3, -v1
	ds_load_2addr_b64 v[1:4], v21 offset0:89 offset1:90
	ds_load_2addr_b64 v[5:8], v21 offset0:91 offset1:92
	s_wait_loadcnt_dscnt 0x1
	v_mul_f32_e32 v161, v1, v10
	v_mul_f32_e32 v163, v3, v12
	s_delay_alu instid0(VALU_DEP_2) | instskip(NEXT) | instid1(VALU_DEP_2)
	v_fmac_f32_e32 v161, v2, v9
	v_dual_mul_f32 v2, v2, v10 :: v_dual_fmac_f32 v163, v4, v11
	s_delay_alu instid0(VALU_DEP_1) | instskip(SKIP_1) | instid1(VALU_DEP_1)
	v_fma_f32 v162, v1, v9, -v2
	v_mul_f32_e32 v1, v4, v12
	v_fma_f32 v164, v3, v11, -v1
	s_clause 0x1
	scratch_load_b128 v[1:4], off, off offset:280
	scratch_load_b128 v[9:12], off, off offset:296
	s_wait_loadcnt_dscnt 0x100
	v_mul_f32_e32 v165, v5, v2
	v_dual_mul_f32 v2, v6, v2 :: v_dual_mul_f32 v167, v7, v4
	s_delay_alu instid0(VALU_DEP_2) | instskip(NEXT) | instid1(VALU_DEP_2)
	v_fmac_f32_e32 v165, v6, v1
	v_fma_f32 v166, v5, v1, -v2
	v_mul_f32_e32 v1, v8, v4
	s_delay_alu instid0(VALU_DEP_4) | instskip(NEXT) | instid1(VALU_DEP_2)
	v_fmac_f32_e32 v167, v8, v3
	v_fma_f32 v168, v7, v3, -v1
	ds_load_2addr_b64 v[1:4], v21 offset0:93 offset1:94
	ds_load_2addr_b64 v[5:8], v21 offset0:95 offset1:96
	s_wait_loadcnt_dscnt 0x1
	v_mul_f32_e32 v169, v1, v10
	v_mul_f32_e32 v171, v3, v12
	s_delay_alu instid0(VALU_DEP_2) | instskip(NEXT) | instid1(VALU_DEP_2)
	v_fmac_f32_e32 v169, v2, v9
	v_dual_mul_f32 v2, v2, v10 :: v_dual_fmac_f32 v171, v4, v11
	s_delay_alu instid0(VALU_DEP_1) | instskip(SKIP_1) | instid1(VALU_DEP_1)
	v_fma_f32 v170, v1, v9, -v2
	v_mul_f32_e32 v1, v4, v12
	;; [unrolled: 25-line block ×3, first 2 shown]
	v_fma_f32 v180, v3, v11, -v1
	s_clause 0x1
	scratch_load_b128 v[1:4], off, off offset:344
	scratch_load_b128 v[9:12], off, off offset:360
	s_wait_loadcnt_dscnt 0x100
	v_mul_f32_e32 v181, v5, v2
	v_mul_f32_e32 v2, v6, v2
	s_delay_alu instid0(VALU_DEP_1) | instskip(SKIP_1) | instid1(VALU_DEP_1)
	v_fma_f32 v182, v5, v1, -v2
	v_add_f32_e32 v2, 0, v150
	v_add_f32_e32 v2, v2, v151
	s_delay_alu instid0(VALU_DEP_1) | instskip(NEXT) | instid1(VALU_DEP_1)
	v_add_f32_e32 v2, v2, v24
	v_add_f32_e32 v2, v2, v25
	s_delay_alu instid0(VALU_DEP_1) | instskip(NEXT) | instid1(VALU_DEP_1)
	v_add_f32_e32 v2, v2, v26
	v_add_f32_e32 v2, v2, v152
	v_fmac_f32_e32 v181, v6, v1
	s_delay_alu instid0(VALU_DEP_2) | instskip(NEXT) | instid1(VALU_DEP_1)
	v_add_f32_e32 v2, v2, v144
	v_dual_add_f32 v2, v2, v145 :: v_dual_mul_f32 v183, v7, v4
	s_delay_alu instid0(VALU_DEP_1) | instskip(NEXT) | instid1(VALU_DEP_1)
	v_add_f32_e32 v2, v2, v15
	v_dual_fmac_f32 v183, v8, v3 :: v_dual_add_f32 v2, v2, v18
	s_delay_alu instid0(VALU_DEP_1) | instskip(NEXT) | instid1(VALU_DEP_1)
	v_dual_mul_f32 v1, v8, v4 :: v_dual_add_f32 v2, v2, v19
	v_fma_f32 v184, v7, v3, -v1
	s_delay_alu instid0(VALU_DEP_2) | instskip(NEXT) | instid1(VALU_DEP_1)
	v_dual_add_f32 v1, 0, v22 :: v_dual_add_f32 v2, v2, v20
	v_dual_add_f32 v1, v1, v23 :: v_dual_add_f32 v2, v2, v153
	s_delay_alu instid0(VALU_DEP_1) | instskip(NEXT) | instid1(VALU_DEP_2)
	v_add_f32_e32 v1, v1, v28
	v_add_f32_e32 v5, v2, v154
	s_delay_alu instid0(VALU_DEP_2) | instskip(SKIP_2) | instid1(VALU_DEP_1)
	v_add_f32_e32 v1, v1, v29
	scratch_load_b64 v[28:29], off, off offset:440
	v_add_f32_e32 v1, v1, v30
	v_add_f32_e32 v1, v1, v31
	s_delay_alu instid0(VALU_DEP_1) | instskip(SKIP_1) | instid1(VALU_DEP_2)
	v_add_f32_e32 v1, v1, v13
	v_add_f32_e32 v13, v5, v157
	;; [unrolled: 1-line block ×3, first 2 shown]
	s_delay_alu instid0(VALU_DEP_2) | instskip(NEXT) | instid1(VALU_DEP_2)
	v_add_f32_e32 v13, v13, v159
	v_add_f32_e32 v1, v1, v16
	s_delay_alu instid0(VALU_DEP_2) | instskip(NEXT) | instid1(VALU_DEP_2)
	v_add_f32_e32 v13, v13, v161
	v_add_f32_e32 v1, v1, v17
	s_delay_alu instid0(VALU_DEP_2) | instskip(NEXT) | instid1(VALU_DEP_1)
	v_add_f32_e32 v18, v13, v163
	v_dual_add_f32 v1, v1, v146 :: v_dual_add_f32 v18, v18, v165
	s_delay_alu instid0(VALU_DEP_1) | instskip(NEXT) | instid1(VALU_DEP_1)
	v_add_f32_e32 v18, v18, v167
	v_dual_add_f32 v1, v1, v147 :: v_dual_add_f32 v22, v18, v169
	s_delay_alu instid0(VALU_DEP_1) | instskip(NEXT) | instid1(VALU_DEP_2)
	v_add_f32_e32 v22, v22, v171
	v_add_f32_e32 v1, v1, v155
	s_delay_alu instid0(VALU_DEP_1) | instskip(NEXT) | instid1(VALU_DEP_1)
	v_add_f32_e32 v1, v1, v156
	v_add_f32_e32 v6, v1, v158
	scratch_load_b128 v[1:4], off, off offset:376
	v_add_f32_e32 v22, v22, v173
	v_add_f32_e32 v14, v6, v160
	ds_load_2addr_b64 v[5:8], v21 offset0:101 offset1:102
	v_add_f32_e32 v22, v22, v175
	v_add_f32_e32 v14, v14, v162
	s_delay_alu instid0(VALU_DEP_1)
	v_add_f32_e32 v17, v14, v164
	ds_load_2addr_b64 v[13:16], v21 offset0:103 offset1:104
	s_wait_loadcnt_dscnt 0x201
	v_mul_f32_e32 v26, v5, v10
	v_mul_f32_e32 v10, v6, v10
	;; [unrolled: 1-line block ×4, first 2 shown]
	s_delay_alu instid0(VALU_DEP_4) | instskip(NEXT) | instid1(VALU_DEP_4)
	v_fmac_f32_e32 v26, v6, v9
	v_fma_f32 v145, v5, v9, -v10
	s_delay_alu instid0(VALU_DEP_4) | instskip(NEXT) | instid1(VALU_DEP_4)
	v_fmac_f32_e32 v144, v8, v11
	v_fma_f32 v146, v7, v11, -v12
	s_clause 0x1
	scratch_load_b128 v[5:8], off, off offset:392
	scratch_load_b128 v[9:12], off, off offset:408
	s_wait_loadcnt_dscnt 0x200
	v_dual_mul_f32 v150, v15, v4 :: v_dual_mul_f32 v147, v13, v2
	v_mul_f32_e32 v2, v14, v2
	v_mul_f32_e32 v4, v16, v4
	s_delay_alu instid0(VALU_DEP_3) | instskip(NEXT) | instid1(VALU_DEP_3)
	v_dual_fmac_f32 v150, v16, v3 :: v_dual_add_f32 v17, v17, v166
	v_fma_f32 v151, v13, v1, -v2
	v_add_f32_e32 v13, v22, v177
	v_fmac_f32_e32 v147, v14, v1
	v_fma_f32 v152, v15, v3, -v4
	v_add_f32_e32 v17, v17, v168
	ds_load_2addr_b64 v[1:4], v21 offset0:105 offset1:106
	v_add_f32_e32 v22, v13, v179
	v_add_f32_e32 v17, v17, v170
	s_delay_alu instid0(VALU_DEP_2) | instskip(NEXT) | instid1(VALU_DEP_2)
	v_add_f32_e32 v31, v22, v181
	v_add_f32_e32 v23, v17, v172
	scratch_load_b128 v[17:20], off, off offset:424
	v_add_f32_e32 v154, v31, v183
	s_delay_alu instid0(VALU_DEP_1) | instskip(NEXT) | instid1(VALU_DEP_1)
	v_add_f32_e32 v26, v154, v26
	v_dual_add_f32 v23, v23, v174 :: v_dual_add_f32 v26, v26, v144
	s_delay_alu instid0(VALU_DEP_1) | instskip(NEXT) | instid1(VALU_DEP_1)
	v_dual_add_f32 v23, v23, v176 :: v_dual_add_f32 v26, v26, v147
	v_add_f32_e32 v23, v23, v178
	s_delay_alu instid0(VALU_DEP_2) | instskip(NEXT) | instid1(VALU_DEP_2)
	v_add_f32_e32 v26, v26, v150
	v_add_f32_e32 v14, v23, v180
	ds_load_2addr_b64 v[22:25], v21 offset0:109 offset1:110
	v_add_f32_e32 v30, v14, v182
	ds_load_2addr_b64 v[13:16], v21 offset0:107 offset1:108
	s_wait_loadcnt_dscnt 0x202
	v_mul_f32_e32 v144, v3, v8
	v_mul_f32_e32 v8, v4, v8
	v_add_f32_e32 v153, v30, v184
	ds_load_b64 v[30:31], v21 offset:888
	v_dual_fmac_f32 v144, v4, v7 :: v_dual_add_f32 v145, v153, v145
	v_mul_f32_e32 v153, v1, v6
	v_mul_f32_e32 v6, v2, v6
	s_delay_alu instid0(VALU_DEP_1)
	v_fma_f32 v1, v1, v5, -v6
	s_wait_loadcnt_dscnt 0x100
	v_dual_mul_f32 v147, v15, v12 :: v_dual_mul_f32 v150, v30, v29
	v_fmac_f32_e32 v153, v2, v5
	v_add_f32_e32 v145, v145, v146
	v_mul_f32_e32 v146, v13, v10
	v_fma_f32 v2, v3, v7, -v8
	v_dual_fmac_f32 v147, v16, v11 :: v_dual_fmac_f32 v150, v31, v28
	s_delay_alu instid0(VALU_DEP_4) | instskip(NEXT) | instid1(VALU_DEP_1)
	v_dual_add_f32 v4, v26, v153 :: v_dual_add_f32 v145, v145, v151
	v_dual_fmac_f32 v146, v14, v9 :: v_dual_add_f32 v145, v145, v152
	s_delay_alu instid0(VALU_DEP_1) | instskip(NEXT) | instid1(VALU_DEP_1)
	v_add_f32_e32 v1, v145, v1
	v_dual_add_f32 v1, v1, v2 :: v_dual_add_f32 v2, v4, v144
	s_delay_alu instid0(VALU_DEP_1) | instskip(NEXT) | instid1(VALU_DEP_1)
	v_dual_add_f32 v2, v2, v146 :: v_dual_mul_f32 v5, v16, v12
	v_add_f32_e32 v2, v2, v147
	s_delay_alu instid0(VALU_DEP_2) | instskip(SKIP_4) | instid1(VALU_DEP_3)
	v_fma_f32 v5, v15, v11, -v5
	s_wait_loadcnt 0x0
	v_dual_mul_f32 v151, v22, v18 :: v_dual_mul_f32 v152, v24, v20
	v_mul_f32_e32 v3, v14, v10
	v_mul_f32_e32 v4, v23, v18
	v_dual_fmac_f32 v151, v23, v17 :: v_dual_fmac_f32 v152, v25, v19
	s_delay_alu instid0(VALU_DEP_3) | instskip(NEXT) | instid1(VALU_DEP_3)
	v_fma_f32 v3, v13, v9, -v3
	v_fma_f32 v4, v22, v17, -v4
	s_delay_alu instid0(VALU_DEP_3) | instskip(NEXT) | instid1(VALU_DEP_1)
	v_add_f32_e32 v2, v2, v151
	v_dual_add_f32 v1, v1, v3 :: v_dual_add_f32 v2, v2, v152
	v_mul_f32_e32 v3, v25, v20
	s_delay_alu instid0(VALU_DEP_2) | instskip(NEXT) | instid1(VALU_DEP_3)
	v_add_f32_e32 v1, v1, v5
	v_dual_mul_f32 v5, v31, v29 :: v_dual_add_f32 v2, v2, v150
	s_delay_alu instid0(VALU_DEP_3) | instskip(NEXT) | instid1(VALU_DEP_3)
	v_fma_f32 v3, v24, v19, -v3
	v_add_f32_e32 v1, v1, v4
	s_delay_alu instid0(VALU_DEP_3) | instskip(NEXT) | instid1(VALU_DEP_4)
	v_fma_f32 v4, v30, v28, -v5
	v_sub_f32_e32 v2, v149, v2
	s_delay_alu instid0(VALU_DEP_3) | instskip(NEXT) | instid1(VALU_DEP_1)
	v_add_f32_e32 v1, v1, v3
	v_add_f32_e32 v1, v1, v4
	s_delay_alu instid0(VALU_DEP_1)
	v_sub_f32_e32 v1, v148, v1
	scratch_store_b64 off, v[1:2], off offset:128
	v_cmpx_lt_u32_e32 15, v0
	s_cbranch_execz .LBB55_319
; %bb.318:
	scratch_load_b64 v[1:2], off, off offset:120
	v_mov_b32_e32 v22, v21
	scratch_store_b64 off, v[21:22], off offset:120
	s_wait_loadcnt 0x0
	ds_store_b64 v27, v[1:2]
.LBB55_319:
	s_wait_alu 0xfffe
	s_or_b32 exec_lo, exec_lo, s0
	s_wait_storecnt_dscnt 0x0
	s_barrier_signal -1
	s_barrier_wait -1
	global_inv scope:SCOPE_SE
	s_clause 0x4
	scratch_load_b128 v[5:8], off, off offset:128
	scratch_load_b128 v[1:4], off, off offset:144
	;; [unrolled: 1-line block ×5, first 2 shown]
	ds_load_b128 v[22:25], v21 offset:576
	ds_load_b128 v[28:31], v21 offset:592
	;; [unrolled: 1-line block ×3, first 2 shown]
	scratch_load_b64 v[148:149], off, off offset:120
	s_mov_b32 s0, exec_lo
	s_wait_loadcnt_dscnt 0x502
	v_dual_mul_f32 v26, v23, v6 :: v_dual_mul_f32 v151, v24, v8
	v_mul_f32_e32 v150, v22, v6
	v_mul_f32_e32 v6, v25, v8
	s_wait_loadcnt_dscnt 0x300
	v_mul_f32_e32 v152, v146, v12
	v_fma_f32 v22, v22, v5, -v26
	v_dual_fmac_f32 v151, v25, v7 :: v_dual_fmac_f32 v150, v23, v5
	v_mul_f32_e32 v25, v30, v4
	v_mul_f32_e32 v4, v31, v4
	;; [unrolled: 1-line block ×5, first 2 shown]
	v_fmac_f32_e32 v25, v31, v3
	v_fma_f32 v23, v24, v7, -v6
	ds_load_b128 v[5:8], v21 offset:624
	v_mul_f32_e32 v24, v28, v2
	v_mul_f32_e32 v2, v29, v2
	v_fmac_f32_e32 v26, v145, v9
	v_fmac_f32_e32 v152, v147, v11
	v_fma_f32 v31, v146, v11, -v12
	v_fmac_f32_e32 v24, v29, v1
	v_fma_f32 v29, v30, v3, -v4
	v_fma_f32 v30, v144, v9, -v10
	ds_load_b128 v[9:12], v21 offset:640
	s_wait_loadcnt_dscnt 0x201
	v_dual_mul_f32 v145, v7, v16 :: v_dual_mul_f32 v144, v5, v14
	v_mul_f32_e32 v14, v6, v14
	v_mul_f32_e32 v16, v8, v16
	s_delay_alu instid0(VALU_DEP_3)
	v_fmac_f32_e32 v145, v8, v15
	v_fma_f32 v28, v28, v1, -v2
	scratch_load_b128 v[1:4], off, off offset:208
	v_fmac_f32_e32 v144, v6, v13
	v_fma_f32 v13, v5, v13, -v14
	v_fma_f32 v14, v7, v15, -v16
	s_wait_loadcnt_dscnt 0x200
	v_mul_f32_e32 v15, v9, v18
	v_mul_f32_e32 v16, v10, v18
	;; [unrolled: 1-line block ×4, first 2 shown]
	ds_load_b128 v[5:8], v21 offset:656
	v_fmac_f32_e32 v15, v10, v17
	v_fma_f32 v16, v9, v17, -v16
	v_fmac_f32_e32 v18, v12, v19
	v_fma_f32 v17, v11, v19, -v20
	scratch_load_b128 v[9:12], off, off offset:224
	s_wait_loadcnt_dscnt 0x100
	v_mul_f32_e32 v19, v5, v2
	v_mul_f32_e32 v2, v6, v2
	v_mul_f32_e32 v20, v7, v4
	s_delay_alu instid0(VALU_DEP_3) | instskip(NEXT) | instid1(VALU_DEP_3)
	v_dual_mul_f32 v4, v8, v4 :: v_dual_fmac_f32 v19, v6, v1
	v_fma_f32 v146, v5, v1, -v2
	s_delay_alu instid0(VALU_DEP_3) | instskip(NEXT) | instid1(VALU_DEP_3)
	v_fmac_f32_e32 v20, v8, v3
	v_fma_f32 v147, v7, v3, -v4
	ds_load_b128 v[1:4], v21 offset:672
	ds_load_b128 v[5:8], v21 offset:688
	s_wait_loadcnt_dscnt 0x1
	v_mul_f32_e32 v153, v1, v10
	v_mul_f32_e32 v10, v2, v10
	s_delay_alu instid0(VALU_DEP_2) | instskip(NEXT) | instid1(VALU_DEP_2)
	v_dual_mul_f32 v154, v3, v12 :: v_dual_fmac_f32 v153, v2, v9
	v_fma_f32 v155, v1, v9, -v10
	v_mul_f32_e32 v1, v4, v12
	s_delay_alu instid0(VALU_DEP_3) | instskip(NEXT) | instid1(VALU_DEP_2)
	v_fmac_f32_e32 v154, v4, v11
	v_fma_f32 v156, v3, v11, -v1
	s_clause 0x1
	scratch_load_b128 v[1:4], off, off offset:240
	scratch_load_b128 v[9:12], off, off offset:256
	s_wait_loadcnt_dscnt 0x100
	v_mul_f32_e32 v157, v5, v2
	v_dual_mul_f32 v2, v6, v2 :: v_dual_mul_f32 v159, v7, v4
	s_delay_alu instid0(VALU_DEP_2) | instskip(NEXT) | instid1(VALU_DEP_2)
	v_fmac_f32_e32 v157, v6, v1
	v_fma_f32 v158, v5, v1, -v2
	v_mul_f32_e32 v1, v8, v4
	s_delay_alu instid0(VALU_DEP_4) | instskip(NEXT) | instid1(VALU_DEP_2)
	v_fmac_f32_e32 v159, v8, v3
	v_fma_f32 v160, v7, v3, -v1
	ds_load_b128 v[1:4], v21 offset:704
	ds_load_b128 v[5:8], v21 offset:720
	s_wait_loadcnt_dscnt 0x1
	v_mul_f32_e32 v161, v1, v10
	v_mul_f32_e32 v163, v3, v12
	s_delay_alu instid0(VALU_DEP_2) | instskip(NEXT) | instid1(VALU_DEP_2)
	v_fmac_f32_e32 v161, v2, v9
	v_dual_mul_f32 v2, v2, v10 :: v_dual_fmac_f32 v163, v4, v11
	s_delay_alu instid0(VALU_DEP_1) | instskip(SKIP_1) | instid1(VALU_DEP_1)
	v_fma_f32 v162, v1, v9, -v2
	v_mul_f32_e32 v1, v4, v12
	v_fma_f32 v164, v3, v11, -v1
	s_clause 0x1
	scratch_load_b128 v[1:4], off, off offset:272
	scratch_load_b128 v[9:12], off, off offset:288
	s_wait_loadcnt_dscnt 0x100
	v_mul_f32_e32 v165, v5, v2
	v_dual_mul_f32 v2, v6, v2 :: v_dual_mul_f32 v167, v7, v4
	s_delay_alu instid0(VALU_DEP_2) | instskip(NEXT) | instid1(VALU_DEP_2)
	v_fmac_f32_e32 v165, v6, v1
	v_fma_f32 v166, v5, v1, -v2
	v_mul_f32_e32 v1, v8, v4
	s_delay_alu instid0(VALU_DEP_4) | instskip(NEXT) | instid1(VALU_DEP_2)
	v_fmac_f32_e32 v167, v8, v3
	v_fma_f32 v168, v7, v3, -v1
	ds_load_b128 v[1:4], v21 offset:736
	ds_load_b128 v[5:8], v21 offset:752
	s_wait_loadcnt_dscnt 0x1
	v_mul_f32_e32 v169, v1, v10
	v_mul_f32_e32 v171, v3, v12
	s_delay_alu instid0(VALU_DEP_2) | instskip(NEXT) | instid1(VALU_DEP_2)
	v_fmac_f32_e32 v169, v2, v9
	v_dual_mul_f32 v2, v2, v10 :: v_dual_fmac_f32 v171, v4, v11
	s_delay_alu instid0(VALU_DEP_1) | instskip(SKIP_1) | instid1(VALU_DEP_1)
	v_fma_f32 v170, v1, v9, -v2
	v_mul_f32_e32 v1, v4, v12
	;; [unrolled: 25-line block ×4, first 2 shown]
	v_fma_f32 v188, v3, v11, -v1
	s_clause 0x1
	scratch_load_b128 v[1:4], off, off offset:368
	scratch_load_b128 v[9:12], off, off offset:384
	s_wait_loadcnt_dscnt 0x100
	v_mul_f32_e32 v189, v5, v2
	v_mul_f32_e32 v2, v6, v2
	s_delay_alu instid0(VALU_DEP_1) | instskip(SKIP_1) | instid1(VALU_DEP_1)
	v_fma_f32 v190, v5, v1, -v2
	v_add_f32_e32 v2, 0, v150
	v_add_f32_e32 v2, v2, v151
	s_delay_alu instid0(VALU_DEP_1) | instskip(NEXT) | instid1(VALU_DEP_1)
	v_add_f32_e32 v2, v2, v24
	v_add_f32_e32 v2, v2, v25
	s_delay_alu instid0(VALU_DEP_1) | instskip(NEXT) | instid1(VALU_DEP_1)
	;; [unrolled: 3-line block ×5, first 2 shown]
	v_add_f32_e32 v2, v2, v19
	v_add_f32_e32 v2, v2, v20
	s_delay_alu instid0(VALU_DEP_1) | instskip(SKIP_1) | instid1(VALU_DEP_2)
	v_dual_add_f32 v2, v2, v153 :: v_dual_mul_f32 v191, v7, v4
	v_fmac_f32_e32 v189, v6, v1
	v_dual_add_f32 v2, v2, v154 :: v_dual_fmac_f32 v191, v8, v3
	s_delay_alu instid0(VALU_DEP_1) | instskip(NEXT) | instid1(VALU_DEP_1)
	v_dual_add_f32 v2, v2, v157 :: v_dual_mul_f32 v1, v8, v4
	v_add_f32_e32 v2, v2, v159
	s_delay_alu instid0(VALU_DEP_2) | instskip(SKIP_1) | instid1(VALU_DEP_1)
	v_fma_f32 v192, v7, v3, -v1
	v_add_f32_e32 v1, 0, v22
	v_add_f32_e32 v1, v1, v23
	s_delay_alu instid0(VALU_DEP_1) | instskip(NEXT) | instid1(VALU_DEP_1)
	v_add_f32_e32 v1, v1, v28
	v_add_f32_e32 v1, v1, v29
	s_delay_alu instid0(VALU_DEP_1) | instskip(NEXT) | instid1(VALU_DEP_1)
	;; [unrolled: 3-line block ×10, first 2 shown]
	v_add_f32_e32 v13, v13, v170
	v_add_f32_e32 v13, v13, v172
	s_delay_alu instid0(VALU_DEP_1) | instskip(SKIP_3) | instid1(VALU_DEP_1)
	v_add_f32_e32 v13, v13, v174
	v_add_f32_e32 v5, v2, v161
	ds_load_b128 v[1:4], v21 offset:832
	v_add_f32_e32 v18, v13, v176
	v_dual_add_f32 v5, v5, v163 :: v_dual_add_f32 v18, v18, v178
	s_delay_alu instid0(VALU_DEP_1) | instskip(NEXT) | instid1(VALU_DEP_1)
	v_dual_add_f32 v5, v5, v165 :: v_dual_add_f32 v18, v18, v180
	v_add_f32_e32 v14, v5, v167
	ds_load_b128 v[5:8], v21 offset:848
	v_add_f32_e32 v22, v18, v182
	v_add_f32_e32 v14, v14, v169
	s_wait_loadcnt_dscnt 0x1
	v_mul_f32_e32 v26, v3, v12
	v_mul_f32_e32 v12, v4, v12
	v_add_f32_e32 v30, v22, v184
	v_add_f32_e32 v14, v14, v171
	s_delay_alu instid0(VALU_DEP_4) | instskip(NEXT) | instid1(VALU_DEP_4)
	v_fmac_f32_e32 v26, v4, v11
	v_fma_f32 v29, v3, v11, -v12
	s_delay_alu instid0(VALU_DEP_4) | instskip(NEXT) | instid1(VALU_DEP_4)
	v_add_f32_e32 v30, v30, v186
	v_add_f32_e32 v17, v14, v173
	scratch_load_b128 v[13:16], off, off offset:432
	v_dual_add_f32 v30, v30, v188 :: v_dual_add_f32 v17, v17, v175
	s_delay_alu instid0(VALU_DEP_1) | instskip(NEXT) | instid1(VALU_DEP_1)
	v_dual_add_f32 v30, v30, v190 :: v_dual_add_f32 v17, v17, v177
	v_dual_add_f32 v30, v30, v192 :: v_dual_add_f32 v17, v17, v179
	s_delay_alu instid0(VALU_DEP_1) | instskip(SKIP_3) | instid1(VALU_DEP_2)
	v_add_f32_e32 v23, v17, v181
	ds_load_b128 v[17:20], v21 offset:864
	v_mul_f32_e32 v25, v1, v10
	v_mul_f32_e32 v10, v2, v10
	v_fmac_f32_e32 v25, v2, v9
	s_delay_alu instid0(VALU_DEP_2)
	v_fma_f32 v28, v1, v9, -v10
	s_clause 0x1
	scratch_load_b128 v[1:4], off, off offset:400
	scratch_load_b128 v[9:12], off, off offset:416
	v_add_f32_e32 v28, v30, v28
	s_wait_loadcnt_dscnt 0x101
	v_mul_f32_e32 v144, v5, v2
	s_wait_loadcnt_dscnt 0x0
	v_mul_f32_e32 v146, v17, v10
	v_dual_mul_f32 v2, v6, v2 :: v_dual_mul_f32 v145, v7, v4
	v_mul_f32_e32 v4, v8, v4
	v_dual_fmac_f32 v144, v6, v1 :: v_dual_add_f32 v31, v23, v183
	ds_load_b128 v[21:24], v21 offset:880
	v_fma_f32 v2, v5, v1, -v2
	v_dual_add_f32 v1, v28, v29 :: v_dual_mul_f32 v6, v18, v10
	v_fmac_f32_e32 v145, v8, v3
	v_fma_f32 v3, v7, v3, -v4
	v_mul_f32_e32 v147, v19, v12
	s_delay_alu instid0(VALU_DEP_4) | instskip(NEXT) | instid1(VALU_DEP_2)
	v_dual_add_f32 v1, v1, v2 :: v_dual_mul_f32 v4, v20, v12
	v_dual_fmac_f32 v146, v18, v9 :: v_dual_fmac_f32 v147, v20, v11
	s_delay_alu instid0(VALU_DEP_2) | instskip(NEXT) | instid1(VALU_DEP_3)
	v_add_f32_e32 v1, v1, v3
	v_fma_f32 v4, v19, v11, -v4
	s_wait_dscnt 0x0
	v_mul_f32_e32 v30, v23, v16
	v_mul_f32_e32 v150, v21, v14
	s_delay_alu instid0(VALU_DEP_2) | instskip(SKIP_1) | instid1(VALU_DEP_3)
	v_dual_mul_f32 v3, v22, v14 :: v_dual_fmac_f32 v30, v24, v15
	v_add_f32_e32 v31, v31, v185
	v_fmac_f32_e32 v150, v22, v13
	s_delay_alu instid0(VALU_DEP_3) | instskip(NEXT) | instid1(VALU_DEP_3)
	v_fma_f32 v3, v21, v13, -v3
	v_add_f32_e32 v31, v31, v187
	s_delay_alu instid0(VALU_DEP_1) | instskip(NEXT) | instid1(VALU_DEP_1)
	v_add_f32_e32 v31, v31, v189
	v_add_f32_e32 v31, v31, v191
	s_delay_alu instid0(VALU_DEP_1) | instskip(NEXT) | instid1(VALU_DEP_1)
	v_add_f32_e32 v25, v31, v25
	v_add_f32_e32 v5, v25, v26
	s_delay_alu instid0(VALU_DEP_1) | instskip(SKIP_1) | instid1(VALU_DEP_2)
	v_add_f32_e32 v2, v5, v144
	v_fma_f32 v5, v17, v9, -v6
	v_add_f32_e32 v2, v2, v145
	s_delay_alu instid0(VALU_DEP_2) | instskip(NEXT) | instid1(VALU_DEP_2)
	v_add_f32_e32 v1, v1, v5
	v_dual_mul_f32 v5, v24, v16 :: v_dual_add_f32 v2, v2, v146
	s_delay_alu instid0(VALU_DEP_2) | instskip(NEXT) | instid1(VALU_DEP_2)
	v_add_f32_e32 v1, v1, v4
	v_fma_f32 v4, v23, v15, -v5
	s_delay_alu instid0(VALU_DEP_3) | instskip(NEXT) | instid1(VALU_DEP_1)
	v_add_f32_e32 v2, v2, v147
	v_dual_add_f32 v1, v1, v3 :: v_dual_add_f32 v2, v2, v150
	s_delay_alu instid0(VALU_DEP_1) | instskip(NEXT) | instid1(VALU_DEP_1)
	v_dual_add_f32 v1, v1, v4 :: v_dual_add_f32 v2, v2, v30
	v_dual_sub_f32 v1, v148, v1 :: v_dual_sub_f32 v2, v149, v2
	scratch_store_b64 off, v[1:2], off offset:120
	v_cmpx_lt_u32_e32 14, v0
	s_cbranch_execz .LBB55_321
; %bb.320:
	scratch_load_b64 v[1:2], off, off offset:112
	v_mov_b32_e32 v3, 0
	s_delay_alu instid0(VALU_DEP_1)
	v_mov_b32_e32 v4, v3
	scratch_store_b64 off, v[3:4], off offset:112
	s_wait_loadcnt 0x0
	ds_store_b64 v27, v[1:2]
.LBB55_321:
	s_wait_alu 0xfffe
	s_or_b32 exec_lo, exec_lo, s0
	s_wait_storecnt_dscnt 0x0
	s_barrier_signal -1
	s_barrier_wait -1
	global_inv scope:SCOPE_SE
	s_clause 0x4
	scratch_load_b128 v[5:8], off, off offset:120
	scratch_load_b128 v[1:4], off, off offset:136
	;; [unrolled: 1-line block ×5, first 2 shown]
	v_mov_b32_e32 v21, 0
	ds_load_2addr_b64 v[22:25], v21 offset0:71 offset1:72
	ds_load_2addr_b64 v[28:31], v21 offset0:73 offset1:74
	ds_load_2addr_b64 v[144:147], v21 offset0:75 offset1:76
	scratch_load_b64 v[148:149], off, off offset:112
	s_mov_b32 s0, exec_lo
	s_wait_loadcnt_dscnt 0x502
	v_dual_mul_f32 v150, v22, v6 :: v_dual_mul_f32 v151, v24, v8
	v_mul_f32_e32 v26, v23, v6
	v_mul_f32_e32 v6, v25, v8
	s_wait_loadcnt_dscnt 0x300
	v_mul_f32_e32 v152, v146, v12
	v_dual_fmac_f32 v150, v23, v5 :: v_dual_fmac_f32 v151, v25, v7
	v_mul_f32_e32 v25, v30, v4
	v_fma_f32 v22, v22, v5, -v26
	v_mul_f32_e32 v26, v144, v10
	v_mul_f32_e32 v4, v31, v4
	s_delay_alu instid0(VALU_DEP_4)
	v_dual_mul_f32 v10, v145, v10 :: v_dual_fmac_f32 v25, v31, v3
	v_fma_f32 v23, v24, v7, -v6
	ds_load_2addr_b64 v[5:8], v21 offset0:77 offset1:78
	v_mul_f32_e32 v24, v28, v2
	v_mul_f32_e32 v12, v147, v12
	;; [unrolled: 1-line block ×3, first 2 shown]
	v_fmac_f32_e32 v26, v145, v9
	v_fmac_f32_e32 v152, v147, v11
	v_fmac_f32_e32 v24, v29, v1
	v_fma_f32 v29, v30, v3, -v4
	v_fma_f32 v30, v144, v9, -v10
	;; [unrolled: 1-line block ×3, first 2 shown]
	ds_load_2addr_b64 v[9:12], v21 offset0:79 offset1:80
	s_wait_loadcnt_dscnt 0x201
	v_dual_mul_f32 v145, v7, v16 :: v_dual_mul_f32 v144, v5, v14
	v_mul_f32_e32 v14, v6, v14
	v_mul_f32_e32 v16, v8, v16
	s_delay_alu instid0(VALU_DEP_3)
	v_fmac_f32_e32 v145, v8, v15
	v_fma_f32 v28, v28, v1, -v2
	scratch_load_b128 v[1:4], off, off offset:200
	v_fmac_f32_e32 v144, v6, v13
	v_fma_f32 v13, v5, v13, -v14
	v_fma_f32 v14, v7, v15, -v16
	s_wait_loadcnt_dscnt 0x200
	v_mul_f32_e32 v15, v9, v18
	v_mul_f32_e32 v16, v10, v18
	;; [unrolled: 1-line block ×4, first 2 shown]
	ds_load_2addr_b64 v[5:8], v21 offset0:81 offset1:82
	v_fmac_f32_e32 v15, v10, v17
	v_fma_f32 v16, v9, v17, -v16
	v_fmac_f32_e32 v18, v12, v19
	v_fma_f32 v17, v11, v19, -v20
	scratch_load_b128 v[9:12], off, off offset:216
	s_wait_loadcnt_dscnt 0x100
	v_mul_f32_e32 v19, v5, v2
	v_mul_f32_e32 v2, v6, v2
	;; [unrolled: 1-line block ×3, first 2 shown]
	s_delay_alu instid0(VALU_DEP_3) | instskip(NEXT) | instid1(VALU_DEP_3)
	v_dual_mul_f32 v4, v8, v4 :: v_dual_fmac_f32 v19, v6, v1
	v_fma_f32 v146, v5, v1, -v2
	s_delay_alu instid0(VALU_DEP_3) | instskip(NEXT) | instid1(VALU_DEP_3)
	v_fmac_f32_e32 v20, v8, v3
	v_fma_f32 v147, v7, v3, -v4
	ds_load_2addr_b64 v[1:4], v21 offset0:83 offset1:84
	ds_load_2addr_b64 v[5:8], v21 offset0:85 offset1:86
	s_wait_loadcnt_dscnt 0x1
	v_mul_f32_e32 v153, v1, v10
	v_mul_f32_e32 v10, v2, v10
	s_delay_alu instid0(VALU_DEP_2) | instskip(NEXT) | instid1(VALU_DEP_2)
	v_dual_mul_f32 v154, v3, v12 :: v_dual_fmac_f32 v153, v2, v9
	v_fma_f32 v155, v1, v9, -v10
	v_mul_f32_e32 v1, v4, v12
	s_delay_alu instid0(VALU_DEP_3) | instskip(NEXT) | instid1(VALU_DEP_2)
	v_fmac_f32_e32 v154, v4, v11
	v_fma_f32 v156, v3, v11, -v1
	s_clause 0x1
	scratch_load_b128 v[1:4], off, off offset:232
	scratch_load_b128 v[9:12], off, off offset:248
	s_wait_loadcnt_dscnt 0x100
	v_mul_f32_e32 v157, v5, v2
	v_dual_mul_f32 v2, v6, v2 :: v_dual_mul_f32 v159, v7, v4
	s_delay_alu instid0(VALU_DEP_2) | instskip(NEXT) | instid1(VALU_DEP_2)
	v_fmac_f32_e32 v157, v6, v1
	v_fma_f32 v158, v5, v1, -v2
	v_mul_f32_e32 v1, v8, v4
	s_delay_alu instid0(VALU_DEP_4) | instskip(NEXT) | instid1(VALU_DEP_2)
	v_fmac_f32_e32 v159, v8, v3
	v_fma_f32 v160, v7, v3, -v1
	ds_load_2addr_b64 v[1:4], v21 offset0:87 offset1:88
	ds_load_2addr_b64 v[5:8], v21 offset0:89 offset1:90
	s_wait_loadcnt_dscnt 0x1
	v_mul_f32_e32 v161, v1, v10
	v_mul_f32_e32 v163, v3, v12
	s_delay_alu instid0(VALU_DEP_2) | instskip(NEXT) | instid1(VALU_DEP_2)
	v_fmac_f32_e32 v161, v2, v9
	v_dual_mul_f32 v2, v2, v10 :: v_dual_fmac_f32 v163, v4, v11
	s_delay_alu instid0(VALU_DEP_1) | instskip(SKIP_1) | instid1(VALU_DEP_1)
	v_fma_f32 v162, v1, v9, -v2
	v_mul_f32_e32 v1, v4, v12
	v_fma_f32 v164, v3, v11, -v1
	s_clause 0x1
	scratch_load_b128 v[1:4], off, off offset:264
	scratch_load_b128 v[9:12], off, off offset:280
	s_wait_loadcnt_dscnt 0x100
	v_mul_f32_e32 v165, v5, v2
	v_dual_mul_f32 v2, v6, v2 :: v_dual_mul_f32 v167, v7, v4
	s_delay_alu instid0(VALU_DEP_2) | instskip(NEXT) | instid1(VALU_DEP_2)
	v_fmac_f32_e32 v165, v6, v1
	v_fma_f32 v166, v5, v1, -v2
	v_mul_f32_e32 v1, v8, v4
	s_delay_alu instid0(VALU_DEP_4) | instskip(NEXT) | instid1(VALU_DEP_2)
	v_fmac_f32_e32 v167, v8, v3
	v_fma_f32 v168, v7, v3, -v1
	ds_load_2addr_b64 v[1:4], v21 offset0:91 offset1:92
	ds_load_2addr_b64 v[5:8], v21 offset0:93 offset1:94
	s_wait_loadcnt_dscnt 0x1
	v_mul_f32_e32 v169, v1, v10
	v_mul_f32_e32 v171, v3, v12
	s_delay_alu instid0(VALU_DEP_2) | instskip(NEXT) | instid1(VALU_DEP_2)
	v_fmac_f32_e32 v169, v2, v9
	v_dual_mul_f32 v2, v2, v10 :: v_dual_fmac_f32 v171, v4, v11
	s_delay_alu instid0(VALU_DEP_1) | instskip(SKIP_1) | instid1(VALU_DEP_1)
	v_fma_f32 v170, v1, v9, -v2
	v_mul_f32_e32 v1, v4, v12
	;; [unrolled: 25-line block ×4, first 2 shown]
	v_fma_f32 v188, v3, v11, -v1
	s_clause 0x1
	scratch_load_b128 v[1:4], off, off offset:360
	scratch_load_b128 v[9:12], off, off offset:376
	s_wait_loadcnt_dscnt 0x100
	v_mul_f32_e32 v189, v5, v2
	v_mul_f32_e32 v2, v6, v2
	s_delay_alu instid0(VALU_DEP_1) | instskip(SKIP_1) | instid1(VALU_DEP_1)
	v_fma_f32 v190, v5, v1, -v2
	v_add_f32_e32 v2, 0, v150
	v_add_f32_e32 v2, v2, v151
	s_delay_alu instid0(VALU_DEP_1) | instskip(NEXT) | instid1(VALU_DEP_1)
	v_add_f32_e32 v2, v2, v24
	v_add_f32_e32 v2, v2, v25
	s_delay_alu instid0(VALU_DEP_1) | instskip(NEXT) | instid1(VALU_DEP_1)
	;; [unrolled: 3-line block ×5, first 2 shown]
	v_add_f32_e32 v2, v2, v19
	v_add_f32_e32 v2, v2, v20
	s_delay_alu instid0(VALU_DEP_1) | instskip(SKIP_1) | instid1(VALU_DEP_2)
	v_dual_add_f32 v2, v2, v153 :: v_dual_mul_f32 v191, v7, v4
	v_fmac_f32_e32 v189, v6, v1
	v_dual_add_f32 v2, v2, v154 :: v_dual_fmac_f32 v191, v8, v3
	s_delay_alu instid0(VALU_DEP_1) | instskip(NEXT) | instid1(VALU_DEP_1)
	v_dual_add_f32 v2, v2, v157 :: v_dual_mul_f32 v1, v8, v4
	v_add_f32_e32 v2, v2, v159
	s_delay_alu instid0(VALU_DEP_2) | instskip(SKIP_1) | instid1(VALU_DEP_1)
	v_fma_f32 v192, v7, v3, -v1
	v_add_f32_e32 v1, 0, v22
	v_add_f32_e32 v1, v1, v23
	s_delay_alu instid0(VALU_DEP_1) | instskip(NEXT) | instid1(VALU_DEP_1)
	v_add_f32_e32 v1, v1, v28
	v_add_f32_e32 v1, v1, v29
	scratch_load_b64 v[28:29], off, off offset:440
	v_add_f32_e32 v1, v1, v30
	s_delay_alu instid0(VALU_DEP_1) | instskip(NEXT) | instid1(VALU_DEP_1)
	v_add_f32_e32 v1, v1, v31
	v_add_f32_e32 v1, v1, v13
	s_delay_alu instid0(VALU_DEP_1) | instskip(NEXT) | instid1(VALU_DEP_1)
	v_add_f32_e32 v1, v1, v14
	;; [unrolled: 3-line block ×9, first 2 shown]
	v_add_f32_e32 v13, v13, v174
	v_add_f32_e32 v5, v2, v161
	ds_load_2addr_b64 v[1:4], v21 offset0:103 offset1:104
	v_add_f32_e32 v18, v13, v176
	s_delay_alu instid0(VALU_DEP_1) | instskip(NEXT) | instid1(VALU_DEP_1)
	v_dual_add_f32 v5, v5, v163 :: v_dual_add_f32 v18, v18, v178
	v_dual_add_f32 v5, v5, v165 :: v_dual_add_f32 v18, v18, v180
	s_delay_alu instid0(VALU_DEP_1)
	v_add_f32_e32 v14, v5, v167
	ds_load_2addr_b64 v[5:8], v21 offset0:105 offset1:106
	v_add_f32_e32 v18, v18, v182
	v_add_f32_e32 v14, v14, v169
	s_wait_loadcnt_dscnt 0x101
	v_mul_f32_e32 v26, v1, v10
	v_mul_f32_e32 v10, v2, v10
	;; [unrolled: 1-line block ×4, first 2 shown]
	v_add_f32_e32 v14, v14, v171
	v_fmac_f32_e32 v26, v2, v9
	v_fma_f32 v145, v1, v9, -v10
	v_fmac_f32_e32 v144, v4, v11
	v_fma_f32 v146, v3, v11, -v12
	s_clause 0x1
	scratch_load_b128 v[1:4], off, off offset:392
	scratch_load_b128 v[9:12], off, off offset:408
	v_add_f32_e32 v18, v18, v184
	s_delay_alu instid0(VALU_DEP_1)
	v_add_f32_e32 v30, v18, v186
	s_wait_loadcnt_dscnt 0x100
	v_dual_mul_f32 v152, v7, v4 :: v_dual_add_f32 v17, v14, v173
	scratch_load_b128 v[13:16], off, off offset:424
	v_mul_f32_e32 v151, v5, v2
	v_dual_add_f32 v147, v30, v188 :: v_dual_fmac_f32 v152, v8, v3
	v_dual_add_f32 v17, v17, v175 :: v_dual_mul_f32 v2, v6, v2
	s_delay_alu instid0(VALU_DEP_3) | instskip(NEXT) | instid1(VALU_DEP_3)
	v_fmac_f32_e32 v151, v6, v1
	v_dual_add_f32 v147, v147, v190 :: v_dual_mul_f32 v4, v8, v4
	s_delay_alu instid0(VALU_DEP_3) | instskip(NEXT) | instid1(VALU_DEP_4)
	v_add_f32_e32 v17, v17, v177
	v_fma_f32 v2, v5, v1, -v2
	s_delay_alu instid0(VALU_DEP_3) | instskip(NEXT) | instid1(VALU_DEP_4)
	v_add_f32_e32 v147, v147, v192
	v_fma_f32 v1, v7, v3, -v4
	s_delay_alu instid0(VALU_DEP_4) | instskip(NEXT) | instid1(VALU_DEP_3)
	v_add_f32_e32 v17, v17, v179
	v_add_f32_e32 v145, v147, v145
	s_delay_alu instid0(VALU_DEP_2) | instskip(NEXT) | instid1(VALU_DEP_2)
	v_add_f32_e32 v17, v17, v181
	v_add_f32_e32 v145, v145, v146
	s_delay_alu instid0(VALU_DEP_2)
	v_add_f32_e32 v22, v17, v183
	ds_load_2addr_b64 v[17:20], v21 offset0:107 offset1:108
	v_dual_add_f32 v2, v145, v2 :: v_dual_add_f32 v31, v22, v185
	ds_load_2addr_b64 v[22:25], v21 offset0:109 offset1:110
	v_dual_add_f32 v1, v2, v1 :: v_dual_add_f32 v150, v31, v187
	ds_load_b64 v[30:31], v21 offset:888
	v_add_f32_e32 v150, v150, v189
	s_delay_alu instid0(VALU_DEP_1) | instskip(SKIP_2) | instid1(VALU_DEP_2)
	v_add_f32_e32 v150, v150, v191
	s_wait_loadcnt_dscnt 0x102
	v_mul_f32_e32 v3, v18, v10
	v_dual_mul_f32 v5, v20, v12 :: v_dual_add_f32 v26, v150, v26
	v_mul_f32_e32 v150, v19, v12
	s_delay_alu instid0(VALU_DEP_3) | instskip(NEXT) | instid1(VALU_DEP_3)
	v_fma_f32 v3, v17, v9, -v3
	v_fma_f32 v5, v19, v11, -v5
	s_delay_alu instid0(VALU_DEP_4) | instskip(NEXT) | instid1(VALU_DEP_4)
	v_add_f32_e32 v26, v26, v144
	v_fmac_f32_e32 v150, v20, v11
	s_wait_dscnt 0x0
	v_dual_add_f32 v1, v1, v3 :: v_dual_mul_f32 v144, v30, v29
	s_delay_alu instid0(VALU_DEP_3) | instskip(NEXT) | instid1(VALU_DEP_2)
	v_dual_mul_f32 v147, v17, v10 :: v_dual_add_f32 v4, v26, v151
	v_add_f32_e32 v1, v1, v5
	v_mul_f32_e32 v5, v31, v29
	s_delay_alu instid0(VALU_DEP_3) | instskip(NEXT) | instid1(VALU_DEP_4)
	v_dual_fmac_f32 v144, v31, v28 :: v_dual_fmac_f32 v147, v18, v9
	v_add_f32_e32 v2, v4, v152
	s_delay_alu instid0(VALU_DEP_1) | instskip(NEXT) | instid1(VALU_DEP_1)
	v_add_f32_e32 v2, v2, v147
	v_add_f32_e32 v2, v2, v150
	s_wait_loadcnt 0x0
	v_mul_f32_e32 v153, v22, v14
	v_mul_f32_e32 v4, v23, v14
	;; [unrolled: 1-line block ×4, first 2 shown]
	s_delay_alu instid0(VALU_DEP_4) | instskip(NEXT) | instid1(VALU_DEP_4)
	v_fmac_f32_e32 v153, v23, v13
	v_fma_f32 v4, v22, v13, -v4
	s_delay_alu instid0(VALU_DEP_4) | instskip(NEXT) | instid1(VALU_DEP_4)
	v_fmac_f32_e32 v146, v25, v15
	v_fma_f32 v3, v24, v15, -v3
	s_delay_alu instid0(VALU_DEP_3) | instskip(SKIP_1) | instid1(VALU_DEP_2)
	v_dual_add_f32 v2, v2, v153 :: v_dual_add_f32 v1, v1, v4
	v_fma_f32 v4, v30, v28, -v5
	v_dual_add_f32 v2, v2, v146 :: v_dual_add_f32 v1, v1, v3
	s_delay_alu instid0(VALU_DEP_1) | instskip(NEXT) | instid1(VALU_DEP_2)
	v_add_f32_e32 v2, v2, v144
	v_add_f32_e32 v1, v1, v4
	s_delay_alu instid0(VALU_DEP_1)
	v_dual_sub_f32 v2, v149, v2 :: v_dual_sub_f32 v1, v148, v1
	scratch_store_b64 off, v[1:2], off offset:112
	v_cmpx_lt_u32_e32 13, v0
	s_cbranch_execz .LBB55_323
; %bb.322:
	scratch_load_b64 v[1:2], off, off offset:104
	v_mov_b32_e32 v22, v21
	scratch_store_b64 off, v[21:22], off offset:104
	s_wait_loadcnt 0x0
	ds_store_b64 v27, v[1:2]
.LBB55_323:
	s_wait_alu 0xfffe
	s_or_b32 exec_lo, exec_lo, s0
	s_wait_storecnt_dscnt 0x0
	s_barrier_signal -1
	s_barrier_wait -1
	global_inv scope:SCOPE_SE
	s_clause 0x4
	scratch_load_b128 v[5:8], off, off offset:112
	scratch_load_b128 v[1:4], off, off offset:128
	;; [unrolled: 1-line block ×5, first 2 shown]
	ds_load_b128 v[22:25], v21 offset:560
	ds_load_b128 v[28:31], v21 offset:576
	;; [unrolled: 1-line block ×3, first 2 shown]
	scratch_load_b64 v[148:149], off, off offset:104
	s_mov_b32 s0, exec_lo
	s_wait_loadcnt_dscnt 0x502
	v_dual_mul_f32 v26, v23, v6 :: v_dual_mul_f32 v151, v24, v8
	v_mul_f32_e32 v150, v22, v6
	v_mul_f32_e32 v6, v25, v8
	s_wait_loadcnt_dscnt 0x300
	v_mul_f32_e32 v152, v146, v12
	v_fma_f32 v22, v22, v5, -v26
	v_dual_fmac_f32 v151, v25, v7 :: v_dual_fmac_f32 v150, v23, v5
	v_mul_f32_e32 v25, v30, v4
	v_mul_f32_e32 v4, v31, v4
	;; [unrolled: 1-line block ×5, first 2 shown]
	v_fmac_f32_e32 v25, v31, v3
	v_fma_f32 v23, v24, v7, -v6
	ds_load_b128 v[5:8], v21 offset:608
	v_mul_f32_e32 v24, v28, v2
	v_mul_f32_e32 v2, v29, v2
	v_fmac_f32_e32 v26, v145, v9
	v_fmac_f32_e32 v152, v147, v11
	v_fma_f32 v31, v146, v11, -v12
	v_fmac_f32_e32 v24, v29, v1
	v_fma_f32 v29, v30, v3, -v4
	v_fma_f32 v30, v144, v9, -v10
	ds_load_b128 v[9:12], v21 offset:624
	s_wait_loadcnt_dscnt 0x201
	v_dual_mul_f32 v145, v7, v16 :: v_dual_mul_f32 v144, v5, v14
	v_mul_f32_e32 v14, v6, v14
	v_mul_f32_e32 v16, v8, v16
	s_delay_alu instid0(VALU_DEP_3)
	v_fmac_f32_e32 v145, v8, v15
	v_fma_f32 v28, v28, v1, -v2
	scratch_load_b128 v[1:4], off, off offset:192
	v_fmac_f32_e32 v144, v6, v13
	v_fma_f32 v13, v5, v13, -v14
	v_fma_f32 v14, v7, v15, -v16
	s_wait_loadcnt_dscnt 0x200
	v_mul_f32_e32 v15, v9, v18
	v_mul_f32_e32 v16, v10, v18
	;; [unrolled: 1-line block ×4, first 2 shown]
	ds_load_b128 v[5:8], v21 offset:640
	v_fmac_f32_e32 v15, v10, v17
	v_fma_f32 v16, v9, v17, -v16
	v_fmac_f32_e32 v18, v12, v19
	v_fma_f32 v17, v11, v19, -v20
	scratch_load_b128 v[9:12], off, off offset:208
	s_wait_loadcnt_dscnt 0x100
	v_mul_f32_e32 v19, v5, v2
	v_mul_f32_e32 v2, v6, v2
	;; [unrolled: 1-line block ×3, first 2 shown]
	s_delay_alu instid0(VALU_DEP_3) | instskip(NEXT) | instid1(VALU_DEP_3)
	v_dual_mul_f32 v4, v8, v4 :: v_dual_fmac_f32 v19, v6, v1
	v_fma_f32 v146, v5, v1, -v2
	s_delay_alu instid0(VALU_DEP_3) | instskip(NEXT) | instid1(VALU_DEP_3)
	v_fmac_f32_e32 v20, v8, v3
	v_fma_f32 v147, v7, v3, -v4
	ds_load_b128 v[1:4], v21 offset:656
	ds_load_b128 v[5:8], v21 offset:672
	s_wait_loadcnt_dscnt 0x1
	v_mul_f32_e32 v153, v1, v10
	v_mul_f32_e32 v10, v2, v10
	s_delay_alu instid0(VALU_DEP_2) | instskip(NEXT) | instid1(VALU_DEP_2)
	v_dual_mul_f32 v154, v3, v12 :: v_dual_fmac_f32 v153, v2, v9
	v_fma_f32 v155, v1, v9, -v10
	v_mul_f32_e32 v1, v4, v12
	s_delay_alu instid0(VALU_DEP_3) | instskip(NEXT) | instid1(VALU_DEP_2)
	v_fmac_f32_e32 v154, v4, v11
	v_fma_f32 v156, v3, v11, -v1
	s_clause 0x1
	scratch_load_b128 v[1:4], off, off offset:224
	scratch_load_b128 v[9:12], off, off offset:240
	s_wait_loadcnt_dscnt 0x100
	v_mul_f32_e32 v157, v5, v2
	v_dual_mul_f32 v2, v6, v2 :: v_dual_mul_f32 v159, v7, v4
	s_delay_alu instid0(VALU_DEP_2) | instskip(NEXT) | instid1(VALU_DEP_2)
	v_fmac_f32_e32 v157, v6, v1
	v_fma_f32 v158, v5, v1, -v2
	v_mul_f32_e32 v1, v8, v4
	s_delay_alu instid0(VALU_DEP_4) | instskip(NEXT) | instid1(VALU_DEP_2)
	v_fmac_f32_e32 v159, v8, v3
	v_fma_f32 v160, v7, v3, -v1
	ds_load_b128 v[1:4], v21 offset:688
	ds_load_b128 v[5:8], v21 offset:704
	s_wait_loadcnt_dscnt 0x1
	v_mul_f32_e32 v161, v1, v10
	v_mul_f32_e32 v163, v3, v12
	s_delay_alu instid0(VALU_DEP_2) | instskip(NEXT) | instid1(VALU_DEP_2)
	v_fmac_f32_e32 v161, v2, v9
	v_dual_mul_f32 v2, v2, v10 :: v_dual_fmac_f32 v163, v4, v11
	s_delay_alu instid0(VALU_DEP_1) | instskip(SKIP_1) | instid1(VALU_DEP_1)
	v_fma_f32 v162, v1, v9, -v2
	v_mul_f32_e32 v1, v4, v12
	v_fma_f32 v164, v3, v11, -v1
	s_clause 0x1
	scratch_load_b128 v[1:4], off, off offset:256
	scratch_load_b128 v[9:12], off, off offset:272
	s_wait_loadcnt_dscnt 0x100
	v_mul_f32_e32 v165, v5, v2
	v_dual_mul_f32 v2, v6, v2 :: v_dual_mul_f32 v167, v7, v4
	s_delay_alu instid0(VALU_DEP_2) | instskip(NEXT) | instid1(VALU_DEP_2)
	v_fmac_f32_e32 v165, v6, v1
	v_fma_f32 v166, v5, v1, -v2
	v_mul_f32_e32 v1, v8, v4
	s_delay_alu instid0(VALU_DEP_4) | instskip(NEXT) | instid1(VALU_DEP_2)
	v_fmac_f32_e32 v167, v8, v3
	v_fma_f32 v168, v7, v3, -v1
	ds_load_b128 v[1:4], v21 offset:720
	ds_load_b128 v[5:8], v21 offset:736
	s_wait_loadcnt_dscnt 0x1
	v_mul_f32_e32 v169, v1, v10
	v_mul_f32_e32 v171, v3, v12
	s_delay_alu instid0(VALU_DEP_2) | instskip(NEXT) | instid1(VALU_DEP_2)
	v_fmac_f32_e32 v169, v2, v9
	v_dual_mul_f32 v2, v2, v10 :: v_dual_fmac_f32 v171, v4, v11
	s_delay_alu instid0(VALU_DEP_1) | instskip(SKIP_1) | instid1(VALU_DEP_1)
	v_fma_f32 v170, v1, v9, -v2
	v_mul_f32_e32 v1, v4, v12
	;; [unrolled: 25-line block ×4, first 2 shown]
	v_fma_f32 v188, v3, v11, -v1
	s_clause 0x1
	scratch_load_b128 v[1:4], off, off offset:352
	scratch_load_b128 v[9:12], off, off offset:368
	s_wait_loadcnt_dscnt 0x100
	v_mul_f32_e32 v189, v5, v2
	v_mul_f32_e32 v2, v6, v2
	s_delay_alu instid0(VALU_DEP_1) | instskip(SKIP_1) | instid1(VALU_DEP_1)
	v_fma_f32 v190, v5, v1, -v2
	v_add_f32_e32 v2, 0, v150
	v_add_f32_e32 v2, v2, v151
	s_delay_alu instid0(VALU_DEP_1) | instskip(NEXT) | instid1(VALU_DEP_1)
	v_add_f32_e32 v2, v2, v24
	v_add_f32_e32 v2, v2, v25
	s_delay_alu instid0(VALU_DEP_1) | instskip(NEXT) | instid1(VALU_DEP_1)
	;; [unrolled: 3-line block ×5, first 2 shown]
	v_add_f32_e32 v2, v2, v19
	v_add_f32_e32 v2, v2, v20
	s_delay_alu instid0(VALU_DEP_1) | instskip(SKIP_1) | instid1(VALU_DEP_2)
	v_dual_add_f32 v2, v2, v153 :: v_dual_mul_f32 v191, v7, v4
	v_fmac_f32_e32 v189, v6, v1
	v_dual_add_f32 v2, v2, v154 :: v_dual_fmac_f32 v191, v8, v3
	s_delay_alu instid0(VALU_DEP_1) | instskip(NEXT) | instid1(VALU_DEP_1)
	v_dual_add_f32 v2, v2, v157 :: v_dual_mul_f32 v1, v8, v4
	v_add_f32_e32 v2, v2, v159
	s_delay_alu instid0(VALU_DEP_2) | instskip(NEXT) | instid1(VALU_DEP_2)
	v_fma_f32 v192, v7, v3, -v1
	v_dual_add_f32 v1, 0, v22 :: v_dual_add_f32 v2, v2, v161
	s_delay_alu instid0(VALU_DEP_1) | instskip(NEXT) | instid1(VALU_DEP_2)
	v_add_f32_e32 v1, v1, v23
	v_add_f32_e32 v5, v2, v163
	s_delay_alu instid0(VALU_DEP_2) | instskip(NEXT) | instid1(VALU_DEP_1)
	v_add_f32_e32 v1, v1, v28
	v_add_f32_e32 v1, v1, v29
	s_delay_alu instid0(VALU_DEP_1) | instskip(NEXT) | instid1(VALU_DEP_1)
	v_add_f32_e32 v1, v1, v30
	v_add_f32_e32 v1, v1, v31
	s_delay_alu instid0(VALU_DEP_1) | instskip(SKIP_1) | instid1(VALU_DEP_1)
	v_add_f32_e32 v1, v1, v13
	v_add_f32_e32 v13, v5, v165
	;; [unrolled: 1-line block ×3, first 2 shown]
	s_delay_alu instid0(VALU_DEP_1) | instskip(NEXT) | instid1(VALU_DEP_1)
	v_add_f32_e32 v13, v13, v169
	v_add_f32_e32 v18, v13, v171
	s_delay_alu instid0(VALU_DEP_1) | instskip(NEXT) | instid1(VALU_DEP_1)
	v_dual_add_f32 v18, v18, v173 :: v_dual_add_f32 v1, v1, v14
	v_dual_add_f32 v18, v18, v175 :: v_dual_add_f32 v1, v1, v16
	s_delay_alu instid0(VALU_DEP_1) | instskip(NEXT) | instid1(VALU_DEP_1)
	v_add_f32_e32 v1, v1, v17
	v_add_f32_e32 v1, v1, v146
	s_delay_alu instid0(VALU_DEP_1) | instskip(NEXT) | instid1(VALU_DEP_1)
	v_add_f32_e32 v1, v1, v147
	v_add_f32_e32 v1, v1, v155
	;; [unrolled: 3-line block ×5, first 2 shown]
	ds_load_b128 v[1:4], v21 offset:816
	v_add_f32_e32 v22, v18, v177
	v_add_f32_e32 v14, v6, v168
	scratch_load_b128 v[5:8], off, off offset:384
	v_add_f32_e32 v22, v22, v179
	v_add_f32_e32 v14, v14, v170
	s_delay_alu instid0(VALU_DEP_2) | instskip(NEXT) | instid1(VALU_DEP_2)
	v_add_f32_e32 v22, v22, v181
	v_add_f32_e32 v17, v14, v172
	ds_load_b128 v[13:16], v21 offset:832
	s_wait_loadcnt_dscnt 0x101
	v_mul_f32_e32 v25, v1, v10
	v_mul_f32_e32 v10, v2, v10
	;; [unrolled: 1-line block ×3, first 2 shown]
	s_delay_alu instid0(VALU_DEP_3) | instskip(NEXT) | instid1(VALU_DEP_3)
	v_dual_mul_f32 v12, v4, v12 :: v_dual_fmac_f32 v25, v2, v9
	v_fma_f32 v28, v1, v9, -v10
	s_delay_alu instid0(VALU_DEP_3) | instskip(NEXT) | instid1(VALU_DEP_3)
	v_fmac_f32_e32 v26, v4, v11
	v_fma_f32 v29, v3, v11, -v12
	s_clause 0x1
	scratch_load_b128 v[1:4], off, off offset:400
	scratch_load_b128 v[9:12], off, off offset:416
	s_wait_loadcnt_dscnt 0x200
	v_mul_f32_e32 v30, v13, v6
	v_dual_mul_f32 v6, v14, v6 :: v_dual_mul_f32 v31, v15, v8
	v_mul_f32_e32 v8, v16, v8
	s_delay_alu instid0(VALU_DEP_3) | instskip(NEXT) | instid1(VALU_DEP_3)
	v_fmac_f32_e32 v30, v14, v5
	v_fma_f32 v144, v13, v5, -v6
	s_delay_alu instid0(VALU_DEP_4) | instskip(NEXT) | instid1(VALU_DEP_4)
	v_fmac_f32_e32 v31, v16, v7
	v_fma_f32 v145, v15, v7, -v8
	ds_load_b128 v[5:8], v21 offset:848
	v_add_f32_e32 v17, v17, v174
	v_add_f32_e32 v13, v22, v183
	s_delay_alu instid0(VALU_DEP_2) | instskip(NEXT) | instid1(VALU_DEP_1)
	v_add_f32_e32 v17, v17, v176
	v_add_f32_e32 v17, v17, v178
	s_delay_alu instid0(VALU_DEP_1) | instskip(SKIP_2) | instid1(VALU_DEP_1)
	v_add_f32_e32 v23, v17, v180
	scratch_load_b128 v[17:20], off, off offset:432
	v_add_f32_e32 v23, v23, v182
	v_add_f32_e32 v23, v23, v184
	s_delay_alu instid0(VALU_DEP_1)
	v_dual_add_f32 v22, v23, v186 :: v_dual_add_f32 v23, v13, v185
	ds_load_b128 v[13:16], v21 offset:864
	s_wait_loadcnt_dscnt 0x201
	v_mul_f32_e32 v150, v5, v2
	v_mul_f32_e32 v2, v6, v2
	v_dual_add_f32 v146, v22, v188 :: v_dual_add_f32 v147, v23, v187
	ds_load_b128 v[21:24], v21 offset:880
	v_fmac_f32_e32 v150, v6, v1
	v_fma_f32 v2, v5, v1, -v2
	v_add_f32_e32 v146, v146, v190
	s_delay_alu instid0(VALU_DEP_1) | instskip(NEXT) | instid1(VALU_DEP_1)
	v_add_f32_e32 v146, v146, v192
	v_add_f32_e32 v28, v146, v28
	v_mul_f32_e32 v146, v7, v4
	s_wait_loadcnt_dscnt 0x101
	v_mul_f32_e32 v151, v15, v12
	v_mul_f32_e32 v4, v8, v4
	;; [unrolled: 1-line block ×3, first 2 shown]
	v_add_f32_e32 v28, v28, v29
	v_fmac_f32_e32 v146, v8, v3
	v_fmac_f32_e32 v151, v16, v11
	v_add_f32_e32 v147, v147, v189
	v_fma_f32 v3, v7, v3, -v4
	v_add_f32_e32 v28, v28, v144
	v_mul_f32_e32 v4, v16, v12
	s_delay_alu instid0(VALU_DEP_2) | instskip(NEXT) | instid1(VALU_DEP_2)
	v_add_f32_e32 v1, v28, v145
	v_fma_f32 v4, v15, v11, -v4
	s_delay_alu instid0(VALU_DEP_2) | instskip(NEXT) | instid1(VALU_DEP_1)
	v_add_f32_e32 v1, v1, v2
	v_add_f32_e32 v1, v1, v3
	s_wait_loadcnt_dscnt 0x0
	v_mul_f32_e32 v29, v23, v20
	v_mul_f32_e32 v3, v22, v18
	s_delay_alu instid0(VALU_DEP_2) | instskip(SKIP_1) | instid1(VALU_DEP_3)
	v_fmac_f32_e32 v29, v24, v19
	v_add_f32_e32 v147, v147, v191
	v_fma_f32 v3, v21, v17, -v3
	s_delay_alu instid0(VALU_DEP_2) | instskip(SKIP_1) | instid1(VALU_DEP_2)
	v_add_f32_e32 v25, v147, v25
	v_mul_f32_e32 v147, v13, v10
	v_add_f32_e32 v25, v25, v26
	s_delay_alu instid0(VALU_DEP_2) | instskip(NEXT) | instid1(VALU_DEP_1)
	v_dual_mul_f32 v26, v21, v18 :: v_dual_fmac_f32 v147, v14, v9
	v_dual_add_f32 v25, v25, v30 :: v_dual_fmac_f32 v26, v22, v17
	s_delay_alu instid0(VALU_DEP_1) | instskip(NEXT) | instid1(VALU_DEP_1)
	v_add_f32_e32 v5, v25, v31
	v_add_f32_e32 v2, v5, v150
	v_fma_f32 v5, v13, v9, -v6
	s_delay_alu instid0(VALU_DEP_1) | instskip(NEXT) | instid1(VALU_DEP_1)
	v_dual_add_f32 v2, v2, v146 :: v_dual_add_f32 v1, v1, v5
	v_dual_mul_f32 v5, v24, v20 :: v_dual_add_f32 v2, v2, v147
	s_delay_alu instid0(VALU_DEP_2) | instskip(NEXT) | instid1(VALU_DEP_2)
	v_add_f32_e32 v1, v1, v4
	v_fma_f32 v4, v23, v19, -v5
	s_delay_alu instid0(VALU_DEP_3) | instskip(NEXT) | instid1(VALU_DEP_1)
	v_add_f32_e32 v2, v2, v151
	v_dual_add_f32 v1, v1, v3 :: v_dual_add_f32 v2, v2, v26
	s_delay_alu instid0(VALU_DEP_1) | instskip(NEXT) | instid1(VALU_DEP_1)
	v_dual_add_f32 v1, v1, v4 :: v_dual_add_f32 v2, v2, v29
	v_dual_sub_f32 v1, v148, v1 :: v_dual_sub_f32 v2, v149, v2
	scratch_store_b64 off, v[1:2], off offset:104
	v_cmpx_lt_u32_e32 12, v0
	s_cbranch_execz .LBB55_325
; %bb.324:
	scratch_load_b64 v[1:2], off, off offset:96
	v_mov_b32_e32 v3, 0
	s_delay_alu instid0(VALU_DEP_1)
	v_mov_b32_e32 v4, v3
	scratch_store_b64 off, v[3:4], off offset:96
	s_wait_loadcnt 0x0
	ds_store_b64 v27, v[1:2]
.LBB55_325:
	s_wait_alu 0xfffe
	s_or_b32 exec_lo, exec_lo, s0
	s_wait_storecnt_dscnt 0x0
	s_barrier_signal -1
	s_barrier_wait -1
	global_inv scope:SCOPE_SE
	s_clause 0x4
	scratch_load_b128 v[5:8], off, off offset:104
	scratch_load_b128 v[1:4], off, off offset:120
	;; [unrolled: 1-line block ×5, first 2 shown]
	v_mov_b32_e32 v21, 0
	ds_load_2addr_b64 v[22:25], v21 offset0:69 offset1:70
	ds_load_2addr_b64 v[28:31], v21 offset0:71 offset1:72
	;; [unrolled: 1-line block ×3, first 2 shown]
	scratch_load_b64 v[148:149], off, off offset:96
	s_mov_b32 s0, exec_lo
	s_wait_loadcnt_dscnt 0x502
	v_dual_mul_f32 v150, v22, v6 :: v_dual_mul_f32 v151, v24, v8
	v_mul_f32_e32 v26, v23, v6
	v_mul_f32_e32 v6, v25, v8
	s_wait_loadcnt_dscnt 0x300
	v_mul_f32_e32 v152, v146, v12
	v_dual_fmac_f32 v150, v23, v5 :: v_dual_fmac_f32 v151, v25, v7
	v_mul_f32_e32 v25, v30, v4
	v_fma_f32 v22, v22, v5, -v26
	v_mul_f32_e32 v26, v144, v10
	v_mul_f32_e32 v4, v31, v4
	s_delay_alu instid0(VALU_DEP_4)
	v_dual_mul_f32 v10, v145, v10 :: v_dual_fmac_f32 v25, v31, v3
	v_fma_f32 v23, v24, v7, -v6
	ds_load_2addr_b64 v[5:8], v21 offset0:75 offset1:76
	v_mul_f32_e32 v24, v28, v2
	v_mul_f32_e32 v12, v147, v12
	;; [unrolled: 1-line block ×3, first 2 shown]
	v_fmac_f32_e32 v26, v145, v9
	v_fmac_f32_e32 v152, v147, v11
	;; [unrolled: 1-line block ×3, first 2 shown]
	v_fma_f32 v29, v30, v3, -v4
	v_fma_f32 v30, v144, v9, -v10
	;; [unrolled: 1-line block ×3, first 2 shown]
	ds_load_2addr_b64 v[9:12], v21 offset0:77 offset1:78
	s_wait_loadcnt_dscnt 0x201
	v_dual_mul_f32 v145, v7, v16 :: v_dual_mul_f32 v144, v5, v14
	v_mul_f32_e32 v14, v6, v14
	v_mul_f32_e32 v16, v8, v16
	s_delay_alu instid0(VALU_DEP_3)
	v_fmac_f32_e32 v145, v8, v15
	v_fma_f32 v28, v28, v1, -v2
	scratch_load_b128 v[1:4], off, off offset:184
	v_fmac_f32_e32 v144, v6, v13
	v_fma_f32 v13, v5, v13, -v14
	v_fma_f32 v14, v7, v15, -v16
	s_wait_loadcnt_dscnt 0x200
	v_mul_f32_e32 v15, v9, v18
	v_mul_f32_e32 v16, v10, v18
	;; [unrolled: 1-line block ×4, first 2 shown]
	ds_load_2addr_b64 v[5:8], v21 offset0:79 offset1:80
	v_fmac_f32_e32 v15, v10, v17
	v_fma_f32 v16, v9, v17, -v16
	v_fmac_f32_e32 v18, v12, v19
	v_fma_f32 v17, v11, v19, -v20
	scratch_load_b128 v[9:12], off, off offset:200
	s_wait_loadcnt_dscnt 0x100
	v_mul_f32_e32 v19, v5, v2
	v_mul_f32_e32 v2, v6, v2
	;; [unrolled: 1-line block ×3, first 2 shown]
	s_delay_alu instid0(VALU_DEP_3) | instskip(NEXT) | instid1(VALU_DEP_3)
	v_dual_mul_f32 v4, v8, v4 :: v_dual_fmac_f32 v19, v6, v1
	v_fma_f32 v146, v5, v1, -v2
	s_delay_alu instid0(VALU_DEP_3) | instskip(NEXT) | instid1(VALU_DEP_3)
	v_fmac_f32_e32 v20, v8, v3
	v_fma_f32 v147, v7, v3, -v4
	ds_load_2addr_b64 v[1:4], v21 offset0:81 offset1:82
	ds_load_2addr_b64 v[5:8], v21 offset0:83 offset1:84
	s_wait_loadcnt_dscnt 0x1
	v_mul_f32_e32 v153, v1, v10
	v_mul_f32_e32 v10, v2, v10
	s_delay_alu instid0(VALU_DEP_2) | instskip(NEXT) | instid1(VALU_DEP_2)
	v_dual_mul_f32 v154, v3, v12 :: v_dual_fmac_f32 v153, v2, v9
	v_fma_f32 v155, v1, v9, -v10
	v_mul_f32_e32 v1, v4, v12
	s_delay_alu instid0(VALU_DEP_3) | instskip(NEXT) | instid1(VALU_DEP_2)
	v_fmac_f32_e32 v154, v4, v11
	v_fma_f32 v156, v3, v11, -v1
	s_clause 0x1
	scratch_load_b128 v[1:4], off, off offset:216
	scratch_load_b128 v[9:12], off, off offset:232
	s_wait_loadcnt_dscnt 0x100
	v_mul_f32_e32 v157, v5, v2
	v_dual_mul_f32 v2, v6, v2 :: v_dual_mul_f32 v159, v7, v4
	s_delay_alu instid0(VALU_DEP_2) | instskip(NEXT) | instid1(VALU_DEP_2)
	v_fmac_f32_e32 v157, v6, v1
	v_fma_f32 v158, v5, v1, -v2
	v_mul_f32_e32 v1, v8, v4
	s_delay_alu instid0(VALU_DEP_4) | instskip(NEXT) | instid1(VALU_DEP_2)
	v_fmac_f32_e32 v159, v8, v3
	v_fma_f32 v160, v7, v3, -v1
	ds_load_2addr_b64 v[1:4], v21 offset0:85 offset1:86
	ds_load_2addr_b64 v[5:8], v21 offset0:87 offset1:88
	s_wait_loadcnt_dscnt 0x1
	v_mul_f32_e32 v161, v1, v10
	v_mul_f32_e32 v163, v3, v12
	s_delay_alu instid0(VALU_DEP_2) | instskip(NEXT) | instid1(VALU_DEP_2)
	v_fmac_f32_e32 v161, v2, v9
	v_dual_mul_f32 v2, v2, v10 :: v_dual_fmac_f32 v163, v4, v11
	s_delay_alu instid0(VALU_DEP_1) | instskip(SKIP_1) | instid1(VALU_DEP_1)
	v_fma_f32 v162, v1, v9, -v2
	v_mul_f32_e32 v1, v4, v12
	v_fma_f32 v164, v3, v11, -v1
	s_clause 0x1
	scratch_load_b128 v[1:4], off, off offset:248
	scratch_load_b128 v[9:12], off, off offset:264
	s_wait_loadcnt_dscnt 0x100
	v_mul_f32_e32 v165, v5, v2
	v_dual_mul_f32 v2, v6, v2 :: v_dual_mul_f32 v167, v7, v4
	s_delay_alu instid0(VALU_DEP_2) | instskip(NEXT) | instid1(VALU_DEP_2)
	v_fmac_f32_e32 v165, v6, v1
	v_fma_f32 v166, v5, v1, -v2
	v_mul_f32_e32 v1, v8, v4
	s_delay_alu instid0(VALU_DEP_4) | instskip(NEXT) | instid1(VALU_DEP_2)
	v_fmac_f32_e32 v167, v8, v3
	v_fma_f32 v168, v7, v3, -v1
	ds_load_2addr_b64 v[1:4], v21 offset0:89 offset1:90
	ds_load_2addr_b64 v[5:8], v21 offset0:91 offset1:92
	s_wait_loadcnt_dscnt 0x1
	v_mul_f32_e32 v169, v1, v10
	v_mul_f32_e32 v171, v3, v12
	s_delay_alu instid0(VALU_DEP_2) | instskip(NEXT) | instid1(VALU_DEP_2)
	v_fmac_f32_e32 v169, v2, v9
	v_dual_mul_f32 v2, v2, v10 :: v_dual_fmac_f32 v171, v4, v11
	s_delay_alu instid0(VALU_DEP_1) | instskip(SKIP_1) | instid1(VALU_DEP_1)
	v_fma_f32 v170, v1, v9, -v2
	v_mul_f32_e32 v1, v4, v12
	v_fma_f32 v172, v3, v11, -v1
	s_clause 0x1
	scratch_load_b128 v[1:4], off, off offset:280
	scratch_load_b128 v[9:12], off, off offset:296
	s_wait_loadcnt_dscnt 0x100
	v_mul_f32_e32 v173, v5, v2
	v_dual_mul_f32 v2, v6, v2 :: v_dual_mul_f32 v175, v7, v4
	s_delay_alu instid0(VALU_DEP_2) | instskip(NEXT) | instid1(VALU_DEP_2)
	v_fmac_f32_e32 v173, v6, v1
	v_fma_f32 v174, v5, v1, -v2
	v_mul_f32_e32 v1, v8, v4
	s_delay_alu instid0(VALU_DEP_4) | instskip(NEXT) | instid1(VALU_DEP_2)
	v_fmac_f32_e32 v175, v8, v3
	v_fma_f32 v176, v7, v3, -v1
	ds_load_2addr_b64 v[1:4], v21 offset0:93 offset1:94
	ds_load_2addr_b64 v[5:8], v21 offset0:95 offset1:96
	s_wait_loadcnt_dscnt 0x1
	v_mul_f32_e32 v177, v1, v10
	v_mul_f32_e32 v179, v3, v12
	s_delay_alu instid0(VALU_DEP_2) | instskip(NEXT) | instid1(VALU_DEP_2)
	v_fmac_f32_e32 v177, v2, v9
	v_dual_mul_f32 v2, v2, v10 :: v_dual_fmac_f32 v179, v4, v11
	s_delay_alu instid0(VALU_DEP_1) | instskip(SKIP_1) | instid1(VALU_DEP_1)
	v_fma_f32 v178, v1, v9, -v2
	v_mul_f32_e32 v1, v4, v12
	v_fma_f32 v180, v3, v11, -v1
	s_clause 0x1
	scratch_load_b128 v[1:4], off, off offset:312
	scratch_load_b128 v[9:12], off, off offset:328
	s_wait_loadcnt_dscnt 0x100
	v_mul_f32_e32 v181, v5, v2
	v_dual_mul_f32 v2, v6, v2 :: v_dual_mul_f32 v183, v7, v4
	s_delay_alu instid0(VALU_DEP_2) | instskip(NEXT) | instid1(VALU_DEP_2)
	v_fmac_f32_e32 v181, v6, v1
	v_fma_f32 v182, v5, v1, -v2
	v_mul_f32_e32 v1, v8, v4
	s_delay_alu instid0(VALU_DEP_4) | instskip(NEXT) | instid1(VALU_DEP_2)
	v_fmac_f32_e32 v183, v8, v3
	v_fma_f32 v184, v7, v3, -v1
	ds_load_2addr_b64 v[1:4], v21 offset0:97 offset1:98
	ds_load_2addr_b64 v[5:8], v21 offset0:99 offset1:100
	s_wait_loadcnt_dscnt 0x1
	v_mul_f32_e32 v185, v1, v10
	v_mul_f32_e32 v187, v3, v12
	s_delay_alu instid0(VALU_DEP_2) | instskip(NEXT) | instid1(VALU_DEP_2)
	v_fmac_f32_e32 v185, v2, v9
	v_dual_mul_f32 v2, v2, v10 :: v_dual_fmac_f32 v187, v4, v11
	s_delay_alu instid0(VALU_DEP_1) | instskip(SKIP_1) | instid1(VALU_DEP_1)
	v_fma_f32 v186, v1, v9, -v2
	v_mul_f32_e32 v1, v4, v12
	v_fma_f32 v188, v3, v11, -v1
	s_clause 0x1
	scratch_load_b128 v[1:4], off, off offset:344
	scratch_load_b128 v[9:12], off, off offset:360
	s_wait_loadcnt_dscnt 0x100
	v_mul_f32_e32 v189, v5, v2
	v_mul_f32_e32 v2, v6, v2
	s_delay_alu instid0(VALU_DEP_1) | instskip(SKIP_1) | instid1(VALU_DEP_1)
	v_fma_f32 v190, v5, v1, -v2
	v_add_f32_e32 v2, 0, v150
	v_add_f32_e32 v2, v2, v151
	s_delay_alu instid0(VALU_DEP_1) | instskip(NEXT) | instid1(VALU_DEP_1)
	v_add_f32_e32 v2, v2, v24
	v_add_f32_e32 v2, v2, v25
	s_delay_alu instid0(VALU_DEP_1) | instskip(NEXT) | instid1(VALU_DEP_1)
	;; [unrolled: 3-line block ×5, first 2 shown]
	v_add_f32_e32 v2, v2, v19
	v_add_f32_e32 v2, v2, v20
	s_delay_alu instid0(VALU_DEP_1) | instskip(SKIP_1) | instid1(VALU_DEP_2)
	v_dual_add_f32 v2, v2, v153 :: v_dual_mul_f32 v191, v7, v4
	v_fmac_f32_e32 v189, v6, v1
	v_dual_add_f32 v2, v2, v154 :: v_dual_fmac_f32 v191, v8, v3
	s_delay_alu instid0(VALU_DEP_1) | instskip(NEXT) | instid1(VALU_DEP_1)
	v_dual_add_f32 v2, v2, v157 :: v_dual_mul_f32 v1, v8, v4
	v_add_f32_e32 v2, v2, v159
	s_delay_alu instid0(VALU_DEP_2) | instskip(NEXT) | instid1(VALU_DEP_2)
	v_fma_f32 v192, v7, v3, -v1
	v_dual_add_f32 v1, 0, v22 :: v_dual_add_f32 v2, v2, v161
	s_delay_alu instid0(VALU_DEP_1) | instskip(NEXT) | instid1(VALU_DEP_2)
	v_add_f32_e32 v1, v1, v23
	v_add_f32_e32 v5, v2, v163
	s_delay_alu instid0(VALU_DEP_2) | instskip(NEXT) | instid1(VALU_DEP_1)
	v_add_f32_e32 v1, v1, v28
	v_add_f32_e32 v1, v1, v29
	scratch_load_b64 v[28:29], off, off offset:440
	v_add_f32_e32 v1, v1, v30
	s_delay_alu instid0(VALU_DEP_1) | instskip(NEXT) | instid1(VALU_DEP_1)
	v_add_f32_e32 v1, v1, v31
	v_add_f32_e32 v1, v1, v13
	;; [unrolled: 1-line block ×3, first 2 shown]
	s_delay_alu instid0(VALU_DEP_2) | instskip(NEXT) | instid1(VALU_DEP_2)
	v_add_f32_e32 v1, v1, v14
	v_add_f32_e32 v13, v13, v167
	s_delay_alu instid0(VALU_DEP_1) | instskip(NEXT) | instid1(VALU_DEP_1)
	v_add_f32_e32 v13, v13, v169
	v_add_f32_e32 v18, v13, v171
	s_delay_alu instid0(VALU_DEP_4) | instskip(NEXT) | instid1(VALU_DEP_1)
	v_add_f32_e32 v1, v1, v16
	v_add_f32_e32 v1, v1, v17
	s_delay_alu instid0(VALU_DEP_1) | instskip(NEXT) | instid1(VALU_DEP_1)
	v_add_f32_e32 v1, v1, v146
	v_add_f32_e32 v1, v1, v147
	s_delay_alu instid0(VALU_DEP_1) | instskip(NEXT) | instid1(VALU_DEP_1)
	;; [unrolled: 3-line block ×4, first 2 shown]
	v_add_f32_e32 v1, v1, v162
	v_add_f32_e32 v1, v1, v164
	s_delay_alu instid0(VALU_DEP_1)
	v_add_f32_e32 v6, v1, v166
	scratch_load_b128 v[1:4], off, off offset:376
	v_add_f32_e32 v18, v18, v173
	v_add_f32_e32 v14, v6, v168
	ds_load_2addr_b64 v[5:8], v21 offset0:101 offset1:102
	v_add_f32_e32 v18, v18, v175
	v_add_f32_e32 v14, v14, v170
	s_delay_alu instid0(VALU_DEP_2) | instskip(NEXT) | instid1(VALU_DEP_2)
	v_add_f32_e32 v22, v18, v177
	v_add_f32_e32 v17, v14, v172
	ds_load_2addr_b64 v[13:16], v21 offset0:103 offset1:104
	v_add_f32_e32 v22, v22, v179
	s_wait_loadcnt_dscnt 0x201
	v_mul_f32_e32 v26, v5, v10
	v_mul_f32_e32 v10, v6, v10
	;; [unrolled: 1-line block ×4, first 2 shown]
	v_add_f32_e32 v22, v22, v181
	v_fmac_f32_e32 v26, v6, v9
	v_fma_f32 v145, v5, v9, -v10
	v_fmac_f32_e32 v144, v8, v11
	v_fma_f32 v146, v7, v11, -v12
	scratch_load_b128 v[5:8], off, off offset:392
	v_add_f32_e32 v22, v22, v183
	scratch_load_b128 v[9:12], off, off offset:408
	s_wait_loadcnt_dscnt 0x200
	v_mul_f32_e32 v147, v13, v2
	v_mul_f32_e32 v2, v14, v2
	;; [unrolled: 1-line block ×3, first 2 shown]
	s_delay_alu instid0(VALU_DEP_3) | instskip(NEXT) | instid1(VALU_DEP_3)
	v_dual_mul_f32 v4, v16, v4 :: v_dual_fmac_f32 v147, v14, v1
	v_fma_f32 v151, v13, v1, -v2
	s_delay_alu instid0(VALU_DEP_3) | instskip(NEXT) | instid1(VALU_DEP_3)
	v_dual_add_f32 v13, v22, v185 :: v_dual_fmac_f32 v150, v16, v3
	v_fma_f32 v152, v15, v3, -v4
	ds_load_2addr_b64 v[1:4], v21 offset0:105 offset1:106
	v_add_f32_e32 v22, v13, v187
	s_delay_alu instid0(VALU_DEP_1) | instskip(NEXT) | instid1(VALU_DEP_1)
	v_add_f32_e32 v31, v22, v189
	v_add_f32_e32 v154, v31, v191
	s_delay_alu instid0(VALU_DEP_1) | instskip(NEXT) | instid1(VALU_DEP_1)
	v_add_f32_e32 v26, v154, v26
	v_dual_add_f32 v17, v17, v174 :: v_dual_add_f32 v26, v26, v144
	s_delay_alu instid0(VALU_DEP_1) | instskip(NEXT) | instid1(VALU_DEP_1)
	v_dual_add_f32 v17, v17, v176 :: v_dual_add_f32 v26, v26, v147
	v_add_f32_e32 v17, v17, v178
	s_delay_alu instid0(VALU_DEP_1) | instskip(SKIP_2) | instid1(VALU_DEP_1)
	v_dual_add_f32 v26, v26, v150 :: v_dual_add_f32 v23, v17, v180
	scratch_load_b128 v[17:20], off, off offset:424
	v_add_f32_e32 v23, v23, v182
	v_add_f32_e32 v23, v23, v184
	s_delay_alu instid0(VALU_DEP_1) | instskip(NEXT) | instid1(VALU_DEP_1)
	v_add_f32_e32 v23, v23, v186
	v_add_f32_e32 v14, v23, v188
	ds_load_2addr_b64 v[22:25], v21 offset0:109 offset1:110
	v_add_f32_e32 v30, v14, v190
	ds_load_2addr_b64 v[13:16], v21 offset0:107 offset1:108
	s_wait_loadcnt_dscnt 0x202
	v_mul_f32_e32 v144, v3, v8
	v_mul_f32_e32 v8, v4, v8
	v_add_f32_e32 v153, v30, v192
	ds_load_b64 v[30:31], v21 offset:888
	v_dual_fmac_f32 v144, v4, v7 :: v_dual_add_f32 v145, v153, v145
	s_delay_alu instid0(VALU_DEP_1) | instskip(SKIP_4) | instid1(VALU_DEP_3)
	v_add_f32_e32 v145, v145, v146
	s_wait_loadcnt_dscnt 0x101
	v_mul_f32_e32 v146, v13, v10
	v_mul_f32_e32 v153, v1, v6
	;; [unrolled: 1-line block ×3, first 2 shown]
	v_fmac_f32_e32 v146, v14, v9
	s_delay_alu instid0(VALU_DEP_3)
	v_fmac_f32_e32 v153, v2, v5
	s_wait_dscnt 0x0
	v_mul_f32_e32 v150, v30, v29
	v_fma_f32 v1, v1, v5, -v6
	v_fma_f32 v2, v3, v7, -v8
	v_mul_f32_e32 v3, v14, v10
	v_dual_add_f32 v4, v26, v153 :: v_dual_add_f32 v145, v145, v151
	v_fmac_f32_e32 v150, v31, v28
	s_delay_alu instid0(VALU_DEP_3) | instskip(SKIP_2) | instid1(VALU_DEP_1)
	v_fma_f32 v3, v13, v9, -v3
	s_wait_loadcnt 0x0
	v_mul_f32_e32 v151, v22, v18
	v_fmac_f32_e32 v151, v23, v17
	v_mul_f32_e32 v147, v15, v12
	s_delay_alu instid0(VALU_DEP_1) | instskip(SKIP_2) | instid1(VALU_DEP_1)
	v_fmac_f32_e32 v147, v16, v11
	v_add_f32_e32 v145, v145, v152
	v_mul_f32_e32 v152, v24, v20
	v_fmac_f32_e32 v152, v25, v19
	s_delay_alu instid0(VALU_DEP_3) | instskip(NEXT) | instid1(VALU_DEP_1)
	v_add_f32_e32 v1, v145, v1
	v_dual_add_f32 v1, v1, v2 :: v_dual_add_f32 v2, v4, v144
	s_delay_alu instid0(VALU_DEP_1) | instskip(NEXT) | instid1(VALU_DEP_2)
	v_dual_mul_f32 v4, v23, v18 :: v_dual_add_f32 v1, v1, v3
	v_dual_add_f32 v2, v2, v146 :: v_dual_mul_f32 v3, v25, v20
	s_delay_alu instid0(VALU_DEP_2) | instskip(NEXT) | instid1(VALU_DEP_2)
	v_fma_f32 v4, v22, v17, -v4
	v_add_f32_e32 v2, v2, v147
	s_delay_alu instid0(VALU_DEP_3) | instskip(NEXT) | instid1(VALU_DEP_2)
	v_fma_f32 v3, v24, v19, -v3
	v_add_f32_e32 v2, v2, v151
	s_delay_alu instid0(VALU_DEP_1) | instskip(NEXT) | instid1(VALU_DEP_1)
	v_add_f32_e32 v2, v2, v152
	v_dual_mul_f32 v5, v16, v12 :: v_dual_add_f32 v2, v2, v150
	s_delay_alu instid0(VALU_DEP_1) | instskip(NEXT) | instid1(VALU_DEP_2)
	v_fma_f32 v5, v15, v11, -v5
	v_sub_f32_e32 v2, v149, v2
	s_delay_alu instid0(VALU_DEP_2) | instskip(SKIP_1) | instid1(VALU_DEP_2)
	v_add_f32_e32 v1, v1, v5
	v_mul_f32_e32 v5, v31, v29
	v_add_f32_e32 v1, v1, v4
	s_delay_alu instid0(VALU_DEP_2) | instskip(NEXT) | instid1(VALU_DEP_2)
	v_fma_f32 v4, v30, v28, -v5
	v_add_f32_e32 v1, v1, v3
	s_delay_alu instid0(VALU_DEP_1) | instskip(NEXT) | instid1(VALU_DEP_1)
	v_add_f32_e32 v1, v1, v4
	v_sub_f32_e32 v1, v148, v1
	scratch_store_b64 off, v[1:2], off offset:96
	v_cmpx_lt_u32_e32 11, v0
	s_cbranch_execz .LBB55_327
; %bb.326:
	scratch_load_b64 v[1:2], off, off offset:88
	v_mov_b32_e32 v22, v21
	scratch_store_b64 off, v[21:22], off offset:88
	s_wait_loadcnt 0x0
	ds_store_b64 v27, v[1:2]
.LBB55_327:
	s_wait_alu 0xfffe
	s_or_b32 exec_lo, exec_lo, s0
	s_wait_storecnt_dscnt 0x0
	s_barrier_signal -1
	s_barrier_wait -1
	global_inv scope:SCOPE_SE
	s_clause 0x4
	scratch_load_b128 v[5:8], off, off offset:96
	scratch_load_b128 v[1:4], off, off offset:112
	;; [unrolled: 1-line block ×5, first 2 shown]
	ds_load_b128 v[22:25], v21 offset:544
	ds_load_b128 v[28:31], v21 offset:560
	;; [unrolled: 1-line block ×3, first 2 shown]
	scratch_load_b64 v[148:149], off, off offset:88
	s_mov_b32 s0, exec_lo
	s_wait_loadcnt_dscnt 0x502
	v_dual_mul_f32 v26, v23, v6 :: v_dual_mul_f32 v151, v24, v8
	v_mul_f32_e32 v150, v22, v6
	v_mul_f32_e32 v6, v25, v8
	s_wait_loadcnt_dscnt 0x300
	v_mul_f32_e32 v152, v146, v12
	v_fma_f32 v22, v22, v5, -v26
	v_dual_fmac_f32 v151, v25, v7 :: v_dual_fmac_f32 v150, v23, v5
	v_mul_f32_e32 v25, v30, v4
	v_mul_f32_e32 v4, v31, v4
	;; [unrolled: 1-line block ×5, first 2 shown]
	v_fmac_f32_e32 v25, v31, v3
	v_fma_f32 v23, v24, v7, -v6
	ds_load_b128 v[5:8], v21 offset:592
	v_mul_f32_e32 v24, v28, v2
	v_mul_f32_e32 v2, v29, v2
	v_fmac_f32_e32 v26, v145, v9
	v_fmac_f32_e32 v152, v147, v11
	v_fma_f32 v31, v146, v11, -v12
	v_fmac_f32_e32 v24, v29, v1
	v_fma_f32 v29, v30, v3, -v4
	v_fma_f32 v30, v144, v9, -v10
	ds_load_b128 v[9:12], v21 offset:608
	s_wait_loadcnt_dscnt 0x201
	v_dual_mul_f32 v145, v7, v16 :: v_dual_mul_f32 v144, v5, v14
	v_mul_f32_e32 v14, v6, v14
	v_mul_f32_e32 v16, v8, v16
	s_delay_alu instid0(VALU_DEP_3)
	v_fmac_f32_e32 v145, v8, v15
	v_fma_f32 v28, v28, v1, -v2
	scratch_load_b128 v[1:4], off, off offset:176
	v_fmac_f32_e32 v144, v6, v13
	v_fma_f32 v13, v5, v13, -v14
	v_fma_f32 v14, v7, v15, -v16
	s_wait_loadcnt_dscnt 0x200
	v_mul_f32_e32 v15, v9, v18
	v_mul_f32_e32 v16, v10, v18
	v_mul_f32_e32 v18, v11, v20
	v_mul_f32_e32 v20, v12, v20
	ds_load_b128 v[5:8], v21 offset:624
	v_fmac_f32_e32 v15, v10, v17
	v_fma_f32 v16, v9, v17, -v16
	v_fmac_f32_e32 v18, v12, v19
	v_fma_f32 v17, v11, v19, -v20
	scratch_load_b128 v[9:12], off, off offset:192
	s_wait_loadcnt_dscnt 0x100
	v_mul_f32_e32 v19, v5, v2
	v_mul_f32_e32 v2, v6, v2
	;; [unrolled: 1-line block ×3, first 2 shown]
	s_delay_alu instid0(VALU_DEP_3) | instskip(NEXT) | instid1(VALU_DEP_3)
	v_dual_mul_f32 v4, v8, v4 :: v_dual_fmac_f32 v19, v6, v1
	v_fma_f32 v146, v5, v1, -v2
	s_delay_alu instid0(VALU_DEP_3) | instskip(NEXT) | instid1(VALU_DEP_3)
	v_fmac_f32_e32 v20, v8, v3
	v_fma_f32 v147, v7, v3, -v4
	ds_load_b128 v[1:4], v21 offset:640
	ds_load_b128 v[5:8], v21 offset:656
	s_wait_loadcnt_dscnt 0x1
	v_mul_f32_e32 v153, v1, v10
	v_mul_f32_e32 v10, v2, v10
	s_delay_alu instid0(VALU_DEP_2) | instskip(NEXT) | instid1(VALU_DEP_2)
	v_dual_mul_f32 v154, v3, v12 :: v_dual_fmac_f32 v153, v2, v9
	v_fma_f32 v155, v1, v9, -v10
	v_mul_f32_e32 v1, v4, v12
	s_delay_alu instid0(VALU_DEP_3) | instskip(NEXT) | instid1(VALU_DEP_2)
	v_fmac_f32_e32 v154, v4, v11
	v_fma_f32 v156, v3, v11, -v1
	s_clause 0x1
	scratch_load_b128 v[1:4], off, off offset:208
	scratch_load_b128 v[9:12], off, off offset:224
	s_wait_loadcnt_dscnt 0x100
	v_mul_f32_e32 v157, v5, v2
	v_dual_mul_f32 v2, v6, v2 :: v_dual_mul_f32 v159, v7, v4
	s_delay_alu instid0(VALU_DEP_2) | instskip(NEXT) | instid1(VALU_DEP_2)
	v_fmac_f32_e32 v157, v6, v1
	v_fma_f32 v158, v5, v1, -v2
	v_mul_f32_e32 v1, v8, v4
	s_delay_alu instid0(VALU_DEP_4) | instskip(NEXT) | instid1(VALU_DEP_2)
	v_fmac_f32_e32 v159, v8, v3
	v_fma_f32 v160, v7, v3, -v1
	ds_load_b128 v[1:4], v21 offset:672
	ds_load_b128 v[5:8], v21 offset:688
	s_wait_loadcnt_dscnt 0x1
	v_mul_f32_e32 v161, v1, v10
	v_mul_f32_e32 v163, v3, v12
	s_delay_alu instid0(VALU_DEP_2) | instskip(NEXT) | instid1(VALU_DEP_2)
	v_fmac_f32_e32 v161, v2, v9
	v_dual_mul_f32 v2, v2, v10 :: v_dual_fmac_f32 v163, v4, v11
	s_delay_alu instid0(VALU_DEP_1) | instskip(SKIP_1) | instid1(VALU_DEP_1)
	v_fma_f32 v162, v1, v9, -v2
	v_mul_f32_e32 v1, v4, v12
	v_fma_f32 v164, v3, v11, -v1
	s_clause 0x1
	scratch_load_b128 v[1:4], off, off offset:240
	scratch_load_b128 v[9:12], off, off offset:256
	s_wait_loadcnt_dscnt 0x100
	v_mul_f32_e32 v165, v5, v2
	v_dual_mul_f32 v2, v6, v2 :: v_dual_mul_f32 v167, v7, v4
	s_delay_alu instid0(VALU_DEP_2) | instskip(NEXT) | instid1(VALU_DEP_2)
	v_fmac_f32_e32 v165, v6, v1
	v_fma_f32 v166, v5, v1, -v2
	v_mul_f32_e32 v1, v8, v4
	s_delay_alu instid0(VALU_DEP_4) | instskip(NEXT) | instid1(VALU_DEP_2)
	v_fmac_f32_e32 v167, v8, v3
	v_fma_f32 v168, v7, v3, -v1
	ds_load_b128 v[1:4], v21 offset:704
	ds_load_b128 v[5:8], v21 offset:720
	s_wait_loadcnt_dscnt 0x1
	v_mul_f32_e32 v169, v1, v10
	v_mul_f32_e32 v171, v3, v12
	s_delay_alu instid0(VALU_DEP_2) | instskip(NEXT) | instid1(VALU_DEP_2)
	v_fmac_f32_e32 v169, v2, v9
	v_dual_mul_f32 v2, v2, v10 :: v_dual_fmac_f32 v171, v4, v11
	s_delay_alu instid0(VALU_DEP_1) | instskip(SKIP_1) | instid1(VALU_DEP_1)
	v_fma_f32 v170, v1, v9, -v2
	v_mul_f32_e32 v1, v4, v12
	;; [unrolled: 25-line block ×5, first 2 shown]
	v_fma_f32 v196, v3, v11, -v1
	s_clause 0x1
	scratch_load_b128 v[1:4], off, off offset:368
	scratch_load_b128 v[9:12], off, off offset:384
	s_wait_loadcnt_dscnt 0x100
	v_mul_f32_e32 v197, v5, v2
	v_mul_f32_e32 v2, v6, v2
	s_delay_alu instid0(VALU_DEP_1) | instskip(SKIP_1) | instid1(VALU_DEP_1)
	v_fma_f32 v198, v5, v1, -v2
	v_add_f32_e32 v2, 0, v150
	v_add_f32_e32 v2, v2, v151
	s_delay_alu instid0(VALU_DEP_1) | instskip(NEXT) | instid1(VALU_DEP_1)
	v_add_f32_e32 v2, v2, v24
	v_add_f32_e32 v2, v2, v25
	s_delay_alu instid0(VALU_DEP_1) | instskip(NEXT) | instid1(VALU_DEP_1)
	;; [unrolled: 3-line block ×8, first 2 shown]
	v_add_f32_e32 v2, v2, v161
	v_add_f32_e32 v2, v2, v163
	s_delay_alu instid0(VALU_DEP_1) | instskip(SKIP_2) | instid1(VALU_DEP_3)
	v_add_f32_e32 v2, v2, v165
	v_fmac_f32_e32 v197, v6, v1
	v_mul_f32_e32 v1, v8, v4
	v_dual_mul_f32 v199, v7, v4 :: v_dual_add_f32 v2, v2, v167
	s_delay_alu instid0(VALU_DEP_2) | instskip(SKIP_1) | instid1(VALU_DEP_3)
	v_fma_f32 v200, v7, v3, -v1
	v_add_f32_e32 v1, 0, v22
	v_add_f32_e32 v5, v2, v169
	s_delay_alu instid0(VALU_DEP_2) | instskip(NEXT) | instid1(VALU_DEP_2)
	v_add_f32_e32 v1, v1, v23
	v_add_f32_e32 v5, v5, v171
	s_delay_alu instid0(VALU_DEP_2) | instskip(NEXT) | instid1(VALU_DEP_2)
	v_add_f32_e32 v1, v1, v28
	v_add_f32_e32 v5, v5, v173
	s_delay_alu instid0(VALU_DEP_2) | instskip(NEXT) | instid1(VALU_DEP_1)
	v_add_f32_e32 v1, v1, v29
	v_add_f32_e32 v1, v1, v30
	s_delay_alu instid0(VALU_DEP_1) | instskip(NEXT) | instid1(VALU_DEP_1)
	v_add_f32_e32 v1, v1, v31
	v_add_f32_e32 v1, v1, v13
	s_delay_alu instid0(VALU_DEP_1) | instskip(SKIP_1) | instid1(VALU_DEP_2)
	v_add_f32_e32 v1, v1, v14
	v_add_f32_e32 v14, v5, v175
	;; [unrolled: 1-line block ×3, first 2 shown]
	s_delay_alu instid0(VALU_DEP_1) | instskip(NEXT) | instid1(VALU_DEP_1)
	v_add_f32_e32 v1, v1, v17
	v_add_f32_e32 v1, v1, v146
	s_delay_alu instid0(VALU_DEP_1) | instskip(NEXT) | instid1(VALU_DEP_1)
	v_add_f32_e32 v1, v1, v147
	v_add_f32_e32 v1, v1, v155
	;; [unrolled: 3-line block ×6, first 2 shown]
	s_delay_alu instid0(VALU_DEP_1) | instskip(SKIP_3) | instid1(VALU_DEP_2)
	v_dual_add_f32 v6, v1, v172 :: v_dual_fmac_f32 v199, v8, v3
	ds_load_b128 v[1:4], v21 offset:832
	v_add_f32_e32 v14, v14, v177
	v_add_f32_e32 v6, v6, v174
	v_add_f32_e32 v14, v14, v179
	s_delay_alu instid0(VALU_DEP_2) | instskip(SKIP_4) | instid1(VALU_DEP_2)
	v_add_f32_e32 v13, v6, v176
	ds_load_b128 v[5:8], v21 offset:848
	s_wait_loadcnt_dscnt 0x1
	v_dual_mul_f32 v25, v1, v10 :: v_dual_mul_f32 v26, v3, v12
	v_mul_f32_e32 v10, v2, v10
	v_dual_mul_f32 v12, v4, v12 :: v_dual_fmac_f32 v25, v2, v9
	s_delay_alu instid0(VALU_DEP_3) | instskip(NEXT) | instid1(VALU_DEP_3)
	v_fmac_f32_e32 v26, v4, v11
	v_fma_f32 v28, v1, v9, -v10
	s_delay_alu instid0(VALU_DEP_3)
	v_fma_f32 v29, v3, v11, -v12
	s_clause 0x1
	scratch_load_b128 v[1:4], off, off offset:400
	scratch_load_b128 v[9:12], off, off offset:416
	s_wait_loadcnt_dscnt 0x100
	v_mul_f32_e32 v144, v5, v2
	v_add_f32_e32 v13, v13, v178
	v_dual_mul_f32 v2, v6, v2 :: v_dual_mul_f32 v145, v7, v4
	v_mul_f32_e32 v4, v8, v4
	s_delay_alu instid0(VALU_DEP_3) | instskip(SKIP_1) | instid1(VALU_DEP_4)
	v_dual_fmac_f32 v144, v6, v1 :: v_dual_add_f32 v13, v13, v180
	v_add_f32_e32 v17, v14, v181
	v_fma_f32 v2, v5, v1, -v2
	v_fmac_f32_e32 v145, v8, v3
	v_fma_f32 v3, v7, v3, -v4
	v_add_f32_e32 v13, v13, v182
	v_add_f32_e32 v17, v17, v183
	s_delay_alu instid0(VALU_DEP_2) | instskip(SKIP_2) | instid1(VALU_DEP_1)
	v_add_f32_e32 v18, v13, v184
	scratch_load_b128 v[13:16], off, off offset:432
	v_dual_add_f32 v17, v17, v185 :: v_dual_add_f32 v18, v18, v186
	v_dual_add_f32 v17, v17, v187 :: v_dual_add_f32 v18, v18, v188
	s_delay_alu instid0(VALU_DEP_1) | instskip(SKIP_4) | instid1(VALU_DEP_1)
	v_dual_add_f32 v23, v17, v189 :: v_dual_add_f32 v22, v18, v190
	ds_load_b128 v[17:20], v21 offset:864
	v_dual_add_f32 v31, v23, v191 :: v_dual_add_f32 v30, v22, v192
	ds_load_b128 v[21:24], v21 offset:880
	v_dual_add_f32 v31, v31, v193 :: v_dual_add_f32 v30, v30, v194
	v_dual_add_f32 v31, v31, v195 :: v_dual_add_f32 v30, v30, v196
	s_delay_alu instid0(VALU_DEP_1) | instskip(SKIP_1) | instid1(VALU_DEP_1)
	v_dual_add_f32 v31, v31, v197 :: v_dual_add_f32 v30, v30, v198
	s_wait_loadcnt_dscnt 0x101
	v_dual_mul_f32 v146, v17, v10 :: v_dual_add_f32 v31, v31, v199
	v_dual_mul_f32 v6, v18, v10 :: v_dual_mul_f32 v147, v19, v12
	s_delay_alu instid0(VALU_DEP_3) | instskip(SKIP_1) | instid1(VALU_DEP_3)
	v_add_f32_e32 v30, v30, v200
	v_mul_f32_e32 v4, v20, v12
	v_dual_fmac_f32 v146, v18, v9 :: v_dual_fmac_f32 v147, v20, v11
	s_delay_alu instid0(VALU_DEP_3) | instskip(NEXT) | instid1(VALU_DEP_3)
	v_add_f32_e32 v28, v30, v28
	v_fma_f32 v4, v19, v11, -v4
	s_delay_alu instid0(VALU_DEP_2) | instskip(NEXT) | instid1(VALU_DEP_1)
	v_add_f32_e32 v1, v28, v29
	v_add_f32_e32 v1, v1, v2
	s_delay_alu instid0(VALU_DEP_1) | instskip(SKIP_3) | instid1(VALU_DEP_2)
	v_add_f32_e32 v1, v1, v3
	s_wait_loadcnt_dscnt 0x0
	v_dual_mul_f32 v150, v21, v14 :: v_dual_add_f32 v25, v31, v25
	v_dual_mul_f32 v3, v22, v14 :: v_dual_mul_f32 v30, v23, v16
	v_dual_fmac_f32 v150, v22, v13 :: v_dual_add_f32 v5, v25, v26
	s_delay_alu instid0(VALU_DEP_2) | instskip(NEXT) | instid1(VALU_DEP_3)
	v_fma_f32 v3, v21, v13, -v3
	v_fmac_f32_e32 v30, v24, v15
	s_delay_alu instid0(VALU_DEP_3) | instskip(SKIP_1) | instid1(VALU_DEP_2)
	v_add_f32_e32 v2, v5, v144
	v_fma_f32 v5, v17, v9, -v6
	v_add_f32_e32 v2, v2, v145
	s_delay_alu instid0(VALU_DEP_2) | instskip(NEXT) | instid1(VALU_DEP_2)
	v_add_f32_e32 v1, v1, v5
	v_dual_mul_f32 v5, v24, v16 :: v_dual_add_f32 v2, v2, v146
	s_delay_alu instid0(VALU_DEP_2) | instskip(NEXT) | instid1(VALU_DEP_2)
	v_add_f32_e32 v1, v1, v4
	v_fma_f32 v4, v23, v15, -v5
	s_delay_alu instid0(VALU_DEP_3) | instskip(NEXT) | instid1(VALU_DEP_1)
	v_add_f32_e32 v2, v2, v147
	v_dual_add_f32 v1, v1, v3 :: v_dual_add_f32 v2, v2, v150
	s_delay_alu instid0(VALU_DEP_1) | instskip(NEXT) | instid1(VALU_DEP_1)
	v_dual_add_f32 v1, v1, v4 :: v_dual_add_f32 v2, v2, v30
	v_dual_sub_f32 v1, v148, v1 :: v_dual_sub_f32 v2, v149, v2
	scratch_store_b64 off, v[1:2], off offset:88
	v_cmpx_lt_u32_e32 10, v0
	s_cbranch_execz .LBB55_329
; %bb.328:
	scratch_load_b64 v[1:2], off, off offset:80
	v_mov_b32_e32 v3, 0
	s_delay_alu instid0(VALU_DEP_1)
	v_mov_b32_e32 v4, v3
	scratch_store_b64 off, v[3:4], off offset:80
	s_wait_loadcnt 0x0
	ds_store_b64 v27, v[1:2]
.LBB55_329:
	s_wait_alu 0xfffe
	s_or_b32 exec_lo, exec_lo, s0
	s_wait_storecnt_dscnt 0x0
	s_barrier_signal -1
	s_barrier_wait -1
	global_inv scope:SCOPE_SE
	s_clause 0x4
	scratch_load_b128 v[5:8], off, off offset:88
	scratch_load_b128 v[1:4], off, off offset:104
	;; [unrolled: 1-line block ×5, first 2 shown]
	v_mov_b32_e32 v21, 0
	ds_load_2addr_b64 v[22:25], v21 offset0:67 offset1:68
	ds_load_2addr_b64 v[28:31], v21 offset0:69 offset1:70
	;; [unrolled: 1-line block ×3, first 2 shown]
	scratch_load_b64 v[148:149], off, off offset:80
	s_mov_b32 s0, exec_lo
	s_wait_loadcnt_dscnt 0x502
	v_dual_mul_f32 v150, v22, v6 :: v_dual_mul_f32 v151, v24, v8
	v_mul_f32_e32 v26, v23, v6
	v_mul_f32_e32 v6, v25, v8
	s_wait_loadcnt_dscnt 0x300
	v_mul_f32_e32 v152, v146, v12
	v_dual_fmac_f32 v150, v23, v5 :: v_dual_fmac_f32 v151, v25, v7
	v_mul_f32_e32 v25, v30, v4
	v_fma_f32 v22, v22, v5, -v26
	v_mul_f32_e32 v26, v144, v10
	v_mul_f32_e32 v4, v31, v4
	s_delay_alu instid0(VALU_DEP_4)
	v_dual_mul_f32 v10, v145, v10 :: v_dual_fmac_f32 v25, v31, v3
	v_fma_f32 v23, v24, v7, -v6
	ds_load_2addr_b64 v[5:8], v21 offset0:73 offset1:74
	v_mul_f32_e32 v24, v28, v2
	v_mul_f32_e32 v12, v147, v12
	v_mul_f32_e32 v2, v29, v2
	v_fmac_f32_e32 v26, v145, v9
	v_fmac_f32_e32 v152, v147, v11
	;; [unrolled: 1-line block ×3, first 2 shown]
	v_fma_f32 v29, v30, v3, -v4
	v_fma_f32 v30, v144, v9, -v10
	;; [unrolled: 1-line block ×3, first 2 shown]
	ds_load_2addr_b64 v[9:12], v21 offset0:75 offset1:76
	s_wait_loadcnt_dscnt 0x201
	v_dual_mul_f32 v145, v7, v16 :: v_dual_mul_f32 v144, v5, v14
	v_mul_f32_e32 v14, v6, v14
	v_mul_f32_e32 v16, v8, v16
	s_delay_alu instid0(VALU_DEP_3)
	v_fmac_f32_e32 v145, v8, v15
	v_fma_f32 v28, v28, v1, -v2
	scratch_load_b128 v[1:4], off, off offset:168
	v_fmac_f32_e32 v144, v6, v13
	v_fma_f32 v13, v5, v13, -v14
	v_fma_f32 v14, v7, v15, -v16
	s_wait_loadcnt_dscnt 0x200
	v_mul_f32_e32 v15, v9, v18
	v_mul_f32_e32 v16, v10, v18
	;; [unrolled: 1-line block ×4, first 2 shown]
	ds_load_2addr_b64 v[5:8], v21 offset0:77 offset1:78
	v_fmac_f32_e32 v15, v10, v17
	v_fma_f32 v16, v9, v17, -v16
	v_fmac_f32_e32 v18, v12, v19
	v_fma_f32 v17, v11, v19, -v20
	scratch_load_b128 v[9:12], off, off offset:184
	s_wait_loadcnt_dscnt 0x100
	v_mul_f32_e32 v19, v5, v2
	v_mul_f32_e32 v2, v6, v2
	;; [unrolled: 1-line block ×3, first 2 shown]
	s_delay_alu instid0(VALU_DEP_3) | instskip(NEXT) | instid1(VALU_DEP_3)
	v_dual_mul_f32 v4, v8, v4 :: v_dual_fmac_f32 v19, v6, v1
	v_fma_f32 v146, v5, v1, -v2
	s_delay_alu instid0(VALU_DEP_3) | instskip(NEXT) | instid1(VALU_DEP_3)
	v_fmac_f32_e32 v20, v8, v3
	v_fma_f32 v147, v7, v3, -v4
	ds_load_2addr_b64 v[1:4], v21 offset0:79 offset1:80
	ds_load_2addr_b64 v[5:8], v21 offset0:81 offset1:82
	s_wait_loadcnt_dscnt 0x1
	v_mul_f32_e32 v153, v1, v10
	v_mul_f32_e32 v10, v2, v10
	s_delay_alu instid0(VALU_DEP_2) | instskip(NEXT) | instid1(VALU_DEP_2)
	v_dual_mul_f32 v154, v3, v12 :: v_dual_fmac_f32 v153, v2, v9
	v_fma_f32 v155, v1, v9, -v10
	v_mul_f32_e32 v1, v4, v12
	s_delay_alu instid0(VALU_DEP_3) | instskip(NEXT) | instid1(VALU_DEP_2)
	v_fmac_f32_e32 v154, v4, v11
	v_fma_f32 v156, v3, v11, -v1
	s_clause 0x1
	scratch_load_b128 v[1:4], off, off offset:200
	scratch_load_b128 v[9:12], off, off offset:216
	s_wait_loadcnt_dscnt 0x100
	v_mul_f32_e32 v157, v5, v2
	v_dual_mul_f32 v2, v6, v2 :: v_dual_mul_f32 v159, v7, v4
	s_delay_alu instid0(VALU_DEP_2) | instskip(NEXT) | instid1(VALU_DEP_2)
	v_fmac_f32_e32 v157, v6, v1
	v_fma_f32 v158, v5, v1, -v2
	v_mul_f32_e32 v1, v8, v4
	s_delay_alu instid0(VALU_DEP_4) | instskip(NEXT) | instid1(VALU_DEP_2)
	v_fmac_f32_e32 v159, v8, v3
	v_fma_f32 v160, v7, v3, -v1
	ds_load_2addr_b64 v[1:4], v21 offset0:83 offset1:84
	ds_load_2addr_b64 v[5:8], v21 offset0:85 offset1:86
	s_wait_loadcnt_dscnt 0x1
	v_mul_f32_e32 v161, v1, v10
	v_mul_f32_e32 v163, v3, v12
	s_delay_alu instid0(VALU_DEP_2) | instskip(NEXT) | instid1(VALU_DEP_2)
	v_fmac_f32_e32 v161, v2, v9
	v_dual_mul_f32 v2, v2, v10 :: v_dual_fmac_f32 v163, v4, v11
	s_delay_alu instid0(VALU_DEP_1) | instskip(SKIP_1) | instid1(VALU_DEP_1)
	v_fma_f32 v162, v1, v9, -v2
	v_mul_f32_e32 v1, v4, v12
	v_fma_f32 v164, v3, v11, -v1
	s_clause 0x1
	scratch_load_b128 v[1:4], off, off offset:232
	scratch_load_b128 v[9:12], off, off offset:248
	s_wait_loadcnt_dscnt 0x100
	v_mul_f32_e32 v165, v5, v2
	v_dual_mul_f32 v2, v6, v2 :: v_dual_mul_f32 v167, v7, v4
	s_delay_alu instid0(VALU_DEP_2) | instskip(NEXT) | instid1(VALU_DEP_2)
	v_fmac_f32_e32 v165, v6, v1
	v_fma_f32 v166, v5, v1, -v2
	v_mul_f32_e32 v1, v8, v4
	s_delay_alu instid0(VALU_DEP_4) | instskip(NEXT) | instid1(VALU_DEP_2)
	v_fmac_f32_e32 v167, v8, v3
	v_fma_f32 v168, v7, v3, -v1
	ds_load_2addr_b64 v[1:4], v21 offset0:87 offset1:88
	ds_load_2addr_b64 v[5:8], v21 offset0:89 offset1:90
	s_wait_loadcnt_dscnt 0x1
	v_mul_f32_e32 v169, v1, v10
	v_mul_f32_e32 v171, v3, v12
	s_delay_alu instid0(VALU_DEP_2) | instskip(NEXT) | instid1(VALU_DEP_2)
	v_fmac_f32_e32 v169, v2, v9
	v_dual_mul_f32 v2, v2, v10 :: v_dual_fmac_f32 v171, v4, v11
	s_delay_alu instid0(VALU_DEP_1) | instskip(SKIP_1) | instid1(VALU_DEP_1)
	v_fma_f32 v170, v1, v9, -v2
	v_mul_f32_e32 v1, v4, v12
	;; [unrolled: 25-line block ×5, first 2 shown]
	v_fma_f32 v196, v3, v11, -v1
	s_clause 0x1
	scratch_load_b128 v[1:4], off, off offset:360
	scratch_load_b128 v[9:12], off, off offset:376
	s_wait_loadcnt_dscnt 0x100
	v_mul_f32_e32 v197, v5, v2
	v_mul_f32_e32 v2, v6, v2
	s_delay_alu instid0(VALU_DEP_1) | instskip(SKIP_1) | instid1(VALU_DEP_1)
	v_fma_f32 v198, v5, v1, -v2
	v_add_f32_e32 v2, 0, v150
	v_add_f32_e32 v2, v2, v151
	s_delay_alu instid0(VALU_DEP_1) | instskip(NEXT) | instid1(VALU_DEP_1)
	v_add_f32_e32 v2, v2, v24
	v_add_f32_e32 v2, v2, v25
	s_delay_alu instid0(VALU_DEP_1) | instskip(NEXT) | instid1(VALU_DEP_1)
	;; [unrolled: 3-line block ×8, first 2 shown]
	v_add_f32_e32 v2, v2, v161
	v_add_f32_e32 v2, v2, v163
	s_delay_alu instid0(VALU_DEP_1) | instskip(SKIP_2) | instid1(VALU_DEP_3)
	v_add_f32_e32 v2, v2, v165
	v_fmac_f32_e32 v197, v6, v1
	v_mul_f32_e32 v1, v8, v4
	v_dual_mul_f32 v199, v7, v4 :: v_dual_add_f32 v2, v2, v167
	s_delay_alu instid0(VALU_DEP_2) | instskip(SKIP_1) | instid1(VALU_DEP_3)
	v_fma_f32 v200, v7, v3, -v1
	v_add_f32_e32 v1, 0, v22
	v_add_f32_e32 v5, v2, v169
	s_delay_alu instid0(VALU_DEP_2) | instskip(NEXT) | instid1(VALU_DEP_2)
	v_add_f32_e32 v1, v1, v23
	v_add_f32_e32 v5, v5, v171
	s_delay_alu instid0(VALU_DEP_2) | instskip(NEXT) | instid1(VALU_DEP_1)
	v_add_f32_e32 v1, v1, v28
	v_add_f32_e32 v1, v1, v29
	scratch_load_b64 v[28:29], off, off offset:440
	v_add_f32_e32 v1, v1, v30
	s_delay_alu instid0(VALU_DEP_1) | instskip(NEXT) | instid1(VALU_DEP_1)
	v_add_f32_e32 v1, v1, v31
	v_add_f32_e32 v1, v1, v13
	s_delay_alu instid0(VALU_DEP_1) | instskip(NEXT) | instid1(VALU_DEP_1)
	v_add_f32_e32 v1, v1, v14
	;; [unrolled: 3-line block ×8, first 2 shown]
	v_add_f32_e32 v1, v1, v170
	s_delay_alu instid0(VALU_DEP_1) | instskip(SKIP_2) | instid1(VALU_DEP_1)
	v_dual_add_f32 v6, v1, v172 :: v_dual_fmac_f32 v199, v8, v3
	ds_load_2addr_b64 v[1:4], v21 offset0:103 offset1:104
	v_dual_add_f32 v5, v5, v173 :: v_dual_add_f32 v6, v6, v174
	v_dual_add_f32 v14, v5, v175 :: v_dual_add_f32 v13, v6, v176
	ds_load_2addr_b64 v[5:8], v21 offset0:105 offset1:106
	v_add_f32_e32 v14, v14, v177
	s_delay_alu instid0(VALU_DEP_1)
	v_add_f32_e32 v14, v14, v179
	s_wait_loadcnt_dscnt 0x101
	v_mul_f32_e32 v26, v1, v10
	v_mul_f32_e32 v10, v2, v10
	v_mul_f32_e32 v144, v3, v12
	v_dual_mul_f32 v12, v4, v12 :: v_dual_add_f32 v17, v14, v181
	s_delay_alu instid0(VALU_DEP_4) | instskip(NEXT) | instid1(VALU_DEP_4)
	v_fmac_f32_e32 v26, v2, v9
	v_fma_f32 v145, v1, v9, -v10
	s_delay_alu instid0(VALU_DEP_4) | instskip(NEXT) | instid1(VALU_DEP_4)
	v_fmac_f32_e32 v144, v4, v11
	v_fma_f32 v146, v3, v11, -v12
	s_clause 0x1
	scratch_load_b128 v[1:4], off, off offset:392
	scratch_load_b128 v[9:12], off, off offset:408
	v_add_f32_e32 v13, v13, v178
	v_add_f32_e32 v17, v17, v183
	s_delay_alu instid0(VALU_DEP_2) | instskip(NEXT) | instid1(VALU_DEP_2)
	v_add_f32_e32 v13, v13, v180
	v_add_f32_e32 v17, v17, v185
	s_delay_alu instid0(VALU_DEP_2) | instskip(NEXT) | instid1(VALU_DEP_2)
	v_add_f32_e32 v13, v13, v182
	v_add_f32_e32 v17, v17, v187
	s_delay_alu instid0(VALU_DEP_2) | instskip(SKIP_2) | instid1(VALU_DEP_1)
	v_add_f32_e32 v18, v13, v184
	scratch_load_b128 v[13:16], off, off offset:424
	v_dual_add_f32 v17, v17, v189 :: v_dual_add_f32 v18, v18, v186
	v_add_f32_e32 v22, v17, v191
	s_delay_alu instid0(VALU_DEP_2) | instskip(NEXT) | instid1(VALU_DEP_2)
	v_add_f32_e32 v18, v18, v188
	v_add_f32_e32 v31, v22, v193
	ds_load_2addr_b64 v[22:25], v21 offset0:109 offset1:110
	v_add_f32_e32 v18, v18, v190
	v_add_f32_e32 v150, v31, v195
	s_delay_alu instid0(VALU_DEP_2) | instskip(NEXT) | instid1(VALU_DEP_2)
	v_add_f32_e32 v18, v18, v192
	v_add_f32_e32 v150, v150, v197
	s_delay_alu instid0(VALU_DEP_2)
	v_add_f32_e32 v30, v18, v194
	ds_load_2addr_b64 v[17:20], v21 offset0:107 offset1:108
	v_add_f32_e32 v150, v150, v199
	v_add_f32_e32 v147, v30, v196
	ds_load_b64 v[30:31], v21 offset:888
	v_add_f32_e32 v26, v150, v26
	s_delay_alu instid0(VALU_DEP_1) | instskip(NEXT) | instid1(VALU_DEP_1)
	v_dual_add_f32 v147, v147, v198 :: v_dual_add_f32 v26, v26, v144
	v_add_f32_e32 v147, v147, v200
	s_delay_alu instid0(VALU_DEP_1) | instskip(SKIP_1) | instid1(VALU_DEP_1)
	v_add_f32_e32 v145, v147, v145
	s_wait_loadcnt_dscnt 0x300
	v_dual_add_f32 v145, v145, v146 :: v_dual_mul_f32 v144, v30, v29
	s_wait_loadcnt 0x2
	s_delay_alu instid0(VALU_DEP_1)
	v_dual_fmac_f32 v144, v31, v28 :: v_dual_mul_f32 v151, v5, v2
	v_mul_f32_e32 v2, v6, v2
	v_mul_f32_e32 v152, v7, v4
	s_wait_loadcnt 0x1
	v_dual_mul_f32 v4, v8, v4 :: v_dual_mul_f32 v147, v17, v10
	v_fmac_f32_e32 v151, v6, v1
	v_fma_f32 v2, v5, v1, -v2
	v_fmac_f32_e32 v152, v8, v3
	s_delay_alu instid0(VALU_DEP_4)
	v_fma_f32 v1, v7, v3, -v4
	v_mul_f32_e32 v3, v18, v10
	v_add_f32_e32 v4, v26, v151
	v_add_f32_e32 v2, v145, v2
	v_mul_f32_e32 v150, v19, v12
	v_mul_f32_e32 v5, v20, v12
	v_fmac_f32_e32 v147, v18, v9
	v_fma_f32 v3, v17, v9, -v3
	v_dual_add_f32 v1, v2, v1 :: v_dual_add_f32 v2, v4, v152
	s_wait_loadcnt 0x0
	v_mul_f32_e32 v153, v22, v14
	v_mul_f32_e32 v4, v23, v14
	v_fmac_f32_e32 v150, v20, v11
	v_fma_f32 v5, v19, v11, -v5
	v_add_f32_e32 v1, v1, v3
	v_add_f32_e32 v2, v2, v147
	v_mul_f32_e32 v146, v24, v16
	v_mul_f32_e32 v3, v25, v16
	v_fmac_f32_e32 v153, v23, v13
	v_fma_f32 v4, v22, v13, -v4
	v_dual_add_f32 v1, v1, v5 :: v_dual_add_f32 v2, v2, v150
	v_dual_mul_f32 v5, v31, v29 :: v_dual_fmac_f32 v146, v25, v15
	v_fma_f32 v3, v24, v15, -v3
	s_delay_alu instid0(VALU_DEP_3) | instskip(NEXT) | instid1(VALU_DEP_3)
	v_dual_add_f32 v1, v1, v4 :: v_dual_add_f32 v2, v2, v153
	v_fma_f32 v4, v30, v28, -v5
	s_delay_alu instid0(VALU_DEP_2) | instskip(NEXT) | instid1(VALU_DEP_1)
	v_dual_add_f32 v1, v1, v3 :: v_dual_add_f32 v2, v2, v146
	v_add_f32_e32 v1, v1, v4
	s_delay_alu instid0(VALU_DEP_1) | instskip(NEXT) | instid1(VALU_DEP_1)
	v_dual_add_f32 v2, v2, v144 :: v_dual_sub_f32 v1, v148, v1
	v_sub_f32_e32 v2, v149, v2
	scratch_store_b64 off, v[1:2], off offset:80
	v_cmpx_lt_u32_e32 9, v0
	s_cbranch_execz .LBB55_331
; %bb.330:
	scratch_load_b64 v[1:2], off, off offset:72
	v_mov_b32_e32 v22, v21
	scratch_store_b64 off, v[21:22], off offset:72
	s_wait_loadcnt 0x0
	ds_store_b64 v27, v[1:2]
.LBB55_331:
	s_wait_alu 0xfffe
	s_or_b32 exec_lo, exec_lo, s0
	s_wait_storecnt_dscnt 0x0
	s_barrier_signal -1
	s_barrier_wait -1
	global_inv scope:SCOPE_SE
	s_clause 0x4
	scratch_load_b128 v[5:8], off, off offset:80
	scratch_load_b128 v[1:4], off, off offset:96
	;; [unrolled: 1-line block ×5, first 2 shown]
	ds_load_b128 v[22:25], v21 offset:528
	ds_load_b128 v[28:31], v21 offset:544
	;; [unrolled: 1-line block ×3, first 2 shown]
	scratch_load_b64 v[148:149], off, off offset:72
	s_mov_b32 s0, exec_lo
	s_wait_loadcnt_dscnt 0x502
	v_dual_mul_f32 v26, v23, v6 :: v_dual_mul_f32 v151, v24, v8
	v_mul_f32_e32 v150, v22, v6
	v_mul_f32_e32 v6, v25, v8
	s_wait_loadcnt_dscnt 0x300
	v_mul_f32_e32 v152, v146, v12
	v_fma_f32 v22, v22, v5, -v26
	v_dual_fmac_f32 v151, v25, v7 :: v_dual_fmac_f32 v150, v23, v5
	v_mul_f32_e32 v25, v30, v4
	v_mul_f32_e32 v4, v31, v4
	;; [unrolled: 1-line block ×5, first 2 shown]
	v_fmac_f32_e32 v25, v31, v3
	v_fma_f32 v23, v24, v7, -v6
	ds_load_b128 v[5:8], v21 offset:576
	v_mul_f32_e32 v24, v28, v2
	v_mul_f32_e32 v2, v29, v2
	v_fmac_f32_e32 v26, v145, v9
	v_fmac_f32_e32 v152, v147, v11
	v_fma_f32 v31, v146, v11, -v12
	v_fmac_f32_e32 v24, v29, v1
	v_fma_f32 v29, v30, v3, -v4
	v_fma_f32 v30, v144, v9, -v10
	ds_load_b128 v[9:12], v21 offset:592
	s_wait_loadcnt_dscnt 0x201
	v_dual_mul_f32 v145, v7, v16 :: v_dual_mul_f32 v144, v5, v14
	v_mul_f32_e32 v14, v6, v14
	v_mul_f32_e32 v16, v8, v16
	s_delay_alu instid0(VALU_DEP_3)
	v_fmac_f32_e32 v145, v8, v15
	v_fma_f32 v28, v28, v1, -v2
	scratch_load_b128 v[1:4], off, off offset:160
	v_fmac_f32_e32 v144, v6, v13
	v_fma_f32 v13, v5, v13, -v14
	v_fma_f32 v14, v7, v15, -v16
	s_wait_loadcnt_dscnt 0x200
	v_mul_f32_e32 v15, v9, v18
	v_mul_f32_e32 v16, v10, v18
	;; [unrolled: 1-line block ×4, first 2 shown]
	ds_load_b128 v[5:8], v21 offset:608
	v_fmac_f32_e32 v15, v10, v17
	v_fma_f32 v16, v9, v17, -v16
	v_fmac_f32_e32 v18, v12, v19
	v_fma_f32 v17, v11, v19, -v20
	scratch_load_b128 v[9:12], off, off offset:176
	s_wait_loadcnt_dscnt 0x100
	v_mul_f32_e32 v19, v5, v2
	v_mul_f32_e32 v2, v6, v2
	;; [unrolled: 1-line block ×3, first 2 shown]
	s_delay_alu instid0(VALU_DEP_3) | instskip(NEXT) | instid1(VALU_DEP_3)
	v_dual_mul_f32 v4, v8, v4 :: v_dual_fmac_f32 v19, v6, v1
	v_fma_f32 v146, v5, v1, -v2
	s_delay_alu instid0(VALU_DEP_3) | instskip(NEXT) | instid1(VALU_DEP_3)
	v_fmac_f32_e32 v20, v8, v3
	v_fma_f32 v147, v7, v3, -v4
	ds_load_b128 v[1:4], v21 offset:624
	ds_load_b128 v[5:8], v21 offset:640
	s_wait_loadcnt_dscnt 0x1
	v_mul_f32_e32 v153, v1, v10
	v_mul_f32_e32 v10, v2, v10
	s_delay_alu instid0(VALU_DEP_2) | instskip(NEXT) | instid1(VALU_DEP_2)
	v_dual_mul_f32 v154, v3, v12 :: v_dual_fmac_f32 v153, v2, v9
	v_fma_f32 v155, v1, v9, -v10
	v_mul_f32_e32 v1, v4, v12
	s_delay_alu instid0(VALU_DEP_3) | instskip(NEXT) | instid1(VALU_DEP_2)
	v_fmac_f32_e32 v154, v4, v11
	v_fma_f32 v156, v3, v11, -v1
	s_clause 0x1
	scratch_load_b128 v[1:4], off, off offset:192
	scratch_load_b128 v[9:12], off, off offset:208
	s_wait_loadcnt_dscnt 0x100
	v_mul_f32_e32 v157, v5, v2
	v_dual_mul_f32 v2, v6, v2 :: v_dual_mul_f32 v159, v7, v4
	s_delay_alu instid0(VALU_DEP_2) | instskip(NEXT) | instid1(VALU_DEP_2)
	v_fmac_f32_e32 v157, v6, v1
	v_fma_f32 v158, v5, v1, -v2
	v_mul_f32_e32 v1, v8, v4
	s_delay_alu instid0(VALU_DEP_4) | instskip(NEXT) | instid1(VALU_DEP_2)
	v_fmac_f32_e32 v159, v8, v3
	v_fma_f32 v160, v7, v3, -v1
	ds_load_b128 v[1:4], v21 offset:656
	ds_load_b128 v[5:8], v21 offset:672
	s_wait_loadcnt_dscnt 0x1
	v_mul_f32_e32 v161, v1, v10
	v_mul_f32_e32 v163, v3, v12
	s_delay_alu instid0(VALU_DEP_2) | instskip(NEXT) | instid1(VALU_DEP_2)
	v_fmac_f32_e32 v161, v2, v9
	v_dual_mul_f32 v2, v2, v10 :: v_dual_fmac_f32 v163, v4, v11
	s_delay_alu instid0(VALU_DEP_1) | instskip(SKIP_1) | instid1(VALU_DEP_1)
	v_fma_f32 v162, v1, v9, -v2
	v_mul_f32_e32 v1, v4, v12
	v_fma_f32 v164, v3, v11, -v1
	s_clause 0x1
	scratch_load_b128 v[1:4], off, off offset:224
	scratch_load_b128 v[9:12], off, off offset:240
	s_wait_loadcnt_dscnt 0x100
	v_mul_f32_e32 v165, v5, v2
	v_dual_mul_f32 v2, v6, v2 :: v_dual_mul_f32 v167, v7, v4
	s_delay_alu instid0(VALU_DEP_2) | instskip(NEXT) | instid1(VALU_DEP_2)
	v_fmac_f32_e32 v165, v6, v1
	v_fma_f32 v166, v5, v1, -v2
	v_mul_f32_e32 v1, v8, v4
	s_delay_alu instid0(VALU_DEP_4) | instskip(NEXT) | instid1(VALU_DEP_2)
	v_fmac_f32_e32 v167, v8, v3
	v_fma_f32 v168, v7, v3, -v1
	ds_load_b128 v[1:4], v21 offset:688
	ds_load_b128 v[5:8], v21 offset:704
	s_wait_loadcnt_dscnt 0x1
	v_mul_f32_e32 v169, v1, v10
	v_mul_f32_e32 v171, v3, v12
	s_delay_alu instid0(VALU_DEP_2) | instskip(NEXT) | instid1(VALU_DEP_2)
	v_fmac_f32_e32 v169, v2, v9
	v_dual_mul_f32 v2, v2, v10 :: v_dual_fmac_f32 v171, v4, v11
	s_delay_alu instid0(VALU_DEP_1) | instskip(SKIP_1) | instid1(VALU_DEP_1)
	v_fma_f32 v170, v1, v9, -v2
	v_mul_f32_e32 v1, v4, v12
	;; [unrolled: 25-line block ×5, first 2 shown]
	v_fma_f32 v196, v3, v11, -v1
	s_clause 0x1
	scratch_load_b128 v[1:4], off, off offset:352
	scratch_load_b128 v[9:12], off, off offset:368
	s_wait_loadcnt_dscnt 0x100
	v_mul_f32_e32 v197, v5, v2
	v_mul_f32_e32 v2, v6, v2
	s_delay_alu instid0(VALU_DEP_1) | instskip(SKIP_1) | instid1(VALU_DEP_1)
	v_fma_f32 v198, v5, v1, -v2
	v_add_f32_e32 v2, 0, v150
	v_add_f32_e32 v2, v2, v151
	s_delay_alu instid0(VALU_DEP_1) | instskip(NEXT) | instid1(VALU_DEP_1)
	v_add_f32_e32 v2, v2, v24
	v_add_f32_e32 v2, v2, v25
	s_delay_alu instid0(VALU_DEP_1) | instskip(NEXT) | instid1(VALU_DEP_1)
	;; [unrolled: 3-line block ×8, first 2 shown]
	v_add_f32_e32 v2, v2, v161
	v_add_f32_e32 v2, v2, v163
	s_delay_alu instid0(VALU_DEP_1) | instskip(SKIP_2) | instid1(VALU_DEP_3)
	v_add_f32_e32 v2, v2, v165
	v_fmac_f32_e32 v197, v6, v1
	v_mul_f32_e32 v1, v8, v4
	v_dual_mul_f32 v199, v7, v4 :: v_dual_add_f32 v2, v2, v167
	s_delay_alu instid0(VALU_DEP_2) | instskip(SKIP_1) | instid1(VALU_DEP_3)
	v_fma_f32 v200, v7, v3, -v1
	v_add_f32_e32 v1, 0, v22
	v_dual_fmac_f32 v199, v8, v3 :: v_dual_add_f32 v2, v2, v169
	s_delay_alu instid0(VALU_DEP_2) | instskip(NEXT) | instid1(VALU_DEP_2)
	v_add_f32_e32 v1, v1, v23
	v_add_f32_e32 v5, v2, v171
	s_delay_alu instid0(VALU_DEP_2) | instskip(NEXT) | instid1(VALU_DEP_1)
	v_add_f32_e32 v1, v1, v28
	v_add_f32_e32 v1, v1, v29
	s_delay_alu instid0(VALU_DEP_1) | instskip(NEXT) | instid1(VALU_DEP_1)
	v_add_f32_e32 v1, v1, v30
	v_add_f32_e32 v1, v1, v31
	s_delay_alu instid0(VALU_DEP_1) | instskip(SKIP_1) | instid1(VALU_DEP_2)
	v_add_f32_e32 v1, v1, v13
	v_add_f32_e32 v13, v5, v173
	;; [unrolled: 1-line block ×3, first 2 shown]
	s_delay_alu instid0(VALU_DEP_2) | instskip(NEXT) | instid1(VALU_DEP_2)
	v_add_f32_e32 v13, v13, v175
	v_add_f32_e32 v1, v1, v16
	s_delay_alu instid0(VALU_DEP_1) | instskip(NEXT) | instid1(VALU_DEP_1)
	v_add_f32_e32 v1, v1, v17
	v_add_f32_e32 v1, v1, v146
	s_delay_alu instid0(VALU_DEP_1) | instskip(NEXT) | instid1(VALU_DEP_1)
	;; [unrolled: 3-line block ×7, first 2 shown]
	v_add_f32_e32 v1, v1, v172
	v_add_f32_e32 v6, v1, v174
	ds_load_b128 v[1:4], v21 offset:816
	v_dual_add_f32 v13, v13, v177 :: v_dual_add_f32 v14, v6, v176
	scratch_load_b128 v[5:8], off, off offset:384
	v_add_f32_e32 v18, v13, v179
	v_add_f32_e32 v14, v14, v178
	s_delay_alu instid0(VALU_DEP_2) | instskip(NEXT) | instid1(VALU_DEP_2)
	v_add_f32_e32 v18, v18, v181
	v_add_f32_e32 v17, v14, v180
	ds_load_b128 v[13:16], v21 offset:832
	v_dual_add_f32 v18, v18, v183 :: v_dual_add_f32 v17, v17, v182
	s_wait_loadcnt_dscnt 0x101
	v_mul_f32_e32 v25, v1, v10
	v_mul_f32_e32 v10, v2, v10
	;; [unrolled: 1-line block ×4, first 2 shown]
	v_add_f32_e32 v17, v17, v184
	v_fmac_f32_e32 v25, v2, v9
	v_fma_f32 v28, v1, v9, -v10
	v_fmac_f32_e32 v26, v4, v11
	v_fma_f32 v29, v3, v11, -v12
	s_clause 0x1
	scratch_load_b128 v[1:4], off, off offset:400
	scratch_load_b128 v[9:12], off, off offset:416
	v_dual_add_f32 v17, v17, v186 :: v_dual_add_f32 v22, v18, v185
	s_delay_alu instid0(VALU_DEP_1) | instskip(SKIP_2) | instid1(VALU_DEP_1)
	v_add_f32_e32 v23, v17, v188
	scratch_load_b128 v[17:20], off, off offset:432
	v_dual_add_f32 v22, v22, v187 :: v_dual_add_f32 v23, v23, v190
	v_dual_add_f32 v22, v22, v189 :: v_dual_add_f32 v23, v23, v192
	s_wait_loadcnt_dscnt 0x300
	v_mul_f32_e32 v30, v13, v6
	v_dual_mul_f32 v6, v14, v6 :: v_dual_mul_f32 v31, v15, v8
	v_mul_f32_e32 v8, v16, v8
	s_delay_alu instid0(VALU_DEP_3) | instskip(NEXT) | instid1(VALU_DEP_3)
	v_fmac_f32_e32 v30, v14, v5
	v_fma_f32 v144, v13, v5, -v6
	v_dual_add_f32 v13, v22, v191 :: v_dual_add_f32 v22, v23, v194
	v_fmac_f32_e32 v31, v16, v7
	v_fma_f32 v145, v15, v7, -v8
	ds_load_b128 v[5:8], v21 offset:848
	v_dual_add_f32 v23, v13, v193 :: v_dual_add_f32 v146, v22, v196
	ds_load_b128 v[13:16], v21 offset:864
	v_dual_add_f32 v147, v23, v195 :: v_dual_add_f32 v146, v146, v198
	ds_load_b128 v[21:24], v21 offset:880
	v_dual_add_f32 v147, v147, v197 :: v_dual_add_f32 v146, v146, v200
	s_delay_alu instid0(VALU_DEP_1) | instskip(SKIP_1) | instid1(VALU_DEP_1)
	v_dual_add_f32 v147, v147, v199 :: v_dual_add_f32 v28, v146, v28
	s_wait_loadcnt_dscnt 0x202
	v_dual_mul_f32 v150, v5, v2 :: v_dual_add_f32 v25, v147, v25
	s_delay_alu instid0(VALU_DEP_2) | instskip(SKIP_2) | instid1(VALU_DEP_4)
	v_add_f32_e32 v28, v28, v29
	v_mul_f32_e32 v2, v6, v2
	v_mul_f32_e32 v146, v7, v4
	v_dual_mul_f32 v4, v8, v4 :: v_dual_add_f32 v25, v25, v26
	s_delay_alu instid0(VALU_DEP_4) | instskip(NEXT) | instid1(VALU_DEP_4)
	v_add_f32_e32 v28, v28, v144
	v_fma_f32 v2, v5, v1, -v2
	s_wait_loadcnt_dscnt 0x101
	v_dual_fmac_f32 v150, v6, v1 :: v_dual_mul_f32 v147, v13, v10
	v_add_f32_e32 v25, v25, v30
	v_dual_add_f32 v1, v28, v145 :: v_dual_mul_f32 v6, v14, v10
	v_fmac_f32_e32 v146, v8, v3
	v_fma_f32 v3, v7, v3, -v4
	s_delay_alu instid0(VALU_DEP_4) | instskip(NEXT) | instid1(VALU_DEP_4)
	v_add_f32_e32 v5, v25, v31
	v_add_f32_e32 v1, v1, v2
	v_mul_f32_e32 v151, v15, v12
	v_dual_mul_f32 v4, v16, v12 :: v_dual_fmac_f32 v147, v14, v9
	s_delay_alu instid0(VALU_DEP_4)
	v_add_f32_e32 v2, v5, v150
	v_fma_f32 v5, v13, v9, -v6
	v_add_f32_e32 v1, v1, v3
	s_wait_loadcnt_dscnt 0x0
	v_mul_f32_e32 v26, v21, v18
	v_mul_f32_e32 v3, v22, v18
	v_dual_add_f32 v2, v2, v146 :: v_dual_fmac_f32 v151, v16, v11
	v_fma_f32 v4, v15, v11, -v4
	v_add_f32_e32 v1, v1, v5
	s_delay_alu instid0(VALU_DEP_3) | instskip(SKIP_2) | instid1(VALU_DEP_3)
	v_dual_mul_f32 v29, v23, v20 :: v_dual_add_f32 v2, v2, v147
	v_dual_mul_f32 v5, v24, v20 :: v_dual_fmac_f32 v26, v22, v17
	v_fma_f32 v3, v21, v17, -v3
	v_dual_add_f32 v1, v1, v4 :: v_dual_add_f32 v2, v2, v151
	s_delay_alu instid0(VALU_DEP_4) | instskip(NEXT) | instid1(VALU_DEP_4)
	v_fmac_f32_e32 v29, v24, v19
	v_fma_f32 v4, v23, v19, -v5
	s_delay_alu instid0(VALU_DEP_3) | instskip(NEXT) | instid1(VALU_DEP_1)
	v_dual_add_f32 v1, v1, v3 :: v_dual_add_f32 v2, v2, v26
	v_dual_add_f32 v1, v1, v4 :: v_dual_add_f32 v2, v2, v29
	s_delay_alu instid0(VALU_DEP_1)
	v_dual_sub_f32 v1, v148, v1 :: v_dual_sub_f32 v2, v149, v2
	scratch_store_b64 off, v[1:2], off offset:72
	v_cmpx_lt_u32_e32 8, v0
	s_cbranch_execz .LBB55_333
; %bb.332:
	scratch_load_b64 v[1:2], off, off offset:64
	v_mov_b32_e32 v3, 0
	s_delay_alu instid0(VALU_DEP_1)
	v_mov_b32_e32 v4, v3
	scratch_store_b64 off, v[3:4], off offset:64
	s_wait_loadcnt 0x0
	ds_store_b64 v27, v[1:2]
.LBB55_333:
	s_wait_alu 0xfffe
	s_or_b32 exec_lo, exec_lo, s0
	s_wait_storecnt_dscnt 0x0
	s_barrier_signal -1
	s_barrier_wait -1
	global_inv scope:SCOPE_SE
	s_clause 0x4
	scratch_load_b128 v[5:8], off, off offset:72
	scratch_load_b128 v[1:4], off, off offset:88
	;; [unrolled: 1-line block ×5, first 2 shown]
	v_mov_b32_e32 v21, 0
	ds_load_2addr_b64 v[22:25], v21 offset0:65 offset1:66
	ds_load_2addr_b64 v[28:31], v21 offset0:67 offset1:68
	;; [unrolled: 1-line block ×3, first 2 shown]
	scratch_load_b64 v[148:149], off, off offset:64
	s_mov_b32 s0, exec_lo
	s_wait_loadcnt_dscnt 0x502
	v_dual_mul_f32 v150, v22, v6 :: v_dual_mul_f32 v151, v24, v8
	v_mul_f32_e32 v26, v23, v6
	v_mul_f32_e32 v6, v25, v8
	s_wait_loadcnt_dscnt 0x300
	v_mul_f32_e32 v152, v146, v12
	v_dual_fmac_f32 v150, v23, v5 :: v_dual_fmac_f32 v151, v25, v7
	v_mul_f32_e32 v25, v30, v4
	v_fma_f32 v22, v22, v5, -v26
	v_mul_f32_e32 v26, v144, v10
	v_mul_f32_e32 v4, v31, v4
	s_delay_alu instid0(VALU_DEP_4)
	v_dual_mul_f32 v10, v145, v10 :: v_dual_fmac_f32 v25, v31, v3
	v_fma_f32 v23, v24, v7, -v6
	ds_load_2addr_b64 v[5:8], v21 offset0:71 offset1:72
	v_mul_f32_e32 v24, v28, v2
	v_mul_f32_e32 v12, v147, v12
	;; [unrolled: 1-line block ×3, first 2 shown]
	v_fmac_f32_e32 v26, v145, v9
	v_fmac_f32_e32 v152, v147, v11
	v_fmac_f32_e32 v24, v29, v1
	v_fma_f32 v29, v30, v3, -v4
	v_fma_f32 v30, v144, v9, -v10
	v_fma_f32 v31, v146, v11, -v12
	ds_load_2addr_b64 v[9:12], v21 offset0:73 offset1:74
	s_wait_loadcnt_dscnt 0x201
	v_dual_mul_f32 v145, v7, v16 :: v_dual_mul_f32 v144, v5, v14
	v_mul_f32_e32 v14, v6, v14
	v_mul_f32_e32 v16, v8, v16
	s_delay_alu instid0(VALU_DEP_3)
	v_fmac_f32_e32 v145, v8, v15
	v_fma_f32 v28, v28, v1, -v2
	scratch_load_b128 v[1:4], off, off offset:152
	v_fmac_f32_e32 v144, v6, v13
	v_fma_f32 v13, v5, v13, -v14
	v_fma_f32 v14, v7, v15, -v16
	s_wait_loadcnt_dscnt 0x200
	v_mul_f32_e32 v15, v9, v18
	v_mul_f32_e32 v16, v10, v18
	;; [unrolled: 1-line block ×4, first 2 shown]
	ds_load_2addr_b64 v[5:8], v21 offset0:75 offset1:76
	v_fmac_f32_e32 v15, v10, v17
	v_fma_f32 v16, v9, v17, -v16
	v_fmac_f32_e32 v18, v12, v19
	v_fma_f32 v17, v11, v19, -v20
	scratch_load_b128 v[9:12], off, off offset:168
	s_wait_loadcnt_dscnt 0x100
	v_mul_f32_e32 v19, v5, v2
	v_mul_f32_e32 v2, v6, v2
	;; [unrolled: 1-line block ×3, first 2 shown]
	s_delay_alu instid0(VALU_DEP_3) | instskip(NEXT) | instid1(VALU_DEP_3)
	v_dual_mul_f32 v4, v8, v4 :: v_dual_fmac_f32 v19, v6, v1
	v_fma_f32 v146, v5, v1, -v2
	s_delay_alu instid0(VALU_DEP_3) | instskip(NEXT) | instid1(VALU_DEP_3)
	v_fmac_f32_e32 v20, v8, v3
	v_fma_f32 v147, v7, v3, -v4
	ds_load_2addr_b64 v[1:4], v21 offset0:77 offset1:78
	ds_load_2addr_b64 v[5:8], v21 offset0:79 offset1:80
	s_wait_loadcnt_dscnt 0x1
	v_mul_f32_e32 v153, v1, v10
	v_mul_f32_e32 v10, v2, v10
	s_delay_alu instid0(VALU_DEP_2) | instskip(NEXT) | instid1(VALU_DEP_2)
	v_dual_mul_f32 v154, v3, v12 :: v_dual_fmac_f32 v153, v2, v9
	v_fma_f32 v155, v1, v9, -v10
	v_mul_f32_e32 v1, v4, v12
	s_delay_alu instid0(VALU_DEP_3) | instskip(NEXT) | instid1(VALU_DEP_2)
	v_fmac_f32_e32 v154, v4, v11
	v_fma_f32 v156, v3, v11, -v1
	s_clause 0x1
	scratch_load_b128 v[1:4], off, off offset:184
	scratch_load_b128 v[9:12], off, off offset:200
	s_wait_loadcnt_dscnt 0x100
	v_mul_f32_e32 v157, v5, v2
	v_dual_mul_f32 v2, v6, v2 :: v_dual_mul_f32 v159, v7, v4
	s_delay_alu instid0(VALU_DEP_2) | instskip(NEXT) | instid1(VALU_DEP_2)
	v_fmac_f32_e32 v157, v6, v1
	v_fma_f32 v158, v5, v1, -v2
	v_mul_f32_e32 v1, v8, v4
	s_delay_alu instid0(VALU_DEP_4) | instskip(NEXT) | instid1(VALU_DEP_2)
	v_fmac_f32_e32 v159, v8, v3
	v_fma_f32 v160, v7, v3, -v1
	ds_load_2addr_b64 v[1:4], v21 offset0:81 offset1:82
	ds_load_2addr_b64 v[5:8], v21 offset0:83 offset1:84
	s_wait_loadcnt_dscnt 0x1
	v_mul_f32_e32 v161, v1, v10
	v_mul_f32_e32 v163, v3, v12
	s_delay_alu instid0(VALU_DEP_2) | instskip(NEXT) | instid1(VALU_DEP_2)
	v_fmac_f32_e32 v161, v2, v9
	v_dual_mul_f32 v2, v2, v10 :: v_dual_fmac_f32 v163, v4, v11
	s_delay_alu instid0(VALU_DEP_1) | instskip(SKIP_1) | instid1(VALU_DEP_1)
	v_fma_f32 v162, v1, v9, -v2
	v_mul_f32_e32 v1, v4, v12
	v_fma_f32 v164, v3, v11, -v1
	s_clause 0x1
	scratch_load_b128 v[1:4], off, off offset:216
	scratch_load_b128 v[9:12], off, off offset:232
	s_wait_loadcnt_dscnt 0x100
	v_mul_f32_e32 v165, v5, v2
	v_dual_mul_f32 v2, v6, v2 :: v_dual_mul_f32 v167, v7, v4
	s_delay_alu instid0(VALU_DEP_2) | instskip(NEXT) | instid1(VALU_DEP_2)
	v_fmac_f32_e32 v165, v6, v1
	v_fma_f32 v166, v5, v1, -v2
	v_mul_f32_e32 v1, v8, v4
	s_delay_alu instid0(VALU_DEP_4) | instskip(NEXT) | instid1(VALU_DEP_2)
	v_fmac_f32_e32 v167, v8, v3
	v_fma_f32 v168, v7, v3, -v1
	ds_load_2addr_b64 v[1:4], v21 offset0:85 offset1:86
	ds_load_2addr_b64 v[5:8], v21 offset0:87 offset1:88
	s_wait_loadcnt_dscnt 0x1
	v_mul_f32_e32 v169, v1, v10
	v_mul_f32_e32 v171, v3, v12
	s_delay_alu instid0(VALU_DEP_2) | instskip(NEXT) | instid1(VALU_DEP_2)
	v_fmac_f32_e32 v169, v2, v9
	v_dual_mul_f32 v2, v2, v10 :: v_dual_fmac_f32 v171, v4, v11
	s_delay_alu instid0(VALU_DEP_1) | instskip(SKIP_1) | instid1(VALU_DEP_1)
	v_fma_f32 v170, v1, v9, -v2
	v_mul_f32_e32 v1, v4, v12
	v_fma_f32 v172, v3, v11, -v1
	s_clause 0x1
	scratch_load_b128 v[1:4], off, off offset:248
	scratch_load_b128 v[9:12], off, off offset:264
	s_wait_loadcnt_dscnt 0x100
	v_mul_f32_e32 v173, v5, v2
	v_dual_mul_f32 v2, v6, v2 :: v_dual_mul_f32 v175, v7, v4
	s_delay_alu instid0(VALU_DEP_1) | instskip(NEXT) | instid1(VALU_DEP_3)
	v_fma_f32 v174, v5, v1, -v2
	v_fmac_f32_e32 v173, v6, v1
	v_mul_f32_e32 v1, v8, v4
	s_delay_alu instid0(VALU_DEP_4) | instskip(NEXT) | instid1(VALU_DEP_2)
	v_fmac_f32_e32 v175, v8, v3
	v_fma_f32 v176, v7, v3, -v1
	ds_load_2addr_b64 v[1:4], v21 offset0:89 offset1:90
	ds_load_2addr_b64 v[5:8], v21 offset0:91 offset1:92
	s_wait_loadcnt_dscnt 0x1
	v_mul_f32_e32 v177, v1, v10
	v_mul_f32_e32 v179, v3, v12
	s_delay_alu instid0(VALU_DEP_1) | instskip(NEXT) | instid1(VALU_DEP_3)
	v_fmac_f32_e32 v179, v4, v11
	v_fmac_f32_e32 v177, v2, v9
	v_mul_f32_e32 v2, v2, v10
	s_delay_alu instid0(VALU_DEP_1) | instskip(SKIP_1) | instid1(VALU_DEP_1)
	v_fma_f32 v178, v1, v9, -v2
	v_mul_f32_e32 v1, v4, v12
	v_fma_f32 v180, v3, v11, -v1
	s_clause 0x1
	scratch_load_b128 v[1:4], off, off offset:280
	scratch_load_b128 v[9:12], off, off offset:296
	s_wait_loadcnt_dscnt 0x100
	v_mul_f32_e32 v181, v5, v2
	v_dual_mul_f32 v2, v6, v2 :: v_dual_mul_f32 v183, v7, v4
	s_delay_alu instid0(VALU_DEP_2) | instskip(NEXT) | instid1(VALU_DEP_2)
	v_fmac_f32_e32 v181, v6, v1
	v_fma_f32 v182, v5, v1, -v2
	v_mul_f32_e32 v1, v8, v4
	s_delay_alu instid0(VALU_DEP_4) | instskip(NEXT) | instid1(VALU_DEP_2)
	v_fmac_f32_e32 v183, v8, v3
	v_fma_f32 v184, v7, v3, -v1
	ds_load_2addr_b64 v[1:4], v21 offset0:93 offset1:94
	ds_load_2addr_b64 v[5:8], v21 offset0:95 offset1:96
	s_wait_loadcnt_dscnt 0x1
	v_mul_f32_e32 v185, v1, v10
	v_mul_f32_e32 v187, v3, v12
	s_delay_alu instid0(VALU_DEP_2) | instskip(NEXT) | instid1(VALU_DEP_2)
	v_fmac_f32_e32 v185, v2, v9
	v_dual_mul_f32 v2, v2, v10 :: v_dual_fmac_f32 v187, v4, v11
	s_delay_alu instid0(VALU_DEP_1) | instskip(SKIP_1) | instid1(VALU_DEP_1)
	v_fma_f32 v186, v1, v9, -v2
	v_mul_f32_e32 v1, v4, v12
	v_fma_f32 v188, v3, v11, -v1
	s_clause 0x1
	scratch_load_b128 v[1:4], off, off offset:312
	scratch_load_b128 v[9:12], off, off offset:328
	s_wait_loadcnt_dscnt 0x100
	v_mul_f32_e32 v189, v5, v2
	v_dual_mul_f32 v2, v6, v2 :: v_dual_mul_f32 v191, v7, v4
	s_delay_alu instid0(VALU_DEP_2) | instskip(NEXT) | instid1(VALU_DEP_2)
	v_fmac_f32_e32 v189, v6, v1
	v_fma_f32 v190, v5, v1, -v2
	v_mul_f32_e32 v1, v8, v4
	s_delay_alu instid0(VALU_DEP_4) | instskip(NEXT) | instid1(VALU_DEP_2)
	v_fmac_f32_e32 v191, v8, v3
	v_fma_f32 v192, v7, v3, -v1
	ds_load_2addr_b64 v[1:4], v21 offset0:97 offset1:98
	ds_load_2addr_b64 v[5:8], v21 offset0:99 offset1:100
	s_wait_loadcnt_dscnt 0x1
	v_mul_f32_e32 v193, v1, v10
	v_mul_f32_e32 v195, v3, v12
	s_delay_alu instid0(VALU_DEP_2) | instskip(NEXT) | instid1(VALU_DEP_2)
	v_fmac_f32_e32 v193, v2, v9
	v_dual_mul_f32 v2, v2, v10 :: v_dual_fmac_f32 v195, v4, v11
	s_delay_alu instid0(VALU_DEP_1) | instskip(SKIP_1) | instid1(VALU_DEP_1)
	v_fma_f32 v194, v1, v9, -v2
	v_mul_f32_e32 v1, v4, v12
	v_fma_f32 v196, v3, v11, -v1
	s_clause 0x1
	scratch_load_b128 v[1:4], off, off offset:344
	scratch_load_b128 v[9:12], off, off offset:360
	s_wait_loadcnt_dscnt 0x100
	v_mul_f32_e32 v197, v5, v2
	v_mul_f32_e32 v2, v6, v2
	s_delay_alu instid0(VALU_DEP_1) | instskip(SKIP_1) | instid1(VALU_DEP_1)
	v_fma_f32 v198, v5, v1, -v2
	v_add_f32_e32 v2, 0, v150
	v_add_f32_e32 v2, v2, v151
	s_delay_alu instid0(VALU_DEP_1) | instskip(NEXT) | instid1(VALU_DEP_1)
	v_add_f32_e32 v2, v2, v24
	v_add_f32_e32 v2, v2, v25
	s_delay_alu instid0(VALU_DEP_1) | instskip(NEXT) | instid1(VALU_DEP_1)
	;; [unrolled: 3-line block ×8, first 2 shown]
	v_add_f32_e32 v2, v2, v161
	v_add_f32_e32 v2, v2, v163
	s_delay_alu instid0(VALU_DEP_1) | instskip(SKIP_2) | instid1(VALU_DEP_3)
	v_add_f32_e32 v2, v2, v165
	v_fmac_f32_e32 v197, v6, v1
	v_mul_f32_e32 v1, v8, v4
	v_dual_mul_f32 v199, v7, v4 :: v_dual_add_f32 v2, v2, v167
	s_delay_alu instid0(VALU_DEP_2) | instskip(SKIP_1) | instid1(VALU_DEP_3)
	v_fma_f32 v200, v7, v3, -v1
	v_add_f32_e32 v1, 0, v22
	v_dual_fmac_f32 v199, v8, v3 :: v_dual_add_f32 v2, v2, v169
	s_delay_alu instid0(VALU_DEP_2) | instskip(NEXT) | instid1(VALU_DEP_2)
	v_add_f32_e32 v1, v1, v23
	v_add_f32_e32 v5, v2, v171
	s_delay_alu instid0(VALU_DEP_2) | instskip(NEXT) | instid1(VALU_DEP_1)
	v_add_f32_e32 v1, v1, v28
	v_add_f32_e32 v1, v1, v29
	scratch_load_b64 v[28:29], off, off offset:440
	v_add_f32_e32 v1, v1, v30
	s_delay_alu instid0(VALU_DEP_1) | instskip(NEXT) | instid1(VALU_DEP_1)
	v_add_f32_e32 v1, v1, v31
	v_add_f32_e32 v1, v1, v13
	s_delay_alu instid0(VALU_DEP_1) | instskip(NEXT) | instid1(VALU_DEP_1)
	v_add_f32_e32 v1, v1, v14
	;; [unrolled: 3-line block ×9, first 2 shown]
	v_add_f32_e32 v6, v1, v174
	scratch_load_b128 v[1:4], off, off offset:376
	v_dual_add_f32 v13, v5, v173 :: v_dual_add_f32 v14, v6, v176
	ds_load_2addr_b64 v[5:8], v21 offset0:101 offset1:102
	v_dual_add_f32 v13, v13, v175 :: v_dual_add_f32 v14, v14, v178
	s_delay_alu instid0(VALU_DEP_1) | instskip(NEXT) | instid1(VALU_DEP_1)
	v_add_f32_e32 v13, v13, v177
	v_dual_add_f32 v17, v14, v180 :: v_dual_add_f32 v18, v13, v179
	ds_load_2addr_b64 v[13:16], v21 offset0:103 offset1:104
	s_wait_loadcnt_dscnt 0x201
	v_mul_f32_e32 v26, v5, v10
	v_add_f32_e32 v18, v18, v181
	v_mul_f32_e32 v144, v7, v12
	v_mul_f32_e32 v10, v6, v10
	;; [unrolled: 1-line block ×3, first 2 shown]
	v_fmac_f32_e32 v26, v6, v9
	v_add_f32_e32 v18, v18, v183
	v_fmac_f32_e32 v144, v8, v11
	v_fma_f32 v145, v5, v9, -v10
	v_fma_f32 v146, v7, v11, -v12
	scratch_load_b128 v[5:8], off, off offset:392
	v_add_f32_e32 v22, v18, v185
	scratch_load_b128 v[9:12], off, off offset:408
	v_add_f32_e32 v22, v22, v187
	s_delay_alu instid0(VALU_DEP_1) | instskip(SKIP_1) | instid1(VALU_DEP_1)
	v_add_f32_e32 v22, v22, v189
	s_wait_loadcnt_dscnt 0x200
	v_dual_add_f32 v22, v22, v191 :: v_dual_mul_f32 v147, v13, v2
	v_mul_f32_e32 v2, v14, v2
	v_mul_f32_e32 v150, v15, v4
	s_delay_alu instid0(VALU_DEP_3) | instskip(NEXT) | instid1(VALU_DEP_3)
	v_dual_mul_f32 v4, v16, v4 :: v_dual_fmac_f32 v147, v14, v1
	v_fma_f32 v151, v13, v1, -v2
	s_delay_alu instid0(VALU_DEP_3) | instskip(NEXT) | instid1(VALU_DEP_3)
	v_dual_add_f32 v13, v22, v193 :: v_dual_fmac_f32 v150, v16, v3
	v_fma_f32 v152, v15, v3, -v4
	ds_load_2addr_b64 v[1:4], v21 offset0:105 offset1:106
	v_add_f32_e32 v22, v13, v195
	s_delay_alu instid0(VALU_DEP_1) | instskip(NEXT) | instid1(VALU_DEP_1)
	v_add_f32_e32 v31, v22, v197
	v_add_f32_e32 v154, v31, v199
	s_delay_alu instid0(VALU_DEP_1) | instskip(NEXT) | instid1(VALU_DEP_1)
	v_add_f32_e32 v26, v154, v26
	;; [unrolled: 3-line block ×3, first 2 shown]
	v_add_f32_e32 v26, v26, v150
	v_add_f32_e32 v17, v17, v182
	s_delay_alu instid0(VALU_DEP_1) | instskip(NEXT) | instid1(VALU_DEP_1)
	v_add_f32_e32 v17, v17, v184
	v_add_f32_e32 v17, v17, v186
	s_delay_alu instid0(VALU_DEP_1) | instskip(SKIP_2) | instid1(VALU_DEP_1)
	v_add_f32_e32 v23, v17, v188
	scratch_load_b128 v[17:20], off, off offset:424
	v_add_f32_e32 v23, v23, v190
	v_add_f32_e32 v23, v23, v192
	s_delay_alu instid0(VALU_DEP_1) | instskip(NEXT) | instid1(VALU_DEP_1)
	v_add_f32_e32 v23, v23, v194
	v_add_f32_e32 v14, v23, v196
	ds_load_2addr_b64 v[22:25], v21 offset0:109 offset1:110
	v_add_f32_e32 v30, v14, v198
	ds_load_2addr_b64 v[13:16], v21 offset0:107 offset1:108
	s_wait_loadcnt_dscnt 0x202
	v_mul_f32_e32 v144, v3, v8
	v_mul_f32_e32 v8, v4, v8
	v_add_f32_e32 v153, v30, v200
	ds_load_b64 v[30:31], v21 offset:888
	s_wait_loadcnt_dscnt 0x101
	v_dual_fmac_f32 v144, v4, v7 :: v_dual_mul_f32 v147, v15, v12
	s_wait_dscnt 0x0
	s_delay_alu instid0(VALU_DEP_1) | instskip(NEXT) | instid1(VALU_DEP_1)
	v_dual_mul_f32 v150, v30, v29 :: v_dual_fmac_f32 v147, v16, v11
	v_dual_fmac_f32 v150, v31, v28 :: v_dual_add_f32 v145, v153, v145
	v_mul_f32_e32 v153, v1, v6
	v_mul_f32_e32 v6, v2, v6
	s_delay_alu instid0(VALU_DEP_3) | instskip(NEXT) | instid1(VALU_DEP_3)
	v_add_f32_e32 v145, v145, v146
	v_fmac_f32_e32 v153, v2, v5
	s_delay_alu instid0(VALU_DEP_3)
	v_fma_f32 v1, v1, v5, -v6
	v_mul_f32_e32 v146, v13, v10
	v_fma_f32 v2, v3, v7, -v8
	v_add_f32_e32 v145, v145, v151
	v_mul_f32_e32 v3, v14, v10
	v_dual_add_f32 v4, v26, v153 :: v_dual_mul_f32 v5, v16, v12
	s_delay_alu instid0(VALU_DEP_3) | instskip(NEXT) | instid1(VALU_DEP_3)
	v_dual_fmac_f32 v146, v14, v9 :: v_dual_add_f32 v145, v145, v152
	v_fma_f32 v3, v13, v9, -v3
	s_delay_alu instid0(VALU_DEP_3) | instskip(NEXT) | instid1(VALU_DEP_3)
	v_fma_f32 v5, v15, v11, -v5
	v_add_f32_e32 v1, v145, v1
	s_delay_alu instid0(VALU_DEP_1) | instskip(NEXT) | instid1(VALU_DEP_1)
	v_dual_add_f32 v1, v1, v2 :: v_dual_add_f32 v2, v4, v144
	v_dual_add_f32 v1, v1, v3 :: v_dual_add_f32 v2, v2, v146
	s_delay_alu instid0(VALU_DEP_1)
	v_dual_add_f32 v1, v1, v5 :: v_dual_add_f32 v2, v2, v147
	v_mul_f32_e32 v5, v31, v29
	s_wait_loadcnt 0x0
	v_mul_f32_e32 v151, v22, v18
	v_mul_f32_e32 v4, v23, v18
	;; [unrolled: 1-line block ×4, first 2 shown]
	s_delay_alu instid0(VALU_DEP_4) | instskip(NEXT) | instid1(VALU_DEP_4)
	v_fmac_f32_e32 v151, v23, v17
	v_fma_f32 v4, v22, v17, -v4
	s_delay_alu instid0(VALU_DEP_4) | instskip(NEXT) | instid1(VALU_DEP_4)
	v_fmac_f32_e32 v152, v25, v19
	v_fma_f32 v3, v24, v19, -v3
	s_delay_alu instid0(VALU_DEP_3) | instskip(SKIP_1) | instid1(VALU_DEP_2)
	v_dual_add_f32 v2, v2, v151 :: v_dual_add_f32 v1, v1, v4
	v_fma_f32 v4, v30, v28, -v5
	v_dual_add_f32 v2, v2, v152 :: v_dual_add_f32 v1, v1, v3
	s_delay_alu instid0(VALU_DEP_1) | instskip(NEXT) | instid1(VALU_DEP_1)
	v_dual_add_f32 v2, v2, v150 :: v_dual_add_f32 v1, v1, v4
	v_dual_sub_f32 v2, v149, v2 :: v_dual_sub_f32 v1, v148, v1
	scratch_store_b64 off, v[1:2], off offset:64
	v_cmpx_lt_u32_e32 7, v0
	s_cbranch_execz .LBB55_335
; %bb.334:
	scratch_load_b64 v[1:2], off, off offset:56
	v_mov_b32_e32 v22, v21
	scratch_store_b64 off, v[21:22], off offset:56
	s_wait_loadcnt 0x0
	ds_store_b64 v27, v[1:2]
.LBB55_335:
	s_wait_alu 0xfffe
	s_or_b32 exec_lo, exec_lo, s0
	s_wait_storecnt_dscnt 0x0
	s_barrier_signal -1
	s_barrier_wait -1
	global_inv scope:SCOPE_SE
	s_clause 0x4
	scratch_load_b128 v[5:8], off, off offset:64
	scratch_load_b128 v[1:4], off, off offset:80
	;; [unrolled: 1-line block ×5, first 2 shown]
	ds_load_b128 v[22:25], v21 offset:512
	ds_load_b128 v[28:31], v21 offset:528
	;; [unrolled: 1-line block ×3, first 2 shown]
	scratch_load_b64 v[148:149], off, off offset:56
	s_mov_b32 s0, exec_lo
	s_wait_loadcnt_dscnt 0x502
	v_dual_mul_f32 v26, v23, v6 :: v_dual_mul_f32 v151, v24, v8
	v_mul_f32_e32 v150, v22, v6
	v_mul_f32_e32 v6, v25, v8
	s_wait_loadcnt_dscnt 0x300
	v_mul_f32_e32 v152, v146, v12
	v_fma_f32 v22, v22, v5, -v26
	v_dual_fmac_f32 v151, v25, v7 :: v_dual_fmac_f32 v150, v23, v5
	v_mul_f32_e32 v25, v30, v4
	v_mul_f32_e32 v4, v31, v4
	;; [unrolled: 1-line block ×5, first 2 shown]
	v_fmac_f32_e32 v25, v31, v3
	v_fma_f32 v23, v24, v7, -v6
	ds_load_b128 v[5:8], v21 offset:560
	v_mul_f32_e32 v24, v28, v2
	v_mul_f32_e32 v2, v29, v2
	v_fmac_f32_e32 v26, v145, v9
	v_fmac_f32_e32 v152, v147, v11
	v_fma_f32 v31, v146, v11, -v12
	v_fmac_f32_e32 v24, v29, v1
	v_fma_f32 v29, v30, v3, -v4
	v_fma_f32 v30, v144, v9, -v10
	ds_load_b128 v[9:12], v21 offset:576
	s_wait_loadcnt_dscnt 0x201
	v_dual_mul_f32 v145, v7, v16 :: v_dual_mul_f32 v144, v5, v14
	v_mul_f32_e32 v14, v6, v14
	v_mul_f32_e32 v16, v8, v16
	s_delay_alu instid0(VALU_DEP_3)
	v_fmac_f32_e32 v145, v8, v15
	v_fma_f32 v28, v28, v1, -v2
	scratch_load_b128 v[1:4], off, off offset:144
	v_fmac_f32_e32 v144, v6, v13
	v_fma_f32 v13, v5, v13, -v14
	v_fma_f32 v14, v7, v15, -v16
	s_wait_loadcnt_dscnt 0x200
	v_mul_f32_e32 v15, v9, v18
	v_mul_f32_e32 v16, v10, v18
	;; [unrolled: 1-line block ×4, first 2 shown]
	ds_load_b128 v[5:8], v21 offset:592
	v_fmac_f32_e32 v15, v10, v17
	v_fma_f32 v16, v9, v17, -v16
	v_fmac_f32_e32 v18, v12, v19
	v_fma_f32 v17, v11, v19, -v20
	scratch_load_b128 v[9:12], off, off offset:160
	s_wait_loadcnt_dscnt 0x100
	v_mul_f32_e32 v19, v5, v2
	v_mul_f32_e32 v2, v6, v2
	;; [unrolled: 1-line block ×3, first 2 shown]
	s_delay_alu instid0(VALU_DEP_3) | instskip(NEXT) | instid1(VALU_DEP_3)
	v_dual_mul_f32 v4, v8, v4 :: v_dual_fmac_f32 v19, v6, v1
	v_fma_f32 v146, v5, v1, -v2
	s_delay_alu instid0(VALU_DEP_3) | instskip(NEXT) | instid1(VALU_DEP_3)
	v_fmac_f32_e32 v20, v8, v3
	v_fma_f32 v147, v7, v3, -v4
	ds_load_b128 v[1:4], v21 offset:608
	ds_load_b128 v[5:8], v21 offset:624
	s_wait_loadcnt_dscnt 0x1
	v_mul_f32_e32 v153, v1, v10
	v_mul_f32_e32 v10, v2, v10
	s_delay_alu instid0(VALU_DEP_2) | instskip(NEXT) | instid1(VALU_DEP_2)
	v_dual_mul_f32 v154, v3, v12 :: v_dual_fmac_f32 v153, v2, v9
	v_fma_f32 v155, v1, v9, -v10
	v_mul_f32_e32 v1, v4, v12
	s_delay_alu instid0(VALU_DEP_3) | instskip(NEXT) | instid1(VALU_DEP_2)
	v_fmac_f32_e32 v154, v4, v11
	v_fma_f32 v156, v3, v11, -v1
	s_clause 0x1
	scratch_load_b128 v[1:4], off, off offset:176
	scratch_load_b128 v[9:12], off, off offset:192
	s_wait_loadcnt_dscnt 0x100
	v_mul_f32_e32 v157, v5, v2
	v_dual_mul_f32 v2, v6, v2 :: v_dual_mul_f32 v159, v7, v4
	s_delay_alu instid0(VALU_DEP_2) | instskip(NEXT) | instid1(VALU_DEP_2)
	v_fmac_f32_e32 v157, v6, v1
	v_fma_f32 v158, v5, v1, -v2
	v_mul_f32_e32 v1, v8, v4
	s_delay_alu instid0(VALU_DEP_4) | instskip(NEXT) | instid1(VALU_DEP_2)
	v_fmac_f32_e32 v159, v8, v3
	v_fma_f32 v160, v7, v3, -v1
	ds_load_b128 v[1:4], v21 offset:640
	ds_load_b128 v[5:8], v21 offset:656
	s_wait_loadcnt_dscnt 0x1
	v_mul_f32_e32 v161, v1, v10
	v_mul_f32_e32 v163, v3, v12
	s_delay_alu instid0(VALU_DEP_2) | instskip(NEXT) | instid1(VALU_DEP_2)
	v_fmac_f32_e32 v161, v2, v9
	v_dual_mul_f32 v2, v2, v10 :: v_dual_fmac_f32 v163, v4, v11
	s_delay_alu instid0(VALU_DEP_1) | instskip(SKIP_1) | instid1(VALU_DEP_1)
	v_fma_f32 v162, v1, v9, -v2
	v_mul_f32_e32 v1, v4, v12
	v_fma_f32 v164, v3, v11, -v1
	s_clause 0x1
	scratch_load_b128 v[1:4], off, off offset:208
	scratch_load_b128 v[9:12], off, off offset:224
	s_wait_loadcnt_dscnt 0x100
	v_mul_f32_e32 v165, v5, v2
	v_dual_mul_f32 v2, v6, v2 :: v_dual_mul_f32 v167, v7, v4
	s_delay_alu instid0(VALU_DEP_2) | instskip(NEXT) | instid1(VALU_DEP_2)
	v_fmac_f32_e32 v165, v6, v1
	v_fma_f32 v166, v5, v1, -v2
	v_mul_f32_e32 v1, v8, v4
	s_delay_alu instid0(VALU_DEP_4) | instskip(NEXT) | instid1(VALU_DEP_2)
	v_fmac_f32_e32 v167, v8, v3
	v_fma_f32 v168, v7, v3, -v1
	ds_load_b128 v[1:4], v21 offset:672
	ds_load_b128 v[5:8], v21 offset:688
	s_wait_loadcnt_dscnt 0x1
	v_mul_f32_e32 v169, v1, v10
	v_mul_f32_e32 v171, v3, v12
	s_delay_alu instid0(VALU_DEP_2) | instskip(NEXT) | instid1(VALU_DEP_2)
	v_fmac_f32_e32 v169, v2, v9
	v_dual_mul_f32 v2, v2, v10 :: v_dual_fmac_f32 v171, v4, v11
	s_delay_alu instid0(VALU_DEP_1) | instskip(SKIP_1) | instid1(VALU_DEP_1)
	v_fma_f32 v170, v1, v9, -v2
	v_mul_f32_e32 v1, v4, v12
	;; [unrolled: 25-line block ×3, first 2 shown]
	v_fma_f32 v180, v3, v11, -v1
	s_clause 0x1
	scratch_load_b128 v[1:4], off, off offset:272
	scratch_load_b128 v[9:12], off, off offset:288
	s_wait_loadcnt_dscnt 0x100
	v_mul_f32_e32 v181, v5, v2
	v_dual_mul_f32 v2, v6, v2 :: v_dual_mul_f32 v183, v7, v4
	s_delay_alu instid0(VALU_DEP_1) | instskip(NEXT) | instid1(VALU_DEP_2)
	v_fma_f32 v182, v5, v1, -v2
	v_fmac_f32_e32 v183, v8, v3
	s_delay_alu instid0(VALU_DEP_4) | instskip(SKIP_1) | instid1(VALU_DEP_1)
	v_fmac_f32_e32 v181, v6, v1
	v_mul_f32_e32 v1, v8, v4
	v_fma_f32 v184, v7, v3, -v1
	ds_load_b128 v[1:4], v21 offset:736
	ds_load_b128 v[5:8], v21 offset:752
	s_wait_loadcnt_dscnt 0x1
	v_mul_f32_e32 v185, v1, v10
	v_mul_f32_e32 v187, v3, v12
	s_delay_alu instid0(VALU_DEP_2) | instskip(NEXT) | instid1(VALU_DEP_2)
	v_fmac_f32_e32 v185, v2, v9
	v_dual_mul_f32 v2, v2, v10 :: v_dual_fmac_f32 v187, v4, v11
	s_delay_alu instid0(VALU_DEP_1) | instskip(SKIP_1) | instid1(VALU_DEP_1)
	v_fma_f32 v186, v1, v9, -v2
	v_mul_f32_e32 v1, v4, v12
	v_fma_f32 v188, v3, v11, -v1
	s_clause 0x1
	scratch_load_b128 v[1:4], off, off offset:304
	scratch_load_b128 v[9:12], off, off offset:320
	s_wait_loadcnt_dscnt 0x100
	v_mul_f32_e32 v189, v5, v2
	v_dual_mul_f32 v2, v6, v2 :: v_dual_mul_f32 v191, v7, v4
	s_delay_alu instid0(VALU_DEP_2) | instskip(NEXT) | instid1(VALU_DEP_2)
	v_fmac_f32_e32 v189, v6, v1
	v_fma_f32 v190, v5, v1, -v2
	v_mul_f32_e32 v1, v8, v4
	s_delay_alu instid0(VALU_DEP_4) | instskip(NEXT) | instid1(VALU_DEP_2)
	v_fmac_f32_e32 v191, v8, v3
	v_fma_f32 v192, v7, v3, -v1
	ds_load_b128 v[1:4], v21 offset:768
	ds_load_b128 v[5:8], v21 offset:784
	s_wait_loadcnt_dscnt 0x1
	v_mul_f32_e32 v193, v1, v10
	v_mul_f32_e32 v195, v3, v12
	s_delay_alu instid0(VALU_DEP_2) | instskip(NEXT) | instid1(VALU_DEP_2)
	v_fmac_f32_e32 v193, v2, v9
	v_dual_mul_f32 v2, v2, v10 :: v_dual_fmac_f32 v195, v4, v11
	s_delay_alu instid0(VALU_DEP_1) | instskip(SKIP_1) | instid1(VALU_DEP_1)
	v_fma_f32 v194, v1, v9, -v2
	v_mul_f32_e32 v1, v4, v12
	v_fma_f32 v196, v3, v11, -v1
	s_clause 0x1
	scratch_load_b128 v[1:4], off, off offset:336
	scratch_load_b128 v[9:12], off, off offset:352
	s_wait_loadcnt_dscnt 0x100
	v_mul_f32_e32 v197, v5, v2
	v_dual_mul_f32 v2, v6, v2 :: v_dual_mul_f32 v199, v7, v4
	s_delay_alu instid0(VALU_DEP_2) | instskip(NEXT) | instid1(VALU_DEP_2)
	v_fmac_f32_e32 v197, v6, v1
	v_fma_f32 v198, v5, v1, -v2
	v_mul_f32_e32 v1, v8, v4
	s_delay_alu instid0(VALU_DEP_4) | instskip(NEXT) | instid1(VALU_DEP_2)
	v_fmac_f32_e32 v199, v8, v3
	v_fma_f32 v200, v7, v3, -v1
	ds_load_b128 v[1:4], v21 offset:800
	ds_load_b128 v[5:8], v21 offset:816
	s_wait_loadcnt_dscnt 0x1
	v_mul_f32_e32 v201, v1, v10
	v_mul_f32_e32 v203, v3, v12
	s_delay_alu instid0(VALU_DEP_2) | instskip(NEXT) | instid1(VALU_DEP_2)
	v_fmac_f32_e32 v201, v2, v9
	v_dual_mul_f32 v2, v2, v10 :: v_dual_fmac_f32 v203, v4, v11
	s_delay_alu instid0(VALU_DEP_1) | instskip(SKIP_1) | instid1(VALU_DEP_1)
	v_fma_f32 v202, v1, v9, -v2
	v_mul_f32_e32 v1, v4, v12
	v_fma_f32 v204, v3, v11, -v1
	s_clause 0x1
	scratch_load_b128 v[1:4], off, off offset:368
	scratch_load_b128 v[9:12], off, off offset:384
	s_wait_loadcnt_dscnt 0x100
	v_mul_f32_e32 v205, v5, v2
	v_mul_f32_e32 v2, v6, v2
	s_delay_alu instid0(VALU_DEP_2) | instskip(NEXT) | instid1(VALU_DEP_2)
	v_fmac_f32_e32 v205, v6, v1
	v_fma_f32 v206, v5, v1, -v2
	v_add_f32_e32 v2, 0, v150
	s_delay_alu instid0(VALU_DEP_1) | instskip(NEXT) | instid1(VALU_DEP_1)
	v_add_f32_e32 v2, v2, v151
	v_add_f32_e32 v2, v2, v24
	s_delay_alu instid0(VALU_DEP_1) | instskip(NEXT) | instid1(VALU_DEP_1)
	v_add_f32_e32 v2, v2, v25
	;; [unrolled: 3-line block ×3, first 2 shown]
	v_add_f32_e32 v2, v2, v144
	s_delay_alu instid0(VALU_DEP_1) | instskip(NEXT) | instid1(VALU_DEP_1)
	v_dual_mul_f32 v1, v8, v4 :: v_dual_add_f32 v2, v2, v145
	v_fma_f32 v208, v7, v3, -v1
	s_delay_alu instid0(VALU_DEP_2) | instskip(NEXT) | instid1(VALU_DEP_1)
	v_dual_add_f32 v1, 0, v22 :: v_dual_add_f32 v2, v2, v15
	v_dual_add_f32 v1, v1, v23 :: v_dual_add_f32 v2, v2, v18
	s_delay_alu instid0(VALU_DEP_1) | instskip(NEXT) | instid1(VALU_DEP_1)
	v_dual_add_f32 v1, v1, v28 :: v_dual_add_f32 v2, v2, v19
	v_dual_add_f32 v1, v1, v29 :: v_dual_add_f32 v2, v2, v20
	s_delay_alu instid0(VALU_DEP_1) | instskip(NEXT) | instid1(VALU_DEP_1)
	;; [unrolled: 3-line block ×3, first 2 shown]
	v_add_f32_e32 v1, v1, v13
	v_dual_add_f32 v2, v2, v157 :: v_dual_add_f32 v1, v1, v14
	s_delay_alu instid0(VALU_DEP_1) | instskip(NEXT) | instid1(VALU_DEP_1)
	v_dual_add_f32 v2, v2, v159 :: v_dual_add_f32 v1, v1, v16
	v_add_f32_e32 v2, v2, v161
	s_delay_alu instid0(VALU_DEP_1) | instskip(NEXT) | instid1(VALU_DEP_1)
	v_dual_add_f32 v1, v1, v17 :: v_dual_add_f32 v2, v2, v163
	v_dual_add_f32 v1, v1, v146 :: v_dual_add_f32 v2, v2, v165
	s_delay_alu instid0(VALU_DEP_1) | instskip(NEXT) | instid1(VALU_DEP_2)
	v_add_f32_e32 v1, v1, v147
	v_add_f32_e32 v2, v2, v167
	s_delay_alu instid0(VALU_DEP_1) | instskip(NEXT) | instid1(VALU_DEP_1)
	v_dual_add_f32 v1, v1, v155 :: v_dual_add_f32 v2, v2, v169
	v_dual_add_f32 v1, v1, v156 :: v_dual_add_f32 v2, v2, v171
	s_delay_alu instid0(VALU_DEP_1) | instskip(NEXT) | instid1(VALU_DEP_1)
	v_dual_add_f32 v1, v1, v158 :: v_dual_add_f32 v2, v2, v173
	v_dual_add_f32 v1, v1, v160 :: v_dual_add_f32 v2, v2, v175
	s_delay_alu instid0(VALU_DEP_1) | instskip(NEXT) | instid1(VALU_DEP_1)
	v_add_f32_e32 v1, v1, v162
	v_add_f32_e32 v1, v1, v164
	s_delay_alu instid0(VALU_DEP_1) | instskip(NEXT) | instid1(VALU_DEP_1)
	v_add_f32_e32 v1, v1, v166
	v_add_f32_e32 v1, v1, v168
	;; [unrolled: 3-line block ×5, first 2 shown]
	v_mul_f32_e32 v207, v7, v4
	v_add_f32_e32 v5, v2, v177
	s_delay_alu instid0(VALU_DEP_2) | instskip(SKIP_3) | instid1(VALU_DEP_2)
	v_dual_add_f32 v6, v6, v182 :: v_dual_fmac_f32 v207, v8, v3
	ds_load_b128 v[1:4], v21 offset:832
	v_add_f32_e32 v5, v5, v179
	v_add_f32_e32 v13, v6, v184
	;; [unrolled: 1-line block ×3, first 2 shown]
	s_delay_alu instid0(VALU_DEP_2) | instskip(NEXT) | instid1(VALU_DEP_2)
	v_add_f32_e32 v13, v13, v186
	v_add_f32_e32 v14, v5, v183
	ds_load_b128 v[5:8], v21 offset:848
	v_add_f32_e32 v13, v13, v188
	s_delay_alu instid0(VALU_DEP_1)
	v_add_f32_e32 v13, v13, v190
	s_wait_loadcnt_dscnt 0x1
	v_dual_mul_f32 v25, v1, v10 :: v_dual_mul_f32 v26, v3, v12
	v_mul_f32_e32 v10, v2, v10
	v_mul_f32_e32 v12, v4, v12
	v_add_f32_e32 v14, v14, v185
	s_delay_alu instid0(VALU_DEP_4) | instskip(NEXT) | instid1(VALU_DEP_4)
	v_dual_fmac_f32 v25, v2, v9 :: v_dual_fmac_f32 v26, v4, v11
	v_fma_f32 v28, v1, v9, -v10
	s_delay_alu instid0(VALU_DEP_4) | instskip(SKIP_4) | instid1(VALU_DEP_1)
	v_fma_f32 v29, v3, v11, -v12
	s_clause 0x1
	scratch_load_b128 v[1:4], off, off offset:400
	scratch_load_b128 v[9:12], off, off offset:416
	v_add_f32_e32 v14, v14, v187
	v_dual_add_f32 v18, v13, v192 :: v_dual_add_f32 v17, v14, v189
	scratch_load_b128 v[13:16], off, off offset:432
	v_dual_add_f32 v18, v18, v194 :: v_dual_add_f32 v17, v17, v191
	s_delay_alu instid0(VALU_DEP_1) | instskip(NEXT) | instid1(VALU_DEP_1)
	v_dual_add_f32 v18, v18, v196 :: v_dual_add_f32 v17, v17, v193
	v_dual_add_f32 v22, v18, v198 :: v_dual_add_f32 v17, v17, v195
	s_delay_alu instid0(VALU_DEP_1) | instskip(SKIP_4) | instid1(VALU_DEP_1)
	v_dual_add_f32 v30, v22, v200 :: v_dual_add_f32 v23, v17, v197
	ds_load_b128 v[17:20], v21 offset:864
	v_dual_add_f32 v30, v30, v202 :: v_dual_add_f32 v31, v23, v199
	ds_load_b128 v[21:24], v21 offset:880
	v_add_f32_e32 v30, v30, v204
	v_add_f32_e32 v30, v30, v206
	s_delay_alu instid0(VALU_DEP_1) | instskip(NEXT) | instid1(VALU_DEP_1)
	v_add_f32_e32 v30, v30, v208
	v_add_f32_e32 v28, v30, v28
	s_wait_loadcnt_dscnt 0x202
	v_dual_mul_f32 v144, v5, v2 :: v_dual_add_f32 v31, v31, v201
	s_wait_loadcnt_dscnt 0x101
	v_mul_f32_e32 v146, v17, v10
	v_dual_mul_f32 v2, v6, v2 :: v_dual_mul_f32 v145, v7, v4
	s_delay_alu instid0(VALU_DEP_3) | instskip(SKIP_1) | instid1(VALU_DEP_3)
	v_dual_mul_f32 v4, v8, v4 :: v_dual_add_f32 v31, v31, v203
	v_fmac_f32_e32 v144, v6, v1
	v_fma_f32 v2, v5, v1, -v2
	v_dual_add_f32 v1, v28, v29 :: v_dual_mul_f32 v6, v18, v10
	s_delay_alu instid0(VALU_DEP_4) | instskip(SKIP_2) | instid1(VALU_DEP_4)
	v_add_f32_e32 v31, v31, v205
	v_fmac_f32_e32 v145, v8, v3
	v_fma_f32 v3, v7, v3, -v4
	v_add_f32_e32 v1, v1, v2
	v_mul_f32_e32 v147, v19, v12
	v_dual_add_f32 v31, v31, v207 :: v_dual_mul_f32 v4, v20, v12
	s_delay_alu instid0(VALU_DEP_3) | instskip(SKIP_1) | instid1(VALU_DEP_2)
	v_dual_fmac_f32 v146, v18, v9 :: v_dual_add_f32 v1, v1, v3
	s_wait_loadcnt_dscnt 0x0
	v_dual_mul_f32 v150, v21, v14 :: v_dual_add_f32 v25, v31, v25
	v_mul_f32_e32 v3, v22, v14
	v_fmac_f32_e32 v147, v20, v11
	v_fma_f32 v4, v19, v11, -v4
	s_delay_alu instid0(VALU_DEP_4) | instskip(SKIP_2) | instid1(VALU_DEP_3)
	v_dual_mul_f32 v30, v23, v16 :: v_dual_add_f32 v5, v25, v26
	v_fmac_f32_e32 v150, v22, v13
	v_fma_f32 v3, v21, v13, -v3
	v_fmac_f32_e32 v30, v24, v15
	s_delay_alu instid0(VALU_DEP_4) | instskip(SKIP_1) | instid1(VALU_DEP_2)
	v_add_f32_e32 v2, v5, v144
	v_fma_f32 v5, v17, v9, -v6
	v_add_f32_e32 v2, v2, v145
	s_delay_alu instid0(VALU_DEP_2) | instskip(NEXT) | instid1(VALU_DEP_2)
	v_add_f32_e32 v1, v1, v5
	v_dual_mul_f32 v5, v24, v16 :: v_dual_add_f32 v2, v2, v146
	s_delay_alu instid0(VALU_DEP_2) | instskip(NEXT) | instid1(VALU_DEP_2)
	v_add_f32_e32 v1, v1, v4
	v_fma_f32 v4, v23, v15, -v5
	s_delay_alu instid0(VALU_DEP_3) | instskip(NEXT) | instid1(VALU_DEP_1)
	v_add_f32_e32 v2, v2, v147
	v_dual_add_f32 v1, v1, v3 :: v_dual_add_f32 v2, v2, v150
	s_delay_alu instid0(VALU_DEP_1) | instskip(NEXT) | instid1(VALU_DEP_1)
	v_dual_add_f32 v1, v1, v4 :: v_dual_add_f32 v2, v2, v30
	v_dual_sub_f32 v1, v148, v1 :: v_dual_sub_f32 v2, v149, v2
	scratch_store_b64 off, v[1:2], off offset:56
	v_cmpx_lt_u32_e32 6, v0
	s_cbranch_execz .LBB55_337
; %bb.336:
	scratch_load_b64 v[1:2], off, off offset:48
	v_mov_b32_e32 v3, 0
	s_delay_alu instid0(VALU_DEP_1)
	v_mov_b32_e32 v4, v3
	scratch_store_b64 off, v[3:4], off offset:48
	s_wait_loadcnt 0x0
	ds_store_b64 v27, v[1:2]
.LBB55_337:
	s_wait_alu 0xfffe
	s_or_b32 exec_lo, exec_lo, s0
	s_wait_storecnt_dscnt 0x0
	s_barrier_signal -1
	s_barrier_wait -1
	global_inv scope:SCOPE_SE
	s_clause 0x4
	scratch_load_b128 v[5:8], off, off offset:56
	scratch_load_b128 v[1:4], off, off offset:72
	;; [unrolled: 1-line block ×5, first 2 shown]
	v_mov_b32_e32 v25, 0
	ds_load_2addr_b64 v[21:24], v25 offset0:63 offset1:64
	ds_load_2addr_b64 v[28:31], v25 offset0:65 offset1:66
	;; [unrolled: 1-line block ×3, first 2 shown]
	scratch_load_b64 v[148:149], off, off offset:48
	s_mov_b32 s0, exec_lo
	s_wait_loadcnt_dscnt 0x502
	v_mul_f32_e32 v26, v22, v6
	v_dual_mul_f32 v150, v21, v6 :: v_dual_mul_f32 v151, v23, v8
	v_mul_f32_e32 v6, v24, v8
	s_wait_loadcnt_dscnt 0x300
	v_mul_f32_e32 v152, v146, v12
	v_fma_f32 v21, v21, v5, -v26
	v_dual_fmac_f32 v150, v22, v5 :: v_dual_fmac_f32 v151, v24, v7
	v_fma_f32 v22, v23, v7, -v6
	ds_load_2addr_b64 v[5:8], v25 offset0:69 offset1:70
	v_dual_mul_f32 v23, v28, v2 :: v_dual_mul_f32 v24, v30, v4
	v_mul_f32_e32 v4, v31, v4
	v_mul_f32_e32 v26, v144, v10
	;; [unrolled: 1-line block ×5, first 2 shown]
	v_dual_fmac_f32 v23, v29, v1 :: v_dual_fmac_f32 v24, v31, v3
	v_fma_f32 v29, v30, v3, -v4
	v_fmac_f32_e32 v26, v145, v9
	v_fma_f32 v30, v144, v9, -v10
	v_fmac_f32_e32 v152, v147, v11
	v_fma_f32 v31, v146, v11, -v12
	ds_load_2addr_b64 v[9:12], v25 offset0:71 offset1:72
	s_wait_loadcnt_dscnt 0x201
	v_mul_f32_e32 v145, v7, v16
	v_fma_f32 v28, v28, v1, -v2
	scratch_load_b128 v[1:4], off, off offset:136
	v_mul_f32_e32 v144, v5, v14
	v_mul_f32_e32 v14, v6, v14
	v_mul_f32_e32 v16, v8, v16
	s_delay_alu instid0(VALU_DEP_3) | instskip(NEXT) | instid1(VALU_DEP_3)
	v_dual_fmac_f32 v145, v8, v15 :: v_dual_fmac_f32 v144, v6, v13
	v_fma_f32 v13, v5, v13, -v14
	s_delay_alu instid0(VALU_DEP_3)
	v_fma_f32 v14, v7, v15, -v16
	ds_load_2addr_b64 v[5:8], v25 offset0:73 offset1:74
	s_wait_loadcnt_dscnt 0x201
	v_mul_f32_e32 v15, v9, v18
	v_mul_f32_e32 v16, v10, v18
	v_mul_f32_e32 v18, v11, v20
	s_delay_alu instid0(VALU_DEP_3) | instskip(NEXT) | instid1(VALU_DEP_3)
	v_dual_mul_f32 v20, v12, v20 :: v_dual_fmac_f32 v15, v10, v17
	v_fma_f32 v16, v9, v17, -v16
	s_delay_alu instid0(VALU_DEP_3) | instskip(NEXT) | instid1(VALU_DEP_3)
	v_fmac_f32_e32 v18, v12, v19
	v_fma_f32 v17, v11, v19, -v20
	scratch_load_b128 v[9:12], off, off offset:152
	s_wait_loadcnt_dscnt 0x100
	v_mul_f32_e32 v19, v5, v2
	v_mul_f32_e32 v2, v6, v2
	;; [unrolled: 1-line block ×3, first 2 shown]
	s_delay_alu instid0(VALU_DEP_3) | instskip(NEXT) | instid1(VALU_DEP_3)
	v_dual_mul_f32 v4, v8, v4 :: v_dual_fmac_f32 v19, v6, v1
	v_fma_f32 v146, v5, v1, -v2
	s_delay_alu instid0(VALU_DEP_3) | instskip(NEXT) | instid1(VALU_DEP_3)
	v_fmac_f32_e32 v20, v8, v3
	v_fma_f32 v147, v7, v3, -v4
	ds_load_2addr_b64 v[1:4], v25 offset0:75 offset1:76
	ds_load_2addr_b64 v[5:8], v25 offset0:77 offset1:78
	s_wait_loadcnt_dscnt 0x1
	v_mul_f32_e32 v153, v1, v10
	v_mul_f32_e32 v10, v2, v10
	s_delay_alu instid0(VALU_DEP_2) | instskip(NEXT) | instid1(VALU_DEP_2)
	v_dual_mul_f32 v154, v3, v12 :: v_dual_fmac_f32 v153, v2, v9
	v_fma_f32 v155, v1, v9, -v10
	v_mul_f32_e32 v1, v4, v12
	s_delay_alu instid0(VALU_DEP_3) | instskip(NEXT) | instid1(VALU_DEP_2)
	v_fmac_f32_e32 v154, v4, v11
	v_fma_f32 v156, v3, v11, -v1
	s_clause 0x1
	scratch_load_b128 v[1:4], off, off offset:168
	scratch_load_b128 v[9:12], off, off offset:184
	s_wait_loadcnt_dscnt 0x100
	v_mul_f32_e32 v157, v5, v2
	v_dual_mul_f32 v2, v6, v2 :: v_dual_mul_f32 v159, v7, v4
	s_delay_alu instid0(VALU_DEP_2) | instskip(NEXT) | instid1(VALU_DEP_2)
	v_fmac_f32_e32 v157, v6, v1
	v_fma_f32 v158, v5, v1, -v2
	v_mul_f32_e32 v1, v8, v4
	s_delay_alu instid0(VALU_DEP_4) | instskip(NEXT) | instid1(VALU_DEP_2)
	v_fmac_f32_e32 v159, v8, v3
	v_fma_f32 v160, v7, v3, -v1
	ds_load_2addr_b64 v[1:4], v25 offset0:79 offset1:80
	ds_load_2addr_b64 v[5:8], v25 offset0:81 offset1:82
	s_wait_loadcnt_dscnt 0x1
	v_mul_f32_e32 v161, v1, v10
	v_mul_f32_e32 v163, v3, v12
	s_delay_alu instid0(VALU_DEP_2) | instskip(NEXT) | instid1(VALU_DEP_2)
	v_fmac_f32_e32 v161, v2, v9
	v_dual_mul_f32 v2, v2, v10 :: v_dual_fmac_f32 v163, v4, v11
	s_delay_alu instid0(VALU_DEP_1) | instskip(SKIP_1) | instid1(VALU_DEP_1)
	v_fma_f32 v162, v1, v9, -v2
	v_mul_f32_e32 v1, v4, v12
	v_fma_f32 v164, v3, v11, -v1
	s_clause 0x1
	scratch_load_b128 v[1:4], off, off offset:200
	scratch_load_b128 v[9:12], off, off offset:216
	s_wait_loadcnt_dscnt 0x100
	v_mul_f32_e32 v165, v5, v2
	v_dual_mul_f32 v2, v6, v2 :: v_dual_mul_f32 v167, v7, v4
	s_delay_alu instid0(VALU_DEP_2) | instskip(NEXT) | instid1(VALU_DEP_2)
	v_fmac_f32_e32 v165, v6, v1
	v_fma_f32 v166, v5, v1, -v2
	v_mul_f32_e32 v1, v8, v4
	s_delay_alu instid0(VALU_DEP_4) | instskip(NEXT) | instid1(VALU_DEP_2)
	v_fmac_f32_e32 v167, v8, v3
	v_fma_f32 v168, v7, v3, -v1
	ds_load_2addr_b64 v[1:4], v25 offset0:83 offset1:84
	ds_load_2addr_b64 v[5:8], v25 offset0:85 offset1:86
	s_wait_loadcnt_dscnt 0x1
	v_mul_f32_e32 v169, v1, v10
	v_mul_f32_e32 v171, v3, v12
	s_delay_alu instid0(VALU_DEP_2) | instskip(NEXT) | instid1(VALU_DEP_2)
	v_fmac_f32_e32 v169, v2, v9
	v_dual_mul_f32 v2, v2, v10 :: v_dual_fmac_f32 v171, v4, v11
	s_delay_alu instid0(VALU_DEP_1) | instskip(SKIP_1) | instid1(VALU_DEP_1)
	v_fma_f32 v170, v1, v9, -v2
	v_mul_f32_e32 v1, v4, v12
	v_fma_f32 v172, v3, v11, -v1
	s_clause 0x1
	scratch_load_b128 v[1:4], off, off offset:232
	scratch_load_b128 v[9:12], off, off offset:248
	s_wait_loadcnt_dscnt 0x100
	v_mul_f32_e32 v173, v5, v2
	v_dual_mul_f32 v2, v6, v2 :: v_dual_mul_f32 v175, v7, v4
	s_delay_alu instid0(VALU_DEP_2) | instskip(NEXT) | instid1(VALU_DEP_2)
	v_fmac_f32_e32 v173, v6, v1
	v_fma_f32 v174, v5, v1, -v2
	v_mul_f32_e32 v1, v8, v4
	s_delay_alu instid0(VALU_DEP_4) | instskip(NEXT) | instid1(VALU_DEP_2)
	v_fmac_f32_e32 v175, v8, v3
	v_fma_f32 v176, v7, v3, -v1
	ds_load_2addr_b64 v[1:4], v25 offset0:87 offset1:88
	ds_load_2addr_b64 v[5:8], v25 offset0:89 offset1:90
	s_wait_loadcnt_dscnt 0x1
	v_mul_f32_e32 v177, v1, v10
	v_mul_f32_e32 v179, v3, v12
	s_delay_alu instid0(VALU_DEP_2) | instskip(NEXT) | instid1(VALU_DEP_2)
	v_fmac_f32_e32 v177, v2, v9
	v_dual_mul_f32 v2, v2, v10 :: v_dual_fmac_f32 v179, v4, v11
	s_delay_alu instid0(VALU_DEP_1) | instskip(SKIP_1) | instid1(VALU_DEP_1)
	v_fma_f32 v178, v1, v9, -v2
	v_mul_f32_e32 v1, v4, v12
	v_fma_f32 v180, v3, v11, -v1
	s_clause 0x1
	scratch_load_b128 v[1:4], off, off offset:264
	scratch_load_b128 v[9:12], off, off offset:280
	s_wait_loadcnt_dscnt 0x100
	v_mul_f32_e32 v181, v5, v2
	v_dual_mul_f32 v2, v6, v2 :: v_dual_mul_f32 v183, v7, v4
	s_delay_alu instid0(VALU_DEP_2) | instskip(NEXT) | instid1(VALU_DEP_2)
	v_fmac_f32_e32 v181, v6, v1
	v_fma_f32 v182, v5, v1, -v2
	v_mul_f32_e32 v1, v8, v4
	s_delay_alu instid0(VALU_DEP_4) | instskip(NEXT) | instid1(VALU_DEP_2)
	v_fmac_f32_e32 v183, v8, v3
	v_fma_f32 v184, v7, v3, -v1
	ds_load_2addr_b64 v[1:4], v25 offset0:91 offset1:92
	ds_load_2addr_b64 v[5:8], v25 offset0:93 offset1:94
	s_wait_loadcnt_dscnt 0x1
	v_mul_f32_e32 v185, v1, v10
	v_mul_f32_e32 v187, v3, v12
	s_delay_alu instid0(VALU_DEP_2) | instskip(NEXT) | instid1(VALU_DEP_2)
	v_fmac_f32_e32 v185, v2, v9
	v_dual_mul_f32 v2, v2, v10 :: v_dual_fmac_f32 v187, v4, v11
	s_delay_alu instid0(VALU_DEP_1) | instskip(SKIP_1) | instid1(VALU_DEP_1)
	v_fma_f32 v186, v1, v9, -v2
	v_mul_f32_e32 v1, v4, v12
	v_fma_f32 v188, v3, v11, -v1
	s_clause 0x1
	scratch_load_b128 v[1:4], off, off offset:296
	scratch_load_b128 v[9:12], off, off offset:312
	s_wait_loadcnt_dscnt 0x100
	v_mul_f32_e32 v189, v5, v2
	v_dual_mul_f32 v2, v6, v2 :: v_dual_mul_f32 v191, v7, v4
	s_delay_alu instid0(VALU_DEP_2) | instskip(NEXT) | instid1(VALU_DEP_2)
	v_fmac_f32_e32 v189, v6, v1
	v_fma_f32 v190, v5, v1, -v2
	v_mul_f32_e32 v1, v8, v4
	s_delay_alu instid0(VALU_DEP_4) | instskip(NEXT) | instid1(VALU_DEP_2)
	v_fmac_f32_e32 v191, v8, v3
	v_fma_f32 v192, v7, v3, -v1
	ds_load_2addr_b64 v[1:4], v25 offset0:95 offset1:96
	ds_load_2addr_b64 v[5:8], v25 offset0:97 offset1:98
	s_wait_loadcnt_dscnt 0x1
	v_mul_f32_e32 v193, v1, v10
	v_mul_f32_e32 v195, v3, v12
	s_delay_alu instid0(VALU_DEP_2) | instskip(NEXT) | instid1(VALU_DEP_2)
	v_fmac_f32_e32 v193, v2, v9
	v_dual_mul_f32 v2, v2, v10 :: v_dual_fmac_f32 v195, v4, v11
	s_delay_alu instid0(VALU_DEP_1) | instskip(SKIP_1) | instid1(VALU_DEP_1)
	v_fma_f32 v194, v1, v9, -v2
	v_mul_f32_e32 v1, v4, v12
	v_fma_f32 v196, v3, v11, -v1
	s_clause 0x1
	scratch_load_b128 v[1:4], off, off offset:328
	scratch_load_b128 v[9:12], off, off offset:344
	s_wait_loadcnt_dscnt 0x100
	v_mul_f32_e32 v197, v5, v2
	v_dual_mul_f32 v2, v6, v2 :: v_dual_mul_f32 v199, v7, v4
	s_delay_alu instid0(VALU_DEP_2) | instskip(NEXT) | instid1(VALU_DEP_2)
	v_fmac_f32_e32 v197, v6, v1
	v_fma_f32 v198, v5, v1, -v2
	v_mul_f32_e32 v1, v8, v4
	s_delay_alu instid0(VALU_DEP_4) | instskip(NEXT) | instid1(VALU_DEP_2)
	v_fmac_f32_e32 v199, v8, v3
	v_fma_f32 v200, v7, v3, -v1
	ds_load_2addr_b64 v[1:4], v25 offset0:99 offset1:100
	ds_load_2addr_b64 v[5:8], v25 offset0:101 offset1:102
	s_wait_loadcnt_dscnt 0x1
	v_mul_f32_e32 v201, v1, v10
	v_mul_f32_e32 v203, v3, v12
	s_delay_alu instid0(VALU_DEP_1) | instskip(NEXT) | instid1(VALU_DEP_3)
	v_fmac_f32_e32 v203, v4, v11
	v_fmac_f32_e32 v201, v2, v9
	v_mul_f32_e32 v2, v2, v10
	s_delay_alu instid0(VALU_DEP_1) | instskip(SKIP_1) | instid1(VALU_DEP_1)
	v_fma_f32 v202, v1, v9, -v2
	v_mul_f32_e32 v1, v4, v12
	v_fma_f32 v204, v3, v11, -v1
	s_clause 0x1
	scratch_load_b128 v[1:4], off, off offset:360
	scratch_load_b128 v[9:12], off, off offset:376
	s_wait_loadcnt_dscnt 0x100
	v_mul_f32_e32 v205, v5, v2
	v_mul_f32_e32 v2, v6, v2
	s_delay_alu instid0(VALU_DEP_2) | instskip(NEXT) | instid1(VALU_DEP_2)
	v_fmac_f32_e32 v205, v6, v1
	v_fma_f32 v206, v5, v1, -v2
	v_dual_add_f32 v2, 0, v150 :: v_dual_mul_f32 v1, v8, v4
	s_delay_alu instid0(VALU_DEP_1) | instskip(NEXT) | instid1(VALU_DEP_2)
	v_add_f32_e32 v2, v2, v151
	v_fma_f32 v208, v7, v3, -v1
	s_delay_alu instid0(VALU_DEP_2) | instskip(NEXT) | instid1(VALU_DEP_1)
	v_add_f32_e32 v2, v2, v23
	v_add_f32_e32 v2, v2, v24
	s_delay_alu instid0(VALU_DEP_1) | instskip(NEXT) | instid1(VALU_DEP_1)
	v_add_f32_e32 v2, v2, v26
	v_add_f32_e32 v2, v2, v152
	s_delay_alu instid0(VALU_DEP_1) | instskip(NEXT) | instid1(VALU_DEP_1)
	v_dual_add_f32 v2, v2, v144 :: v_dual_add_f32 v1, 0, v21
	v_dual_add_f32 v2, v2, v145 :: v_dual_add_f32 v1, v1, v22
	s_delay_alu instid0(VALU_DEP_1) | instskip(NEXT) | instid1(VALU_DEP_1)
	v_dual_add_f32 v2, v2, v15 :: v_dual_add_f32 v1, v1, v28
	v_dual_add_f32 v2, v2, v18 :: v_dual_add_f32 v1, v1, v29
	scratch_load_b64 v[28:29], off, off offset:440
	v_dual_add_f32 v2, v2, v19 :: v_dual_add_f32 v1, v1, v30
	s_delay_alu instid0(VALU_DEP_1) | instskip(NEXT) | instid1(VALU_DEP_1)
	v_dual_add_f32 v2, v2, v20 :: v_dual_add_f32 v1, v1, v31
	v_add_f32_e32 v2, v2, v153
	s_delay_alu instid0(VALU_DEP_1) | instskip(NEXT) | instid1(VALU_DEP_1)
	v_dual_add_f32 v1, v1, v13 :: v_dual_add_f32 v2, v2, v154
	v_dual_add_f32 v1, v1, v14 :: v_dual_add_f32 v2, v2, v157
	s_delay_alu instid0(VALU_DEP_1) | instskip(NEXT) | instid1(VALU_DEP_1)
	v_dual_add_f32 v1, v1, v16 :: v_dual_add_f32 v2, v2, v159
	v_add_f32_e32 v1, v1, v17
	s_delay_alu instid0(VALU_DEP_1) | instskip(NEXT) | instid1(VALU_DEP_1)
	v_dual_add_f32 v2, v2, v161 :: v_dual_add_f32 v1, v1, v146
	v_add_f32_e32 v2, v2, v163
	;; [unrolled: 3-line block ×3, first 2 shown]
	s_delay_alu instid0(VALU_DEP_1) | instskip(NEXT) | instid1(VALU_DEP_1)
	v_dual_add_f32 v2, v2, v167 :: v_dual_add_f32 v1, v1, v156
	v_dual_add_f32 v2, v2, v169 :: v_dual_add_f32 v1, v1, v158
	s_delay_alu instid0(VALU_DEP_1) | instskip(NEXT) | instid1(VALU_DEP_1)
	v_dual_add_f32 v2, v2, v171 :: v_dual_add_f32 v1, v1, v160
	v_add_f32_e32 v1, v1, v162
	s_delay_alu instid0(VALU_DEP_1) | instskip(NEXT) | instid1(VALU_DEP_1)
	v_add_f32_e32 v1, v1, v164
	v_add_f32_e32 v1, v1, v166
	s_delay_alu instid0(VALU_DEP_1) | instskip(NEXT) | instid1(VALU_DEP_1)
	v_add_f32_e32 v1, v1, v168
	;; [unrolled: 3-line block ×4, first 2 shown]
	v_add_f32_e32 v1, v1, v178
	s_delay_alu instid0(VALU_DEP_1) | instskip(SKIP_1) | instid1(VALU_DEP_2)
	v_add_f32_e32 v6, v1, v180
	v_dual_add_f32 v2, v2, v173 :: v_dual_mul_f32 v207, v7, v4
	v_add_f32_e32 v6, v6, v182
	s_delay_alu instid0(VALU_DEP_2) | instskip(NEXT) | instid1(VALU_DEP_3)
	v_add_f32_e32 v2, v2, v175
	v_fmac_f32_e32 v207, v8, v3
	s_delay_alu instid0(VALU_DEP_3) | instskip(NEXT) | instid1(VALU_DEP_3)
	v_add_f32_e32 v13, v6, v184
	v_add_f32_e32 v5, v2, v177
	ds_load_2addr_b64 v[1:4], v25 offset0:103 offset1:104
	v_add_f32_e32 v13, v13, v186
	v_add_f32_e32 v5, v5, v179
	s_delay_alu instid0(VALU_DEP_2) | instskip(NEXT) | instid1(VALU_DEP_2)
	v_add_f32_e32 v13, v13, v188
	v_add_f32_e32 v5, v5, v181
	s_delay_alu instid0(VALU_DEP_2) | instskip(NEXT) | instid1(VALU_DEP_2)
	v_add_f32_e32 v13, v13, v190
	v_add_f32_e32 v14, v5, v183
	ds_load_2addr_b64 v[5:8], v25 offset0:105 offset1:106
	v_add_f32_e32 v18, v13, v192
	s_wait_loadcnt_dscnt 0x101
	v_mul_f32_e32 v26, v1, v10
	v_mul_f32_e32 v10, v2, v10
	;; [unrolled: 1-line block ×4, first 2 shown]
	v_add_f32_e32 v14, v14, v185
	v_fmac_f32_e32 v26, v2, v9
	v_fma_f32 v145, v1, v9, -v10
	v_fmac_f32_e32 v144, v4, v11
	v_fma_f32 v146, v3, v11, -v12
	s_clause 0x1
	scratch_load_b128 v[1:4], off, off offset:392
	scratch_load_b128 v[9:12], off, off offset:408
	v_add_f32_e32 v14, v14, v187
	v_add_f32_e32 v18, v18, v194
	s_delay_alu instid0(VALU_DEP_2) | instskip(SKIP_2) | instid1(VALU_DEP_1)
	v_add_f32_e32 v17, v14, v189
	scratch_load_b128 v[13:16], off, off offset:424
	v_dual_add_f32 v18, v18, v196 :: v_dual_add_f32 v17, v17, v191
	v_dual_add_f32 v18, v18, v198 :: v_dual_add_f32 v17, v17, v193
	s_delay_alu instid0(VALU_DEP_1) | instskip(NEXT) | instid1(VALU_DEP_1)
	v_dual_add_f32 v18, v18, v200 :: v_dual_add_f32 v17, v17, v195
	v_dual_add_f32 v30, v18, v202 :: v_dual_add_f32 v17, v17, v197
	s_delay_alu instid0(VALU_DEP_1) | instskip(NEXT) | instid1(VALU_DEP_2)
	v_add_f32_e32 v147, v30, v204
	v_add_f32_e32 v21, v17, v199
	ds_load_2addr_b64 v[17:20], v25 offset0:107 offset1:108
	v_add_f32_e32 v147, v147, v206
	v_add_f32_e32 v31, v21, v201
	ds_load_2addr_b64 v[21:24], v25 offset0:109 offset1:110
	v_add_f32_e32 v147, v147, v208
	v_add_f32_e32 v150, v31, v203
	ds_load_b64 v[30:31], v25 offset:888
	v_add_f32_e32 v145, v147, v145
	s_wait_loadcnt_dscnt 0x203
	s_delay_alu instid0(VALU_DEP_1) | instskip(SKIP_4) | instid1(VALU_DEP_3)
	v_dual_add_f32 v145, v145, v146 :: v_dual_mul_f32 v152, v7, v4
	v_dual_add_f32 v150, v150, v205 :: v_dual_mul_f32 v151, v5, v2
	v_mul_f32_e32 v2, v6, v2
	s_wait_loadcnt_dscnt 0x102
	v_dual_mul_f32 v4, v8, v4 :: v_dual_mul_f32 v147, v17, v10
	v_add_f32_e32 v150, v150, v207
	v_fmac_f32_e32 v151, v6, v1
	v_fma_f32 v2, v5, v1, -v2
	v_fmac_f32_e32 v152, v8, v3
	v_fma_f32 v1, v7, v3, -v4
	v_add_f32_e32 v26, v150, v26
	v_mul_f32_e32 v3, v18, v10
	v_add_f32_e32 v2, v145, v2
	v_mul_f32_e32 v150, v19, v12
	v_mul_f32_e32 v5, v20, v12
	v_add_f32_e32 v26, v26, v144
	v_fmac_f32_e32 v147, v18, v9
	v_fma_f32 v3, v17, v9, -v3
	v_add_f32_e32 v1, v2, v1
	s_wait_loadcnt_dscnt 0x1
	v_dual_mul_f32 v153, v21, v14 :: v_dual_add_f32 v4, v26, v151
	v_fmac_f32_e32 v150, v20, v11
	v_fma_f32 v5, v19, v11, -v5
	v_dual_add_f32 v1, v1, v3 :: v_dual_mul_f32 v146, v23, v16
	s_delay_alu instid0(VALU_DEP_4) | instskip(SKIP_2) | instid1(VALU_DEP_3)
	v_add_f32_e32 v2, v4, v152
	v_dual_mul_f32 v4, v22, v14 :: v_dual_mul_f32 v3, v24, v16
	v_fmac_f32_e32 v153, v22, v13
	v_dual_add_f32 v1, v1, v5 :: v_dual_add_f32 v2, v2, v147
	s_delay_alu instid0(VALU_DEP_3)
	v_fma_f32 v4, v21, v13, -v4
	s_wait_dscnt 0x0
	v_mul_f32_e32 v144, v30, v29
	v_dual_mul_f32 v5, v31, v29 :: v_dual_fmac_f32 v146, v24, v15
	v_add_f32_e32 v2, v2, v150
	v_fma_f32 v3, v23, v15, -v3
	v_add_f32_e32 v1, v1, v4
	v_fmac_f32_e32 v144, v31, v28
	v_fma_f32 v4, v30, v28, -v5
	s_delay_alu instid0(VALU_DEP_3) | instskip(NEXT) | instid1(VALU_DEP_1)
	v_dual_add_f32 v2, v2, v153 :: v_dual_add_f32 v1, v1, v3
	v_dual_add_f32 v2, v2, v146 :: v_dual_add_f32 v1, v1, v4
	s_delay_alu instid0(VALU_DEP_1) | instskip(NEXT) | instid1(VALU_DEP_1)
	v_dual_add_f32 v2, v2, v144 :: v_dual_sub_f32 v1, v148, v1
	v_sub_f32_e32 v2, v149, v2
	scratch_store_b64 off, v[1:2], off offset:48
	v_cmpx_lt_u32_e32 5, v0
	s_cbranch_execz .LBB55_339
; %bb.338:
	scratch_load_b64 v[1:2], off, off offset:40
	v_mov_b32_e32 v26, v25
	scratch_store_b64 off, v[25:26], off offset:40
	s_wait_loadcnt 0x0
	ds_store_b64 v27, v[1:2]
.LBB55_339:
	s_wait_alu 0xfffe
	s_or_b32 exec_lo, exec_lo, s0
	s_wait_storecnt_dscnt 0x0
	s_barrier_signal -1
	s_barrier_wait -1
	global_inv scope:SCOPE_SE
	s_clause 0x4
	scratch_load_b128 v[5:8], off, off offset:48
	scratch_load_b128 v[1:4], off, off offset:64
	;; [unrolled: 1-line block ×5, first 2 shown]
	ds_load_b128 v[21:24], v25 offset:496
	ds_load_b128 v[28:31], v25 offset:512
	;; [unrolled: 1-line block ×3, first 2 shown]
	scratch_load_b64 v[148:149], off, off offset:40
	s_mov_b32 s0, exec_lo
	s_wait_loadcnt_dscnt 0x502
	v_mul_f32_e32 v26, v21, v6
	s_wait_loadcnt_dscnt 0x300
	v_dual_mul_f32 v150, v23, v8 :: v_dual_mul_f32 v151, v144, v10
	v_mul_f32_e32 v8, v24, v8
	v_mul_f32_e32 v6, v22, v6
	v_fmac_f32_e32 v26, v22, v5
	v_mul_f32_e32 v10, v145, v10
	v_fmac_f32_e32 v151, v145, v9
	v_fma_f32 v22, v23, v7, -v8
	v_mul_f32_e32 v23, v28, v2
	v_fmac_f32_e32 v150, v24, v7
	v_mul_f32_e32 v24, v30, v4
	v_mul_f32_e32 v4, v31, v4
	s_delay_alu instid0(VALU_DEP_4)
	v_dual_mul_f32 v152, v146, v12 :: v_dual_fmac_f32 v23, v29, v1
	v_fma_f32 v21, v21, v5, -v6
	ds_load_b128 v[5:8], v25 offset:544
	v_mul_f32_e32 v12, v147, v12
	v_mul_f32_e32 v2, v29, v2
	v_fmac_f32_e32 v24, v31, v3
	v_fma_f32 v29, v30, v3, -v4
	v_fma_f32 v30, v144, v9, -v10
	v_fmac_f32_e32 v152, v147, v11
	v_fma_f32 v31, v146, v11, -v12
	ds_load_b128 v[9:12], v25 offset:560
	s_wait_loadcnt_dscnt 0x201
	v_dual_mul_f32 v145, v7, v16 :: v_dual_mul_f32 v144, v5, v14
	v_mul_f32_e32 v14, v6, v14
	v_mul_f32_e32 v16, v8, v16
	s_delay_alu instid0(VALU_DEP_3)
	v_fmac_f32_e32 v145, v8, v15
	v_fma_f32 v28, v28, v1, -v2
	scratch_load_b128 v[1:4], off, off offset:128
	v_fmac_f32_e32 v144, v6, v13
	v_fma_f32 v13, v5, v13, -v14
	v_fma_f32 v14, v7, v15, -v16
	s_wait_loadcnt_dscnt 0x200
	v_mul_f32_e32 v15, v9, v18
	v_mul_f32_e32 v16, v10, v18
	;; [unrolled: 1-line block ×4, first 2 shown]
	ds_load_b128 v[5:8], v25 offset:576
	v_fmac_f32_e32 v15, v10, v17
	v_fma_f32 v16, v9, v17, -v16
	v_fmac_f32_e32 v18, v12, v19
	v_fma_f32 v17, v11, v19, -v20
	scratch_load_b128 v[9:12], off, off offset:144
	s_wait_loadcnt_dscnt 0x100
	v_mul_f32_e32 v19, v5, v2
	v_mul_f32_e32 v2, v6, v2
	;; [unrolled: 1-line block ×3, first 2 shown]
	s_delay_alu instid0(VALU_DEP_3) | instskip(NEXT) | instid1(VALU_DEP_3)
	v_dual_mul_f32 v4, v8, v4 :: v_dual_fmac_f32 v19, v6, v1
	v_fma_f32 v146, v5, v1, -v2
	s_delay_alu instid0(VALU_DEP_3) | instskip(NEXT) | instid1(VALU_DEP_3)
	v_fmac_f32_e32 v20, v8, v3
	v_fma_f32 v147, v7, v3, -v4
	ds_load_b128 v[1:4], v25 offset:592
	ds_load_b128 v[5:8], v25 offset:608
	s_wait_loadcnt_dscnt 0x1
	v_mul_f32_e32 v153, v1, v10
	v_mul_f32_e32 v10, v2, v10
	s_delay_alu instid0(VALU_DEP_2) | instskip(NEXT) | instid1(VALU_DEP_2)
	v_dual_mul_f32 v154, v3, v12 :: v_dual_fmac_f32 v153, v2, v9
	v_fma_f32 v155, v1, v9, -v10
	v_mul_f32_e32 v1, v4, v12
	s_delay_alu instid0(VALU_DEP_3) | instskip(NEXT) | instid1(VALU_DEP_2)
	v_fmac_f32_e32 v154, v4, v11
	v_fma_f32 v156, v3, v11, -v1
	s_clause 0x1
	scratch_load_b128 v[1:4], off, off offset:160
	scratch_load_b128 v[9:12], off, off offset:176
	s_wait_loadcnt_dscnt 0x100
	v_mul_f32_e32 v157, v5, v2
	v_dual_mul_f32 v2, v6, v2 :: v_dual_mul_f32 v159, v7, v4
	s_delay_alu instid0(VALU_DEP_2) | instskip(NEXT) | instid1(VALU_DEP_2)
	v_fmac_f32_e32 v157, v6, v1
	v_fma_f32 v158, v5, v1, -v2
	v_mul_f32_e32 v1, v8, v4
	s_delay_alu instid0(VALU_DEP_4) | instskip(NEXT) | instid1(VALU_DEP_2)
	v_fmac_f32_e32 v159, v8, v3
	v_fma_f32 v160, v7, v3, -v1
	ds_load_b128 v[1:4], v25 offset:624
	ds_load_b128 v[5:8], v25 offset:640
	s_wait_loadcnt_dscnt 0x1
	v_mul_f32_e32 v161, v1, v10
	v_mul_f32_e32 v163, v3, v12
	s_delay_alu instid0(VALU_DEP_2) | instskip(NEXT) | instid1(VALU_DEP_2)
	v_fmac_f32_e32 v161, v2, v9
	v_dual_mul_f32 v2, v2, v10 :: v_dual_fmac_f32 v163, v4, v11
	s_delay_alu instid0(VALU_DEP_1) | instskip(SKIP_1) | instid1(VALU_DEP_1)
	v_fma_f32 v162, v1, v9, -v2
	v_mul_f32_e32 v1, v4, v12
	v_fma_f32 v164, v3, v11, -v1
	s_clause 0x1
	scratch_load_b128 v[1:4], off, off offset:192
	scratch_load_b128 v[9:12], off, off offset:208
	s_wait_loadcnt_dscnt 0x100
	v_mul_f32_e32 v165, v5, v2
	v_dual_mul_f32 v2, v6, v2 :: v_dual_mul_f32 v167, v7, v4
	s_delay_alu instid0(VALU_DEP_2) | instskip(NEXT) | instid1(VALU_DEP_2)
	v_fmac_f32_e32 v165, v6, v1
	v_fma_f32 v166, v5, v1, -v2
	v_mul_f32_e32 v1, v8, v4
	s_delay_alu instid0(VALU_DEP_4) | instskip(NEXT) | instid1(VALU_DEP_2)
	v_fmac_f32_e32 v167, v8, v3
	v_fma_f32 v168, v7, v3, -v1
	ds_load_b128 v[1:4], v25 offset:656
	ds_load_b128 v[5:8], v25 offset:672
	s_wait_loadcnt_dscnt 0x1
	v_mul_f32_e32 v169, v1, v10
	v_mul_f32_e32 v171, v3, v12
	s_delay_alu instid0(VALU_DEP_2) | instskip(NEXT) | instid1(VALU_DEP_2)
	v_fmac_f32_e32 v169, v2, v9
	v_dual_mul_f32 v2, v2, v10 :: v_dual_fmac_f32 v171, v4, v11
	s_delay_alu instid0(VALU_DEP_1) | instskip(SKIP_1) | instid1(VALU_DEP_1)
	v_fma_f32 v170, v1, v9, -v2
	v_mul_f32_e32 v1, v4, v12
	;; [unrolled: 25-line block ×6, first 2 shown]
	v_fma_f32 v204, v3, v11, -v1
	s_clause 0x1
	scratch_load_b128 v[1:4], off, off offset:352
	scratch_load_b128 v[9:12], off, off offset:368
	s_wait_loadcnt_dscnt 0x100
	v_mul_f32_e32 v205, v5, v2
	v_mul_f32_e32 v2, v6, v2
	s_delay_alu instid0(VALU_DEP_2) | instskip(NEXT) | instid1(VALU_DEP_2)
	v_fmac_f32_e32 v205, v6, v1
	v_fma_f32 v206, v5, v1, -v2
	v_dual_add_f32 v2, 0, v26 :: v_dual_mul_f32 v1, v8, v4
	s_delay_alu instid0(VALU_DEP_1) | instskip(NEXT) | instid1(VALU_DEP_2)
	v_add_f32_e32 v2, v2, v150
	v_fma_f32 v208, v7, v3, -v1
	s_delay_alu instid0(VALU_DEP_2) | instskip(NEXT) | instid1(VALU_DEP_1)
	v_dual_add_f32 v1, 0, v21 :: v_dual_add_f32 v2, v2, v23
	v_dual_add_f32 v1, v1, v22 :: v_dual_add_f32 v2, v2, v24
	s_delay_alu instid0(VALU_DEP_1) | instskip(NEXT) | instid1(VALU_DEP_1)
	v_add_f32_e32 v2, v2, v151
	v_add_f32_e32 v2, v2, v152
	s_delay_alu instid0(VALU_DEP_1) | instskip(NEXT) | instid1(VALU_DEP_1)
	v_add_f32_e32 v2, v2, v144
	v_add_f32_e32 v2, v2, v145
	;; [unrolled: 3-line block ×4, first 2 shown]
	s_delay_alu instid0(VALU_DEP_1) | instskip(NEXT) | instid1(VALU_DEP_1)
	v_dual_add_f32 v1, v1, v28 :: v_dual_add_f32 v2, v2, v153
	v_dual_add_f32 v1, v1, v29 :: v_dual_add_f32 v2, v2, v154
	s_delay_alu instid0(VALU_DEP_1) | instskip(NEXT) | instid1(VALU_DEP_1)
	v_dual_add_f32 v1, v1, v30 :: v_dual_add_f32 v2, v2, v157
	v_add_f32_e32 v1, v1, v31
	s_delay_alu instid0(VALU_DEP_1) | instskip(NEXT) | instid1(VALU_DEP_1)
	v_dual_add_f32 v2, v2, v159 :: v_dual_add_f32 v1, v1, v13
	v_dual_add_f32 v2, v2, v161 :: v_dual_add_f32 v1, v1, v14
	s_delay_alu instid0(VALU_DEP_1) | instskip(NEXT) | instid1(VALU_DEP_1)
	v_add_f32_e32 v2, v2, v163
	v_add_f32_e32 v2, v2, v165
	s_delay_alu instid0(VALU_DEP_1) | instskip(NEXT) | instid1(VALU_DEP_1)
	v_add_f32_e32 v2, v2, v167
	v_add_f32_e32 v2, v2, v169
	s_delay_alu instid0(VALU_DEP_1) | instskip(NEXT) | instid1(VALU_DEP_1)
	v_add_f32_e32 v2, v2, v171
	v_dual_add_f32 v2, v2, v173 :: v_dual_add_f32 v1, v1, v16
	s_delay_alu instid0(VALU_DEP_1) | instskip(NEXT) | instid1(VALU_DEP_1)
	v_dual_add_f32 v2, v2, v175 :: v_dual_add_f32 v1, v1, v17
	v_add_f32_e32 v1, v1, v146
	s_delay_alu instid0(VALU_DEP_1) | instskip(NEXT) | instid1(VALU_DEP_1)
	v_add_f32_e32 v1, v1, v147
	v_add_f32_e32 v1, v1, v155
	s_delay_alu instid0(VALU_DEP_1) | instskip(NEXT) | instid1(VALU_DEP_1)
	v_add_f32_e32 v1, v1, v156
	;; [unrolled: 3-line block ×8, first 2 shown]
	v_add_f32_e32 v6, v1, v182
	v_add_f32_e32 v2, v2, v177
	s_delay_alu instid0(VALU_DEP_2) | instskip(NEXT) | instid1(VALU_DEP_1)
	v_add_f32_e32 v14, v6, v184
	v_dual_mul_f32 v207, v7, v4 :: v_dual_add_f32 v14, v14, v186
	s_delay_alu instid0(VALU_DEP_1) | instskip(NEXT) | instid1(VALU_DEP_2)
	v_fmac_f32_e32 v207, v8, v3
	v_add_f32_e32 v17, v14, v188
	s_delay_alu instid0(VALU_DEP_1) | instskip(NEXT) | instid1(VALU_DEP_1)
	v_add_f32_e32 v17, v17, v190
	v_add_f32_e32 v17, v17, v192
	s_delay_alu instid0(VALU_DEP_1) | instskip(NEXT) | instid1(VALU_DEP_1)
	v_add_f32_e32 v17, v17, v194
	v_dual_add_f32 v22, v17, v196 :: v_dual_add_f32 v5, v2, v179
	ds_load_b128 v[1:4], v25 offset:816
	v_dual_add_f32 v22, v22, v198 :: v_dual_add_f32 v13, v5, v181
	scratch_load_b128 v[5:8], off, off offset:384
	v_dual_add_f32 v22, v22, v200 :: v_dual_add_f32 v13, v13, v183
	s_delay_alu instid0(VALU_DEP_1) | instskip(NEXT) | instid1(VALU_DEP_1)
	v_add_f32_e32 v13, v13, v185
	v_add_f32_e32 v18, v13, v187
	ds_load_b128 v[13:16], v25 offset:832
	s_wait_loadcnt_dscnt 0x101
	v_mul_f32_e32 v28, v3, v12
	v_mul_f32_e32 v26, v1, v10
	;; [unrolled: 1-line block ×3, first 2 shown]
	v_add_f32_e32 v18, v18, v189
	v_mul_f32_e32 v12, v4, v12
	v_fmac_f32_e32 v28, v4, v11
	v_fmac_f32_e32 v26, v2, v9
	v_fma_f32 v29, v1, v9, -v10
	v_add_f32_e32 v18, v18, v191
	v_fma_f32 v30, v3, v11, -v12
	s_clause 0x1
	scratch_load_b128 v[1:4], off, off offset:400
	scratch_load_b128 v[9:12], off, off offset:416
	v_add_f32_e32 v21, v18, v193
	scratch_load_b128 v[17:20], off, off offset:432
	v_add_f32_e32 v21, v21, v195
	s_delay_alu instid0(VALU_DEP_1)
	v_add_f32_e32 v21, v21, v197
	s_wait_loadcnt_dscnt 0x300
	v_mul_f32_e32 v31, v13, v6
	v_mul_f32_e32 v6, v14, v6
	;; [unrolled: 1-line block ×4, first 2 shown]
	s_delay_alu instid0(VALU_DEP_3) | instskip(SKIP_1) | instid1(VALU_DEP_4)
	v_fma_f32 v145, v13, v5, -v6
	v_add_f32_e32 v13, v21, v199
	v_dual_add_f32 v21, v22, v202 :: v_dual_fmac_f32 v144, v16, v7
	s_delay_alu instid0(VALU_DEP_4) | instskip(NEXT) | instid1(VALU_DEP_3)
	v_fma_f32 v146, v15, v7, -v8
	v_add_f32_e32 v22, v13, v201
	s_delay_alu instid0(VALU_DEP_1)
	v_dual_add_f32 v147, v21, v204 :: v_dual_add_f32 v150, v22, v203
	ds_load_b128 v[21:24], v25 offset:880
	v_fmac_f32_e32 v31, v14, v5
	ds_load_b128 v[5:8], v25 offset:848
	ds_load_b128 v[13:16], v25 offset:864
	v_add_f32_e32 v25, v147, v206
	v_add_f32_e32 v147, v150, v205
	s_delay_alu instid0(VALU_DEP_2) | instskip(NEXT) | instid1(VALU_DEP_2)
	v_add_f32_e32 v25, v25, v208
	v_add_f32_e32 v147, v147, v207
	s_delay_alu instid0(VALU_DEP_1) | instskip(NEXT) | instid1(VALU_DEP_1)
	v_dual_add_f32 v25, v25, v29 :: v_dual_add_f32 v26, v147, v26
	v_dual_add_f32 v25, v25, v30 :: v_dual_add_f32 v26, v26, v28
	s_wait_loadcnt_dscnt 0x2
	v_mul_f32_e32 v28, v21, v18
	s_wait_dscnt 0x1
	v_mul_f32_e32 v150, v5, v2
	v_dual_mul_f32 v2, v6, v2 :: v_dual_add_f32 v25, v25, v145
	v_dual_add_f32 v26, v26, v31 :: v_dual_mul_f32 v29, v7, v4
	v_mul_f32_e32 v4, v8, v4
	s_delay_alu instid0(VALU_DEP_3) | instskip(NEXT) | instid1(VALU_DEP_4)
	v_fma_f32 v2, v5, v1, -v2
	v_dual_fmac_f32 v150, v6, v1 :: v_dual_add_f32 v1, v25, v146
	s_delay_alu instid0(VALU_DEP_4)
	v_add_f32_e32 v5, v26, v144
	s_wait_dscnt 0x0
	v_mul_f32_e32 v147, v13, v10
	v_dual_mul_f32 v6, v14, v10 :: v_dual_fmac_f32 v29, v8, v3
	v_fma_f32 v3, v7, v3, -v4
	v_add_f32_e32 v1, v1, v2
	v_dual_add_f32 v2, v5, v150 :: v_dual_mul_f32 v151, v15, v12
	v_dual_mul_f32 v4, v16, v12 :: v_dual_fmac_f32 v147, v14, v9
	v_fma_f32 v5, v13, v9, -v6
	s_delay_alu instid0(VALU_DEP_3) | instskip(SKIP_3) | instid1(VALU_DEP_4)
	v_dual_add_f32 v1, v1, v3 :: v_dual_add_f32 v2, v2, v29
	v_mul_f32_e32 v3, v22, v18
	v_fmac_f32_e32 v151, v16, v11
	v_fma_f32 v4, v15, v11, -v4
	v_dual_add_f32 v1, v1, v5 :: v_dual_add_f32 v2, v2, v147
	v_mul_f32_e32 v30, v23, v20
	v_dual_mul_f32 v5, v24, v20 :: v_dual_fmac_f32 v28, v22, v17
	v_fma_f32 v3, v21, v17, -v3
	s_delay_alu instid0(VALU_DEP_4) | instskip(NEXT) | instid1(VALU_DEP_4)
	v_dual_add_f32 v1, v1, v4 :: v_dual_add_f32 v2, v2, v151
	v_fmac_f32_e32 v30, v24, v19
	s_delay_alu instid0(VALU_DEP_4) | instskip(NEXT) | instid1(VALU_DEP_3)
	v_fma_f32 v4, v23, v19, -v5
	v_dual_add_f32 v1, v1, v3 :: v_dual_add_f32 v2, v2, v28
	s_delay_alu instid0(VALU_DEP_1) | instskip(NEXT) | instid1(VALU_DEP_1)
	v_dual_add_f32 v1, v1, v4 :: v_dual_add_f32 v2, v2, v30
	v_dual_sub_f32 v1, v148, v1 :: v_dual_sub_f32 v2, v149, v2
	scratch_store_b64 off, v[1:2], off offset:40
	v_cmpx_lt_u32_e32 4, v0
	s_cbranch_execz .LBB55_341
; %bb.340:
	scratch_load_b64 v[1:2], off, off offset:32
	v_mov_b32_e32 v3, 0
	s_delay_alu instid0(VALU_DEP_1)
	v_mov_b32_e32 v4, v3
	scratch_store_b64 off, v[3:4], off offset:32
	s_wait_loadcnt 0x0
	ds_store_b64 v27, v[1:2]
.LBB55_341:
	s_wait_alu 0xfffe
	s_or_b32 exec_lo, exec_lo, s0
	s_wait_storecnt_dscnt 0x0
	s_barrier_signal -1
	s_barrier_wait -1
	global_inv scope:SCOPE_SE
	s_clause 0x4
	scratch_load_b128 v[5:8], off, off offset:40
	scratch_load_b128 v[1:4], off, off offset:56
	;; [unrolled: 1-line block ×5, first 2 shown]
	v_mov_b32_e32 v25, 0
	ds_load_2addr_b64 v[21:24], v25 offset0:61 offset1:62
	ds_load_2addr_b64 v[28:31], v25 offset0:63 offset1:64
	;; [unrolled: 1-line block ×3, first 2 shown]
	scratch_load_b64 v[148:149], off, off offset:32
	s_mov_b32 s0, exec_lo
	s_wait_loadcnt_dscnt 0x502
	v_mul_f32_e32 v26, v21, v6
	s_wait_loadcnt_dscnt 0x300
	v_dual_mul_f32 v150, v23, v8 :: v_dual_mul_f32 v151, v144, v10
	v_mul_f32_e32 v8, v24, v8
	v_mul_f32_e32 v6, v22, v6
	v_fmac_f32_e32 v26, v22, v5
	v_mul_f32_e32 v10, v145, v10
	v_fmac_f32_e32 v151, v145, v9
	v_fma_f32 v22, v23, v7, -v8
	v_mul_f32_e32 v23, v28, v2
	v_fmac_f32_e32 v150, v24, v7
	v_mul_f32_e32 v152, v146, v12
	v_mul_f32_e32 v12, v147, v12
	;; [unrolled: 1-line block ×3, first 2 shown]
	v_fmac_f32_e32 v23, v29, v1
	v_fma_f32 v21, v21, v5, -v6
	ds_load_2addr_b64 v[5:8], v25 offset0:67 offset1:68
	v_mul_f32_e32 v24, v30, v4
	v_mul_f32_e32 v4, v31, v4
	v_fmac_f32_e32 v152, v147, v11
	s_delay_alu instid0(VALU_DEP_3) | instskip(NEXT) | instid1(VALU_DEP_3)
	v_fmac_f32_e32 v24, v31, v3
	v_fma_f32 v29, v30, v3, -v4
	v_fma_f32 v30, v144, v9, -v10
	;; [unrolled: 1-line block ×3, first 2 shown]
	ds_load_2addr_b64 v[9:12], v25 offset0:69 offset1:70
	s_wait_loadcnt_dscnt 0x201
	v_mul_f32_e32 v144, v5, v14
	v_dual_mul_f32 v14, v6, v14 :: v_dual_mul_f32 v145, v7, v16
	v_mul_f32_e32 v16, v8, v16
	s_delay_alu instid0(VALU_DEP_3) | instskip(NEXT) | instid1(VALU_DEP_3)
	v_fmac_f32_e32 v144, v6, v13
	v_fma_f32 v13, v5, v13, -v14
	s_delay_alu instid0(VALU_DEP_4) | instskip(NEXT) | instid1(VALU_DEP_4)
	v_fmac_f32_e32 v145, v8, v15
	v_fma_f32 v14, v7, v15, -v16
	ds_load_2addr_b64 v[5:8], v25 offset0:71 offset1:72
	s_wait_loadcnt_dscnt 0x101
	v_mul_f32_e32 v15, v9, v18
	v_mul_f32_e32 v16, v10, v18
	;; [unrolled: 1-line block ×3, first 2 shown]
	s_delay_alu instid0(VALU_DEP_3)
	v_dual_mul_f32 v20, v12, v20 :: v_dual_fmac_f32 v15, v10, v17
	v_fma_f32 v28, v28, v1, -v2
	scratch_load_b128 v[1:4], off, off offset:120
	v_fma_f32 v16, v9, v17, -v16
	v_fmac_f32_e32 v18, v12, v19
	v_fma_f32 v17, v11, v19, -v20
	scratch_load_b128 v[9:12], off, off offset:136
	s_wait_loadcnt_dscnt 0x100
	v_mul_f32_e32 v19, v5, v2
	v_mul_f32_e32 v2, v6, v2
	;; [unrolled: 1-line block ×3, first 2 shown]
	s_delay_alu instid0(VALU_DEP_3) | instskip(NEXT) | instid1(VALU_DEP_3)
	v_dual_mul_f32 v4, v8, v4 :: v_dual_fmac_f32 v19, v6, v1
	v_fma_f32 v146, v5, v1, -v2
	s_delay_alu instid0(VALU_DEP_3) | instskip(NEXT) | instid1(VALU_DEP_3)
	v_fmac_f32_e32 v20, v8, v3
	v_fma_f32 v147, v7, v3, -v4
	ds_load_2addr_b64 v[1:4], v25 offset0:73 offset1:74
	ds_load_2addr_b64 v[5:8], v25 offset0:75 offset1:76
	s_wait_loadcnt_dscnt 0x1
	v_mul_f32_e32 v153, v1, v10
	v_mul_f32_e32 v10, v2, v10
	s_delay_alu instid0(VALU_DEP_2) | instskip(NEXT) | instid1(VALU_DEP_2)
	v_dual_mul_f32 v154, v3, v12 :: v_dual_fmac_f32 v153, v2, v9
	v_fma_f32 v155, v1, v9, -v10
	v_mul_f32_e32 v1, v4, v12
	s_delay_alu instid0(VALU_DEP_3) | instskip(NEXT) | instid1(VALU_DEP_2)
	v_fmac_f32_e32 v154, v4, v11
	v_fma_f32 v156, v3, v11, -v1
	s_clause 0x1
	scratch_load_b128 v[1:4], off, off offset:152
	scratch_load_b128 v[9:12], off, off offset:168
	s_wait_loadcnt_dscnt 0x100
	v_mul_f32_e32 v157, v5, v2
	v_dual_mul_f32 v2, v6, v2 :: v_dual_mul_f32 v159, v7, v4
	s_delay_alu instid0(VALU_DEP_2) | instskip(NEXT) | instid1(VALU_DEP_2)
	v_fmac_f32_e32 v157, v6, v1
	v_fma_f32 v158, v5, v1, -v2
	v_mul_f32_e32 v1, v8, v4
	s_delay_alu instid0(VALU_DEP_4) | instskip(NEXT) | instid1(VALU_DEP_2)
	v_fmac_f32_e32 v159, v8, v3
	v_fma_f32 v160, v7, v3, -v1
	ds_load_2addr_b64 v[1:4], v25 offset0:77 offset1:78
	ds_load_2addr_b64 v[5:8], v25 offset0:79 offset1:80
	s_wait_loadcnt_dscnt 0x1
	v_mul_f32_e32 v161, v1, v10
	v_mul_f32_e32 v163, v3, v12
	s_delay_alu instid0(VALU_DEP_2) | instskip(NEXT) | instid1(VALU_DEP_2)
	v_fmac_f32_e32 v161, v2, v9
	v_dual_mul_f32 v2, v2, v10 :: v_dual_fmac_f32 v163, v4, v11
	s_delay_alu instid0(VALU_DEP_1) | instskip(SKIP_1) | instid1(VALU_DEP_1)
	v_fma_f32 v162, v1, v9, -v2
	v_mul_f32_e32 v1, v4, v12
	v_fma_f32 v164, v3, v11, -v1
	s_clause 0x1
	scratch_load_b128 v[1:4], off, off offset:184
	scratch_load_b128 v[9:12], off, off offset:200
	s_wait_loadcnt_dscnt 0x100
	v_mul_f32_e32 v165, v5, v2
	v_dual_mul_f32 v2, v6, v2 :: v_dual_mul_f32 v167, v7, v4
	s_delay_alu instid0(VALU_DEP_2) | instskip(NEXT) | instid1(VALU_DEP_2)
	v_fmac_f32_e32 v165, v6, v1
	v_fma_f32 v166, v5, v1, -v2
	v_mul_f32_e32 v1, v8, v4
	s_delay_alu instid0(VALU_DEP_4) | instskip(NEXT) | instid1(VALU_DEP_2)
	v_fmac_f32_e32 v167, v8, v3
	v_fma_f32 v168, v7, v3, -v1
	ds_load_2addr_b64 v[1:4], v25 offset0:81 offset1:82
	ds_load_2addr_b64 v[5:8], v25 offset0:83 offset1:84
	s_wait_loadcnt_dscnt 0x1
	v_mul_f32_e32 v169, v1, v10
	v_mul_f32_e32 v171, v3, v12
	s_delay_alu instid0(VALU_DEP_2) | instskip(NEXT) | instid1(VALU_DEP_2)
	v_fmac_f32_e32 v169, v2, v9
	v_dual_mul_f32 v2, v2, v10 :: v_dual_fmac_f32 v171, v4, v11
	s_delay_alu instid0(VALU_DEP_1) | instskip(SKIP_1) | instid1(VALU_DEP_1)
	v_fma_f32 v170, v1, v9, -v2
	v_mul_f32_e32 v1, v4, v12
	;; [unrolled: 25-line block ×6, first 2 shown]
	v_fma_f32 v204, v3, v11, -v1
	s_clause 0x1
	scratch_load_b128 v[1:4], off, off offset:344
	scratch_load_b128 v[9:12], off, off offset:360
	s_wait_loadcnt_dscnt 0x100
	v_mul_f32_e32 v205, v5, v2
	v_mul_f32_e32 v2, v6, v2
	s_delay_alu instid0(VALU_DEP_2) | instskip(NEXT) | instid1(VALU_DEP_2)
	v_fmac_f32_e32 v205, v6, v1
	v_fma_f32 v206, v5, v1, -v2
	v_dual_add_f32 v2, 0, v26 :: v_dual_mul_f32 v1, v8, v4
	s_delay_alu instid0(VALU_DEP_1) | instskip(NEXT) | instid1(VALU_DEP_2)
	v_add_f32_e32 v2, v2, v150
	v_fma_f32 v208, v7, v3, -v1
	s_delay_alu instid0(VALU_DEP_2) | instskip(NEXT) | instid1(VALU_DEP_1)
	v_dual_add_f32 v1, 0, v21 :: v_dual_add_f32 v2, v2, v23
	v_dual_add_f32 v1, v1, v22 :: v_dual_add_f32 v2, v2, v24
	s_delay_alu instid0(VALU_DEP_1) | instskip(NEXT) | instid1(VALU_DEP_1)
	v_add_f32_e32 v2, v2, v151
	v_add_f32_e32 v2, v2, v152
	s_delay_alu instid0(VALU_DEP_1) | instskip(NEXT) | instid1(VALU_DEP_1)
	v_add_f32_e32 v2, v2, v144
	v_add_f32_e32 v2, v2, v145
	;; [unrolled: 3-line block ×4, first 2 shown]
	s_delay_alu instid0(VALU_DEP_1) | instskip(NEXT) | instid1(VALU_DEP_1)
	v_dual_add_f32 v1, v1, v28 :: v_dual_add_f32 v2, v2, v153
	v_add_f32_e32 v1, v1, v29
	scratch_load_b64 v[28:29], off, off offset:440
	v_add_f32_e32 v2, v2, v154
	s_delay_alu instid0(VALU_DEP_1) | instskip(NEXT) | instid1(VALU_DEP_1)
	v_dual_add_f32 v1, v1, v30 :: v_dual_add_f32 v2, v2, v157
	v_add_f32_e32 v1, v1, v31
	s_delay_alu instid0(VALU_DEP_1) | instskip(NEXT) | instid1(VALU_DEP_1)
	v_dual_add_f32 v2, v2, v159 :: v_dual_add_f32 v1, v1, v13
	v_dual_add_f32 v2, v2, v161 :: v_dual_add_f32 v1, v1, v14
	s_delay_alu instid0(VALU_DEP_1) | instskip(NEXT) | instid1(VALU_DEP_1)
	v_dual_add_f32 v2, v2, v163 :: v_dual_add_f32 v1, v1, v16
	v_add_f32_e32 v2, v2, v165
	s_delay_alu instid0(VALU_DEP_1) | instskip(NEXT) | instid1(VALU_DEP_1)
	v_dual_add_f32 v1, v1, v17 :: v_dual_add_f32 v2, v2, v167
	v_dual_add_f32 v1, v1, v146 :: v_dual_add_f32 v2, v2, v169
	s_delay_alu instid0(VALU_DEP_1) | instskip(NEXT) | instid1(VALU_DEP_2)
	v_add_f32_e32 v1, v1, v147
	v_add_f32_e32 v2, v2, v171
	s_delay_alu instid0(VALU_DEP_2) | instskip(NEXT) | instid1(VALU_DEP_1)
	v_add_f32_e32 v1, v1, v155
	v_add_f32_e32 v1, v1, v156
	s_delay_alu instid0(VALU_DEP_1) | instskip(NEXT) | instid1(VALU_DEP_1)
	v_add_f32_e32 v1, v1, v158
	v_add_f32_e32 v1, v1, v160
	s_delay_alu instid0(VALU_DEP_1) | instskip(NEXT) | instid1(VALU_DEP_1)
	;; [unrolled: 3-line block ×6, first 2 shown]
	v_add_f32_e32 v1, v1, v178
	v_add_f32_e32 v1, v1, v180
	s_delay_alu instid0(VALU_DEP_1) | instskip(SKIP_1) | instid1(VALU_DEP_2)
	v_add_f32_e32 v6, v1, v182
	v_add_f32_e32 v2, v2, v173
	;; [unrolled: 1-line block ×3, first 2 shown]
	s_delay_alu instid0(VALU_DEP_2) | instskip(NEXT) | instid1(VALU_DEP_2)
	v_dual_add_f32 v2, v2, v175 :: v_dual_mul_f32 v207, v7, v4
	v_add_f32_e32 v14, v14, v186
	s_delay_alu instid0(VALU_DEP_2) | instskip(NEXT) | instid1(VALU_DEP_2)
	v_dual_add_f32 v2, v2, v177 :: v_dual_fmac_f32 v207, v8, v3
	v_add_f32_e32 v17, v14, v188
	s_delay_alu instid0(VALU_DEP_2)
	v_add_f32_e32 v5, v2, v179
	scratch_load_b128 v[1:4], off, off offset:376
	v_add_f32_e32 v17, v17, v190
	v_add_f32_e32 v13, v5, v181
	ds_load_2addr_b64 v[5:8], v25 offset0:101 offset1:102
	v_add_f32_e32 v17, v17, v192
	v_add_f32_e32 v13, v13, v183
	s_delay_alu instid0(VALU_DEP_2) | instskip(NEXT) | instid1(VALU_DEP_2)
	v_add_f32_e32 v17, v17, v194
	v_add_f32_e32 v13, v13, v185
	s_delay_alu instid0(VALU_DEP_2) | instskip(NEXT) | instid1(VALU_DEP_2)
	v_add_f32_e32 v22, v17, v196
	v_add_f32_e32 v18, v13, v187
	ds_load_2addr_b64 v[13:16], v25 offset0:103 offset1:104
	v_add_f32_e32 v22, v22, v198
	s_wait_loadcnt_dscnt 0x201
	v_mul_f32_e32 v26, v5, v10
	v_mul_f32_e32 v10, v6, v10
	;; [unrolled: 1-line block ×4, first 2 shown]
	v_add_f32_e32 v18, v18, v189
	v_fmac_f32_e32 v26, v6, v9
	v_fma_f32 v145, v5, v9, -v10
	v_fmac_f32_e32 v144, v8, v11
	v_fma_f32 v146, v7, v11, -v12
	s_clause 0x1
	scratch_load_b128 v[5:8], off, off offset:392
	scratch_load_b128 v[9:12], off, off offset:408
	v_add_f32_e32 v18, v18, v191
	v_add_f32_e32 v22, v22, v200
	s_delay_alu instid0(VALU_DEP_2) | instskip(SKIP_2) | instid1(VALU_DEP_1)
	v_add_f32_e32 v21, v18, v193
	scratch_load_b128 v[17:20], off, off offset:424
	v_dual_add_f32 v22, v22, v202 :: v_dual_add_f32 v21, v21, v195
	v_add_f32_e32 v21, v21, v197
	s_delay_alu instid0(VALU_DEP_1) | instskip(SKIP_4) | instid1(VALU_DEP_3)
	v_add_f32_e32 v21, v21, v199
	s_wait_loadcnt_dscnt 0x300
	v_mul_f32_e32 v147, v13, v2
	v_mul_f32_e32 v2, v14, v2
	v_mul_f32_e32 v150, v15, v4
	v_dual_mul_f32 v4, v16, v4 :: v_dual_fmac_f32 v147, v14, v1
	s_delay_alu instid0(VALU_DEP_3) | instskip(SKIP_1) | instid1(VALU_DEP_4)
	v_fma_f32 v151, v13, v1, -v2
	v_dual_add_f32 v13, v21, v201 :: v_dual_add_f32 v14, v22, v204
	v_fmac_f32_e32 v150, v16, v3
	s_delay_alu instid0(VALU_DEP_4)
	v_fma_f32 v152, v15, v3, -v4
	ds_load_2addr_b64 v[1:4], v25 offset0:105 offset1:106
	v_dual_add_f32 v21, v13, v203 :: v_dual_add_f32 v30, v14, v206
	ds_load_2addr_b64 v[13:16], v25 offset0:107 offset1:108
	v_add_f32_e32 v31, v21, v205
	v_add_f32_e32 v153, v30, v208
	ds_load_2addr_b64 v[21:24], v25 offset0:109 offset1:110
	v_dual_add_f32 v154, v31, v207 :: v_dual_add_f32 v145, v153, v145
	ds_load_b64 v[30:31], v25 offset:888
	v_add_f32_e32 v26, v154, v26
	s_delay_alu instid0(VALU_DEP_1) | instskip(NEXT) | instid1(VALU_DEP_1)
	v_dual_add_f32 v145, v145, v146 :: v_dual_add_f32 v26, v26, v144
	v_add_f32_e32 v145, v145, v151
	s_wait_loadcnt_dscnt 0x203
	v_mul_f32_e32 v153, v1, v6
	v_mul_f32_e32 v6, v2, v6
	;; [unrolled: 1-line block ×3, first 2 shown]
	v_add_f32_e32 v26, v26, v147
	v_mul_f32_e32 v8, v4, v8
	v_add_f32_e32 v145, v145, v152
	v_fma_f32 v1, v1, v5, -v6
	v_fmac_f32_e32 v153, v2, v5
	v_add_f32_e32 v26, v26, v150
	s_wait_loadcnt_dscnt 0x102
	v_mul_f32_e32 v146, v13, v10
	v_fmac_f32_e32 v144, v4, v7
	v_fma_f32 v2, v3, v7, -v8
	v_mul_f32_e32 v3, v14, v10
	v_add_f32_e32 v1, v145, v1
	v_dual_add_f32 v4, v26, v153 :: v_dual_mul_f32 v147, v15, v12
	v_dual_mul_f32 v5, v16, v12 :: v_dual_fmac_f32 v146, v14, v9
	s_delay_alu instid0(VALU_DEP_4) | instskip(NEXT) | instid1(VALU_DEP_3)
	v_fma_f32 v3, v13, v9, -v3
	v_dual_add_f32 v1, v1, v2 :: v_dual_add_f32 v2, v4, v144
	s_wait_loadcnt_dscnt 0x1
	v_mul_f32_e32 v151, v21, v18
	v_dual_mul_f32 v4, v22, v18 :: v_dual_fmac_f32 v147, v16, v11
	v_fma_f32 v5, v15, v11, -v5
	v_dual_add_f32 v1, v1, v3 :: v_dual_add_f32 v2, v2, v146
	v_mul_f32_e32 v152, v23, v20
	v_mul_f32_e32 v3, v24, v20
	v_fmac_f32_e32 v151, v22, v17
	v_fma_f32 v4, v21, v17, -v4
	v_dual_add_f32 v1, v1, v5 :: v_dual_add_f32 v2, v2, v147
	s_wait_dscnt 0x0
	v_mul_f32_e32 v150, v30, v29
	v_dual_mul_f32 v5, v31, v29 :: v_dual_fmac_f32 v152, v24, v19
	v_fma_f32 v3, v23, v19, -v3
	v_dual_add_f32 v1, v1, v4 :: v_dual_add_f32 v2, v2, v151
	s_delay_alu instid0(VALU_DEP_4) | instskip(NEXT) | instid1(VALU_DEP_4)
	v_fmac_f32_e32 v150, v31, v28
	v_fma_f32 v4, v30, v28, -v5
	s_delay_alu instid0(VALU_DEP_3) | instskip(NEXT) | instid1(VALU_DEP_1)
	v_dual_add_f32 v1, v1, v3 :: v_dual_add_f32 v2, v2, v152
	v_dual_add_f32 v1, v1, v4 :: v_dual_add_f32 v2, v2, v150
	s_delay_alu instid0(VALU_DEP_1)
	v_dual_sub_f32 v1, v148, v1 :: v_dual_sub_f32 v2, v149, v2
	scratch_store_b64 off, v[1:2], off offset:32
	v_cmpx_lt_u32_e32 3, v0
	s_cbranch_execz .LBB55_343
; %bb.342:
	scratch_load_b64 v[1:2], off, off offset:24
	v_mov_b32_e32 v26, v25
	scratch_store_b64 off, v[25:26], off offset:24
	s_wait_loadcnt 0x0
	ds_store_b64 v27, v[1:2]
.LBB55_343:
	s_wait_alu 0xfffe
	s_or_b32 exec_lo, exec_lo, s0
	s_wait_storecnt_dscnt 0x0
	s_barrier_signal -1
	s_barrier_wait -1
	global_inv scope:SCOPE_SE
	s_clause 0x4
	scratch_load_b128 v[5:8], off, off offset:32
	scratch_load_b128 v[1:4], off, off offset:48
	;; [unrolled: 1-line block ×5, first 2 shown]
	ds_load_b128 v[21:24], v25 offset:480
	ds_load_b128 v[28:31], v25 offset:496
	;; [unrolled: 1-line block ×3, first 2 shown]
	scratch_load_b64 v[148:149], off, off offset:24
	s_mov_b32 s0, exec_lo
	s_wait_loadcnt_dscnt 0x502
	v_mul_f32_e32 v26, v21, v6
	s_wait_loadcnt_dscnt 0x300
	v_dual_mul_f32 v150, v23, v8 :: v_dual_mul_f32 v151, v144, v10
	v_mul_f32_e32 v8, v24, v8
	v_mul_f32_e32 v6, v22, v6
	v_fmac_f32_e32 v26, v22, v5
	v_mul_f32_e32 v10, v145, v10
	v_fmac_f32_e32 v151, v145, v9
	v_fma_f32 v22, v23, v7, -v8
	v_mul_f32_e32 v23, v28, v2
	v_fmac_f32_e32 v150, v24, v7
	v_mul_f32_e32 v152, v146, v12
	v_mul_f32_e32 v12, v147, v12
	;; [unrolled: 1-line block ×3, first 2 shown]
	v_fmac_f32_e32 v23, v29, v1
	v_fma_f32 v21, v21, v5, -v6
	ds_load_b128 v[5:8], v25 offset:528
	v_mul_f32_e32 v24, v30, v4
	v_mul_f32_e32 v4, v31, v4
	v_fmac_f32_e32 v152, v147, v11
	s_delay_alu instid0(VALU_DEP_3) | instskip(NEXT) | instid1(VALU_DEP_3)
	v_fmac_f32_e32 v24, v31, v3
	v_fma_f32 v29, v30, v3, -v4
	v_fma_f32 v30, v144, v9, -v10
	;; [unrolled: 1-line block ×3, first 2 shown]
	ds_load_b128 v[9:12], v25 offset:544
	s_wait_loadcnt_dscnt 0x201
	v_mul_f32_e32 v144, v5, v14
	v_dual_mul_f32 v14, v6, v14 :: v_dual_mul_f32 v145, v7, v16
	v_mul_f32_e32 v16, v8, v16
	s_delay_alu instid0(VALU_DEP_3) | instskip(NEXT) | instid1(VALU_DEP_3)
	v_fmac_f32_e32 v144, v6, v13
	v_fma_f32 v13, v5, v13, -v14
	s_delay_alu instid0(VALU_DEP_4) | instskip(NEXT) | instid1(VALU_DEP_4)
	v_fmac_f32_e32 v145, v8, v15
	v_fma_f32 v14, v7, v15, -v16
	ds_load_b128 v[5:8], v25 offset:560
	s_wait_loadcnt_dscnt 0x101
	v_mul_f32_e32 v15, v9, v18
	v_mul_f32_e32 v16, v10, v18
	;; [unrolled: 1-line block ×3, first 2 shown]
	s_delay_alu instid0(VALU_DEP_3)
	v_dual_mul_f32 v20, v12, v20 :: v_dual_fmac_f32 v15, v10, v17
	v_fma_f32 v28, v28, v1, -v2
	scratch_load_b128 v[1:4], off, off offset:112
	v_fma_f32 v16, v9, v17, -v16
	v_fmac_f32_e32 v18, v12, v19
	v_fma_f32 v17, v11, v19, -v20
	scratch_load_b128 v[9:12], off, off offset:128
	s_wait_loadcnt_dscnt 0x100
	v_mul_f32_e32 v19, v5, v2
	v_mul_f32_e32 v2, v6, v2
	;; [unrolled: 1-line block ×3, first 2 shown]
	s_delay_alu instid0(VALU_DEP_3) | instskip(NEXT) | instid1(VALU_DEP_3)
	v_dual_mul_f32 v4, v8, v4 :: v_dual_fmac_f32 v19, v6, v1
	v_fma_f32 v146, v5, v1, -v2
	s_delay_alu instid0(VALU_DEP_3) | instskip(NEXT) | instid1(VALU_DEP_3)
	v_fmac_f32_e32 v20, v8, v3
	v_fma_f32 v147, v7, v3, -v4
	ds_load_b128 v[1:4], v25 offset:576
	ds_load_b128 v[5:8], v25 offset:592
	s_wait_loadcnt_dscnt 0x1
	v_mul_f32_e32 v153, v1, v10
	v_mul_f32_e32 v10, v2, v10
	s_delay_alu instid0(VALU_DEP_2) | instskip(NEXT) | instid1(VALU_DEP_2)
	v_dual_mul_f32 v154, v3, v12 :: v_dual_fmac_f32 v153, v2, v9
	v_fma_f32 v155, v1, v9, -v10
	v_mul_f32_e32 v1, v4, v12
	s_delay_alu instid0(VALU_DEP_3) | instskip(NEXT) | instid1(VALU_DEP_2)
	v_fmac_f32_e32 v154, v4, v11
	v_fma_f32 v156, v3, v11, -v1
	s_clause 0x1
	scratch_load_b128 v[1:4], off, off offset:144
	scratch_load_b128 v[9:12], off, off offset:160
	s_wait_loadcnt_dscnt 0x100
	v_mul_f32_e32 v157, v5, v2
	v_dual_mul_f32 v2, v6, v2 :: v_dual_mul_f32 v159, v7, v4
	s_delay_alu instid0(VALU_DEP_2) | instskip(NEXT) | instid1(VALU_DEP_2)
	v_fmac_f32_e32 v157, v6, v1
	v_fma_f32 v158, v5, v1, -v2
	v_mul_f32_e32 v1, v8, v4
	s_delay_alu instid0(VALU_DEP_4) | instskip(NEXT) | instid1(VALU_DEP_2)
	v_fmac_f32_e32 v159, v8, v3
	v_fma_f32 v160, v7, v3, -v1
	ds_load_b128 v[1:4], v25 offset:608
	ds_load_b128 v[5:8], v25 offset:624
	s_wait_loadcnt_dscnt 0x1
	v_mul_f32_e32 v161, v1, v10
	v_mul_f32_e32 v163, v3, v12
	s_delay_alu instid0(VALU_DEP_2) | instskip(NEXT) | instid1(VALU_DEP_2)
	v_fmac_f32_e32 v161, v2, v9
	v_dual_mul_f32 v2, v2, v10 :: v_dual_fmac_f32 v163, v4, v11
	s_delay_alu instid0(VALU_DEP_1) | instskip(SKIP_1) | instid1(VALU_DEP_1)
	v_fma_f32 v162, v1, v9, -v2
	v_mul_f32_e32 v1, v4, v12
	v_fma_f32 v164, v3, v11, -v1
	s_clause 0x1
	scratch_load_b128 v[1:4], off, off offset:176
	scratch_load_b128 v[9:12], off, off offset:192
	s_wait_loadcnt_dscnt 0x100
	v_mul_f32_e32 v165, v5, v2
	v_dual_mul_f32 v2, v6, v2 :: v_dual_mul_f32 v167, v7, v4
	s_delay_alu instid0(VALU_DEP_2) | instskip(NEXT) | instid1(VALU_DEP_2)
	v_fmac_f32_e32 v165, v6, v1
	v_fma_f32 v166, v5, v1, -v2
	v_mul_f32_e32 v1, v8, v4
	s_delay_alu instid0(VALU_DEP_4) | instskip(NEXT) | instid1(VALU_DEP_2)
	v_fmac_f32_e32 v167, v8, v3
	v_fma_f32 v168, v7, v3, -v1
	ds_load_b128 v[1:4], v25 offset:640
	ds_load_b128 v[5:8], v25 offset:656
	s_wait_loadcnt_dscnt 0x1
	v_mul_f32_e32 v169, v1, v10
	v_mul_f32_e32 v171, v3, v12
	s_delay_alu instid0(VALU_DEP_2) | instskip(NEXT) | instid1(VALU_DEP_2)
	v_fmac_f32_e32 v169, v2, v9
	v_dual_mul_f32 v2, v2, v10 :: v_dual_fmac_f32 v171, v4, v11
	s_delay_alu instid0(VALU_DEP_1) | instskip(SKIP_1) | instid1(VALU_DEP_1)
	v_fma_f32 v170, v1, v9, -v2
	v_mul_f32_e32 v1, v4, v12
	;; [unrolled: 25-line block ×7, first 2 shown]
	v_fma_f32 v212, v3, v11, -v1
	s_clause 0x1
	scratch_load_b128 v[1:4], off, off offset:368
	scratch_load_b128 v[9:12], off, off offset:384
	s_wait_loadcnt_dscnt 0x100
	v_mul_f32_e32 v213, v5, v2
	v_dual_mul_f32 v2, v6, v2 :: v_dual_mul_f32 v215, v7, v4
	s_delay_alu instid0(VALU_DEP_2) | instskip(NEXT) | instid1(VALU_DEP_2)
	v_fmac_f32_e32 v213, v6, v1
	v_fma_f32 v214, v5, v1, -v2
	v_add_f32_e32 v2, 0, v26
	s_delay_alu instid0(VALU_DEP_1) | instskip(NEXT) | instid1(VALU_DEP_1)
	v_add_f32_e32 v2, v2, v150
	v_add_f32_e32 v2, v2, v23
	s_delay_alu instid0(VALU_DEP_1) | instskip(NEXT) | instid1(VALU_DEP_1)
	v_add_f32_e32 v2, v2, v24
	v_add_f32_e32 v2, v2, v151
	s_delay_alu instid0(VALU_DEP_1) | instskip(NEXT) | instid1(VALU_DEP_1)
	v_add_f32_e32 v2, v2, v152
	v_add_f32_e32 v2, v2, v144
	s_delay_alu instid0(VALU_DEP_1) | instskip(NEXT) | instid1(VALU_DEP_1)
	v_add_f32_e32 v2, v2, v145
	v_add_f32_e32 v2, v2, v15
	s_delay_alu instid0(VALU_DEP_1) | instskip(NEXT) | instid1(VALU_DEP_1)
	v_add_f32_e32 v2, v2, v18
	v_add_f32_e32 v2, v2, v19
	s_delay_alu instid0(VALU_DEP_1) | instskip(NEXT) | instid1(VALU_DEP_1)
	v_add_f32_e32 v2, v2, v20
	v_dual_mul_f32 v1, v8, v4 :: v_dual_add_f32 v2, v2, v153
	s_delay_alu instid0(VALU_DEP_1) | instskip(NEXT) | instid1(VALU_DEP_2)
	v_fma_f32 v216, v7, v3, -v1
	v_dual_add_f32 v1, 0, v21 :: v_dual_add_f32 v2, v2, v154
	s_delay_alu instid0(VALU_DEP_1) | instskip(NEXT) | instid1(VALU_DEP_1)
	v_dual_add_f32 v1, v1, v22 :: v_dual_add_f32 v2, v2, v157
	v_dual_add_f32 v1, v1, v28 :: v_dual_add_f32 v2, v2, v159
	s_delay_alu instid0(VALU_DEP_1) | instskip(NEXT) | instid1(VALU_DEP_1)
	v_add_f32_e32 v1, v1, v29
	v_dual_add_f32 v2, v2, v161 :: v_dual_add_f32 v1, v1, v30
	s_delay_alu instid0(VALU_DEP_1) | instskip(NEXT) | instid1(VALU_DEP_1)
	v_add_f32_e32 v2, v2, v163
	v_dual_add_f32 v1, v1, v31 :: v_dual_add_f32 v2, v2, v165
	s_delay_alu instid0(VALU_DEP_1) | instskip(NEXT) | instid1(VALU_DEP_1)
	v_dual_add_f32 v1, v1, v13 :: v_dual_add_f32 v2, v2, v167
	v_dual_add_f32 v1, v1, v14 :: v_dual_add_f32 v2, v2, v169
	s_delay_alu instid0(VALU_DEP_1) | instskip(NEXT) | instid1(VALU_DEP_1)
	v_dual_add_f32 v1, v1, v16 :: v_dual_add_f32 v2, v2, v171
	v_add_f32_e32 v1, v1, v17
	s_delay_alu instid0(VALU_DEP_1) | instskip(NEXT) | instid1(VALU_DEP_1)
	v_dual_add_f32 v2, v2, v173 :: v_dual_add_f32 v1, v1, v146
	v_add_f32_e32 v2, v2, v175
	s_delay_alu instid0(VALU_DEP_2) | instskip(NEXT) | instid1(VALU_DEP_1)
	v_add_f32_e32 v1, v1, v147
	v_add_f32_e32 v1, v1, v155
	s_delay_alu instid0(VALU_DEP_1) | instskip(NEXT) | instid1(VALU_DEP_1)
	v_add_f32_e32 v1, v1, v156
	v_add_f32_e32 v1, v1, v158
	s_delay_alu instid0(VALU_DEP_1) | instskip(NEXT) | instid1(VALU_DEP_1)
	;; [unrolled: 3-line block ×8, first 2 shown]
	v_add_f32_e32 v1, v1, v184
	v_add_f32_e32 v1, v1, v186
	s_delay_alu instid0(VALU_DEP_1) | instskip(SKIP_1) | instid1(VALU_DEP_2)
	v_add_f32_e32 v6, v1, v188
	v_add_f32_e32 v2, v2, v177
	;; [unrolled: 1-line block ×3, first 2 shown]
	s_delay_alu instid0(VALU_DEP_2) | instskip(NEXT) | instid1(VALU_DEP_2)
	v_add_f32_e32 v2, v2, v179
	v_add_f32_e32 v13, v6, v192
	s_delay_alu instid0(VALU_DEP_1) | instskip(NEXT) | instid1(VALU_DEP_1)
	v_dual_add_f32 v2, v2, v181 :: v_dual_add_f32 v13, v13, v194
	v_dual_add_f32 v2, v2, v183 :: v_dual_add_f32 v13, v13, v196
	s_delay_alu instid0(VALU_DEP_1) | instskip(NEXT) | instid1(VALU_DEP_2)
	v_add_f32_e32 v5, v2, v185
	v_add_f32_e32 v13, v13, v198
	s_delay_alu instid0(VALU_DEP_2) | instskip(NEXT) | instid1(VALU_DEP_2)
	v_add_f32_e32 v5, v5, v187
	v_dual_add_f32 v18, v13, v200 :: v_dual_fmac_f32 v215, v8, v3
	ds_load_b128 v[1:4], v25 offset:832
	v_dual_add_f32 v5, v5, v189 :: v_dual_add_f32 v18, v18, v202
	s_delay_alu instid0(VALU_DEP_1) | instskip(SKIP_2) | instid1(VALU_DEP_1)
	v_add_f32_e32 v14, v5, v191
	ds_load_b128 v[5:8], v25 offset:848
	v_add_f32_e32 v18, v18, v204
	v_add_f32_e32 v21, v18, v206
	s_delay_alu instid0(VALU_DEP_1)
	v_add_f32_e32 v31, v21, v208
	s_wait_loadcnt_dscnt 0x1
	v_mul_f32_e32 v26, v1, v10
	v_mul_f32_e32 v28, v3, v12
	;; [unrolled: 1-line block ×4, first 2 shown]
	v_add_f32_e32 v14, v14, v193
	v_fmac_f32_e32 v26, v2, v9
	v_fmac_f32_e32 v28, v4, v11
	v_fma_f32 v29, v1, v9, -v10
	v_fma_f32 v30, v3, v11, -v12
	s_clause 0x1
	scratch_load_b128 v[1:4], off, off offset:400
	scratch_load_b128 v[9:12], off, off offset:416
	v_add_f32_e32 v14, v14, v195
	s_delay_alu instid0(VALU_DEP_1) | instskip(SKIP_2) | instid1(VALU_DEP_1)
	v_add_f32_e32 v17, v14, v197
	scratch_load_b128 v[13:16], off, off offset:432
	v_add_f32_e32 v17, v17, v199
	v_add_f32_e32 v17, v17, v201
	s_delay_alu instid0(VALU_DEP_1) | instskip(NEXT) | instid1(VALU_DEP_1)
	v_add_f32_e32 v17, v17, v203
	v_add_f32_e32 v22, v17, v205
	ds_load_b128 v[17:20], v25 offset:864
	v_add_f32_e32 v144, v22, v207
	ds_load_b128 v[21:24], v25 offset:880
	v_add_f32_e32 v25, v31, v210
	s_delay_alu instid0(VALU_DEP_1) | instskip(NEXT) | instid1(VALU_DEP_1)
	v_add_f32_e32 v25, v25, v212
	v_add_f32_e32 v25, v25, v214
	s_delay_alu instid0(VALU_DEP_1) | instskip(NEXT) | instid1(VALU_DEP_1)
	v_add_f32_e32 v25, v25, v216
	v_add_f32_e32 v25, v25, v29
	s_wait_loadcnt_dscnt 0x101
	v_dual_mul_f32 v145, v7, v4 :: v_dual_mul_f32 v146, v17, v10
	v_dual_add_f32 v31, v144, v209 :: v_dual_mul_f32 v144, v5, v2
	v_mul_f32_e32 v2, v6, v2
	v_mul_f32_e32 v4, v8, v4
	s_delay_alu instid0(VALU_DEP_4) | instskip(SKIP_4) | instid1(VALU_DEP_3)
	v_fmac_f32_e32 v145, v8, v3
	s_wait_loadcnt_dscnt 0x0
	v_dual_add_f32 v31, v31, v211 :: v_dual_mul_f32 v150, v21, v14
	v_fma_f32 v2, v5, v1, -v2
	v_dual_fmac_f32 v144, v6, v1 :: v_dual_add_f32 v1, v25, v30
	v_dual_add_f32 v31, v31, v213 :: v_dual_mul_f32 v6, v18, v10
	v_fma_f32 v3, v7, v3, -v4
	v_mul_f32_e32 v147, v19, v12
	s_delay_alu instid0(VALU_DEP_4) | instskip(NEXT) | instid1(VALU_DEP_4)
	v_add_f32_e32 v1, v1, v2
	v_dual_add_f32 v31, v31, v215 :: v_dual_mul_f32 v4, v20, v12
	s_delay_alu instid0(VALU_DEP_3) | instskip(NEXT) | instid1(VALU_DEP_2)
	v_dual_fmac_f32 v146, v18, v9 :: v_dual_fmac_f32 v147, v20, v11
	v_dual_add_f32 v1, v1, v3 :: v_dual_add_f32 v26, v31, v26
	v_mul_f32_e32 v3, v22, v14
	s_delay_alu instid0(VALU_DEP_4) | instskip(SKIP_1) | instid1(VALU_DEP_4)
	v_fma_f32 v4, v19, v11, -v4
	v_dual_mul_f32 v29, v23, v16 :: v_dual_fmac_f32 v150, v22, v13
	v_add_f32_e32 v5, v26, v28
	s_delay_alu instid0(VALU_DEP_4) | instskip(NEXT) | instid1(VALU_DEP_2)
	v_fma_f32 v3, v21, v13, -v3
	v_dual_fmac_f32 v29, v24, v15 :: v_dual_add_f32 v2, v5, v144
	v_fma_f32 v5, v17, v9, -v6
	s_delay_alu instid0(VALU_DEP_2) | instskip(NEXT) | instid1(VALU_DEP_2)
	v_add_f32_e32 v2, v2, v145
	v_add_f32_e32 v1, v1, v5
	s_delay_alu instid0(VALU_DEP_2) | instskip(NEXT) | instid1(VALU_DEP_2)
	v_dual_mul_f32 v5, v24, v16 :: v_dual_add_f32 v2, v2, v146
	v_add_f32_e32 v1, v1, v4
	s_delay_alu instid0(VALU_DEP_2) | instskip(NEXT) | instid1(VALU_DEP_3)
	v_fma_f32 v4, v23, v15, -v5
	v_add_f32_e32 v2, v2, v147
	s_delay_alu instid0(VALU_DEP_1) | instskip(NEXT) | instid1(VALU_DEP_1)
	v_dual_add_f32 v1, v1, v3 :: v_dual_add_f32 v2, v2, v150
	v_dual_add_f32 v1, v1, v4 :: v_dual_add_f32 v2, v2, v29
	s_delay_alu instid0(VALU_DEP_1)
	v_dual_sub_f32 v1, v148, v1 :: v_dual_sub_f32 v2, v149, v2
	scratch_store_b64 off, v[1:2], off offset:24
	v_cmpx_lt_u32_e32 2, v0
	s_cbranch_execz .LBB55_345
; %bb.344:
	scratch_load_b64 v[1:2], off, off offset:16
	v_mov_b32_e32 v3, 0
	s_delay_alu instid0(VALU_DEP_1)
	v_mov_b32_e32 v4, v3
	scratch_store_b64 off, v[3:4], off offset:16
	s_wait_loadcnt 0x0
	ds_store_b64 v27, v[1:2]
.LBB55_345:
	s_wait_alu 0xfffe
	s_or_b32 exec_lo, exec_lo, s0
	s_wait_storecnt_dscnt 0x0
	s_barrier_signal -1
	s_barrier_wait -1
	global_inv scope:SCOPE_SE
	s_clause 0x4
	scratch_load_b128 v[5:8], off, off offset:24
	scratch_load_b128 v[1:4], off, off offset:40
	scratch_load_b128 v[9:12], off, off offset:56
	scratch_load_b128 v[13:16], off, off offset:72
	scratch_load_b128 v[17:20], off, off offset:88
	v_mov_b32_e32 v25, 0
	ds_load_2addr_b64 v[21:24], v25 offset0:59 offset1:60
	ds_load_2addr_b64 v[28:31], v25 offset0:61 offset1:62
	;; [unrolled: 1-line block ×3, first 2 shown]
	scratch_load_b64 v[148:149], off, off offset:16
	s_mov_b32 s0, exec_lo
	s_wait_loadcnt_dscnt 0x502
	v_mul_f32_e32 v26, v21, v6
	s_wait_loadcnt_dscnt 0x300
	v_dual_mul_f32 v150, v23, v8 :: v_dual_mul_f32 v151, v144, v10
	v_mul_f32_e32 v8, v24, v8
	v_mul_f32_e32 v6, v22, v6
	v_fmac_f32_e32 v26, v22, v5
	s_delay_alu instid0(VALU_DEP_4) | instskip(NEXT) | instid1(VALU_DEP_4)
	v_dual_mul_f32 v152, v146, v12 :: v_dual_fmac_f32 v151, v145, v9
	v_fma_f32 v22, v23, v7, -v8
	v_mul_f32_e32 v23, v28, v2
	v_fmac_f32_e32 v150, v24, v7
	v_mul_f32_e32 v10, v145, v10
	v_mul_f32_e32 v12, v147, v12
	;; [unrolled: 1-line block ×3, first 2 shown]
	v_fmac_f32_e32 v23, v29, v1
	v_fma_f32 v21, v21, v5, -v6
	ds_load_2addr_b64 v[5:8], v25 offset0:65 offset1:66
	v_mul_f32_e32 v24, v30, v4
	v_mul_f32_e32 v4, v31, v4
	v_fmac_f32_e32 v152, v147, v11
	s_delay_alu instid0(VALU_DEP_3) | instskip(NEXT) | instid1(VALU_DEP_3)
	v_fmac_f32_e32 v24, v31, v3
	v_fma_f32 v29, v30, v3, -v4
	v_fma_f32 v30, v144, v9, -v10
	;; [unrolled: 1-line block ×3, first 2 shown]
	ds_load_2addr_b64 v[9:12], v25 offset0:67 offset1:68
	s_wait_loadcnt_dscnt 0x201
	v_mul_f32_e32 v144, v5, v14
	v_dual_mul_f32 v14, v6, v14 :: v_dual_mul_f32 v145, v7, v16
	v_mul_f32_e32 v16, v8, v16
	s_delay_alu instid0(VALU_DEP_3) | instskip(NEXT) | instid1(VALU_DEP_3)
	v_fmac_f32_e32 v144, v6, v13
	v_fma_f32 v13, v5, v13, -v14
	s_delay_alu instid0(VALU_DEP_4) | instskip(NEXT) | instid1(VALU_DEP_4)
	v_fmac_f32_e32 v145, v8, v15
	v_fma_f32 v14, v7, v15, -v16
	ds_load_2addr_b64 v[5:8], v25 offset0:69 offset1:70
	s_wait_loadcnt_dscnt 0x101
	v_mul_f32_e32 v15, v9, v18
	v_mul_f32_e32 v16, v10, v18
	;; [unrolled: 1-line block ×3, first 2 shown]
	s_delay_alu instid0(VALU_DEP_3)
	v_dual_mul_f32 v20, v12, v20 :: v_dual_fmac_f32 v15, v10, v17
	v_fma_f32 v28, v28, v1, -v2
	scratch_load_b128 v[1:4], off, off offset:104
	v_fma_f32 v16, v9, v17, -v16
	v_fmac_f32_e32 v18, v12, v19
	v_fma_f32 v17, v11, v19, -v20
	scratch_load_b128 v[9:12], off, off offset:120
	s_wait_loadcnt_dscnt 0x100
	v_mul_f32_e32 v19, v5, v2
	v_mul_f32_e32 v2, v6, v2
	;; [unrolled: 1-line block ×3, first 2 shown]
	s_delay_alu instid0(VALU_DEP_3) | instskip(NEXT) | instid1(VALU_DEP_3)
	v_dual_mul_f32 v4, v8, v4 :: v_dual_fmac_f32 v19, v6, v1
	v_fma_f32 v146, v5, v1, -v2
	s_delay_alu instid0(VALU_DEP_3) | instskip(NEXT) | instid1(VALU_DEP_3)
	v_fmac_f32_e32 v20, v8, v3
	v_fma_f32 v147, v7, v3, -v4
	ds_load_2addr_b64 v[1:4], v25 offset0:71 offset1:72
	ds_load_2addr_b64 v[5:8], v25 offset0:73 offset1:74
	s_wait_loadcnt_dscnt 0x1
	v_mul_f32_e32 v153, v1, v10
	v_mul_f32_e32 v10, v2, v10
	s_delay_alu instid0(VALU_DEP_2) | instskip(NEXT) | instid1(VALU_DEP_2)
	v_dual_mul_f32 v154, v3, v12 :: v_dual_fmac_f32 v153, v2, v9
	v_fma_f32 v155, v1, v9, -v10
	v_mul_f32_e32 v1, v4, v12
	s_delay_alu instid0(VALU_DEP_3) | instskip(NEXT) | instid1(VALU_DEP_2)
	v_fmac_f32_e32 v154, v4, v11
	v_fma_f32 v156, v3, v11, -v1
	s_clause 0x1
	scratch_load_b128 v[1:4], off, off offset:136
	scratch_load_b128 v[9:12], off, off offset:152
	s_wait_loadcnt_dscnt 0x100
	v_mul_f32_e32 v157, v5, v2
	v_dual_mul_f32 v2, v6, v2 :: v_dual_mul_f32 v159, v7, v4
	s_delay_alu instid0(VALU_DEP_2) | instskip(NEXT) | instid1(VALU_DEP_2)
	v_fmac_f32_e32 v157, v6, v1
	v_fma_f32 v158, v5, v1, -v2
	v_mul_f32_e32 v1, v8, v4
	s_delay_alu instid0(VALU_DEP_4) | instskip(NEXT) | instid1(VALU_DEP_2)
	v_fmac_f32_e32 v159, v8, v3
	v_fma_f32 v160, v7, v3, -v1
	ds_load_2addr_b64 v[1:4], v25 offset0:75 offset1:76
	ds_load_2addr_b64 v[5:8], v25 offset0:77 offset1:78
	s_wait_loadcnt_dscnt 0x1
	v_mul_f32_e32 v161, v1, v10
	v_mul_f32_e32 v163, v3, v12
	s_delay_alu instid0(VALU_DEP_2) | instskip(NEXT) | instid1(VALU_DEP_2)
	v_fmac_f32_e32 v161, v2, v9
	v_dual_mul_f32 v2, v2, v10 :: v_dual_fmac_f32 v163, v4, v11
	s_delay_alu instid0(VALU_DEP_1) | instskip(SKIP_1) | instid1(VALU_DEP_1)
	v_fma_f32 v162, v1, v9, -v2
	v_mul_f32_e32 v1, v4, v12
	v_fma_f32 v164, v3, v11, -v1
	s_clause 0x1
	scratch_load_b128 v[1:4], off, off offset:168
	scratch_load_b128 v[9:12], off, off offset:184
	s_wait_loadcnt_dscnt 0x100
	v_mul_f32_e32 v165, v5, v2
	v_dual_mul_f32 v2, v6, v2 :: v_dual_mul_f32 v167, v7, v4
	s_delay_alu instid0(VALU_DEP_2) | instskip(NEXT) | instid1(VALU_DEP_2)
	v_fmac_f32_e32 v165, v6, v1
	v_fma_f32 v166, v5, v1, -v2
	v_mul_f32_e32 v1, v8, v4
	s_delay_alu instid0(VALU_DEP_4) | instskip(NEXT) | instid1(VALU_DEP_2)
	v_fmac_f32_e32 v167, v8, v3
	v_fma_f32 v168, v7, v3, -v1
	ds_load_2addr_b64 v[1:4], v25 offset0:79 offset1:80
	ds_load_2addr_b64 v[5:8], v25 offset0:81 offset1:82
	s_wait_loadcnt_dscnt 0x1
	v_mul_f32_e32 v169, v1, v10
	v_mul_f32_e32 v171, v3, v12
	s_delay_alu instid0(VALU_DEP_2) | instskip(NEXT) | instid1(VALU_DEP_2)
	v_fmac_f32_e32 v169, v2, v9
	v_dual_mul_f32 v2, v2, v10 :: v_dual_fmac_f32 v171, v4, v11
	s_delay_alu instid0(VALU_DEP_1) | instskip(SKIP_1) | instid1(VALU_DEP_1)
	v_fma_f32 v170, v1, v9, -v2
	v_mul_f32_e32 v1, v4, v12
	;; [unrolled: 25-line block ×7, first 2 shown]
	v_fma_f32 v212, v3, v11, -v1
	s_clause 0x1
	scratch_load_b128 v[1:4], off, off offset:360
	scratch_load_b128 v[9:12], off, off offset:376
	s_wait_loadcnt_dscnt 0x100
	v_mul_f32_e32 v213, v5, v2
	v_dual_mul_f32 v2, v6, v2 :: v_dual_mul_f32 v215, v7, v4
	s_delay_alu instid0(VALU_DEP_2) | instskip(NEXT) | instid1(VALU_DEP_2)
	v_fmac_f32_e32 v213, v6, v1
	v_fma_f32 v214, v5, v1, -v2
	v_add_f32_e32 v2, 0, v26
	s_delay_alu instid0(VALU_DEP_1) | instskip(NEXT) | instid1(VALU_DEP_1)
	v_add_f32_e32 v2, v2, v150
	v_add_f32_e32 v2, v2, v23
	s_delay_alu instid0(VALU_DEP_1) | instskip(NEXT) | instid1(VALU_DEP_1)
	v_add_f32_e32 v2, v2, v24
	;; [unrolled: 3-line block ×6, first 2 shown]
	v_dual_mul_f32 v1, v8, v4 :: v_dual_add_f32 v2, v2, v153
	s_delay_alu instid0(VALU_DEP_1) | instskip(NEXT) | instid1(VALU_DEP_2)
	v_fma_f32 v216, v7, v3, -v1
	v_dual_add_f32 v1, 0, v21 :: v_dual_add_f32 v2, v2, v154
	s_delay_alu instid0(VALU_DEP_1) | instskip(NEXT) | instid1(VALU_DEP_1)
	v_dual_add_f32 v1, v1, v22 :: v_dual_add_f32 v2, v2, v157
	v_dual_add_f32 v1, v1, v28 :: v_dual_add_f32 v2, v2, v159
	s_delay_alu instid0(VALU_DEP_1) | instskip(SKIP_2) | instid1(VALU_DEP_1)
	v_add_f32_e32 v1, v1, v29
	scratch_load_b64 v[28:29], off, off offset:440
	v_dual_add_f32 v2, v2, v161 :: v_dual_add_f32 v1, v1, v30
	v_add_f32_e32 v2, v2, v163
	s_delay_alu instid0(VALU_DEP_1) | instskip(NEXT) | instid1(VALU_DEP_1)
	v_dual_add_f32 v1, v1, v31 :: v_dual_add_f32 v2, v2, v165
	v_dual_add_f32 v1, v1, v13 :: v_dual_add_f32 v2, v2, v167
	s_delay_alu instid0(VALU_DEP_1) | instskip(NEXT) | instid1(VALU_DEP_1)
	v_dual_add_f32 v1, v1, v14 :: v_dual_add_f32 v2, v2, v169
	v_dual_add_f32 v1, v1, v16 :: v_dual_add_f32 v2, v2, v171
	s_delay_alu instid0(VALU_DEP_1) | instskip(NEXT) | instid1(VALU_DEP_1)
	v_add_f32_e32 v1, v1, v17
	v_add_f32_e32 v1, v1, v146
	s_delay_alu instid0(VALU_DEP_1) | instskip(NEXT) | instid1(VALU_DEP_1)
	v_add_f32_e32 v1, v1, v147
	v_add_f32_e32 v1, v1, v155
	;; [unrolled: 3-line block ×10, first 2 shown]
	s_delay_alu instid0(VALU_DEP_1) | instskip(SKIP_1) | instid1(VALU_DEP_2)
	v_add_f32_e32 v6, v1, v188
	v_add_f32_e32 v2, v2, v173
	;; [unrolled: 1-line block ×3, first 2 shown]
	s_delay_alu instid0(VALU_DEP_2) | instskip(NEXT) | instid1(VALU_DEP_2)
	v_add_f32_e32 v2, v2, v175
	v_add_f32_e32 v13, v6, v192
	s_delay_alu instid0(VALU_DEP_1) | instskip(NEXT) | instid1(VALU_DEP_1)
	v_dual_add_f32 v2, v2, v177 :: v_dual_add_f32 v13, v13, v194
	v_dual_add_f32 v2, v2, v179 :: v_dual_add_f32 v13, v13, v196
	s_delay_alu instid0(VALU_DEP_1) | instskip(NEXT) | instid1(VALU_DEP_1)
	v_dual_add_f32 v2, v2, v181 :: v_dual_add_f32 v13, v13, v198
	v_add_f32_e32 v2, v2, v183
	s_delay_alu instid0(VALU_DEP_2) | instskip(NEXT) | instid1(VALU_DEP_2)
	v_dual_add_f32 v18, v13, v200 :: v_dual_fmac_f32 v215, v8, v3
	v_add_f32_e32 v5, v2, v185
	ds_load_2addr_b64 v[1:4], v25 offset0:103 offset1:104
	v_dual_add_f32 v18, v18, v202 :: v_dual_add_f32 v5, v5, v187
	s_delay_alu instid0(VALU_DEP_1) | instskip(NEXT) | instid1(VALU_DEP_1)
	v_dual_add_f32 v18, v18, v204 :: v_dual_add_f32 v5, v5, v189
	v_add_f32_e32 v18, v18, v206
	s_delay_alu instid0(VALU_DEP_2)
	v_add_f32_e32 v14, v5, v191
	ds_load_2addr_b64 v[5:8], v25 offset0:105 offset1:106
	v_add_f32_e32 v18, v18, v208
	s_wait_loadcnt_dscnt 0x101
	v_mul_f32_e32 v26, v1, v10
	v_mul_f32_e32 v10, v2, v10
	;; [unrolled: 1-line block ×4, first 2 shown]
	v_add_f32_e32 v30, v18, v210
	v_fmac_f32_e32 v26, v2, v9
	v_fma_f32 v145, v1, v9, -v10
	v_fmac_f32_e32 v144, v4, v11
	v_fma_f32 v146, v3, v11, -v12
	s_clause 0x1
	scratch_load_b128 v[1:4], off, off offset:392
	scratch_load_b128 v[9:12], off, off offset:408
	v_add_f32_e32 v14, v14, v193
	v_add_f32_e32 v147, v30, v212
	s_delay_alu instid0(VALU_DEP_1) | instskip(NEXT) | instid1(VALU_DEP_1)
	v_dual_add_f32 v14, v14, v195 :: v_dual_add_f32 v147, v147, v214
	v_add_f32_e32 v17, v14, v197
	scratch_load_b128 v[13:16], off, off offset:424
	v_add_f32_e32 v147, v147, v216
	v_add_f32_e32 v17, v17, v199
	s_delay_alu instid0(VALU_DEP_2) | instskip(NEXT) | instid1(VALU_DEP_2)
	v_add_f32_e32 v145, v147, v145
	v_add_f32_e32 v17, v17, v201
	s_delay_alu instid0(VALU_DEP_2) | instskip(SKIP_1) | instid1(VALU_DEP_2)
	v_add_f32_e32 v145, v145, v146
	s_wait_loadcnt_dscnt 0x200
	v_dual_add_f32 v17, v17, v203 :: v_dual_mul_f32 v152, v7, v4
	s_delay_alu instid0(VALU_DEP_1) | instskip(SKIP_2) | instid1(VALU_DEP_4)
	v_dual_add_f32 v17, v17, v205 :: v_dual_mul_f32 v4, v8, v4
	v_mul_f32_e32 v151, v5, v2
	v_mul_f32_e32 v2, v6, v2
	v_fmac_f32_e32 v152, v8, v3
	s_delay_alu instid0(VALU_DEP_4)
	v_add_f32_e32 v21, v17, v207
	ds_load_2addr_b64 v[17:20], v25 offset0:107 offset1:108
	v_fmac_f32_e32 v151, v6, v1
	v_fma_f32 v2, v5, v1, -v2
	v_fma_f32 v1, v7, v3, -v4
	v_add_f32_e32 v31, v21, v209
	ds_load_2addr_b64 v[21:24], v25 offset0:109 offset1:110
	v_add_f32_e32 v2, v145, v2
	v_add_f32_e32 v150, v31, v211
	ds_load_b64 v[30:31], v25 offset:888
	v_add_f32_e32 v1, v2, v1
	v_add_f32_e32 v150, v150, v213
	s_wait_loadcnt_dscnt 0x102
	s_delay_alu instid0(VALU_DEP_1) | instskip(SKIP_1) | instid1(VALU_DEP_2)
	v_dual_add_f32 v150, v150, v215 :: v_dual_mul_f32 v147, v17, v10
	v_mul_f32_e32 v3, v18, v10
	v_dual_mul_f32 v5, v20, v12 :: v_dual_add_f32 v26, v150, v26
	s_delay_alu instid0(VALU_DEP_3) | instskip(NEXT) | instid1(VALU_DEP_3)
	v_dual_mul_f32 v150, v19, v12 :: v_dual_fmac_f32 v147, v18, v9
	v_fma_f32 v3, v17, v9, -v3
	s_wait_loadcnt_dscnt 0x1
	s_delay_alu instid0(VALU_DEP_3) | instskip(NEXT) | instid1(VALU_DEP_3)
	v_dual_mul_f32 v153, v21, v14 :: v_dual_add_f32 v26, v26, v144
	v_fmac_f32_e32 v150, v20, v11
	v_fma_f32 v5, v19, v11, -v5
	v_dual_add_f32 v1, v1, v3 :: v_dual_mul_f32 v146, v23, v16
	s_delay_alu instid0(VALU_DEP_4) | instskip(SKIP_1) | instid1(VALU_DEP_3)
	v_dual_add_f32 v4, v26, v151 :: v_dual_mul_f32 v3, v24, v16
	v_fmac_f32_e32 v153, v22, v13
	v_add_f32_e32 v1, v1, v5
	s_wait_dscnt 0x0
	v_mul_f32_e32 v144, v30, v29
	v_add_f32_e32 v2, v4, v152
	v_dual_mul_f32 v4, v22, v14 :: v_dual_mul_f32 v5, v31, v29
	v_fmac_f32_e32 v146, v24, v15
	v_fma_f32 v3, v23, v15, -v3
	s_delay_alu instid0(VALU_DEP_4) | instskip(NEXT) | instid1(VALU_DEP_4)
	v_add_f32_e32 v2, v2, v147
	v_fma_f32 v4, v21, v13, -v4
	v_fmac_f32_e32 v144, v31, v28
	s_delay_alu instid0(VALU_DEP_2) | instskip(SKIP_1) | instid1(VALU_DEP_2)
	v_dual_add_f32 v2, v2, v150 :: v_dual_add_f32 v1, v1, v4
	v_fma_f32 v4, v30, v28, -v5
	v_dual_add_f32 v2, v2, v153 :: v_dual_add_f32 v1, v1, v3
	s_delay_alu instid0(VALU_DEP_1) | instskip(NEXT) | instid1(VALU_DEP_1)
	v_dual_add_f32 v2, v2, v146 :: v_dual_add_f32 v1, v1, v4
	v_dual_add_f32 v2, v2, v144 :: v_dual_sub_f32 v1, v148, v1
	s_delay_alu instid0(VALU_DEP_1)
	v_sub_f32_e32 v2, v149, v2
	scratch_store_b64 off, v[1:2], off offset:16
	v_cmpx_lt_u32_e32 1, v0
	s_cbranch_execz .LBB55_347
; %bb.346:
	scratch_load_b64 v[1:2], off, off offset:8
	v_mov_b32_e32 v26, v25
	scratch_store_b64 off, v[25:26], off offset:8
	s_wait_loadcnt 0x0
	ds_store_b64 v27, v[1:2]
.LBB55_347:
	s_wait_alu 0xfffe
	s_or_b32 exec_lo, exec_lo, s0
	s_wait_storecnt_dscnt 0x0
	s_barrier_signal -1
	s_barrier_wait -1
	global_inv scope:SCOPE_SE
	s_clause 0x4
	scratch_load_b128 v[5:8], off, off offset:16
	scratch_load_b128 v[1:4], off, off offset:32
	;; [unrolled: 1-line block ×5, first 2 shown]
	ds_load_b128 v[21:24], v25 offset:464
	ds_load_b128 v[28:31], v25 offset:480
	;; [unrolled: 1-line block ×3, first 2 shown]
	scratch_load_b64 v[148:149], off, off offset:8
	s_mov_b32 s0, exec_lo
	s_wait_loadcnt_dscnt 0x502
	v_mul_f32_e32 v26, v21, v6
	s_wait_loadcnt_dscnt 0x300
	v_dual_mul_f32 v150, v23, v8 :: v_dual_mul_f32 v151, v144, v10
	v_mul_f32_e32 v8, v24, v8
	v_mul_f32_e32 v6, v22, v6
	v_fmac_f32_e32 v26, v22, v5
	s_delay_alu instid0(VALU_DEP_4) | instskip(NEXT) | instid1(VALU_DEP_4)
	v_dual_mul_f32 v152, v146, v12 :: v_dual_fmac_f32 v151, v145, v9
	v_fma_f32 v22, v23, v7, -v8
	v_mul_f32_e32 v23, v28, v2
	v_fmac_f32_e32 v150, v24, v7
	v_mul_f32_e32 v10, v145, v10
	v_mul_f32_e32 v12, v147, v12
	;; [unrolled: 1-line block ×3, first 2 shown]
	v_fmac_f32_e32 v23, v29, v1
	v_fma_f32 v21, v21, v5, -v6
	ds_load_b128 v[5:8], v25 offset:512
	v_mul_f32_e32 v24, v30, v4
	v_mul_f32_e32 v4, v31, v4
	v_fmac_f32_e32 v152, v147, v11
	s_delay_alu instid0(VALU_DEP_3) | instskip(NEXT) | instid1(VALU_DEP_3)
	v_fmac_f32_e32 v24, v31, v3
	v_fma_f32 v29, v30, v3, -v4
	v_fma_f32 v30, v144, v9, -v10
	;; [unrolled: 1-line block ×3, first 2 shown]
	ds_load_b128 v[9:12], v25 offset:528
	s_wait_loadcnt_dscnt 0x201
	v_mul_f32_e32 v144, v5, v14
	v_dual_mul_f32 v14, v6, v14 :: v_dual_mul_f32 v145, v7, v16
	v_mul_f32_e32 v16, v8, v16
	s_delay_alu instid0(VALU_DEP_3) | instskip(NEXT) | instid1(VALU_DEP_3)
	v_fmac_f32_e32 v144, v6, v13
	v_fma_f32 v13, v5, v13, -v14
	s_delay_alu instid0(VALU_DEP_4) | instskip(NEXT) | instid1(VALU_DEP_4)
	v_fmac_f32_e32 v145, v8, v15
	v_fma_f32 v14, v7, v15, -v16
	ds_load_b128 v[5:8], v25 offset:544
	s_wait_loadcnt_dscnt 0x101
	v_mul_f32_e32 v15, v9, v18
	v_mul_f32_e32 v16, v10, v18
	;; [unrolled: 1-line block ×3, first 2 shown]
	s_delay_alu instid0(VALU_DEP_3)
	v_dual_mul_f32 v20, v12, v20 :: v_dual_fmac_f32 v15, v10, v17
	v_fma_f32 v28, v28, v1, -v2
	scratch_load_b128 v[1:4], off, off offset:96
	v_fma_f32 v16, v9, v17, -v16
	v_fmac_f32_e32 v18, v12, v19
	v_fma_f32 v17, v11, v19, -v20
	scratch_load_b128 v[9:12], off, off offset:112
	s_wait_loadcnt_dscnt 0x100
	v_mul_f32_e32 v19, v5, v2
	v_mul_f32_e32 v2, v6, v2
	;; [unrolled: 1-line block ×3, first 2 shown]
	s_delay_alu instid0(VALU_DEP_3) | instskip(NEXT) | instid1(VALU_DEP_3)
	v_dual_mul_f32 v4, v8, v4 :: v_dual_fmac_f32 v19, v6, v1
	v_fma_f32 v146, v5, v1, -v2
	s_delay_alu instid0(VALU_DEP_3) | instskip(NEXT) | instid1(VALU_DEP_3)
	v_fmac_f32_e32 v20, v8, v3
	v_fma_f32 v147, v7, v3, -v4
	ds_load_b128 v[1:4], v25 offset:560
	ds_load_b128 v[5:8], v25 offset:576
	s_wait_loadcnt_dscnt 0x1
	v_mul_f32_e32 v153, v1, v10
	v_mul_f32_e32 v10, v2, v10
	s_delay_alu instid0(VALU_DEP_2) | instskip(NEXT) | instid1(VALU_DEP_2)
	v_dual_mul_f32 v154, v3, v12 :: v_dual_fmac_f32 v153, v2, v9
	v_fma_f32 v155, v1, v9, -v10
	v_mul_f32_e32 v1, v4, v12
	s_delay_alu instid0(VALU_DEP_3) | instskip(NEXT) | instid1(VALU_DEP_2)
	v_fmac_f32_e32 v154, v4, v11
	v_fma_f32 v156, v3, v11, -v1
	s_clause 0x1
	scratch_load_b128 v[1:4], off, off offset:128
	scratch_load_b128 v[9:12], off, off offset:144
	s_wait_loadcnt_dscnt 0x100
	v_mul_f32_e32 v157, v5, v2
	v_dual_mul_f32 v2, v6, v2 :: v_dual_mul_f32 v159, v7, v4
	s_delay_alu instid0(VALU_DEP_2) | instskip(NEXT) | instid1(VALU_DEP_2)
	v_fmac_f32_e32 v157, v6, v1
	v_fma_f32 v158, v5, v1, -v2
	v_mul_f32_e32 v1, v8, v4
	s_delay_alu instid0(VALU_DEP_4) | instskip(NEXT) | instid1(VALU_DEP_2)
	v_fmac_f32_e32 v159, v8, v3
	v_fma_f32 v160, v7, v3, -v1
	ds_load_b128 v[1:4], v25 offset:592
	ds_load_b128 v[5:8], v25 offset:608
	s_wait_loadcnt_dscnt 0x1
	v_mul_f32_e32 v161, v1, v10
	v_mul_f32_e32 v163, v3, v12
	s_delay_alu instid0(VALU_DEP_2) | instskip(NEXT) | instid1(VALU_DEP_2)
	v_fmac_f32_e32 v161, v2, v9
	v_dual_mul_f32 v2, v2, v10 :: v_dual_fmac_f32 v163, v4, v11
	s_delay_alu instid0(VALU_DEP_1) | instskip(SKIP_1) | instid1(VALU_DEP_1)
	v_fma_f32 v162, v1, v9, -v2
	v_mul_f32_e32 v1, v4, v12
	v_fma_f32 v164, v3, v11, -v1
	s_clause 0x1
	scratch_load_b128 v[1:4], off, off offset:160
	scratch_load_b128 v[9:12], off, off offset:176
	s_wait_loadcnt_dscnt 0x100
	v_mul_f32_e32 v165, v5, v2
	v_dual_mul_f32 v2, v6, v2 :: v_dual_mul_f32 v167, v7, v4
	s_delay_alu instid0(VALU_DEP_2) | instskip(NEXT) | instid1(VALU_DEP_2)
	v_fmac_f32_e32 v165, v6, v1
	v_fma_f32 v166, v5, v1, -v2
	v_mul_f32_e32 v1, v8, v4
	s_delay_alu instid0(VALU_DEP_4) | instskip(NEXT) | instid1(VALU_DEP_2)
	v_fmac_f32_e32 v167, v8, v3
	v_fma_f32 v168, v7, v3, -v1
	ds_load_b128 v[1:4], v25 offset:624
	ds_load_b128 v[5:8], v25 offset:640
	s_wait_loadcnt_dscnt 0x1
	v_mul_f32_e32 v169, v1, v10
	v_mul_f32_e32 v171, v3, v12
	s_delay_alu instid0(VALU_DEP_2) | instskip(NEXT) | instid1(VALU_DEP_2)
	v_fmac_f32_e32 v169, v2, v9
	v_dual_mul_f32 v2, v2, v10 :: v_dual_fmac_f32 v171, v4, v11
	s_delay_alu instid0(VALU_DEP_1) | instskip(SKIP_1) | instid1(VALU_DEP_1)
	v_fma_f32 v170, v1, v9, -v2
	v_mul_f32_e32 v1, v4, v12
	;; [unrolled: 25-line block ×7, first 2 shown]
	v_fma_f32 v212, v3, v11, -v1
	s_clause 0x1
	scratch_load_b128 v[1:4], off, off offset:352
	scratch_load_b128 v[9:12], off, off offset:368
	s_wait_loadcnt_dscnt 0x100
	v_mul_f32_e32 v213, v5, v2
	v_dual_mul_f32 v2, v6, v2 :: v_dual_mul_f32 v215, v7, v4
	s_delay_alu instid0(VALU_DEP_2) | instskip(NEXT) | instid1(VALU_DEP_2)
	v_fmac_f32_e32 v213, v6, v1
	v_fma_f32 v214, v5, v1, -v2
	v_dual_add_f32 v2, 0, v26 :: v_dual_mul_f32 v1, v8, v4
	s_delay_alu instid0(VALU_DEP_1) | instskip(NEXT) | instid1(VALU_DEP_2)
	v_add_f32_e32 v2, v2, v150
	v_fma_f32 v216, v7, v3, -v1
	s_delay_alu instid0(VALU_DEP_2) | instskip(NEXT) | instid1(VALU_DEP_1)
	v_add_f32_e32 v2, v2, v23
	v_add_f32_e32 v2, v2, v24
	s_delay_alu instid0(VALU_DEP_1) | instskip(NEXT) | instid1(VALU_DEP_1)
	v_add_f32_e32 v2, v2, v151
	v_add_f32_e32 v2, v2, v152
	s_delay_alu instid0(VALU_DEP_1) | instskip(NEXT) | instid1(VALU_DEP_1)
	;; [unrolled: 3-line block ×7, first 2 shown]
	v_add_f32_e32 v2, v2, v161
	v_dual_add_f32 v1, 0, v21 :: v_dual_add_f32 v2, v2, v163
	s_delay_alu instid0(VALU_DEP_1) | instskip(NEXT) | instid1(VALU_DEP_1)
	v_dual_add_f32 v1, v1, v22 :: v_dual_add_f32 v2, v2, v165
	v_dual_add_f32 v1, v1, v28 :: v_dual_add_f32 v2, v2, v167
	s_delay_alu instid0(VALU_DEP_1) | instskip(NEXT) | instid1(VALU_DEP_1)
	v_add_f32_e32 v1, v1, v29
	v_dual_add_f32 v2, v2, v169 :: v_dual_add_f32 v1, v1, v30
	s_delay_alu instid0(VALU_DEP_1) | instskip(NEXT) | instid1(VALU_DEP_1)
	v_add_f32_e32 v2, v2, v171
	v_dual_add_f32 v1, v1, v31 :: v_dual_add_f32 v2, v2, v173
	s_delay_alu instid0(VALU_DEP_1) | instskip(NEXT) | instid1(VALU_DEP_1)
	v_dual_add_f32 v1, v1, v13 :: v_dual_add_f32 v2, v2, v175
	v_add_f32_e32 v1, v1, v14
	s_delay_alu instid0(VALU_DEP_1) | instskip(NEXT) | instid1(VALU_DEP_1)
	v_add_f32_e32 v1, v1, v16
	v_add_f32_e32 v1, v1, v17
	s_delay_alu instid0(VALU_DEP_1) | instskip(NEXT) | instid1(VALU_DEP_1)
	v_add_f32_e32 v1, v1, v146
	;; [unrolled: 3-line block ×11, first 2 shown]
	v_add_f32_e32 v1, v1, v188
	s_delay_alu instid0(VALU_DEP_1) | instskip(SKIP_1) | instid1(VALU_DEP_2)
	v_add_f32_e32 v6, v1, v190
	v_add_f32_e32 v2, v2, v177
	;; [unrolled: 1-line block ×3, first 2 shown]
	s_delay_alu instid0(VALU_DEP_2) | instskip(NEXT) | instid1(VALU_DEP_2)
	v_add_f32_e32 v2, v2, v179
	v_add_f32_e32 v14, v14, v194
	s_delay_alu instid0(VALU_DEP_2) | instskip(NEXT) | instid1(VALU_DEP_2)
	v_add_f32_e32 v2, v2, v181
	v_add_f32_e32 v17, v14, v196
	s_delay_alu instid0(VALU_DEP_1) | instskip(NEXT) | instid1(VALU_DEP_1)
	v_dual_add_f32 v2, v2, v183 :: v_dual_add_f32 v17, v17, v198
	v_dual_add_f32 v2, v2, v185 :: v_dual_add_f32 v17, v17, v200
	s_delay_alu instid0(VALU_DEP_1) | instskip(NEXT) | instid1(VALU_DEP_2)
	v_add_f32_e32 v5, v2, v187
	v_add_f32_e32 v17, v17, v202
	s_delay_alu instid0(VALU_DEP_2) | instskip(NEXT) | instid1(VALU_DEP_2)
	v_add_f32_e32 v13, v5, v189
	v_add_f32_e32 v22, v17, v204
	s_delay_alu instid0(VALU_DEP_1) | instskip(NEXT) | instid1(VALU_DEP_1)
	v_dual_add_f32 v13, v13, v191 :: v_dual_add_f32 v22, v22, v206
	v_dual_add_f32 v13, v13, v193 :: v_dual_add_f32 v22, v22, v208
	s_delay_alu instid0(VALU_DEP_1)
	v_add_f32_e32 v18, v13, v195
	v_fmac_f32_e32 v215, v8, v3
	scratch_load_b128 v[5:8], off, off offset:384
	ds_load_b128 v[1:4], v25 offset:816
	ds_load_b128 v[13:16], v25 offset:832
	s_wait_loadcnt_dscnt 0x101
	v_mul_f32_e32 v28, v3, v12
	v_mul_f32_e32 v26, v1, v10
	;; [unrolled: 1-line block ×4, first 2 shown]
	s_delay_alu instid0(VALU_DEP_4)
	v_fmac_f32_e32 v28, v4, v11
	v_add_f32_e32 v18, v18, v197
	v_fmac_f32_e32 v26, v2, v9
	v_fma_f32 v29, v1, v9, -v10
	v_fma_f32 v30, v3, v11, -v12
	scratch_load_b128 v[1:4], off, off offset:400
	v_add_f32_e32 v18, v18, v199
	scratch_load_b128 v[9:12], off, off offset:416
	v_add_f32_e32 v21, v18, v201
	;; [unrolled: 2-line block ×3, first 2 shown]
	s_wait_loadcnt_dscnt 0x300
	v_mul_f32_e32 v31, v13, v6
	v_mul_f32_e32 v6, v14, v6
	s_delay_alu instid0(VALU_DEP_3) | instskip(SKIP_1) | instid1(VALU_DEP_3)
	v_dual_mul_f32 v144, v15, v8 :: v_dual_add_f32 v21, v21, v205
	v_mul_f32_e32 v8, v16, v8
	v_fma_f32 v145, v13, v5, -v6
	s_delay_alu instid0(VALU_DEP_3) | instskip(NEXT) | instid1(VALU_DEP_4)
	v_fmac_f32_e32 v144, v16, v7
	v_add_f32_e32 v13, v21, v207
	v_add_f32_e32 v21, v22, v210
	v_fma_f32 v146, v15, v7, -v8
	s_delay_alu instid0(VALU_DEP_3) | instskip(NEXT) | instid1(VALU_DEP_1)
	v_add_f32_e32 v22, v13, v209
	v_dual_add_f32 v147, v21, v212 :: v_dual_add_f32 v150, v22, v211
	ds_load_b128 v[21:24], v25 offset:880
	v_fmac_f32_e32 v31, v14, v5
	ds_load_b128 v[5:8], v25 offset:848
	ds_load_b128 v[13:16], v25 offset:864
	v_add_f32_e32 v25, v147, v214
	v_add_f32_e32 v147, v150, v213
	s_delay_alu instid0(VALU_DEP_2) | instskip(NEXT) | instid1(VALU_DEP_2)
	v_add_f32_e32 v25, v25, v216
	v_add_f32_e32 v147, v147, v215
	s_delay_alu instid0(VALU_DEP_1) | instskip(NEXT) | instid1(VALU_DEP_1)
	v_dual_add_f32 v25, v25, v29 :: v_dual_add_f32 v26, v147, v26
	v_dual_add_f32 v25, v25, v30 :: v_dual_add_f32 v26, v26, v28
	s_wait_loadcnt_dscnt 0x2
	v_mul_f32_e32 v28, v21, v18
	s_wait_dscnt 0x1
	v_mul_f32_e32 v150, v5, v2
	v_dual_mul_f32 v2, v6, v2 :: v_dual_add_f32 v25, v25, v145
	v_dual_add_f32 v26, v26, v31 :: v_dual_mul_f32 v29, v7, v4
	v_mul_f32_e32 v4, v8, v4
	s_delay_alu instid0(VALU_DEP_3) | instskip(NEXT) | instid1(VALU_DEP_4)
	v_fma_f32 v2, v5, v1, -v2
	v_dual_fmac_f32 v150, v6, v1 :: v_dual_add_f32 v1, v25, v146
	s_delay_alu instid0(VALU_DEP_4)
	v_add_f32_e32 v5, v26, v144
	s_wait_dscnt 0x0
	v_mul_f32_e32 v147, v13, v10
	v_dual_mul_f32 v6, v14, v10 :: v_dual_fmac_f32 v29, v8, v3
	v_fma_f32 v3, v7, v3, -v4
	v_add_f32_e32 v1, v1, v2
	v_dual_add_f32 v2, v5, v150 :: v_dual_mul_f32 v151, v15, v12
	v_dual_mul_f32 v4, v16, v12 :: v_dual_fmac_f32 v147, v14, v9
	v_fma_f32 v5, v13, v9, -v6
	s_delay_alu instid0(VALU_DEP_3) | instskip(SKIP_3) | instid1(VALU_DEP_4)
	v_dual_add_f32 v1, v1, v3 :: v_dual_add_f32 v2, v2, v29
	v_mul_f32_e32 v3, v22, v18
	v_fmac_f32_e32 v151, v16, v11
	v_fma_f32 v4, v15, v11, -v4
	v_dual_add_f32 v1, v1, v5 :: v_dual_add_f32 v2, v2, v147
	v_mul_f32_e32 v30, v23, v20
	v_dual_mul_f32 v5, v24, v20 :: v_dual_fmac_f32 v28, v22, v17
	v_fma_f32 v3, v21, v17, -v3
	s_delay_alu instid0(VALU_DEP_4) | instskip(NEXT) | instid1(VALU_DEP_4)
	v_dual_add_f32 v1, v1, v4 :: v_dual_add_f32 v2, v2, v151
	v_fmac_f32_e32 v30, v24, v19
	s_delay_alu instid0(VALU_DEP_4) | instskip(NEXT) | instid1(VALU_DEP_3)
	v_fma_f32 v4, v23, v19, -v5
	v_dual_add_f32 v1, v1, v3 :: v_dual_add_f32 v2, v2, v28
	s_delay_alu instid0(VALU_DEP_1) | instskip(NEXT) | instid1(VALU_DEP_1)
	v_dual_add_f32 v1, v1, v4 :: v_dual_add_f32 v2, v2, v30
	v_dual_sub_f32 v1, v148, v1 :: v_dual_sub_f32 v2, v149, v2
	scratch_store_b64 off, v[1:2], off offset:8
	v_cmpx_ne_u32_e32 0, v0
	s_cbranch_execz .LBB55_349
; %bb.348:
	scratch_load_b64 v[0:1], off, off
	v_mov_b32_e32 v2, 0
	s_delay_alu instid0(VALU_DEP_1)
	v_mov_b32_e32 v3, v2
	scratch_store_b64 off, v[2:3], off
	s_wait_loadcnt 0x0
	ds_store_b64 v27, v[0:1]
.LBB55_349:
	s_wait_alu 0xfffe
	s_or_b32 exec_lo, exec_lo, s0
	s_wait_storecnt_dscnt 0x0
	s_barrier_signal -1
	s_barrier_wait -1
	global_inv scope:SCOPE_SE
	s_clause 0x6
	scratch_load_b128 v[0:3], off, off offset:8
	scratch_load_b128 v[4:7], off, off offset:24
	;; [unrolled: 1-line block ×7, first 2 shown]
	v_mov_b32_e32 v144, 0
	scratch_load_b64 v[149:150], off, off
	s_and_b32 vcc_lo, exec_lo, s18
	ds_load_2addr_b64 v[28:31], v144 offset0:57 offset1:58
	ds_load_2addr_b64 v[145:148], v144 offset0:59 offset1:60
	s_wait_loadcnt_dscnt 0x701
	v_dual_mul_f32 v151, v28, v1 :: v_dual_mul_f32 v152, v30, v3
	v_mul_f32_e32 v1, v29, v1
	v_mul_f32_e32 v3, v31, v3
	s_delay_alu instid0(VALU_DEP_3) | instskip(NEXT) | instid1(VALU_DEP_3)
	v_dual_fmac_f32 v151, v29, v0 :: v_dual_fmac_f32 v152, v31, v2
	v_fma_f32 v28, v28, v0, -v1
	s_delay_alu instid0(VALU_DEP_3) | instskip(SKIP_4) | instid1(VALU_DEP_2)
	v_fma_f32 v29, v30, v2, -v3
	ds_load_2addr_b64 v[0:3], v144 offset0:61 offset1:62
	s_wait_loadcnt_dscnt 0x601
	v_dual_mul_f32 v30, v145, v5 :: v_dual_mul_f32 v31, v147, v7
	v_mul_f32_e32 v5, v146, v5
	v_dual_mul_f32 v7, v148, v7 :: v_dual_fmac_f32 v30, v146, v4
	s_delay_alu instid0(VALU_DEP_3) | instskip(NEXT) | instid1(VALU_DEP_3)
	v_fmac_f32_e32 v31, v148, v6
	v_fma_f32 v145, v145, v4, -v5
	s_delay_alu instid0(VALU_DEP_3)
	v_fma_f32 v146, v147, v6, -v7
	ds_load_2addr_b64 v[4:7], v144 offset0:63 offset1:64
	s_wait_loadcnt_dscnt 0x501
	v_dual_mul_f32 v147, v0, v9 :: v_dual_mul_f32 v148, v2, v11
	v_mul_f32_e32 v9, v1, v9
	v_mul_f32_e32 v11, v3, v11
	s_delay_alu instid0(VALU_DEP_3) | instskip(NEXT) | instid1(VALU_DEP_3)
	v_dual_fmac_f32 v147, v1, v8 :: v_dual_fmac_f32 v148, v3, v10
	v_fma_f32 v153, v0, v8, -v9
	s_delay_alu instid0(VALU_DEP_3)
	v_fma_f32 v154, v2, v10, -v11
	ds_load_2addr_b64 v[0:3], v144 offset0:65 offset1:66
	s_wait_loadcnt_dscnt 0x401
	v_mul_f32_e32 v8, v5, v13
	v_mul_f32_e32 v13, v4, v13
	;; [unrolled: 1-line block ×4, first 2 shown]
	s_delay_alu instid0(VALU_DEP_4) | instskip(NEXT) | instid1(VALU_DEP_4)
	v_fma_f32 v15, v4, v12, -v8
	v_fmac_f32_e32 v13, v5, v12
	s_delay_alu instid0(VALU_DEP_4) | instskip(NEXT) | instid1(VALU_DEP_4)
	v_fmac_f32_e32 v155, v7, v14
	v_fma_f32 v12, v6, v14, -v9
	ds_load_2addr_b64 v[4:7], v144 offset0:67 offset1:68
	s_wait_loadcnt_dscnt 0x301
	v_mul_f32_e32 v14, v0, v17
	v_dual_mul_f32 v8, v1, v17 :: v_dual_mul_f32 v17, v2, v19
	s_delay_alu instid0(VALU_DEP_2) | instskip(NEXT) | instid1(VALU_DEP_2)
	v_dual_mul_f32 v9, v3, v19 :: v_dual_fmac_f32 v14, v1, v16
	v_fma_f32 v16, v0, v16, -v8
	s_delay_alu instid0(VALU_DEP_3) | instskip(NEXT) | instid1(VALU_DEP_3)
	v_fmac_f32_e32 v17, v3, v18
	v_fma_f32 v18, v2, v18, -v9
	ds_load_2addr_b64 v[0:3], v144 offset0:69 offset1:70
	s_wait_loadcnt_dscnt 0x201
	v_mul_f32_e32 v19, v4, v21
	v_dual_mul_f32 v8, v5, v21 :: v_dual_mul_f32 v21, v6, v23
	v_mul_f32_e32 v9, v7, v23
	s_delay_alu instid0(VALU_DEP_3) | instskip(NEXT) | instid1(VALU_DEP_3)
	v_fmac_f32_e32 v19, v5, v20
	v_fma_f32 v20, v4, v20, -v8
	s_delay_alu instid0(VALU_DEP_4) | instskip(NEXT) | instid1(VALU_DEP_4)
	v_fmac_f32_e32 v21, v7, v22
	v_fma_f32 v22, v6, v22, -v9
	ds_load_2addr_b64 v[4:7], v144 offset0:71 offset1:72
	s_wait_loadcnt_dscnt 0x101
	v_mul_f32_e32 v23, v0, v25
	v_dual_mul_f32 v8, v1, v25 :: v_dual_mul_f32 v25, v2, v27
	v_mul_f32_e32 v9, v3, v27
	s_delay_alu instid0(VALU_DEP_3) | instskip(NEXT) | instid1(VALU_DEP_3)
	v_fmac_f32_e32 v23, v1, v24
	v_fma_f32 v24, v0, v24, -v8
	s_delay_alu instid0(VALU_DEP_4) | instskip(NEXT) | instid1(VALU_DEP_4)
	v_fmac_f32_e32 v25, v3, v26
	v_fma_f32 v26, v2, v26, -v9
	s_clause 0x1
	scratch_load_b128 v[0:3], off, off offset:120
	scratch_load_b128 v[8:11], off, off offset:136
	s_wait_loadcnt_dscnt 0x100
	v_mul_f32_e32 v27, v4, v1
	v_mul_f32_e32 v1, v5, v1
	;; [unrolled: 1-line block ×3, first 2 shown]
	s_delay_alu instid0(VALU_DEP_3) | instskip(NEXT) | instid1(VALU_DEP_3)
	v_fmac_f32_e32 v27, v5, v0
	v_fma_f32 v156, v4, v0, -v1
	v_mul_f32_e32 v0, v7, v3
	s_delay_alu instid0(VALU_DEP_4) | instskip(NEXT) | instid1(VALU_DEP_2)
	v_fmac_f32_e32 v157, v7, v2
	v_fma_f32 v158, v6, v2, -v0
	ds_load_2addr_b64 v[0:3], v144 offset0:73 offset1:74
	ds_load_2addr_b64 v[4:7], v144 offset0:75 offset1:76
	s_wait_loadcnt_dscnt 0x1
	v_mul_f32_e32 v159, v0, v9
	v_mul_f32_e32 v161, v2, v11
	s_delay_alu instid0(VALU_DEP_2) | instskip(SKIP_1) | instid1(VALU_DEP_3)
	v_fmac_f32_e32 v159, v1, v8
	v_mul_f32_e32 v1, v1, v9
	v_fmac_f32_e32 v161, v3, v10
	s_delay_alu instid0(VALU_DEP_2) | instskip(SKIP_1) | instid1(VALU_DEP_1)
	v_fma_f32 v160, v0, v8, -v1
	v_mul_f32_e32 v0, v3, v11
	v_fma_f32 v162, v2, v10, -v0
	s_clause 0x1
	scratch_load_b128 v[0:3], off, off offset:152
	scratch_load_b128 v[8:11], off, off offset:168
	s_wait_loadcnt_dscnt 0x100
	v_mul_f32_e32 v163, v4, v1
	v_mul_f32_e32 v1, v5, v1
	;; [unrolled: 1-line block ×3, first 2 shown]
	s_delay_alu instid0(VALU_DEP_3) | instskip(NEXT) | instid1(VALU_DEP_3)
	v_fmac_f32_e32 v163, v5, v0
	v_fma_f32 v164, v4, v0, -v1
	v_mul_f32_e32 v0, v7, v3
	s_delay_alu instid0(VALU_DEP_4) | instskip(NEXT) | instid1(VALU_DEP_2)
	v_fmac_f32_e32 v165, v7, v2
	v_fma_f32 v166, v6, v2, -v0
	ds_load_2addr_b64 v[0:3], v144 offset0:77 offset1:78
	ds_load_2addr_b64 v[4:7], v144 offset0:79 offset1:80
	s_wait_loadcnt_dscnt 0x1
	v_mul_f32_e32 v167, v0, v9
	v_mul_f32_e32 v169, v2, v11
	s_delay_alu instid0(VALU_DEP_2) | instskip(SKIP_1) | instid1(VALU_DEP_1)
	v_fmac_f32_e32 v167, v1, v8
	v_mul_f32_e32 v1, v1, v9
	v_fma_f32 v168, v0, v8, -v1
	v_mul_f32_e32 v0, v3, v11
	v_fmac_f32_e32 v169, v3, v10
	s_delay_alu instid0(VALU_DEP_2)
	v_fma_f32 v170, v2, v10, -v0
	s_clause 0x1
	scratch_load_b128 v[0:3], off, off offset:184
	scratch_load_b128 v[8:11], off, off offset:200
	s_wait_loadcnt_dscnt 0x100
	v_mul_f32_e32 v171, v4, v1
	v_mul_f32_e32 v1, v5, v1
	s_delay_alu instid0(VALU_DEP_2) | instskip(NEXT) | instid1(VALU_DEP_2)
	v_fmac_f32_e32 v171, v5, v0
	v_fma_f32 v172, v4, v0, -v1
	v_mul_f32_e32 v0, v7, v3
	s_delay_alu instid0(VALU_DEP_1) | instskip(SKIP_1) | instid1(VALU_DEP_1)
	v_fma_f32 v174, v6, v2, -v0
	v_mul_f32_e32 v173, v6, v3
	v_fmac_f32_e32 v173, v7, v2
	ds_load_2addr_b64 v[0:3], v144 offset0:81 offset1:82
	ds_load_2addr_b64 v[4:7], v144 offset0:83 offset1:84
	s_wait_loadcnt_dscnt 0x1
	v_mul_f32_e32 v175, v0, v9
	v_mul_f32_e32 v177, v2, v11
	s_delay_alu instid0(VALU_DEP_2) | instskip(SKIP_1) | instid1(VALU_DEP_3)
	v_fmac_f32_e32 v175, v1, v8
	v_mul_f32_e32 v1, v1, v9
	v_fmac_f32_e32 v177, v3, v10
	s_delay_alu instid0(VALU_DEP_2) | instskip(SKIP_1) | instid1(VALU_DEP_1)
	v_fma_f32 v176, v0, v8, -v1
	v_mul_f32_e32 v0, v3, v11
	v_fma_f32 v178, v2, v10, -v0
	s_clause 0x1
	scratch_load_b128 v[0:3], off, off offset:216
	scratch_load_b128 v[8:11], off, off offset:232
	s_wait_loadcnt_dscnt 0x100
	v_mul_f32_e32 v179, v4, v1
	v_mul_f32_e32 v1, v5, v1
	v_mul_f32_e32 v181, v6, v3
	s_delay_alu instid0(VALU_DEP_3) | instskip(NEXT) | instid1(VALU_DEP_3)
	v_fmac_f32_e32 v179, v5, v0
	v_fma_f32 v180, v4, v0, -v1
	v_mul_f32_e32 v0, v7, v3
	s_delay_alu instid0(VALU_DEP_4) | instskip(NEXT) | instid1(VALU_DEP_2)
	v_fmac_f32_e32 v181, v7, v2
	v_fma_f32 v182, v6, v2, -v0
	ds_load_2addr_b64 v[0:3], v144 offset0:85 offset1:86
	ds_load_2addr_b64 v[4:7], v144 offset0:87 offset1:88
	s_wait_loadcnt_dscnt 0x1
	v_mul_f32_e32 v183, v0, v9
	v_mul_f32_e32 v185, v2, v11
	s_delay_alu instid0(VALU_DEP_2) | instskip(SKIP_1) | instid1(VALU_DEP_3)
	v_fmac_f32_e32 v183, v1, v8
	v_mul_f32_e32 v1, v1, v9
	v_fmac_f32_e32 v185, v3, v10
	s_delay_alu instid0(VALU_DEP_2) | instskip(SKIP_1) | instid1(VALU_DEP_1)
	v_fma_f32 v184, v0, v8, -v1
	v_mul_f32_e32 v0, v3, v11
	v_fma_f32 v186, v2, v10, -v0
	s_clause 0x1
	scratch_load_b128 v[0:3], off, off offset:248
	scratch_load_b128 v[8:11], off, off offset:264
	s_wait_loadcnt_dscnt 0x100
	v_mul_f32_e32 v187, v4, v1
	v_mul_f32_e32 v1, v5, v1
	v_mul_f32_e32 v189, v6, v3
	s_delay_alu instid0(VALU_DEP_3) | instskip(NEXT) | instid1(VALU_DEP_3)
	v_fmac_f32_e32 v187, v5, v0
	v_fma_f32 v188, v4, v0, -v1
	v_mul_f32_e32 v0, v7, v3
	s_delay_alu instid0(VALU_DEP_4) | instskip(NEXT) | instid1(VALU_DEP_2)
	v_fmac_f32_e32 v189, v7, v2
	v_fma_f32 v190, v6, v2, -v0
	ds_load_2addr_b64 v[0:3], v144 offset0:89 offset1:90
	ds_load_2addr_b64 v[4:7], v144 offset0:91 offset1:92
	s_wait_loadcnt_dscnt 0x1
	v_mul_f32_e32 v191, v0, v9
	v_mul_f32_e32 v193, v2, v11
	s_delay_alu instid0(VALU_DEP_2) | instskip(SKIP_1) | instid1(VALU_DEP_3)
	v_fmac_f32_e32 v191, v1, v8
	v_mul_f32_e32 v1, v1, v9
	v_fmac_f32_e32 v193, v3, v10
	s_delay_alu instid0(VALU_DEP_2) | instskip(SKIP_1) | instid1(VALU_DEP_1)
	v_fma_f32 v192, v0, v8, -v1
	v_mul_f32_e32 v0, v3, v11
	v_fma_f32 v194, v2, v10, -v0
	s_clause 0x1
	scratch_load_b128 v[0:3], off, off offset:280
	scratch_load_b128 v[8:11], off, off offset:296
	s_wait_loadcnt_dscnt 0x100
	v_mul_f32_e32 v195, v4, v1
	v_mul_f32_e32 v1, v5, v1
	v_mul_f32_e32 v197, v6, v3
	s_delay_alu instid0(VALU_DEP_3) | instskip(NEXT) | instid1(VALU_DEP_3)
	v_fmac_f32_e32 v195, v5, v0
	v_fma_f32 v196, v4, v0, -v1
	v_mul_f32_e32 v0, v7, v3
	s_delay_alu instid0(VALU_DEP_4) | instskip(NEXT) | instid1(VALU_DEP_2)
	v_fmac_f32_e32 v197, v7, v2
	v_fma_f32 v198, v6, v2, -v0
	ds_load_2addr_b64 v[0:3], v144 offset0:93 offset1:94
	ds_load_2addr_b64 v[4:7], v144 offset0:95 offset1:96
	s_wait_loadcnt_dscnt 0x1
	v_mul_f32_e32 v199, v0, v9
	v_mul_f32_e32 v201, v2, v11
	s_delay_alu instid0(VALU_DEP_2) | instskip(SKIP_1) | instid1(VALU_DEP_3)
	v_fmac_f32_e32 v199, v1, v8
	v_mul_f32_e32 v1, v1, v9
	v_fmac_f32_e32 v201, v3, v10
	s_delay_alu instid0(VALU_DEP_2) | instskip(SKIP_1) | instid1(VALU_DEP_1)
	v_fma_f32 v200, v0, v8, -v1
	v_mul_f32_e32 v0, v3, v11
	v_fma_f32 v202, v2, v10, -v0
	s_clause 0x1
	scratch_load_b128 v[0:3], off, off offset:312
	scratch_load_b128 v[8:11], off, off offset:328
	s_wait_loadcnt_dscnt 0x100
	v_mul_f32_e32 v203, v4, v1
	v_mul_f32_e32 v1, v5, v1
	v_mul_f32_e32 v205, v6, v3
	s_delay_alu instid0(VALU_DEP_3) | instskip(NEXT) | instid1(VALU_DEP_3)
	v_fmac_f32_e32 v203, v5, v0
	v_fma_f32 v204, v4, v0, -v1
	v_mul_f32_e32 v0, v7, v3
	s_delay_alu instid0(VALU_DEP_4) | instskip(NEXT) | instid1(VALU_DEP_2)
	v_fmac_f32_e32 v205, v7, v2
	v_fma_f32 v206, v6, v2, -v0
	ds_load_2addr_b64 v[0:3], v144 offset0:97 offset1:98
	ds_load_2addr_b64 v[4:7], v144 offset0:99 offset1:100
	s_wait_loadcnt_dscnt 0x1
	v_mul_f32_e32 v207, v0, v9
	v_mul_f32_e32 v209, v2, v11
	s_delay_alu instid0(VALU_DEP_2) | instskip(SKIP_1) | instid1(VALU_DEP_3)
	v_fmac_f32_e32 v207, v1, v8
	v_mul_f32_e32 v1, v1, v9
	v_fmac_f32_e32 v209, v3, v10
	s_delay_alu instid0(VALU_DEP_2) | instskip(SKIP_1) | instid1(VALU_DEP_1)
	v_fma_f32 v208, v0, v8, -v1
	v_mul_f32_e32 v0, v3, v11
	v_fma_f32 v210, v2, v10, -v0
	s_clause 0x1
	scratch_load_b128 v[0:3], off, off offset:344
	scratch_load_b128 v[8:11], off, off offset:360
	s_wait_loadcnt_dscnt 0x100
	v_mul_f32_e32 v211, v4, v1
	v_mul_f32_e32 v1, v5, v1
	v_mul_f32_e32 v213, v6, v3
	s_delay_alu instid0(VALU_DEP_3) | instskip(NEXT) | instid1(VALU_DEP_3)
	v_fmac_f32_e32 v211, v5, v0
	v_fma_f32 v212, v4, v0, -v1
	v_mul_f32_e32 v0, v7, v3
	v_add_f32_e32 v1, 0, v151
	v_fmac_f32_e32 v213, v7, v2
	s_delay_alu instid0(VALU_DEP_3) | instskip(SKIP_1) | instid1(VALU_DEP_1)
	v_fma_f32 v214, v6, v2, -v0
	v_add_f32_e32 v0, 0, v28
	v_dual_add_f32 v1, v1, v152 :: v_dual_add_f32 v0, v0, v29
	s_delay_alu instid0(VALU_DEP_1) | instskip(NEXT) | instid1(VALU_DEP_1)
	v_dual_add_f32 v1, v1, v30 :: v_dual_add_f32 v0, v0, v145
	v_dual_add_f32 v1, v1, v31 :: v_dual_add_f32 v0, v0, v146
	s_delay_alu instid0(VALU_DEP_1) | instskip(NEXT) | instid1(VALU_DEP_1)
	v_dual_add_f32 v1, v1, v147 :: v_dual_add_f32 v0, v0, v153
	;; [unrolled: 3-line block ×6, first 2 shown]
	v_add_f32_e32 v1, v1, v25
	scratch_load_b64 v[24:25], off, off offset:440
	v_dual_add_f32 v0, v0, v26 :: v_dual_add_f32 v1, v1, v27
	s_delay_alu instid0(VALU_DEP_1) | instskip(NEXT) | instid1(VALU_DEP_1)
	v_dual_add_f32 v0, v0, v156 :: v_dual_add_f32 v1, v1, v157
	v_dual_add_f32 v0, v0, v158 :: v_dual_add_f32 v1, v1, v159
	s_delay_alu instid0(VALU_DEP_1) | instskip(NEXT) | instid1(VALU_DEP_1)
	v_dual_add_f32 v0, v0, v160 :: v_dual_add_f32 v1, v1, v161
	;; [unrolled: 3-line block ×4, first 2 shown]
	v_dual_add_f32 v0, v0, v170 :: v_dual_add_f32 v1, v1, v171
	s_delay_alu instid0(VALU_DEP_1) | instskip(NEXT) | instid1(VALU_DEP_1)
	v_add_f32_e32 v0, v0, v172
	v_add_f32_e32 v0, v0, v174
	s_delay_alu instid0(VALU_DEP_1) | instskip(NEXT) | instid1(VALU_DEP_1)
	v_dual_add_f32 v0, v0, v176 :: v_dual_add_f32 v1, v1, v173
	v_dual_add_f32 v0, v0, v178 :: v_dual_add_f32 v1, v1, v175
	s_delay_alu instid0(VALU_DEP_1) | instskip(NEXT) | instid1(VALU_DEP_1)
	v_add_f32_e32 v0, v0, v180
	v_add_f32_e32 v0, v0, v182
	s_delay_alu instid0(VALU_DEP_1) | instskip(NEXT) | instid1(VALU_DEP_1)
	v_dual_add_f32 v0, v0, v184 :: v_dual_add_f32 v1, v1, v177
	v_add_f32_e32 v5, v0, v186
	s_delay_alu instid0(VALU_DEP_2) | instskip(NEXT) | instid1(VALU_DEP_2)
	v_add_f32_e32 v1, v1, v179
	v_add_f32_e32 v13, v5, v188
	s_delay_alu instid0(VALU_DEP_2) | instskip(NEXT) | instid1(VALU_DEP_2)
	v_add_f32_e32 v1, v1, v181
	v_add_f32_e32 v13, v13, v190
	s_delay_alu instid0(VALU_DEP_1) | instskip(NEXT) | instid1(VALU_DEP_1)
	v_add_f32_e32 v16, v13, v192
	v_add_f32_e32 v16, v16, v194
	s_delay_alu instid0(VALU_DEP_4)
	v_add_f32_e32 v4, v1, v183
	scratch_load_b128 v[0:3], off, off offset:376
	v_add_f32_e32 v16, v16, v196
	v_add_f32_e32 v12, v4, v185
	ds_load_2addr_b64 v[4:7], v144 offset0:101 offset1:102
	v_add_f32_e32 v16, v16, v198
	v_add_f32_e32 v12, v12, v187
	s_delay_alu instid0(VALU_DEP_2) | instskip(NEXT) | instid1(VALU_DEP_1)
	v_add_f32_e32 v21, v16, v200
	v_dual_add_f32 v12, v12, v189 :: v_dual_add_f32 v21, v21, v202
	s_delay_alu instid0(VALU_DEP_1)
	v_add_f32_e32 v17, v12, v191
	ds_load_2addr_b64 v[12:15], v144 offset0:103 offset1:104
	v_add_f32_e32 v21, v21, v204
	v_add_f32_e32 v17, v17, v193
	s_wait_loadcnt_dscnt 0x201
	v_mul_f32_e32 v28, v4, v9
	v_mul_f32_e32 v9, v5, v9
	;; [unrolled: 1-line block ×4, first 2 shown]
	v_add_f32_e32 v17, v17, v195
	v_fmac_f32_e32 v28, v5, v8
	v_fma_f32 v30, v4, v8, -v9
	v_fmac_f32_e32 v29, v7, v10
	v_fma_f32 v31, v6, v10, -v11
	s_clause 0x1
	scratch_load_b128 v[4:7], off, off offset:392
	scratch_load_b128 v[8:11], off, off offset:408
	v_add_f32_e32 v20, v17, v197
	scratch_load_b128 v[16:19], off, off offset:424
	v_dual_add_f32 v21, v21, v206 :: v_dual_add_f32 v20, v20, v199
	s_delay_alu instid0(VALU_DEP_1) | instskip(NEXT) | instid1(VALU_DEP_1)
	v_add_f32_e32 v20, v20, v201
	v_add_f32_e32 v20, v20, v203
	s_wait_loadcnt_dscnt 0x300
	v_mul_f32_e32 v145, v12, v1
	v_dual_mul_f32 v1, v13, v1 :: v_dual_mul_f32 v146, v14, v3
	v_mul_f32_e32 v3, v15, v3
	s_delay_alu instid0(VALU_DEP_3) | instskip(NEXT) | instid1(VALU_DEP_3)
	v_fmac_f32_e32 v145, v13, v0
	v_fma_f32 v147, v12, v0, -v1
	v_dual_add_f32 v12, v20, v205 :: v_dual_add_f32 v13, v21, v208
	v_fmac_f32_e32 v146, v15, v2
	v_fma_f32 v148, v14, v2, -v3
	ds_load_2addr_b64 v[0:3], v144 offset0:105 offset1:106
	v_add_f32_e32 v20, v12, v207
	v_add_f32_e32 v26, v13, v210
	ds_load_2addr_b64 v[12:15], v144 offset0:107 offset1:108
	v_add_f32_e32 v27, v20, v209
	v_add_f32_e32 v151, v26, v212
	;; [unrolled: 3-line block ×3, first 2 shown]
	ds_load_b64 v[26:27], v144 offset:888
	v_add_f32_e32 v152, v152, v213
	v_add_f32_e32 v30, v151, v30
	s_delay_alu instid0(VALU_DEP_2) | instskip(SKIP_1) | instid1(VALU_DEP_2)
	v_add_f32_e32 v28, v152, v28
	s_wait_loadcnt_dscnt 0x203
	v_dual_add_f32 v30, v30, v31 :: v_dual_mul_f32 v153, v0, v5
	v_mul_f32_e32 v5, v1, v5
	s_delay_alu instid0(VALU_DEP_3) | instskip(NEXT) | instid1(VALU_DEP_3)
	v_dual_mul_f32 v151, v2, v7 :: v_dual_add_f32 v28, v28, v29
	v_add_f32_e32 v30, v30, v147
	v_mul_f32_e32 v7, v3, v7
	v_fmac_f32_e32 v153, v1, v4
	v_fma_f32 v0, v0, v4, -v5
	s_delay_alu instid0(VALU_DEP_4)
	v_dual_add_f32 v28, v28, v145 :: v_dual_add_f32 v1, v30, v148
	s_wait_loadcnt_dscnt 0x102
	v_mul_f32_e32 v31, v12, v9
	v_mul_f32_e32 v5, v13, v9
	v_fmac_f32_e32 v151, v3, v6
	v_add_f32_e32 v4, v28, v146
	v_fma_f32 v2, v2, v6, -v7
	v_dual_add_f32 v0, v1, v0 :: v_dual_mul_f32 v29, v14, v11
	v_mul_f32_e32 v3, v15, v11
	s_delay_alu instid0(VALU_DEP_4)
	v_add_f32_e32 v1, v4, v153
	v_fmac_f32_e32 v31, v13, v8
	v_fma_f32 v4, v12, v8, -v5
	v_add_f32_e32 v0, v0, v2
	s_wait_loadcnt_dscnt 0x1
	v_dual_mul_f32 v152, v20, v17 :: v_dual_add_f32 v1, v1, v151
	v_dual_mul_f32 v2, v21, v17 :: v_dual_fmac_f32 v29, v15, v10
	v_fma_f32 v3, v14, v10, -v3
	s_delay_alu instid0(VALU_DEP_3)
	v_dual_add_f32 v0, v0, v4 :: v_dual_add_f32 v1, v1, v31
	v_mul_f32_e32 v147, v22, v19
	v_mul_f32_e32 v4, v23, v19
	v_fmac_f32_e32 v152, v21, v16
	v_fma_f32 v2, v20, v16, -v2
	v_dual_add_f32 v0, v0, v3 :: v_dual_add_f32 v1, v1, v29
	s_wait_dscnt 0x0
	v_mul_f32_e32 v145, v26, v25
	v_mul_f32_e32 v3, v27, v25
	v_fmac_f32_e32 v147, v23, v18
	v_fma_f32 v4, v22, v18, -v4
	v_dual_add_f32 v0, v0, v2 :: v_dual_add_f32 v1, v1, v152
	v_fmac_f32_e32 v145, v27, v24
	v_fma_f32 v2, v26, v24, -v3
	s_delay_alu instid0(VALU_DEP_3) | instskip(NEXT) | instid1(VALU_DEP_1)
	v_dual_add_f32 v0, v0, v4 :: v_dual_add_f32 v1, v1, v147
	v_dual_add_f32 v0, v0, v2 :: v_dual_add_f32 v1, v1, v145
	s_delay_alu instid0(VALU_DEP_1)
	v_dual_sub_f32 v0, v149, v0 :: v_dual_sub_f32 v1, v150, v1
	scratch_store_b64 off, v[0:1], off
	s_wait_alu 0xfffe
	s_cbranch_vccz .LBB55_460
; %bb.350:
	global_load_b32 v0, v144, s[2:3] offset:216
	s_wait_loadcnt 0x0
	v_cmp_ne_u32_e32 vcc_lo, 55, v0
	s_cbranch_vccz .LBB55_352
; %bb.351:
	v_lshlrev_b32_e32 v0, 3, v0
	s_delay_alu instid0(VALU_DEP_1)
	v_mov_b32_e32 v4, v0
	scratch_load_b64 v[0:1], v4, off offset:-8
	scratch_load_b64 v[2:3], off, off offset:432
	s_wait_loadcnt 0x1
	scratch_store_b64 off, v[0:1], off offset:432
	s_wait_loadcnt 0x0
	scratch_store_b64 v4, v[2:3], off offset:-8
.LBB55_352:
	v_mov_b32_e32 v0, 0
	global_load_b32 v1, v0, s[2:3] offset:212
	s_wait_loadcnt 0x0
	v_cmp_eq_u32_e32 vcc_lo, 54, v1
	s_cbranch_vccnz .LBB55_354
; %bb.353:
	v_lshlrev_b32_e32 v1, 3, v1
	s_delay_alu instid0(VALU_DEP_1)
	v_mov_b32_e32 v5, v1
	scratch_load_b64 v[1:2], v5, off offset:-8
	scratch_load_b64 v[3:4], off, off offset:424
	s_wait_loadcnt 0x1
	scratch_store_b64 off, v[1:2], off offset:424
	s_wait_loadcnt 0x0
	scratch_store_b64 v5, v[3:4], off offset:-8
.LBB55_354:
	global_load_b32 v0, v0, s[2:3] offset:208
	s_wait_loadcnt 0x0
	v_cmp_eq_u32_e32 vcc_lo, 53, v0
	s_cbranch_vccnz .LBB55_356
; %bb.355:
	v_lshlrev_b32_e32 v0, 3, v0
	s_delay_alu instid0(VALU_DEP_1)
	v_mov_b32_e32 v4, v0
	scratch_load_b64 v[0:1], v4, off offset:-8
	scratch_load_b64 v[2:3], off, off offset:416
	s_wait_loadcnt 0x1
	scratch_store_b64 off, v[0:1], off offset:416
	s_wait_loadcnt 0x0
	scratch_store_b64 v4, v[2:3], off offset:-8
.LBB55_356:
	v_mov_b32_e32 v0, 0
	global_load_b32 v1, v0, s[2:3] offset:204
	s_wait_loadcnt 0x0
	v_cmp_eq_u32_e32 vcc_lo, 52, v1
	s_cbranch_vccnz .LBB55_358
; %bb.357:
	v_lshlrev_b32_e32 v1, 3, v1
	s_delay_alu instid0(VALU_DEP_1)
	v_mov_b32_e32 v5, v1
	scratch_load_b64 v[1:2], v5, off offset:-8
	scratch_load_b64 v[3:4], off, off offset:408
	s_wait_loadcnt 0x1
	scratch_store_b64 off, v[1:2], off offset:408
	s_wait_loadcnt 0x0
	scratch_store_b64 v5, v[3:4], off offset:-8
.LBB55_358:
	global_load_b32 v0, v0, s[2:3] offset:200
	s_wait_loadcnt 0x0
	v_cmp_eq_u32_e32 vcc_lo, 51, v0
	s_cbranch_vccnz .LBB55_360
; %bb.359:
	v_lshlrev_b32_e32 v0, 3, v0
	s_delay_alu instid0(VALU_DEP_1)
	v_mov_b32_e32 v4, v0
	scratch_load_b64 v[0:1], v4, off offset:-8
	scratch_load_b64 v[2:3], off, off offset:400
	s_wait_loadcnt 0x1
	scratch_store_b64 off, v[0:1], off offset:400
	s_wait_loadcnt 0x0
	scratch_store_b64 v4, v[2:3], off offset:-8
.LBB55_360:
	;; [unrolled: 31-line block ×26, first 2 shown]
	v_mov_b32_e32 v0, 0
	global_load_b32 v1, v0, s[2:3] offset:4
	s_wait_loadcnt 0x0
	v_cmp_eq_u32_e32 vcc_lo, 2, v1
	s_cbranch_vccnz .LBB55_458
; %bb.457:
	v_lshlrev_b32_e32 v1, 3, v1
	s_delay_alu instid0(VALU_DEP_1)
	v_mov_b32_e32 v5, v1
	scratch_load_b64 v[1:2], v5, off offset:-8
	scratch_load_b64 v[3:4], off, off offset:8
	s_wait_loadcnt 0x1
	scratch_store_b64 off, v[1:2], off offset:8
	s_wait_loadcnt 0x0
	scratch_store_b64 v5, v[3:4], off offset:-8
.LBB55_458:
	global_load_b32 v0, v0, s[2:3]
	s_wait_loadcnt 0x0
	v_cmp_eq_u32_e32 vcc_lo, 1, v0
	s_cbranch_vccnz .LBB55_460
; %bb.459:
	v_lshlrev_b32_e32 v0, 3, v0
	s_delay_alu instid0(VALU_DEP_1)
	v_mov_b32_e32 v4, v0
	scratch_load_b64 v[0:1], v4, off offset:-8
	scratch_load_b64 v[2:3], off, off
	s_wait_loadcnt 0x1
	scratch_store_b64 off, v[0:1], off
	s_wait_loadcnt 0x0
	scratch_store_b64 v4, v[2:3], off offset:-8
.LBB55_460:
	s_clause 0x1b
	scratch_load_b128 v[0:3], off, off
	scratch_load_b128 v[4:7], off, off offset:16
	scratch_load_b128 v[8:11], off, off offset:32
	;; [unrolled: 1-line block ×27, first 2 shown]
	s_wait_loadcnt 0x1b
	s_clause 0x1
	global_store_b64 v[32:33], v[0:1], off
	global_store_b64 v[34:35], v[2:3], off
	s_wait_loadcnt 0x1a
	s_clause 0x1
	global_store_b64 v[36:37], v[4:5], off
	global_store_b64 v[38:39], v[6:7], off
	;; [unrolled: 4-line block ×28, first 2 shown]
	s_nop 0
	s_sendmsg sendmsg(MSG_DEALLOC_VGPRS)
	s_endpgm
	.section	.rodata,"a",@progbits
	.p2align	6, 0x0
	.amdhsa_kernel _ZN9rocsolver6v33100L18getri_kernel_smallILi56E19rocblas_complex_numIfEPS3_EEvT1_iilPiilS6_bb
		.amdhsa_group_segment_fixed_size 900
		.amdhsa_private_segment_fixed_size 464
		.amdhsa_kernarg_size 60
		.amdhsa_user_sgpr_count 2
		.amdhsa_user_sgpr_dispatch_ptr 0
		.amdhsa_user_sgpr_queue_ptr 0
		.amdhsa_user_sgpr_kernarg_segment_ptr 1
		.amdhsa_user_sgpr_dispatch_id 0
		.amdhsa_user_sgpr_private_segment_size 0
		.amdhsa_wavefront_size32 1
		.amdhsa_uses_dynamic_stack 0
		.amdhsa_enable_private_segment 1
		.amdhsa_system_sgpr_workgroup_id_x 1
		.amdhsa_system_sgpr_workgroup_id_y 0
		.amdhsa_system_sgpr_workgroup_id_z 0
		.amdhsa_system_sgpr_workgroup_info 0
		.amdhsa_system_vgpr_workitem_id 0
		.amdhsa_next_free_vgpr 252
		.amdhsa_next_free_sgpr 19
		.amdhsa_reserve_vcc 1
		.amdhsa_float_round_mode_32 0
		.amdhsa_float_round_mode_16_64 0
		.amdhsa_float_denorm_mode_32 3
		.amdhsa_float_denorm_mode_16_64 3
		.amdhsa_fp16_overflow 0
		.amdhsa_workgroup_processor_mode 1
		.amdhsa_memory_ordered 1
		.amdhsa_forward_progress 1
		.amdhsa_inst_pref_size 255
		.amdhsa_round_robin_scheduling 0
		.amdhsa_exception_fp_ieee_invalid_op 0
		.amdhsa_exception_fp_denorm_src 0
		.amdhsa_exception_fp_ieee_div_zero 0
		.amdhsa_exception_fp_ieee_overflow 0
		.amdhsa_exception_fp_ieee_underflow 0
		.amdhsa_exception_fp_ieee_inexact 0
		.amdhsa_exception_int_div_zero 0
	.end_amdhsa_kernel
	.section	.text._ZN9rocsolver6v33100L18getri_kernel_smallILi56E19rocblas_complex_numIfEPS3_EEvT1_iilPiilS6_bb,"axG",@progbits,_ZN9rocsolver6v33100L18getri_kernel_smallILi56E19rocblas_complex_numIfEPS3_EEvT1_iilPiilS6_bb,comdat
.Lfunc_end55:
	.size	_ZN9rocsolver6v33100L18getri_kernel_smallILi56E19rocblas_complex_numIfEPS3_EEvT1_iilPiilS6_bb, .Lfunc_end55-_ZN9rocsolver6v33100L18getri_kernel_smallILi56E19rocblas_complex_numIfEPS3_EEvT1_iilPiilS6_bb
                                        ; -- End function
	.set _ZN9rocsolver6v33100L18getri_kernel_smallILi56E19rocblas_complex_numIfEPS3_EEvT1_iilPiilS6_bb.num_vgpr, 252
	.set _ZN9rocsolver6v33100L18getri_kernel_smallILi56E19rocblas_complex_numIfEPS3_EEvT1_iilPiilS6_bb.num_agpr, 0
	.set _ZN9rocsolver6v33100L18getri_kernel_smallILi56E19rocblas_complex_numIfEPS3_EEvT1_iilPiilS6_bb.numbered_sgpr, 19
	.set _ZN9rocsolver6v33100L18getri_kernel_smallILi56E19rocblas_complex_numIfEPS3_EEvT1_iilPiilS6_bb.num_named_barrier, 0
	.set _ZN9rocsolver6v33100L18getri_kernel_smallILi56E19rocblas_complex_numIfEPS3_EEvT1_iilPiilS6_bb.private_seg_size, 464
	.set _ZN9rocsolver6v33100L18getri_kernel_smallILi56E19rocblas_complex_numIfEPS3_EEvT1_iilPiilS6_bb.uses_vcc, 1
	.set _ZN9rocsolver6v33100L18getri_kernel_smallILi56E19rocblas_complex_numIfEPS3_EEvT1_iilPiilS6_bb.uses_flat_scratch, 1
	.set _ZN9rocsolver6v33100L18getri_kernel_smallILi56E19rocblas_complex_numIfEPS3_EEvT1_iilPiilS6_bb.has_dyn_sized_stack, 0
	.set _ZN9rocsolver6v33100L18getri_kernel_smallILi56E19rocblas_complex_numIfEPS3_EEvT1_iilPiilS6_bb.has_recursion, 0
	.set _ZN9rocsolver6v33100L18getri_kernel_smallILi56E19rocblas_complex_numIfEPS3_EEvT1_iilPiilS6_bb.has_indirect_call, 0
	.section	.AMDGPU.csdata,"",@progbits
; Kernel info:
; codeLenInByte = 102808
; TotalNumSgprs: 21
; NumVgprs: 252
; ScratchSize: 464
; MemoryBound: 0
; FloatMode: 240
; IeeeMode: 1
; LDSByteSize: 900 bytes/workgroup (compile time only)
; SGPRBlocks: 0
; VGPRBlocks: 31
; NumSGPRsForWavesPerEU: 21
; NumVGPRsForWavesPerEU: 252
; Occupancy: 5
; WaveLimiterHint : 1
; COMPUTE_PGM_RSRC2:SCRATCH_EN: 1
; COMPUTE_PGM_RSRC2:USER_SGPR: 2
; COMPUTE_PGM_RSRC2:TRAP_HANDLER: 0
; COMPUTE_PGM_RSRC2:TGID_X_EN: 1
; COMPUTE_PGM_RSRC2:TGID_Y_EN: 0
; COMPUTE_PGM_RSRC2:TGID_Z_EN: 0
; COMPUTE_PGM_RSRC2:TIDIG_COMP_CNT: 0
	.section	.text._ZN9rocsolver6v33100L18getri_kernel_smallILi57E19rocblas_complex_numIfEPS3_EEvT1_iilPiilS6_bb,"axG",@progbits,_ZN9rocsolver6v33100L18getri_kernel_smallILi57E19rocblas_complex_numIfEPS3_EEvT1_iilPiilS6_bb,comdat
	.globl	_ZN9rocsolver6v33100L18getri_kernel_smallILi57E19rocblas_complex_numIfEPS3_EEvT1_iilPiilS6_bb ; -- Begin function _ZN9rocsolver6v33100L18getri_kernel_smallILi57E19rocblas_complex_numIfEPS3_EEvT1_iilPiilS6_bb
	.p2align	8
	.type	_ZN9rocsolver6v33100L18getri_kernel_smallILi57E19rocblas_complex_numIfEPS3_EEvT1_iilPiilS6_bb,@function
_ZN9rocsolver6v33100L18getri_kernel_smallILi57E19rocblas_complex_numIfEPS3_EEvT1_iilPiilS6_bb: ; @_ZN9rocsolver6v33100L18getri_kernel_smallILi57E19rocblas_complex_numIfEPS3_EEvT1_iilPiilS6_bb
; %bb.0:
	s_mov_b32 s2, exec_lo
	v_cmpx_gt_u32_e32 57, v0
	s_cbranch_execz .LBB56_242
; %bb.1:
	s_clause 0x2
	s_load_b32 s2, s[0:1], 0x38
	s_load_b128 s[12:15], s[0:1], 0x10
	s_load_b128 s[4:7], s[0:1], 0x28
	s_mov_b32 s16, ttmp9
	s_wait_kmcnt 0x0
	s_bitcmp1_b32 s2, 8
	s_cselect_b32 s18, -1, 0
	s_bfe_u32 s2, s2, 0x10008
	s_ashr_i32 s17, ttmp9, 31
	s_cmp_eq_u32 s2, 0
                                        ; implicit-def: $sgpr2_sgpr3
	s_cbranch_scc1 .LBB56_3
; %bb.2:
	s_load_b32 s2, s[0:1], 0x20
	s_mul_u64 s[4:5], s[4:5], s[16:17]
	s_delay_alu instid0(SALU_CYCLE_1) | instskip(NEXT) | instid1(SALU_CYCLE_1)
	s_lshl_b64 s[4:5], s[4:5], 2
	s_add_nc_u64 s[4:5], s[14:15], s[4:5]
	s_wait_kmcnt 0x0
	s_ashr_i32 s3, s2, 31
	s_delay_alu instid0(SALU_CYCLE_1) | instskip(NEXT) | instid1(SALU_CYCLE_1)
	s_lshl_b64 s[2:3], s[2:3], 2
	s_add_nc_u64 s[2:3], s[4:5], s[2:3]
.LBB56_3:
	s_clause 0x1
	s_load_b128 s[8:11], s[0:1], 0x0
	s_load_b32 s4, s[0:1], 0x38
	s_mul_u64 s[0:1], s[12:13], s[16:17]
	v_lshlrev_b32_e32 v13, 3, v0
	s_lshl_b64 s[0:1], s[0:1], 3
	s_wait_kmcnt 0x0
	v_add3_u32 v3, s11, s11, v0
	s_ashr_i32 s13, s10, 31
	s_mov_b32 s12, s10
	s_add_nc_u64 s[0:1], s[8:9], s[0:1]
	s_lshl_b64 s[12:13], s[12:13], 3
	v_add_nc_u32_e32 v5, s11, v3
	v_ashrrev_i32_e32 v4, 31, v3
	s_add_nc_u64 s[0:1], s[0:1], s[12:13]
	s_ashr_i32 s9, s11, 31
	v_add_co_u32 v25, s5, s0, v13
	v_add_nc_u32_e32 v7, s11, v5
	s_mov_b32 s8, s11
	v_lshlrev_b64_e32 v[3:4], 3, v[3:4]
	v_add_co_ci_u32_e64 v26, null, s1, 0, s5
	s_delay_alu instid0(VALU_DEP_3) | instskip(SKIP_3) | instid1(VALU_DEP_1)
	v_add_nc_u32_e32 v9, s11, v7
	s_lshl_b64 s[8:9], s[8:9], 3
	v_ashrrev_i32_e32 v6, 31, v5
	v_add_co_u32 v27, vcc_lo, v25, s8
	v_add_co_ci_u32_e64 v28, null, s9, v26, vcc_lo
	v_add_co_u32 v29, vcc_lo, s0, v3
	v_add_nc_u32_e32 v3, s11, v9
	v_lshlrev_b64_e32 v[5:6], 3, v[5:6]
	v_ashrrev_i32_e32 v8, 31, v7
	v_ashrrev_i32_e32 v10, 31, v9
	s_wait_alu 0xfffd
	v_add_co_ci_u32_e64 v30, null, s1, v4, vcc_lo
	v_add_nc_u32_e32 v11, s11, v3
	v_ashrrev_i32_e32 v4, 31, v3
	v_lshlrev_b64_e32 v[7:8], 3, v[7:8]
	v_add_co_u32 v31, vcc_lo, s0, v5
	s_wait_alu 0xfffd
	v_add_co_ci_u32_e64 v32, null, s1, v6, vcc_lo
	v_lshlrev_b64_e32 v[5:6], 3, v[9:10]
	v_add_nc_u32_e32 v16, s11, v11
	v_lshlrev_b64_e32 v[14:15], 3, v[3:4]
	v_ashrrev_i32_e32 v12, 31, v11
	v_add_co_u32 v33, vcc_lo, s0, v7
	s_delay_alu instid0(VALU_DEP_4)
	v_ashrrev_i32_e32 v17, 31, v16
	v_add_nc_u32_e32 v18, s11, v16
	s_wait_alu 0xfffd
	v_add_co_ci_u32_e64 v34, null, s1, v8, vcc_lo
	v_add_co_u32 v35, vcc_lo, s0, v5
	v_lshlrev_b64_e32 v[11:12], 3, v[11:12]
	s_wait_alu 0xfffd
	v_add_co_ci_u32_e64 v36, null, s1, v6, vcc_lo
	v_add_co_u32 v37, vcc_lo, s0, v14
	s_wait_alu 0xfffd
	v_add_co_ci_u32_e64 v38, null, s1, v15, vcc_lo
	v_lshlrev_b64_e32 v[14:15], 3, v[16:17]
	v_ashrrev_i32_e32 v19, 31, v18
	v_add_nc_u32_e32 v16, s11, v18
	v_add_co_u32 v39, vcc_lo, s0, v11
	s_wait_alu 0xfffd
	v_add_co_ci_u32_e64 v40, null, s1, v12, vcc_lo
	v_lshlrev_b64_e32 v[11:12], 3, v[18:19]
	v_ashrrev_i32_e32 v17, 31, v16
	v_add_nc_u32_e32 v18, s11, v16
	;; [unrolled: 6-line block ×24, first 2 shown]
	v_add_co_u32 v85, vcc_lo, s0, v14
	s_wait_alu 0xfffd
	v_add_co_ci_u32_e64 v86, null, s1, v15, vcc_lo
	v_lshlrev_b64_e32 v[14:15], 3, v[16:17]
	v_add_nc_u32_e32 v16, s11, v18
	v_ashrrev_i32_e32 v19, 31, v18
	v_add_co_u32 v87, vcc_lo, s0, v11
	s_wait_alu 0xfffd
	v_add_co_ci_u32_e64 v88, null, s1, v12, vcc_lo
	v_add_nc_u32_e32 v22, s11, v16
	v_lshlrev_b64_e32 v[11:12], 3, v[18:19]
	v_add_co_u32 v89, vcc_lo, s0, v14
	s_wait_alu 0xfffd
	v_add_co_ci_u32_e64 v90, null, s1, v15, vcc_lo
	v_ashrrev_i32_e32 v23, 31, v22
	s_delay_alu instid0(VALU_DEP_4) | instskip(SKIP_2) | instid1(VALU_DEP_3)
	v_add_co_u32 v91, vcc_lo, s0, v11
	s_wait_alu 0xfffd
	v_add_co_ci_u32_e64 v92, null, s1, v12, vcc_lo
	v_lshlrev_b64_e32 v[11:12], 3, v[22:23]
	v_add_nc_u32_e32 v22, s11, v22
	v_ashrrev_i32_e32 v17, 31, v16
	s_clause 0x4
	global_load_b64 v[1:2], v13, s[0:1]
	global_load_b64 v[3:4], v[27:28], off
	global_load_b64 v[5:6], v[29:30], off
	;; [unrolled: 1-line block ×4, first 2 shown]
	s_bitcmp0_b32 s4, 0
	v_add_nc_u32_e32 v99, s11, v22
	v_ashrrev_i32_e32 v23, 31, v22
	v_lshlrev_b64_e32 v[14:15], 3, v[16:17]
	s_delay_alu instid0(VALU_DEP_3) | instskip(NEXT) | instid1(VALU_DEP_3)
	v_add_nc_u32_e32 v101, s11, v99
	v_lshlrev_b64_e32 v[22:23], 3, v[22:23]
	v_ashrrev_i32_e32 v100, 31, v99
	s_delay_alu instid0(VALU_DEP_4)
	v_add_co_u32 v93, vcc_lo, s0, v14
	s_wait_alu 0xfffd
	v_add_co_ci_u32_e64 v94, null, s1, v15, vcc_lo
	v_add_co_u32 v95, vcc_lo, s0, v11
	v_add_nc_u32_e32 v103, s11, v101
	s_wait_alu 0xfffd
	v_add_co_ci_u32_e64 v96, null, s1, v12, vcc_lo
	v_add_co_u32 v97, vcc_lo, s0, v22
	s_wait_alu 0xfffd
	v_add_co_ci_u32_e64 v98, null, s1, v23, vcc_lo
	v_lshlrev_b64_e32 v[22:23], 3, v[99:100]
	v_ashrrev_i32_e32 v102, 31, v101
	v_add_nc_u32_e32 v105, s11, v103
	v_ashrrev_i32_e32 v104, 31, v103
	s_clause 0x13
	global_load_b64 v[11:12], v[35:36], off
	global_load_b64 v[14:15], v[37:38], off
	;; [unrolled: 1-line block ×20, first 2 shown]
	v_lshlrev_b64_e32 v[101:102], 3, v[101:102]
	v_add_co_u32 v99, vcc_lo, s0, v22
	v_ashrrev_i32_e32 v106, 31, v105
	s_wait_alu 0xfffd
	v_add_co_ci_u32_e64 v100, null, s1, v23, vcc_lo
	v_lshlrev_b64_e32 v[22:23], 3, v[103:104]
	v_add_nc_u32_e32 v108, s11, v105
	v_lshlrev_b64_e32 v[106:107], 3, v[105:106]
	v_add_co_u32 v101, vcc_lo, s0, v101
	s_wait_alu 0xfffd
	v_add_co_ci_u32_e64 v102, null, s1, v102, vcc_lo
	v_add_co_u32 v103, vcc_lo, s0, v22
	v_ashrrev_i32_e32 v109, 31, v108
	v_add_nc_u32_e32 v22, s11, v108
	s_wait_alu 0xfffd
	v_add_co_ci_u32_e64 v104, null, s1, v23, vcc_lo
	v_add_co_u32 v105, vcc_lo, s0, v106
	s_wait_alu 0xfffd
	v_add_co_ci_u32_e64 v106, null, s1, v107, vcc_lo
	v_lshlrev_b64_e32 v[107:108], 3, v[108:109]
	v_add_nc_u32_e32 v109, s11, v22
	v_ashrrev_i32_e32 v23, 31, v22
	s_clause 0xb
	global_load_b64 v[169:170], v[75:76], off
	global_load_b64 v[171:172], v[77:78], off
	;; [unrolled: 1-line block ×12, first 2 shown]
	v_add_nc_u32_e32 v111, s11, v109
	v_lshlrev_b64_e32 v[22:23], 3, v[22:23]
	v_ashrrev_i32_e32 v110, 31, v109
	v_add_co_u32 v107, vcc_lo, s0, v107
	s_delay_alu instid0(VALU_DEP_4)
	v_add_nc_u32_e32 v115, s11, v111
	v_ashrrev_i32_e32 v112, 31, v111
	s_wait_alu 0xfffd
	v_add_co_ci_u32_e64 v108, null, s1, v108, vcc_lo
	v_lshlrev_b64_e32 v[113:114], 3, v[109:110]
	v_add_co_u32 v109, vcc_lo, s0, v22
	v_add_nc_u32_e32 v117, s11, v115
	s_wait_alu 0xfffd
	v_add_co_ci_u32_e64 v110, null, s1, v23, vcc_lo
	v_lshlrev_b64_e32 v[22:23], 3, v[111:112]
	v_ashrrev_i32_e32 v116, 31, v115
	v_add_co_u32 v111, vcc_lo, s0, v113
	v_add_nc_u32_e32 v119, s11, v117
	s_wait_alu 0xfffd
	v_add_co_ci_u32_e64 v112, null, s1, v114, vcc_lo
	v_add_co_u32 v113, vcc_lo, s0, v22
	s_wait_alu 0xfffd
	v_add_co_ci_u32_e64 v114, null, s1, v23, vcc_lo
	v_lshlrev_b64_e32 v[22:23], 3, v[115:116]
	v_ashrrev_i32_e32 v118, 31, v117
	v_add_nc_u32_e32 v121, s11, v119
	v_ashrrev_i32_e32 v120, 31, v119
	s_clause 0x7
	global_load_b64 v[193:194], v[99:100], off
	global_load_b64 v[195:196], v[101:102], off
	;; [unrolled: 1-line block ×8, first 2 shown]
	v_lshlrev_b64_e32 v[117:118], 3, v[117:118]
	v_add_co_u32 v115, vcc_lo, s0, v22
	v_ashrrev_i32_e32 v122, 31, v121
	s_wait_alu 0xfffd
	v_add_co_ci_u32_e64 v116, null, s1, v23, vcc_lo
	v_lshlrev_b64_e32 v[22:23], 3, v[119:120]
	v_add_nc_u32_e32 v124, s11, v121
	v_lshlrev_b64_e32 v[122:123], 3, v[121:122]
	v_add_co_u32 v117, vcc_lo, s0, v117
	s_wait_alu 0xfffd
	v_add_co_ci_u32_e64 v118, null, s1, v118, vcc_lo
	v_add_co_u32 v119, vcc_lo, s0, v22
	v_ashrrev_i32_e32 v125, 31, v124
	v_add_nc_u32_e32 v22, s11, v124
	s_wait_alu 0xfffd
	v_add_co_ci_u32_e64 v120, null, s1, v23, vcc_lo
	v_add_co_u32 v121, vcc_lo, s0, v122
	s_wait_alu 0xfffd
	v_add_co_ci_u32_e64 v122, null, s1, v123, vcc_lo
	v_lshlrev_b64_e32 v[123:124], 3, v[124:125]
	v_add_nc_u32_e32 v125, s11, v22
	v_ashrrev_i32_e32 v23, 31, v22
	s_clause 0x3
	global_load_b64 v[209:210], v[115:116], off
	global_load_b64 v[211:212], v[117:118], off
	;; [unrolled: 1-line block ×4, first 2 shown]
	v_add_nc_u32_e32 v127, s11, v125
	v_lshlrev_b64_e32 v[22:23], 3, v[22:23]
	v_ashrrev_i32_e32 v126, 31, v125
	v_add_co_u32 v123, vcc_lo, s0, v123
	s_delay_alu instid0(VALU_DEP_4)
	v_add_nc_u32_e32 v131, s11, v127
	v_ashrrev_i32_e32 v128, 31, v127
	s_wait_alu 0xfffd
	v_add_co_ci_u32_e64 v124, null, s1, v124, vcc_lo
	v_lshlrev_b64_e32 v[129:130], 3, v[125:126]
	v_add_co_u32 v125, vcc_lo, s0, v22
	v_add_nc_u32_e32 v133, s11, v131
	s_wait_alu 0xfffd
	v_add_co_ci_u32_e64 v126, null, s1, v23, vcc_lo
	v_lshlrev_b64_e32 v[22:23], 3, v[127:128]
	v_ashrrev_i32_e32 v132, 31, v131
	v_add_nc_u32_e32 v135, s11, v133
	v_add_co_u32 v127, vcc_lo, s0, v129
	s_wait_alu 0xfffd
	v_add_co_ci_u32_e64 v128, null, s1, v130, vcc_lo
	v_add_co_u32 v129, vcc_lo, s0, v22
	s_wait_alu 0xfffd
	v_add_co_ci_u32_e64 v130, null, s1, v23, vcc_lo
	v_lshlrev_b64_e32 v[22:23], 3, v[131:132]
	v_add_nc_u32_e32 v137, s11, v135
	v_ashrrev_i32_e32 v134, 31, v133
	v_ashrrev_i32_e32 v136, 31, v135
	s_clause 0x3
	global_load_b64 v[217:218], v[123:124], off
	global_load_b64 v[219:220], v[125:126], off
	;; [unrolled: 1-line block ×4, first 2 shown]
	v_ashrrev_i32_e32 v138, 31, v137
	v_lshlrev_b64_e32 v[133:134], 3, v[133:134]
	v_add_co_u32 v131, vcc_lo, s0, v22
	s_wait_alu 0xfffd
	v_add_co_ci_u32_e64 v132, null, s1, v23, vcc_lo
	v_lshlrev_b64_e32 v[22:23], 3, v[135:136]
	v_lshlrev_b64_e32 v[137:138], 3, v[137:138]
	v_add_co_u32 v133, vcc_lo, s0, v133
	s_wait_alu 0xfffd
	v_add_co_ci_u32_e64 v134, null, s1, v134, vcc_lo
	s_delay_alu instid0(VALU_DEP_4)
	v_add_co_u32 v135, vcc_lo, s0, v22
	s_wait_alu 0xfffd
	v_add_co_ci_u32_e64 v136, null, s1, v23, vcc_lo
	v_add_co_u32 v137, vcc_lo, s0, v137
	s_wait_alu 0xfffd
	v_add_co_ci_u32_e64 v138, null, s1, v138, vcc_lo
	s_clause 0x3
	global_load_b64 v[225:226], v[131:132], off
	global_load_b64 v[227:228], v[133:134], off
	;; [unrolled: 1-line block ×4, first 2 shown]
	s_mov_b32 s1, -1
	s_wait_loadcnt 0x37
	scratch_store_b128 off, v[1:4], off
	s_wait_loadcnt 0x35
	scratch_store_b128 off, v[5:8], off offset:16
	s_wait_loadcnt 0x33
	scratch_store_b128 off, v[9:12], off offset:32
	;; [unrolled: 2-line block ×27, first 2 shown]
	s_wait_loadcnt 0x0
	scratch_store_b64 off, v[22:23], off offset:448
	s_cbranch_scc1 .LBB56_240
; %bb.4:
	v_cmp_eq_u32_e64 s0, 0, v0
	s_and_saveexec_b32 s1, s0
; %bb.5:
	v_mov_b32_e32 v1, 0
	ds_store_b32 v1, v1 offset:456
; %bb.6:
	s_wait_alu 0xfffe
	s_or_b32 exec_lo, exec_lo, s1
	s_wait_storecnt_dscnt 0x0
	s_barrier_signal -1
	s_barrier_wait -1
	global_inv scope:SCOPE_SE
	scratch_load_b64 v[1:2], v13, off
	s_wait_loadcnt 0x0
	v_cmp_eq_f32_e32 vcc_lo, 0, v1
	v_cmp_eq_f32_e64 s1, 0, v2
	s_and_b32 s1, vcc_lo, s1
	s_wait_alu 0xfffe
	s_and_saveexec_b32 s4, s1
	s_cbranch_execz .LBB56_10
; %bb.7:
	v_mov_b32_e32 v1, 0
	s_mov_b32 s5, 0
	ds_load_b32 v2, v1 offset:456
	s_wait_dscnt 0x0
	v_readfirstlane_b32 s1, v2
	v_add_nc_u32_e32 v2, 1, v0
	s_cmp_eq_u32 s1, 0
	s_delay_alu instid0(VALU_DEP_1)
	v_cmp_gt_i32_e32 vcc_lo, s1, v2
	s_cselect_b32 s8, -1, 0
	s_wait_alu 0xfffe
	s_or_b32 s8, s8, vcc_lo
	s_wait_alu 0xfffe
	s_and_b32 exec_lo, exec_lo, s8
	s_cbranch_execz .LBB56_10
; %bb.8:
	v_mov_b32_e32 v3, s1
.LBB56_9:                               ; =>This Inner Loop Header: Depth=1
	ds_cmpstore_rtn_b32 v3, v1, v2, v3 offset:456
	s_wait_dscnt 0x0
	v_cmp_ne_u32_e32 vcc_lo, 0, v3
	v_cmp_le_i32_e64 s1, v3, v2
	s_and_b32 s1, vcc_lo, s1
	s_wait_alu 0xfffe
	s_and_b32 s1, exec_lo, s1
	s_wait_alu 0xfffe
	s_or_b32 s5, s1, s5
	s_wait_alu 0xfffe
	s_and_not1_b32 exec_lo, exec_lo, s5
	s_cbranch_execnz .LBB56_9
.LBB56_10:
	s_wait_alu 0xfffe
	s_or_b32 exec_lo, exec_lo, s4
	v_mov_b32_e32 v1, 0
	s_barrier_signal -1
	s_barrier_wait -1
	global_inv scope:SCOPE_SE
	ds_load_b32 v2, v1 offset:456
	s_and_saveexec_b32 s1, s0
	s_cbranch_execz .LBB56_12
; %bb.11:
	s_lshl_b64 s[4:5], s[16:17], 2
	s_wait_alu 0xfffe
	s_add_nc_u64 s[4:5], s[6:7], s[4:5]
	s_wait_dscnt 0x0
	global_store_b32 v1, v2, s[4:5]
.LBB56_12:
	s_wait_alu 0xfffe
	s_or_b32 exec_lo, exec_lo, s1
	s_wait_dscnt 0x0
	v_cmp_ne_u32_e32 vcc_lo, 0, v2
	s_mov_b32 s1, 0
	s_cbranch_vccnz .LBB56_240
; %bb.13:
	v_mov_b32_e32 v7, v13
                                        ; implicit-def: $vgpr3
                                        ; implicit-def: $vgpr5
	scratch_load_b64 v[1:2], v7, off
	s_wait_loadcnt 0x0
	v_cmp_ngt_f32_e64 s1, |v1|, |v2|
	s_wait_alu 0xfffe
	s_and_saveexec_b32 s4, s1
	s_wait_alu 0xfffe
	s_xor_b32 s1, exec_lo, s4
	s_cbranch_execz .LBB56_15
; %bb.14:
	v_div_scale_f32 v3, null, v2, v2, v1
	v_div_scale_f32 v6, vcc_lo, v1, v2, v1
	s_delay_alu instid0(VALU_DEP_2) | instskip(NEXT) | instid1(TRANS32_DEP_1)
	v_rcp_f32_e32 v4, v3
	v_fma_f32 v5, -v3, v4, 1.0
	s_delay_alu instid0(VALU_DEP_1) | instskip(NEXT) | instid1(VALU_DEP_1)
	v_fmac_f32_e32 v4, v5, v4
	v_mul_f32_e32 v5, v6, v4
	s_delay_alu instid0(VALU_DEP_1) | instskip(NEXT) | instid1(VALU_DEP_1)
	v_fma_f32 v8, -v3, v5, v6
	v_fmac_f32_e32 v5, v8, v4
	s_delay_alu instid0(VALU_DEP_1) | instskip(SKIP_1) | instid1(VALU_DEP_1)
	v_fma_f32 v3, -v3, v5, v6
	s_wait_alu 0xfffd
	v_div_fmas_f32 v3, v3, v4, v5
	s_delay_alu instid0(VALU_DEP_1) | instskip(NEXT) | instid1(VALU_DEP_1)
	v_div_fixup_f32 v3, v3, v2, v1
	v_fmac_f32_e32 v2, v1, v3
	s_delay_alu instid0(VALU_DEP_1) | instskip(NEXT) | instid1(VALU_DEP_1)
	v_div_scale_f32 v1, null, v2, v2, 1.0
	v_rcp_f32_e32 v4, v1
	s_delay_alu instid0(TRANS32_DEP_1) | instskip(NEXT) | instid1(VALU_DEP_1)
	v_fma_f32 v5, -v1, v4, 1.0
	v_fmac_f32_e32 v4, v5, v4
	v_div_scale_f32 v5, vcc_lo, 1.0, v2, 1.0
	s_delay_alu instid0(VALU_DEP_1) | instskip(NEXT) | instid1(VALU_DEP_1)
	v_mul_f32_e32 v6, v5, v4
	v_fma_f32 v8, -v1, v6, v5
	s_delay_alu instid0(VALU_DEP_1) | instskip(NEXT) | instid1(VALU_DEP_1)
	v_fmac_f32_e32 v6, v8, v4
	v_fma_f32 v1, -v1, v6, v5
	s_wait_alu 0xfffd
	s_delay_alu instid0(VALU_DEP_1) | instskip(NEXT) | instid1(VALU_DEP_1)
	v_div_fmas_f32 v1, v1, v4, v6
	v_div_fixup_f32 v1, v1, v2, 1.0
	s_delay_alu instid0(VALU_DEP_1) | instskip(SKIP_1) | instid1(VALU_DEP_2)
	v_mul_f32_e32 v3, v3, v1
	v_xor_b32_e32 v4, 0x80000000, v1
                                        ; implicit-def: $vgpr1_vgpr2
	v_xor_b32_e32 v5, 0x80000000, v3
.LBB56_15:
	s_wait_alu 0xfffe
	s_and_not1_saveexec_b32 s1, s1
	s_cbranch_execz .LBB56_17
; %bb.16:
	v_div_scale_f32 v3, null, v1, v1, v2
	v_div_scale_f32 v6, vcc_lo, v2, v1, v2
	s_delay_alu instid0(VALU_DEP_2) | instskip(NEXT) | instid1(TRANS32_DEP_1)
	v_rcp_f32_e32 v4, v3
	v_fma_f32 v5, -v3, v4, 1.0
	s_delay_alu instid0(VALU_DEP_1) | instskip(NEXT) | instid1(VALU_DEP_1)
	v_fmac_f32_e32 v4, v5, v4
	v_mul_f32_e32 v5, v6, v4
	s_delay_alu instid0(VALU_DEP_1) | instskip(NEXT) | instid1(VALU_DEP_1)
	v_fma_f32 v8, -v3, v5, v6
	v_fmac_f32_e32 v5, v8, v4
	s_delay_alu instid0(VALU_DEP_1) | instskip(SKIP_1) | instid1(VALU_DEP_1)
	v_fma_f32 v3, -v3, v5, v6
	s_wait_alu 0xfffd
	v_div_fmas_f32 v3, v3, v4, v5
	s_delay_alu instid0(VALU_DEP_1) | instskip(NEXT) | instid1(VALU_DEP_1)
	v_div_fixup_f32 v4, v3, v1, v2
	v_fmac_f32_e32 v1, v2, v4
	s_delay_alu instid0(VALU_DEP_1) | instskip(SKIP_1) | instid1(VALU_DEP_2)
	v_div_scale_f32 v2, null, v1, v1, 1.0
	v_div_scale_f32 v6, vcc_lo, 1.0, v1, 1.0
	v_rcp_f32_e32 v3, v2
	s_delay_alu instid0(TRANS32_DEP_1) | instskip(NEXT) | instid1(VALU_DEP_1)
	v_fma_f32 v5, -v2, v3, 1.0
	v_fmac_f32_e32 v3, v5, v3
	s_delay_alu instid0(VALU_DEP_1) | instskip(NEXT) | instid1(VALU_DEP_1)
	v_mul_f32_e32 v5, v6, v3
	v_fma_f32 v8, -v2, v5, v6
	s_delay_alu instid0(VALU_DEP_1) | instskip(NEXT) | instid1(VALU_DEP_1)
	v_fmac_f32_e32 v5, v8, v3
	v_fma_f32 v2, -v2, v5, v6
	s_wait_alu 0xfffd
	s_delay_alu instid0(VALU_DEP_1) | instskip(NEXT) | instid1(VALU_DEP_1)
	v_div_fmas_f32 v2, v2, v3, v5
	v_div_fixup_f32 v3, v2, v1, 1.0
	s_delay_alu instid0(VALU_DEP_1)
	v_xor_b32_e32 v5, 0x80000000, v3
	v_mul_f32_e64 v4, v4, -v3
.LBB56_17:
	s_wait_alu 0xfffe
	s_or_b32 exec_lo, exec_lo, s1
	scratch_store_b64 v7, v[3:4], off
	scratch_load_b64 v[2:3], off, off offset:8
	v_xor_b32_e32 v6, 0x80000000, v4
	v_add_nc_u32_e32 v1, 0x1d0, v13
	s_wait_loadcnt 0x0
	ds_store_2addr_b64 v13, v[5:6], v[2:3] offset1:58
	s_wait_storecnt_dscnt 0x0
	s_barrier_signal -1
	s_barrier_wait -1
	global_inv scope:SCOPE_SE
	s_and_saveexec_b32 s1, s0
	s_cbranch_execz .LBB56_19
; %bb.18:
	scratch_load_b64 v[2:3], v7, off
	ds_load_b64 v[4:5], v1
	v_mov_b32_e32 v6, 0
	ds_load_b64 v[8:9], v6 offset:8
	s_wait_loadcnt_dscnt 0x1
	v_mul_f32_e32 v6, v4, v3
	v_mul_f32_e32 v3, v5, v3
	s_delay_alu instid0(VALU_DEP_2) | instskip(NEXT) | instid1(VALU_DEP_2)
	v_fmac_f32_e32 v6, v5, v2
	v_fma_f32 v2, v4, v2, -v3
	s_delay_alu instid0(VALU_DEP_2) | instskip(SKIP_1) | instid1(VALU_DEP_1)
	v_add_f32_e32 v4, 0, v6
	s_wait_dscnt 0x0
	v_dual_add_f32 v2, 0, v2 :: v_dual_mul_f32 v5, v4, v9
	s_delay_alu instid0(VALU_DEP_1) | instskip(NEXT) | instid1(VALU_DEP_1)
	v_mul_f32_e32 v3, v2, v9
	v_fmac_f32_e32 v3, v4, v8
	s_delay_alu instid0(VALU_DEP_3)
	v_fma_f32 v2, v2, v8, -v5
	scratch_store_b64 off, v[2:3], off offset:8
.LBB56_19:
	s_wait_alu 0xfffe
	s_or_b32 exec_lo, exec_lo, s1
	s_wait_loadcnt 0x0
	s_wait_storecnt 0x0
	s_barrier_signal -1
	s_barrier_wait -1
	global_inv scope:SCOPE_SE
	scratch_load_b64 v[2:3], off, off offset:16
	s_mov_b32 s1, exec_lo
	s_wait_loadcnt 0x0
	ds_store_b64 v1, v[2:3]
	s_wait_dscnt 0x0
	s_barrier_signal -1
	s_barrier_wait -1
	global_inv scope:SCOPE_SE
	v_cmpx_gt_u32_e32 2, v0
	s_cbranch_execz .LBB56_23
; %bb.20:
	scratch_load_b64 v[2:3], v7, off
	ds_load_b64 v[4:5], v1
	s_wait_loadcnt_dscnt 0x0
	v_mul_f32_e32 v6, v5, v3
	v_mul_f32_e32 v8, v4, v3
	s_delay_alu instid0(VALU_DEP_2) | instskip(NEXT) | instid1(VALU_DEP_1)
	v_fma_f32 v3, v4, v2, -v6
	v_dual_fmac_f32 v8, v5, v2 :: v_dual_add_f32 v3, 0, v3
	s_delay_alu instid0(VALU_DEP_1)
	v_add_f32_e32 v2, 0, v8
	s_and_saveexec_b32 s4, s0
	s_cbranch_execz .LBB56_22
; %bb.21:
	scratch_load_b64 v[4:5], off, off offset:8
	v_mov_b32_e32 v6, 0
	ds_load_b64 v[8:9], v6 offset:472
	s_wait_loadcnt_dscnt 0x0
	v_mul_f32_e32 v6, v8, v5
	v_mul_f32_e32 v5, v9, v5
	s_delay_alu instid0(VALU_DEP_2) | instskip(NEXT) | instid1(VALU_DEP_2)
	v_fmac_f32_e32 v6, v9, v4
	v_fma_f32 v4, v8, v4, -v5
	s_delay_alu instid0(VALU_DEP_1)
	v_dual_add_f32 v2, v2, v6 :: v_dual_add_f32 v3, v3, v4
.LBB56_22:
	s_wait_alu 0xfffe
	s_or_b32 exec_lo, exec_lo, s4
	v_mov_b32_e32 v4, 0
	ds_load_b64 v[4:5], v4 offset:16
	s_wait_dscnt 0x0
	v_mul_f32_e32 v8, v2, v5
	v_mul_f32_e32 v6, v3, v5
	s_delay_alu instid0(VALU_DEP_2) | instskip(NEXT) | instid1(VALU_DEP_2)
	v_fma_f32 v5, v3, v4, -v8
	v_fmac_f32_e32 v6, v2, v4
	scratch_store_b64 off, v[5:6], off offset:16
.LBB56_23:
	s_wait_alu 0xfffe
	s_or_b32 exec_lo, exec_lo, s1
	s_wait_loadcnt 0x0
	s_wait_storecnt 0x0
	s_barrier_signal -1
	s_barrier_wait -1
	global_inv scope:SCOPE_SE
	scratch_load_b64 v[3:4], off, off offset:24
	v_add_nc_u32_e32 v2, -1, v0
	s_mov_b32 s0, exec_lo
	s_wait_loadcnt 0x0
	ds_store_b64 v1, v[3:4]
	s_wait_dscnt 0x0
	s_barrier_signal -1
	s_barrier_wait -1
	global_inv scope:SCOPE_SE
	v_cmpx_gt_u32_e32 3, v0
	s_cbranch_execz .LBB56_27
; %bb.24:
	v_dual_mov_b32 v3, 0 :: v_dual_add_nc_u32 v4, -1, v0
	v_dual_mov_b32 v6, v13 :: v_dual_add_nc_u32 v5, 0x1d0, v13
	v_mov_b32_e32 v8, 0
	s_mov_b32 s1, 0
.LBB56_25:                              ; =>This Inner Loop Header: Depth=1
	scratch_load_b64 v[9:10], v6, off
	ds_load_b64 v[11:12], v5
	v_add_nc_u32_e32 v6, 8, v6
	s_wait_loadcnt_dscnt 0x0
	v_dual_mul_f32 v14, v12, v10 :: v_dual_add_nc_u32 v5, 8, v5
	v_mul_f32_e32 v10, v11, v10
	s_delay_alu instid0(VALU_DEP_2) | instskip(NEXT) | instid1(VALU_DEP_2)
	v_fma_f32 v11, v11, v9, -v14
	v_fmac_f32_e32 v10, v12, v9
	v_add_nc_u32_e32 v4, 1, v4
	s_delay_alu instid0(VALU_DEP_2) | instskip(NEXT) | instid1(VALU_DEP_2)
	v_dual_add_f32 v8, v8, v11 :: v_dual_add_f32 v3, v3, v10
	v_cmp_lt_u32_e32 vcc_lo, 1, v4
	s_wait_alu 0xfffe
	s_or_b32 s1, vcc_lo, s1
	s_wait_alu 0xfffe
	s_and_not1_b32 exec_lo, exec_lo, s1
	s_cbranch_execnz .LBB56_25
; %bb.26:
	s_or_b32 exec_lo, exec_lo, s1
	v_mov_b32_e32 v4, 0
	ds_load_b64 v[4:5], v4 offset:24
	s_wait_dscnt 0x0
	v_mul_f32_e32 v9, v3, v5
	v_mul_f32_e32 v6, v8, v5
	s_delay_alu instid0(VALU_DEP_2) | instskip(NEXT) | instid1(VALU_DEP_2)
	v_fma_f32 v5, v8, v4, -v9
	v_fmac_f32_e32 v6, v3, v4
	scratch_store_b64 off, v[5:6], off offset:24
.LBB56_27:
	s_wait_alu 0xfffe
	s_or_b32 exec_lo, exec_lo, s0
	s_wait_loadcnt 0x0
	s_wait_storecnt 0x0
	s_barrier_signal -1
	s_barrier_wait -1
	global_inv scope:SCOPE_SE
	scratch_load_b64 v[3:4], off, off offset:32
	s_mov_b32 s0, exec_lo
	s_wait_loadcnt 0x0
	ds_store_b64 v1, v[3:4]
	s_wait_dscnt 0x0
	s_barrier_signal -1
	s_barrier_wait -1
	global_inv scope:SCOPE_SE
	v_cmpx_gt_u32_e32 4, v0
	s_cbranch_execz .LBB56_31
; %bb.28:
	v_dual_mov_b32 v3, 0 :: v_dual_add_nc_u32 v4, -1, v0
	v_dual_mov_b32 v6, v13 :: v_dual_add_nc_u32 v5, 0x1d0, v13
	v_mov_b32_e32 v8, 0
	s_mov_b32 s1, 0
.LBB56_29:                              ; =>This Inner Loop Header: Depth=1
	scratch_load_b64 v[9:10], v6, off
	ds_load_b64 v[11:12], v5
	v_add_nc_u32_e32 v6, 8, v6
	s_wait_loadcnt_dscnt 0x0
	v_dual_mul_f32 v14, v12, v10 :: v_dual_add_nc_u32 v5, 8, v5
	v_mul_f32_e32 v10, v11, v10
	s_delay_alu instid0(VALU_DEP_2) | instskip(NEXT) | instid1(VALU_DEP_2)
	v_fma_f32 v11, v11, v9, -v14
	v_fmac_f32_e32 v10, v12, v9
	v_add_nc_u32_e32 v4, 1, v4
	s_delay_alu instid0(VALU_DEP_2) | instskip(NEXT) | instid1(VALU_DEP_2)
	v_dual_add_f32 v8, v8, v11 :: v_dual_add_f32 v3, v3, v10
	v_cmp_lt_u32_e32 vcc_lo, 2, v4
	s_wait_alu 0xfffe
	s_or_b32 s1, vcc_lo, s1
	s_wait_alu 0xfffe
	s_and_not1_b32 exec_lo, exec_lo, s1
	s_cbranch_execnz .LBB56_29
; %bb.30:
	s_or_b32 exec_lo, exec_lo, s1
	v_mov_b32_e32 v4, 0
	ds_load_b64 v[4:5], v4 offset:32
	s_wait_dscnt 0x0
	v_mul_f32_e32 v9, v3, v5
	v_mul_f32_e32 v6, v8, v5
	s_delay_alu instid0(VALU_DEP_2) | instskip(NEXT) | instid1(VALU_DEP_2)
	v_fma_f32 v5, v8, v4, -v9
	v_fmac_f32_e32 v6, v3, v4
	scratch_store_b64 off, v[5:6], off offset:32
.LBB56_31:
	s_wait_alu 0xfffe
	s_or_b32 exec_lo, exec_lo, s0
	s_wait_loadcnt 0x0
	s_wait_storecnt 0x0
	s_barrier_signal -1
	s_barrier_wait -1
	global_inv scope:SCOPE_SE
	scratch_load_b64 v[3:4], off, off offset:40
	;; [unrolled: 53-line block ×19, first 2 shown]
	s_mov_b32 s0, exec_lo
	s_wait_loadcnt 0x0
	ds_store_b64 v1, v[3:4]
	s_wait_dscnt 0x0
	s_barrier_signal -1
	s_barrier_wait -1
	global_inv scope:SCOPE_SE
	v_cmpx_gt_u32_e32 22, v0
	s_cbranch_execz .LBB56_103
; %bb.100:
	v_dual_mov_b32 v3, 0 :: v_dual_add_nc_u32 v4, -1, v0
	v_dual_mov_b32 v6, v13 :: v_dual_add_nc_u32 v5, 0x1d0, v13
	v_mov_b32_e32 v8, 0
	s_mov_b32 s1, 0
.LBB56_101:                             ; =>This Inner Loop Header: Depth=1
	scratch_load_b64 v[9:10], v6, off
	ds_load_b64 v[11:12], v5
	v_add_nc_u32_e32 v6, 8, v6
	s_wait_loadcnt_dscnt 0x0
	v_dual_mul_f32 v14, v12, v10 :: v_dual_add_nc_u32 v5, 8, v5
	v_mul_f32_e32 v10, v11, v10
	s_delay_alu instid0(VALU_DEP_2) | instskip(NEXT) | instid1(VALU_DEP_2)
	v_fma_f32 v11, v11, v9, -v14
	v_fmac_f32_e32 v10, v12, v9
	v_add_nc_u32_e32 v4, 1, v4
	s_delay_alu instid0(VALU_DEP_2) | instskip(NEXT) | instid1(VALU_DEP_2)
	v_dual_add_f32 v8, v8, v11 :: v_dual_add_f32 v3, v3, v10
	v_cmp_lt_u32_e32 vcc_lo, 20, v4
	s_wait_alu 0xfffe
	s_or_b32 s1, vcc_lo, s1
	s_wait_alu 0xfffe
	s_and_not1_b32 exec_lo, exec_lo, s1
	s_cbranch_execnz .LBB56_101
; %bb.102:
	s_or_b32 exec_lo, exec_lo, s1
	v_mov_b32_e32 v4, 0
	ds_load_b64 v[4:5], v4 offset:176
	s_wait_dscnt 0x0
	v_mul_f32_e32 v9, v3, v5
	v_mul_f32_e32 v6, v8, v5
	s_delay_alu instid0(VALU_DEP_2) | instskip(NEXT) | instid1(VALU_DEP_2)
	v_fma_f32 v5, v8, v4, -v9
	v_fmac_f32_e32 v6, v3, v4
	scratch_store_b64 off, v[5:6], off offset:176
.LBB56_103:
	s_wait_alu 0xfffe
	s_or_b32 exec_lo, exec_lo, s0
	s_wait_loadcnt 0x0
	s_wait_storecnt 0x0
	s_barrier_signal -1
	s_barrier_wait -1
	global_inv scope:SCOPE_SE
	scratch_load_b64 v[3:4], off, off offset:184
	s_mov_b32 s0, exec_lo
	s_wait_loadcnt 0x0
	ds_store_b64 v1, v[3:4]
	s_wait_dscnt 0x0
	s_barrier_signal -1
	s_barrier_wait -1
	global_inv scope:SCOPE_SE
	v_cmpx_gt_u32_e32 23, v0
	s_cbranch_execz .LBB56_107
; %bb.104:
	v_dual_mov_b32 v3, 0 :: v_dual_add_nc_u32 v4, -1, v0
	v_dual_mov_b32 v6, v13 :: v_dual_add_nc_u32 v5, 0x1d0, v13
	v_mov_b32_e32 v8, 0
	s_mov_b32 s1, 0
.LBB56_105:                             ; =>This Inner Loop Header: Depth=1
	scratch_load_b64 v[9:10], v6, off
	ds_load_b64 v[11:12], v5
	v_add_nc_u32_e32 v6, 8, v6
	s_wait_loadcnt_dscnt 0x0
	v_dual_mul_f32 v14, v12, v10 :: v_dual_add_nc_u32 v5, 8, v5
	v_mul_f32_e32 v10, v11, v10
	s_delay_alu instid0(VALU_DEP_2) | instskip(NEXT) | instid1(VALU_DEP_2)
	v_fma_f32 v11, v11, v9, -v14
	v_fmac_f32_e32 v10, v12, v9
	v_add_nc_u32_e32 v4, 1, v4
	s_delay_alu instid0(VALU_DEP_2) | instskip(NEXT) | instid1(VALU_DEP_2)
	v_dual_add_f32 v8, v8, v11 :: v_dual_add_f32 v3, v3, v10
	v_cmp_lt_u32_e32 vcc_lo, 21, v4
	s_wait_alu 0xfffe
	s_or_b32 s1, vcc_lo, s1
	s_wait_alu 0xfffe
	s_and_not1_b32 exec_lo, exec_lo, s1
	s_cbranch_execnz .LBB56_105
; %bb.106:
	s_or_b32 exec_lo, exec_lo, s1
	v_mov_b32_e32 v4, 0
	ds_load_b64 v[4:5], v4 offset:184
	s_wait_dscnt 0x0
	v_mul_f32_e32 v9, v3, v5
	v_mul_f32_e32 v6, v8, v5
	s_delay_alu instid0(VALU_DEP_2) | instskip(NEXT) | instid1(VALU_DEP_2)
	v_fma_f32 v5, v8, v4, -v9
	v_fmac_f32_e32 v6, v3, v4
	scratch_store_b64 off, v[5:6], off offset:184
.LBB56_107:
	s_wait_alu 0xfffe
	s_or_b32 exec_lo, exec_lo, s0
	s_wait_loadcnt 0x0
	s_wait_storecnt 0x0
	s_barrier_signal -1
	s_barrier_wait -1
	global_inv scope:SCOPE_SE
	scratch_load_b64 v[3:4], off, off offset:192
	;; [unrolled: 53-line block ×33, first 2 shown]
	s_mov_b32 s0, exec_lo
	s_wait_loadcnt 0x0
	ds_store_b64 v1, v[3:4]
	s_wait_dscnt 0x0
	s_barrier_signal -1
	s_barrier_wait -1
	global_inv scope:SCOPE_SE
	v_cmpx_gt_u32_e32 55, v0
	s_cbranch_execz .LBB56_235
; %bb.232:
	v_dual_mov_b32 v3, 0 :: v_dual_add_nc_u32 v4, -1, v0
	v_dual_mov_b32 v6, v13 :: v_dual_add_nc_u32 v5, 0x1d0, v13
	v_mov_b32_e32 v8, 0
	s_mov_b32 s1, 0
.LBB56_233:                             ; =>This Inner Loop Header: Depth=1
	scratch_load_b64 v[9:10], v6, off
	ds_load_b64 v[11:12], v5
	v_add_nc_u32_e32 v6, 8, v6
	v_add_nc_u32_e32 v4, 1, v4
	;; [unrolled: 1-line block ×3, first 2 shown]
	s_delay_alu instid0(VALU_DEP_2)
	v_cmp_lt_u32_e32 vcc_lo, 53, v4
	s_wait_alu 0xfffe
	s_or_b32 s1, vcc_lo, s1
	s_wait_loadcnt_dscnt 0x0
	v_mul_f32_e32 v13, v12, v10
	v_mul_f32_e32 v10, v11, v10
	s_delay_alu instid0(VALU_DEP_2) | instskip(NEXT) | instid1(VALU_DEP_2)
	v_fma_f32 v11, v11, v9, -v13
	v_fmac_f32_e32 v10, v12, v9
	s_delay_alu instid0(VALU_DEP_1)
	v_dual_add_f32 v8, v8, v11 :: v_dual_add_f32 v3, v3, v10
	s_wait_alu 0xfffe
	s_and_not1_b32 exec_lo, exec_lo, s1
	s_cbranch_execnz .LBB56_233
; %bb.234:
	s_or_b32 exec_lo, exec_lo, s1
	v_mov_b32_e32 v4, 0
	ds_load_b64 v[4:5], v4 offset:440
	s_wait_dscnt 0x0
	v_mul_f32_e32 v9, v3, v5
	v_mul_f32_e32 v6, v8, v5
	s_delay_alu instid0(VALU_DEP_2) | instskip(NEXT) | instid1(VALU_DEP_2)
	v_fma_f32 v5, v8, v4, -v9
	v_fmac_f32_e32 v6, v3, v4
	scratch_store_b64 off, v[5:6], off offset:440
.LBB56_235:
	s_wait_alu 0xfffe
	s_or_b32 exec_lo, exec_lo, s0
	s_wait_loadcnt 0x0
	s_wait_storecnt 0x0
	s_barrier_signal -1
	s_barrier_wait -1
	global_inv scope:SCOPE_SE
	scratch_load_b64 v[3:4], off, off offset:448
	s_mov_b32 s0, exec_lo
	s_wait_loadcnt 0x0
	ds_store_b64 v1, v[3:4]
	s_wait_dscnt 0x0
	s_barrier_signal -1
	s_barrier_wait -1
	global_inv scope:SCOPE_SE
	v_cmpx_ne_u32_e32 56, v0
	s_cbranch_execz .LBB56_239
; %bb.236:
	v_dual_mov_b32 v3, 0 :: v_dual_mov_b32 v4, 0
	s_mov_b32 s1, 0
.LBB56_237:                             ; =>This Inner Loop Header: Depth=1
	scratch_load_b64 v[5:6], v7, off
	ds_load_b64 v[8:9], v1
	v_add_nc_u32_e32 v2, 1, v2
	v_add_nc_u32_e32 v1, 8, v1
	;; [unrolled: 1-line block ×3, first 2 shown]
	s_delay_alu instid0(VALU_DEP_3)
	v_cmp_lt_u32_e32 vcc_lo, 54, v2
	s_wait_alu 0xfffe
	s_or_b32 s1, vcc_lo, s1
	s_wait_loadcnt_dscnt 0x0
	v_mul_f32_e32 v10, v9, v6
	v_mul_f32_e32 v6, v8, v6
	s_delay_alu instid0(VALU_DEP_2) | instskip(NEXT) | instid1(VALU_DEP_2)
	v_fma_f32 v8, v8, v5, -v10
	v_fmac_f32_e32 v6, v9, v5
	s_delay_alu instid0(VALU_DEP_1)
	v_dual_add_f32 v4, v4, v8 :: v_dual_add_f32 v3, v3, v6
	s_wait_alu 0xfffe
	s_and_not1_b32 exec_lo, exec_lo, s1
	s_cbranch_execnz .LBB56_237
; %bb.238:
	s_or_b32 exec_lo, exec_lo, s1
	v_mov_b32_e32 v1, 0
	ds_load_b64 v[1:2], v1 offset:448
	s_wait_dscnt 0x0
	v_mul_f32_e32 v6, v3, v2
	v_mul_f32_e32 v5, v4, v2
	s_delay_alu instid0(VALU_DEP_2) | instskip(NEXT) | instid1(VALU_DEP_2)
	v_fma_f32 v4, v4, v1, -v6
	v_fmac_f32_e32 v5, v3, v1
	scratch_store_b64 off, v[4:5], off offset:448
.LBB56_239:
	s_wait_alu 0xfffe
	s_or_b32 exec_lo, exec_lo, s0
	s_mov_b32 s1, -1
	s_wait_loadcnt 0x0
	s_wait_storecnt 0x0
	s_barrier_signal -1
	s_barrier_wait -1
	global_inv scope:SCOPE_SE
.LBB56_240:
	s_wait_alu 0xfffe
	s_and_b32 vcc_lo, exec_lo, s1
	s_wait_alu 0xfffe
	s_cbranch_vccz .LBB56_242
; %bb.241:
	v_mov_b32_e32 v1, 0
	s_lshl_b64 s[0:1], s[16:17], 2
	s_wait_alu 0xfffe
	s_add_nc_u64 s[0:1], s[6:7], s[0:1]
	global_load_b32 v1, v1, s[0:1]
	s_wait_loadcnt 0x0
	v_cmp_ne_u32_e32 vcc_lo, 0, v1
	s_cbranch_vccz .LBB56_243
.LBB56_242:
	s_nop 0
	s_sendmsg sendmsg(MSG_DEALLOC_VGPRS)
	s_endpgm
.LBB56_243:
	v_lshl_add_u32 v141, v0, 3, 0x1d0
	s_mov_b32 s0, exec_lo
	v_cmpx_eq_u32_e32 56, v0
	s_cbranch_execz .LBB56_245
; %bb.244:
	scratch_load_b64 v[1:2], off, off offset:440
	v_mov_b32_e32 v3, 0
	s_delay_alu instid0(VALU_DEP_1)
	v_mov_b32_e32 v4, v3
	scratch_store_b64 off, v[3:4], off offset:440
	s_wait_loadcnt 0x0
	ds_store_b64 v141, v[1:2]
.LBB56_245:
	s_wait_alu 0xfffe
	s_or_b32 exec_lo, exec_lo, s0
	s_wait_storecnt_dscnt 0x0
	s_barrier_signal -1
	s_barrier_wait -1
	global_inv scope:SCOPE_SE
	s_clause 0x1
	scratch_load_b64 v[2:3], off, off offset:448
	scratch_load_b64 v[4:5], off, off offset:440
	v_mov_b32_e32 v1, 0
	s_mov_b32 s0, exec_lo
	ds_load_b64 v[6:7], v1 offset:912
	s_wait_loadcnt_dscnt 0x100
	v_mul_f32_e32 v8, v7, v3
	v_mul_f32_e32 v3, v6, v3
	s_delay_alu instid0(VALU_DEP_2) | instskip(NEXT) | instid1(VALU_DEP_2)
	v_fma_f32 v6, v6, v2, -v8
	v_fmac_f32_e32 v3, v7, v2
	s_delay_alu instid0(VALU_DEP_1) | instskip(SKIP_1) | instid1(VALU_DEP_1)
	v_dual_add_f32 v2, 0, v6 :: v_dual_add_f32 v3, 0, v3
	s_wait_loadcnt 0x0
	v_dual_sub_f32 v2, v4, v2 :: v_dual_sub_f32 v3, v5, v3
	scratch_store_b64 off, v[2:3], off offset:440
	v_cmpx_lt_u32_e32 54, v0
	s_cbranch_execz .LBB56_247
; %bb.246:
	scratch_load_b64 v[3:4], off, off offset:432
	v_mov_b32_e32 v2, v1
	scratch_store_b64 off, v[1:2], off offset:432
	s_wait_loadcnt 0x0
	ds_store_b64 v141, v[3:4]
.LBB56_247:
	s_wait_alu 0xfffe
	s_or_b32 exec_lo, exec_lo, s0
	s_wait_storecnt_dscnt 0x0
	s_barrier_signal -1
	s_barrier_wait -1
	global_inv scope:SCOPE_SE
	s_clause 0x1
	scratch_load_b128 v[2:5], off, off offset:440
	scratch_load_b64 v[10:11], off, off offset:432
	ds_load_2addr_b64 v[6:9], v1 offset0:113 offset1:114
	s_mov_b32 s0, exec_lo
	s_wait_loadcnt_dscnt 0x100
	v_dual_mul_f32 v1, v7, v3 :: v_dual_mul_f32 v12, v8, v5
	v_mul_f32_e32 v3, v6, v3
	s_delay_alu instid0(VALU_DEP_2) | instskip(NEXT) | instid1(VALU_DEP_2)
	v_fma_f32 v1, v6, v2, -v1
	v_dual_fmac_f32 v12, v9, v4 :: v_dual_fmac_f32 v3, v7, v2
	s_delay_alu instid0(VALU_DEP_2) | instskip(NEXT) | instid1(VALU_DEP_2)
	v_add_f32_e32 v1, 0, v1
	v_add_f32_e32 v3, 0, v3
	v_mul_f32_e32 v5, v9, v5
	s_delay_alu instid0(VALU_DEP_1) | instskip(NEXT) | instid1(VALU_DEP_1)
	v_fma_f32 v2, v8, v4, -v5
	v_dual_add_f32 v1, v1, v2 :: v_dual_add_f32 v2, v3, v12
	s_wait_loadcnt 0x0
	s_delay_alu instid0(VALU_DEP_1)
	v_dual_sub_f32 v1, v10, v1 :: v_dual_sub_f32 v2, v11, v2
	scratch_store_b64 off, v[1:2], off offset:432
	v_cmpx_lt_u32_e32 53, v0
	s_cbranch_execz .LBB56_249
; %bb.248:
	scratch_load_b64 v[1:2], off, off offset:424
	v_mov_b32_e32 v3, 0
	s_delay_alu instid0(VALU_DEP_1)
	v_mov_b32_e32 v4, v3
	scratch_store_b64 off, v[3:4], off offset:424
	s_wait_loadcnt 0x0
	ds_store_b64 v141, v[1:2]
.LBB56_249:
	s_wait_alu 0xfffe
	s_or_b32 exec_lo, exec_lo, s0
	s_wait_storecnt_dscnt 0x0
	s_barrier_signal -1
	s_barrier_wait -1
	global_inv scope:SCOPE_SE
	s_clause 0x2
	scratch_load_b128 v[2:5], off, off offset:432
	scratch_load_b64 v[10:11], off, off offset:448
	scratch_load_b64 v[12:13], off, off offset:424
	v_mov_b32_e32 v1, 0
	ds_load_b128 v[6:9], v1 offset:896
	ds_load_b64 v[14:15], v1 offset:912
	s_mov_b32 s0, exec_lo
	s_wait_loadcnt_dscnt 0x201
	v_dual_mul_f32 v16, v7, v3 :: v_dual_mul_f32 v17, v8, v5
	s_wait_loadcnt_dscnt 0x100
	v_mul_f32_e32 v18, v14, v11
	v_mul_f32_e32 v3, v6, v3
	;; [unrolled: 1-line block ×3, first 2 shown]
	v_fma_f32 v6, v6, v2, -v16
	s_delay_alu instid0(VALU_DEP_4) | instskip(NEXT) | instid1(VALU_DEP_4)
	v_fmac_f32_e32 v18, v15, v10
	v_fmac_f32_e32 v3, v7, v2
	v_mul_f32_e32 v2, v15, v11
	s_delay_alu instid0(VALU_DEP_1) | instskip(SKIP_3) | instid1(VALU_DEP_1)
	v_fma_f32 v2, v14, v10, -v2
	v_fmac_f32_e32 v17, v9, v4
	v_fma_f32 v4, v8, v4, -v5
	v_add_f32_e32 v5, 0, v6
	v_add_f32_e32 v4, v5, v4
	s_delay_alu instid0(VALU_DEP_1) | instskip(SKIP_1) | instid1(VALU_DEP_1)
	v_dual_add_f32 v2, v4, v2 :: v_dual_add_f32 v3, 0, v3
	s_wait_loadcnt 0x0
	v_dual_sub_f32 v2, v12, v2 :: v_dual_add_f32 v3, v3, v17
	s_delay_alu instid0(VALU_DEP_1) | instskip(NEXT) | instid1(VALU_DEP_1)
	v_add_f32_e32 v3, v3, v18
	v_sub_f32_e32 v3, v13, v3
	scratch_store_b64 off, v[2:3], off offset:424
	v_cmpx_lt_u32_e32 52, v0
	s_cbranch_execz .LBB56_251
; %bb.250:
	scratch_load_b64 v[3:4], off, off offset:416
	v_mov_b32_e32 v2, v1
	scratch_store_b64 off, v[1:2], off offset:416
	s_wait_loadcnt 0x0
	ds_store_b64 v141, v[3:4]
.LBB56_251:
	s_wait_alu 0xfffe
	s_or_b32 exec_lo, exec_lo, s0
	s_wait_storecnt_dscnt 0x0
	s_barrier_signal -1
	s_barrier_wait -1
	global_inv scope:SCOPE_SE
	s_clause 0x2
	scratch_load_b128 v[2:5], off, off offset:424
	scratch_load_b128 v[6:9], off, off offset:440
	scratch_load_b64 v[18:19], off, off offset:416
	ds_load_2addr_b64 v[10:13], v1 offset0:111 offset1:112
	ds_load_2addr_b64 v[14:17], v1 offset0:113 offset1:114
	s_mov_b32 s0, exec_lo
	s_wait_loadcnt_dscnt 0x201
	v_dual_mul_f32 v1, v10, v3 :: v_dual_mul_f32 v20, v12, v5
	s_wait_loadcnt_dscnt 0x100
	v_dual_mul_f32 v3, v11, v3 :: v_dual_mul_f32 v22, v16, v9
	v_mul_f32_e32 v5, v13, v5
	s_delay_alu instid0(VALU_DEP_3) | instskip(NEXT) | instid1(VALU_DEP_3)
	v_dual_mul_f32 v21, v14, v7 :: v_dual_fmac_f32 v20, v13, v4
	v_fma_f32 v3, v10, v2, -v3
	s_delay_alu instid0(VALU_DEP_4) | instskip(SKIP_2) | instid1(VALU_DEP_4)
	v_dual_fmac_f32 v1, v11, v2 :: v_dual_fmac_f32 v22, v17, v8
	v_mul_f32_e32 v2, v15, v7
	v_fma_f32 v4, v12, v4, -v5
	v_add_f32_e32 v3, 0, v3
	v_fmac_f32_e32 v21, v15, v6
	s_delay_alu instid0(VALU_DEP_4) | instskip(NEXT) | instid1(VALU_DEP_3)
	v_fma_f32 v2, v14, v6, -v2
	v_add_f32_e32 v3, v3, v4
	s_delay_alu instid0(VALU_DEP_1) | instskip(NEXT) | instid1(VALU_DEP_1)
	v_dual_add_f32 v1, 0, v1 :: v_dual_add_f32 v2, v3, v2
	v_add_f32_e32 v1, v1, v20
	s_delay_alu instid0(VALU_DEP_1) | instskip(NEXT) | instid1(VALU_DEP_1)
	v_add_f32_e32 v1, v1, v21
	v_add_f32_e32 v3, v1, v22
	v_mul_f32_e32 v5, v17, v9
	s_delay_alu instid0(VALU_DEP_1) | instskip(NEXT) | instid1(VALU_DEP_1)
	v_fma_f32 v4, v16, v8, -v5
	v_add_f32_e32 v2, v2, v4
	s_wait_loadcnt 0x0
	s_delay_alu instid0(VALU_DEP_1)
	v_dual_sub_f32 v1, v18, v2 :: v_dual_sub_f32 v2, v19, v3
	scratch_store_b64 off, v[1:2], off offset:416
	v_cmpx_lt_u32_e32 51, v0
	s_cbranch_execz .LBB56_253
; %bb.252:
	scratch_load_b64 v[1:2], off, off offset:408
	v_mov_b32_e32 v3, 0
	s_delay_alu instid0(VALU_DEP_1)
	v_mov_b32_e32 v4, v3
	scratch_store_b64 off, v[3:4], off offset:408
	s_wait_loadcnt 0x0
	ds_store_b64 v141, v[1:2]
.LBB56_253:
	s_wait_alu 0xfffe
	s_or_b32 exec_lo, exec_lo, s0
	s_wait_storecnt_dscnt 0x0
	s_barrier_signal -1
	s_barrier_wait -1
	global_inv scope:SCOPE_SE
	s_clause 0x3
	scratch_load_b128 v[2:5], off, off offset:416
	scratch_load_b128 v[6:9], off, off offset:432
	scratch_load_b64 v[18:19], off, off offset:448
	scratch_load_b64 v[20:21], off, off offset:408
	v_mov_b32_e32 v1, 0
	ds_load_b128 v[10:13], v1 offset:880
	ds_load_b128 v[14:17], v1 offset:896
	ds_load_b64 v[22:23], v1 offset:912
	s_mov_b32 s0, exec_lo
	s_wait_loadcnt_dscnt 0x302
	v_mul_f32_e32 v24, v10, v3
	s_wait_loadcnt_dscnt 0x201
	v_dual_mul_f32 v3, v11, v3 :: v_dual_mul_f32 v142, v16, v9
	v_dual_mul_f32 v139, v12, v5 :: v_dual_mul_f32 v140, v14, v7
	v_mul_f32_e32 v5, v13, v5
	s_delay_alu instid0(VALU_DEP_3)
	v_fma_f32 v3, v10, v2, -v3
	s_wait_loadcnt_dscnt 0x100
	v_dual_mul_f32 v143, v22, v19 :: v_dual_fmac_f32 v24, v11, v2
	v_dual_mul_f32 v2, v15, v7 :: v_dual_fmac_f32 v139, v13, v4
	v_fmac_f32_e32 v140, v15, v6
	v_fma_f32 v4, v12, v4, -v5
	v_dual_add_f32 v3, 0, v3 :: v_dual_fmac_f32 v142, v17, v8
	s_delay_alu instid0(VALU_DEP_4) | instskip(SKIP_1) | instid1(VALU_DEP_3)
	v_fma_f32 v2, v14, v6, -v2
	v_fmac_f32_e32 v143, v23, v18
	v_add_f32_e32 v3, v3, v4
	s_delay_alu instid0(VALU_DEP_1) | instskip(SKIP_1) | instid1(VALU_DEP_2)
	v_dual_add_f32 v5, 0, v24 :: v_dual_add_f32 v2, v3, v2
	v_mul_f32_e32 v7, v17, v9
	v_add_f32_e32 v4, v5, v139
	s_delay_alu instid0(VALU_DEP_2) | instskip(NEXT) | instid1(VALU_DEP_1)
	v_fma_f32 v6, v16, v8, -v7
	v_dual_add_f32 v3, v4, v140 :: v_dual_add_f32 v2, v2, v6
	v_mul_f32_e32 v5, v23, v19
	s_delay_alu instid0(VALU_DEP_2) | instskip(NEXT) | instid1(VALU_DEP_2)
	v_add_f32_e32 v3, v3, v142
	v_fma_f32 v4, v22, v18, -v5
	s_delay_alu instid0(VALU_DEP_1) | instskip(SKIP_1) | instid1(VALU_DEP_1)
	v_dual_add_f32 v2, v2, v4 :: v_dual_add_f32 v3, v3, v143
	s_wait_loadcnt 0x0
	v_dual_sub_f32 v2, v20, v2 :: v_dual_sub_f32 v3, v21, v3
	scratch_store_b64 off, v[2:3], off offset:408
	v_cmpx_lt_u32_e32 50, v0
	s_cbranch_execz .LBB56_255
; %bb.254:
	scratch_load_b64 v[3:4], off, off offset:400
	v_mov_b32_e32 v2, v1
	scratch_store_b64 off, v[1:2], off offset:400
	s_wait_loadcnt 0x0
	ds_store_b64 v141, v[3:4]
.LBB56_255:
	s_wait_alu 0xfffe
	s_or_b32 exec_lo, exec_lo, s0
	s_wait_storecnt_dscnt 0x0
	s_barrier_signal -1
	s_barrier_wait -1
	global_inv scope:SCOPE_SE
	s_clause 0x3
	scratch_load_b128 v[2:5], off, off offset:408
	scratch_load_b128 v[6:9], off, off offset:424
	scratch_load_b128 v[10:13], off, off offset:440
	scratch_load_b64 v[22:23], off, off offset:400
	ds_load_2addr_b64 v[14:17], v1 offset0:109 offset1:110
	ds_load_2addr_b64 v[18:21], v1 offset0:111 offset1:112
	;; [unrolled: 1-line block ×3, first 2 shown]
	s_mov_b32 s0, exec_lo
	s_wait_loadcnt_dscnt 0x302
	v_dual_mul_f32 v1, v14, v3 :: v_dual_mul_f32 v24, v16, v5
	v_mul_f32_e32 v3, v15, v3
	v_mul_f32_e32 v5, v17, v5
	s_wait_loadcnt_dscnt 0x201
	v_dual_mul_f32 v139, v18, v7 :: v_dual_mul_f32 v140, v20, v9
	v_fmac_f32_e32 v24, v17, v4
	v_fma_f32 v3, v14, v2, -v3
	s_wait_loadcnt_dscnt 0x100
	v_dual_mul_f32 v146, v142, v11 :: v_dual_mul_f32 v147, v144, v13
	v_dual_fmac_f32 v1, v15, v2 :: v_dual_fmac_f32 v140, v21, v8
	v_mul_f32_e32 v2, v19, v7
	v_fma_f32 v4, v16, v4, -v5
	s_delay_alu instid0(VALU_DEP_4) | instskip(NEXT) | instid1(VALU_DEP_4)
	v_dual_add_f32 v3, 0, v3 :: v_dual_fmac_f32 v146, v143, v10
	v_add_f32_e32 v1, 0, v1
	s_delay_alu instid0(VALU_DEP_4) | instskip(SKIP_1) | instid1(VALU_DEP_4)
	v_fma_f32 v2, v18, v6, -v2
	v_fmac_f32_e32 v147, v145, v12
	v_add_f32_e32 v3, v3, v4
	v_dual_mul_f32 v5, v21, v9 :: v_dual_mul_f32 v4, v143, v11
	s_delay_alu instid0(VALU_DEP_2) | instskip(NEXT) | instid1(VALU_DEP_2)
	v_add_f32_e32 v2, v3, v2
	v_fma_f32 v5, v20, v8, -v5
	v_fmac_f32_e32 v139, v19, v6
	s_delay_alu instid0(VALU_DEP_4) | instskip(NEXT) | instid1(VALU_DEP_3)
	v_fma_f32 v4, v142, v10, -v4
	v_add_f32_e32 v2, v2, v5
	s_delay_alu instid0(VALU_DEP_1) | instskip(NEXT) | instid1(VALU_DEP_1)
	v_dual_mul_f32 v3, v145, v13 :: v_dual_add_f32 v2, v2, v4
	v_fma_f32 v3, v144, v12, -v3
	s_delay_alu instid0(VALU_DEP_1) | instskip(NEXT) | instid1(VALU_DEP_1)
	v_dual_add_f32 v1, v1, v24 :: v_dual_add_f32 v2, v2, v3
	v_add_f32_e32 v1, v1, v139
	s_delay_alu instid0(VALU_DEP_1) | instskip(NEXT) | instid1(VALU_DEP_1)
	v_add_f32_e32 v1, v1, v140
	v_add_f32_e32 v1, v1, v146
	s_delay_alu instid0(VALU_DEP_1) | instskip(SKIP_1) | instid1(VALU_DEP_1)
	v_add_f32_e32 v3, v1, v147
	s_wait_loadcnt 0x0
	v_dual_sub_f32 v1, v22, v2 :: v_dual_sub_f32 v2, v23, v3
	scratch_store_b64 off, v[1:2], off offset:400
	v_cmpx_lt_u32_e32 49, v0
	s_cbranch_execz .LBB56_257
; %bb.256:
	scratch_load_b64 v[1:2], off, off offset:392
	v_mov_b32_e32 v3, 0
	s_delay_alu instid0(VALU_DEP_1)
	v_mov_b32_e32 v4, v3
	scratch_store_b64 off, v[3:4], off offset:392
	s_wait_loadcnt 0x0
	ds_store_b64 v141, v[1:2]
.LBB56_257:
	s_wait_alu 0xfffe
	s_or_b32 exec_lo, exec_lo, s0
	s_wait_storecnt_dscnt 0x0
	s_barrier_signal -1
	s_barrier_wait -1
	global_inv scope:SCOPE_SE
	s_clause 0x4
	scratch_load_b128 v[2:5], off, off offset:400
	scratch_load_b128 v[6:9], off, off offset:416
	;; [unrolled: 1-line block ×3, first 2 shown]
	scratch_load_b64 v[22:23], off, off offset:448
	scratch_load_b64 v[139:140], off, off offset:392
	v_mov_b32_e32 v1, 0
	ds_load_b128 v[14:17], v1 offset:864
	ds_load_b128 v[18:21], v1 offset:880
	;; [unrolled: 1-line block ×3, first 2 shown]
	ds_load_b64 v[146:147], v1 offset:912
	s_mov_b32 s0, exec_lo
	s_wait_loadcnt_dscnt 0x403
	v_mul_f32_e32 v24, v14, v3
	s_wait_loadcnt_dscnt 0x302
	v_dual_mul_f32 v150, v20, v9 :: v_dual_mul_f32 v3, v15, v3
	v_dual_mul_f32 v148, v16, v5 :: v_dual_mul_f32 v149, v18, v7
	v_mul_f32_e32 v5, v17, v5
	s_wait_loadcnt_dscnt 0x100
	v_dual_mul_f32 v153, v146, v23 :: v_dual_fmac_f32 v24, v15, v2
	v_fma_f32 v3, v14, v2, -v3
	v_mul_f32_e32 v2, v19, v7
	v_fmac_f32_e32 v148, v17, v4
	v_fma_f32 v4, v16, v4, -v5
	v_dual_mul_f32 v151, v142, v11 :: v_dual_mul_f32 v152, v144, v13
	v_add_f32_e32 v3, 0, v3
	v_fma_f32 v2, v18, v6, -v2
	s_delay_alu instid0(VALU_DEP_3) | instskip(NEXT) | instid1(VALU_DEP_4)
	v_dual_fmac_f32 v150, v21, v8 :: v_dual_fmac_f32 v151, v143, v10
	v_fmac_f32_e32 v152, v145, v12
	s_delay_alu instid0(VALU_DEP_4) | instskip(NEXT) | instid1(VALU_DEP_1)
	v_add_f32_e32 v3, v3, v4
	v_dual_add_f32 v5, 0, v24 :: v_dual_add_f32 v2, v3, v2
	v_mul_f32_e32 v7, v21, v9
	s_delay_alu instid0(VALU_DEP_2) | instskip(SKIP_1) | instid1(VALU_DEP_3)
	v_dual_fmac_f32 v149, v19, v6 :: v_dual_add_f32 v4, v5, v148
	v_mul_f32_e32 v5, v143, v11
	v_fma_f32 v6, v20, v8, -v7
	s_delay_alu instid0(VALU_DEP_3) | instskip(SKIP_1) | instid1(VALU_DEP_4)
	v_add_f32_e32 v3, v4, v149
	v_mul_f32_e32 v4, v145, v13
	v_fma_f32 v5, v142, v10, -v5
	s_delay_alu instid0(VALU_DEP_4) | instskip(SKIP_3) | instid1(VALU_DEP_4)
	v_add_f32_e32 v2, v2, v6
	v_mul_f32_e32 v6, v147, v23
	v_add_f32_e32 v3, v3, v150
	v_fma_f32 v4, v144, v12, -v4
	v_add_f32_e32 v2, v2, v5
	s_delay_alu instid0(VALU_DEP_4) | instskip(NEXT) | instid1(VALU_DEP_2)
	v_fma_f32 v5, v146, v22, -v6
	v_dual_add_f32 v3, v3, v151 :: v_dual_add_f32 v2, v2, v4
	v_fmac_f32_e32 v153, v147, v22
	s_delay_alu instid0(VALU_DEP_2) | instskip(NEXT) | instid1(VALU_DEP_1)
	v_dual_add_f32 v3, v3, v152 :: v_dual_add_f32 v2, v2, v5
	v_add_f32_e32 v3, v3, v153
	s_wait_loadcnt 0x0
	s_delay_alu instid0(VALU_DEP_1)
	v_dual_sub_f32 v2, v139, v2 :: v_dual_sub_f32 v3, v140, v3
	scratch_store_b64 off, v[2:3], off offset:392
	v_cmpx_lt_u32_e32 48, v0
	s_cbranch_execz .LBB56_259
; %bb.258:
	scratch_load_b64 v[3:4], off, off offset:384
	v_mov_b32_e32 v2, v1
	scratch_store_b64 off, v[1:2], off offset:384
	s_wait_loadcnt 0x0
	ds_store_b64 v141, v[3:4]
.LBB56_259:
	s_wait_alu 0xfffe
	s_or_b32 exec_lo, exec_lo, s0
	s_wait_storecnt_dscnt 0x0
	s_barrier_signal -1
	s_barrier_wait -1
	global_inv scope:SCOPE_SE
	s_clause 0x4
	scratch_load_b128 v[2:5], off, off offset:392
	scratch_load_b128 v[6:9], off, off offset:408
	;; [unrolled: 1-line block ×4, first 2 shown]
	scratch_load_b64 v[22:23], off, off offset:384
	ds_load_2addr_b64 v[18:21], v1 offset0:107 offset1:108
	ds_load_2addr_b64 v[142:145], v1 offset0:109 offset1:110
	;; [unrolled: 1-line block ×4, first 2 shown]
	s_mov_b32 s0, exec_lo
	s_wait_loadcnt_dscnt 0x403
	v_dual_mul_f32 v1, v18, v3 :: v_dual_mul_f32 v24, v20, v5
	v_mul_f32_e32 v3, v19, v3
	v_mul_f32_e32 v5, v21, v5
	s_wait_loadcnt_dscnt 0x302
	v_dual_mul_f32 v139, v142, v7 :: v_dual_mul_f32 v140, v144, v9
	v_fmac_f32_e32 v24, v21, v4
	v_fma_f32 v3, v18, v2, -v3
	s_wait_loadcnt_dscnt 0x201
	v_dual_mul_f32 v154, v146, v11 :: v_dual_mul_f32 v155, v148, v13
	v_dual_fmac_f32 v1, v19, v2 :: v_dual_fmac_f32 v140, v145, v8
	v_mul_f32_e32 v2, v143, v7
	v_fma_f32 v4, v20, v4, -v5
	s_delay_alu instid0(VALU_DEP_4) | instskip(NEXT) | instid1(VALU_DEP_4)
	v_dual_add_f32 v3, 0, v3 :: v_dual_fmac_f32 v154, v147, v10
	v_add_f32_e32 v1, 0, v1
	s_delay_alu instid0(VALU_DEP_4) | instskip(SKIP_4) | instid1(VALU_DEP_3)
	v_fma_f32 v2, v142, v6, -v2
	s_wait_loadcnt_dscnt 0x100
	v_dual_mul_f32 v156, v150, v15 :: v_dual_mul_f32 v157, v152, v17
	v_add_f32_e32 v3, v3, v4
	v_dual_mul_f32 v5, v145, v9 :: v_dual_mul_f32 v4, v147, v11
	v_dual_add_f32 v1, v1, v24 :: v_dual_fmac_f32 v156, v151, v14
	s_delay_alu instid0(VALU_DEP_3) | instskip(NEXT) | instid1(VALU_DEP_3)
	v_add_f32_e32 v2, v3, v2
	v_fma_f32 v5, v144, v8, -v5
	v_fmac_f32_e32 v139, v143, v6
	v_mul_f32_e32 v3, v149, v13
	v_fma_f32 v4, v146, v10, -v4
	s_delay_alu instid0(VALU_DEP_4) | instskip(NEXT) | instid1(VALU_DEP_4)
	v_dual_fmac_f32 v157, v153, v16 :: v_dual_add_f32 v2, v2, v5
	v_add_f32_e32 v1, v1, v139
	v_mul_f32_e32 v5, v151, v15
	v_fma_f32 v3, v148, v12, -v3
	s_delay_alu instid0(VALU_DEP_4) | instskip(NEXT) | instid1(VALU_DEP_4)
	v_add_f32_e32 v2, v2, v4
	v_add_f32_e32 v1, v1, v140
	v_mul_f32_e32 v4, v153, v17
	v_fma_f32 v5, v150, v14, -v5
	s_delay_alu instid0(VALU_DEP_4) | instskip(NEXT) | instid1(VALU_DEP_3)
	v_dual_add_f32 v2, v2, v3 :: v_dual_fmac_f32 v155, v149, v12
	v_fma_f32 v3, v152, v16, -v4
	s_delay_alu instid0(VALU_DEP_2) | instskip(NEXT) | instid1(VALU_DEP_1)
	v_dual_add_f32 v2, v2, v5 :: v_dual_add_f32 v1, v1, v154
	v_add_f32_e32 v2, v2, v3
	s_delay_alu instid0(VALU_DEP_2) | instskip(NEXT) | instid1(VALU_DEP_1)
	v_add_f32_e32 v1, v1, v155
	v_add_f32_e32 v1, v1, v156
	s_delay_alu instid0(VALU_DEP_1) | instskip(SKIP_1) | instid1(VALU_DEP_1)
	v_add_f32_e32 v3, v1, v157
	s_wait_loadcnt 0x0
	v_dual_sub_f32 v1, v22, v2 :: v_dual_sub_f32 v2, v23, v3
	scratch_store_b64 off, v[1:2], off offset:384
	v_cmpx_lt_u32_e32 47, v0
	s_cbranch_execz .LBB56_261
; %bb.260:
	scratch_load_b64 v[1:2], off, off offset:376
	v_mov_b32_e32 v3, 0
	s_delay_alu instid0(VALU_DEP_1)
	v_mov_b32_e32 v4, v3
	scratch_store_b64 off, v[3:4], off offset:376
	s_wait_loadcnt 0x0
	ds_store_b64 v141, v[1:2]
.LBB56_261:
	s_wait_alu 0xfffe
	s_or_b32 exec_lo, exec_lo, s0
	s_wait_storecnt_dscnt 0x0
	s_barrier_signal -1
	s_barrier_wait -1
	global_inv scope:SCOPE_SE
	s_clause 0x5
	scratch_load_b128 v[2:5], off, off offset:384
	scratch_load_b128 v[6:9], off, off offset:400
	;; [unrolled: 1-line block ×4, first 2 shown]
	scratch_load_b64 v[22:23], off, off offset:448
	scratch_load_b64 v[139:140], off, off offset:376
	v_mov_b32_e32 v1, 0
	ds_load_b128 v[18:21], v1 offset:848
	ds_load_b128 v[142:145], v1 offset:864
	;; [unrolled: 1-line block ×4, first 2 shown]
	ds_load_b64 v[154:155], v1 offset:912
	s_mov_b32 s0, exec_lo
	s_wait_loadcnt_dscnt 0x504
	v_mul_f32_e32 v24, v18, v3
	s_wait_loadcnt_dscnt 0x302
	v_dual_mul_f32 v3, v19, v3 :: v_dual_mul_f32 v160, v148, v13
	v_dual_mul_f32 v156, v20, v5 :: v_dual_mul_f32 v157, v142, v7
	v_mul_f32_e32 v5, v21, v5
	s_delay_alu instid0(VALU_DEP_3) | instskip(SKIP_3) | instid1(VALU_DEP_3)
	v_fma_f32 v3, v18, v2, -v3
	s_wait_loadcnt_dscnt 0x100
	v_dual_mul_f32 v163, v154, v23 :: v_dual_fmac_f32 v24, v19, v2
	v_mul_f32_e32 v2, v143, v7
	v_dual_fmac_f32 v156, v21, v4 :: v_dual_add_f32 v3, 0, v3
	v_fma_f32 v4, v20, v4, -v5
	v_dual_mul_f32 v158, v144, v9 :: v_dual_mul_f32 v159, v146, v11
	s_delay_alu instid0(VALU_DEP_4) | instskip(SKIP_1) | instid1(VALU_DEP_4)
	v_fma_f32 v2, v142, v6, -v2
	v_dual_mul_f32 v161, v150, v15 :: v_dual_mul_f32 v162, v152, v17
	v_add_f32_e32 v3, v3, v4
	v_add_f32_e32 v5, 0, v24
	v_dual_fmac_f32 v158, v145, v8 :: v_dual_fmac_f32 v159, v147, v10
	v_fmac_f32_e32 v160, v149, v12
	s_delay_alu instid0(VALU_DEP_4) | instskip(NEXT) | instid1(VALU_DEP_4)
	v_dual_add_f32 v2, v3, v2 :: v_dual_mul_f32 v7, v145, v9
	v_dual_fmac_f32 v157, v143, v6 :: v_dual_add_f32 v4, v5, v156
	v_mul_f32_e32 v5, v147, v11
	v_dual_fmac_f32 v161, v151, v14 :: v_dual_fmac_f32 v162, v153, v16
	s_delay_alu instid0(VALU_DEP_4) | instskip(NEXT) | instid1(VALU_DEP_4)
	v_fma_f32 v6, v144, v8, -v7
	v_add_f32_e32 v3, v4, v157
	v_mul_f32_e32 v4, v149, v13
	v_fma_f32 v5, v146, v10, -v5
	s_delay_alu instid0(VALU_DEP_4) | instskip(SKIP_3) | instid1(VALU_DEP_4)
	v_add_f32_e32 v2, v2, v6
	v_mul_f32_e32 v6, v151, v15
	v_add_f32_e32 v3, v3, v158
	v_fma_f32 v4, v148, v12, -v4
	v_add_f32_e32 v2, v2, v5
	v_mul_f32_e32 v5, v153, v17
	s_delay_alu instid0(VALU_DEP_4) | instskip(SKIP_1) | instid1(VALU_DEP_4)
	v_add_f32_e32 v3, v3, v159
	v_fma_f32 v6, v150, v14, -v6
	v_add_f32_e32 v2, v2, v4
	v_mul_f32_e32 v4, v155, v23
	s_delay_alu instid0(VALU_DEP_4) | instskip(SKIP_1) | instid1(VALU_DEP_4)
	v_add_f32_e32 v3, v3, v160
	v_fma_f32 v5, v152, v16, -v5
	v_add_f32_e32 v2, v2, v6
	v_fmac_f32_e32 v163, v155, v22
	v_fma_f32 v4, v154, v22, -v4
	s_delay_alu instid0(VALU_DEP_3) | instskip(NEXT) | instid1(VALU_DEP_1)
	v_add_f32_e32 v2, v2, v5
	v_dual_add_f32 v3, v3, v161 :: v_dual_add_f32 v2, v2, v4
	s_delay_alu instid0(VALU_DEP_1) | instskip(NEXT) | instid1(VALU_DEP_1)
	v_add_f32_e32 v3, v3, v162
	v_add_f32_e32 v3, v3, v163
	s_wait_loadcnt 0x0
	s_delay_alu instid0(VALU_DEP_1)
	v_dual_sub_f32 v2, v139, v2 :: v_dual_sub_f32 v3, v140, v3
	scratch_store_b64 off, v[2:3], off offset:376
	v_cmpx_lt_u32_e32 46, v0
	s_cbranch_execz .LBB56_263
; %bb.262:
	scratch_load_b64 v[3:4], off, off offset:368
	v_mov_b32_e32 v2, v1
	scratch_store_b64 off, v[1:2], off offset:368
	s_wait_loadcnt 0x0
	ds_store_b64 v141, v[3:4]
.LBB56_263:
	s_wait_alu 0xfffe
	s_or_b32 exec_lo, exec_lo, s0
	s_wait_storecnt_dscnt 0x0
	s_barrier_signal -1
	s_barrier_wait -1
	global_inv scope:SCOPE_SE
	s_clause 0x5
	scratch_load_b128 v[2:5], off, off offset:376
	scratch_load_b128 v[6:9], off, off offset:392
	;; [unrolled: 1-line block ×5, first 2 shown]
	scratch_load_b64 v[22:23], off, off offset:368
	ds_load_2addr_b64 v[142:145], v1 offset0:105 offset1:106
	ds_load_2addr_b64 v[146:149], v1 offset0:107 offset1:108
	;; [unrolled: 1-line block ×5, first 2 shown]
	s_mov_b32 s0, exec_lo
	s_wait_loadcnt_dscnt 0x504
	v_dual_mul_f32 v1, v142, v3 :: v_dual_mul_f32 v24, v144, v5
	v_mul_f32_e32 v3, v143, v3
	v_mul_f32_e32 v5, v145, v5
	s_wait_loadcnt_dscnt 0x403
	v_dual_mul_f32 v139, v146, v7 :: v_dual_mul_f32 v140, v148, v9
	v_fmac_f32_e32 v24, v145, v4
	v_fma_f32 v3, v142, v2, -v3
	s_wait_loadcnt_dscnt 0x302
	v_dual_mul_f32 v162, v150, v11 :: v_dual_mul_f32 v163, v152, v13
	v_dual_fmac_f32 v1, v143, v2 :: v_dual_fmac_f32 v140, v149, v8
	v_mul_f32_e32 v2, v147, v7
	v_fma_f32 v4, v144, v4, -v5
	s_delay_alu instid0(VALU_DEP_4) | instskip(NEXT) | instid1(VALU_DEP_4)
	v_dual_add_f32 v3, 0, v3 :: v_dual_fmac_f32 v162, v151, v10
	v_add_f32_e32 v1, 0, v1
	s_delay_alu instid0(VALU_DEP_4) | instskip(SKIP_4) | instid1(VALU_DEP_3)
	v_fma_f32 v2, v146, v6, -v2
	s_wait_loadcnt_dscnt 0x201
	v_dual_mul_f32 v164, v154, v15 :: v_dual_mul_f32 v165, v156, v17
	v_add_f32_e32 v3, v3, v4
	v_dual_mul_f32 v5, v149, v9 :: v_dual_mul_f32 v4, v151, v11
	v_dual_add_f32 v1, v1, v24 :: v_dual_fmac_f32 v164, v155, v14
	s_delay_alu instid0(VALU_DEP_3) | instskip(NEXT) | instid1(VALU_DEP_3)
	v_add_f32_e32 v2, v3, v2
	v_fma_f32 v5, v148, v8, -v5
	v_fmac_f32_e32 v139, v147, v6
	v_fma_f32 v4, v150, v10, -v4
	s_wait_loadcnt_dscnt 0x100
	v_dual_mul_f32 v166, v158, v19 :: v_dual_mul_f32 v167, v160, v21
	s_delay_alu instid0(VALU_DEP_3) | instskip(NEXT) | instid1(VALU_DEP_2)
	v_dual_add_f32 v2, v2, v5 :: v_dual_add_f32 v1, v1, v139
	v_dual_mul_f32 v3, v153, v13 :: v_dual_fmac_f32 v166, v159, v18
	v_fmac_f32_e32 v165, v157, v16
	s_delay_alu instid0(VALU_DEP_3) | instskip(SKIP_1) | instid1(VALU_DEP_4)
	v_add_f32_e32 v2, v2, v4
	v_mul_f32_e32 v4, v157, v17
	v_fma_f32 v3, v152, v12, -v3
	v_add_f32_e32 v1, v1, v140
	v_fmac_f32_e32 v167, v161, v20
	s_delay_alu instid0(VALU_DEP_4) | instskip(SKIP_3) | instid1(VALU_DEP_3)
	v_fma_f32 v4, v156, v16, -v4
	v_mul_f32_e32 v5, v155, v15
	v_add_f32_e32 v2, v2, v3
	v_mul_f32_e32 v3, v159, v19
	v_fma_f32 v5, v154, v14, -v5
	v_fmac_f32_e32 v163, v153, v12
	s_delay_alu instid0(VALU_DEP_3) | instskip(NEXT) | instid1(VALU_DEP_3)
	v_fma_f32 v3, v158, v18, -v3
	v_add_f32_e32 v2, v2, v5
	s_delay_alu instid0(VALU_DEP_1) | instskip(SKIP_1) | instid1(VALU_DEP_2)
	v_dual_mul_f32 v5, v161, v21 :: v_dual_add_f32 v2, v2, v4
	v_add_f32_e32 v1, v1, v162
	v_fma_f32 v4, v160, v20, -v5
	s_delay_alu instid0(VALU_DEP_3) | instskip(NEXT) | instid1(VALU_DEP_1)
	v_add_f32_e32 v2, v2, v3
	v_dual_add_f32 v1, v1, v163 :: v_dual_add_f32 v2, v2, v4
	s_delay_alu instid0(VALU_DEP_1) | instskip(NEXT) | instid1(VALU_DEP_1)
	v_add_f32_e32 v1, v1, v164
	v_add_f32_e32 v1, v1, v165
	s_delay_alu instid0(VALU_DEP_1) | instskip(NEXT) | instid1(VALU_DEP_1)
	v_add_f32_e32 v1, v1, v166
	v_add_f32_e32 v3, v1, v167
	s_wait_loadcnt 0x0
	s_delay_alu instid0(VALU_DEP_1)
	v_dual_sub_f32 v1, v22, v2 :: v_dual_sub_f32 v2, v23, v3
	scratch_store_b64 off, v[1:2], off offset:368
	v_cmpx_lt_u32_e32 45, v0
	s_cbranch_execz .LBB56_265
; %bb.264:
	scratch_load_b64 v[1:2], off, off offset:360
	v_mov_b32_e32 v3, 0
	s_delay_alu instid0(VALU_DEP_1)
	v_mov_b32_e32 v4, v3
	scratch_store_b64 off, v[3:4], off offset:360
	s_wait_loadcnt 0x0
	ds_store_b64 v141, v[1:2]
.LBB56_265:
	s_wait_alu 0xfffe
	s_or_b32 exec_lo, exec_lo, s0
	s_wait_storecnt_dscnt 0x0
	s_barrier_signal -1
	s_barrier_wait -1
	global_inv scope:SCOPE_SE
	s_clause 0x6
	scratch_load_b128 v[2:5], off, off offset:368
	scratch_load_b128 v[6:9], off, off offset:384
	scratch_load_b128 v[10:13], off, off offset:400
	scratch_load_b128 v[14:17], off, off offset:416
	scratch_load_b128 v[18:21], off, off offset:432
	scratch_load_b64 v[22:23], off, off offset:448
	scratch_load_b64 v[139:140], off, off offset:360
	v_mov_b32_e32 v1, 0
	ds_load_b128 v[142:145], v1 offset:832
	ds_load_b128 v[146:149], v1 offset:848
	;; [unrolled: 1-line block ×5, first 2 shown]
	ds_load_b64 v[162:163], v1 offset:912
	s_mov_b32 s0, exec_lo
	s_wait_loadcnt_dscnt 0x605
	v_mul_f32_e32 v24, v142, v3
	v_dual_mul_f32 v3, v143, v3 :: v_dual_mul_f32 v164, v144, v5
	s_wait_loadcnt_dscnt 0x302
	v_dual_mul_f32 v165, v146, v7 :: v_dual_mul_f32 v170, v156, v17
	v_mul_f32_e32 v5, v145, v5
	s_delay_alu instid0(VALU_DEP_3) | instskip(SKIP_3) | instid1(VALU_DEP_3)
	v_fma_f32 v3, v142, v2, -v3
	s_wait_loadcnt_dscnt 0x100
	v_dual_mul_f32 v173, v162, v23 :: v_dual_fmac_f32 v24, v143, v2
	v_mul_f32_e32 v2, v147, v7
	v_dual_fmac_f32 v164, v145, v4 :: v_dual_add_f32 v3, 0, v3
	v_fma_f32 v4, v144, v4, -v5
	v_dual_mul_f32 v166, v148, v9 :: v_dual_mul_f32 v167, v150, v11
	s_delay_alu instid0(VALU_DEP_4) | instskip(SKIP_1) | instid1(VALU_DEP_4)
	v_fma_f32 v2, v146, v6, -v2
	v_dual_mul_f32 v168, v152, v13 :: v_dual_mul_f32 v169, v154, v15
	v_add_f32_e32 v3, v3, v4
	v_add_f32_e32 v5, 0, v24
	v_dual_fmac_f32 v166, v149, v8 :: v_dual_fmac_f32 v167, v151, v10
	s_delay_alu instid0(VALU_DEP_4) | instskip(NEXT) | instid1(VALU_DEP_4)
	v_fmac_f32_e32 v168, v153, v12
	v_dual_add_f32 v2, v3, v2 :: v_dual_mul_f32 v7, v149, v9
	s_delay_alu instid0(VALU_DEP_4) | instskip(SKIP_2) | instid1(VALU_DEP_4)
	v_dual_fmac_f32 v165, v147, v6 :: v_dual_add_f32 v4, v5, v164
	v_mul_f32_e32 v5, v151, v11
	v_dual_fmac_f32 v169, v155, v14 :: v_dual_fmac_f32 v170, v157, v16
	v_fma_f32 v6, v148, v8, -v7
	s_delay_alu instid0(VALU_DEP_4)
	v_add_f32_e32 v3, v4, v165
	v_mul_f32_e32 v4, v153, v13
	v_fma_f32 v5, v150, v10, -v5
	v_dual_mul_f32 v171, v158, v19 :: v_dual_mul_f32 v172, v160, v21
	v_add_f32_e32 v2, v2, v6
	v_mul_f32_e32 v6, v155, v15
	v_add_f32_e32 v3, v3, v166
	v_fma_f32 v4, v152, v12, -v4
	s_delay_alu instid0(VALU_DEP_4) | instskip(SKIP_1) | instid1(VALU_DEP_4)
	v_dual_fmac_f32 v171, v159, v18 :: v_dual_add_f32 v2, v2, v5
	v_mul_f32_e32 v5, v157, v17
	v_add_f32_e32 v3, v3, v167
	v_fma_f32 v6, v154, v14, -v6
	v_fmac_f32_e32 v172, v161, v20
	v_add_f32_e32 v2, v2, v4
	v_mul_f32_e32 v4, v159, v19
	v_add_f32_e32 v3, v3, v168
	v_fma_f32 v5, v156, v16, -v5
	s_delay_alu instid0(VALU_DEP_4) | instskip(SKIP_1) | instid1(VALU_DEP_4)
	v_add_f32_e32 v2, v2, v6
	v_mul_f32_e32 v6, v161, v21
	v_add_f32_e32 v3, v3, v169
	v_fma_f32 v4, v158, v18, -v4
	s_delay_alu instid0(VALU_DEP_4) | instskip(NEXT) | instid1(VALU_DEP_4)
	v_add_f32_e32 v2, v2, v5
	v_fma_f32 v6, v160, v20, -v6
	s_delay_alu instid0(VALU_DEP_4) | instskip(NEXT) | instid1(VALU_DEP_3)
	v_add_f32_e32 v3, v3, v170
	v_dual_mul_f32 v5, v163, v23 :: v_dual_add_f32 v2, v2, v4
	s_delay_alu instid0(VALU_DEP_2) | instskip(NEXT) | instid1(VALU_DEP_2)
	v_add_f32_e32 v3, v3, v171
	v_fma_f32 v4, v162, v22, -v5
	s_delay_alu instid0(VALU_DEP_3) | instskip(SKIP_1) | instid1(VALU_DEP_4)
	v_add_f32_e32 v2, v2, v6
	v_fmac_f32_e32 v173, v163, v22
	v_add_f32_e32 v3, v3, v172
	s_delay_alu instid0(VALU_DEP_1) | instskip(SKIP_1) | instid1(VALU_DEP_1)
	v_dual_add_f32 v2, v2, v4 :: v_dual_add_f32 v3, v3, v173
	s_wait_loadcnt 0x0
	v_dual_sub_f32 v2, v139, v2 :: v_dual_sub_f32 v3, v140, v3
	scratch_store_b64 off, v[2:3], off offset:360
	v_cmpx_lt_u32_e32 44, v0
	s_cbranch_execz .LBB56_267
; %bb.266:
	scratch_load_b64 v[3:4], off, off offset:352
	v_mov_b32_e32 v2, v1
	scratch_store_b64 off, v[1:2], off offset:352
	s_wait_loadcnt 0x0
	ds_store_b64 v141, v[3:4]
.LBB56_267:
	s_wait_alu 0xfffe
	s_or_b32 exec_lo, exec_lo, s0
	s_wait_storecnt_dscnt 0x0
	s_barrier_signal -1
	s_barrier_wait -1
	global_inv scope:SCOPE_SE
	s_clause 0x6
	scratch_load_b128 v[2:5], off, off offset:360
	scratch_load_b128 v[6:9], off, off offset:376
	;; [unrolled: 1-line block ×6, first 2 shown]
	scratch_load_b64 v[22:23], off, off offset:352
	ds_load_2addr_b64 v[146:149], v1 offset0:103 offset1:104
	ds_load_2addr_b64 v[150:153], v1 offset0:105 offset1:106
	;; [unrolled: 1-line block ×6, first 2 shown]
	s_mov_b32 s0, exec_lo
	s_wait_loadcnt_dscnt 0x605
	v_dual_mul_f32 v1, v146, v3 :: v_dual_mul_f32 v24, v148, v5
	v_mul_f32_e32 v3, v147, v3
	v_mul_f32_e32 v5, v149, v5
	s_wait_loadcnt_dscnt 0x504
	v_dual_mul_f32 v139, v150, v7 :: v_dual_mul_f32 v140, v152, v9
	v_fmac_f32_e32 v24, v149, v4
	v_fma_f32 v3, v146, v2, -v3
	s_wait_loadcnt_dscnt 0x403
	v_dual_mul_f32 v170, v154, v11 :: v_dual_mul_f32 v171, v156, v13
	v_dual_fmac_f32 v1, v147, v2 :: v_dual_fmac_f32 v140, v153, v8
	v_mul_f32_e32 v2, v151, v7
	v_fma_f32 v4, v148, v4, -v5
	s_delay_alu instid0(VALU_DEP_4) | instskip(NEXT) | instid1(VALU_DEP_4)
	v_dual_add_f32 v3, 0, v3 :: v_dual_fmac_f32 v170, v155, v10
	v_add_f32_e32 v1, 0, v1
	s_delay_alu instid0(VALU_DEP_4) | instskip(SKIP_4) | instid1(VALU_DEP_3)
	v_fma_f32 v2, v150, v6, -v2
	s_wait_loadcnt_dscnt 0x302
	v_dual_mul_f32 v172, v158, v15 :: v_dual_mul_f32 v173, v160, v17
	v_add_f32_e32 v3, v3, v4
	v_dual_mul_f32 v5, v153, v9 :: v_dual_mul_f32 v4, v155, v11
	v_dual_add_f32 v1, v1, v24 :: v_dual_fmac_f32 v172, v159, v14
	s_delay_alu instid0(VALU_DEP_3) | instskip(NEXT) | instid1(VALU_DEP_3)
	v_add_f32_e32 v2, v3, v2
	v_fma_f32 v5, v152, v8, -v5
	v_fmac_f32_e32 v139, v151, v6
	v_fma_f32 v4, v154, v10, -v4
	s_wait_loadcnt_dscnt 0x201
	v_dual_mul_f32 v174, v162, v19 :: v_dual_mul_f32 v175, v164, v21
	s_delay_alu instid0(VALU_DEP_3) | instskip(NEXT) | instid1(VALU_DEP_2)
	v_dual_add_f32 v2, v2, v5 :: v_dual_add_f32 v1, v1, v139
	v_dual_mul_f32 v3, v157, v13 :: v_dual_fmac_f32 v174, v163, v18
	s_wait_loadcnt_dscnt 0x100
	v_dual_mul_f32 v176, v166, v143 :: v_dual_mul_f32 v177, v168, v145
	s_delay_alu instid0(VALU_DEP_3)
	v_add_f32_e32 v2, v2, v4
	v_mul_f32_e32 v4, v161, v17
	v_fma_f32 v3, v156, v12, -v3
	v_add_f32_e32 v1, v1, v140
	v_fmac_f32_e32 v175, v165, v20
	v_fmac_f32_e32 v177, v169, v144
	v_fma_f32 v4, v160, v16, -v4
	v_mul_f32_e32 v5, v159, v15
	v_dual_add_f32 v2, v2, v3 :: v_dual_add_f32 v1, v1, v170
	v_fmac_f32_e32 v176, v167, v142
	s_delay_alu instid0(VALU_DEP_3) | instskip(NEXT) | instid1(VALU_DEP_1)
	v_fma_f32 v5, v158, v14, -v5
	v_dual_fmac_f32 v171, v157, v12 :: v_dual_add_f32 v2, v2, v5
	s_delay_alu instid0(VALU_DEP_1) | instskip(SKIP_1) | instid1(VALU_DEP_3)
	v_add_f32_e32 v2, v2, v4
	v_mul_f32_e32 v4, v167, v143
	v_add_f32_e32 v1, v1, v171
	s_delay_alu instid0(VALU_DEP_2) | instskip(SKIP_1) | instid1(VALU_DEP_1)
	v_fma_f32 v4, v166, v142, -v4
	v_mul_f32_e32 v5, v165, v21
	v_fma_f32 v5, v164, v20, -v5
	v_mul_f32_e32 v3, v163, v19
	s_delay_alu instid0(VALU_DEP_1) | instskip(NEXT) | instid1(VALU_DEP_1)
	v_fma_f32 v3, v162, v18, -v3
	v_dual_fmac_f32 v173, v161, v16 :: v_dual_add_f32 v2, v2, v3
	v_mul_f32_e32 v3, v169, v145
	s_delay_alu instid0(VALU_DEP_2) | instskip(NEXT) | instid1(VALU_DEP_2)
	v_add_f32_e32 v2, v2, v5
	v_fma_f32 v3, v168, v144, -v3
	s_delay_alu instid0(VALU_DEP_2) | instskip(NEXT) | instid1(VALU_DEP_1)
	v_add_f32_e32 v2, v2, v4
	v_dual_add_f32 v1, v1, v172 :: v_dual_add_f32 v2, v2, v3
	s_delay_alu instid0(VALU_DEP_1) | instskip(NEXT) | instid1(VALU_DEP_1)
	v_add_f32_e32 v1, v1, v173
	v_add_f32_e32 v1, v1, v174
	s_delay_alu instid0(VALU_DEP_1) | instskip(NEXT) | instid1(VALU_DEP_1)
	v_add_f32_e32 v1, v1, v175
	v_add_f32_e32 v1, v1, v176
	s_delay_alu instid0(VALU_DEP_1) | instskip(SKIP_1) | instid1(VALU_DEP_1)
	v_add_f32_e32 v3, v1, v177
	s_wait_loadcnt 0x0
	v_dual_sub_f32 v1, v22, v2 :: v_dual_sub_f32 v2, v23, v3
	scratch_store_b64 off, v[1:2], off offset:352
	v_cmpx_lt_u32_e32 43, v0
	s_cbranch_execz .LBB56_269
; %bb.268:
	scratch_load_b64 v[1:2], off, off offset:344
	v_mov_b32_e32 v3, 0
	s_delay_alu instid0(VALU_DEP_1)
	v_mov_b32_e32 v4, v3
	scratch_store_b64 off, v[3:4], off offset:344
	s_wait_loadcnt 0x0
	ds_store_b64 v141, v[1:2]
.LBB56_269:
	s_wait_alu 0xfffe
	s_or_b32 exec_lo, exec_lo, s0
	s_wait_storecnt_dscnt 0x0
	s_barrier_signal -1
	s_barrier_wait -1
	global_inv scope:SCOPE_SE
	s_clause 0x7
	scratch_load_b128 v[2:5], off, off offset:352
	scratch_load_b128 v[6:9], off, off offset:368
	;; [unrolled: 1-line block ×6, first 2 shown]
	scratch_load_b64 v[22:23], off, off offset:448
	scratch_load_b64 v[139:140], off, off offset:344
	v_mov_b32_e32 v1, 0
	ds_load_b128 v[146:149], v1 offset:816
	ds_load_b128 v[150:153], v1 offset:832
	;; [unrolled: 1-line block ×6, first 2 shown]
	ds_load_b64 v[170:171], v1 offset:912
	s_mov_b32 s0, exec_lo
	s_wait_loadcnt_dscnt 0x706
	v_mul_f32_e32 v24, v146, v3
	v_dual_mul_f32 v3, v147, v3 :: v_dual_mul_f32 v172, v148, v5
	s_wait_loadcnt_dscnt 0x302
	v_dual_mul_f32 v173, v150, v7 :: v_dual_mul_f32 v180, v164, v21
	v_mul_f32_e32 v5, v149, v5
	s_delay_alu instid0(VALU_DEP_3) | instskip(SKIP_3) | instid1(VALU_DEP_3)
	v_fma_f32 v3, v146, v2, -v3
	s_wait_loadcnt_dscnt 0x100
	v_dual_mul_f32 v183, v170, v23 :: v_dual_fmac_f32 v24, v147, v2
	v_mul_f32_e32 v2, v151, v7
	v_dual_fmac_f32 v172, v149, v4 :: v_dual_add_f32 v3, 0, v3
	v_fma_f32 v4, v148, v4, -v5
	v_dual_mul_f32 v174, v152, v9 :: v_dual_mul_f32 v175, v154, v11
	s_delay_alu instid0(VALU_DEP_4) | instskip(SKIP_1) | instid1(VALU_DEP_4)
	v_fma_f32 v2, v150, v6, -v2
	v_dual_mul_f32 v176, v156, v13 :: v_dual_mul_f32 v177, v158, v15
	v_add_f32_e32 v3, v3, v4
	v_add_f32_e32 v5, 0, v24
	v_dual_fmac_f32 v174, v153, v8 :: v_dual_fmac_f32 v175, v155, v10
	s_delay_alu instid0(VALU_DEP_4) | instskip(NEXT) | instid1(VALU_DEP_4)
	v_fmac_f32_e32 v176, v157, v12
	v_dual_add_f32 v2, v3, v2 :: v_dual_mul_f32 v7, v153, v9
	s_delay_alu instid0(VALU_DEP_4) | instskip(SKIP_2) | instid1(VALU_DEP_4)
	v_dual_fmac_f32 v173, v151, v6 :: v_dual_add_f32 v4, v5, v172
	v_dual_mul_f32 v5, v155, v11 :: v_dual_mul_f32 v178, v160, v17
	v_mul_f32_e32 v179, v162, v19
	v_fma_f32 v6, v152, v8, -v7
	s_delay_alu instid0(VALU_DEP_4)
	v_add_f32_e32 v3, v4, v173
	v_mul_f32_e32 v4, v157, v13
	v_fma_f32 v5, v154, v10, -v5
	v_dual_fmac_f32 v177, v159, v14 :: v_dual_fmac_f32 v178, v161, v16
	v_add_f32_e32 v2, v2, v6
	v_mul_f32_e32 v6, v159, v15
	v_add_f32_e32 v3, v3, v174
	v_fma_f32 v4, v156, v12, -v4
	v_dual_mul_f32 v181, v166, v143 :: v_dual_mul_f32 v182, v168, v145
	s_delay_alu instid0(VALU_DEP_3) | instskip(SKIP_2) | instid1(VALU_DEP_3)
	v_dual_add_f32 v2, v2, v5 :: v_dual_add_f32 v3, v3, v175
	v_mul_f32_e32 v5, v161, v17
	v_fma_f32 v6, v158, v14, -v6
	v_dual_fmac_f32 v179, v163, v18 :: v_dual_add_f32 v2, v2, v4
	s_delay_alu instid0(VALU_DEP_4) | instskip(SKIP_3) | instid1(VALU_DEP_4)
	v_add_f32_e32 v3, v3, v176
	v_mul_f32_e32 v4, v163, v19
	v_fma_f32 v5, v160, v16, -v5
	v_fmac_f32_e32 v180, v165, v20
	v_dual_add_f32 v2, v2, v6 :: v_dual_add_f32 v3, v3, v177
	v_mul_f32_e32 v6, v165, v21
	v_fma_f32 v4, v162, v18, -v4
	v_dual_fmac_f32 v181, v167, v142 :: v_dual_fmac_f32 v182, v169, v144
	s_delay_alu instid0(VALU_DEP_4) | instskip(SKIP_2) | instid1(VALU_DEP_3)
	v_dual_add_f32 v2, v2, v5 :: v_dual_add_f32 v3, v3, v178
	v_mul_f32_e32 v5, v167, v143
	v_fma_f32 v6, v164, v20, -v6
	v_dual_fmac_f32 v183, v171, v22 :: v_dual_add_f32 v2, v2, v4
	s_delay_alu instid0(VALU_DEP_4) | instskip(NEXT) | instid1(VALU_DEP_4)
	v_dual_add_f32 v3, v3, v179 :: v_dual_mul_f32 v4, v169, v145
	v_fma_f32 v5, v166, v142, -v5
	s_delay_alu instid0(VALU_DEP_2) | instskip(SKIP_1) | instid1(VALU_DEP_4)
	v_dual_add_f32 v2, v2, v6 :: v_dual_add_f32 v3, v3, v180
	v_mul_f32_e32 v6, v171, v23
	v_fma_f32 v4, v168, v144, -v4
	s_delay_alu instid0(VALU_DEP_3) | instskip(NEXT) | instid1(VALU_DEP_4)
	v_add_f32_e32 v2, v2, v5
	v_add_f32_e32 v3, v3, v181
	s_delay_alu instid0(VALU_DEP_4) | instskip(NEXT) | instid1(VALU_DEP_2)
	v_fma_f32 v5, v170, v22, -v6
	v_dual_add_f32 v2, v2, v4 :: v_dual_add_f32 v3, v3, v182
	s_delay_alu instid0(VALU_DEP_1) | instskip(SKIP_1) | instid1(VALU_DEP_1)
	v_dual_add_f32 v2, v2, v5 :: v_dual_add_f32 v3, v3, v183
	s_wait_loadcnt 0x0
	v_dual_sub_f32 v2, v139, v2 :: v_dual_sub_f32 v3, v140, v3
	scratch_store_b64 off, v[2:3], off offset:344
	v_cmpx_lt_u32_e32 42, v0
	s_cbranch_execz .LBB56_271
; %bb.270:
	scratch_load_b64 v[3:4], off, off offset:336
	v_mov_b32_e32 v2, v1
	scratch_store_b64 off, v[1:2], off offset:336
	s_wait_loadcnt 0x0
	ds_store_b64 v141, v[3:4]
.LBB56_271:
	s_wait_alu 0xfffe
	s_or_b32 exec_lo, exec_lo, s0
	s_wait_storecnt_dscnt 0x0
	s_barrier_signal -1
	s_barrier_wait -1
	global_inv scope:SCOPE_SE
	s_clause 0x7
	scratch_load_b128 v[2:5], off, off offset:344
	scratch_load_b128 v[6:9], off, off offset:360
	;; [unrolled: 1-line block ×7, first 2 shown]
	scratch_load_b64 v[22:23], off, off offset:336
	ds_load_2addr_b64 v[150:153], v1 offset0:101 offset1:102
	ds_load_2addr_b64 v[154:157], v1 offset0:103 offset1:104
	;; [unrolled: 1-line block ×7, first 2 shown]
	s_mov_b32 s0, exec_lo
	s_wait_loadcnt_dscnt 0x706
	v_dual_mul_f32 v1, v150, v3 :: v_dual_mul_f32 v24, v152, v5
	v_mul_f32_e32 v3, v151, v3
	v_mul_f32_e32 v5, v153, v5
	s_wait_loadcnt_dscnt 0x605
	v_dual_mul_f32 v139, v154, v7 :: v_dual_mul_f32 v140, v156, v9
	v_fmac_f32_e32 v24, v153, v4
	v_fma_f32 v3, v150, v2, -v3
	s_wait_loadcnt_dscnt 0x504
	v_dual_mul_f32 v178, v158, v11 :: v_dual_mul_f32 v179, v160, v13
	v_dual_fmac_f32 v1, v151, v2 :: v_dual_fmac_f32 v140, v157, v8
	v_mul_f32_e32 v2, v155, v7
	v_fma_f32 v4, v152, v4, -v5
	s_delay_alu instid0(VALU_DEP_4) | instskip(NEXT) | instid1(VALU_DEP_4)
	v_dual_add_f32 v3, 0, v3 :: v_dual_fmac_f32 v178, v159, v10
	v_add_f32_e32 v1, 0, v1
	s_delay_alu instid0(VALU_DEP_4) | instskip(SKIP_4) | instid1(VALU_DEP_3)
	v_fma_f32 v2, v154, v6, -v2
	s_wait_loadcnt_dscnt 0x403
	v_dual_mul_f32 v180, v162, v15 :: v_dual_mul_f32 v181, v164, v17
	v_add_f32_e32 v3, v3, v4
	v_dual_mul_f32 v5, v157, v9 :: v_dual_mul_f32 v4, v159, v11
	v_dual_add_f32 v1, v1, v24 :: v_dual_fmac_f32 v180, v163, v14
	s_delay_alu instid0(VALU_DEP_3) | instskip(NEXT) | instid1(VALU_DEP_3)
	v_add_f32_e32 v2, v3, v2
	v_fma_f32 v5, v156, v8, -v5
	v_fmac_f32_e32 v139, v155, v6
	v_fma_f32 v4, v158, v10, -v4
	s_wait_loadcnt_dscnt 0x302
	v_dual_mul_f32 v182, v166, v19 :: v_dual_mul_f32 v183, v168, v21
	s_delay_alu instid0(VALU_DEP_3) | instskip(NEXT) | instid1(VALU_DEP_2)
	v_dual_add_f32 v2, v2, v5 :: v_dual_add_f32 v1, v1, v139
	v_dual_mul_f32 v3, v161, v13 :: v_dual_fmac_f32 v182, v167, v18
	s_wait_loadcnt_dscnt 0x201
	v_dual_mul_f32 v184, v170, v143 :: v_dual_mul_f32 v185, v172, v145
	s_delay_alu instid0(VALU_DEP_3)
	v_add_f32_e32 v2, v2, v4
	v_mul_f32_e32 v4, v165, v17
	v_fma_f32 v3, v160, v12, -v3
	s_wait_loadcnt_dscnt 0x100
	v_dual_add_f32 v1, v1, v140 :: v_dual_mul_f32 v186, v174, v147
	v_mul_f32_e32 v187, v176, v149
	v_fma_f32 v4, v164, v16, -v4
	v_mul_f32_e32 v5, v163, v15
	s_delay_alu instid0(VALU_DEP_4) | instskip(SKIP_1) | instid1(VALU_DEP_3)
	v_dual_add_f32 v2, v2, v3 :: v_dual_add_f32 v1, v1, v178
	v_dual_fmac_f32 v184, v171, v142 :: v_dual_fmac_f32 v185, v173, v144
	v_fma_f32 v5, v162, v14, -v5
	v_dual_fmac_f32 v179, v161, v12 :: v_dual_fmac_f32 v186, v175, v146
	s_delay_alu instid0(VALU_DEP_2) | instskip(NEXT) | instid1(VALU_DEP_1)
	v_dual_fmac_f32 v187, v177, v148 :: v_dual_add_f32 v2, v2, v5
	v_add_f32_e32 v2, v2, v4
	v_mul_f32_e32 v4, v171, v143
	s_delay_alu instid0(VALU_DEP_4) | instskip(NEXT) | instid1(VALU_DEP_2)
	v_add_f32_e32 v1, v1, v179
	v_fma_f32 v4, v170, v142, -v4
	v_mul_f32_e32 v5, v169, v21
	s_delay_alu instid0(VALU_DEP_3) | instskip(NEXT) | instid1(VALU_DEP_2)
	v_add_f32_e32 v1, v1, v180
	v_fma_f32 v5, v168, v20, -v5
	v_mul_f32_e32 v3, v167, v19
	s_delay_alu instid0(VALU_DEP_1) | instskip(NEXT) | instid1(VALU_DEP_1)
	v_fma_f32 v3, v166, v18, -v3
	v_dual_fmac_f32 v181, v165, v16 :: v_dual_add_f32 v2, v2, v3
	v_mul_f32_e32 v3, v173, v145
	s_delay_alu instid0(VALU_DEP_2) | instskip(NEXT) | instid1(VALU_DEP_2)
	v_dual_add_f32 v2, v2, v5 :: v_dual_mul_f32 v5, v175, v147
	v_fma_f32 v3, v172, v144, -v3
	s_delay_alu instid0(VALU_DEP_2) | instskip(SKIP_1) | instid1(VALU_DEP_4)
	v_dual_add_f32 v2, v2, v4 :: v_dual_add_f32 v1, v1, v181
	v_mul_f32_e32 v4, v177, v149
	v_fma_f32 v5, v174, v146, -v5
	s_delay_alu instid0(VALU_DEP_3) | instskip(NEXT) | instid1(VALU_DEP_3)
	v_dual_add_f32 v2, v2, v3 :: v_dual_fmac_f32 v183, v169, v20
	v_fma_f32 v3, v176, v148, -v4
	s_delay_alu instid0(VALU_DEP_2) | instskip(NEXT) | instid1(VALU_DEP_1)
	v_dual_add_f32 v2, v2, v5 :: v_dual_add_f32 v1, v1, v182
	v_add_f32_e32 v2, v2, v3
	s_delay_alu instid0(VALU_DEP_2) | instskip(NEXT) | instid1(VALU_DEP_1)
	v_add_f32_e32 v1, v1, v183
	v_add_f32_e32 v1, v1, v184
	s_delay_alu instid0(VALU_DEP_1) | instskip(NEXT) | instid1(VALU_DEP_1)
	v_add_f32_e32 v1, v1, v185
	v_add_f32_e32 v1, v1, v186
	s_delay_alu instid0(VALU_DEP_1) | instskip(SKIP_1) | instid1(VALU_DEP_1)
	v_add_f32_e32 v3, v1, v187
	s_wait_loadcnt 0x0
	v_dual_sub_f32 v1, v22, v2 :: v_dual_sub_f32 v2, v23, v3
	scratch_store_b64 off, v[1:2], off offset:336
	v_cmpx_lt_u32_e32 41, v0
	s_cbranch_execz .LBB56_273
; %bb.272:
	scratch_load_b64 v[1:2], off, off offset:328
	v_mov_b32_e32 v3, 0
	s_delay_alu instid0(VALU_DEP_1)
	v_mov_b32_e32 v4, v3
	scratch_store_b64 off, v[3:4], off offset:328
	s_wait_loadcnt 0x0
	ds_store_b64 v141, v[1:2]
.LBB56_273:
	s_wait_alu 0xfffe
	s_or_b32 exec_lo, exec_lo, s0
	s_wait_storecnt_dscnt 0x0
	s_barrier_signal -1
	s_barrier_wait -1
	global_inv scope:SCOPE_SE
	s_clause 0x8
	scratch_load_b128 v[2:5], off, off offset:336
	scratch_load_b128 v[6:9], off, off offset:352
	;; [unrolled: 1-line block ×7, first 2 shown]
	scratch_load_b64 v[22:23], off, off offset:448
	scratch_load_b64 v[139:140], off, off offset:328
	v_mov_b32_e32 v1, 0
	ds_load_b128 v[150:153], v1 offset:800
	ds_load_b128 v[154:157], v1 offset:816
	;; [unrolled: 1-line block ×7, first 2 shown]
	ds_load_b64 v[178:179], v1 offset:912
	s_mov_b32 s0, exec_lo
	s_wait_loadcnt_dscnt 0x807
	v_mul_f32_e32 v24, v150, v3
	v_dual_mul_f32 v3, v151, v3 :: v_dual_mul_f32 v180, v152, v5
	s_wait_loadcnt_dscnt 0x706
	v_mul_f32_e32 v181, v154, v7
	v_mul_f32_e32 v5, v153, v5
	s_wait_loadcnt_dscnt 0x302
	v_mul_f32_e32 v190, v172, v145
	v_fma_f32 v3, v150, v2, -v3
	s_wait_loadcnt_dscnt 0x100
	v_dual_mul_f32 v193, v178, v23 :: v_dual_fmac_f32 v24, v151, v2
	v_mul_f32_e32 v2, v155, v7
	s_delay_alu instid0(VALU_DEP_3) | instskip(SKIP_2) | instid1(VALU_DEP_4)
	v_dual_fmac_f32 v180, v153, v4 :: v_dual_add_f32 v3, 0, v3
	v_fma_f32 v4, v152, v4, -v5
	v_dual_mul_f32 v182, v156, v9 :: v_dual_mul_f32 v183, v158, v11
	v_fma_f32 v2, v154, v6, -v2
	v_dual_mul_f32 v184, v160, v13 :: v_dual_mul_f32 v185, v162, v15
	s_delay_alu instid0(VALU_DEP_4) | instskip(SKIP_1) | instid1(VALU_DEP_3)
	v_add_f32_e32 v3, v3, v4
	v_add_f32_e32 v5, 0, v24
	v_dual_fmac_f32 v183, v159, v10 :: v_dual_fmac_f32 v184, v161, v12
	v_fmac_f32_e32 v182, v157, v8
	s_delay_alu instid0(VALU_DEP_4) | instskip(NEXT) | instid1(VALU_DEP_4)
	v_dual_add_f32 v2, v3, v2 :: v_dual_mul_f32 v7, v157, v9
	v_dual_fmac_f32 v181, v155, v6 :: v_dual_add_f32 v4, v5, v180
	v_dual_mul_f32 v5, v159, v11 :: v_dual_mul_f32 v186, v164, v17
	v_mul_f32_e32 v187, v166, v19
	s_delay_alu instid0(VALU_DEP_4) | instskip(NEXT) | instid1(VALU_DEP_4)
	v_fma_f32 v6, v156, v8, -v7
	v_add_f32_e32 v3, v4, v181
	v_mul_f32_e32 v4, v161, v13
	v_fma_f32 v5, v158, v10, -v5
	v_dual_fmac_f32 v185, v163, v14 :: v_dual_fmac_f32 v186, v165, v16
	v_add_f32_e32 v2, v2, v6
	v_mul_f32_e32 v6, v163, v15
	v_add_f32_e32 v3, v3, v182
	v_fma_f32 v4, v160, v12, -v4
	v_dual_mul_f32 v188, v168, v21 :: v_dual_mul_f32 v189, v170, v143
	s_delay_alu instid0(VALU_DEP_3) | instskip(SKIP_2) | instid1(VALU_DEP_3)
	v_dual_add_f32 v2, v2, v5 :: v_dual_add_f32 v3, v3, v183
	v_mul_f32_e32 v5, v165, v17
	v_fma_f32 v6, v162, v14, -v6
	v_dual_fmac_f32 v187, v167, v18 :: v_dual_add_f32 v2, v2, v4
	s_delay_alu instid0(VALU_DEP_4) | instskip(SKIP_3) | instid1(VALU_DEP_4)
	v_add_f32_e32 v3, v3, v184
	v_mul_f32_e32 v4, v167, v19
	v_fma_f32 v5, v164, v16, -v5
	v_fmac_f32_e32 v188, v169, v20
	v_dual_add_f32 v2, v2, v6 :: v_dual_add_f32 v3, v3, v185
	v_mul_f32_e32 v6, v169, v21
	v_fma_f32 v4, v166, v18, -v4
	v_dual_mul_f32 v191, v174, v147 :: v_dual_mul_f32 v192, v176, v149
	s_delay_alu instid0(VALU_DEP_4) | instskip(SKIP_3) | instid1(VALU_DEP_4)
	v_dual_add_f32 v2, v2, v5 :: v_dual_add_f32 v3, v3, v186
	v_mul_f32_e32 v5, v171, v143
	v_fma_f32 v6, v168, v20, -v6
	v_dual_fmac_f32 v189, v171, v142 :: v_dual_fmac_f32 v190, v173, v144
	v_dual_add_f32 v2, v2, v4 :: v_dual_add_f32 v3, v3, v187
	v_mul_f32_e32 v4, v173, v145
	v_fma_f32 v5, v170, v142, -v5
	v_fmac_f32_e32 v191, v175, v146
	s_delay_alu instid0(VALU_DEP_4) | instskip(SKIP_3) | instid1(VALU_DEP_4)
	v_dual_add_f32 v2, v2, v6 :: v_dual_add_f32 v3, v3, v188
	v_mul_f32_e32 v6, v175, v147
	v_fma_f32 v4, v172, v144, -v4
	v_fmac_f32_e32 v192, v177, v148
	v_add_f32_e32 v2, v2, v5
	v_add_f32_e32 v3, v3, v189
	v_mul_f32_e32 v5, v177, v149
	v_fma_f32 v6, v174, v146, -v6
	s_delay_alu instid0(VALU_DEP_3) | instskip(SKIP_1) | instid1(VALU_DEP_4)
	v_dual_add_f32 v2, v2, v4 :: v_dual_add_f32 v3, v3, v190
	v_mul_f32_e32 v4, v179, v23
	v_fma_f32 v5, v176, v148, -v5
	s_delay_alu instid0(VALU_DEP_3) | instskip(SKIP_1) | instid1(VALU_DEP_4)
	v_dual_add_f32 v2, v2, v6 :: v_dual_add_f32 v3, v3, v191
	v_fmac_f32_e32 v193, v179, v22
	v_fma_f32 v4, v178, v22, -v4
	s_delay_alu instid0(VALU_DEP_3) | instskip(NEXT) | instid1(VALU_DEP_1)
	v_dual_add_f32 v2, v2, v5 :: v_dual_add_f32 v3, v3, v192
	v_dual_add_f32 v2, v2, v4 :: v_dual_add_f32 v3, v3, v193
	s_wait_loadcnt 0x0
	s_delay_alu instid0(VALU_DEP_1)
	v_dual_sub_f32 v2, v139, v2 :: v_dual_sub_f32 v3, v140, v3
	scratch_store_b64 off, v[2:3], off offset:328
	v_cmpx_lt_u32_e32 40, v0
	s_cbranch_execz .LBB56_275
; %bb.274:
	scratch_load_b64 v[3:4], off, off offset:320
	v_mov_b32_e32 v2, v1
	scratch_store_b64 off, v[1:2], off offset:320
	s_wait_loadcnt 0x0
	ds_store_b64 v141, v[3:4]
.LBB56_275:
	s_wait_alu 0xfffe
	s_or_b32 exec_lo, exec_lo, s0
	s_wait_storecnt_dscnt 0x0
	s_barrier_signal -1
	s_barrier_wait -1
	global_inv scope:SCOPE_SE
	s_clause 0x8
	scratch_load_b128 v[2:5], off, off offset:328
	scratch_load_b128 v[6:9], off, off offset:344
	;; [unrolled: 1-line block ×8, first 2 shown]
	scratch_load_b64 v[22:23], off, off offset:320
	ds_load_2addr_b64 v[154:157], v1 offset0:99 offset1:100
	ds_load_2addr_b64 v[158:161], v1 offset0:101 offset1:102
	;; [unrolled: 1-line block ×8, first 2 shown]
	s_mov_b32 s0, exec_lo
	s_wait_loadcnt_dscnt 0x807
	v_dual_mul_f32 v1, v154, v3 :: v_dual_mul_f32 v24, v156, v5
	v_mul_f32_e32 v3, v155, v3
	v_mul_f32_e32 v5, v157, v5
	s_wait_loadcnt_dscnt 0x706
	v_dual_mul_f32 v139, v158, v7 :: v_dual_mul_f32 v140, v160, v9
	v_fmac_f32_e32 v24, v157, v4
	v_fma_f32 v3, v154, v2, -v3
	s_wait_loadcnt_dscnt 0x605
	v_dual_mul_f32 v186, v162, v11 :: v_dual_mul_f32 v187, v164, v13
	v_dual_fmac_f32 v1, v155, v2 :: v_dual_fmac_f32 v140, v161, v8
	v_mul_f32_e32 v2, v159, v7
	v_fma_f32 v4, v156, v4, -v5
	s_delay_alu instid0(VALU_DEP_4) | instskip(NEXT) | instid1(VALU_DEP_4)
	v_dual_add_f32 v3, 0, v3 :: v_dual_fmac_f32 v186, v163, v10
	v_add_f32_e32 v1, 0, v1
	s_delay_alu instid0(VALU_DEP_4) | instskip(SKIP_4) | instid1(VALU_DEP_3)
	v_fma_f32 v2, v158, v6, -v2
	s_wait_loadcnt_dscnt 0x504
	v_dual_mul_f32 v188, v166, v15 :: v_dual_mul_f32 v189, v168, v17
	v_add_f32_e32 v3, v3, v4
	v_dual_mul_f32 v5, v161, v9 :: v_dual_mul_f32 v4, v163, v11
	v_dual_add_f32 v1, v1, v24 :: v_dual_fmac_f32 v188, v167, v14
	s_delay_alu instid0(VALU_DEP_3) | instskip(NEXT) | instid1(VALU_DEP_3)
	v_add_f32_e32 v2, v3, v2
	v_fma_f32 v5, v160, v8, -v5
	v_fmac_f32_e32 v139, v159, v6
	v_fma_f32 v4, v162, v10, -v4
	s_wait_loadcnt_dscnt 0x403
	v_dual_mul_f32 v190, v170, v19 :: v_dual_mul_f32 v191, v172, v21
	s_delay_alu instid0(VALU_DEP_3) | instskip(NEXT) | instid1(VALU_DEP_2)
	v_dual_add_f32 v2, v2, v5 :: v_dual_add_f32 v1, v1, v139
	v_dual_mul_f32 v3, v165, v13 :: v_dual_fmac_f32 v190, v171, v18
	s_wait_loadcnt_dscnt 0x302
	v_dual_mul_f32 v192, v174, v143 :: v_dual_mul_f32 v193, v176, v145
	s_delay_alu instid0(VALU_DEP_3)
	v_add_f32_e32 v2, v2, v4
	v_mul_f32_e32 v4, v169, v17
	v_fma_f32 v3, v164, v12, -v3
	s_wait_loadcnt_dscnt 0x100
	v_dual_add_f32 v1, v1, v140 :: v_dual_mul_f32 v196, v182, v151
	v_mul_f32_e32 v197, v184, v153
	v_fma_f32 v4, v168, v16, -v4
	v_mul_f32_e32 v5, v167, v15
	s_delay_alu instid0(VALU_DEP_4) | instskip(SKIP_1) | instid1(VALU_DEP_3)
	v_dual_add_f32 v2, v2, v3 :: v_dual_add_f32 v1, v1, v186
	v_dual_mul_f32 v194, v178, v147 :: v_dual_mul_f32 v195, v180, v149
	v_fma_f32 v5, v166, v14, -v5
	v_dual_fmac_f32 v187, v165, v12 :: v_dual_fmac_f32 v192, v175, v142
	s_delay_alu instid0(VALU_DEP_3) | instskip(NEXT) | instid1(VALU_DEP_3)
	v_dual_fmac_f32 v194, v179, v146 :: v_dual_fmac_f32 v195, v181, v148
	v_dual_add_f32 v2, v2, v5 :: v_dual_fmac_f32 v197, v185, v152
	v_fmac_f32_e32 v196, v183, v150
	s_delay_alu instid0(VALU_DEP_2) | instskip(SKIP_2) | instid1(VALU_DEP_2)
	v_add_f32_e32 v2, v2, v4
	v_mul_f32_e32 v4, v175, v143
	v_add_f32_e32 v1, v1, v187
	v_fma_f32 v4, v174, v142, -v4
	v_mul_f32_e32 v5, v173, v21
	s_delay_alu instid0(VALU_DEP_3) | instskip(NEXT) | instid1(VALU_DEP_2)
	v_add_f32_e32 v1, v1, v188
	v_fma_f32 v5, v172, v20, -v5
	v_mul_f32_e32 v3, v171, v19
	s_delay_alu instid0(VALU_DEP_1) | instskip(NEXT) | instid1(VALU_DEP_1)
	v_fma_f32 v3, v170, v18, -v3
	v_dual_fmac_f32 v189, v169, v16 :: v_dual_add_f32 v2, v2, v3
	v_mul_f32_e32 v3, v177, v145
	s_delay_alu instid0(VALU_DEP_2) | instskip(NEXT) | instid1(VALU_DEP_2)
	v_dual_add_f32 v2, v2, v5 :: v_dual_mul_f32 v5, v179, v147
	v_fma_f32 v3, v176, v144, -v3
	s_delay_alu instid0(VALU_DEP_2) | instskip(SKIP_1) | instid1(VALU_DEP_4)
	v_dual_add_f32 v2, v2, v4 :: v_dual_add_f32 v1, v1, v189
	v_mul_f32_e32 v4, v181, v149
	v_fma_f32 v5, v178, v146, -v5
	s_delay_alu instid0(VALU_DEP_3) | instskip(SKIP_1) | instid1(VALU_DEP_4)
	v_dual_add_f32 v2, v2, v3 :: v_dual_fmac_f32 v191, v173, v20
	v_mul_f32_e32 v3, v183, v151
	v_fma_f32 v4, v180, v148, -v4
	s_delay_alu instid0(VALU_DEP_3) | instskip(SKIP_1) | instid1(VALU_DEP_4)
	v_dual_add_f32 v2, v2, v5 :: v_dual_add_f32 v1, v1, v190
	v_mul_f32_e32 v5, v185, v153
	v_fma_f32 v3, v182, v150, -v3
	s_delay_alu instid0(VALU_DEP_3) | instskip(SKIP_1) | instid1(VALU_DEP_4)
	v_add_f32_e32 v2, v2, v4
	v_fmac_f32_e32 v193, v177, v144
	v_fma_f32 v4, v184, v152, -v5
	s_delay_alu instid0(VALU_DEP_3) | instskip(NEXT) | instid1(VALU_DEP_1)
	v_add_f32_e32 v2, v2, v3
	v_dual_add_f32 v1, v1, v191 :: v_dual_add_f32 v2, v2, v4
	s_delay_alu instid0(VALU_DEP_1) | instskip(NEXT) | instid1(VALU_DEP_1)
	v_add_f32_e32 v1, v1, v192
	v_add_f32_e32 v1, v1, v193
	s_delay_alu instid0(VALU_DEP_1) | instskip(NEXT) | instid1(VALU_DEP_1)
	v_add_f32_e32 v1, v1, v194
	v_add_f32_e32 v1, v1, v195
	;; [unrolled: 3-line block ×3, first 2 shown]
	s_wait_loadcnt 0x0
	s_delay_alu instid0(VALU_DEP_1)
	v_dual_sub_f32 v1, v22, v2 :: v_dual_sub_f32 v2, v23, v3
	scratch_store_b64 off, v[1:2], off offset:320
	v_cmpx_lt_u32_e32 39, v0
	s_cbranch_execz .LBB56_277
; %bb.276:
	scratch_load_b64 v[1:2], off, off offset:312
	v_mov_b32_e32 v3, 0
	s_delay_alu instid0(VALU_DEP_1)
	v_mov_b32_e32 v4, v3
	scratch_store_b64 off, v[3:4], off offset:312
	s_wait_loadcnt 0x0
	ds_store_b64 v141, v[1:2]
.LBB56_277:
	s_wait_alu 0xfffe
	s_or_b32 exec_lo, exec_lo, s0
	s_wait_storecnt_dscnt 0x0
	s_barrier_signal -1
	s_barrier_wait -1
	global_inv scope:SCOPE_SE
	s_clause 0x9
	scratch_load_b128 v[2:5], off, off offset:320
	scratch_load_b128 v[6:9], off, off offset:336
	;; [unrolled: 1-line block ×8, first 2 shown]
	scratch_load_b64 v[22:23], off, off offset:448
	scratch_load_b64 v[139:140], off, off offset:312
	v_mov_b32_e32 v1, 0
	ds_load_b128 v[154:157], v1 offset:784
	ds_load_b128 v[158:161], v1 offset:800
	;; [unrolled: 1-line block ×8, first 2 shown]
	ds_load_b64 v[186:187], v1 offset:912
	s_mov_b32 s0, exec_lo
	s_wait_loadcnt_dscnt 0x908
	v_mul_f32_e32 v24, v154, v3
	s_wait_loadcnt_dscnt 0x807
	v_dual_mul_f32 v188, v156, v5 :: v_dual_mul_f32 v189, v158, v7
	v_mul_f32_e32 v3, v155, v3
	s_delay_alu instid0(VALU_DEP_3)
	v_dual_mul_f32 v5, v157, v5 :: v_dual_fmac_f32 v24, v155, v2
	s_wait_loadcnt_dscnt 0x302
	v_mul_f32_e32 v200, v180, v149
	v_dual_mul_f32 v190, v160, v9 :: v_dual_mul_f32 v191, v162, v11
	v_fma_f32 v3, v154, v2, -v3
	s_wait_loadcnt_dscnt 0x100
	v_mul_f32_e32 v203, v186, v23
	v_mul_f32_e32 v2, v159, v7
	v_fmac_f32_e32 v188, v157, v4
	v_fma_f32 v4, v156, v4, -v5
	v_dual_add_f32 v3, 0, v3 :: v_dual_mul_f32 v192, v164, v13
	v_mul_f32_e32 v193, v166, v15
	v_fma_f32 v2, v158, v6, -v2
	v_fmac_f32_e32 v191, v163, v10
	s_delay_alu instid0(VALU_DEP_4)
	v_add_f32_e32 v3, v3, v4
	v_add_f32_e32 v5, 0, v24
	v_fmac_f32_e32 v192, v165, v12
	v_fmac_f32_e32 v190, v161, v8
	v_dual_mul_f32 v194, v168, v17 :: v_dual_mul_f32 v195, v170, v19
	v_dual_add_f32 v2, v3, v2 :: v_dual_mul_f32 v7, v161, v9
	v_dual_fmac_f32 v189, v159, v6 :: v_dual_add_f32 v4, v5, v188
	v_mul_f32_e32 v5, v163, v11
	s_delay_alu instid0(VALU_DEP_4) | instskip(NEXT) | instid1(VALU_DEP_4)
	v_dual_fmac_f32 v193, v167, v14 :: v_dual_fmac_f32 v194, v169, v16
	v_fma_f32 v6, v160, v8, -v7
	s_delay_alu instid0(VALU_DEP_4)
	v_add_f32_e32 v3, v4, v189
	v_mul_f32_e32 v4, v165, v13
	v_fma_f32 v5, v162, v10, -v5
	v_dual_mul_f32 v196, v172, v21 :: v_dual_mul_f32 v197, v174, v143
	v_add_f32_e32 v2, v2, v6
	v_mul_f32_e32 v6, v167, v15
	v_add_f32_e32 v3, v3, v190
	v_fma_f32 v4, v164, v12, -v4
	v_dual_mul_f32 v198, v176, v145 :: v_dual_mul_f32 v199, v178, v147
	s_delay_alu instid0(VALU_DEP_3) | instskip(SKIP_2) | instid1(VALU_DEP_3)
	v_dual_add_f32 v2, v2, v5 :: v_dual_add_f32 v3, v3, v191
	v_mul_f32_e32 v5, v169, v17
	v_fma_f32 v6, v166, v14, -v6
	v_dual_fmac_f32 v195, v171, v18 :: v_dual_add_f32 v2, v2, v4
	s_delay_alu instid0(VALU_DEP_4) | instskip(SKIP_3) | instid1(VALU_DEP_4)
	v_add_f32_e32 v3, v3, v192
	v_mul_f32_e32 v4, v171, v19
	v_fma_f32 v5, v168, v16, -v5
	v_fmac_f32_e32 v196, v173, v20
	v_dual_add_f32 v2, v2, v6 :: v_dual_add_f32 v3, v3, v193
	v_mul_f32_e32 v6, v173, v21
	v_fma_f32 v4, v170, v18, -v4
	v_dual_fmac_f32 v197, v175, v142 :: v_dual_fmac_f32 v198, v177, v144
	s_delay_alu instid0(VALU_DEP_4) | instskip(SKIP_3) | instid1(VALU_DEP_4)
	v_dual_add_f32 v2, v2, v5 :: v_dual_add_f32 v3, v3, v194
	v_mul_f32_e32 v5, v175, v143
	v_fma_f32 v6, v172, v20, -v6
	v_dual_mul_f32 v201, v182, v151 :: v_dual_mul_f32 v202, v184, v153
	v_dual_add_f32 v2, v2, v4 :: v_dual_add_f32 v3, v3, v195
	v_mul_f32_e32 v4, v177, v145
	v_fma_f32 v5, v174, v142, -v5
	v_fmac_f32_e32 v199, v179, v146
	s_delay_alu instid0(VALU_DEP_4) | instskip(SKIP_3) | instid1(VALU_DEP_4)
	v_dual_add_f32 v2, v2, v6 :: v_dual_add_f32 v3, v3, v196
	v_mul_f32_e32 v6, v179, v147
	v_fma_f32 v4, v176, v144, -v4
	v_fmac_f32_e32 v200, v181, v148
	v_add_f32_e32 v2, v2, v5
	v_add_f32_e32 v3, v3, v197
	v_mul_f32_e32 v5, v181, v149
	v_fma_f32 v6, v178, v146, -v6
	s_delay_alu instid0(VALU_DEP_4) | instskip(NEXT) | instid1(VALU_DEP_4)
	v_dual_fmac_f32 v201, v183, v150 :: v_dual_add_f32 v2, v2, v4
	v_add_f32_e32 v3, v3, v198
	v_mul_f32_e32 v4, v183, v151
	v_fma_f32 v5, v180, v148, -v5
	v_fmac_f32_e32 v202, v185, v152
	s_delay_alu instid0(VALU_DEP_4) | instskip(SKIP_2) | instid1(VALU_DEP_3)
	v_dual_add_f32 v2, v2, v6 :: v_dual_add_f32 v3, v3, v199
	v_mul_f32_e32 v6, v185, v153
	v_fma_f32 v4, v182, v150, -v4
	v_dual_add_f32 v2, v2, v5 :: v_dual_add_f32 v3, v3, v200
	v_mul_f32_e32 v5, v187, v23
	s_delay_alu instid0(VALU_DEP_4) | instskip(NEXT) | instid1(VALU_DEP_3)
	v_fma_f32 v6, v184, v152, -v6
	v_dual_add_f32 v2, v2, v4 :: v_dual_add_f32 v3, v3, v201
	s_delay_alu instid0(VALU_DEP_3) | instskip(NEXT) | instid1(VALU_DEP_2)
	v_fma_f32 v4, v186, v22, -v5
	v_add_f32_e32 v3, v3, v202
	s_delay_alu instid0(VALU_DEP_3) | instskip(NEXT) | instid1(VALU_DEP_1)
	v_add_f32_e32 v2, v2, v6
	v_dual_fmac_f32 v203, v187, v22 :: v_dual_add_f32 v2, v2, v4
	s_delay_alu instid0(VALU_DEP_1) | instskip(SKIP_1) | instid1(VALU_DEP_1)
	v_add_f32_e32 v3, v3, v203
	s_wait_loadcnt 0x0
	v_dual_sub_f32 v2, v139, v2 :: v_dual_sub_f32 v3, v140, v3
	scratch_store_b64 off, v[2:3], off offset:312
	v_cmpx_lt_u32_e32 38, v0
	s_cbranch_execz .LBB56_279
; %bb.278:
	scratch_load_b64 v[3:4], off, off offset:304
	v_mov_b32_e32 v2, v1
	scratch_store_b64 off, v[1:2], off offset:304
	s_wait_loadcnt 0x0
	ds_store_b64 v141, v[3:4]
.LBB56_279:
	s_wait_alu 0xfffe
	s_or_b32 exec_lo, exec_lo, s0
	s_wait_storecnt_dscnt 0x0
	s_barrier_signal -1
	s_barrier_wait -1
	global_inv scope:SCOPE_SE
	s_clause 0x9
	scratch_load_b128 v[2:5], off, off offset:312
	scratch_load_b128 v[6:9], off, off offset:328
	;; [unrolled: 1-line block ×9, first 2 shown]
	scratch_load_b64 v[22:23], off, off offset:304
	ds_load_2addr_b64 v[158:161], v1 offset0:97 offset1:98
	ds_load_2addr_b64 v[162:165], v1 offset0:99 offset1:100
	;; [unrolled: 1-line block ×9, first 2 shown]
	s_mov_b32 s0, exec_lo
	s_wait_loadcnt_dscnt 0x908
	v_dual_mul_f32 v1, v158, v3 :: v_dual_mul_f32 v24, v160, v5
	v_mul_f32_e32 v3, v159, v3
	v_mul_f32_e32 v5, v161, v5
	s_wait_loadcnt_dscnt 0x807
	v_dual_mul_f32 v139, v162, v7 :: v_dual_mul_f32 v140, v164, v9
	v_fmac_f32_e32 v24, v161, v4
	v_fma_f32 v3, v158, v2, -v3
	s_wait_loadcnt_dscnt 0x706
	v_dual_mul_f32 v194, v166, v11 :: v_dual_mul_f32 v195, v168, v13
	v_dual_fmac_f32 v1, v159, v2 :: v_dual_fmac_f32 v140, v165, v8
	v_mul_f32_e32 v2, v163, v7
	v_fma_f32 v4, v160, v4, -v5
	s_delay_alu instid0(VALU_DEP_4) | instskip(NEXT) | instid1(VALU_DEP_4)
	v_dual_add_f32 v3, 0, v3 :: v_dual_fmac_f32 v194, v167, v10
	v_add_f32_e32 v1, 0, v1
	s_delay_alu instid0(VALU_DEP_4) | instskip(SKIP_4) | instid1(VALU_DEP_3)
	v_fma_f32 v2, v162, v6, -v2
	s_wait_loadcnt_dscnt 0x605
	v_dual_mul_f32 v196, v170, v15 :: v_dual_mul_f32 v197, v172, v17
	v_add_f32_e32 v3, v3, v4
	v_dual_mul_f32 v5, v165, v9 :: v_dual_mul_f32 v4, v167, v11
	v_dual_add_f32 v1, v1, v24 :: v_dual_fmac_f32 v196, v171, v14
	s_delay_alu instid0(VALU_DEP_3) | instskip(NEXT) | instid1(VALU_DEP_3)
	v_add_f32_e32 v2, v3, v2
	v_fma_f32 v5, v164, v8, -v5
	v_fmac_f32_e32 v139, v163, v6
	v_fma_f32 v4, v166, v10, -v4
	s_wait_loadcnt_dscnt 0x504
	v_dual_mul_f32 v198, v174, v19 :: v_dual_mul_f32 v199, v176, v21
	s_delay_alu instid0(VALU_DEP_3) | instskip(NEXT) | instid1(VALU_DEP_2)
	v_dual_add_f32 v2, v2, v5 :: v_dual_add_f32 v1, v1, v139
	v_dual_mul_f32 v3, v169, v13 :: v_dual_fmac_f32 v198, v175, v18
	s_wait_loadcnt_dscnt 0x403
	v_dual_mul_f32 v200, v178, v143 :: v_dual_mul_f32 v201, v180, v145
	s_delay_alu instid0(VALU_DEP_3)
	v_add_f32_e32 v2, v2, v4
	v_mul_f32_e32 v4, v173, v17
	v_fma_f32 v3, v168, v12, -v3
	s_wait_loadcnt_dscnt 0x201
	v_dual_add_f32 v1, v1, v140 :: v_dual_mul_f32 v204, v186, v151
	v_mul_f32_e32 v205, v188, v153
	v_fma_f32 v4, v172, v16, -v4
	v_mul_f32_e32 v5, v171, v15
	s_delay_alu instid0(VALU_DEP_4) | instskip(SKIP_1) | instid1(VALU_DEP_3)
	v_dual_add_f32 v2, v2, v3 :: v_dual_add_f32 v1, v1, v194
	v_dual_mul_f32 v202, v182, v147 :: v_dual_mul_f32 v203, v184, v149
	v_fma_f32 v5, v170, v14, -v5
	v_dual_fmac_f32 v195, v169, v12 :: v_dual_fmac_f32 v200, v179, v142
	s_delay_alu instid0(VALU_DEP_3) | instskip(SKIP_4) | instid1(VALU_DEP_3)
	v_fmac_f32_e32 v202, v183, v146
	s_wait_loadcnt_dscnt 0x100
	v_dual_mul_f32 v206, v190, v155 :: v_dual_mul_f32 v207, v192, v157
	v_dual_add_f32 v2, v2, v5 :: v_dual_fmac_f32 v201, v181, v144
	v_dual_fmac_f32 v205, v189, v152 :: v_dual_fmac_f32 v204, v187, v150
	v_fmac_f32_e32 v207, v193, v156
	s_delay_alu instid0(VALU_DEP_3) | instskip(SKIP_2) | instid1(VALU_DEP_2)
	v_add_f32_e32 v2, v2, v4
	v_mul_f32_e32 v4, v179, v143
	v_dual_add_f32 v1, v1, v195 :: v_dual_fmac_f32 v206, v191, v154
	v_fma_f32 v4, v178, v142, -v4
	v_mul_f32_e32 v5, v177, v21
	s_delay_alu instid0(VALU_DEP_3) | instskip(NEXT) | instid1(VALU_DEP_2)
	v_add_f32_e32 v1, v1, v196
	v_fma_f32 v5, v176, v20, -v5
	v_mul_f32_e32 v3, v175, v19
	s_delay_alu instid0(VALU_DEP_1) | instskip(NEXT) | instid1(VALU_DEP_1)
	v_fma_f32 v3, v174, v18, -v3
	v_dual_fmac_f32 v197, v173, v16 :: v_dual_add_f32 v2, v2, v3
	v_mul_f32_e32 v3, v181, v145
	s_delay_alu instid0(VALU_DEP_2) | instskip(NEXT) | instid1(VALU_DEP_2)
	v_dual_add_f32 v2, v2, v5 :: v_dual_mul_f32 v5, v183, v147
	v_fma_f32 v3, v180, v144, -v3
	s_delay_alu instid0(VALU_DEP_2) | instskip(SKIP_1) | instid1(VALU_DEP_4)
	v_dual_add_f32 v2, v2, v4 :: v_dual_add_f32 v1, v1, v197
	v_mul_f32_e32 v4, v185, v149
	v_fma_f32 v5, v182, v146, -v5
	s_delay_alu instid0(VALU_DEP_3) | instskip(NEXT) | instid1(VALU_DEP_3)
	v_dual_add_f32 v2, v2, v3 :: v_dual_fmac_f32 v199, v177, v20
	v_fma_f32 v4, v184, v148, -v4
	s_delay_alu instid0(VALU_DEP_2) | instskip(SKIP_1) | instid1(VALU_DEP_2)
	v_add_f32_e32 v2, v2, v5
	v_mul_f32_e32 v5, v189, v153
	v_dual_add_f32 v1, v1, v198 :: v_dual_add_f32 v2, v2, v4
	s_delay_alu instid0(VALU_DEP_2) | instskip(SKIP_1) | instid1(VALU_DEP_3)
	v_fma_f32 v5, v188, v152, -v5
	v_mul_f32_e32 v3, v187, v151
	v_add_f32_e32 v1, v1, v199
	v_mul_f32_e32 v4, v191, v155
	s_delay_alu instid0(VALU_DEP_3) | instskip(NEXT) | instid1(VALU_DEP_3)
	v_fma_f32 v3, v186, v150, -v3
	v_add_f32_e32 v1, v1, v200
	s_delay_alu instid0(VALU_DEP_3) | instskip(NEXT) | instid1(VALU_DEP_3)
	v_fma_f32 v4, v190, v154, -v4
	v_dual_add_f32 v2, v2, v3 :: v_dual_mul_f32 v3, v193, v157
	s_delay_alu instid0(VALU_DEP_1) | instskip(NEXT) | instid1(VALU_DEP_4)
	v_add_f32_e32 v2, v2, v5
	v_add_f32_e32 v1, v1, v201
	s_delay_alu instid0(VALU_DEP_3) | instskip(NEXT) | instid1(VALU_DEP_3)
	v_fma_f32 v3, v192, v156, -v3
	v_add_f32_e32 v2, v2, v4
	v_fmac_f32_e32 v203, v185, v148
	s_delay_alu instid0(VALU_DEP_2) | instskip(NEXT) | instid1(VALU_DEP_1)
	v_dual_add_f32 v1, v1, v202 :: v_dual_add_f32 v2, v2, v3
	v_add_f32_e32 v1, v1, v203
	s_delay_alu instid0(VALU_DEP_1) | instskip(NEXT) | instid1(VALU_DEP_1)
	v_add_f32_e32 v1, v1, v204
	v_add_f32_e32 v1, v1, v205
	s_delay_alu instid0(VALU_DEP_1) | instskip(NEXT) | instid1(VALU_DEP_1)
	v_add_f32_e32 v1, v1, v206
	v_add_f32_e32 v3, v1, v207
	s_wait_loadcnt 0x0
	s_delay_alu instid0(VALU_DEP_1)
	v_dual_sub_f32 v1, v22, v2 :: v_dual_sub_f32 v2, v23, v3
	scratch_store_b64 off, v[1:2], off offset:304
	v_cmpx_lt_u32_e32 37, v0
	s_cbranch_execz .LBB56_281
; %bb.280:
	scratch_load_b64 v[1:2], off, off offset:296
	v_mov_b32_e32 v3, 0
	s_delay_alu instid0(VALU_DEP_1)
	v_mov_b32_e32 v4, v3
	scratch_store_b64 off, v[3:4], off offset:296
	s_wait_loadcnt 0x0
	ds_store_b64 v141, v[1:2]
.LBB56_281:
	s_wait_alu 0xfffe
	s_or_b32 exec_lo, exec_lo, s0
	s_wait_storecnt_dscnt 0x0
	s_barrier_signal -1
	s_barrier_wait -1
	global_inv scope:SCOPE_SE
	s_clause 0xa
	scratch_load_b128 v[2:5], off, off offset:304
	scratch_load_b128 v[6:9], off, off offset:320
	;; [unrolled: 1-line block ×9, first 2 shown]
	scratch_load_b64 v[22:23], off, off offset:448
	scratch_load_b64 v[139:140], off, off offset:296
	v_mov_b32_e32 v1, 0
	ds_load_b128 v[158:161], v1 offset:768
	ds_load_b128 v[162:165], v1 offset:784
	;; [unrolled: 1-line block ×9, first 2 shown]
	ds_load_b64 v[194:195], v1 offset:912
	s_mov_b32 s0, exec_lo
	s_wait_loadcnt_dscnt 0xa09
	v_mul_f32_e32 v24, v158, v3
	s_wait_loadcnt_dscnt 0x908
	v_dual_mul_f32 v196, v160, v5 :: v_dual_mul_f32 v197, v162, v7
	v_mul_f32_e32 v3, v159, v3
	s_delay_alu instid0(VALU_DEP_3)
	v_dual_mul_f32 v5, v161, v5 :: v_dual_fmac_f32 v24, v159, v2
	s_wait_loadcnt_dscnt 0x807
	v_dual_mul_f32 v198, v164, v9 :: v_dual_mul_f32 v199, v166, v11
	s_wait_loadcnt_dscnt 0x302
	v_mul_f32_e32 v210, v188, v153
	v_fma_f32 v3, v158, v2, -v3
	s_wait_loadcnt_dscnt 0x100
	v_mul_f32_e32 v213, v194, v23
	v_mul_f32_e32 v2, v163, v7
	v_fmac_f32_e32 v196, v161, v4
	v_fma_f32 v4, v160, v4, -v5
	v_dual_add_f32 v3, 0, v3 :: v_dual_mul_f32 v200, v168, v13
	v_mul_f32_e32 v201, v170, v15
	v_fma_f32 v2, v162, v6, -v2
	v_fmac_f32_e32 v199, v167, v10
	s_delay_alu instid0(VALU_DEP_4) | instskip(SKIP_3) | instid1(VALU_DEP_4)
	v_add_f32_e32 v3, v3, v4
	v_add_f32_e32 v5, 0, v24
	v_fmac_f32_e32 v200, v169, v12
	v_dual_mul_f32 v202, v172, v17 :: v_dual_mul_f32 v203, v174, v19
	v_dual_add_f32 v2, v3, v2 :: v_dual_mul_f32 v7, v165, v9
	s_delay_alu instid0(VALU_DEP_4) | instskip(SKIP_1) | instid1(VALU_DEP_3)
	v_dual_fmac_f32 v197, v163, v6 :: v_dual_add_f32 v4, v5, v196
	v_dual_mul_f32 v5, v167, v11 :: v_dual_fmac_f32 v198, v165, v8
	v_fma_f32 v6, v164, v8, -v7
	v_dual_fmac_f32 v201, v171, v14 :: v_dual_fmac_f32 v202, v173, v16
	s_delay_alu instid0(VALU_DEP_4)
	v_add_f32_e32 v3, v4, v197
	v_mul_f32_e32 v4, v169, v13
	v_fma_f32 v5, v166, v10, -v5
	v_add_f32_e32 v2, v2, v6
	v_mul_f32_e32 v6, v171, v15
	v_add_f32_e32 v3, v3, v198
	v_fma_f32 v4, v168, v12, -v4
	v_dual_mul_f32 v204, v176, v21 :: v_dual_mul_f32 v205, v178, v143
	s_delay_alu instid0(VALU_DEP_3) | instskip(SKIP_3) | instid1(VALU_DEP_4)
	v_dual_add_f32 v2, v2, v5 :: v_dual_add_f32 v3, v3, v199
	v_mul_f32_e32 v5, v173, v17
	v_fma_f32 v6, v170, v14, -v6
	v_dual_mul_f32 v206, v180, v145 :: v_dual_mul_f32 v207, v182, v147
	v_add_f32_e32 v2, v2, v4
	v_add_f32_e32 v3, v3, v200
	v_mul_f32_e32 v4, v175, v19
	v_fma_f32 v5, v172, v16, -v5
	v_fmac_f32_e32 v203, v175, v18
	s_delay_alu instid0(VALU_DEP_4) | instskip(SKIP_3) | instid1(VALU_DEP_4)
	v_dual_add_f32 v2, v2, v6 :: v_dual_add_f32 v3, v3, v201
	v_fmac_f32_e32 v204, v177, v20
	v_mul_f32_e32 v6, v177, v21
	v_fma_f32 v4, v174, v18, -v4
	v_dual_add_f32 v2, v2, v5 :: v_dual_add_f32 v3, v3, v202
	v_mul_f32_e32 v5, v179, v143
	s_delay_alu instid0(VALU_DEP_4) | instskip(SKIP_1) | instid1(VALU_DEP_4)
	v_fma_f32 v6, v176, v20, -v6
	v_dual_fmac_f32 v205, v179, v142 :: v_dual_fmac_f32 v206, v181, v144
	v_dual_add_f32 v2, v2, v4 :: v_dual_add_f32 v3, v3, v203
	v_mul_f32_e32 v4, v181, v145
	v_fma_f32 v5, v178, v142, -v5
	v_fmac_f32_e32 v207, v183, v146
	s_delay_alu instid0(VALU_DEP_4) | instskip(SKIP_3) | instid1(VALU_DEP_4)
	v_dual_add_f32 v2, v2, v6 :: v_dual_add_f32 v3, v3, v204
	v_mul_f32_e32 v6, v183, v147
	v_fma_f32 v4, v180, v144, -v4
	v_dual_mul_f32 v208, v184, v149 :: v_dual_mul_f32 v209, v186, v151
	v_add_f32_e32 v2, v2, v5
	v_add_f32_e32 v3, v3, v205
	v_mul_f32_e32 v5, v185, v149
	v_fma_f32 v6, v182, v146, -v6
	v_fmac_f32_e32 v208, v185, v148
	s_delay_alu instid0(VALU_DEP_4) | instskip(SKIP_3) | instid1(VALU_DEP_4)
	v_dual_add_f32 v2, v2, v4 :: v_dual_add_f32 v3, v3, v206
	v_mul_f32_e32 v4, v187, v151
	v_fma_f32 v5, v184, v148, -v5
	v_fmac_f32_e32 v209, v187, v150
	v_dual_add_f32 v2, v2, v6 :: v_dual_add_f32 v3, v3, v207
	v_mul_f32_e32 v6, v189, v153
	v_fma_f32 v4, v186, v150, -v4
	v_dual_mul_f32 v211, v190, v155 :: v_dual_mul_f32 v212, v192, v157
	s_delay_alu instid0(VALU_DEP_4) | instskip(SKIP_2) | instid1(VALU_DEP_3)
	v_dual_add_f32 v2, v2, v5 :: v_dual_add_f32 v3, v3, v208
	v_dual_mul_f32 v5, v191, v155 :: v_dual_fmac_f32 v210, v189, v152
	v_fma_f32 v6, v188, v152, -v6
	v_dual_add_f32 v2, v2, v4 :: v_dual_add_f32 v3, v3, v209
	v_dual_mul_f32 v4, v193, v157 :: v_dual_fmac_f32 v211, v191, v154
	s_delay_alu instid0(VALU_DEP_4) | instskip(NEXT) | instid1(VALU_DEP_3)
	v_fma_f32 v5, v190, v154, -v5
	v_dual_fmac_f32 v212, v193, v156 :: v_dual_add_f32 v3, v3, v210
	s_delay_alu instid0(VALU_DEP_4) | instskip(SKIP_3) | instid1(VALU_DEP_4)
	v_add_f32_e32 v2, v2, v6
	v_mul_f32_e32 v6, v195, v23
	v_fma_f32 v4, v192, v156, -v4
	v_fmac_f32_e32 v213, v195, v22
	v_dual_add_f32 v3, v3, v211 :: v_dual_add_f32 v2, v2, v5
	s_delay_alu instid0(VALU_DEP_4) | instskip(NEXT) | instid1(VALU_DEP_2)
	v_fma_f32 v5, v194, v22, -v6
	v_add_f32_e32 v3, v3, v212
	s_delay_alu instid0(VALU_DEP_1) | instskip(SKIP_1) | instid1(VALU_DEP_1)
	v_dual_add_f32 v2, v2, v4 :: v_dual_add_f32 v3, v3, v213
	s_wait_loadcnt 0x0
	v_dual_add_f32 v2, v2, v5 :: v_dual_sub_f32 v3, v140, v3
	s_delay_alu instid0(VALU_DEP_1)
	v_sub_f32_e32 v2, v139, v2
	scratch_store_b64 off, v[2:3], off offset:296
	v_cmpx_lt_u32_e32 36, v0
	s_cbranch_execz .LBB56_283
; %bb.282:
	scratch_load_b64 v[3:4], off, off offset:288
	v_mov_b32_e32 v2, v1
	scratch_store_b64 off, v[1:2], off offset:288
	s_wait_loadcnt 0x0
	ds_store_b64 v141, v[3:4]
.LBB56_283:
	s_wait_alu 0xfffe
	s_or_b32 exec_lo, exec_lo, s0
	s_wait_storecnt_dscnt 0x0
	s_barrier_signal -1
	s_barrier_wait -1
	global_inv scope:SCOPE_SE
	s_clause 0xa
	scratch_load_b128 v[2:5], off, off offset:296
	scratch_load_b128 v[6:9], off, off offset:312
	;; [unrolled: 1-line block ×10, first 2 shown]
	scratch_load_b64 v[22:23], off, off offset:288
	ds_load_2addr_b64 v[162:165], v1 offset0:95 offset1:96
	ds_load_2addr_b64 v[166:169], v1 offset0:97 offset1:98
	;; [unrolled: 1-line block ×10, first 2 shown]
	s_mov_b32 s0, exec_lo
	s_wait_loadcnt_dscnt 0xa09
	v_dual_mul_f32 v1, v162, v3 :: v_dual_mul_f32 v24, v164, v5
	v_mul_f32_e32 v3, v163, v3
	v_mul_f32_e32 v5, v165, v5
	s_wait_loadcnt_dscnt 0x908
	v_dual_mul_f32 v139, v166, v7 :: v_dual_mul_f32 v140, v168, v9
	v_fmac_f32_e32 v24, v165, v4
	v_fma_f32 v3, v162, v2, -v3
	s_wait_loadcnt_dscnt 0x807
	v_dual_mul_f32 v202, v170, v11 :: v_dual_mul_f32 v203, v172, v13
	v_dual_fmac_f32 v1, v163, v2 :: v_dual_fmac_f32 v140, v169, v8
	v_mul_f32_e32 v2, v167, v7
	v_fma_f32 v4, v164, v4, -v5
	s_delay_alu instid0(VALU_DEP_4) | instskip(NEXT) | instid1(VALU_DEP_4)
	v_dual_add_f32 v3, 0, v3 :: v_dual_fmac_f32 v202, v171, v10
	v_add_f32_e32 v1, 0, v1
	s_delay_alu instid0(VALU_DEP_4) | instskip(SKIP_4) | instid1(VALU_DEP_3)
	v_fma_f32 v2, v166, v6, -v2
	s_wait_loadcnt_dscnt 0x706
	v_dual_mul_f32 v204, v174, v15 :: v_dual_mul_f32 v205, v176, v17
	v_add_f32_e32 v3, v3, v4
	v_dual_mul_f32 v5, v169, v9 :: v_dual_mul_f32 v4, v171, v11
	v_dual_add_f32 v1, v1, v24 :: v_dual_fmac_f32 v204, v175, v14
	s_delay_alu instid0(VALU_DEP_3) | instskip(NEXT) | instid1(VALU_DEP_3)
	v_add_f32_e32 v2, v3, v2
	v_fma_f32 v5, v168, v8, -v5
	v_fmac_f32_e32 v139, v167, v6
	v_fma_f32 v4, v170, v10, -v4
	s_wait_loadcnt_dscnt 0x605
	v_dual_mul_f32 v206, v178, v19 :: v_dual_mul_f32 v207, v180, v21
	s_delay_alu instid0(VALU_DEP_3) | instskip(NEXT) | instid1(VALU_DEP_2)
	v_dual_add_f32 v2, v2, v5 :: v_dual_add_f32 v1, v1, v139
	v_dual_mul_f32 v3, v173, v13 :: v_dual_fmac_f32 v206, v179, v18
	s_wait_loadcnt_dscnt 0x504
	v_dual_mul_f32 v208, v182, v143 :: v_dual_mul_f32 v209, v184, v145
	s_delay_alu instid0(VALU_DEP_3)
	v_add_f32_e32 v2, v2, v4
	v_mul_f32_e32 v4, v177, v17
	v_fma_f32 v3, v172, v12, -v3
	s_wait_loadcnt_dscnt 0x302
	v_dual_add_f32 v1, v1, v140 :: v_dual_mul_f32 v212, v190, v151
	v_mul_f32_e32 v213, v192, v153
	v_fma_f32 v4, v176, v16, -v4
	v_mul_f32_e32 v5, v175, v15
	s_delay_alu instid0(VALU_DEP_4) | instskip(SKIP_1) | instid1(VALU_DEP_3)
	v_dual_add_f32 v2, v2, v3 :: v_dual_add_f32 v1, v1, v202
	v_dual_mul_f32 v210, v186, v147 :: v_dual_mul_f32 v211, v188, v149
	v_fma_f32 v5, v174, v14, -v5
	v_dual_fmac_f32 v203, v173, v12 :: v_dual_fmac_f32 v208, v183, v142
	s_delay_alu instid0(VALU_DEP_3)
	v_fmac_f32_e32 v210, v187, v146
	s_wait_loadcnt_dscnt 0x201
	v_dual_mul_f32 v214, v194, v155 :: v_dual_mul_f32 v215, v196, v157
	v_dual_add_f32 v2, v2, v5 :: v_dual_fmac_f32 v209, v185, v144
	s_wait_loadcnt_dscnt 0x100
	v_dual_mul_f32 v216, v198, v159 :: v_dual_mul_f32 v217, v200, v161
	v_fmac_f32_e32 v211, v189, v148
	s_delay_alu instid0(VALU_DEP_3) | instskip(SKIP_1) | instid1(VALU_DEP_4)
	v_add_f32_e32 v2, v2, v4
	v_mul_f32_e32 v4, v183, v143
	v_dual_add_f32 v1, v1, v203 :: v_dual_fmac_f32 v216, v199, v158
	v_fmac_f32_e32 v213, v193, v152
	v_fmac_f32_e32 v215, v197, v156
	s_delay_alu instid0(VALU_DEP_4) | instskip(SKIP_3) | instid1(VALU_DEP_3)
	v_fma_f32 v4, v182, v142, -v4
	v_mul_f32_e32 v5, v181, v21
	v_dual_add_f32 v1, v1, v204 :: v_dual_fmac_f32 v212, v191, v150
	v_dual_fmac_f32 v217, v201, v160 :: v_dual_fmac_f32 v214, v195, v154
	v_fma_f32 v5, v180, v20, -v5
	v_mul_f32_e32 v3, v179, v19
	s_delay_alu instid0(VALU_DEP_1) | instskip(NEXT) | instid1(VALU_DEP_1)
	v_fma_f32 v3, v178, v18, -v3
	v_dual_fmac_f32 v205, v177, v16 :: v_dual_add_f32 v2, v2, v3
	v_mul_f32_e32 v3, v185, v145
	s_delay_alu instid0(VALU_DEP_2) | instskip(NEXT) | instid1(VALU_DEP_2)
	v_dual_add_f32 v2, v2, v5 :: v_dual_mul_f32 v5, v187, v147
	v_fma_f32 v3, v184, v144, -v3
	s_delay_alu instid0(VALU_DEP_2) | instskip(SKIP_1) | instid1(VALU_DEP_4)
	v_dual_add_f32 v2, v2, v4 :: v_dual_add_f32 v1, v1, v205
	v_mul_f32_e32 v4, v189, v149
	v_fma_f32 v5, v186, v146, -v5
	s_delay_alu instid0(VALU_DEP_3) | instskip(NEXT) | instid1(VALU_DEP_3)
	v_dual_add_f32 v2, v2, v3 :: v_dual_fmac_f32 v207, v181, v20
	v_fma_f32 v4, v188, v148, -v4
	s_delay_alu instid0(VALU_DEP_2) | instskip(SKIP_1) | instid1(VALU_DEP_2)
	v_add_f32_e32 v2, v2, v5
	v_mul_f32_e32 v5, v193, v153
	v_dual_add_f32 v1, v1, v206 :: v_dual_add_f32 v2, v2, v4
	s_delay_alu instid0(VALU_DEP_2) | instskip(SKIP_1) | instid1(VALU_DEP_3)
	v_fma_f32 v5, v192, v152, -v5
	v_mul_f32_e32 v3, v191, v151
	v_add_f32_e32 v1, v1, v207
	v_mul_f32_e32 v4, v195, v155
	s_delay_alu instid0(VALU_DEP_3) | instskip(NEXT) | instid1(VALU_DEP_3)
	v_fma_f32 v3, v190, v150, -v3
	v_add_f32_e32 v1, v1, v208
	s_delay_alu instid0(VALU_DEP_3) | instskip(NEXT) | instid1(VALU_DEP_3)
	v_fma_f32 v4, v194, v154, -v4
	v_dual_add_f32 v2, v2, v3 :: v_dual_mul_f32 v3, v197, v157
	s_delay_alu instid0(VALU_DEP_1) | instskip(NEXT) | instid1(VALU_DEP_4)
	v_add_f32_e32 v2, v2, v5
	v_add_f32_e32 v1, v1, v209
	v_mul_f32_e32 v5, v199, v159
	s_delay_alu instid0(VALU_DEP_4) | instskip(NEXT) | instid1(VALU_DEP_3)
	v_fma_f32 v3, v196, v156, -v3
	v_dual_add_f32 v2, v2, v4 :: v_dual_add_f32 v1, v1, v210
	v_mul_f32_e32 v4, v201, v161
	s_delay_alu instid0(VALU_DEP_4) | instskip(NEXT) | instid1(VALU_DEP_3)
	v_fma_f32 v5, v198, v158, -v5
	v_add_f32_e32 v2, v2, v3
	s_delay_alu instid0(VALU_DEP_4) | instskip(NEXT) | instid1(VALU_DEP_4)
	v_add_f32_e32 v1, v1, v211
	v_fma_f32 v3, v200, v160, -v4
	s_delay_alu instid0(VALU_DEP_2) | instskip(NEXT) | instid1(VALU_DEP_1)
	v_dual_add_f32 v2, v2, v5 :: v_dual_add_f32 v1, v1, v212
	v_dual_add_f32 v2, v2, v3 :: v_dual_add_f32 v1, v1, v213
	s_delay_alu instid0(VALU_DEP_1) | instskip(NEXT) | instid1(VALU_DEP_1)
	v_add_f32_e32 v1, v1, v214
	v_add_f32_e32 v1, v1, v215
	s_delay_alu instid0(VALU_DEP_1) | instskip(NEXT) | instid1(VALU_DEP_1)
	v_add_f32_e32 v1, v1, v216
	v_add_f32_e32 v3, v1, v217
	s_wait_loadcnt 0x0
	s_delay_alu instid0(VALU_DEP_1)
	v_dual_sub_f32 v1, v22, v2 :: v_dual_sub_f32 v2, v23, v3
	scratch_store_b64 off, v[1:2], off offset:288
	v_cmpx_lt_u32_e32 35, v0
	s_cbranch_execz .LBB56_285
; %bb.284:
	scratch_load_b64 v[1:2], off, off offset:280
	v_mov_b32_e32 v3, 0
	s_delay_alu instid0(VALU_DEP_1)
	v_mov_b32_e32 v4, v3
	scratch_store_b64 off, v[3:4], off offset:280
	s_wait_loadcnt 0x0
	ds_store_b64 v141, v[1:2]
.LBB56_285:
	s_wait_alu 0xfffe
	s_or_b32 exec_lo, exec_lo, s0
	s_wait_storecnt_dscnt 0x0
	s_barrier_signal -1
	s_barrier_wait -1
	global_inv scope:SCOPE_SE
	s_clause 0xb
	scratch_load_b128 v[2:5], off, off offset:288
	scratch_load_b128 v[6:9], off, off offset:304
	;; [unrolled: 1-line block ×10, first 2 shown]
	scratch_load_b64 v[22:23], off, off offset:448
	scratch_load_b64 v[139:140], off, off offset:280
	v_mov_b32_e32 v1, 0
	ds_load_b128 v[162:165], v1 offset:752
	ds_load_b128 v[166:169], v1 offset:768
	;; [unrolled: 1-line block ×10, first 2 shown]
	ds_load_b64 v[202:203], v1 offset:912
	s_mov_b32 s0, exec_lo
	s_wait_loadcnt_dscnt 0xb0a
	v_mul_f32_e32 v24, v162, v3
	s_wait_loadcnt_dscnt 0xa09
	v_dual_mul_f32 v204, v164, v5 :: v_dual_mul_f32 v205, v166, v7
	v_mul_f32_e32 v5, v165, v5
	v_dual_mul_f32 v3, v163, v3 :: v_dual_mul_f32 v206, v168, v9
	s_wait_loadcnt_dscnt 0x908
	v_dual_mul_f32 v207, v170, v11 :: v_dual_fmac_f32 v24, v163, v2
	s_wait_loadcnt_dscnt 0x302
	v_mul_f32_e32 v220, v196, v157
	v_fma_f32 v3, v162, v2, -v3
	s_wait_loadcnt_dscnt 0x100
	v_mul_f32_e32 v223, v202, v23
	v_mul_f32_e32 v2, v167, v7
	v_fmac_f32_e32 v204, v165, v4
	v_fma_f32 v4, v164, v4, -v5
	v_dual_add_f32 v3, 0, v3 :: v_dual_mul_f32 v208, v172, v13
	v_mul_f32_e32 v209, v174, v15
	v_fma_f32 v2, v166, v6, -v2
	v_fmac_f32_e32 v207, v171, v10
	s_delay_alu instid0(VALU_DEP_4) | instskip(SKIP_3) | instid1(VALU_DEP_4)
	v_add_f32_e32 v3, v3, v4
	v_add_f32_e32 v5, 0, v24
	v_fmac_f32_e32 v208, v173, v12
	v_dual_mul_f32 v210, v176, v17 :: v_dual_mul_f32 v211, v178, v19
	v_dual_add_f32 v2, v3, v2 :: v_dual_mul_f32 v7, v169, v9
	s_delay_alu instid0(VALU_DEP_4) | instskip(SKIP_1) | instid1(VALU_DEP_3)
	v_dual_fmac_f32 v205, v167, v6 :: v_dual_add_f32 v4, v5, v204
	v_dual_mul_f32 v5, v171, v11 :: v_dual_fmac_f32 v206, v169, v8
	v_fma_f32 v6, v168, v8, -v7
	v_dual_fmac_f32 v209, v175, v14 :: v_dual_fmac_f32 v210, v177, v16
	s_delay_alu instid0(VALU_DEP_4)
	v_add_f32_e32 v3, v4, v205
	v_mul_f32_e32 v4, v173, v13
	v_fma_f32 v5, v170, v10, -v5
	v_add_f32_e32 v2, v2, v6
	v_mul_f32_e32 v6, v175, v15
	v_add_f32_e32 v3, v3, v206
	v_fma_f32 v4, v172, v12, -v4
	v_dual_mul_f32 v212, v180, v21 :: v_dual_mul_f32 v213, v182, v143
	s_delay_alu instid0(VALU_DEP_3) | instskip(SKIP_3) | instid1(VALU_DEP_4)
	v_dual_add_f32 v2, v2, v5 :: v_dual_add_f32 v3, v3, v207
	v_mul_f32_e32 v5, v177, v17
	v_fma_f32 v6, v174, v14, -v6
	v_dual_mul_f32 v214, v184, v145 :: v_dual_mul_f32 v215, v186, v147
	v_add_f32_e32 v2, v2, v4
	v_add_f32_e32 v3, v3, v208
	v_mul_f32_e32 v4, v179, v19
	v_fma_f32 v5, v176, v16, -v5
	v_fmac_f32_e32 v211, v179, v18
	s_delay_alu instid0(VALU_DEP_4) | instskip(SKIP_3) | instid1(VALU_DEP_4)
	v_dual_add_f32 v2, v2, v6 :: v_dual_add_f32 v3, v3, v209
	v_fmac_f32_e32 v212, v181, v20
	v_mul_f32_e32 v6, v181, v21
	v_fma_f32 v4, v178, v18, -v4
	v_dual_add_f32 v2, v2, v5 :: v_dual_add_f32 v3, v3, v210
	v_mul_f32_e32 v5, v183, v143
	s_delay_alu instid0(VALU_DEP_4) | instskip(SKIP_1) | instid1(VALU_DEP_4)
	v_fma_f32 v6, v180, v20, -v6
	v_dual_fmac_f32 v213, v183, v142 :: v_dual_fmac_f32 v214, v185, v144
	v_dual_add_f32 v2, v2, v4 :: v_dual_add_f32 v3, v3, v211
	v_mul_f32_e32 v4, v185, v145
	v_fma_f32 v5, v182, v142, -v5
	v_dual_mul_f32 v216, v188, v149 :: v_dual_mul_f32 v217, v190, v151
	s_delay_alu instid0(VALU_DEP_4) | instskip(SKIP_2) | instid1(VALU_DEP_3)
	v_dual_add_f32 v2, v2, v6 :: v_dual_add_f32 v3, v3, v212
	v_mul_f32_e32 v6, v187, v147
	v_fma_f32 v4, v184, v144, -v4
	v_dual_fmac_f32 v215, v187, v146 :: v_dual_add_f32 v2, v2, v5
	s_delay_alu instid0(VALU_DEP_4) | instskip(SKIP_3) | instid1(VALU_DEP_4)
	v_add_f32_e32 v3, v3, v213
	v_mul_f32_e32 v5, v189, v149
	v_fma_f32 v6, v186, v146, -v6
	v_fmac_f32_e32 v216, v189, v148
	v_dual_add_f32 v2, v2, v4 :: v_dual_add_f32 v3, v3, v214
	v_mul_f32_e32 v4, v191, v151
	v_fma_f32 v5, v188, v148, -v5
	v_dual_mul_f32 v218, v192, v153 :: v_dual_mul_f32 v219, v194, v155
	s_delay_alu instid0(VALU_DEP_4) | instskip(SKIP_2) | instid1(VALU_DEP_3)
	v_dual_add_f32 v2, v2, v6 :: v_dual_add_f32 v3, v3, v215
	v_dual_mul_f32 v6, v193, v153 :: v_dual_fmac_f32 v217, v191, v150
	v_fma_f32 v4, v190, v150, -v4
	v_dual_add_f32 v2, v2, v5 :: v_dual_add_f32 v3, v3, v216
	v_dual_mul_f32 v5, v195, v155 :: v_dual_fmac_f32 v218, v193, v152
	s_delay_alu instid0(VALU_DEP_4) | instskip(NEXT) | instid1(VALU_DEP_3)
	v_fma_f32 v6, v192, v152, -v6
	v_dual_add_f32 v2, v2, v4 :: v_dual_add_f32 v3, v3, v217
	v_dual_mul_f32 v4, v197, v157 :: v_dual_fmac_f32 v219, v195, v154
	s_delay_alu instid0(VALU_DEP_4) | instskip(NEXT) | instid1(VALU_DEP_3)
	v_fma_f32 v5, v194, v154, -v5
	v_dual_fmac_f32 v220, v197, v156 :: v_dual_add_f32 v3, v3, v218
	s_delay_alu instid0(VALU_DEP_4) | instskip(SKIP_3) | instid1(VALU_DEP_4)
	v_add_f32_e32 v2, v2, v6
	v_dual_mul_f32 v221, v198, v159 :: v_dual_mul_f32 v222, v200, v161
	v_mul_f32_e32 v6, v199, v159
	v_fma_f32 v4, v196, v156, -v4
	v_dual_add_f32 v3, v3, v219 :: v_dual_add_f32 v2, v2, v5
	s_delay_alu instid0(VALU_DEP_4) | instskip(SKIP_2) | instid1(VALU_DEP_4)
	v_fmac_f32_e32 v221, v199, v158
	v_mul_f32_e32 v5, v201, v161
	v_fma_f32 v6, v198, v158, -v6
	v_add_f32_e32 v3, v3, v220
	v_add_f32_e32 v2, v2, v4
	v_mul_f32_e32 v4, v203, v23
	v_dual_fmac_f32 v222, v201, v160 :: v_dual_fmac_f32 v223, v203, v22
	v_fma_f32 v5, v200, v160, -v5
	s_delay_alu instid0(VALU_DEP_4) | instskip(NEXT) | instid1(VALU_DEP_4)
	v_dual_add_f32 v3, v3, v221 :: v_dual_add_f32 v2, v2, v6
	v_fma_f32 v4, v202, v22, -v4
	s_delay_alu instid0(VALU_DEP_2) | instskip(NEXT) | instid1(VALU_DEP_1)
	v_dual_add_f32 v3, v3, v222 :: v_dual_add_f32 v2, v2, v5
	v_dual_add_f32 v3, v3, v223 :: v_dual_add_f32 v2, v2, v4
	s_wait_loadcnt 0x0
	s_delay_alu instid0(VALU_DEP_1)
	v_dual_sub_f32 v3, v140, v3 :: v_dual_sub_f32 v2, v139, v2
	scratch_store_b64 off, v[2:3], off offset:280
	v_cmpx_lt_u32_e32 34, v0
	s_cbranch_execz .LBB56_287
; %bb.286:
	scratch_load_b64 v[3:4], off, off offset:272
	v_mov_b32_e32 v2, v1
	scratch_store_b64 off, v[1:2], off offset:272
	s_wait_loadcnt 0x0
	ds_store_b64 v141, v[3:4]
.LBB56_287:
	s_wait_alu 0xfffe
	s_or_b32 exec_lo, exec_lo, s0
	s_wait_storecnt_dscnt 0x0
	s_barrier_signal -1
	s_barrier_wait -1
	global_inv scope:SCOPE_SE
	s_clause 0xb
	scratch_load_b128 v[2:5], off, off offset:280
	scratch_load_b128 v[6:9], off, off offset:296
	;; [unrolled: 1-line block ×11, first 2 shown]
	scratch_load_b64 v[22:23], off, off offset:272
	ds_load_2addr_b64 v[166:169], v1 offset0:93 offset1:94
	ds_load_2addr_b64 v[170:173], v1 offset0:95 offset1:96
	;; [unrolled: 1-line block ×11, first 2 shown]
	s_mov_b32 s0, exec_lo
	s_wait_loadcnt_dscnt 0xb0a
	v_dual_mul_f32 v1, v166, v3 :: v_dual_mul_f32 v24, v168, v5
	v_mul_f32_e32 v3, v167, v3
	v_mul_f32_e32 v5, v169, v5
	s_wait_loadcnt_dscnt 0xa09
	v_dual_mul_f32 v139, v170, v7 :: v_dual_mul_f32 v140, v172, v9
	v_fmac_f32_e32 v24, v169, v4
	v_fma_f32 v3, v166, v2, -v3
	s_wait_loadcnt_dscnt 0x908
	v_dual_mul_f32 v210, v174, v11 :: v_dual_mul_f32 v211, v176, v13
	v_dual_fmac_f32 v1, v167, v2 :: v_dual_fmac_f32 v140, v173, v8
	v_mul_f32_e32 v2, v171, v7
	v_fma_f32 v4, v168, v4, -v5
	s_delay_alu instid0(VALU_DEP_4) | instskip(NEXT) | instid1(VALU_DEP_4)
	v_dual_add_f32 v3, 0, v3 :: v_dual_fmac_f32 v210, v175, v10
	v_add_f32_e32 v1, 0, v1
	s_delay_alu instid0(VALU_DEP_4) | instskip(SKIP_4) | instid1(VALU_DEP_3)
	v_fma_f32 v2, v170, v6, -v2
	s_wait_loadcnt_dscnt 0x807
	v_dual_mul_f32 v212, v178, v15 :: v_dual_mul_f32 v213, v180, v17
	v_add_f32_e32 v3, v3, v4
	v_dual_mul_f32 v5, v173, v9 :: v_dual_mul_f32 v4, v175, v11
	v_dual_add_f32 v1, v1, v24 :: v_dual_fmac_f32 v212, v179, v14
	s_delay_alu instid0(VALU_DEP_3) | instskip(NEXT) | instid1(VALU_DEP_3)
	v_add_f32_e32 v2, v3, v2
	v_fma_f32 v5, v172, v8, -v5
	v_fmac_f32_e32 v139, v171, v6
	v_fma_f32 v4, v174, v10, -v4
	s_wait_loadcnt_dscnt 0x706
	v_dual_mul_f32 v214, v182, v19 :: v_dual_mul_f32 v215, v184, v21
	s_delay_alu instid0(VALU_DEP_3) | instskip(NEXT) | instid1(VALU_DEP_2)
	v_dual_add_f32 v2, v2, v5 :: v_dual_add_f32 v1, v1, v139
	v_dual_mul_f32 v3, v177, v13 :: v_dual_fmac_f32 v214, v183, v18
	s_wait_loadcnt_dscnt 0x605
	v_dual_mul_f32 v216, v186, v143 :: v_dual_mul_f32 v217, v188, v145
	s_delay_alu instid0(VALU_DEP_3)
	v_add_f32_e32 v2, v2, v4
	v_mul_f32_e32 v4, v181, v17
	v_fma_f32 v3, v176, v12, -v3
	s_wait_loadcnt_dscnt 0x403
	v_dual_add_f32 v1, v1, v140 :: v_dual_mul_f32 v220, v194, v151
	v_mul_f32_e32 v221, v196, v153
	v_fma_f32 v4, v180, v16, -v4
	v_mul_f32_e32 v5, v179, v15
	s_delay_alu instid0(VALU_DEP_4) | instskip(SKIP_1) | instid1(VALU_DEP_3)
	v_dual_add_f32 v2, v2, v3 :: v_dual_add_f32 v1, v1, v210
	v_dual_mul_f32 v218, v190, v147 :: v_dual_mul_f32 v219, v192, v149
	v_fma_f32 v5, v178, v14, -v5
	v_dual_fmac_f32 v211, v177, v12 :: v_dual_fmac_f32 v216, v187, v142
	s_delay_alu instid0(VALU_DEP_3)
	v_fmac_f32_e32 v218, v191, v146
	s_wait_loadcnt_dscnt 0x100
	v_dual_mul_f32 v226, v206, v163 :: v_dual_mul_f32 v227, v208, v165
	v_add_f32_e32 v2, v2, v5
	v_dual_mul_f32 v222, v198, v155 :: v_dual_mul_f32 v223, v200, v157
	v_dual_fmac_f32 v217, v189, v144 :: v_dual_mul_f32 v224, v202, v159
	s_delay_alu instid0(VALU_DEP_3) | instskip(SKIP_2) | instid1(VALU_DEP_4)
	v_dual_mul_f32 v225, v204, v161 :: v_dual_add_f32 v2, v2, v4
	v_mul_f32_e32 v4, v187, v143
	v_add_f32_e32 v1, v1, v211
	v_dual_fmac_f32 v219, v193, v148 :: v_dual_fmac_f32 v224, v203, v158
	v_fmac_f32_e32 v220, v195, v150
	s_delay_alu instid0(VALU_DEP_4)
	v_fma_f32 v4, v186, v142, -v4
	v_mul_f32_e32 v5, v185, v21
	v_add_f32_e32 v1, v1, v212
	v_fmac_f32_e32 v223, v201, v156
	v_fmac_f32_e32 v225, v205, v160
	v_fmac_f32_e32 v227, v209, v164
	v_fma_f32 v5, v184, v20, -v5
	v_mul_f32_e32 v3, v183, v19
	v_fmac_f32_e32 v226, v207, v162
	v_fmac_f32_e32 v222, v199, v154
	s_delay_alu instid0(VALU_DEP_3) | instskip(NEXT) | instid1(VALU_DEP_1)
	v_fma_f32 v3, v182, v18, -v3
	v_dual_fmac_f32 v213, v181, v16 :: v_dual_add_f32 v2, v2, v3
	v_mul_f32_e32 v3, v189, v145
	s_delay_alu instid0(VALU_DEP_2) | instskip(NEXT) | instid1(VALU_DEP_2)
	v_dual_add_f32 v2, v2, v5 :: v_dual_mul_f32 v5, v191, v147
	v_fma_f32 v3, v188, v144, -v3
	s_delay_alu instid0(VALU_DEP_2) | instskip(SKIP_1) | instid1(VALU_DEP_4)
	v_dual_add_f32 v2, v2, v4 :: v_dual_add_f32 v1, v1, v213
	v_mul_f32_e32 v4, v193, v149
	v_fma_f32 v5, v190, v146, -v5
	s_delay_alu instid0(VALU_DEP_3) | instskip(NEXT) | instid1(VALU_DEP_3)
	v_dual_add_f32 v2, v2, v3 :: v_dual_fmac_f32 v215, v185, v20
	v_fma_f32 v4, v192, v148, -v4
	s_delay_alu instid0(VALU_DEP_2) | instskip(SKIP_1) | instid1(VALU_DEP_2)
	v_add_f32_e32 v2, v2, v5
	v_mul_f32_e32 v5, v197, v153
	v_dual_add_f32 v1, v1, v214 :: v_dual_add_f32 v2, v2, v4
	s_delay_alu instid0(VALU_DEP_2) | instskip(SKIP_1) | instid1(VALU_DEP_3)
	v_fma_f32 v5, v196, v152, -v5
	v_mul_f32_e32 v3, v195, v151
	v_add_f32_e32 v1, v1, v215
	v_mul_f32_e32 v4, v199, v155
	s_delay_alu instid0(VALU_DEP_3) | instskip(NEXT) | instid1(VALU_DEP_3)
	v_fma_f32 v3, v194, v150, -v3
	v_add_f32_e32 v1, v1, v216
	s_delay_alu instid0(VALU_DEP_3) | instskip(NEXT) | instid1(VALU_DEP_3)
	v_fma_f32 v4, v198, v154, -v4
	v_add_f32_e32 v2, v2, v3
	s_delay_alu instid0(VALU_DEP_1) | instskip(NEXT) | instid1(VALU_DEP_4)
	v_add_f32_e32 v2, v2, v5
	v_add_f32_e32 v1, v1, v217
	s_delay_alu instid0(VALU_DEP_2) | instskip(SKIP_1) | instid1(VALU_DEP_2)
	v_dual_mul_f32 v5, v203, v159 :: v_dual_add_f32 v2, v2, v4
	v_mul_f32_e32 v4, v205, v161
	v_fma_f32 v5, v202, v158, -v5
	s_delay_alu instid0(VALU_DEP_2) | instskip(SKIP_1) | instid1(VALU_DEP_1)
	v_fma_f32 v4, v204, v160, -v4
	v_mul_f32_e32 v3, v201, v157
	v_fma_f32 v3, v200, v156, -v3
	s_delay_alu instid0(VALU_DEP_1) | instskip(NEXT) | instid1(VALU_DEP_1)
	v_dual_add_f32 v1, v1, v218 :: v_dual_add_f32 v2, v2, v3
	v_add_f32_e32 v1, v1, v219
	s_delay_alu instid0(VALU_DEP_2) | instskip(NEXT) | instid1(VALU_DEP_2)
	v_dual_mul_f32 v3, v207, v163 :: v_dual_add_f32 v2, v2, v5
	v_add_f32_e32 v1, v1, v220
	v_mul_f32_e32 v5, v209, v165
	s_delay_alu instid0(VALU_DEP_3) | instskip(NEXT) | instid1(VALU_DEP_4)
	v_fma_f32 v3, v206, v162, -v3
	v_add_f32_e32 v2, v2, v4
	v_fmac_f32_e32 v221, v197, v152
	s_delay_alu instid0(VALU_DEP_4) | instskip(NEXT) | instid1(VALU_DEP_2)
	v_fma_f32 v4, v208, v164, -v5
	v_dual_add_f32 v2, v2, v3 :: v_dual_add_f32 v1, v1, v221
	s_delay_alu instid0(VALU_DEP_1) | instskip(NEXT) | instid1(VALU_DEP_1)
	v_dual_add_f32 v2, v2, v4 :: v_dual_add_f32 v1, v1, v222
	v_add_f32_e32 v1, v1, v223
	s_delay_alu instid0(VALU_DEP_1) | instskip(NEXT) | instid1(VALU_DEP_1)
	v_add_f32_e32 v1, v1, v224
	v_add_f32_e32 v1, v1, v225
	s_delay_alu instid0(VALU_DEP_1) | instskip(NEXT) | instid1(VALU_DEP_1)
	v_add_f32_e32 v1, v1, v226
	v_add_f32_e32 v3, v1, v227
	s_wait_loadcnt 0x0
	s_delay_alu instid0(VALU_DEP_1)
	v_dual_sub_f32 v1, v22, v2 :: v_dual_sub_f32 v2, v23, v3
	scratch_store_b64 off, v[1:2], off offset:272
	v_cmpx_lt_u32_e32 33, v0
	s_cbranch_execz .LBB56_289
; %bb.288:
	scratch_load_b64 v[1:2], off, off offset:264
	v_mov_b32_e32 v3, 0
	s_delay_alu instid0(VALU_DEP_1)
	v_mov_b32_e32 v4, v3
	scratch_store_b64 off, v[3:4], off offset:264
	s_wait_loadcnt 0x0
	ds_store_b64 v141, v[1:2]
.LBB56_289:
	s_wait_alu 0xfffe
	s_or_b32 exec_lo, exec_lo, s0
	s_wait_storecnt_dscnt 0x0
	s_barrier_signal -1
	s_barrier_wait -1
	global_inv scope:SCOPE_SE
	s_clause 0xc
	scratch_load_b128 v[2:5], off, off offset:272
	scratch_load_b128 v[6:9], off, off offset:288
	;; [unrolled: 1-line block ×11, first 2 shown]
	scratch_load_b64 v[22:23], off, off offset:448
	scratch_load_b64 v[139:140], off, off offset:264
	v_mov_b32_e32 v1, 0
	ds_load_b128 v[166:169], v1 offset:736
	ds_load_b128 v[170:173], v1 offset:752
	;; [unrolled: 1-line block ×11, first 2 shown]
	ds_load_b64 v[210:211], v1 offset:912
	s_mov_b32 s0, exec_lo
	s_wait_loadcnt_dscnt 0xc0b
	v_mul_f32_e32 v24, v166, v3
	s_wait_loadcnt_dscnt 0xb0a
	v_dual_mul_f32 v212, v168, v5 :: v_dual_mul_f32 v213, v170, v7
	v_mul_f32_e32 v5, v169, v5
	s_wait_loadcnt_dscnt 0xa09
	v_dual_mul_f32 v214, v172, v9 :: v_dual_mul_f32 v215, v174, v11
	v_mul_f32_e32 v3, v167, v3
	v_fmac_f32_e32 v24, v167, v2
	s_wait_loadcnt_dscnt 0x908
	v_dual_mul_f32 v216, v176, v13 :: v_dual_mul_f32 v217, v178, v15
	s_wait_loadcnt_dscnt 0x302
	v_mul_f32_e32 v230, v204, v161
	v_fma_f32 v3, v166, v2, -v3
	s_wait_loadcnt_dscnt 0x100
	v_mul_f32_e32 v233, v210, v23
	v_mul_f32_e32 v2, v171, v7
	v_fmac_f32_e32 v212, v169, v4
	v_fma_f32 v4, v168, v4, -v5
	v_add_f32_e32 v3, 0, v3
	v_dual_fmac_f32 v215, v175, v10 :: v_dual_fmac_f32 v216, v177, v12
	v_fma_f32 v2, v170, v6, -v2
	v_dual_mul_f32 v218, v180, v17 :: v_dual_mul_f32 v219, v182, v19
	s_delay_alu instid0(VALU_DEP_4) | instskip(SKIP_1) | instid1(VALU_DEP_3)
	v_add_f32_e32 v3, v3, v4
	v_add_f32_e32 v5, 0, v24
	v_dual_fmac_f32 v217, v179, v14 :: v_dual_fmac_f32 v218, v181, v16
	v_fmac_f32_e32 v214, v173, v8
	s_delay_alu instid0(VALU_DEP_4) | instskip(NEXT) | instid1(VALU_DEP_4)
	v_dual_add_f32 v2, v3, v2 :: v_dual_mul_f32 v7, v173, v9
	v_dual_fmac_f32 v213, v171, v6 :: v_dual_add_f32 v4, v5, v212
	v_dual_mul_f32 v5, v175, v11 :: v_dual_mul_f32 v220, v184, v21
	v_mul_f32_e32 v221, v186, v143
	s_delay_alu instid0(VALU_DEP_4) | instskip(NEXT) | instid1(VALU_DEP_4)
	v_fma_f32 v6, v172, v8, -v7
	v_add_f32_e32 v3, v4, v213
	v_mul_f32_e32 v4, v177, v13
	v_fma_f32 v5, v174, v10, -v5
	v_dual_mul_f32 v222, v188, v145 :: v_dual_mul_f32 v223, v190, v147
	v_add_f32_e32 v2, v2, v6
	v_mul_f32_e32 v6, v179, v15
	v_add_f32_e32 v3, v3, v214
	v_fma_f32 v4, v176, v12, -v4
	v_dual_fmac_f32 v221, v187, v142 :: v_dual_fmac_f32 v222, v189, v144
	s_delay_alu instid0(VALU_DEP_3) | instskip(SKIP_2) | instid1(VALU_DEP_3)
	v_dual_add_f32 v2, v2, v5 :: v_dual_add_f32 v3, v3, v215
	v_mul_f32_e32 v5, v181, v17
	v_fma_f32 v6, v178, v14, -v6
	v_dual_fmac_f32 v219, v183, v18 :: v_dual_add_f32 v2, v2, v4
	s_delay_alu instid0(VALU_DEP_4) | instskip(SKIP_3) | instid1(VALU_DEP_4)
	v_add_f32_e32 v3, v3, v216
	v_mul_f32_e32 v4, v183, v19
	v_fma_f32 v5, v180, v16, -v5
	v_fmac_f32_e32 v220, v185, v20
	v_dual_add_f32 v2, v2, v6 :: v_dual_add_f32 v3, v3, v217
	v_mul_f32_e32 v6, v185, v21
	v_fma_f32 v4, v182, v18, -v4
	v_dual_mul_f32 v224, v192, v149 :: v_dual_mul_f32 v225, v194, v151
	s_delay_alu instid0(VALU_DEP_4) | instskip(SKIP_3) | instid1(VALU_DEP_4)
	v_dual_add_f32 v2, v2, v5 :: v_dual_add_f32 v3, v3, v218
	v_mul_f32_e32 v5, v187, v143
	v_fma_f32 v6, v184, v20, -v6
	v_dual_mul_f32 v226, v196, v153 :: v_dual_mul_f32 v227, v198, v155
	v_dual_add_f32 v2, v2, v4 :: v_dual_add_f32 v3, v3, v219
	v_mul_f32_e32 v4, v189, v145
	v_fma_f32 v5, v186, v142, -v5
	v_fmac_f32_e32 v223, v191, v146
	s_delay_alu instid0(VALU_DEP_4) | instskip(SKIP_3) | instid1(VALU_DEP_4)
	v_dual_add_f32 v2, v2, v6 :: v_dual_add_f32 v3, v3, v220
	v_mul_f32_e32 v6, v191, v147
	v_fma_f32 v4, v188, v144, -v4
	v_fmac_f32_e32 v224, v193, v148
	v_add_f32_e32 v2, v2, v5
	v_add_f32_e32 v3, v3, v221
	v_mul_f32_e32 v5, v193, v149
	v_fma_f32 v6, v190, v146, -v6
	s_delay_alu instid0(VALU_DEP_4) | instskip(NEXT) | instid1(VALU_DEP_4)
	v_dual_fmac_f32 v225, v195, v150 :: v_dual_add_f32 v2, v2, v4
	v_add_f32_e32 v3, v3, v222
	v_mul_f32_e32 v4, v195, v151
	v_fma_f32 v5, v192, v148, -v5
	v_dual_mul_f32 v228, v200, v157 :: v_dual_mul_f32 v229, v202, v159
	s_delay_alu instid0(VALU_DEP_4) | instskip(SKIP_3) | instid1(VALU_DEP_4)
	v_dual_add_f32 v2, v2, v6 :: v_dual_add_f32 v3, v3, v223
	v_mul_f32_e32 v6, v197, v153
	v_fma_f32 v4, v194, v150, -v4
	v_fmac_f32_e32 v226, v197, v152
	v_dual_add_f32 v2, v2, v5 :: v_dual_add_f32 v3, v3, v224
	v_mul_f32_e32 v5, v199, v155
	v_fma_f32 v6, v196, v152, -v6
	s_delay_alu instid0(VALU_DEP_3) | instskip(NEXT) | instid1(VALU_DEP_4)
	v_dual_fmac_f32 v227, v199, v154 :: v_dual_add_f32 v2, v2, v4
	v_add_f32_e32 v3, v3, v225
	v_mul_f32_e32 v4, v201, v157
	v_fma_f32 v5, v198, v154, -v5
	v_dual_fmac_f32 v228, v201, v156 :: v_dual_fmac_f32 v229, v203, v158
	s_delay_alu instid0(VALU_DEP_4) | instskip(SKIP_4) | instid1(VALU_DEP_4)
	v_add_f32_e32 v3, v3, v226
	v_add_f32_e32 v2, v2, v6
	v_mul_f32_e32 v6, v203, v159
	v_fma_f32 v4, v200, v156, -v4
	v_dual_mul_f32 v231, v206, v163 :: v_dual_mul_f32 v232, v208, v165
	v_dual_add_f32 v3, v3, v227 :: v_dual_add_f32 v2, v2, v5
	v_mul_f32_e32 v5, v205, v161
	v_fma_f32 v6, v202, v158, -v6
	s_delay_alu instid0(VALU_DEP_4) | instskip(NEXT) | instid1(VALU_DEP_4)
	v_dual_fmac_f32 v230, v205, v160 :: v_dual_fmac_f32 v231, v207, v162
	v_add_f32_e32 v3, v3, v228
	v_add_f32_e32 v2, v2, v4
	v_mul_f32_e32 v4, v207, v163
	v_fma_f32 v5, v204, v160, -v5
	v_fmac_f32_e32 v233, v211, v22
	s_delay_alu instid0(VALU_DEP_4) | instskip(SKIP_2) | instid1(VALU_DEP_3)
	v_dual_add_f32 v3, v3, v229 :: v_dual_add_f32 v2, v2, v6
	v_mul_f32_e32 v6, v209, v165
	v_fma_f32 v4, v206, v162, -v4
	v_dual_add_f32 v3, v3, v230 :: v_dual_add_f32 v2, v2, v5
	v_dual_mul_f32 v5, v211, v23 :: v_dual_fmac_f32 v232, v209, v164
	s_delay_alu instid0(VALU_DEP_4) | instskip(NEXT) | instid1(VALU_DEP_3)
	v_fma_f32 v6, v208, v164, -v6
	v_dual_add_f32 v3, v3, v231 :: v_dual_add_f32 v2, v2, v4
	s_delay_alu instid0(VALU_DEP_3) | instskip(NEXT) | instid1(VALU_DEP_2)
	v_fma_f32 v4, v210, v22, -v5
	v_dual_add_f32 v3, v3, v232 :: v_dual_add_f32 v2, v2, v6
	s_delay_alu instid0(VALU_DEP_1) | instskip(SKIP_1) | instid1(VALU_DEP_1)
	v_dual_add_f32 v3, v3, v233 :: v_dual_add_f32 v2, v2, v4
	s_wait_loadcnt 0x0
	v_dual_sub_f32 v3, v140, v3 :: v_dual_sub_f32 v2, v139, v2
	scratch_store_b64 off, v[2:3], off offset:264
	v_cmpx_lt_u32_e32 32, v0
	s_cbranch_execz .LBB56_291
; %bb.290:
	scratch_load_b64 v[3:4], off, off offset:256
	v_mov_b32_e32 v2, v1
	scratch_store_b64 off, v[1:2], off offset:256
	s_wait_loadcnt 0x0
	ds_store_b64 v141, v[3:4]
.LBB56_291:
	s_wait_alu 0xfffe
	s_or_b32 exec_lo, exec_lo, s0
	s_wait_storecnt_dscnt 0x0
	s_barrier_signal -1
	s_barrier_wait -1
	global_inv scope:SCOPE_SE
	s_clause 0xc
	scratch_load_b128 v[2:5], off, off offset:264
	scratch_load_b128 v[6:9], off, off offset:280
	;; [unrolled: 1-line block ×12, first 2 shown]
	scratch_load_b64 v[22:23], off, off offset:256
	ds_load_2addr_b64 v[170:173], v1 offset0:91 offset1:92
	ds_load_2addr_b64 v[174:177], v1 offset0:93 offset1:94
	;; [unrolled: 1-line block ×12, first 2 shown]
	s_mov_b32 s0, exec_lo
	s_wait_loadcnt_dscnt 0xc0b
	v_dual_mul_f32 v1, v170, v3 :: v_dual_mul_f32 v24, v172, v5
	v_mul_f32_e32 v3, v171, v3
	v_mul_f32_e32 v5, v173, v5
	s_wait_loadcnt_dscnt 0xb0a
	v_dual_mul_f32 v139, v174, v7 :: v_dual_mul_f32 v140, v176, v9
	v_fmac_f32_e32 v24, v173, v4
	v_fma_f32 v3, v170, v2, -v3
	s_wait_loadcnt_dscnt 0xa09
	v_dual_mul_f32 v218, v178, v11 :: v_dual_mul_f32 v219, v180, v13
	v_dual_fmac_f32 v1, v171, v2 :: v_dual_fmac_f32 v140, v177, v8
	v_mul_f32_e32 v2, v175, v7
	v_fma_f32 v4, v172, v4, -v5
	s_delay_alu instid0(VALU_DEP_4) | instskip(NEXT) | instid1(VALU_DEP_4)
	v_dual_add_f32 v3, 0, v3 :: v_dual_fmac_f32 v218, v179, v10
	v_add_f32_e32 v1, 0, v1
	s_delay_alu instid0(VALU_DEP_4) | instskip(SKIP_4) | instid1(VALU_DEP_3)
	v_fma_f32 v2, v174, v6, -v2
	s_wait_loadcnt_dscnt 0x908
	v_dual_mul_f32 v220, v182, v15 :: v_dual_mul_f32 v221, v184, v17
	v_add_f32_e32 v3, v3, v4
	v_dual_mul_f32 v5, v177, v9 :: v_dual_mul_f32 v4, v179, v11
	v_dual_add_f32 v1, v1, v24 :: v_dual_fmac_f32 v220, v183, v14
	s_delay_alu instid0(VALU_DEP_3) | instskip(NEXT) | instid1(VALU_DEP_3)
	v_add_f32_e32 v2, v3, v2
	v_fma_f32 v5, v176, v8, -v5
	v_fmac_f32_e32 v139, v175, v6
	v_fma_f32 v4, v178, v10, -v4
	s_wait_loadcnt_dscnt 0x807
	v_dual_mul_f32 v222, v186, v19 :: v_dual_mul_f32 v223, v188, v21
	s_delay_alu instid0(VALU_DEP_3) | instskip(NEXT) | instid1(VALU_DEP_2)
	v_dual_add_f32 v2, v2, v5 :: v_dual_add_f32 v1, v1, v139
	v_dual_mul_f32 v3, v181, v13 :: v_dual_fmac_f32 v222, v187, v18
	s_wait_loadcnt_dscnt 0x706
	v_dual_mul_f32 v224, v190, v143 :: v_dual_mul_f32 v225, v192, v145
	s_delay_alu instid0(VALU_DEP_3)
	v_add_f32_e32 v2, v2, v4
	v_mul_f32_e32 v4, v185, v17
	v_fma_f32 v3, v180, v12, -v3
	s_wait_loadcnt_dscnt 0x504
	v_dual_add_f32 v1, v1, v140 :: v_dual_mul_f32 v228, v198, v151
	v_mul_f32_e32 v229, v200, v153
	v_fma_f32 v4, v184, v16, -v4
	v_mul_f32_e32 v5, v183, v15
	s_delay_alu instid0(VALU_DEP_4) | instskip(SKIP_1) | instid1(VALU_DEP_3)
	v_dual_add_f32 v2, v2, v3 :: v_dual_add_f32 v1, v1, v218
	v_dual_mul_f32 v226, v194, v147 :: v_dual_mul_f32 v227, v196, v149
	v_fma_f32 v5, v182, v14, -v5
	v_dual_fmac_f32 v219, v181, v12 :: v_dual_fmac_f32 v224, v191, v142
	s_delay_alu instid0(VALU_DEP_3)
	v_fmac_f32_e32 v226, v195, v146
	s_wait_loadcnt_dscnt 0x201
	v_dual_mul_f32 v234, v210, v163 :: v_dual_mul_f32 v235, v212, v165
	v_add_f32_e32 v2, v2, v5
	v_dual_mul_f32 v230, v202, v155 :: v_dual_mul_f32 v231, v204, v157
	v_dual_fmac_f32 v225, v193, v144 :: v_dual_mul_f32 v232, v206, v159
	s_delay_alu instid0(VALU_DEP_3) | instskip(SKIP_2) | instid1(VALU_DEP_4)
	v_dual_mul_f32 v233, v208, v161 :: v_dual_add_f32 v2, v2, v4
	v_mul_f32_e32 v4, v191, v143
	v_add_f32_e32 v1, v1, v219
	v_dual_fmac_f32 v227, v197, v148 :: v_dual_fmac_f32 v232, v207, v158
	v_fmac_f32_e32 v228, v199, v150
	s_delay_alu instid0(VALU_DEP_4)
	v_fma_f32 v4, v190, v142, -v4
	v_mul_f32_e32 v5, v189, v21
	v_add_f32_e32 v1, v1, v220
	s_wait_loadcnt_dscnt 0x100
	v_dual_fmac_f32 v229, v201, v152 :: v_dual_mul_f32 v236, v214, v167
	v_mul_f32_e32 v237, v216, v169
	v_fma_f32 v5, v188, v20, -v5
	v_mul_f32_e32 v3, v187, v19
	v_dual_fmac_f32 v235, v213, v164 :: v_dual_fmac_f32 v234, v211, v162
	s_delay_alu instid0(VALU_DEP_4) | instskip(NEXT) | instid1(VALU_DEP_3)
	v_dual_fmac_f32 v237, v217, v168 :: v_dual_fmac_f32 v230, v203, v154
	v_fma_f32 v3, v186, v18, -v3
	v_dual_fmac_f32 v221, v185, v16 :: v_dual_fmac_f32 v236, v215, v166
	s_delay_alu instid0(VALU_DEP_2) | instskip(NEXT) | instid1(VALU_DEP_1)
	v_dual_add_f32 v2, v2, v3 :: v_dual_mul_f32 v3, v193, v145
	v_dual_add_f32 v2, v2, v5 :: v_dual_mul_f32 v5, v195, v147
	s_delay_alu instid0(VALU_DEP_2) | instskip(NEXT) | instid1(VALU_DEP_2)
	v_fma_f32 v3, v192, v144, -v3
	v_dual_add_f32 v2, v2, v4 :: v_dual_add_f32 v1, v1, v221
	v_mul_f32_e32 v4, v197, v149
	s_delay_alu instid0(VALU_DEP_4) | instskip(NEXT) | instid1(VALU_DEP_3)
	v_fma_f32 v5, v194, v146, -v5
	v_dual_add_f32 v2, v2, v3 :: v_dual_fmac_f32 v223, v189, v20
	s_delay_alu instid0(VALU_DEP_3) | instskip(NEXT) | instid1(VALU_DEP_2)
	v_fma_f32 v4, v196, v148, -v4
	v_add_f32_e32 v2, v2, v5
	v_mul_f32_e32 v5, v201, v153
	s_delay_alu instid0(VALU_DEP_2) | instskip(NEXT) | instid1(VALU_DEP_2)
	v_dual_add_f32 v1, v1, v222 :: v_dual_add_f32 v2, v2, v4
	v_fma_f32 v5, v200, v152, -v5
	v_mul_f32_e32 v3, v199, v151
	s_delay_alu instid0(VALU_DEP_3) | instskip(SKIP_1) | instid1(VALU_DEP_3)
	v_add_f32_e32 v1, v1, v223
	v_mul_f32_e32 v4, v203, v155
	v_fma_f32 v3, v198, v150, -v3
	s_delay_alu instid0(VALU_DEP_3) | instskip(NEXT) | instid1(VALU_DEP_3)
	v_add_f32_e32 v1, v1, v224
	v_fma_f32 v4, v202, v154, -v4
	s_delay_alu instid0(VALU_DEP_3) | instskip(NEXT) | instid1(VALU_DEP_1)
	v_add_f32_e32 v2, v2, v3
	v_add_f32_e32 v2, v2, v5
	s_delay_alu instid0(VALU_DEP_4) | instskip(NEXT) | instid1(VALU_DEP_2)
	v_add_f32_e32 v1, v1, v225
	v_dual_mul_f32 v5, v207, v159 :: v_dual_add_f32 v2, v2, v4
	v_mul_f32_e32 v4, v209, v161
	s_delay_alu instid0(VALU_DEP_2) | instskip(NEXT) | instid1(VALU_DEP_2)
	v_fma_f32 v5, v206, v158, -v5
	v_fma_f32 v4, v208, v160, -v4
	v_mul_f32_e32 v3, v205, v157
	s_delay_alu instid0(VALU_DEP_1) | instskip(NEXT) | instid1(VALU_DEP_1)
	v_fma_f32 v3, v204, v156, -v3
	v_dual_add_f32 v1, v1, v226 :: v_dual_add_f32 v2, v2, v3
	s_delay_alu instid0(VALU_DEP_1) | instskip(NEXT) | instid1(VALU_DEP_2)
	v_add_f32_e32 v1, v1, v227
	v_dual_mul_f32 v3, v211, v163 :: v_dual_add_f32 v2, v2, v5
	v_mul_f32_e32 v5, v213, v165
	s_delay_alu instid0(VALU_DEP_2) | instskip(NEXT) | instid1(VALU_DEP_3)
	v_fma_f32 v3, v210, v162, -v3
	v_add_f32_e32 v2, v2, v4
	v_dual_add_f32 v1, v1, v228 :: v_dual_mul_f32 v4, v215, v167
	s_delay_alu instid0(VALU_DEP_4) | instskip(NEXT) | instid1(VALU_DEP_2)
	v_fma_f32 v5, v212, v164, -v5
	v_dual_add_f32 v2, v2, v3 :: v_dual_add_f32 v1, v1, v229
	v_fmac_f32_e32 v231, v205, v156
	s_delay_alu instid0(VALU_DEP_4) | instskip(SKIP_1) | instid1(VALU_DEP_4)
	v_fma_f32 v4, v214, v166, -v4
	v_mul_f32_e32 v3, v217, v169
	v_dual_add_f32 v2, v2, v5 :: v_dual_add_f32 v1, v1, v230
	s_delay_alu instid0(VALU_DEP_2) | instskip(NEXT) | instid1(VALU_DEP_2)
	v_fma_f32 v3, v216, v168, -v3
	v_dual_add_f32 v2, v2, v4 :: v_dual_add_f32 v1, v1, v231
	s_delay_alu instid0(VALU_DEP_1) | instskip(NEXT) | instid1(VALU_DEP_2)
	v_dual_fmac_f32 v233, v209, v160 :: v_dual_add_f32 v2, v2, v3
	v_add_f32_e32 v1, v1, v232
	s_delay_alu instid0(VALU_DEP_1) | instskip(NEXT) | instid1(VALU_DEP_1)
	v_add_f32_e32 v1, v1, v233
	v_add_f32_e32 v1, v1, v234
	s_delay_alu instid0(VALU_DEP_1) | instskip(NEXT) | instid1(VALU_DEP_1)
	v_add_f32_e32 v1, v1, v235
	v_add_f32_e32 v1, v1, v236
	s_delay_alu instid0(VALU_DEP_1) | instskip(SKIP_1) | instid1(VALU_DEP_1)
	v_add_f32_e32 v3, v1, v237
	s_wait_loadcnt 0x0
	v_dual_sub_f32 v1, v22, v2 :: v_dual_sub_f32 v2, v23, v3
	scratch_store_b64 off, v[1:2], off offset:256
	v_cmpx_lt_u32_e32 31, v0
	s_cbranch_execz .LBB56_293
; %bb.292:
	scratch_load_b64 v[1:2], off, off offset:248
	v_mov_b32_e32 v3, 0
	s_delay_alu instid0(VALU_DEP_1)
	v_mov_b32_e32 v4, v3
	scratch_store_b64 off, v[3:4], off offset:248
	s_wait_loadcnt 0x0
	ds_store_b64 v141, v[1:2]
.LBB56_293:
	s_wait_alu 0xfffe
	s_or_b32 exec_lo, exec_lo, s0
	s_wait_storecnt_dscnt 0x0
	s_barrier_signal -1
	s_barrier_wait -1
	global_inv scope:SCOPE_SE
	s_clause 0xd
	scratch_load_b128 v[2:5], off, off offset:256
	scratch_load_b128 v[6:9], off, off offset:272
	;; [unrolled: 1-line block ×12, first 2 shown]
	scratch_load_b64 v[22:23], off, off offset:448
	scratch_load_b64 v[139:140], off, off offset:248
	v_mov_b32_e32 v1, 0
	ds_load_b128 v[170:173], v1 offset:720
	ds_load_b128 v[174:177], v1 offset:736
	ds_load_b128 v[178:181], v1 offset:752
	ds_load_b128 v[182:185], v1 offset:768
	ds_load_b128 v[186:189], v1 offset:784
	ds_load_b128 v[190:193], v1 offset:800
	ds_load_b128 v[194:197], v1 offset:816
	ds_load_b128 v[198:201], v1 offset:832
	ds_load_b128 v[202:205], v1 offset:848
	ds_load_b128 v[206:209], v1 offset:864
	ds_load_b128 v[210:213], v1 offset:880
	ds_load_b128 v[214:217], v1 offset:896
	ds_load_b64 v[218:219], v1 offset:912
	s_mov_b32 s0, exec_lo
	s_wait_loadcnt_dscnt 0xd0c
	v_mul_f32_e32 v24, v170, v3
	s_wait_loadcnt_dscnt 0xc0b
	v_dual_mul_f32 v220, v172, v5 :: v_dual_mul_f32 v221, v174, v7
	v_mul_f32_e32 v5, v173, v5
	s_wait_loadcnt_dscnt 0xb0a
	v_dual_mul_f32 v222, v176, v9 :: v_dual_mul_f32 v223, v178, v11
	v_dual_mul_f32 v3, v171, v3 :: v_dual_mul_f32 v224, v180, v13
	s_wait_loadcnt_dscnt 0xa09
	v_dual_mul_f32 v225, v182, v15 :: v_dual_fmac_f32 v24, v171, v2
	s_wait_loadcnt_dscnt 0x302
	v_mul_f32_e32 v240, v212, v165
	v_fma_f32 v3, v170, v2, -v3
	s_wait_loadcnt_dscnt 0x100
	v_mul_f32_e32 v243, v218, v23
	v_mul_f32_e32 v2, v175, v7
	v_fmac_f32_e32 v220, v173, v4
	v_fma_f32 v4, v172, v4, -v5
	v_add_f32_e32 v3, 0, v3
	v_dual_fmac_f32 v223, v179, v10 :: v_dual_fmac_f32 v224, v181, v12
	v_fma_f32 v2, v174, v6, -v2
	v_dual_mul_f32 v226, v184, v17 :: v_dual_mul_f32 v227, v186, v19
	s_delay_alu instid0(VALU_DEP_4) | instskip(SKIP_1) | instid1(VALU_DEP_3)
	v_add_f32_e32 v3, v3, v4
	v_add_f32_e32 v5, 0, v24
	v_dual_fmac_f32 v225, v183, v14 :: v_dual_fmac_f32 v226, v185, v16
	v_fmac_f32_e32 v222, v177, v8
	s_delay_alu instid0(VALU_DEP_4) | instskip(NEXT) | instid1(VALU_DEP_4)
	v_dual_add_f32 v2, v3, v2 :: v_dual_mul_f32 v7, v177, v9
	v_dual_fmac_f32 v221, v175, v6 :: v_dual_add_f32 v4, v5, v220
	v_dual_mul_f32 v5, v179, v11 :: v_dual_mul_f32 v228, v188, v21
	v_mul_f32_e32 v229, v190, v143
	s_delay_alu instid0(VALU_DEP_4) | instskip(NEXT) | instid1(VALU_DEP_4)
	v_fma_f32 v6, v176, v8, -v7
	v_add_f32_e32 v3, v4, v221
	v_mul_f32_e32 v4, v181, v13
	v_fma_f32 v5, v178, v10, -v5
	v_dual_mul_f32 v230, v192, v145 :: v_dual_mul_f32 v231, v194, v147
	v_add_f32_e32 v2, v2, v6
	v_mul_f32_e32 v6, v183, v15
	v_add_f32_e32 v3, v3, v222
	v_fma_f32 v4, v180, v12, -v4
	v_dual_fmac_f32 v229, v191, v142 :: v_dual_fmac_f32 v230, v193, v144
	s_delay_alu instid0(VALU_DEP_3) | instskip(SKIP_3) | instid1(VALU_DEP_4)
	v_dual_add_f32 v2, v2, v5 :: v_dual_add_f32 v3, v3, v223
	v_mul_f32_e32 v5, v185, v17
	v_fma_f32 v6, v182, v14, -v6
	v_dual_mul_f32 v232, v196, v149 :: v_dual_mul_f32 v233, v198, v151
	v_add_f32_e32 v2, v2, v4
	v_add_f32_e32 v3, v3, v224
	v_mul_f32_e32 v4, v187, v19
	v_fma_f32 v5, v184, v16, -v5
	v_fmac_f32_e32 v227, v187, v18
	s_delay_alu instid0(VALU_DEP_4) | instskip(SKIP_3) | instid1(VALU_DEP_4)
	v_dual_add_f32 v2, v2, v6 :: v_dual_add_f32 v3, v3, v225
	v_fmac_f32_e32 v228, v189, v20
	v_mul_f32_e32 v6, v189, v21
	v_fma_f32 v4, v186, v18, -v4
	v_dual_add_f32 v2, v2, v5 :: v_dual_add_f32 v3, v3, v226
	v_mul_f32_e32 v5, v191, v143
	s_delay_alu instid0(VALU_DEP_4) | instskip(SKIP_1) | instid1(VALU_DEP_4)
	v_fma_f32 v6, v188, v20, -v6
	v_dual_mul_f32 v234, v200, v153 :: v_dual_mul_f32 v235, v202, v155
	v_dual_add_f32 v2, v2, v4 :: v_dual_add_f32 v3, v3, v227
	v_mul_f32_e32 v4, v193, v145
	v_fma_f32 v5, v190, v142, -v5
	v_fmac_f32_e32 v231, v195, v146
	s_delay_alu instid0(VALU_DEP_4) | instskip(SKIP_3) | instid1(VALU_DEP_4)
	v_dual_add_f32 v2, v2, v6 :: v_dual_add_f32 v3, v3, v228
	v_mul_f32_e32 v6, v195, v147
	v_fma_f32 v4, v192, v144, -v4
	v_fmac_f32_e32 v232, v197, v148
	v_add_f32_e32 v2, v2, v5
	v_add_f32_e32 v3, v3, v229
	v_mul_f32_e32 v5, v197, v149
	v_fma_f32 v6, v194, v146, -v6
	s_delay_alu instid0(VALU_DEP_4) | instskip(NEXT) | instid1(VALU_DEP_4)
	v_dual_fmac_f32 v233, v199, v150 :: v_dual_add_f32 v2, v2, v4
	v_add_f32_e32 v3, v3, v230
	v_mul_f32_e32 v4, v199, v151
	v_fma_f32 v5, v196, v148, -v5
	v_dual_mul_f32 v236, v204, v157 :: v_dual_mul_f32 v237, v206, v159
	s_delay_alu instid0(VALU_DEP_4) | instskip(SKIP_3) | instid1(VALU_DEP_4)
	v_dual_add_f32 v2, v2, v6 :: v_dual_add_f32 v3, v3, v231
	v_mul_f32_e32 v6, v201, v153
	v_fma_f32 v4, v198, v150, -v4
	v_fmac_f32_e32 v234, v201, v152
	v_dual_add_f32 v2, v2, v5 :: v_dual_add_f32 v3, v3, v232
	v_mul_f32_e32 v5, v203, v155
	v_fma_f32 v6, v200, v152, -v6
	s_delay_alu instid0(VALU_DEP_3) | instskip(NEXT) | instid1(VALU_DEP_4)
	v_dual_fmac_f32 v235, v203, v154 :: v_dual_add_f32 v2, v2, v4
	v_add_f32_e32 v3, v3, v233
	v_mul_f32_e32 v4, v205, v157
	v_fma_f32 v5, v202, v154, -v5
	v_fmac_f32_e32 v236, v205, v156
	v_dual_mul_f32 v238, v208, v161 :: v_dual_mul_f32 v239, v210, v163
	v_add_f32_e32 v3, v3, v234
	v_add_f32_e32 v2, v2, v6
	v_mul_f32_e32 v6, v207, v159
	v_fma_f32 v4, v204, v156, -v4
	v_fmac_f32_e32 v237, v207, v158
	s_delay_alu instid0(VALU_DEP_4) | instskip(SKIP_3) | instid1(VALU_DEP_4)
	v_dual_add_f32 v3, v3, v235 :: v_dual_add_f32 v2, v2, v5
	v_mul_f32_e32 v5, v209, v161
	v_fma_f32 v6, v206, v158, -v6
	v_dual_fmac_f32 v238, v209, v160 :: v_dual_fmac_f32 v239, v211, v162
	v_add_f32_e32 v3, v3, v236
	v_add_f32_e32 v2, v2, v4
	v_mul_f32_e32 v4, v211, v163
	v_fma_f32 v5, v208, v160, -v5
	v_dual_mul_f32 v241, v214, v167 :: v_dual_mul_f32 v242, v216, v169
	s_delay_alu instid0(VALU_DEP_4) | instskip(SKIP_2) | instid1(VALU_DEP_4)
	v_dual_add_f32 v3, v3, v237 :: v_dual_add_f32 v2, v2, v6
	v_mul_f32_e32 v6, v213, v165
	v_fma_f32 v4, v210, v162, -v4
	v_fmac_f32_e32 v241, v215, v166
	s_delay_alu instid0(VALU_DEP_4) | instskip(SKIP_2) | instid1(VALU_DEP_3)
	v_dual_add_f32 v3, v3, v238 :: v_dual_add_f32 v2, v2, v5
	v_dual_mul_f32 v5, v215, v167 :: v_dual_fmac_f32 v240, v213, v164
	v_fma_f32 v6, v212, v164, -v6
	v_dual_add_f32 v3, v3, v239 :: v_dual_add_f32 v2, v2, v4
	v_mul_f32_e32 v4, v217, v169
	s_delay_alu instid0(VALU_DEP_4) | instskip(SKIP_1) | instid1(VALU_DEP_4)
	v_fma_f32 v5, v214, v166, -v5
	v_dual_fmac_f32 v242, v217, v168 :: v_dual_fmac_f32 v243, v219, v22
	v_dual_add_f32 v3, v3, v240 :: v_dual_add_f32 v2, v2, v6
	v_mul_f32_e32 v6, v219, v23
	v_fma_f32 v4, v216, v168, -v4
	s_delay_alu instid0(VALU_DEP_3) | instskip(NEXT) | instid1(VALU_DEP_4)
	v_add_f32_e32 v3, v3, v241
	v_add_f32_e32 v2, v2, v5
	s_delay_alu instid0(VALU_DEP_4) | instskip(NEXT) | instid1(VALU_DEP_2)
	v_fma_f32 v5, v218, v22, -v6
	v_dual_add_f32 v3, v3, v242 :: v_dual_add_f32 v2, v2, v4
	s_delay_alu instid0(VALU_DEP_1) | instskip(SKIP_1) | instid1(VALU_DEP_1)
	v_dual_add_f32 v3, v3, v243 :: v_dual_add_f32 v2, v2, v5
	s_wait_loadcnt 0x0
	v_dual_sub_f32 v3, v140, v3 :: v_dual_sub_f32 v2, v139, v2
	scratch_store_b64 off, v[2:3], off offset:248
	v_cmpx_lt_u32_e32 30, v0
	s_cbranch_execz .LBB56_295
; %bb.294:
	scratch_load_b64 v[3:4], off, off offset:240
	v_mov_b32_e32 v2, v1
	scratch_store_b64 off, v[1:2], off offset:240
	s_wait_loadcnt 0x0
	ds_store_b64 v141, v[3:4]
.LBB56_295:
	s_wait_alu 0xfffe
	s_or_b32 exec_lo, exec_lo, s0
	s_wait_storecnt_dscnt 0x0
	s_barrier_signal -1
	s_barrier_wait -1
	global_inv scope:SCOPE_SE
	s_clause 0xd
	scratch_load_b128 v[2:5], off, off offset:248
	scratch_load_b128 v[6:9], off, off offset:264
	;; [unrolled: 1-line block ×13, first 2 shown]
	scratch_load_b64 v[22:23], off, off offset:240
	ds_load_2addr_b64 v[174:177], v1 offset0:89 offset1:90
	ds_load_2addr_b64 v[178:181], v1 offset0:91 offset1:92
	;; [unrolled: 1-line block ×13, first 2 shown]
	s_mov_b32 s0, exec_lo
	s_wait_loadcnt_dscnt 0xd0c
	v_dual_mul_f32 v1, v174, v3 :: v_dual_mul_f32 v24, v176, v5
	v_mul_f32_e32 v3, v175, v3
	v_mul_f32_e32 v5, v177, v5
	s_wait_loadcnt_dscnt 0xc0b
	v_dual_mul_f32 v139, v178, v7 :: v_dual_mul_f32 v140, v180, v9
	v_fmac_f32_e32 v24, v177, v4
	v_fma_f32 v3, v174, v2, -v3
	s_wait_loadcnt_dscnt 0xb0a
	v_dual_mul_f32 v226, v182, v11 :: v_dual_mul_f32 v227, v184, v13
	v_dual_fmac_f32 v1, v175, v2 :: v_dual_fmac_f32 v140, v181, v8
	v_mul_f32_e32 v2, v179, v7
	v_fma_f32 v4, v176, v4, -v5
	s_delay_alu instid0(VALU_DEP_4) | instskip(NEXT) | instid1(VALU_DEP_4)
	v_dual_add_f32 v3, 0, v3 :: v_dual_fmac_f32 v226, v183, v10
	v_add_f32_e32 v1, 0, v1
	s_delay_alu instid0(VALU_DEP_4) | instskip(SKIP_4) | instid1(VALU_DEP_3)
	v_fma_f32 v2, v178, v6, -v2
	s_wait_loadcnt_dscnt 0xa09
	v_dual_mul_f32 v228, v186, v15 :: v_dual_mul_f32 v229, v188, v17
	v_add_f32_e32 v3, v3, v4
	v_dual_mul_f32 v5, v181, v9 :: v_dual_mul_f32 v4, v183, v11
	v_dual_add_f32 v1, v1, v24 :: v_dual_fmac_f32 v228, v187, v14
	s_delay_alu instid0(VALU_DEP_3) | instskip(NEXT) | instid1(VALU_DEP_3)
	v_add_f32_e32 v2, v3, v2
	v_fma_f32 v5, v180, v8, -v5
	v_fmac_f32_e32 v139, v179, v6
	v_fma_f32 v4, v182, v10, -v4
	s_wait_loadcnt_dscnt 0x908
	v_dual_mul_f32 v230, v190, v19 :: v_dual_mul_f32 v231, v192, v21
	s_delay_alu instid0(VALU_DEP_3) | instskip(NEXT) | instid1(VALU_DEP_2)
	v_dual_add_f32 v2, v2, v5 :: v_dual_add_f32 v1, v1, v139
	v_dual_mul_f32 v3, v185, v13 :: v_dual_fmac_f32 v230, v191, v18
	s_wait_loadcnt_dscnt 0x807
	v_dual_mul_f32 v232, v194, v143 :: v_dual_mul_f32 v233, v196, v145
	s_delay_alu instid0(VALU_DEP_3)
	v_add_f32_e32 v2, v2, v4
	v_mul_f32_e32 v4, v189, v17
	v_fma_f32 v3, v184, v12, -v3
	s_wait_loadcnt_dscnt 0x605
	v_dual_add_f32 v1, v1, v140 :: v_dual_mul_f32 v236, v202, v151
	v_mul_f32_e32 v237, v204, v153
	v_fma_f32 v4, v188, v16, -v4
	v_mul_f32_e32 v5, v187, v15
	s_delay_alu instid0(VALU_DEP_4) | instskip(SKIP_1) | instid1(VALU_DEP_3)
	v_dual_add_f32 v2, v2, v3 :: v_dual_add_f32 v1, v1, v226
	v_dual_mul_f32 v234, v198, v147 :: v_dual_mul_f32 v235, v200, v149
	v_fma_f32 v5, v186, v14, -v5
	v_dual_fmac_f32 v227, v185, v12 :: v_dual_fmac_f32 v232, v195, v142
	s_delay_alu instid0(VALU_DEP_3)
	v_fmac_f32_e32 v234, v199, v146
	s_wait_loadcnt_dscnt 0x302
	v_dual_mul_f32 v242, v214, v163 :: v_dual_mul_f32 v243, v216, v165
	v_add_f32_e32 v2, v2, v5
	v_dual_mul_f32 v238, v206, v155 :: v_dual_mul_f32 v239, v208, v157
	v_dual_fmac_f32 v233, v197, v144 :: v_dual_mul_f32 v240, v210, v159
	s_delay_alu instid0(VALU_DEP_3) | instskip(SKIP_2) | instid1(VALU_DEP_4)
	v_dual_mul_f32 v241, v212, v161 :: v_dual_add_f32 v2, v2, v4
	v_mul_f32_e32 v4, v195, v143
	v_add_f32_e32 v1, v1, v227
	v_dual_fmac_f32 v235, v201, v148 :: v_dual_fmac_f32 v240, v211, v158
	v_fmac_f32_e32 v236, v203, v150
	s_delay_alu instid0(VALU_DEP_4)
	v_fma_f32 v4, v194, v142, -v4
	v_mul_f32_e32 v5, v193, v21
	v_add_f32_e32 v1, v1, v228
	s_wait_loadcnt_dscnt 0x201
	v_dual_fmac_f32 v237, v205, v152 :: v_dual_mul_f32 v244, v218, v167
	v_mul_f32_e32 v245, v220, v169
	v_fma_f32 v5, v192, v20, -v5
	v_mul_f32_e32 v3, v191, v19
	s_wait_loadcnt_dscnt 0x100
	v_dual_mul_f32 v246, v222, v171 :: v_dual_mul_f32 v247, v224, v173
	v_fmac_f32_e32 v243, v217, v164
	v_fmac_f32_e32 v245, v221, v168
	v_fma_f32 v3, v190, v18, -v3
	v_fmac_f32_e32 v229, v189, v16
	v_dual_fmac_f32 v247, v225, v172 :: v_dual_fmac_f32 v242, v215, v162
	v_fmac_f32_e32 v238, v207, v154
	s_delay_alu instid0(VALU_DEP_4) | instskip(SKIP_2) | instid1(VALU_DEP_3)
	v_dual_add_f32 v2, v2, v3 :: v_dual_mul_f32 v3, v197, v145
	v_fmac_f32_e32 v244, v219, v166
	v_fmac_f32_e32 v246, v223, v170
	v_dual_add_f32 v2, v2, v5 :: v_dual_mul_f32 v5, v199, v147
	s_delay_alu instid0(VALU_DEP_4) | instskip(NEXT) | instid1(VALU_DEP_2)
	v_fma_f32 v3, v196, v144, -v3
	v_dual_add_f32 v2, v2, v4 :: v_dual_add_f32 v1, v1, v229
	v_mul_f32_e32 v4, v201, v149
	s_delay_alu instid0(VALU_DEP_4) | instskip(NEXT) | instid1(VALU_DEP_3)
	v_fma_f32 v5, v198, v146, -v5
	v_dual_add_f32 v2, v2, v3 :: v_dual_fmac_f32 v231, v193, v20
	s_delay_alu instid0(VALU_DEP_3) | instskip(NEXT) | instid1(VALU_DEP_2)
	v_fma_f32 v4, v200, v148, -v4
	v_add_f32_e32 v2, v2, v5
	v_mul_f32_e32 v5, v205, v153
	s_delay_alu instid0(VALU_DEP_2) | instskip(NEXT) | instid1(VALU_DEP_2)
	v_dual_add_f32 v1, v1, v230 :: v_dual_add_f32 v2, v2, v4
	v_fma_f32 v5, v204, v152, -v5
	v_mul_f32_e32 v3, v203, v151
	s_delay_alu instid0(VALU_DEP_3) | instskip(SKIP_1) | instid1(VALU_DEP_3)
	v_add_f32_e32 v1, v1, v231
	v_mul_f32_e32 v4, v207, v155
	v_fma_f32 v3, v202, v150, -v3
	s_delay_alu instid0(VALU_DEP_3) | instskip(NEXT) | instid1(VALU_DEP_3)
	v_add_f32_e32 v1, v1, v232
	v_fma_f32 v4, v206, v154, -v4
	s_delay_alu instid0(VALU_DEP_3) | instskip(NEXT) | instid1(VALU_DEP_1)
	v_add_f32_e32 v2, v2, v3
	v_add_f32_e32 v2, v2, v5
	s_delay_alu instid0(VALU_DEP_4) | instskip(NEXT) | instid1(VALU_DEP_2)
	v_add_f32_e32 v1, v1, v233
	v_dual_mul_f32 v5, v211, v159 :: v_dual_add_f32 v2, v2, v4
	v_mul_f32_e32 v4, v213, v161
	s_delay_alu instid0(VALU_DEP_2) | instskip(NEXT) | instid1(VALU_DEP_2)
	v_fma_f32 v5, v210, v158, -v5
	v_fma_f32 v4, v212, v160, -v4
	v_mul_f32_e32 v3, v209, v157
	s_delay_alu instid0(VALU_DEP_1) | instskip(NEXT) | instid1(VALU_DEP_1)
	v_fma_f32 v3, v208, v156, -v3
	v_dual_add_f32 v1, v1, v234 :: v_dual_add_f32 v2, v2, v3
	s_delay_alu instid0(VALU_DEP_1) | instskip(NEXT) | instid1(VALU_DEP_2)
	v_add_f32_e32 v1, v1, v235
	v_dual_mul_f32 v3, v215, v163 :: v_dual_add_f32 v2, v2, v5
	v_mul_f32_e32 v5, v217, v165
	s_delay_alu instid0(VALU_DEP_2) | instskip(NEXT) | instid1(VALU_DEP_3)
	v_fma_f32 v3, v214, v162, -v3
	v_add_f32_e32 v2, v2, v4
	v_dual_add_f32 v1, v1, v236 :: v_dual_mul_f32 v4, v219, v167
	s_delay_alu instid0(VALU_DEP_4) | instskip(NEXT) | instid1(VALU_DEP_2)
	v_fma_f32 v5, v216, v164, -v5
	v_dual_add_f32 v2, v2, v3 :: v_dual_add_f32 v1, v1, v237
	v_fmac_f32_e32 v239, v209, v156
	v_mul_f32_e32 v3, v221, v169
	v_fma_f32 v4, v218, v166, -v4
	s_delay_alu instid0(VALU_DEP_4) | instskip(SKIP_1) | instid1(VALU_DEP_4)
	v_dual_add_f32 v2, v2, v5 :: v_dual_add_f32 v1, v1, v238
	v_mul_f32_e32 v5, v223, v171
	v_fma_f32 v3, v220, v168, -v3
	s_delay_alu instid0(VALU_DEP_3) | instskip(SKIP_1) | instid1(VALU_DEP_4)
	v_dual_add_f32 v2, v2, v4 :: v_dual_add_f32 v1, v1, v239
	v_fmac_f32_e32 v241, v213, v160
	v_fma_f32 v5, v222, v170, -v5
	v_mul_f32_e32 v4, v225, v173
	s_delay_alu instid0(VALU_DEP_4) | instskip(NEXT) | instid1(VALU_DEP_2)
	v_dual_add_f32 v2, v2, v3 :: v_dual_add_f32 v1, v1, v240
	v_fma_f32 v3, v224, v172, -v4
	s_delay_alu instid0(VALU_DEP_2) | instskip(NEXT) | instid1(VALU_DEP_1)
	v_add_f32_e32 v2, v2, v5
	v_dual_add_f32 v1, v1, v241 :: v_dual_add_f32 v2, v2, v3
	s_delay_alu instid0(VALU_DEP_1) | instskip(NEXT) | instid1(VALU_DEP_1)
	v_add_f32_e32 v1, v1, v242
	v_add_f32_e32 v1, v1, v243
	s_delay_alu instid0(VALU_DEP_1) | instskip(NEXT) | instid1(VALU_DEP_1)
	v_add_f32_e32 v1, v1, v244
	v_add_f32_e32 v1, v1, v245
	;; [unrolled: 3-line block ×3, first 2 shown]
	s_wait_loadcnt 0x0
	s_delay_alu instid0(VALU_DEP_1)
	v_dual_sub_f32 v1, v22, v2 :: v_dual_sub_f32 v2, v23, v3
	scratch_store_b64 off, v[1:2], off offset:240
	v_cmpx_lt_u32_e32 29, v0
	s_cbranch_execz .LBB56_297
; %bb.296:
	scratch_load_b64 v[1:2], off, off offset:232
	v_mov_b32_e32 v3, 0
	s_delay_alu instid0(VALU_DEP_1)
	v_mov_b32_e32 v4, v3
	scratch_store_b64 off, v[3:4], off offset:232
	s_wait_loadcnt 0x0
	ds_store_b64 v141, v[1:2]
.LBB56_297:
	s_wait_alu 0xfffe
	s_or_b32 exec_lo, exec_lo, s0
	s_wait_storecnt_dscnt 0x0
	s_barrier_signal -1
	s_barrier_wait -1
	global_inv scope:SCOPE_SE
	s_clause 0xe
	scratch_load_b128 v[2:5], off, off offset:240
	scratch_load_b128 v[6:9], off, off offset:256
	;; [unrolled: 1-line block ×13, first 2 shown]
	scratch_load_b64 v[22:23], off, off offset:448
	scratch_load_b64 v[139:140], off, off offset:232
	v_mov_b32_e32 v1, 0
	ds_load_b128 v[174:177], v1 offset:704
	ds_load_b128 v[178:181], v1 offset:720
	;; [unrolled: 1-line block ×13, first 2 shown]
	ds_load_b64 v[226:227], v1 offset:912
	s_mov_b32 s0, exec_lo
	s_wait_loadcnt_dscnt 0xe0d
	v_mul_f32_e32 v24, v174, v3
	s_wait_loadcnt_dscnt 0xd0c
	v_dual_mul_f32 v228, v176, v5 :: v_dual_mul_f32 v229, v178, v7
	v_mul_f32_e32 v5, v177, v5
	s_wait_loadcnt_dscnt 0xc0b
	v_dual_mul_f32 v230, v180, v9 :: v_dual_mul_f32 v231, v182, v11
	s_wait_loadcnt_dscnt 0xb0a
	v_dual_mul_f32 v232, v184, v13 :: v_dual_mul_f32 v233, v186, v15
	v_mul_f32_e32 v3, v175, v3
	v_fmac_f32_e32 v24, v175, v2
	s_delay_alu instid0(VALU_DEP_3)
	v_dual_fmac_f32 v231, v183, v10 :: v_dual_fmac_f32 v232, v185, v12
	s_wait_loadcnt_dscnt 0x302
	v_mul_f32_e32 v250, v220, v169
	v_fma_f32 v3, v174, v2, -v3
	s_wait_loadcnt_dscnt 0x100
	v_mul_f32_e32 v253, v226, v23
	v_mul_f32_e32 v2, v179, v7
	v_fmac_f32_e32 v228, v177, v4
	v_fma_f32 v4, v176, v4, -v5
	v_dual_add_f32 v3, 0, v3 :: v_dual_mul_f32 v234, v188, v17
	v_mul_f32_e32 v235, v190, v19
	v_fma_f32 v2, v178, v6, -v2
	v_fmac_f32_e32 v233, v187, v14
	s_delay_alu instid0(VALU_DEP_4) | instskip(SKIP_2) | instid1(VALU_DEP_3)
	v_add_f32_e32 v3, v3, v4
	v_dual_add_f32 v5, 0, v24 :: v_dual_mul_f32 v236, v192, v21
	v_dual_mul_f32 v237, v194, v143 :: v_dual_fmac_f32 v230, v181, v8
	v_dual_add_f32 v2, v3, v2 :: v_dual_mul_f32 v7, v181, v9
	s_delay_alu instid0(VALU_DEP_3) | instskip(SKIP_1) | instid1(VALU_DEP_3)
	v_dual_fmac_f32 v229, v179, v6 :: v_dual_add_f32 v4, v5, v228
	v_dual_mul_f32 v5, v183, v11 :: v_dual_fmac_f32 v234, v189, v16
	v_fma_f32 v6, v180, v8, -v7
	v_dual_mul_f32 v238, v196, v145 :: v_dual_mul_f32 v239, v198, v147
	s_delay_alu instid0(VALU_DEP_4)
	v_add_f32_e32 v3, v4, v229
	v_mul_f32_e32 v4, v185, v13
	v_fma_f32 v5, v182, v10, -v5
	v_add_f32_e32 v2, v2, v6
	v_mul_f32_e32 v6, v187, v15
	v_add_f32_e32 v3, v3, v230
	v_fma_f32 v4, v184, v12, -v4
	v_dual_fmac_f32 v237, v195, v142 :: v_dual_fmac_f32 v238, v197, v144
	s_delay_alu instid0(VALU_DEP_3) | instskip(SKIP_3) | instid1(VALU_DEP_4)
	v_dual_add_f32 v2, v2, v5 :: v_dual_add_f32 v3, v3, v231
	v_mul_f32_e32 v5, v189, v17
	v_fma_f32 v6, v186, v14, -v6
	v_dual_mul_f32 v240, v200, v149 :: v_dual_mul_f32 v241, v202, v151
	v_add_f32_e32 v2, v2, v4
	v_add_f32_e32 v3, v3, v232
	v_mul_f32_e32 v4, v191, v19
	v_fma_f32 v5, v188, v16, -v5
	v_fmac_f32_e32 v235, v191, v18
	s_delay_alu instid0(VALU_DEP_4) | instskip(SKIP_3) | instid1(VALU_DEP_4)
	v_dual_add_f32 v2, v2, v6 :: v_dual_add_f32 v3, v3, v233
	v_fmac_f32_e32 v236, v193, v20
	v_mul_f32_e32 v6, v193, v21
	v_fma_f32 v4, v190, v18, -v4
	v_dual_add_f32 v2, v2, v5 :: v_dual_add_f32 v3, v3, v234
	v_mul_f32_e32 v5, v195, v143
	s_delay_alu instid0(VALU_DEP_4) | instskip(SKIP_1) | instid1(VALU_DEP_4)
	v_fma_f32 v6, v192, v20, -v6
	v_dual_mul_f32 v242, v204, v153 :: v_dual_mul_f32 v243, v206, v155
	v_dual_add_f32 v2, v2, v4 :: v_dual_add_f32 v3, v3, v235
	v_mul_f32_e32 v4, v197, v145
	v_fma_f32 v5, v194, v142, -v5
	v_fmac_f32_e32 v239, v199, v146
	s_delay_alu instid0(VALU_DEP_4) | instskip(SKIP_3) | instid1(VALU_DEP_4)
	v_dual_add_f32 v2, v2, v6 :: v_dual_add_f32 v3, v3, v236
	v_mul_f32_e32 v6, v199, v147
	v_fma_f32 v4, v196, v144, -v4
	v_fmac_f32_e32 v240, v201, v148
	v_add_f32_e32 v2, v2, v5
	v_add_f32_e32 v3, v3, v237
	v_mul_f32_e32 v5, v201, v149
	v_fma_f32 v6, v198, v146, -v6
	s_delay_alu instid0(VALU_DEP_4) | instskip(NEXT) | instid1(VALU_DEP_4)
	v_dual_fmac_f32 v241, v203, v150 :: v_dual_add_f32 v2, v2, v4
	v_add_f32_e32 v3, v3, v238
	v_mul_f32_e32 v4, v203, v151
	v_fma_f32 v5, v200, v148, -v5
	v_fmac_f32_e32 v242, v205, v152
	s_delay_alu instid0(VALU_DEP_4) | instskip(SKIP_3) | instid1(VALU_DEP_4)
	v_dual_add_f32 v2, v2, v6 :: v_dual_add_f32 v3, v3, v239
	v_mul_f32_e32 v6, v205, v153
	v_fma_f32 v4, v202, v150, -v4
	v_dual_mul_f32 v244, v208, v157 :: v_dual_mul_f32 v245, v210, v159
	v_dual_add_f32 v2, v2, v5 :: v_dual_add_f32 v3, v3, v240
	v_mul_f32_e32 v5, v207, v155
	v_fma_f32 v6, v204, v152, -v6
	s_delay_alu instid0(VALU_DEP_3) | instskip(NEXT) | instid1(VALU_DEP_4)
	v_dual_fmac_f32 v243, v207, v154 :: v_dual_add_f32 v2, v2, v4
	v_add_f32_e32 v3, v3, v241
	v_mul_f32_e32 v4, v209, v157
	v_fma_f32 v5, v206, v154, -v5
	v_fmac_f32_e32 v244, v209, v156
	v_dual_mul_f32 v246, v212, v161 :: v_dual_mul_f32 v247, v214, v163
	v_add_f32_e32 v3, v3, v242
	v_add_f32_e32 v2, v2, v6
	v_mul_f32_e32 v6, v211, v159
	v_fma_f32 v4, v208, v156, -v4
	v_fmac_f32_e32 v245, v211, v158
	s_delay_alu instid0(VALU_DEP_4) | instskip(NEXT) | instid1(VALU_DEP_4)
	v_dual_add_f32 v3, v3, v243 :: v_dual_add_f32 v2, v2, v5
	v_fma_f32 v6, v210, v158, -v6
	v_mul_f32_e32 v5, v213, v161
	v_dual_fmac_f32 v246, v213, v160 :: v_dual_fmac_f32 v247, v215, v162
	s_delay_alu instid0(VALU_DEP_4) | instskip(SKIP_3) | instid1(VALU_DEP_4)
	v_add_f32_e32 v3, v3, v244
	v_add_f32_e32 v2, v2, v4
	v_dual_mul_f32 v248, v216, v165 :: v_dual_mul_f32 v249, v218, v167
	v_mul_f32_e32 v4, v215, v163
	v_add_f32_e32 v3, v3, v245
	v_fma_f32 v5, v212, v160, -v5
	v_add_f32_e32 v2, v2, v6
	v_mul_f32_e32 v6, v217, v165
	v_fma_f32 v4, v214, v162, -v4
	v_dual_add_f32 v3, v3, v246 :: v_dual_fmac_f32 v248, v217, v164
	s_delay_alu instid0(VALU_DEP_4) | instskip(NEXT) | instid1(VALU_DEP_4)
	v_dual_add_f32 v2, v2, v5 :: v_dual_mul_f32 v5, v219, v167
	v_fma_f32 v6, v216, v164, -v6
	s_delay_alu instid0(VALU_DEP_3) | instskip(NEXT) | instid1(VALU_DEP_3)
	v_add_f32_e32 v3, v3, v247
	v_dual_fmac_f32 v249, v219, v166 :: v_dual_add_f32 v2, v2, v4
	v_dual_mul_f32 v4, v221, v169 :: v_dual_mul_f32 v251, v222, v171
	s_delay_alu instid0(VALU_DEP_3) | instskip(SKIP_1) | instid1(VALU_DEP_4)
	v_dual_mul_f32 v252, v224, v173 :: v_dual_add_f32 v3, v3, v248
	v_fma_f32 v5, v218, v166, -v5
	v_add_f32_e32 v2, v2, v6
	s_delay_alu instid0(VALU_DEP_4) | instskip(NEXT) | instid1(VALU_DEP_4)
	v_dual_fmac_f32 v250, v221, v168 :: v_dual_fmac_f32 v251, v223, v170
	v_add_f32_e32 v3, v3, v249
	v_mul_f32_e32 v6, v223, v171
	v_fma_f32 v4, v220, v168, -v4
	v_add_f32_e32 v2, v2, v5
	v_mul_f32_e32 v5, v225, v173
	v_add_f32_e32 v3, v3, v250
	v_fma_f32 v6, v222, v170, -v6
	v_dual_fmac_f32 v252, v225, v172 :: v_dual_fmac_f32 v253, v227, v22
	s_delay_alu instid0(VALU_DEP_3) | instskip(SKIP_2) | instid1(VALU_DEP_3)
	v_dual_add_f32 v2, v2, v4 :: v_dual_add_f32 v3, v3, v251
	v_mul_f32_e32 v4, v227, v23
	v_fma_f32 v5, v224, v172, -v5
	v_dual_add_f32 v2, v2, v6 :: v_dual_add_f32 v3, v3, v252
	s_delay_alu instid0(VALU_DEP_3) | instskip(NEXT) | instid1(VALU_DEP_2)
	v_fma_f32 v4, v226, v22, -v4
	v_add_f32_e32 v3, v3, v253
	s_wait_loadcnt 0x0
	s_delay_alu instid0(VALU_DEP_1) | instskip(NEXT) | instid1(VALU_DEP_1)
	v_dual_add_f32 v2, v2, v5 :: v_dual_sub_f32 v3, v140, v3
	v_add_f32_e32 v2, v2, v4
	s_delay_alu instid0(VALU_DEP_1)
	v_sub_f32_e32 v2, v139, v2
	scratch_store_b64 off, v[2:3], off offset:232
	v_cmpx_lt_u32_e32 28, v0
	s_cbranch_execz .LBB56_299
; %bb.298:
	scratch_load_b64 v[3:4], off, off offset:224
	v_mov_b32_e32 v2, v1
	scratch_store_b64 off, v[1:2], off offset:224
	s_wait_loadcnt 0x0
	ds_store_b64 v141, v[3:4]
.LBB56_299:
	s_wait_alu 0xfffe
	s_or_b32 exec_lo, exec_lo, s0
	s_wait_storecnt_dscnt 0x0
	s_barrier_signal -1
	s_barrier_wait -1
	global_inv scope:SCOPE_SE
	s_clause 0x4
	scratch_load_b128 v[2:5], off, off offset:232
	scratch_load_b128 v[6:9], off, off offset:248
	;; [unrolled: 1-line block ×5, first 2 shown]
	ds_load_2addr_b64 v[142:145], v1 offset0:87 offset1:88
	ds_load_2addr_b64 v[146:149], v1 offset0:89 offset1:90
	;; [unrolled: 1-line block ×3, first 2 shown]
	scratch_load_b64 v[22:23], off, off offset:224
	s_mov_b32 s0, exec_lo
	s_wait_loadcnt_dscnt 0x502
	v_mul_f32_e32 v24, v143, v3
	v_dual_mul_f32 v139, v142, v3 :: v_dual_mul_f32 v140, v144, v5
	v_mul_f32_e32 v3, v145, v5
	s_wait_loadcnt_dscnt 0x300
	v_mul_f32_e32 v154, v152, v13
	v_fma_f32 v24, v142, v2, -v24
	v_dual_fmac_f32 v139, v143, v2 :: v_dual_fmac_f32 v140, v145, v4
	v_fma_f32 v142, v144, v4, -v3
	ds_load_2addr_b64 v[2:5], v1 offset0:93 offset1:94
	v_dual_mul_f32 v143, v146, v7 :: v_dual_mul_f32 v144, v148, v9
	v_mul_f32_e32 v7, v147, v7
	v_mul_f32_e32 v9, v149, v9
	;; [unrolled: 1-line block ×3, first 2 shown]
	v_dual_mul_f32 v11, v151, v11 :: v_dual_fmac_f32 v154, v153, v12
	v_mul_f32_e32 v13, v153, v13
	v_fmac_f32_e32 v143, v147, v6
	v_fma_f32 v146, v146, v6, -v7
	v_fmac_f32_e32 v144, v149, v8
	v_fma_f32 v147, v148, v8, -v9
	scratch_load_b128 v[6:9], off, off offset:312
	v_fmac_f32_e32 v145, v151, v10
	v_fma_f32 v148, v150, v10, -v11
	v_fma_f32 v149, v152, v12, -v13
	ds_load_2addr_b64 v[10:13], v1 offset0:95 offset1:96
	s_wait_loadcnt_dscnt 0x301
	v_mul_f32_e32 v150, v2, v15
	v_mul_f32_e32 v15, v3, v15
	;; [unrolled: 1-line block ×3, first 2 shown]
	s_delay_alu instid0(VALU_DEP_3) | instskip(NEXT) | instid1(VALU_DEP_3)
	v_dual_mul_f32 v17, v5, v17 :: v_dual_fmac_f32 v150, v3, v14
	v_fma_f32 v14, v2, v14, -v15
	s_delay_alu instid0(VALU_DEP_3) | instskip(NEXT) | instid1(VALU_DEP_3)
	v_fmac_f32_e32 v151, v5, v16
	v_fma_f32 v15, v4, v16, -v17
	ds_load_2addr_b64 v[2:5], v1 offset0:97 offset1:98
	s_wait_loadcnt_dscnt 0x201
	v_mul_f32_e32 v16, v10, v19
	v_mul_f32_e32 v17, v11, v19
	;; [unrolled: 1-line block ×3, first 2 shown]
	s_delay_alu instid0(VALU_DEP_3) | instskip(NEXT) | instid1(VALU_DEP_3)
	v_dual_mul_f32 v21, v13, v21 :: v_dual_fmac_f32 v16, v11, v18
	v_fma_f32 v17, v10, v18, -v17
	s_delay_alu instid0(VALU_DEP_3) | instskip(NEXT) | instid1(VALU_DEP_3)
	v_fmac_f32_e32 v19, v13, v20
	v_fma_f32 v18, v12, v20, -v21
	scratch_load_b128 v[10:13], off, off offset:328
	s_wait_loadcnt_dscnt 0x100
	v_mul_f32_e32 v20, v2, v7
	v_mul_f32_e32 v7, v3, v7
	;; [unrolled: 1-line block ×3, first 2 shown]
	s_delay_alu instid0(VALU_DEP_3) | instskip(NEXT) | instid1(VALU_DEP_3)
	v_dual_mul_f32 v9, v5, v9 :: v_dual_fmac_f32 v20, v3, v6
	v_fma_f32 v152, v2, v6, -v7
	s_delay_alu instid0(VALU_DEP_3) | instskip(NEXT) | instid1(VALU_DEP_3)
	v_fmac_f32_e32 v21, v5, v8
	v_fma_f32 v153, v4, v8, -v9
	ds_load_2addr_b64 v[2:5], v1 offset0:99 offset1:100
	ds_load_2addr_b64 v[6:9], v1 offset0:101 offset1:102
	s_wait_loadcnt_dscnt 0x1
	v_mul_f32_e32 v155, v2, v11
	v_dual_mul_f32 v11, v3, v11 :: v_dual_mul_f32 v156, v4, v13
	s_delay_alu instid0(VALU_DEP_2) | instskip(NEXT) | instid1(VALU_DEP_2)
	v_fmac_f32_e32 v155, v3, v10
	v_fma_f32 v157, v2, v10, -v11
	v_mul_f32_e32 v2, v5, v13
	s_delay_alu instid0(VALU_DEP_4) | instskip(NEXT) | instid1(VALU_DEP_2)
	v_fmac_f32_e32 v156, v5, v12
	v_fma_f32 v158, v4, v12, -v2
	s_clause 0x1
	scratch_load_b128 v[2:5], off, off offset:344
	scratch_load_b128 v[10:13], off, off offset:360
	s_wait_loadcnt_dscnt 0x100
	v_mul_f32_e32 v159, v6, v3
	v_mul_f32_e32 v3, v7, v3
	;; [unrolled: 1-line block ×3, first 2 shown]
	s_delay_alu instid0(VALU_DEP_3) | instskip(NEXT) | instid1(VALU_DEP_3)
	v_fmac_f32_e32 v159, v7, v2
	v_fma_f32 v160, v6, v2, -v3
	v_mul_f32_e32 v2, v9, v5
	s_delay_alu instid0(VALU_DEP_4) | instskip(NEXT) | instid1(VALU_DEP_2)
	v_fmac_f32_e32 v161, v9, v4
	v_fma_f32 v162, v8, v4, -v2
	ds_load_2addr_b64 v[2:5], v1 offset0:103 offset1:104
	ds_load_2addr_b64 v[6:9], v1 offset0:105 offset1:106
	s_wait_loadcnt_dscnt 0x1
	v_mul_f32_e32 v163, v2, v11
	v_mul_f32_e32 v165, v4, v13
	s_delay_alu instid0(VALU_DEP_2) | instskip(SKIP_1) | instid1(VALU_DEP_3)
	v_fmac_f32_e32 v163, v3, v10
	v_mul_f32_e32 v3, v3, v11
	v_fmac_f32_e32 v165, v5, v12
	s_delay_alu instid0(VALU_DEP_2) | instskip(SKIP_1) | instid1(VALU_DEP_1)
	v_fma_f32 v164, v2, v10, -v3
	v_mul_f32_e32 v2, v5, v13
	v_fma_f32 v166, v4, v12, -v2
	s_clause 0x1
	scratch_load_b128 v[2:5], off, off offset:376
	scratch_load_b128 v[10:13], off, off offset:392
	s_wait_loadcnt_dscnt 0x100
	v_mul_f32_e32 v167, v6, v3
	v_mul_f32_e32 v3, v7, v3
	;; [unrolled: 1-line block ×3, first 2 shown]
	s_delay_alu instid0(VALU_DEP_3) | instskip(NEXT) | instid1(VALU_DEP_3)
	v_fmac_f32_e32 v167, v7, v2
	v_fma_f32 v168, v6, v2, -v3
	v_dual_mul_f32 v2, v9, v5 :: v_dual_add_f32 v3, 0, v139
	s_delay_alu instid0(VALU_DEP_1) | instskip(SKIP_1) | instid1(VALU_DEP_1)
	v_fma_f32 v170, v8, v4, -v2
	v_add_f32_e32 v2, 0, v24
	v_dual_add_f32 v3, v3, v140 :: v_dual_add_f32 v2, v2, v142
	s_delay_alu instid0(VALU_DEP_1) | instskip(NEXT) | instid1(VALU_DEP_1)
	v_dual_add_f32 v3, v3, v143 :: v_dual_add_f32 v2, v2, v146
	v_dual_add_f32 v3, v3, v144 :: v_dual_add_f32 v2, v2, v147
	s_delay_alu instid0(VALU_DEP_1) | instskip(NEXT) | instid1(VALU_DEP_2)
	v_add_f32_e32 v6, v3, v145
	v_add_f32_e32 v2, v2, v148
	s_delay_alu instid0(VALU_DEP_2) | instskip(NEXT) | instid1(VALU_DEP_2)
	v_add_f32_e32 v6, v6, v154
	v_add_f32_e32 v7, v2, v149
	s_delay_alu instid0(VALU_DEP_2) | instskip(NEXT) | instid1(VALU_DEP_2)
	v_add_f32_e32 v6, v6, v150
	v_add_f32_e32 v7, v7, v14
	s_delay_alu instid0(VALU_DEP_1) | instskip(NEXT) | instid1(VALU_DEP_3)
	v_add_f32_e32 v14, v7, v15
	v_add_f32_e32 v15, v6, v151
	s_delay_alu instid0(VALU_DEP_1) | instskip(NEXT) | instid1(VALU_DEP_1)
	v_dual_add_f32 v14, v14, v17 :: v_dual_add_f32 v15, v15, v16
	v_dual_add_f32 v14, v14, v18 :: v_dual_add_f32 v15, v15, v19
	s_delay_alu instid0(VALU_DEP_1) | instskip(NEXT) | instid1(VALU_DEP_1)
	v_add_f32_e32 v14, v14, v152
	v_dual_add_f32 v18, v15, v20 :: v_dual_add_f32 v19, v14, v153
	s_delay_alu instid0(VALU_DEP_1) | instskip(SKIP_2) | instid1(VALU_DEP_1)
	v_add_f32_e32 v18, v18, v21
	scratch_load_b128 v[14:17], off, off offset:440
	v_dual_add_f32 v19, v19, v157 :: v_dual_add_f32 v18, v18, v155
	v_dual_add_f32 v19, v19, v158 :: v_dual_add_f32 v18, v18, v156
	s_delay_alu instid0(VALU_DEP_1)
	v_dual_add_f32 v142, v19, v160 :: v_dual_add_f32 v143, v18, v159
	v_fmac_f32_e32 v169, v9, v4
	ds_load_2addr_b64 v[2:5], v1 offset0:107 offset1:108
	ds_load_2addr_b64 v[6:9], v1 offset0:109 offset1:110
	;; [unrolled: 1-line block ×3, first 2 shown]
	v_add_f32_e32 v147, v142, v162
	s_wait_loadcnt_dscnt 0x102
	v_mul_f32_e32 v24, v2, v11
	v_add_f32_e32 v148, v143, v161
	ds_load_2addr_b64 v[142:145], v1 offset0:113 offset1:114
	v_mul_f32_e32 v139, v4, v13
	v_mul_f32_e32 v11, v3, v11
	v_dual_mul_f32 v13, v5, v13 :: v_dual_fmac_f32 v24, v3, v10
	v_add_f32_e32 v1, v147, v164
	s_delay_alu instid0(VALU_DEP_4) | instskip(NEXT) | instid1(VALU_DEP_4)
	v_fmac_f32_e32 v139, v5, v12
	v_fma_f32 v140, v2, v10, -v11
	s_delay_alu instid0(VALU_DEP_4)
	v_fma_f32 v146, v4, v12, -v13
	s_clause 0x1
	scratch_load_b128 v[2:5], off, off offset:408
	scratch_load_b128 v[10:13], off, off offset:424
	v_add_f32_e32 v1, v1, v166
	v_add_f32_e32 v147, v148, v163
	s_delay_alu instid0(VALU_DEP_2) | instskip(NEXT) | instid1(VALU_DEP_2)
	v_add_f32_e32 v1, v1, v168
	v_add_f32_e32 v147, v147, v165
	s_delay_alu instid0(VALU_DEP_2) | instskip(NEXT) | instid1(VALU_DEP_2)
	;; [unrolled: 3-line block ×3, first 2 shown]
	v_add_f32_e32 v1, v1, v140
	v_add_f32_e32 v147, v147, v169
	s_delay_alu instid0(VALU_DEP_1) | instskip(SKIP_3) | instid1(VALU_DEP_2)
	v_dual_add_f32 v1, v1, v146 :: v_dual_add_f32 v24, v147, v24
	s_wait_loadcnt_dscnt 0x200
	v_mul_f32_e32 v152, v142, v15
	v_mul_f32_e32 v140, v144, v17
	v_fmac_f32_e32 v152, v143, v14
	s_delay_alu instid0(VALU_DEP_2)
	v_fmac_f32_e32 v140, v145, v16
	s_wait_loadcnt 0x1
	v_mul_f32_e32 v148, v6, v3
	v_mul_f32_e32 v3, v7, v3
	;; [unrolled: 1-line block ×3, first 2 shown]
	s_wait_loadcnt 0x0
	v_dual_mul_f32 v5, v9, v5 :: v_dual_mul_f32 v150, v18, v11
	v_fmac_f32_e32 v148, v7, v2
	v_fma_f32 v3, v6, v2, -v3
	v_fmac_f32_e32 v149, v9, v4
	s_delay_alu instid0(VALU_DEP_4) | instskip(SKIP_1) | instid1(VALU_DEP_4)
	v_fma_f32 v4, v8, v4, -v5
	v_dual_mul_f32 v6, v19, v11 :: v_dual_mul_f32 v151, v20, v13
	v_add_f32_e32 v1, v1, v3
	v_dual_mul_f32 v3, v21, v13 :: v_dual_fmac_f32 v150, v19, v10
	s_delay_alu instid0(VALU_DEP_3) | instskip(NEXT) | instid1(VALU_DEP_4)
	v_fma_f32 v5, v18, v10, -v6
	v_fmac_f32_e32 v151, v21, v12
	s_delay_alu instid0(VALU_DEP_4) | instskip(SKIP_2) | instid1(VALU_DEP_3)
	v_dual_add_f32 v1, v1, v4 :: v_dual_mul_f32 v4, v143, v15
	v_add_f32_e32 v2, v24, v139
	v_fma_f32 v3, v20, v12, -v3
	v_add_f32_e32 v1, v1, v5
	s_delay_alu instid0(VALU_DEP_3) | instskip(SKIP_1) | instid1(VALU_DEP_3)
	v_dual_mul_f32 v5, v145, v17 :: v_dual_add_f32 v2, v2, v148
	v_fma_f32 v4, v142, v14, -v4
	v_add_f32_e32 v1, v1, v3
	s_delay_alu instid0(VALU_DEP_3) | instskip(NEXT) | instid1(VALU_DEP_2)
	v_fma_f32 v3, v144, v16, -v5
	v_dual_add_f32 v2, v2, v149 :: v_dual_add_f32 v1, v1, v4
	s_delay_alu instid0(VALU_DEP_1) | instskip(NEXT) | instid1(VALU_DEP_1)
	v_dual_add_f32 v2, v2, v150 :: v_dual_add_f32 v1, v1, v3
	v_add_f32_e32 v2, v2, v151
	s_delay_alu instid0(VALU_DEP_2) | instskip(NEXT) | instid1(VALU_DEP_2)
	v_sub_f32_e32 v1, v22, v1
	v_add_f32_e32 v2, v2, v152
	s_delay_alu instid0(VALU_DEP_1) | instskip(NEXT) | instid1(VALU_DEP_1)
	v_add_f32_e32 v2, v2, v140
	v_sub_f32_e32 v2, v23, v2
	scratch_store_b64 off, v[1:2], off offset:224
	v_cmpx_lt_u32_e32 27, v0
	s_cbranch_execz .LBB56_301
; %bb.300:
	scratch_load_b64 v[1:2], off, off offset:216
	v_mov_b32_e32 v3, 0
	s_delay_alu instid0(VALU_DEP_1)
	v_mov_b32_e32 v4, v3
	scratch_store_b64 off, v[3:4], off offset:216
	s_wait_loadcnt 0x0
	ds_store_b64 v141, v[1:2]
.LBB56_301:
	s_wait_alu 0xfffe
	s_or_b32 exec_lo, exec_lo, s0
	s_wait_storecnt_dscnt 0x0
	s_barrier_signal -1
	s_barrier_wait -1
	global_inv scope:SCOPE_SE
	s_clause 0x4
	scratch_load_b128 v[2:5], off, off offset:224
	scratch_load_b128 v[6:9], off, off offset:240
	;; [unrolled: 1-line block ×5, first 2 shown]
	v_mov_b32_e32 v1, 0
	ds_load_b128 v[142:145], v1 offset:688
	ds_load_b128 v[146:149], v1 offset:704
	;; [unrolled: 1-line block ×3, first 2 shown]
	scratch_load_b64 v[22:23], off, off offset:216
	s_mov_b32 s0, exec_lo
	s_wait_loadcnt_dscnt 0x502
	v_mul_f32_e32 v24, v143, v3
	v_dual_mul_f32 v139, v142, v3 :: v_dual_mul_f32 v140, v144, v5
	v_mul_f32_e32 v3, v145, v5
	s_wait_loadcnt_dscnt 0x300
	v_mul_f32_e32 v154, v152, v13
	v_fma_f32 v24, v142, v2, -v24
	v_dual_fmac_f32 v139, v143, v2 :: v_dual_fmac_f32 v140, v145, v4
	v_fma_f32 v142, v144, v4, -v3
	ds_load_b128 v[2:5], v1 offset:736
	v_dual_mul_f32 v143, v146, v7 :: v_dual_mul_f32 v144, v148, v9
	v_mul_f32_e32 v7, v147, v7
	v_mul_f32_e32 v9, v149, v9
	v_mul_f32_e32 v145, v150, v11
	v_dual_mul_f32 v11, v151, v11 :: v_dual_fmac_f32 v154, v153, v12
	v_mul_f32_e32 v13, v153, v13
	v_fmac_f32_e32 v143, v147, v6
	v_fma_f32 v146, v146, v6, -v7
	v_fmac_f32_e32 v144, v149, v8
	v_fma_f32 v147, v148, v8, -v9
	scratch_load_b128 v[6:9], off, off offset:304
	v_fmac_f32_e32 v145, v151, v10
	v_fma_f32 v148, v150, v10, -v11
	v_fma_f32 v149, v152, v12, -v13
	ds_load_b128 v[10:13], v1 offset:752
	s_wait_loadcnt_dscnt 0x301
	v_mul_f32_e32 v150, v2, v15
	v_mul_f32_e32 v15, v3, v15
	;; [unrolled: 1-line block ×3, first 2 shown]
	s_delay_alu instid0(VALU_DEP_3) | instskip(NEXT) | instid1(VALU_DEP_3)
	v_dual_mul_f32 v17, v5, v17 :: v_dual_fmac_f32 v150, v3, v14
	v_fma_f32 v14, v2, v14, -v15
	s_delay_alu instid0(VALU_DEP_3) | instskip(NEXT) | instid1(VALU_DEP_3)
	v_fmac_f32_e32 v151, v5, v16
	v_fma_f32 v15, v4, v16, -v17
	ds_load_b128 v[2:5], v1 offset:768
	s_wait_loadcnt_dscnt 0x201
	v_mul_f32_e32 v16, v10, v19
	v_mul_f32_e32 v17, v11, v19
	;; [unrolled: 1-line block ×3, first 2 shown]
	s_delay_alu instid0(VALU_DEP_3) | instskip(NEXT) | instid1(VALU_DEP_3)
	v_dual_mul_f32 v21, v13, v21 :: v_dual_fmac_f32 v16, v11, v18
	v_fma_f32 v17, v10, v18, -v17
	s_delay_alu instid0(VALU_DEP_3) | instskip(NEXT) | instid1(VALU_DEP_3)
	v_fmac_f32_e32 v19, v13, v20
	v_fma_f32 v18, v12, v20, -v21
	scratch_load_b128 v[10:13], off, off offset:320
	s_wait_loadcnt_dscnt 0x100
	v_mul_f32_e32 v20, v2, v7
	v_mul_f32_e32 v7, v3, v7
	;; [unrolled: 1-line block ×3, first 2 shown]
	s_delay_alu instid0(VALU_DEP_3) | instskip(NEXT) | instid1(VALU_DEP_3)
	v_dual_mul_f32 v9, v5, v9 :: v_dual_fmac_f32 v20, v3, v6
	v_fma_f32 v152, v2, v6, -v7
	s_delay_alu instid0(VALU_DEP_3) | instskip(NEXT) | instid1(VALU_DEP_3)
	v_fmac_f32_e32 v21, v5, v8
	v_fma_f32 v153, v4, v8, -v9
	ds_load_b128 v[2:5], v1 offset:784
	ds_load_b128 v[6:9], v1 offset:800
	s_wait_loadcnt_dscnt 0x1
	v_mul_f32_e32 v155, v2, v11
	v_dual_mul_f32 v11, v3, v11 :: v_dual_mul_f32 v156, v4, v13
	s_delay_alu instid0(VALU_DEP_2) | instskip(NEXT) | instid1(VALU_DEP_2)
	v_fmac_f32_e32 v155, v3, v10
	v_fma_f32 v157, v2, v10, -v11
	v_mul_f32_e32 v2, v5, v13
	s_delay_alu instid0(VALU_DEP_4) | instskip(NEXT) | instid1(VALU_DEP_2)
	v_fmac_f32_e32 v156, v5, v12
	v_fma_f32 v158, v4, v12, -v2
	s_clause 0x1
	scratch_load_b128 v[2:5], off, off offset:336
	scratch_load_b128 v[10:13], off, off offset:352
	s_wait_loadcnt_dscnt 0x100
	v_mul_f32_e32 v159, v6, v3
	v_mul_f32_e32 v3, v7, v3
	;; [unrolled: 1-line block ×3, first 2 shown]
	s_delay_alu instid0(VALU_DEP_3) | instskip(NEXT) | instid1(VALU_DEP_3)
	v_fmac_f32_e32 v159, v7, v2
	v_fma_f32 v160, v6, v2, -v3
	v_mul_f32_e32 v2, v9, v5
	s_delay_alu instid0(VALU_DEP_4) | instskip(NEXT) | instid1(VALU_DEP_2)
	v_fmac_f32_e32 v161, v9, v4
	v_fma_f32 v162, v8, v4, -v2
	ds_load_b128 v[2:5], v1 offset:816
	ds_load_b128 v[6:9], v1 offset:832
	s_wait_loadcnt_dscnt 0x1
	v_mul_f32_e32 v163, v2, v11
	v_mul_f32_e32 v165, v4, v13
	s_delay_alu instid0(VALU_DEP_2) | instskip(SKIP_1) | instid1(VALU_DEP_3)
	v_fmac_f32_e32 v163, v3, v10
	v_mul_f32_e32 v3, v3, v11
	v_fmac_f32_e32 v165, v5, v12
	s_delay_alu instid0(VALU_DEP_2) | instskip(SKIP_1) | instid1(VALU_DEP_1)
	v_fma_f32 v164, v2, v10, -v3
	v_mul_f32_e32 v2, v5, v13
	v_fma_f32 v166, v4, v12, -v2
	s_clause 0x1
	scratch_load_b128 v[2:5], off, off offset:368
	scratch_load_b128 v[10:13], off, off offset:384
	s_wait_loadcnt_dscnt 0x100
	v_mul_f32_e32 v167, v6, v3
	v_mul_f32_e32 v3, v7, v3
	s_delay_alu instid0(VALU_DEP_2) | instskip(NEXT) | instid1(VALU_DEP_2)
	v_fmac_f32_e32 v167, v7, v2
	v_fma_f32 v168, v6, v2, -v3
	v_dual_mul_f32 v2, v9, v5 :: v_dual_add_f32 v3, 0, v139
	s_delay_alu instid0(VALU_DEP_1) | instskip(SKIP_1) | instid1(VALU_DEP_3)
	v_fma_f32 v170, v8, v4, -v2
	v_add_f32_e32 v2, 0, v24
	v_add_f32_e32 v3, v3, v140
	scratch_load_b64 v[139:140], off, off offset:448
	v_dual_add_f32 v2, v2, v142 :: v_dual_add_f32 v3, v3, v143
	s_delay_alu instid0(VALU_DEP_1) | instskip(NEXT) | instid1(VALU_DEP_1)
	v_dual_add_f32 v2, v2, v146 :: v_dual_add_f32 v3, v3, v144
	v_add_f32_e32 v2, v2, v147
	s_delay_alu instid0(VALU_DEP_2) | instskip(NEXT) | instid1(VALU_DEP_2)
	v_add_f32_e32 v6, v3, v145
	v_add_f32_e32 v2, v2, v148
	s_delay_alu instid0(VALU_DEP_2) | instskip(NEXT) | instid1(VALU_DEP_2)
	v_add_f32_e32 v6, v6, v154
	;; [unrolled: 3-line block ×3, first 2 shown]
	v_add_f32_e32 v7, v7, v14
	s_delay_alu instid0(VALU_DEP_1) | instskip(NEXT) | instid1(VALU_DEP_3)
	v_add_f32_e32 v14, v7, v15
	v_add_f32_e32 v15, v6, v151
	s_delay_alu instid0(VALU_DEP_1) | instskip(NEXT) | instid1(VALU_DEP_1)
	v_dual_add_f32 v14, v14, v17 :: v_dual_add_f32 v15, v15, v16
	v_dual_add_f32 v14, v14, v18 :: v_dual_add_f32 v15, v15, v19
	s_delay_alu instid0(VALU_DEP_1) | instskip(NEXT) | instid1(VALU_DEP_1)
	v_add_f32_e32 v14, v14, v152
	v_dual_add_f32 v18, v15, v20 :: v_dual_add_f32 v19, v14, v153
	scratch_load_b128 v[14:17], off, off offset:432
	v_add_f32_e32 v18, v18, v21
	s_delay_alu instid0(VALU_DEP_1) | instskip(NEXT) | instid1(VALU_DEP_1)
	v_dual_add_f32 v19, v19, v157 :: v_dual_add_f32 v18, v18, v155
	v_dual_add_f32 v19, v19, v158 :: v_dual_add_f32 v18, v18, v156
	v_mul_f32_e32 v169, v8, v5
	s_delay_alu instid0(VALU_DEP_2) | instskip(NEXT) | instid1(VALU_DEP_2)
	v_dual_add_f32 v19, v19, v160 :: v_dual_add_f32 v18, v18, v159
	v_fmac_f32_e32 v169, v9, v4
	ds_load_b128 v[2:5], v1 offset:848
	ds_load_b128 v[6:9], v1 offset:864
	v_add_f32_e32 v19, v19, v162
	s_delay_alu instid0(VALU_DEP_1)
	v_add_f32_e32 v146, v19, v164
	s_wait_loadcnt_dscnt 0x201
	v_mul_f32_e32 v24, v2, v11
	v_mul_f32_e32 v148, v4, v13
	v_add_f32_e32 v142, v18, v161
	ds_load_b128 v[18:21], v1 offset:880
	v_fmac_f32_e32 v24, v3, v10
	v_dual_fmac_f32 v148, v5, v12 :: v_dual_add_f32 v147, v142, v163
	ds_load_b128 v[142:145], v1 offset:896
	v_dual_add_f32 v151, v146, v166 :: v_dual_add_f32 v152, v147, v165
	ds_load_b64 v[146:147], v1 offset:912
	v_dual_mul_f32 v13, v5, v13 :: v_dual_add_f32 v152, v152, v167
	s_delay_alu instid0(VALU_DEP_1) | instskip(NEXT) | instid1(VALU_DEP_1)
	v_add_f32_e32 v152, v152, v169
	v_dual_add_f32 v24, v152, v24 :: v_dual_mul_f32 v11, v3, v11
	s_delay_alu instid0(VALU_DEP_1) | instskip(NEXT) | instid1(VALU_DEP_2)
	v_add_f32_e32 v24, v24, v148
	v_fma_f32 v149, v2, v10, -v11
	s_wait_loadcnt_dscnt 0x100
	v_mul_f32_e32 v148, v146, v140
	v_fma_f32 v150, v4, v12, -v13
	s_clause 0x1
	scratch_load_b128 v[2:5], off, off offset:400
	scratch_load_b128 v[10:13], off, off offset:416
	v_fmac_f32_e32 v148, v147, v139
	s_wait_loadcnt 0x2
	v_mul_f32_e32 v155, v142, v15
	s_delay_alu instid0(VALU_DEP_1)
	v_fmac_f32_e32 v155, v143, v14
	s_wait_loadcnt 0x1
	v_mul_f32_e32 v153, v6, v3
	v_dual_mul_f32 v3, v7, v3 :: v_dual_mul_f32 v154, v8, v5
	v_mul_f32_e32 v5, v9, v5
	s_wait_loadcnt 0x0
	s_delay_alu instid0(VALU_DEP_3) | instskip(NEXT) | instid1(VALU_DEP_3)
	v_dual_mul_f32 v152, v20, v13 :: v_dual_fmac_f32 v153, v7, v2
	v_fma_f32 v3, v6, v2, -v3
	v_mul_f32_e32 v6, v21, v13
	v_fmac_f32_e32 v154, v9, v4
	v_fma_f32 v2, v8, v4, -v5
	v_mul_f32_e32 v4, v19, v11
	v_fmac_f32_e32 v152, v21, v12
	v_fma_f32 v6, v20, v12, -v6
	v_add_f32_e32 v151, v151, v168
	v_add_f32_e32 v5, v24, v153
	v_fma_f32 v4, v18, v10, -v4
	s_delay_alu instid0(VALU_DEP_3) | instskip(NEXT) | instid1(VALU_DEP_1)
	v_add_f32_e32 v151, v151, v170
	v_add_f32_e32 v149, v151, v149
	v_mul_f32_e32 v151, v18, v11
	s_delay_alu instid0(VALU_DEP_2) | instskip(NEXT) | instid1(VALU_DEP_2)
	v_add_f32_e32 v149, v149, v150
	v_dual_fmac_f32 v151, v19, v10 :: v_dual_mul_f32 v150, v144, v17
	s_delay_alu instid0(VALU_DEP_2) | instskip(NEXT) | instid1(VALU_DEP_2)
	v_add_f32_e32 v3, v149, v3
	v_fmac_f32_e32 v150, v145, v16
	s_delay_alu instid0(VALU_DEP_2) | instskip(SKIP_1) | instid1(VALU_DEP_2)
	v_add_f32_e32 v2, v3, v2
	v_add_f32_e32 v3, v5, v154
	v_dual_mul_f32 v5, v143, v15 :: v_dual_add_f32 v2, v2, v4
	s_delay_alu instid0(VALU_DEP_2) | instskip(NEXT) | instid1(VALU_DEP_2)
	v_dual_add_f32 v3, v3, v151 :: v_dual_mul_f32 v4, v145, v17
	v_fma_f32 v5, v142, v14, -v5
	s_delay_alu instid0(VALU_DEP_2) | instskip(SKIP_1) | instid1(VALU_DEP_4)
	v_dual_add_f32 v2, v2, v6 :: v_dual_add_f32 v3, v3, v152
	v_mul_f32_e32 v6, v147, v140
	v_fma_f32 v4, v144, v16, -v4
	s_delay_alu instid0(VALU_DEP_3) | instskip(NEXT) | instid1(VALU_DEP_3)
	v_dual_add_f32 v2, v2, v5 :: v_dual_add_f32 v3, v3, v155
	v_fma_f32 v5, v146, v139, -v6
	s_delay_alu instid0(VALU_DEP_2) | instskip(NEXT) | instid1(VALU_DEP_1)
	v_dual_add_f32 v2, v2, v4 :: v_dual_add_f32 v3, v3, v150
	v_dual_add_f32 v2, v2, v5 :: v_dual_add_f32 v3, v3, v148
	s_delay_alu instid0(VALU_DEP_1)
	v_dual_sub_f32 v2, v22, v2 :: v_dual_sub_f32 v3, v23, v3
	scratch_store_b64 off, v[2:3], off offset:216
	v_cmpx_lt_u32_e32 26, v0
	s_cbranch_execz .LBB56_303
; %bb.302:
	scratch_load_b64 v[3:4], off, off offset:208
	v_mov_b32_e32 v2, v1
	scratch_store_b64 off, v[1:2], off offset:208
	s_wait_loadcnt 0x0
	ds_store_b64 v141, v[3:4]
.LBB56_303:
	s_wait_alu 0xfffe
	s_or_b32 exec_lo, exec_lo, s0
	s_wait_storecnt_dscnt 0x0
	s_barrier_signal -1
	s_barrier_wait -1
	global_inv scope:SCOPE_SE
	s_clause 0x4
	scratch_load_b128 v[2:5], off, off offset:216
	scratch_load_b128 v[6:9], off, off offset:232
	;; [unrolled: 1-line block ×5, first 2 shown]
	ds_load_2addr_b64 v[142:145], v1 offset0:85 offset1:86
	ds_load_2addr_b64 v[146:149], v1 offset0:87 offset1:88
	;; [unrolled: 1-line block ×3, first 2 shown]
	scratch_load_b64 v[22:23], off, off offset:208
	s_mov_b32 s0, exec_lo
	s_wait_loadcnt_dscnt 0x502
	v_mul_f32_e32 v24, v143, v3
	v_dual_mul_f32 v139, v142, v3 :: v_dual_mul_f32 v140, v144, v5
	v_mul_f32_e32 v3, v145, v5
	s_wait_loadcnt_dscnt 0x300
	v_mul_f32_e32 v154, v152, v13
	v_fma_f32 v24, v142, v2, -v24
	v_dual_fmac_f32 v139, v143, v2 :: v_dual_fmac_f32 v140, v145, v4
	v_fma_f32 v142, v144, v4, -v3
	ds_load_2addr_b64 v[2:5], v1 offset0:91 offset1:92
	v_dual_mul_f32 v143, v146, v7 :: v_dual_mul_f32 v144, v148, v9
	v_mul_f32_e32 v7, v147, v7
	v_mul_f32_e32 v9, v149, v9
	;; [unrolled: 1-line block ×3, first 2 shown]
	v_dual_mul_f32 v11, v151, v11 :: v_dual_fmac_f32 v154, v153, v12
	v_mul_f32_e32 v13, v153, v13
	v_fmac_f32_e32 v143, v147, v6
	v_fma_f32 v146, v146, v6, -v7
	v_fmac_f32_e32 v144, v149, v8
	v_fma_f32 v147, v148, v8, -v9
	scratch_load_b128 v[6:9], off, off offset:296
	v_fmac_f32_e32 v145, v151, v10
	v_fma_f32 v148, v150, v10, -v11
	v_fma_f32 v149, v152, v12, -v13
	ds_load_2addr_b64 v[10:13], v1 offset0:93 offset1:94
	s_wait_loadcnt_dscnt 0x301
	v_mul_f32_e32 v150, v2, v15
	v_mul_f32_e32 v15, v3, v15
	v_mul_f32_e32 v151, v4, v17
	s_delay_alu instid0(VALU_DEP_3) | instskip(NEXT) | instid1(VALU_DEP_3)
	v_dual_mul_f32 v17, v5, v17 :: v_dual_fmac_f32 v150, v3, v14
	v_fma_f32 v14, v2, v14, -v15
	s_delay_alu instid0(VALU_DEP_3) | instskip(NEXT) | instid1(VALU_DEP_3)
	v_fmac_f32_e32 v151, v5, v16
	v_fma_f32 v15, v4, v16, -v17
	ds_load_2addr_b64 v[2:5], v1 offset0:95 offset1:96
	s_wait_loadcnt_dscnt 0x201
	v_mul_f32_e32 v16, v10, v19
	v_mul_f32_e32 v17, v11, v19
	;; [unrolled: 1-line block ×3, first 2 shown]
	s_delay_alu instid0(VALU_DEP_3) | instskip(NEXT) | instid1(VALU_DEP_3)
	v_dual_mul_f32 v21, v13, v21 :: v_dual_fmac_f32 v16, v11, v18
	v_fma_f32 v17, v10, v18, -v17
	s_delay_alu instid0(VALU_DEP_3) | instskip(NEXT) | instid1(VALU_DEP_3)
	v_fmac_f32_e32 v19, v13, v20
	v_fma_f32 v18, v12, v20, -v21
	scratch_load_b128 v[10:13], off, off offset:312
	s_wait_loadcnt_dscnt 0x100
	v_mul_f32_e32 v20, v2, v7
	v_mul_f32_e32 v7, v3, v7
	;; [unrolled: 1-line block ×3, first 2 shown]
	s_delay_alu instid0(VALU_DEP_3) | instskip(NEXT) | instid1(VALU_DEP_3)
	v_dual_mul_f32 v9, v5, v9 :: v_dual_fmac_f32 v20, v3, v6
	v_fma_f32 v152, v2, v6, -v7
	s_delay_alu instid0(VALU_DEP_3) | instskip(NEXT) | instid1(VALU_DEP_3)
	v_fmac_f32_e32 v21, v5, v8
	v_fma_f32 v153, v4, v8, -v9
	ds_load_2addr_b64 v[2:5], v1 offset0:97 offset1:98
	ds_load_2addr_b64 v[6:9], v1 offset0:99 offset1:100
	s_wait_loadcnt_dscnt 0x1
	v_mul_f32_e32 v155, v2, v11
	v_dual_mul_f32 v11, v3, v11 :: v_dual_mul_f32 v156, v4, v13
	s_delay_alu instid0(VALU_DEP_2) | instskip(NEXT) | instid1(VALU_DEP_2)
	v_fmac_f32_e32 v155, v3, v10
	v_fma_f32 v157, v2, v10, -v11
	v_mul_f32_e32 v2, v5, v13
	s_delay_alu instid0(VALU_DEP_4) | instskip(NEXT) | instid1(VALU_DEP_2)
	v_fmac_f32_e32 v156, v5, v12
	v_fma_f32 v158, v4, v12, -v2
	s_clause 0x1
	scratch_load_b128 v[2:5], off, off offset:328
	scratch_load_b128 v[10:13], off, off offset:344
	s_wait_loadcnt_dscnt 0x100
	v_mul_f32_e32 v159, v6, v3
	v_mul_f32_e32 v3, v7, v3
	;; [unrolled: 1-line block ×3, first 2 shown]
	s_delay_alu instid0(VALU_DEP_3) | instskip(NEXT) | instid1(VALU_DEP_3)
	v_fmac_f32_e32 v159, v7, v2
	v_fma_f32 v160, v6, v2, -v3
	v_mul_f32_e32 v2, v9, v5
	s_delay_alu instid0(VALU_DEP_4) | instskip(NEXT) | instid1(VALU_DEP_2)
	v_fmac_f32_e32 v161, v9, v4
	v_fma_f32 v162, v8, v4, -v2
	ds_load_2addr_b64 v[2:5], v1 offset0:101 offset1:102
	ds_load_2addr_b64 v[6:9], v1 offset0:103 offset1:104
	s_wait_loadcnt_dscnt 0x1
	v_mul_f32_e32 v163, v2, v11
	v_mul_f32_e32 v165, v4, v13
	s_delay_alu instid0(VALU_DEP_2) | instskip(SKIP_1) | instid1(VALU_DEP_3)
	v_fmac_f32_e32 v163, v3, v10
	v_mul_f32_e32 v3, v3, v11
	v_fmac_f32_e32 v165, v5, v12
	s_delay_alu instid0(VALU_DEP_2) | instskip(SKIP_1) | instid1(VALU_DEP_1)
	v_fma_f32 v164, v2, v10, -v3
	v_mul_f32_e32 v2, v5, v13
	v_fma_f32 v166, v4, v12, -v2
	s_clause 0x1
	scratch_load_b128 v[2:5], off, off offset:360
	scratch_load_b128 v[10:13], off, off offset:376
	s_wait_loadcnt_dscnt 0x100
	v_mul_f32_e32 v167, v6, v3
	v_mul_f32_e32 v3, v7, v3
	s_delay_alu instid0(VALU_DEP_2) | instskip(NEXT) | instid1(VALU_DEP_2)
	v_fmac_f32_e32 v167, v7, v2
	v_fma_f32 v168, v6, v2, -v3
	v_dual_mul_f32 v2, v9, v5 :: v_dual_add_f32 v3, 0, v139
	s_delay_alu instid0(VALU_DEP_1) | instskip(SKIP_1) | instid1(VALU_DEP_1)
	v_fma_f32 v170, v8, v4, -v2
	v_add_f32_e32 v2, 0, v24
	v_dual_add_f32 v3, v3, v140 :: v_dual_add_f32 v2, v2, v142
	s_delay_alu instid0(VALU_DEP_1) | instskip(NEXT) | instid1(VALU_DEP_1)
	v_dual_add_f32 v3, v3, v143 :: v_dual_add_f32 v2, v2, v146
	v_dual_add_f32 v3, v3, v144 :: v_dual_add_f32 v2, v2, v147
	s_delay_alu instid0(VALU_DEP_1) | instskip(NEXT) | instid1(VALU_DEP_1)
	v_dual_add_f32 v3, v3, v145 :: v_dual_add_f32 v2, v2, v148
	v_add_f32_e32 v6, v3, v154
	s_delay_alu instid0(VALU_DEP_2) | instskip(NEXT) | instid1(VALU_DEP_1)
	v_add_f32_e32 v2, v2, v149
	v_add_f32_e32 v7, v2, v14
	s_delay_alu instid0(VALU_DEP_1) | instskip(NEXT) | instid1(VALU_DEP_1)
	v_dual_add_f32 v14, v6, v150 :: v_dual_add_f32 v15, v7, v15
	v_dual_add_f32 v14, v14, v151 :: v_dual_add_f32 v15, v15, v17
	s_delay_alu instid0(VALU_DEP_1) | instskip(NEXT) | instid1(VALU_DEP_1)
	v_add_f32_e32 v14, v14, v16
	v_dual_add_f32 v18, v15, v18 :: v_dual_add_f32 v19, v14, v19
	ds_load_2addr_b64 v[14:17], v1 offset0:107 offset1:108
	v_add_f32_e32 v18, v18, v152
	s_delay_alu instid0(VALU_DEP_1) | instskip(NEXT) | instid1(VALU_DEP_1)
	v_dual_add_f32 v19, v19, v20 :: v_dual_add_f32 v18, v18, v153
	v_add_f32_e32 v19, v19, v21
	s_delay_alu instid0(VALU_DEP_2) | instskip(NEXT) | instid1(VALU_DEP_1)
	v_add_f32_e32 v18, v18, v157
	v_dual_add_f32 v142, v19, v155 :: v_dual_add_f32 v143, v18, v158
	s_delay_alu instid0(VALU_DEP_1)
	v_dual_add_f32 v142, v142, v156 :: v_dual_mul_f32 v169, v8, v5
	scratch_load_b128 v[18:21], off, off offset:440
	v_dual_add_f32 v143, v143, v160 :: v_dual_add_f32 v142, v142, v159
	v_fmac_f32_e32 v169, v9, v4
	scratch_load_b128 v[6:9], off, off offset:392
	ds_load_2addr_b64 v[2:5], v1 offset0:105 offset1:106
	s_wait_loadcnt_dscnt 0x200
	v_dual_add_f32 v143, v143, v162 :: v_dual_mul_f32 v24, v2, v11
	v_mul_f32_e32 v11, v3, v11
	v_mul_f32_e32 v139, v4, v13
	s_delay_alu instid0(VALU_DEP_3) | instskip(NEXT) | instid1(VALU_DEP_3)
	v_dual_mul_f32 v13, v5, v13 :: v_dual_fmac_f32 v24, v3, v10
	v_fma_f32 v140, v2, v10, -v11
	s_delay_alu instid0(VALU_DEP_3) | instskip(NEXT) | instid1(VALU_DEP_3)
	v_fmac_f32_e32 v139, v5, v12
	v_fma_f32 v146, v4, v12, -v13
	s_clause 0x1
	scratch_load_b128 v[2:5], off, off offset:408
	scratch_load_b128 v[10:13], off, off offset:424
	s_wait_loadcnt 0x2
	v_mul_f32_e32 v147, v14, v7
	v_dual_mul_f32 v7, v15, v7 :: v_dual_mul_f32 v148, v16, v9
	v_mul_f32_e32 v9, v17, v9
	s_delay_alu instid0(VALU_DEP_3) | instskip(NEXT) | instid1(VALU_DEP_3)
	v_fmac_f32_e32 v147, v15, v6
	v_fma_f32 v149, v14, v6, -v7
	v_add_f32_e32 v14, v142, v161
	v_add_f32_e32 v142, v143, v164
	v_fmac_f32_e32 v148, v17, v8
	v_fma_f32 v150, v16, v8, -v9
	ds_load_2addr_b64 v[6:9], v1 offset0:109 offset1:110
	v_add_f32_e32 v143, v14, v163
	v_add_f32_e32 v151, v142, v166
	ds_load_2addr_b64 v[14:17], v1 offset0:111 offset1:112
	v_add_f32_e32 v152, v143, v165
	ds_load_2addr_b64 v[142:145], v1 offset0:113 offset1:114
	v_add_f32_e32 v1, v151, v168
	v_add_f32_e32 v151, v152, v167
	s_delay_alu instid0(VALU_DEP_2) | instskip(NEXT) | instid1(VALU_DEP_2)
	v_add_f32_e32 v1, v1, v170
	v_add_f32_e32 v151, v151, v169
	s_wait_loadcnt_dscnt 0x102
	s_delay_alu instid0(VALU_DEP_2) | instskip(SKIP_1) | instid1(VALU_DEP_2)
	v_dual_add_f32 v1, v1, v140 :: v_dual_mul_f32 v152, v6, v3
	v_dual_mul_f32 v3, v7, v3 :: v_dual_mul_f32 v140, v8, v5
	v_add_f32_e32 v1, v1, v146
	v_dual_mul_f32 v5, v9, v5 :: v_dual_add_f32 v24, v151, v24
	s_delay_alu instid0(VALU_DEP_3) | instskip(NEXT) | instid1(VALU_DEP_4)
	v_fma_f32 v3, v6, v2, -v3
	v_fmac_f32_e32 v140, v9, v4
	s_delay_alu instid0(VALU_DEP_4) | instskip(NEXT) | instid1(VALU_DEP_4)
	v_add_f32_e32 v1, v1, v149
	v_fma_f32 v4, v8, v4, -v5
	s_wait_loadcnt_dscnt 0x1
	v_dual_fmac_f32 v152, v7, v2 :: v_dual_mul_f32 v151, v14, v11
	s_delay_alu instid0(VALU_DEP_3) | instskip(SKIP_2) | instid1(VALU_DEP_3)
	v_dual_mul_f32 v6, v15, v11 :: v_dual_add_f32 v1, v1, v150
	v_mul_f32_e32 v153, v16, v13
	s_wait_dscnt 0x0
	v_dual_mul_f32 v146, v144, v21 :: v_dual_fmac_f32 v151, v15, v10
	s_delay_alu instid0(VALU_DEP_3) | instskip(SKIP_4) | instid1(VALU_DEP_4)
	v_fma_f32 v5, v14, v10, -v6
	v_add_f32_e32 v1, v1, v3
	v_mul_f32_e32 v3, v17, v13
	v_fmac_f32_e32 v153, v17, v12
	v_fmac_f32_e32 v146, v145, v20
	v_dual_add_f32 v1, v1, v4 :: v_dual_mul_f32 v4, v143, v19
	v_add_f32_e32 v24, v24, v139
	v_mul_f32_e32 v139, v142, v19
	v_fma_f32 v3, v16, v12, -v3
	s_delay_alu instid0(VALU_DEP_4) | instskip(NEXT) | instid1(VALU_DEP_4)
	v_add_f32_e32 v1, v1, v5
	v_dual_mul_f32 v5, v145, v21 :: v_dual_add_f32 v24, v24, v147
	s_delay_alu instid0(VALU_DEP_4) | instskip(SKIP_1) | instid1(VALU_DEP_4)
	v_fmac_f32_e32 v139, v143, v18
	v_fma_f32 v4, v142, v18, -v4
	v_add_f32_e32 v1, v1, v3
	s_delay_alu instid0(VALU_DEP_4) | instskip(SKIP_1) | instid1(VALU_DEP_3)
	v_fma_f32 v3, v144, v20, -v5
	v_add_f32_e32 v2, v24, v148
	v_add_f32_e32 v1, v1, v4
	s_delay_alu instid0(VALU_DEP_1) | instskip(NEXT) | instid1(VALU_DEP_1)
	v_dual_add_f32 v2, v2, v152 :: v_dual_add_f32 v1, v1, v3
	v_add_f32_e32 v2, v2, v140
	s_delay_alu instid0(VALU_DEP_2) | instskip(NEXT) | instid1(VALU_DEP_2)
	v_sub_f32_e32 v1, v22, v1
	v_add_f32_e32 v2, v2, v151
	s_delay_alu instid0(VALU_DEP_1) | instskip(NEXT) | instid1(VALU_DEP_1)
	v_add_f32_e32 v2, v2, v153
	v_add_f32_e32 v2, v2, v139
	s_delay_alu instid0(VALU_DEP_1) | instskip(NEXT) | instid1(VALU_DEP_1)
	v_add_f32_e32 v2, v2, v146
	v_sub_f32_e32 v2, v23, v2
	scratch_store_b64 off, v[1:2], off offset:208
	v_cmpx_lt_u32_e32 25, v0
	s_cbranch_execz .LBB56_305
; %bb.304:
	scratch_load_b64 v[1:2], off, off offset:200
	v_mov_b32_e32 v3, 0
	s_delay_alu instid0(VALU_DEP_1)
	v_mov_b32_e32 v4, v3
	scratch_store_b64 off, v[3:4], off offset:200
	s_wait_loadcnt 0x0
	ds_store_b64 v141, v[1:2]
.LBB56_305:
	s_wait_alu 0xfffe
	s_or_b32 exec_lo, exec_lo, s0
	s_wait_storecnt_dscnt 0x0
	s_barrier_signal -1
	s_barrier_wait -1
	global_inv scope:SCOPE_SE
	s_clause 0x4
	scratch_load_b128 v[5:8], off, off offset:208
	scratch_load_b128 v[1:4], off, off offset:224
	;; [unrolled: 1-line block ×5, first 2 shown]
	v_mov_b32_e32 v21, 0
	ds_load_b128 v[142:145], v21 offset:672
	ds_load_b128 v[146:149], v21 offset:688
	;; [unrolled: 1-line block ×3, first 2 shown]
	scratch_load_b64 v[22:23], off, off offset:200
	s_mov_b32 s0, exec_lo
	s_wait_loadcnt_dscnt 0x502
	v_mul_f32_e32 v24, v143, v6
	v_dual_mul_f32 v139, v142, v6 :: v_dual_mul_f32 v140, v144, v8
	v_mul_f32_e32 v6, v145, v8
	s_delay_alu instid0(VALU_DEP_3) | instskip(NEXT) | instid1(VALU_DEP_3)
	v_fma_f32 v24, v142, v5, -v24
	v_dual_fmac_f32 v139, v143, v5 :: v_dual_fmac_f32 v140, v145, v7
	s_wait_loadcnt_dscnt 0x401
	v_mul_f32_e32 v143, v146, v2
	v_fma_f32 v142, v144, v7, -v6
	ds_load_b128 v[5:8], v21 offset:720
	s_wait_loadcnt_dscnt 0x301
	v_dual_mul_f32 v144, v148, v4 :: v_dual_mul_f32 v145, v150, v10
	v_dual_mul_f32 v4, v149, v4 :: v_dual_fmac_f32 v143, v147, v1
	v_mul_f32_e32 v10, v151, v10
	s_delay_alu instid0(VALU_DEP_3)
	v_dual_mul_f32 v154, v152, v12 :: v_dual_fmac_f32 v145, v151, v9
	v_mul_f32_e32 v12, v153, v12
	v_mul_f32_e32 v2, v147, v2
	v_fmac_f32_e32 v144, v149, v3
	v_fma_f32 v147, v148, v3, -v4
	v_fma_f32 v148, v150, v9, -v10
	v_fmac_f32_e32 v154, v153, v11
	v_fma_f32 v149, v152, v11, -v12
	ds_load_b128 v[9:12], v21 offset:736
	s_wait_loadcnt_dscnt 0x201
	v_dual_mul_f32 v151, v7, v16 :: v_dual_mul_f32 v150, v5, v14
	v_mul_f32_e32 v14, v6, v14
	v_mul_f32_e32 v16, v8, v16
	s_delay_alu instid0(VALU_DEP_3)
	v_fmac_f32_e32 v151, v8, v15
	v_fma_f32 v146, v146, v1, -v2
	scratch_load_b128 v[1:4], off, off offset:288
	v_fmac_f32_e32 v150, v6, v13
	v_fma_f32 v13, v5, v13, -v14
	v_fma_f32 v14, v7, v15, -v16
	ds_load_b128 v[5:8], v21 offset:752
	s_wait_loadcnt_dscnt 0x201
	v_mul_f32_e32 v15, v9, v18
	v_mul_f32_e32 v16, v10, v18
	;; [unrolled: 1-line block ×3, first 2 shown]
	s_delay_alu instid0(VALU_DEP_3) | instskip(NEXT) | instid1(VALU_DEP_3)
	v_dual_mul_f32 v20, v12, v20 :: v_dual_fmac_f32 v15, v10, v17
	v_fma_f32 v16, v9, v17, -v16
	s_delay_alu instid0(VALU_DEP_3) | instskip(NEXT) | instid1(VALU_DEP_3)
	v_fmac_f32_e32 v18, v12, v19
	v_fma_f32 v17, v11, v19, -v20
	scratch_load_b128 v[9:12], off, off offset:304
	s_wait_loadcnt_dscnt 0x100
	v_mul_f32_e32 v19, v5, v2
	v_mul_f32_e32 v2, v6, v2
	;; [unrolled: 1-line block ×3, first 2 shown]
	s_delay_alu instid0(VALU_DEP_3) | instskip(NEXT) | instid1(VALU_DEP_3)
	v_dual_mul_f32 v4, v8, v4 :: v_dual_fmac_f32 v19, v6, v1
	v_fma_f32 v152, v5, v1, -v2
	s_delay_alu instid0(VALU_DEP_3) | instskip(NEXT) | instid1(VALU_DEP_3)
	v_fmac_f32_e32 v20, v8, v3
	v_fma_f32 v153, v7, v3, -v4
	ds_load_b128 v[1:4], v21 offset:768
	ds_load_b128 v[5:8], v21 offset:784
	s_wait_loadcnt_dscnt 0x1
	v_mul_f32_e32 v155, v1, v10
	v_mul_f32_e32 v10, v2, v10
	s_delay_alu instid0(VALU_DEP_2) | instskip(NEXT) | instid1(VALU_DEP_2)
	v_dual_mul_f32 v156, v3, v12 :: v_dual_fmac_f32 v155, v2, v9
	v_fma_f32 v157, v1, v9, -v10
	v_mul_f32_e32 v1, v4, v12
	s_delay_alu instid0(VALU_DEP_3) | instskip(NEXT) | instid1(VALU_DEP_2)
	v_fmac_f32_e32 v156, v4, v11
	v_fma_f32 v158, v3, v11, -v1
	s_clause 0x1
	scratch_load_b128 v[1:4], off, off offset:320
	scratch_load_b128 v[9:12], off, off offset:336
	s_wait_loadcnt_dscnt 0x100
	v_mul_f32_e32 v159, v5, v2
	v_dual_mul_f32 v2, v6, v2 :: v_dual_mul_f32 v161, v7, v4
	s_delay_alu instid0(VALU_DEP_2) | instskip(NEXT) | instid1(VALU_DEP_2)
	v_fmac_f32_e32 v159, v6, v1
	v_fma_f32 v160, v5, v1, -v2
	v_mul_f32_e32 v1, v8, v4
	s_delay_alu instid0(VALU_DEP_4) | instskip(NEXT) | instid1(VALU_DEP_2)
	v_fmac_f32_e32 v161, v8, v3
	v_fma_f32 v162, v7, v3, -v1
	ds_load_b128 v[1:4], v21 offset:800
	ds_load_b128 v[5:8], v21 offset:816
	s_wait_loadcnt_dscnt 0x1
	v_mul_f32_e32 v163, v1, v10
	v_mul_f32_e32 v165, v3, v12
	s_delay_alu instid0(VALU_DEP_2) | instskip(NEXT) | instid1(VALU_DEP_2)
	v_fmac_f32_e32 v163, v2, v9
	v_dual_mul_f32 v2, v2, v10 :: v_dual_fmac_f32 v165, v4, v11
	s_delay_alu instid0(VALU_DEP_1) | instskip(SKIP_1) | instid1(VALU_DEP_1)
	v_fma_f32 v164, v1, v9, -v2
	v_mul_f32_e32 v1, v4, v12
	v_fma_f32 v166, v3, v11, -v1
	s_clause 0x1
	scratch_load_b128 v[1:4], off, off offset:352
	scratch_load_b128 v[9:12], off, off offset:368
	s_wait_loadcnt_dscnt 0x100
	v_mul_f32_e32 v167, v5, v2
	v_dual_mul_f32 v169, v7, v4 :: v_dual_mul_f32 v2, v6, v2
	s_delay_alu instid0(VALU_DEP_2) | instskip(NEXT) | instid1(VALU_DEP_2)
	v_fmac_f32_e32 v167, v6, v1
	v_fmac_f32_e32 v169, v8, v3
	s_delay_alu instid0(VALU_DEP_3) | instskip(SKIP_1) | instid1(VALU_DEP_1)
	v_fma_f32 v168, v5, v1, -v2
	v_dual_mul_f32 v1, v8, v4 :: v_dual_add_f32 v2, 0, v139
	v_fma_f32 v170, v7, v3, -v1
	s_delay_alu instid0(VALU_DEP_2) | instskip(NEXT) | instid1(VALU_DEP_1)
	v_add_f32_e32 v2, v2, v140
	v_dual_add_f32 v1, 0, v24 :: v_dual_add_f32 v2, v2, v143
	s_delay_alu instid0(VALU_DEP_1) | instskip(NEXT) | instid1(VALU_DEP_1)
	v_dual_add_f32 v1, v1, v142 :: v_dual_add_f32 v2, v2, v144
	v_dual_add_f32 v1, v1, v146 :: v_dual_add_f32 v2, v2, v145
	s_delay_alu instid0(VALU_DEP_1) | instskip(NEXT) | instid1(VALU_DEP_1)
	v_add_f32_e32 v1, v1, v147
	v_add_f32_e32 v1, v1, v148
	s_delay_alu instid0(VALU_DEP_1) | instskip(NEXT) | instid1(VALU_DEP_1)
	v_add_f32_e32 v1, v1, v149
	v_dual_add_f32 v5, v2, v154 :: v_dual_add_f32 v6, v1, v13
	scratch_load_b128 v[1:4], off, off offset:384
	v_add_f32_e32 v13, v5, v150
	v_add_f32_e32 v14, v6, v14
	ds_load_b128 v[5:8], v21 offset:832
	v_dual_add_f32 v13, v13, v151 :: v_dual_add_f32 v14, v14, v16
	s_delay_alu instid0(VALU_DEP_1) | instskip(NEXT) | instid1(VALU_DEP_1)
	v_add_f32_e32 v13, v13, v15
	v_dual_add_f32 v17, v14, v17 :: v_dual_add_f32 v18, v13, v18
	ds_load_b128 v[13:16], v21 offset:848
	v_add_f32_e32 v18, v18, v19
	s_wait_loadcnt_dscnt 0x101
	v_mul_f32_e32 v148, v7, v12
	s_delay_alu instid0(VALU_DEP_2) | instskip(SKIP_2) | instid1(VALU_DEP_3)
	v_add_f32_e32 v18, v18, v20
	v_mul_f32_e32 v24, v5, v10
	v_mul_f32_e32 v10, v6, v10
	v_dual_mul_f32 v12, v8, v12 :: v_dual_add_f32 v139, v18, v155
	s_delay_alu instid0(VALU_DEP_3) | instskip(NEXT) | instid1(VALU_DEP_3)
	v_dual_add_f32 v17, v17, v152 :: v_dual_fmac_f32 v24, v6, v9
	v_fma_f32 v149, v5, v9, -v10
	s_delay_alu instid0(VALU_DEP_3) | instskip(NEXT) | instid1(VALU_DEP_3)
	v_fma_f32 v150, v7, v11, -v12
	v_dual_add_f32 v17, v17, v153 :: v_dual_fmac_f32 v148, v8, v11
	s_clause 0x1
	scratch_load_b128 v[5:8], off, off offset:400
	scratch_load_b128 v[9:12], off, off offset:416
	v_dual_add_f32 v142, v139, v156 :: v_dual_add_f32 v17, v17, v157
	s_delay_alu instid0(VALU_DEP_1)
	v_add_f32_e32 v140, v17, v158
	scratch_load_b128 v[17:20], off, off offset:432
	s_wait_loadcnt_dscnt 0x300
	v_mul_f32_e32 v151, v13, v2
	v_dual_add_f32 v143, v140, v160 :: v_dual_add_f32 v142, v142, v159
	scratch_load_b64 v[139:140], off, off offset:448
	v_mul_f32_e32 v2, v14, v2
	v_dual_mul_f32 v152, v15, v4 :: v_dual_fmac_f32 v151, v14, v1
	v_dual_add_f32 v143, v143, v162 :: v_dual_mul_f32 v4, v16, v4
	s_delay_alu instid0(VALU_DEP_1) | instskip(NEXT) | instid1(VALU_DEP_2)
	v_add_f32_e32 v143, v143, v164
	v_fma_f32 v154, v15, v3, -v4
	s_delay_alu instid0(VALU_DEP_2) | instskip(NEXT) | instid1(VALU_DEP_1)
	v_add_f32_e32 v14, v143, v166
	v_add_f32_e32 v146, v14, v168
	s_delay_alu instid0(VALU_DEP_1) | instskip(NEXT) | instid1(VALU_DEP_1)
	v_dual_fmac_f32 v152, v16, v3 :: v_dual_add_f32 v155, v146, v170
	v_add_f32_e32 v149, v155, v149
	v_fma_f32 v153, v13, v1, -v2
	ds_load_b128 v[1:4], v21 offset:864
	v_dual_add_f32 v142, v142, v161 :: v_dual_add_f32 v149, v149, v150
	s_delay_alu instid0(VALU_DEP_1) | instskip(NEXT) | instid1(VALU_DEP_2)
	v_add_f32_e32 v13, v142, v163
	v_add_f32_e32 v149, v149, v153
	s_delay_alu instid0(VALU_DEP_2)
	v_add_f32_e32 v142, v13, v165
	ds_load_b128 v[13:16], v21 offset:880
	v_add_f32_e32 v149, v149, v154
	v_add_f32_e32 v147, v142, v167
	ds_load_b128 v[142:145], v21 offset:896
	s_wait_loadcnt_dscnt 0x302
	v_dual_mul_f32 v155, v1, v6 :: v_dual_add_f32 v156, v147, v169
	ds_load_b64 v[146:147], v21 offset:912
	v_mul_f32_e32 v6, v2, v6
	v_fmac_f32_e32 v155, v2, v5
	s_delay_alu instid0(VALU_DEP_2) | instskip(SKIP_2) | instid1(VALU_DEP_2)
	v_fma_f32 v1, v1, v5, -v6
	s_wait_loadcnt_dscnt 0x202
	v_dual_mul_f32 v150, v13, v10 :: v_dual_mul_f32 v5, v16, v12
	v_add_f32_e32 v1, v149, v1
	s_wait_loadcnt_dscnt 0x101
	v_dual_mul_f32 v153, v142, v18 :: v_dual_add_f32 v24, v156, v24
	s_delay_alu instid0(VALU_DEP_3) | instskip(SKIP_1) | instid1(VALU_DEP_3)
	v_fma_f32 v5, v15, v11, -v5
	v_fmac_f32_e32 v150, v14, v9
	v_dual_fmac_f32 v153, v143, v17 :: v_dual_add_f32 v24, v24, v148
	v_mul_f32_e32 v148, v3, v8
	v_mul_f32_e32 v8, v4, v8
	s_delay_alu instid0(VALU_DEP_1) | instskip(NEXT) | instid1(VALU_DEP_4)
	v_fma_f32 v2, v3, v7, -v8
	v_dual_add_f32 v24, v24, v151 :: v_dual_mul_f32 v3, v14, v10
	s_delay_alu instid0(VALU_DEP_4) | instskip(NEXT) | instid1(VALU_DEP_2)
	v_dual_fmac_f32 v148, v4, v7 :: v_dual_mul_f32 v151, v15, v12
	v_dual_add_f32 v1, v1, v2 :: v_dual_add_f32 v24, v24, v152
	s_delay_alu instid0(VALU_DEP_3) | instskip(SKIP_1) | instid1(VALU_DEP_4)
	v_fma_f32 v3, v13, v9, -v3
	v_mul_f32_e32 v154, v144, v20
	v_fmac_f32_e32 v151, v16, v11
	s_delay_alu instid0(VALU_DEP_3) | instskip(SKIP_1) | instid1(VALU_DEP_4)
	v_add_f32_e32 v1, v1, v3
	v_dual_add_f32 v4, v24, v155 :: v_dual_mul_f32 v3, v145, v20
	v_fmac_f32_e32 v154, v145, v19
	s_delay_alu instid0(VALU_DEP_3) | instskip(NEXT) | instid1(VALU_DEP_3)
	v_add_f32_e32 v1, v1, v5
	v_fma_f32 v3, v144, v19, -v3
	s_delay_alu instid0(VALU_DEP_4) | instskip(SKIP_1) | instid1(VALU_DEP_1)
	v_add_f32_e32 v2, v4, v148
	v_mul_f32_e32 v4, v143, v18
	v_fma_f32 v4, v142, v17, -v4
	s_delay_alu instid0(VALU_DEP_1) | instskip(NEXT) | instid1(VALU_DEP_1)
	v_add_f32_e32 v1, v1, v4
	v_add_f32_e32 v1, v1, v3
	s_wait_loadcnt_dscnt 0x0
	v_mul_f32_e32 v5, v147, v140
	v_mul_f32_e32 v152, v146, v140
	s_delay_alu instid0(VALU_DEP_2) | instskip(SKIP_1) | instid1(VALU_DEP_2)
	v_fma_f32 v4, v146, v139, -v5
	v_add_f32_e32 v2, v2, v150
	v_dual_fmac_f32 v152, v147, v139 :: v_dual_add_f32 v1, v1, v4
	s_delay_alu instid0(VALU_DEP_2) | instskip(NEXT) | instid1(VALU_DEP_2)
	v_add_f32_e32 v2, v2, v151
	v_sub_f32_e32 v1, v22, v1
	s_delay_alu instid0(VALU_DEP_2) | instskip(NEXT) | instid1(VALU_DEP_1)
	v_add_f32_e32 v2, v2, v153
	v_add_f32_e32 v2, v2, v154
	s_delay_alu instid0(VALU_DEP_1) | instskip(NEXT) | instid1(VALU_DEP_1)
	v_add_f32_e32 v2, v2, v152
	v_sub_f32_e32 v2, v23, v2
	scratch_store_b64 off, v[1:2], off offset:200
	v_cmpx_lt_u32_e32 24, v0
	s_cbranch_execz .LBB56_307
; %bb.306:
	scratch_load_b64 v[1:2], off, off offset:192
	v_mov_b32_e32 v22, v21
	scratch_store_b64 off, v[21:22], off offset:192
	s_wait_loadcnt 0x0
	ds_store_b64 v141, v[1:2]
.LBB56_307:
	s_wait_alu 0xfffe
	s_or_b32 exec_lo, exec_lo, s0
	s_wait_storecnt_dscnt 0x0
	s_barrier_signal -1
	s_barrier_wait -1
	global_inv scope:SCOPE_SE
	s_clause 0x4
	scratch_load_b128 v[5:8], off, off offset:200
	scratch_load_b128 v[1:4], off, off offset:216
	;; [unrolled: 1-line block ×5, first 2 shown]
	ds_load_2addr_b64 v[142:145], v21 offset0:83 offset1:84
	ds_load_2addr_b64 v[146:149], v21 offset0:85 offset1:86
	;; [unrolled: 1-line block ×3, first 2 shown]
	scratch_load_b64 v[139:140], off, off offset:192
	s_mov_b32 s0, exec_lo
	s_wait_loadcnt_dscnt 0x502
	v_mul_f32_e32 v22, v143, v6
	v_dual_mul_f32 v23, v142, v6 :: v_dual_mul_f32 v24, v144, v8
	v_mul_f32_e32 v6, v145, v8
	s_delay_alu instid0(VALU_DEP_3) | instskip(NEXT) | instid1(VALU_DEP_3)
	v_fma_f32 v22, v142, v5, -v22
	v_dual_fmac_f32 v23, v143, v5 :: v_dual_fmac_f32 v24, v145, v7
	s_wait_loadcnt_dscnt 0x401
	v_mul_f32_e32 v143, v146, v2
	v_fma_f32 v142, v144, v7, -v6
	ds_load_2addr_b64 v[5:8], v21 offset0:89 offset1:90
	s_wait_loadcnt_dscnt 0x301
	v_dual_mul_f32 v144, v148, v4 :: v_dual_mul_f32 v145, v150, v10
	v_dual_mul_f32 v4, v149, v4 :: v_dual_fmac_f32 v143, v147, v1
	v_mul_f32_e32 v10, v151, v10
	s_delay_alu instid0(VALU_DEP_3)
	v_dual_mul_f32 v154, v152, v12 :: v_dual_fmac_f32 v145, v151, v9
	v_mul_f32_e32 v12, v153, v12
	v_mul_f32_e32 v2, v147, v2
	v_fmac_f32_e32 v144, v149, v3
	v_fma_f32 v147, v148, v3, -v4
	v_fma_f32 v148, v150, v9, -v10
	v_fmac_f32_e32 v154, v153, v11
	v_fma_f32 v149, v152, v11, -v12
	ds_load_2addr_b64 v[9:12], v21 offset0:91 offset1:92
	s_wait_loadcnt_dscnt 0x201
	v_mul_f32_e32 v150, v5, v14
	v_dual_mul_f32 v14, v6, v14 :: v_dual_mul_f32 v151, v7, v16
	v_mul_f32_e32 v16, v8, v16
	s_delay_alu instid0(VALU_DEP_3) | instskip(NEXT) | instid1(VALU_DEP_3)
	v_fmac_f32_e32 v150, v6, v13
	v_fma_f32 v13, v5, v13, -v14
	s_delay_alu instid0(VALU_DEP_4) | instskip(NEXT) | instid1(VALU_DEP_4)
	v_fmac_f32_e32 v151, v8, v15
	v_fma_f32 v14, v7, v15, -v16
	ds_load_2addr_b64 v[5:8], v21 offset0:93 offset1:94
	s_wait_loadcnt_dscnt 0x101
	v_mul_f32_e32 v15, v9, v18
	v_mul_f32_e32 v16, v10, v18
	;; [unrolled: 1-line block ×3, first 2 shown]
	s_delay_alu instid0(VALU_DEP_3)
	v_dual_mul_f32 v20, v12, v20 :: v_dual_fmac_f32 v15, v10, v17
	v_fma_f32 v146, v146, v1, -v2
	scratch_load_b128 v[1:4], off, off offset:280
	v_fma_f32 v16, v9, v17, -v16
	v_fmac_f32_e32 v18, v12, v19
	v_fma_f32 v17, v11, v19, -v20
	scratch_load_b128 v[9:12], off, off offset:296
	s_wait_loadcnt_dscnt 0x100
	v_mul_f32_e32 v19, v5, v2
	v_mul_f32_e32 v2, v6, v2
	v_mul_f32_e32 v20, v7, v4
	s_delay_alu instid0(VALU_DEP_3) | instskip(NEXT) | instid1(VALU_DEP_3)
	v_dual_mul_f32 v4, v8, v4 :: v_dual_fmac_f32 v19, v6, v1
	v_fma_f32 v152, v5, v1, -v2
	s_delay_alu instid0(VALU_DEP_3) | instskip(NEXT) | instid1(VALU_DEP_3)
	v_fmac_f32_e32 v20, v8, v3
	v_fma_f32 v153, v7, v3, -v4
	ds_load_2addr_b64 v[1:4], v21 offset0:95 offset1:96
	ds_load_2addr_b64 v[5:8], v21 offset0:97 offset1:98
	s_wait_loadcnt_dscnt 0x1
	v_mul_f32_e32 v155, v1, v10
	v_mul_f32_e32 v10, v2, v10
	s_delay_alu instid0(VALU_DEP_2) | instskip(NEXT) | instid1(VALU_DEP_2)
	v_dual_mul_f32 v156, v3, v12 :: v_dual_fmac_f32 v155, v2, v9
	v_fma_f32 v157, v1, v9, -v10
	v_mul_f32_e32 v1, v4, v12
	s_delay_alu instid0(VALU_DEP_3) | instskip(NEXT) | instid1(VALU_DEP_2)
	v_fmac_f32_e32 v156, v4, v11
	v_fma_f32 v158, v3, v11, -v1
	s_clause 0x1
	scratch_load_b128 v[1:4], off, off offset:312
	scratch_load_b128 v[9:12], off, off offset:328
	s_wait_loadcnt_dscnt 0x100
	v_mul_f32_e32 v159, v5, v2
	v_dual_mul_f32 v2, v6, v2 :: v_dual_mul_f32 v161, v7, v4
	s_delay_alu instid0(VALU_DEP_2) | instskip(NEXT) | instid1(VALU_DEP_2)
	v_fmac_f32_e32 v159, v6, v1
	v_fma_f32 v160, v5, v1, -v2
	v_mul_f32_e32 v1, v8, v4
	s_delay_alu instid0(VALU_DEP_4) | instskip(NEXT) | instid1(VALU_DEP_2)
	v_fmac_f32_e32 v161, v8, v3
	v_fma_f32 v162, v7, v3, -v1
	ds_load_2addr_b64 v[1:4], v21 offset0:99 offset1:100
	ds_load_2addr_b64 v[5:8], v21 offset0:101 offset1:102
	s_wait_loadcnt_dscnt 0x1
	v_mul_f32_e32 v163, v1, v10
	v_mul_f32_e32 v165, v3, v12
	s_delay_alu instid0(VALU_DEP_2) | instskip(NEXT) | instid1(VALU_DEP_2)
	v_fmac_f32_e32 v163, v2, v9
	v_dual_mul_f32 v2, v2, v10 :: v_dual_fmac_f32 v165, v4, v11
	s_delay_alu instid0(VALU_DEP_1) | instskip(SKIP_1) | instid1(VALU_DEP_1)
	v_fma_f32 v164, v1, v9, -v2
	v_mul_f32_e32 v1, v4, v12
	v_fma_f32 v166, v3, v11, -v1
	s_clause 0x1
	scratch_load_b128 v[1:4], off, off offset:344
	scratch_load_b128 v[9:12], off, off offset:360
	s_wait_loadcnt_dscnt 0x100
	v_mul_f32_e32 v167, v5, v2
	v_dual_mul_f32 v2, v6, v2 :: v_dual_mul_f32 v169, v7, v4
	s_delay_alu instid0(VALU_DEP_2) | instskip(NEXT) | instid1(VALU_DEP_2)
	v_fmac_f32_e32 v167, v6, v1
	v_fma_f32 v168, v5, v1, -v2
	v_mul_f32_e32 v1, v8, v4
	s_delay_alu instid0(VALU_DEP_4) | instskip(NEXT) | instid1(VALU_DEP_2)
	v_fmac_f32_e32 v169, v8, v3
	v_fma_f32 v170, v7, v3, -v1
	ds_load_2addr_b64 v[1:4], v21 offset0:103 offset1:104
	ds_load_2addr_b64 v[5:8], v21 offset0:105 offset1:106
	s_wait_loadcnt_dscnt 0x1
	v_mul_f32_e32 v171, v1, v10
	v_mul_f32_e32 v173, v3, v12
	s_delay_alu instid0(VALU_DEP_2) | instskip(NEXT) | instid1(VALU_DEP_2)
	v_fmac_f32_e32 v171, v2, v9
	v_dual_mul_f32 v2, v2, v10 :: v_dual_fmac_f32 v173, v4, v11
	s_delay_alu instid0(VALU_DEP_1) | instskip(SKIP_1) | instid1(VALU_DEP_1)
	v_fma_f32 v172, v1, v9, -v2
	v_mul_f32_e32 v1, v4, v12
	v_fma_f32 v174, v3, v11, -v1
	s_clause 0x1
	scratch_load_b128 v[1:4], off, off offset:376
	scratch_load_b128 v[9:12], off, off offset:392
	s_wait_loadcnt_dscnt 0x100
	v_mul_f32_e32 v175, v5, v2
	v_mul_f32_e32 v2, v6, v2
	s_delay_alu instid0(VALU_DEP_1) | instskip(SKIP_1) | instid1(VALU_DEP_1)
	v_fma_f32 v176, v5, v1, -v2
	v_add_f32_e32 v2, 0, v23
	v_add_f32_e32 v2, v2, v24
	v_fmac_f32_e32 v175, v6, v1
	s_delay_alu instid0(VALU_DEP_2) | instskip(NEXT) | instid1(VALU_DEP_1)
	v_add_f32_e32 v2, v2, v143
	v_add_f32_e32 v2, v2, v144
	s_delay_alu instid0(VALU_DEP_1) | instskip(NEXT) | instid1(VALU_DEP_1)
	v_dual_mul_f32 v177, v7, v4 :: v_dual_add_f32 v2, v2, v145
	v_dual_fmac_f32 v177, v8, v3 :: v_dual_add_f32 v2, v2, v154
	s_delay_alu instid0(VALU_DEP_1) | instskip(NEXT) | instid1(VALU_DEP_1)
	v_dual_mul_f32 v1, v8, v4 :: v_dual_add_f32 v2, v2, v150
	v_fma_f32 v178, v7, v3, -v1
	s_delay_alu instid0(VALU_DEP_2) | instskip(NEXT) | instid1(VALU_DEP_1)
	v_dual_add_f32 v1, 0, v22 :: v_dual_add_f32 v2, v2, v151
	v_add_f32_e32 v1, v1, v142
	s_delay_alu instid0(VALU_DEP_2) | instskip(NEXT) | instid1(VALU_DEP_2)
	v_add_f32_e32 v5, v2, v15
	v_add_f32_e32 v1, v1, v146
	s_delay_alu instid0(VALU_DEP_2) | instskip(NEXT) | instid1(VALU_DEP_2)
	v_add_f32_e32 v5, v5, v18
	;; [unrolled: 3-line block ×3, first 2 shown]
	v_add_f32_e32 v1, v1, v148
	s_delay_alu instid0(VALU_DEP_1) | instskip(NEXT) | instid1(VALU_DEP_1)
	v_add_f32_e32 v1, v1, v149
	v_add_f32_e32 v1, v1, v13
	s_delay_alu instid0(VALU_DEP_1) | instskip(SKIP_1) | instid1(VALU_DEP_1)
	v_add_f32_e32 v1, v1, v14
	v_add_f32_e32 v14, v5, v20
	;; [unrolled: 1-line block ×3, first 2 shown]
	s_delay_alu instid0(VALU_DEP_1) | instskip(NEXT) | instid1(VALU_DEP_4)
	v_add_f32_e32 v14, v14, v156
	v_add_f32_e32 v1, v1, v16
	s_delay_alu instid0(VALU_DEP_1) | instskip(SKIP_3) | instid1(VALU_DEP_1)
	v_add_f32_e32 v6, v1, v17
	ds_load_2addr_b64 v[1:4], v21 offset0:107 offset1:108
	v_add_f32_e32 v17, v14, v159
	v_add_f32_e32 v6, v6, v152
	;; [unrolled: 1-line block ×3, first 2 shown]
	ds_load_2addr_b64 v[5:8], v21 offset0:109 offset1:110
	s_wait_loadcnt_dscnt 0x1
	v_dual_mul_f32 v142, v1, v10 :: v_dual_mul_f32 v143, v3, v12
	v_mul_f32_e32 v10, v2, v10
	v_mul_f32_e32 v12, v4, v12
	s_delay_alu instid0(VALU_DEP_3) | instskip(NEXT) | instid1(VALU_DEP_3)
	v_dual_fmac_f32 v142, v2, v9 :: v_dual_fmac_f32 v143, v4, v11
	v_fma_f32 v144, v1, v9, -v10
	s_delay_alu instid0(VALU_DEP_3)
	v_fma_f32 v145, v3, v11, -v12
	s_clause 0x1
	scratch_load_b128 v[1:4], off, off offset:408
	scratch_load_b128 v[9:12], off, off offset:424
	s_wait_loadcnt_dscnt 0x100
	v_mul_f32_e32 v148, v5, v2
	v_dual_add_f32 v13, v13, v157 :: v_dual_mul_f32 v2, v6, v2
	v_mul_f32_e32 v149, v7, v4
	v_mul_f32_e32 v4, v8, v4
	s_delay_alu instid0(VALU_DEP_3) | instskip(NEXT) | instid1(VALU_DEP_4)
	v_dual_fmac_f32 v148, v6, v1 :: v_dual_add_f32 v13, v13, v158
	v_fma_f32 v2, v5, v1, -v2
	s_delay_alu instid0(VALU_DEP_2) | instskip(NEXT) | instid1(VALU_DEP_1)
	v_add_f32_e32 v13, v13, v160
	v_add_f32_e32 v18, v13, v162
	scratch_load_b128 v[13:16], off, off offset:440
	v_add_f32_e32 v18, v18, v164
	s_delay_alu instid0(VALU_DEP_1) | instskip(NEXT) | instid1(VALU_DEP_1)
	v_add_f32_e32 v18, v18, v166
	v_add_f32_e32 v22, v18, v168
	s_delay_alu instid0(VALU_DEP_1) | instskip(NEXT) | instid1(VALU_DEP_1)
	v_add_f32_e32 v146, v22, v170
	v_add_f32_e32 v146, v146, v172
	s_delay_alu instid0(VALU_DEP_1) | instskip(NEXT) | instid1(VALU_DEP_1)
	v_dual_add_f32 v146, v146, v174 :: v_dual_add_f32 v17, v17, v161
	v_dual_add_f32 v146, v146, v176 :: v_dual_add_f32 v17, v17, v163
	s_delay_alu instid0(VALU_DEP_1) | instskip(NEXT) | instid1(VALU_DEP_1)
	v_dual_add_f32 v146, v146, v178 :: v_dual_add_f32 v17, v17, v165
	v_dual_add_f32 v144, v146, v144 :: v_dual_add_f32 v23, v17, v167
	ds_load_2addr_b64 v[17:20], v21 offset0:111 offset1:112
	v_add_f32_e32 v1, v144, v145
	v_add_f32_e32 v147, v23, v169
	ds_load_2addr_b64 v[21:24], v21 offset0:113 offset1:114
	s_wait_loadcnt_dscnt 0x101
	v_dual_mul_f32 v150, v17, v10 :: v_dual_add_f32 v147, v147, v171
	v_mul_f32_e32 v6, v18, v10
	s_delay_alu instid0(VALU_DEP_2) | instskip(NEXT) | instid1(VALU_DEP_3)
	v_fmac_f32_e32 v150, v18, v9
	v_add_f32_e32 v147, v147, v173
	v_fmac_f32_e32 v149, v8, v3
	v_fma_f32 v3, v7, v3, -v4
	s_delay_alu instid0(VALU_DEP_3) | instskip(NEXT) | instid1(VALU_DEP_1)
	v_dual_mul_f32 v4, v20, v12 :: v_dual_add_f32 v147, v147, v175
	v_fma_f32 v4, v19, v11, -v4
	s_delay_alu instid0(VALU_DEP_2) | instskip(NEXT) | instid1(VALU_DEP_1)
	v_add_f32_e32 v147, v147, v177
	v_add_f32_e32 v142, v147, v142
	s_wait_loadcnt_dscnt 0x0
	s_delay_alu instid0(VALU_DEP_1) | instskip(SKIP_2) | instid1(VALU_DEP_3)
	v_dual_add_f32 v5, v142, v143 :: v_dual_mul_f32 v146, v23, v16
	v_mul_f32_e32 v152, v21, v14
	v_add_f32_e32 v1, v1, v2
	v_add_f32_e32 v2, v5, v148
	v_mul_f32_e32 v151, v19, v12
	v_fma_f32 v5, v17, v9, -v6
	v_fmac_f32_e32 v152, v22, v13
	v_fmac_f32_e32 v146, v24, v15
	s_delay_alu instid0(VALU_DEP_4) | instskip(NEXT) | instid1(VALU_DEP_1)
	v_dual_add_f32 v2, v2, v149 :: v_dual_fmac_f32 v151, v20, v11
	v_add_f32_e32 v2, v2, v150
	s_delay_alu instid0(VALU_DEP_1) | instskip(SKIP_2) | instid1(VALU_DEP_3)
	v_add_f32_e32 v2, v2, v151
	v_add_f32_e32 v1, v1, v3
	v_mul_f32_e32 v3, v22, v14
	v_add_f32_e32 v2, v2, v152
	s_delay_alu instid0(VALU_DEP_2) | instskip(NEXT) | instid1(VALU_DEP_2)
	v_fma_f32 v3, v21, v13, -v3
	v_dual_add_f32 v2, v2, v146 :: v_dual_add_f32 v1, v1, v5
	v_mul_f32_e32 v5, v24, v16
	s_delay_alu instid0(VALU_DEP_2) | instskip(NEXT) | instid1(VALU_DEP_2)
	v_dual_sub_f32 v2, v140, v2 :: v_dual_add_f32 v1, v1, v4
	v_fma_f32 v4, v23, v15, -v5
	s_delay_alu instid0(VALU_DEP_2) | instskip(NEXT) | instid1(VALU_DEP_1)
	v_add_f32_e32 v1, v1, v3
	v_add_f32_e32 v1, v1, v4
	s_delay_alu instid0(VALU_DEP_1)
	v_sub_f32_e32 v1, v139, v1
	scratch_store_b64 off, v[1:2], off offset:192
	v_cmpx_lt_u32_e32 23, v0
	s_cbranch_execz .LBB56_309
; %bb.308:
	scratch_load_b64 v[1:2], off, off offset:184
	v_mov_b32_e32 v3, 0
	s_delay_alu instid0(VALU_DEP_1)
	v_mov_b32_e32 v4, v3
	scratch_store_b64 off, v[3:4], off offset:184
	s_wait_loadcnt 0x0
	ds_store_b64 v141, v[1:2]
.LBB56_309:
	s_wait_alu 0xfffe
	s_or_b32 exec_lo, exec_lo, s0
	s_wait_storecnt_dscnt 0x0
	s_barrier_signal -1
	s_barrier_wait -1
	global_inv scope:SCOPE_SE
	s_clause 0x4
	scratch_load_b128 v[5:8], off, off offset:192
	scratch_load_b128 v[1:4], off, off offset:208
	;; [unrolled: 1-line block ×5, first 2 shown]
	v_mov_b32_e32 v21, 0
	ds_load_b128 v[142:145], v21 offset:656
	ds_load_b128 v[146:149], v21 offset:672
	;; [unrolled: 1-line block ×3, first 2 shown]
	scratch_load_b64 v[22:23], off, off offset:184
	s_mov_b32 s0, exec_lo
	s_wait_loadcnt_dscnt 0x502
	v_mul_f32_e32 v24, v143, v6
	v_dual_mul_f32 v139, v142, v6 :: v_dual_mul_f32 v140, v144, v8
	v_mul_f32_e32 v6, v145, v8
	s_delay_alu instid0(VALU_DEP_3) | instskip(NEXT) | instid1(VALU_DEP_3)
	v_fma_f32 v24, v142, v5, -v24
	v_dual_fmac_f32 v139, v143, v5 :: v_dual_fmac_f32 v140, v145, v7
	s_wait_loadcnt_dscnt 0x401
	v_mul_f32_e32 v143, v146, v2
	v_fma_f32 v142, v144, v7, -v6
	ds_load_b128 v[5:8], v21 offset:704
	s_wait_loadcnt_dscnt 0x301
	v_dual_mul_f32 v144, v148, v4 :: v_dual_mul_f32 v145, v150, v10
	v_dual_mul_f32 v4, v149, v4 :: v_dual_fmac_f32 v143, v147, v1
	v_mul_f32_e32 v10, v151, v10
	s_delay_alu instid0(VALU_DEP_3)
	v_dual_mul_f32 v154, v152, v12 :: v_dual_fmac_f32 v145, v151, v9
	v_mul_f32_e32 v12, v153, v12
	v_mul_f32_e32 v2, v147, v2
	v_fmac_f32_e32 v144, v149, v3
	v_fma_f32 v147, v148, v3, -v4
	v_fma_f32 v148, v150, v9, -v10
	v_fmac_f32_e32 v154, v153, v11
	v_fma_f32 v149, v152, v11, -v12
	ds_load_b128 v[9:12], v21 offset:720
	s_wait_loadcnt_dscnt 0x201
	v_dual_mul_f32 v151, v7, v16 :: v_dual_mul_f32 v150, v5, v14
	v_mul_f32_e32 v14, v6, v14
	v_mul_f32_e32 v16, v8, v16
	s_delay_alu instid0(VALU_DEP_3)
	v_fmac_f32_e32 v151, v8, v15
	v_fma_f32 v146, v146, v1, -v2
	scratch_load_b128 v[1:4], off, off offset:272
	v_fmac_f32_e32 v150, v6, v13
	v_fma_f32 v13, v5, v13, -v14
	v_fma_f32 v14, v7, v15, -v16
	ds_load_b128 v[5:8], v21 offset:736
	s_wait_loadcnt_dscnt 0x201
	v_mul_f32_e32 v15, v9, v18
	v_mul_f32_e32 v16, v10, v18
	;; [unrolled: 1-line block ×3, first 2 shown]
	s_delay_alu instid0(VALU_DEP_3) | instskip(NEXT) | instid1(VALU_DEP_3)
	v_dual_mul_f32 v20, v12, v20 :: v_dual_fmac_f32 v15, v10, v17
	v_fma_f32 v16, v9, v17, -v16
	s_delay_alu instid0(VALU_DEP_3) | instskip(NEXT) | instid1(VALU_DEP_3)
	v_fmac_f32_e32 v18, v12, v19
	v_fma_f32 v17, v11, v19, -v20
	scratch_load_b128 v[9:12], off, off offset:288
	s_wait_loadcnt_dscnt 0x100
	v_mul_f32_e32 v19, v5, v2
	v_mul_f32_e32 v2, v6, v2
	;; [unrolled: 1-line block ×3, first 2 shown]
	s_delay_alu instid0(VALU_DEP_3) | instskip(NEXT) | instid1(VALU_DEP_3)
	v_dual_mul_f32 v4, v8, v4 :: v_dual_fmac_f32 v19, v6, v1
	v_fma_f32 v152, v5, v1, -v2
	s_delay_alu instid0(VALU_DEP_3) | instskip(NEXT) | instid1(VALU_DEP_3)
	v_fmac_f32_e32 v20, v8, v3
	v_fma_f32 v153, v7, v3, -v4
	ds_load_b128 v[1:4], v21 offset:752
	ds_load_b128 v[5:8], v21 offset:768
	s_wait_loadcnt_dscnt 0x1
	v_mul_f32_e32 v155, v1, v10
	v_mul_f32_e32 v10, v2, v10
	s_delay_alu instid0(VALU_DEP_2) | instskip(NEXT) | instid1(VALU_DEP_2)
	v_dual_mul_f32 v156, v3, v12 :: v_dual_fmac_f32 v155, v2, v9
	v_fma_f32 v157, v1, v9, -v10
	v_mul_f32_e32 v1, v4, v12
	s_delay_alu instid0(VALU_DEP_3) | instskip(NEXT) | instid1(VALU_DEP_2)
	v_fmac_f32_e32 v156, v4, v11
	v_fma_f32 v158, v3, v11, -v1
	s_clause 0x1
	scratch_load_b128 v[1:4], off, off offset:304
	scratch_load_b128 v[9:12], off, off offset:320
	s_wait_loadcnt_dscnt 0x100
	v_mul_f32_e32 v159, v5, v2
	v_dual_mul_f32 v2, v6, v2 :: v_dual_mul_f32 v161, v7, v4
	s_delay_alu instid0(VALU_DEP_2) | instskip(NEXT) | instid1(VALU_DEP_2)
	v_fmac_f32_e32 v159, v6, v1
	v_fma_f32 v160, v5, v1, -v2
	v_mul_f32_e32 v1, v8, v4
	s_delay_alu instid0(VALU_DEP_4) | instskip(NEXT) | instid1(VALU_DEP_2)
	v_fmac_f32_e32 v161, v8, v3
	v_fma_f32 v162, v7, v3, -v1
	ds_load_b128 v[1:4], v21 offset:784
	ds_load_b128 v[5:8], v21 offset:800
	s_wait_loadcnt_dscnt 0x1
	v_mul_f32_e32 v163, v1, v10
	v_mul_f32_e32 v165, v3, v12
	s_delay_alu instid0(VALU_DEP_2) | instskip(NEXT) | instid1(VALU_DEP_2)
	v_fmac_f32_e32 v163, v2, v9
	v_dual_mul_f32 v2, v2, v10 :: v_dual_fmac_f32 v165, v4, v11
	s_delay_alu instid0(VALU_DEP_1) | instskip(SKIP_1) | instid1(VALU_DEP_1)
	v_fma_f32 v164, v1, v9, -v2
	v_mul_f32_e32 v1, v4, v12
	v_fma_f32 v166, v3, v11, -v1
	s_clause 0x1
	scratch_load_b128 v[1:4], off, off offset:336
	scratch_load_b128 v[9:12], off, off offset:352
	s_wait_loadcnt_dscnt 0x100
	v_mul_f32_e32 v167, v5, v2
	v_dual_mul_f32 v169, v7, v4 :: v_dual_mul_f32 v2, v6, v2
	s_delay_alu instid0(VALU_DEP_2) | instskip(NEXT) | instid1(VALU_DEP_2)
	v_fmac_f32_e32 v167, v6, v1
	v_fmac_f32_e32 v169, v8, v3
	s_delay_alu instid0(VALU_DEP_3) | instskip(SKIP_1) | instid1(VALU_DEP_1)
	v_fma_f32 v168, v5, v1, -v2
	v_mul_f32_e32 v1, v8, v4
	v_fma_f32 v170, v7, v3, -v1
	ds_load_b128 v[1:4], v21 offset:816
	ds_load_b128 v[5:8], v21 offset:832
	s_wait_loadcnt_dscnt 0x1
	v_mul_f32_e32 v171, v1, v10
	v_mul_f32_e32 v173, v3, v12
	s_delay_alu instid0(VALU_DEP_2) | instskip(NEXT) | instid1(VALU_DEP_2)
	v_fmac_f32_e32 v171, v2, v9
	v_dual_mul_f32 v2, v2, v10 :: v_dual_fmac_f32 v173, v4, v11
	s_delay_alu instid0(VALU_DEP_1) | instskip(SKIP_1) | instid1(VALU_DEP_1)
	v_fma_f32 v172, v1, v9, -v2
	v_mul_f32_e32 v1, v4, v12
	v_fma_f32 v174, v3, v11, -v1
	s_clause 0x1
	scratch_load_b128 v[1:4], off, off offset:368
	scratch_load_b128 v[9:12], off, off offset:384
	s_wait_loadcnt_dscnt 0x100
	v_mul_f32_e32 v175, v5, v2
	v_mul_f32_e32 v2, v6, v2
	s_delay_alu instid0(VALU_DEP_1) | instskip(SKIP_1) | instid1(VALU_DEP_1)
	v_fma_f32 v176, v5, v1, -v2
	v_add_f32_e32 v2, 0, v139
	v_add_f32_e32 v2, v2, v140
	scratch_load_b64 v[139:140], off, off offset:448
	v_add_f32_e32 v2, v2, v143
	s_delay_alu instid0(VALU_DEP_1) | instskip(SKIP_2) | instid1(VALU_DEP_2)
	v_add_f32_e32 v2, v2, v144
	v_mul_f32_e32 v177, v7, v4
	v_fmac_f32_e32 v175, v6, v1
	v_dual_add_f32 v2, v2, v145 :: v_dual_fmac_f32 v177, v8, v3
	s_delay_alu instid0(VALU_DEP_1) | instskip(NEXT) | instid1(VALU_DEP_1)
	v_dual_add_f32 v2, v2, v154 :: v_dual_mul_f32 v1, v8, v4
	v_add_f32_e32 v2, v2, v150
	s_delay_alu instid0(VALU_DEP_2) | instskip(NEXT) | instid1(VALU_DEP_2)
	v_fma_f32 v178, v7, v3, -v1
	v_dual_add_f32 v1, 0, v24 :: v_dual_add_f32 v2, v2, v151
	s_delay_alu instid0(VALU_DEP_1) | instskip(NEXT) | instid1(VALU_DEP_1)
	v_add_f32_e32 v1, v1, v142
	v_add_f32_e32 v1, v1, v146
	s_delay_alu instid0(VALU_DEP_1) | instskip(NEXT) | instid1(VALU_DEP_1)
	v_add_f32_e32 v1, v1, v147
	v_add_f32_e32 v1, v1, v148
	;; [unrolled: 3-line block ×4, first 2 shown]
	s_delay_alu instid0(VALU_DEP_1) | instskip(SKIP_2) | instid1(VALU_DEP_1)
	v_dual_add_f32 v5, v2, v15 :: v_dual_add_f32 v6, v1, v17
	ds_load_b128 v[1:4], v21 offset:848
	v_dual_add_f32 v5, v5, v18 :: v_dual_add_f32 v6, v6, v152
	v_add_f32_e32 v13, v6, v153
	s_delay_alu instid0(VALU_DEP_1) | instskip(NEXT) | instid1(VALU_DEP_1)
	v_add_f32_e32 v13, v13, v157
	v_add_f32_e32 v13, v13, v158
	s_delay_alu instid0(VALU_DEP_1) | instskip(NEXT) | instid1(VALU_DEP_1)
	v_add_f32_e32 v13, v13, v160
	v_add_f32_e32 v18, v13, v162
	s_delay_alu instid0(VALU_DEP_1) | instskip(NEXT) | instid1(VALU_DEP_1)
	v_dual_add_f32 v5, v5, v19 :: v_dual_add_f32 v18, v18, v164
	v_add_f32_e32 v14, v5, v20
	ds_load_b128 v[5:8], v21 offset:864
	s_wait_loadcnt_dscnt 0x101
	v_mul_f32_e32 v24, v1, v10
	v_mul_f32_e32 v10, v2, v10
	;; [unrolled: 1-line block ×4, first 2 shown]
	v_add_f32_e32 v14, v14, v155
	v_fmac_f32_e32 v24, v2, v9
	v_fma_f32 v149, v1, v9, -v10
	v_fmac_f32_e32 v148, v4, v11
	v_fma_f32 v150, v3, v11, -v12
	s_clause 0x1
	scratch_load_b128 v[1:4], off, off offset:400
	scratch_load_b128 v[9:12], off, off offset:416
	v_add_f32_e32 v14, v14, v156
	v_add_f32_e32 v18, v18, v166
	s_delay_alu instid0(VALU_DEP_2) | instskip(SKIP_2) | instid1(VALU_DEP_1)
	v_add_f32_e32 v17, v14, v159
	scratch_load_b128 v[13:16], off, off offset:432
	v_dual_add_f32 v18, v18, v168 :: v_dual_add_f32 v17, v17, v161
	v_add_f32_e32 v18, v18, v170
	s_delay_alu instid0(VALU_DEP_1) | instskip(NEXT) | instid1(VALU_DEP_1)
	v_add_f32_e32 v146, v18, v172
	v_add_f32_e32 v151, v146, v174
	s_wait_loadcnt_dscnt 0x200
	v_mul_f32_e32 v153, v5, v2
	v_dual_mul_f32 v2, v6, v2 :: v_dual_add_f32 v17, v17, v163
	v_mul_f32_e32 v154, v7, v4
	v_mul_f32_e32 v4, v8, v4
	v_add_f32_e32 v151, v151, v176
	s_delay_alu instid0(VALU_DEP_4) | instskip(NEXT) | instid1(VALU_DEP_4)
	v_fma_f32 v2, v5, v1, -v2
	v_dual_add_f32 v17, v17, v165 :: v_dual_fmac_f32 v154, v8, v3
	s_delay_alu instid0(VALU_DEP_1) | instskip(NEXT) | instid1(VALU_DEP_1)
	v_add_f32_e32 v17, v17, v167
	v_add_f32_e32 v142, v17, v169
	ds_load_b128 v[17:20], v21 offset:880
	v_add_f32_e32 v147, v142, v171
	ds_load_b128 v[142:145], v21 offset:896
	v_add_f32_e32 v151, v151, v178
	v_add_f32_e32 v152, v147, v173
	ds_load_b64 v[146:147], v21 offset:912
	v_add_f32_e32 v152, v152, v175
	s_delay_alu instid0(VALU_DEP_1) | instskip(SKIP_2) | instid1(VALU_DEP_2)
	v_add_f32_e32 v152, v152, v177
	s_wait_loadcnt_dscnt 0x102
	v_mul_f32_e32 v5, v20, v12
	v_dual_add_f32 v24, v152, v24 :: v_dual_add_f32 v149, v151, v149
	v_dual_mul_f32 v151, v17, v10 :: v_dual_mul_f32 v152, v19, v12
	s_delay_alu instid0(VALU_DEP_2)
	v_dual_add_f32 v24, v24, v148 :: v_dual_add_f32 v149, v149, v150
	s_wait_dscnt 0x0
	v_mul_f32_e32 v148, v146, v140
	v_fmac_f32_e32 v153, v6, v1
	v_fma_f32 v1, v7, v3, -v4
	v_dual_mul_f32 v3, v18, v10 :: v_dual_fmac_f32 v152, v20, v11
	v_add_f32_e32 v2, v149, v2
	s_wait_loadcnt 0x0
	v_dual_mul_f32 v155, v142, v14 :: v_dual_add_f32 v4, v24, v153
	v_dual_mul_f32 v150, v144, v16 :: v_dual_fmac_f32 v151, v18, v9
	v_fma_f32 v3, v17, v9, -v3
	s_delay_alu instid0(VALU_DEP_3) | instskip(SKIP_3) | instid1(VALU_DEP_4)
	v_dual_add_f32 v1, v2, v1 :: v_dual_add_f32 v2, v4, v154
	v_mul_f32_e32 v4, v143, v14
	v_fma_f32 v5, v19, v11, -v5
	v_dual_fmac_f32 v150, v145, v15 :: v_dual_fmac_f32 v155, v143, v13
	v_add_f32_e32 v2, v2, v151
	v_add_f32_e32 v1, v1, v3
	v_mul_f32_e32 v3, v145, v16
	v_fma_f32 v4, v142, v13, -v4
	v_fmac_f32_e32 v148, v147, v139
	s_delay_alu instid0(VALU_DEP_4) | instskip(SKIP_2) | instid1(VALU_DEP_3)
	v_dual_add_f32 v2, v2, v152 :: v_dual_add_f32 v1, v1, v5
	v_mul_f32_e32 v5, v147, v140
	v_fma_f32 v3, v144, v15, -v3
	v_dual_add_f32 v2, v2, v155 :: v_dual_add_f32 v1, v1, v4
	s_delay_alu instid0(VALU_DEP_3) | instskip(NEXT) | instid1(VALU_DEP_2)
	v_fma_f32 v4, v146, v139, -v5
	v_dual_add_f32 v2, v2, v150 :: v_dual_add_f32 v1, v1, v3
	s_delay_alu instid0(VALU_DEP_1) | instskip(NEXT) | instid1(VALU_DEP_1)
	v_add_f32_e32 v2, v2, v148
	v_dual_add_f32 v1, v1, v4 :: v_dual_sub_f32 v2, v23, v2
	s_delay_alu instid0(VALU_DEP_1)
	v_sub_f32_e32 v1, v22, v1
	scratch_store_b64 off, v[1:2], off offset:184
	v_cmpx_lt_u32_e32 22, v0
	s_cbranch_execz .LBB56_311
; %bb.310:
	scratch_load_b64 v[1:2], off, off offset:176
	v_mov_b32_e32 v22, v21
	scratch_store_b64 off, v[21:22], off offset:176
	s_wait_loadcnt 0x0
	ds_store_b64 v141, v[1:2]
.LBB56_311:
	s_wait_alu 0xfffe
	s_or_b32 exec_lo, exec_lo, s0
	s_wait_storecnt_dscnt 0x0
	s_barrier_signal -1
	s_barrier_wait -1
	global_inv scope:SCOPE_SE
	s_clause 0x4
	scratch_load_b128 v[5:8], off, off offset:184
	scratch_load_b128 v[1:4], off, off offset:200
	;; [unrolled: 1-line block ×5, first 2 shown]
	ds_load_2addr_b64 v[142:145], v21 offset0:81 offset1:82
	ds_load_2addr_b64 v[146:149], v21 offset0:83 offset1:84
	;; [unrolled: 1-line block ×3, first 2 shown]
	scratch_load_b64 v[139:140], off, off offset:176
	s_mov_b32 s0, exec_lo
	s_wait_loadcnt_dscnt 0x502
	v_mul_f32_e32 v22, v143, v6
	v_dual_mul_f32 v23, v142, v6 :: v_dual_mul_f32 v24, v144, v8
	v_mul_f32_e32 v6, v145, v8
	s_delay_alu instid0(VALU_DEP_3) | instskip(NEXT) | instid1(VALU_DEP_3)
	v_fma_f32 v22, v142, v5, -v22
	v_dual_fmac_f32 v23, v143, v5 :: v_dual_fmac_f32 v24, v145, v7
	s_wait_loadcnt_dscnt 0x401
	v_mul_f32_e32 v143, v146, v2
	v_fma_f32 v142, v144, v7, -v6
	ds_load_2addr_b64 v[5:8], v21 offset0:87 offset1:88
	s_wait_loadcnt_dscnt 0x301
	v_dual_mul_f32 v144, v148, v4 :: v_dual_mul_f32 v145, v150, v10
	v_dual_mul_f32 v4, v149, v4 :: v_dual_fmac_f32 v143, v147, v1
	v_mul_f32_e32 v10, v151, v10
	s_delay_alu instid0(VALU_DEP_3)
	v_dual_mul_f32 v154, v152, v12 :: v_dual_fmac_f32 v145, v151, v9
	v_mul_f32_e32 v12, v153, v12
	v_mul_f32_e32 v2, v147, v2
	v_fmac_f32_e32 v144, v149, v3
	v_fma_f32 v147, v148, v3, -v4
	v_fma_f32 v148, v150, v9, -v10
	v_fmac_f32_e32 v154, v153, v11
	v_fma_f32 v149, v152, v11, -v12
	ds_load_2addr_b64 v[9:12], v21 offset0:89 offset1:90
	s_wait_loadcnt_dscnt 0x201
	v_mul_f32_e32 v150, v5, v14
	v_dual_mul_f32 v14, v6, v14 :: v_dual_mul_f32 v151, v7, v16
	v_mul_f32_e32 v16, v8, v16
	s_delay_alu instid0(VALU_DEP_3) | instskip(NEXT) | instid1(VALU_DEP_3)
	v_fmac_f32_e32 v150, v6, v13
	v_fma_f32 v13, v5, v13, -v14
	s_delay_alu instid0(VALU_DEP_4) | instskip(NEXT) | instid1(VALU_DEP_4)
	v_fmac_f32_e32 v151, v8, v15
	v_fma_f32 v14, v7, v15, -v16
	ds_load_2addr_b64 v[5:8], v21 offset0:91 offset1:92
	s_wait_loadcnt_dscnt 0x101
	v_mul_f32_e32 v15, v9, v18
	v_mul_f32_e32 v16, v10, v18
	;; [unrolled: 1-line block ×3, first 2 shown]
	s_delay_alu instid0(VALU_DEP_3)
	v_dual_mul_f32 v20, v12, v20 :: v_dual_fmac_f32 v15, v10, v17
	v_fma_f32 v146, v146, v1, -v2
	scratch_load_b128 v[1:4], off, off offset:264
	v_fma_f32 v16, v9, v17, -v16
	v_fmac_f32_e32 v18, v12, v19
	v_fma_f32 v17, v11, v19, -v20
	scratch_load_b128 v[9:12], off, off offset:280
	s_wait_loadcnt_dscnt 0x100
	v_mul_f32_e32 v19, v5, v2
	v_mul_f32_e32 v2, v6, v2
	;; [unrolled: 1-line block ×3, first 2 shown]
	s_delay_alu instid0(VALU_DEP_3) | instskip(NEXT) | instid1(VALU_DEP_3)
	v_dual_mul_f32 v4, v8, v4 :: v_dual_fmac_f32 v19, v6, v1
	v_fma_f32 v152, v5, v1, -v2
	s_delay_alu instid0(VALU_DEP_3) | instskip(NEXT) | instid1(VALU_DEP_3)
	v_fmac_f32_e32 v20, v8, v3
	v_fma_f32 v153, v7, v3, -v4
	ds_load_2addr_b64 v[1:4], v21 offset0:93 offset1:94
	ds_load_2addr_b64 v[5:8], v21 offset0:95 offset1:96
	s_wait_loadcnt_dscnt 0x1
	v_mul_f32_e32 v155, v1, v10
	v_mul_f32_e32 v10, v2, v10
	s_delay_alu instid0(VALU_DEP_2) | instskip(NEXT) | instid1(VALU_DEP_2)
	v_dual_mul_f32 v156, v3, v12 :: v_dual_fmac_f32 v155, v2, v9
	v_fma_f32 v157, v1, v9, -v10
	v_mul_f32_e32 v1, v4, v12
	s_delay_alu instid0(VALU_DEP_3) | instskip(NEXT) | instid1(VALU_DEP_2)
	v_fmac_f32_e32 v156, v4, v11
	v_fma_f32 v158, v3, v11, -v1
	s_clause 0x1
	scratch_load_b128 v[1:4], off, off offset:296
	scratch_load_b128 v[9:12], off, off offset:312
	s_wait_loadcnt_dscnt 0x100
	v_mul_f32_e32 v159, v5, v2
	v_dual_mul_f32 v2, v6, v2 :: v_dual_mul_f32 v161, v7, v4
	s_delay_alu instid0(VALU_DEP_2) | instskip(NEXT) | instid1(VALU_DEP_2)
	v_fmac_f32_e32 v159, v6, v1
	v_fma_f32 v160, v5, v1, -v2
	v_mul_f32_e32 v1, v8, v4
	s_delay_alu instid0(VALU_DEP_4) | instskip(NEXT) | instid1(VALU_DEP_2)
	v_fmac_f32_e32 v161, v8, v3
	v_fma_f32 v162, v7, v3, -v1
	ds_load_2addr_b64 v[1:4], v21 offset0:97 offset1:98
	ds_load_2addr_b64 v[5:8], v21 offset0:99 offset1:100
	s_wait_loadcnt_dscnt 0x1
	v_mul_f32_e32 v163, v1, v10
	v_mul_f32_e32 v165, v3, v12
	s_delay_alu instid0(VALU_DEP_2) | instskip(NEXT) | instid1(VALU_DEP_2)
	v_fmac_f32_e32 v163, v2, v9
	v_dual_mul_f32 v2, v2, v10 :: v_dual_fmac_f32 v165, v4, v11
	s_delay_alu instid0(VALU_DEP_1) | instskip(SKIP_1) | instid1(VALU_DEP_1)
	v_fma_f32 v164, v1, v9, -v2
	v_mul_f32_e32 v1, v4, v12
	v_fma_f32 v166, v3, v11, -v1
	s_clause 0x1
	scratch_load_b128 v[1:4], off, off offset:328
	scratch_load_b128 v[9:12], off, off offset:344
	s_wait_loadcnt_dscnt 0x100
	v_mul_f32_e32 v167, v5, v2
	v_dual_mul_f32 v2, v6, v2 :: v_dual_mul_f32 v169, v7, v4
	s_delay_alu instid0(VALU_DEP_2) | instskip(NEXT) | instid1(VALU_DEP_2)
	v_fmac_f32_e32 v167, v6, v1
	v_fma_f32 v168, v5, v1, -v2
	v_mul_f32_e32 v1, v8, v4
	s_delay_alu instid0(VALU_DEP_4) | instskip(NEXT) | instid1(VALU_DEP_2)
	v_fmac_f32_e32 v169, v8, v3
	v_fma_f32 v170, v7, v3, -v1
	ds_load_2addr_b64 v[1:4], v21 offset0:101 offset1:102
	ds_load_2addr_b64 v[5:8], v21 offset0:103 offset1:104
	s_wait_loadcnt_dscnt 0x1
	v_mul_f32_e32 v171, v1, v10
	v_mul_f32_e32 v173, v3, v12
	s_delay_alu instid0(VALU_DEP_2) | instskip(NEXT) | instid1(VALU_DEP_2)
	v_fmac_f32_e32 v171, v2, v9
	v_dual_mul_f32 v2, v2, v10 :: v_dual_fmac_f32 v173, v4, v11
	s_delay_alu instid0(VALU_DEP_1) | instskip(SKIP_1) | instid1(VALU_DEP_1)
	v_fma_f32 v172, v1, v9, -v2
	v_mul_f32_e32 v1, v4, v12
	v_fma_f32 v174, v3, v11, -v1
	s_clause 0x1
	scratch_load_b128 v[1:4], off, off offset:360
	scratch_load_b128 v[9:12], off, off offset:376
	s_wait_loadcnt_dscnt 0x100
	v_mul_f32_e32 v175, v5, v2
	v_mul_f32_e32 v2, v6, v2
	s_delay_alu instid0(VALU_DEP_1) | instskip(SKIP_1) | instid1(VALU_DEP_1)
	v_fma_f32 v176, v5, v1, -v2
	v_add_f32_e32 v2, 0, v23
	v_add_f32_e32 v2, v2, v24
	v_fmac_f32_e32 v175, v6, v1
	s_delay_alu instid0(VALU_DEP_2) | instskip(NEXT) | instid1(VALU_DEP_1)
	v_add_f32_e32 v2, v2, v143
	v_add_f32_e32 v2, v2, v144
	s_delay_alu instid0(VALU_DEP_1) | instskip(NEXT) | instid1(VALU_DEP_1)
	v_dual_mul_f32 v177, v7, v4 :: v_dual_add_f32 v2, v2, v145
	v_dual_fmac_f32 v177, v8, v3 :: v_dual_add_f32 v2, v2, v154
	s_delay_alu instid0(VALU_DEP_1) | instskip(NEXT) | instid1(VALU_DEP_1)
	v_dual_mul_f32 v1, v8, v4 :: v_dual_add_f32 v2, v2, v150
	v_fma_f32 v178, v7, v3, -v1
	s_delay_alu instid0(VALU_DEP_2) | instskip(NEXT) | instid1(VALU_DEP_1)
	v_dual_add_f32 v1, 0, v22 :: v_dual_add_f32 v2, v2, v151
	v_dual_add_f32 v1, v1, v142 :: v_dual_add_f32 v2, v2, v15
	s_delay_alu instid0(VALU_DEP_1) | instskip(NEXT) | instid1(VALU_DEP_2)
	v_add_f32_e32 v1, v1, v146
	v_add_f32_e32 v5, v2, v18
	s_delay_alu instid0(VALU_DEP_2) | instskip(NEXT) | instid1(VALU_DEP_1)
	v_add_f32_e32 v1, v1, v147
	v_add_f32_e32 v1, v1, v148
	s_delay_alu instid0(VALU_DEP_1) | instskip(NEXT) | instid1(VALU_DEP_1)
	v_add_f32_e32 v1, v1, v149
	v_add_f32_e32 v1, v1, v13
	v_add_f32_e32 v13, v5, v19
	s_delay_alu instid0(VALU_DEP_1) | instskip(NEXT) | instid1(VALU_DEP_1)
	v_add_f32_e32 v13, v13, v20
	v_add_f32_e32 v13, v13, v155
	s_delay_alu instid0(VALU_DEP_1) | instskip(NEXT) | instid1(VALU_DEP_1)
	v_add_f32_e32 v18, v13, v156
	v_dual_add_f32 v18, v18, v159 :: v_dual_add_f32 v1, v1, v14
	s_delay_alu instid0(VALU_DEP_1) | instskip(NEXT) | instid1(VALU_DEP_1)
	v_dual_add_f32 v18, v18, v161 :: v_dual_add_f32 v1, v1, v16
	v_dual_add_f32 v22, v18, v163 :: v_dual_add_f32 v1, v1, v17
	s_delay_alu instid0(VALU_DEP_1) | instskip(NEXT) | instid1(VALU_DEP_2)
	v_add_f32_e32 v22, v22, v165
	v_add_f32_e32 v6, v1, v152
	ds_load_2addr_b64 v[1:4], v21 offset0:105 offset1:106
	v_add_f32_e32 v22, v22, v167
	v_add_f32_e32 v14, v6, v153
	scratch_load_b128 v[5:8], off, off offset:392
	v_add_f32_e32 v14, v14, v157
	s_delay_alu instid0(VALU_DEP_1)
	v_add_f32_e32 v17, v14, v158
	ds_load_2addr_b64 v[13:16], v21 offset0:107 offset1:108
	v_add_f32_e32 v17, v17, v160
	s_wait_loadcnt_dscnt 0x101
	v_dual_mul_f32 v142, v1, v10 :: v_dual_mul_f32 v143, v3, v12
	v_mul_f32_e32 v10, v2, v10
	v_mul_f32_e32 v12, v4, v12
	s_delay_alu instid0(VALU_DEP_3) | instskip(NEXT) | instid1(VALU_DEP_3)
	v_dual_fmac_f32 v142, v2, v9 :: v_dual_fmac_f32 v143, v4, v11
	v_fma_f32 v144, v1, v9, -v10
	s_delay_alu instid0(VALU_DEP_3)
	v_fma_f32 v145, v3, v11, -v12
	s_clause 0x1
	scratch_load_b128 v[1:4], off, off offset:408
	scratch_load_b128 v[9:12], off, off offset:424
	s_wait_loadcnt_dscnt 0x200
	v_mul_f32_e32 v146, v13, v6
	v_add_f32_e32 v17, v17, v162
	v_dual_mul_f32 v6, v14, v6 :: v_dual_mul_f32 v147, v15, v8
	v_mul_f32_e32 v8, v16, v8
	s_delay_alu instid0(VALU_DEP_3) | instskip(NEXT) | instid1(VALU_DEP_3)
	v_dual_fmac_f32 v146, v14, v5 :: v_dual_add_f32 v17, v17, v164
	v_fma_f32 v148, v13, v5, -v6
	v_add_f32_e32 v13, v22, v169
	v_fmac_f32_e32 v147, v16, v7
	v_fma_f32 v149, v15, v7, -v8
	v_add_f32_e32 v23, v17, v166
	scratch_load_b128 v[17:20], off, off offset:440
	ds_load_2addr_b64 v[5:8], v21 offset0:109 offset1:110
	v_add_f32_e32 v23, v23, v168
	s_delay_alu instid0(VALU_DEP_1) | instskip(NEXT) | instid1(VALU_DEP_1)
	v_add_f32_e32 v23, v23, v170
	v_add_f32_e32 v22, v23, v172
	s_delay_alu instid0(VALU_DEP_1) | instskip(NEXT) | instid1(VALU_DEP_1)
	v_add_f32_e32 v150, v22, v174
	;; [unrolled: 3-line block ×3, first 2 shown]
	v_dual_add_f32 v144, v150, v144 :: v_dual_add_f32 v23, v13, v171
	ds_load_2addr_b64 v[13:16], v21 offset0:111 offset1:112
	s_wait_loadcnt_dscnt 0x201
	v_mul_f32_e32 v152, v5, v2
	v_mul_f32_e32 v2, v6, v2
	v_add_f32_e32 v144, v144, v145
	v_add_f32_e32 v151, v23, v173
	ds_load_2addr_b64 v[21:24], v21 offset0:113 offset1:114
	v_mul_f32_e32 v150, v7, v4
	v_mul_f32_e32 v4, v8, v4
	v_dual_add_f32 v144, v144, v148 :: v_dual_add_f32 v151, v151, v175
	v_fma_f32 v2, v5, v1, -v2
	s_delay_alu instid0(VALU_DEP_4) | instskip(NEXT) | instid1(VALU_DEP_4)
	v_fmac_f32_e32 v150, v8, v3
	v_fma_f32 v3, v7, v3, -v4
	v_fmac_f32_e32 v152, v6, v1
	v_add_f32_e32 v151, v151, v177
	s_delay_alu instid0(VALU_DEP_1) | instskip(SKIP_3) | instid1(VALU_DEP_3)
	v_add_f32_e32 v142, v151, v142
	s_wait_loadcnt_dscnt 0x101
	v_dual_mul_f32 v151, v13, v10 :: v_dual_mul_f32 v4, v16, v12
	v_mul_f32_e32 v6, v14, v10
	v_dual_add_f32 v142, v142, v143 :: v_dual_mul_f32 v153, v15, v12
	s_delay_alu instid0(VALU_DEP_3) | instskip(NEXT) | instid1(VALU_DEP_4)
	v_fmac_f32_e32 v151, v14, v9
	v_fma_f32 v4, v15, v11, -v4
	s_delay_alu instid0(VALU_DEP_3) | instskip(NEXT) | instid1(VALU_DEP_1)
	v_add_f32_e32 v142, v142, v146
	v_add_f32_e32 v5, v142, v147
	;; [unrolled: 1-line block ×3, first 2 shown]
	s_delay_alu instid0(VALU_DEP_1) | instskip(NEXT) | instid1(VALU_DEP_3)
	v_add_f32_e32 v1, v1, v2
	v_add_f32_e32 v2, v5, v152
	v_fma_f32 v5, v13, v9, -v6
	s_delay_alu instid0(VALU_DEP_2) | instskip(NEXT) | instid1(VALU_DEP_1)
	v_dual_add_f32 v1, v1, v3 :: v_dual_add_f32 v2, v2, v150
	v_dual_add_f32 v1, v1, v5 :: v_dual_add_f32 v2, v2, v151
	s_wait_loadcnt_dscnt 0x0
	v_mul_f32_e32 v143, v21, v18
	v_mul_f32_e32 v145, v23, v20
	;; [unrolled: 1-line block ×3, first 2 shown]
	s_delay_alu instid0(VALU_DEP_3) | instskip(NEXT) | instid1(VALU_DEP_3)
	v_fmac_f32_e32 v143, v22, v17
	v_fmac_f32_e32 v145, v24, v19
	;; [unrolled: 1-line block ×3, first 2 shown]
	v_mul_f32_e32 v5, v24, v20
	v_fma_f32 v3, v21, v17, -v3
	s_delay_alu instid0(VALU_DEP_3) | instskip(NEXT) | instid1(VALU_DEP_3)
	v_dual_add_f32 v2, v2, v153 :: v_dual_add_f32 v1, v1, v4
	v_fma_f32 v4, v23, v19, -v5
	s_delay_alu instid0(VALU_DEP_2) | instskip(NEXT) | instid1(VALU_DEP_1)
	v_add_f32_e32 v2, v2, v143
	v_dual_add_f32 v1, v1, v3 :: v_dual_add_f32 v2, v2, v145
	s_delay_alu instid0(VALU_DEP_1) | instskip(NEXT) | instid1(VALU_DEP_1)
	v_dual_add_f32 v1, v1, v4 :: v_dual_sub_f32 v2, v140, v2
	v_sub_f32_e32 v1, v139, v1
	scratch_store_b64 off, v[1:2], off offset:176
	v_cmpx_lt_u32_e32 21, v0
	s_cbranch_execz .LBB56_313
; %bb.312:
	scratch_load_b64 v[1:2], off, off offset:168
	v_mov_b32_e32 v3, 0
	s_delay_alu instid0(VALU_DEP_1)
	v_mov_b32_e32 v4, v3
	scratch_store_b64 off, v[3:4], off offset:168
	s_wait_loadcnt 0x0
	ds_store_b64 v141, v[1:2]
.LBB56_313:
	s_wait_alu 0xfffe
	s_or_b32 exec_lo, exec_lo, s0
	s_wait_storecnt_dscnt 0x0
	s_barrier_signal -1
	s_barrier_wait -1
	global_inv scope:SCOPE_SE
	s_clause 0x4
	scratch_load_b128 v[5:8], off, off offset:176
	scratch_load_b128 v[1:4], off, off offset:192
	;; [unrolled: 1-line block ×5, first 2 shown]
	v_mov_b32_e32 v21, 0
	ds_load_b128 v[142:145], v21 offset:640
	ds_load_b128 v[146:149], v21 offset:656
	;; [unrolled: 1-line block ×3, first 2 shown]
	scratch_load_b64 v[22:23], off, off offset:168
	s_mov_b32 s0, exec_lo
	s_wait_loadcnt_dscnt 0x502
	v_mul_f32_e32 v24, v143, v6
	v_dual_mul_f32 v139, v142, v6 :: v_dual_mul_f32 v140, v144, v8
	v_mul_f32_e32 v6, v145, v8
	s_delay_alu instid0(VALU_DEP_3) | instskip(NEXT) | instid1(VALU_DEP_3)
	v_fma_f32 v24, v142, v5, -v24
	v_dual_fmac_f32 v139, v143, v5 :: v_dual_fmac_f32 v140, v145, v7
	s_wait_loadcnt_dscnt 0x401
	v_mul_f32_e32 v143, v146, v2
	v_fma_f32 v142, v144, v7, -v6
	ds_load_b128 v[5:8], v21 offset:688
	s_wait_loadcnt_dscnt 0x301
	v_dual_mul_f32 v144, v148, v4 :: v_dual_mul_f32 v145, v150, v10
	v_dual_mul_f32 v4, v149, v4 :: v_dual_fmac_f32 v143, v147, v1
	v_mul_f32_e32 v10, v151, v10
	s_delay_alu instid0(VALU_DEP_3)
	v_dual_mul_f32 v154, v152, v12 :: v_dual_fmac_f32 v145, v151, v9
	v_mul_f32_e32 v12, v153, v12
	v_mul_f32_e32 v2, v147, v2
	v_fmac_f32_e32 v144, v149, v3
	v_fma_f32 v147, v148, v3, -v4
	v_fma_f32 v148, v150, v9, -v10
	v_fmac_f32_e32 v154, v153, v11
	v_fma_f32 v149, v152, v11, -v12
	ds_load_b128 v[9:12], v21 offset:704
	s_wait_loadcnt_dscnt 0x201
	v_dual_mul_f32 v151, v7, v16 :: v_dual_mul_f32 v150, v5, v14
	v_mul_f32_e32 v14, v6, v14
	v_mul_f32_e32 v16, v8, v16
	s_delay_alu instid0(VALU_DEP_3)
	v_fmac_f32_e32 v151, v8, v15
	v_fma_f32 v146, v146, v1, -v2
	scratch_load_b128 v[1:4], off, off offset:256
	v_fmac_f32_e32 v150, v6, v13
	v_fma_f32 v13, v5, v13, -v14
	v_fma_f32 v14, v7, v15, -v16
	ds_load_b128 v[5:8], v21 offset:720
	s_wait_loadcnt_dscnt 0x201
	v_mul_f32_e32 v15, v9, v18
	v_mul_f32_e32 v16, v10, v18
	;; [unrolled: 1-line block ×3, first 2 shown]
	s_delay_alu instid0(VALU_DEP_3) | instskip(NEXT) | instid1(VALU_DEP_3)
	v_dual_mul_f32 v20, v12, v20 :: v_dual_fmac_f32 v15, v10, v17
	v_fma_f32 v16, v9, v17, -v16
	s_delay_alu instid0(VALU_DEP_3) | instskip(NEXT) | instid1(VALU_DEP_3)
	v_fmac_f32_e32 v18, v12, v19
	v_fma_f32 v17, v11, v19, -v20
	scratch_load_b128 v[9:12], off, off offset:272
	s_wait_loadcnt_dscnt 0x100
	v_mul_f32_e32 v19, v5, v2
	v_mul_f32_e32 v2, v6, v2
	v_mul_f32_e32 v20, v7, v4
	s_delay_alu instid0(VALU_DEP_3) | instskip(NEXT) | instid1(VALU_DEP_3)
	v_dual_mul_f32 v4, v8, v4 :: v_dual_fmac_f32 v19, v6, v1
	v_fma_f32 v152, v5, v1, -v2
	s_delay_alu instid0(VALU_DEP_3) | instskip(NEXT) | instid1(VALU_DEP_3)
	v_fmac_f32_e32 v20, v8, v3
	v_fma_f32 v153, v7, v3, -v4
	ds_load_b128 v[1:4], v21 offset:736
	ds_load_b128 v[5:8], v21 offset:752
	s_wait_loadcnt_dscnt 0x1
	v_mul_f32_e32 v155, v1, v10
	v_mul_f32_e32 v10, v2, v10
	s_delay_alu instid0(VALU_DEP_2) | instskip(NEXT) | instid1(VALU_DEP_2)
	v_dual_mul_f32 v156, v3, v12 :: v_dual_fmac_f32 v155, v2, v9
	v_fma_f32 v157, v1, v9, -v10
	v_mul_f32_e32 v1, v4, v12
	s_delay_alu instid0(VALU_DEP_3) | instskip(NEXT) | instid1(VALU_DEP_2)
	v_fmac_f32_e32 v156, v4, v11
	v_fma_f32 v158, v3, v11, -v1
	s_clause 0x1
	scratch_load_b128 v[1:4], off, off offset:288
	scratch_load_b128 v[9:12], off, off offset:304
	s_wait_loadcnt_dscnt 0x100
	v_mul_f32_e32 v159, v5, v2
	v_dual_mul_f32 v2, v6, v2 :: v_dual_mul_f32 v161, v7, v4
	s_delay_alu instid0(VALU_DEP_2) | instskip(NEXT) | instid1(VALU_DEP_2)
	v_fmac_f32_e32 v159, v6, v1
	v_fma_f32 v160, v5, v1, -v2
	v_mul_f32_e32 v1, v8, v4
	s_delay_alu instid0(VALU_DEP_4) | instskip(NEXT) | instid1(VALU_DEP_2)
	v_fmac_f32_e32 v161, v8, v3
	v_fma_f32 v162, v7, v3, -v1
	ds_load_b128 v[1:4], v21 offset:768
	ds_load_b128 v[5:8], v21 offset:784
	s_wait_loadcnt_dscnt 0x1
	v_mul_f32_e32 v163, v1, v10
	v_mul_f32_e32 v165, v3, v12
	s_delay_alu instid0(VALU_DEP_2) | instskip(NEXT) | instid1(VALU_DEP_2)
	v_fmac_f32_e32 v163, v2, v9
	v_dual_mul_f32 v2, v2, v10 :: v_dual_fmac_f32 v165, v4, v11
	s_delay_alu instid0(VALU_DEP_1) | instskip(SKIP_1) | instid1(VALU_DEP_1)
	v_fma_f32 v164, v1, v9, -v2
	v_mul_f32_e32 v1, v4, v12
	v_fma_f32 v166, v3, v11, -v1
	s_clause 0x1
	scratch_load_b128 v[1:4], off, off offset:320
	scratch_load_b128 v[9:12], off, off offset:336
	s_wait_loadcnt_dscnt 0x100
	v_mul_f32_e32 v167, v5, v2
	v_dual_mul_f32 v169, v7, v4 :: v_dual_mul_f32 v2, v6, v2
	s_delay_alu instid0(VALU_DEP_2) | instskip(NEXT) | instid1(VALU_DEP_2)
	v_fmac_f32_e32 v167, v6, v1
	v_fmac_f32_e32 v169, v8, v3
	s_delay_alu instid0(VALU_DEP_3) | instskip(SKIP_1) | instid1(VALU_DEP_1)
	v_fma_f32 v168, v5, v1, -v2
	v_mul_f32_e32 v1, v8, v4
	v_fma_f32 v170, v7, v3, -v1
	ds_load_b128 v[1:4], v21 offset:800
	ds_load_b128 v[5:8], v21 offset:816
	s_wait_loadcnt_dscnt 0x1
	v_mul_f32_e32 v171, v1, v10
	v_mul_f32_e32 v173, v3, v12
	s_delay_alu instid0(VALU_DEP_2) | instskip(NEXT) | instid1(VALU_DEP_2)
	v_fmac_f32_e32 v171, v2, v9
	v_dual_mul_f32 v2, v2, v10 :: v_dual_fmac_f32 v173, v4, v11
	s_delay_alu instid0(VALU_DEP_1) | instskip(SKIP_1) | instid1(VALU_DEP_1)
	v_fma_f32 v172, v1, v9, -v2
	v_mul_f32_e32 v1, v4, v12
	v_fma_f32 v174, v3, v11, -v1
	s_clause 0x1
	scratch_load_b128 v[1:4], off, off offset:352
	scratch_load_b128 v[9:12], off, off offset:368
	s_wait_loadcnt_dscnt 0x100
	v_mul_f32_e32 v175, v5, v2
	v_mul_f32_e32 v2, v6, v2
	s_delay_alu instid0(VALU_DEP_1) | instskip(SKIP_1) | instid1(VALU_DEP_1)
	v_fma_f32 v176, v5, v1, -v2
	v_add_f32_e32 v2, 0, v139
	v_add_f32_e32 v2, v2, v140
	s_delay_alu instid0(VALU_DEP_1) | instskip(NEXT) | instid1(VALU_DEP_1)
	v_add_f32_e32 v2, v2, v143
	v_add_f32_e32 v2, v2, v144
	v_mul_f32_e32 v177, v7, v4
	v_fmac_f32_e32 v175, v6, v1
	s_delay_alu instid0(VALU_DEP_2) | instskip(NEXT) | instid1(VALU_DEP_1)
	v_dual_add_f32 v2, v2, v145 :: v_dual_fmac_f32 v177, v8, v3
	v_dual_add_f32 v2, v2, v154 :: v_dual_mul_f32 v1, v8, v4
	s_delay_alu instid0(VALU_DEP_1) | instskip(NEXT) | instid1(VALU_DEP_2)
	v_add_f32_e32 v2, v2, v150
	v_fma_f32 v178, v7, v3, -v1
	s_delay_alu instid0(VALU_DEP_2) | instskip(NEXT) | instid1(VALU_DEP_1)
	v_dual_add_f32 v1, 0, v24 :: v_dual_add_f32 v2, v2, v151
	v_dual_add_f32 v1, v1, v142 :: v_dual_add_f32 v2, v2, v15
	s_delay_alu instid0(VALU_DEP_1) | instskip(NEXT) | instid1(VALU_DEP_2)
	v_add_f32_e32 v1, v1, v146
	v_add_f32_e32 v5, v2, v18
	s_delay_alu instid0(VALU_DEP_2) | instskip(NEXT) | instid1(VALU_DEP_1)
	v_add_f32_e32 v1, v1, v147
	v_add_f32_e32 v1, v1, v148
	s_delay_alu instid0(VALU_DEP_1) | instskip(NEXT) | instid1(VALU_DEP_1)
	v_add_f32_e32 v1, v1, v149
	v_add_f32_e32 v1, v1, v13
	;; [unrolled: 1-line block ×3, first 2 shown]
	s_delay_alu instid0(VALU_DEP_2) | instskip(NEXT) | instid1(VALU_DEP_2)
	v_add_f32_e32 v1, v1, v14
	v_add_f32_e32 v13, v13, v20
	s_delay_alu instid0(VALU_DEP_2) | instskip(NEXT) | instid1(VALU_DEP_1)
	v_add_f32_e32 v1, v1, v16
	v_add_f32_e32 v1, v1, v17
	s_delay_alu instid0(VALU_DEP_1)
	v_add_f32_e32 v6, v1, v152
	scratch_load_b128 v[1:4], off, off offset:384
	v_dual_add_f32 v13, v13, v155 :: v_dual_add_f32 v14, v6, v153
	ds_load_b128 v[5:8], v21 offset:832
	v_add_f32_e32 v18, v13, v156
	v_add_f32_e32 v14, v14, v157
	s_delay_alu instid0(VALU_DEP_2) | instskip(NEXT) | instid1(VALU_DEP_2)
	v_add_f32_e32 v18, v18, v159
	v_add_f32_e32 v17, v14, v158
	ds_load_b128 v[13:16], v21 offset:848
	v_add_f32_e32 v18, v18, v161
	s_wait_loadcnt_dscnt 0x101
	s_delay_alu instid0(VALU_DEP_1) | instskip(SKIP_3) | instid1(VALU_DEP_4)
	v_dual_add_f32 v139, v18, v163 :: v_dual_mul_f32 v24, v5, v10
	v_mul_f32_e32 v10, v6, v10
	v_mul_f32_e32 v148, v7, v12
	;; [unrolled: 1-line block ×3, first 2 shown]
	v_add_f32_e32 v142, v139, v165
	v_fmac_f32_e32 v24, v6, v9
	v_fma_f32 v149, v5, v9, -v10
	v_fmac_f32_e32 v148, v8, v11
	v_fma_f32 v150, v7, v11, -v12
	scratch_load_b128 v[5:8], off, off offset:400
	v_add_f32_e32 v142, v142, v167
	scratch_load_b128 v[9:12], off, off offset:416
	v_add_f32_e32 v142, v142, v169
	s_wait_loadcnt_dscnt 0x200
	v_mul_f32_e32 v152, v15, v4
	v_add_f32_e32 v17, v17, v160
	v_dual_mul_f32 v4, v16, v4 :: v_dual_mul_f32 v151, v13, v2
	v_mul_f32_e32 v2, v14, v2
	s_delay_alu instid0(VALU_DEP_3) | instskip(NEXT) | instid1(VALU_DEP_3)
	v_dual_fmac_f32 v152, v16, v3 :: v_dual_add_f32 v17, v17, v162
	v_fma_f32 v154, v15, v3, -v4
	s_delay_alu instid0(VALU_DEP_3) | instskip(SKIP_1) | instid1(VALU_DEP_4)
	v_fma_f32 v153, v13, v1, -v2
	v_add_f32_e32 v13, v142, v171
	v_add_f32_e32 v17, v17, v164
	s_delay_alu instid0(VALU_DEP_2) | instskip(NEXT) | instid1(VALU_DEP_2)
	v_add_f32_e32 v142, v13, v173
	v_add_f32_e32 v140, v17, v166
	scratch_load_b128 v[17:20], off, off offset:432
	v_add_f32_e32 v147, v142, v175
	v_add_f32_e32 v143, v140, v168
	scratch_load_b64 v[139:140], off, off offset:448
	v_add_f32_e32 v156, v147, v177
	s_delay_alu instid0(VALU_DEP_1) | instskip(NEXT) | instid1(VALU_DEP_1)
	v_dual_add_f32 v143, v143, v170 :: v_dual_add_f32 v24, v156, v24
	v_add_f32_e32 v143, v143, v172
	v_fmac_f32_e32 v151, v14, v1
	ds_load_b128 v[1:4], v21 offset:864
	v_add_f32_e32 v24, v24, v148
	v_add_f32_e32 v14, v143, v174
	ds_load_b128 v[142:145], v21 offset:896
	v_add_f32_e32 v24, v24, v151
	v_add_f32_e32 v146, v14, v176
	ds_load_b128 v[13:16], v21 offset:880
	v_dual_add_f32 v24, v24, v152 :: v_dual_add_f32 v155, v146, v178
	ds_load_b64 v[146:147], v21 offset:912
	s_wait_loadcnt_dscnt 0x303
	v_mul_f32_e32 v148, v3, v8
	v_add_f32_e32 v149, v155, v149
	v_dual_mul_f32 v155, v1, v6 :: v_dual_mul_f32 v8, v4, v8
	v_mul_f32_e32 v6, v2, v6
	s_delay_alu instid0(VALU_DEP_3) | instskip(NEXT) | instid1(VALU_DEP_3)
	v_dual_fmac_f32 v148, v4, v7 :: v_dual_add_f32 v149, v149, v150
	v_fmac_f32_e32 v155, v2, v5
	s_delay_alu instid0(VALU_DEP_4) | instskip(NEXT) | instid1(VALU_DEP_4)
	v_fma_f32 v2, v3, v7, -v8
	v_fma_f32 v1, v1, v5, -v6
	s_wait_loadcnt_dscnt 0x201
	v_dual_mul_f32 v150, v13, v10 :: v_dual_mul_f32 v151, v15, v12
	v_add_f32_e32 v149, v149, v153
	v_dual_mul_f32 v3, v14, v10 :: v_dual_add_f32 v4, v24, v155
	s_delay_alu instid0(VALU_DEP_3) | instskip(NEXT) | instid1(VALU_DEP_3)
	v_dual_mul_f32 v5, v16, v12 :: v_dual_fmac_f32 v150, v14, v9
	v_add_f32_e32 v149, v149, v154
	v_fmac_f32_e32 v151, v16, v11
	s_delay_alu instid0(VALU_DEP_4) | instskip(NEXT) | instid1(VALU_DEP_4)
	v_fma_f32 v3, v13, v9, -v3
	v_fma_f32 v5, v15, v11, -v5
	s_wait_loadcnt 0x1
	v_dual_mul_f32 v153, v142, v18 :: v_dual_mul_f32 v154, v144, v20
	s_wait_loadcnt_dscnt 0x0
	v_dual_mul_f32 v152, v146, v140 :: v_dual_add_f32 v1, v149, v1
	s_delay_alu instid0(VALU_DEP_2) | instskip(NEXT) | instid1(VALU_DEP_2)
	v_dual_fmac_f32 v153, v143, v17 :: v_dual_fmac_f32 v154, v145, v19
	v_dual_fmac_f32 v152, v147, v139 :: v_dual_add_f32 v1, v1, v2
	v_add_f32_e32 v2, v4, v148
	s_delay_alu instid0(VALU_DEP_1) | instskip(NEXT) | instid1(VALU_DEP_1)
	v_add_f32_e32 v2, v2, v150
	v_add_f32_e32 v2, v2, v151
	s_delay_alu instid0(VALU_DEP_4) | instskip(NEXT) | instid1(VALU_DEP_2)
	v_dual_mul_f32 v4, v143, v18 :: v_dual_add_f32 v1, v1, v3
	v_dual_mul_f32 v3, v145, v20 :: v_dual_add_f32 v2, v2, v153
	s_delay_alu instid0(VALU_DEP_2) | instskip(NEXT) | instid1(VALU_DEP_3)
	v_fma_f32 v4, v142, v17, -v4
	v_add_f32_e32 v1, v1, v5
	v_mul_f32_e32 v5, v147, v140
	s_delay_alu instid0(VALU_DEP_4) | instskip(SKIP_1) | instid1(VALU_DEP_1)
	v_fma_f32 v3, v144, v19, -v3
	v_add_f32_e32 v2, v2, v154
	v_add_f32_e32 v2, v2, v152
	;; [unrolled: 1-line block ×3, first 2 shown]
	v_fma_f32 v4, v146, v139, -v5
	s_delay_alu instid0(VALU_DEP_2) | instskip(NEXT) | instid1(VALU_DEP_1)
	v_dual_sub_f32 v2, v23, v2 :: v_dual_add_f32 v1, v1, v3
	v_add_f32_e32 v1, v1, v4
	s_delay_alu instid0(VALU_DEP_1)
	v_sub_f32_e32 v1, v22, v1
	scratch_store_b64 off, v[1:2], off offset:168
	v_cmpx_lt_u32_e32 20, v0
	s_cbranch_execz .LBB56_315
; %bb.314:
	scratch_load_b64 v[1:2], off, off offset:160
	v_mov_b32_e32 v22, v21
	scratch_store_b64 off, v[21:22], off offset:160
	s_wait_loadcnt 0x0
	ds_store_b64 v141, v[1:2]
.LBB56_315:
	s_wait_alu 0xfffe
	s_or_b32 exec_lo, exec_lo, s0
	s_wait_storecnt_dscnt 0x0
	s_barrier_signal -1
	s_barrier_wait -1
	global_inv scope:SCOPE_SE
	s_clause 0x4
	scratch_load_b128 v[5:8], off, off offset:168
	scratch_load_b128 v[1:4], off, off offset:184
	;; [unrolled: 1-line block ×5, first 2 shown]
	ds_load_2addr_b64 v[142:145], v21 offset0:79 offset1:80
	ds_load_2addr_b64 v[146:149], v21 offset0:81 offset1:82
	;; [unrolled: 1-line block ×3, first 2 shown]
	scratch_load_b64 v[139:140], off, off offset:160
	s_mov_b32 s0, exec_lo
	s_wait_loadcnt_dscnt 0x502
	v_mul_f32_e32 v22, v143, v6
	v_dual_mul_f32 v23, v142, v6 :: v_dual_mul_f32 v24, v144, v8
	v_mul_f32_e32 v6, v145, v8
	s_delay_alu instid0(VALU_DEP_3) | instskip(NEXT) | instid1(VALU_DEP_3)
	v_fma_f32 v22, v142, v5, -v22
	v_dual_fmac_f32 v23, v143, v5 :: v_dual_fmac_f32 v24, v145, v7
	s_wait_loadcnt_dscnt 0x401
	v_mul_f32_e32 v143, v146, v2
	v_fma_f32 v142, v144, v7, -v6
	ds_load_2addr_b64 v[5:8], v21 offset0:85 offset1:86
	s_wait_loadcnt_dscnt 0x301
	v_dual_mul_f32 v144, v148, v4 :: v_dual_mul_f32 v145, v150, v10
	v_dual_mul_f32 v4, v149, v4 :: v_dual_fmac_f32 v143, v147, v1
	v_mul_f32_e32 v10, v151, v10
	s_delay_alu instid0(VALU_DEP_3)
	v_dual_mul_f32 v154, v152, v12 :: v_dual_fmac_f32 v145, v151, v9
	v_mul_f32_e32 v12, v153, v12
	v_mul_f32_e32 v2, v147, v2
	v_fmac_f32_e32 v144, v149, v3
	v_fma_f32 v147, v148, v3, -v4
	v_fma_f32 v148, v150, v9, -v10
	v_fmac_f32_e32 v154, v153, v11
	v_fma_f32 v149, v152, v11, -v12
	ds_load_2addr_b64 v[9:12], v21 offset0:87 offset1:88
	s_wait_loadcnt_dscnt 0x201
	v_mul_f32_e32 v150, v5, v14
	v_dual_mul_f32 v14, v6, v14 :: v_dual_mul_f32 v151, v7, v16
	v_mul_f32_e32 v16, v8, v16
	s_delay_alu instid0(VALU_DEP_3) | instskip(NEXT) | instid1(VALU_DEP_3)
	v_fmac_f32_e32 v150, v6, v13
	v_fma_f32 v13, v5, v13, -v14
	s_delay_alu instid0(VALU_DEP_4) | instskip(NEXT) | instid1(VALU_DEP_4)
	v_fmac_f32_e32 v151, v8, v15
	v_fma_f32 v14, v7, v15, -v16
	ds_load_2addr_b64 v[5:8], v21 offset0:89 offset1:90
	s_wait_loadcnt_dscnt 0x101
	v_mul_f32_e32 v15, v9, v18
	v_mul_f32_e32 v16, v10, v18
	;; [unrolled: 1-line block ×3, first 2 shown]
	s_delay_alu instid0(VALU_DEP_3)
	v_dual_mul_f32 v20, v12, v20 :: v_dual_fmac_f32 v15, v10, v17
	v_fma_f32 v146, v146, v1, -v2
	scratch_load_b128 v[1:4], off, off offset:248
	v_fma_f32 v16, v9, v17, -v16
	v_fmac_f32_e32 v18, v12, v19
	v_fma_f32 v17, v11, v19, -v20
	scratch_load_b128 v[9:12], off, off offset:264
	s_wait_loadcnt_dscnt 0x100
	v_mul_f32_e32 v19, v5, v2
	v_mul_f32_e32 v2, v6, v2
	;; [unrolled: 1-line block ×3, first 2 shown]
	s_delay_alu instid0(VALU_DEP_3) | instskip(NEXT) | instid1(VALU_DEP_3)
	v_dual_mul_f32 v4, v8, v4 :: v_dual_fmac_f32 v19, v6, v1
	v_fma_f32 v152, v5, v1, -v2
	s_delay_alu instid0(VALU_DEP_3) | instskip(NEXT) | instid1(VALU_DEP_3)
	v_fmac_f32_e32 v20, v8, v3
	v_fma_f32 v153, v7, v3, -v4
	ds_load_2addr_b64 v[1:4], v21 offset0:91 offset1:92
	ds_load_2addr_b64 v[5:8], v21 offset0:93 offset1:94
	s_wait_loadcnt_dscnt 0x1
	v_mul_f32_e32 v155, v1, v10
	v_mul_f32_e32 v10, v2, v10
	s_delay_alu instid0(VALU_DEP_2) | instskip(NEXT) | instid1(VALU_DEP_2)
	v_dual_mul_f32 v156, v3, v12 :: v_dual_fmac_f32 v155, v2, v9
	v_fma_f32 v157, v1, v9, -v10
	v_mul_f32_e32 v1, v4, v12
	s_delay_alu instid0(VALU_DEP_3) | instskip(NEXT) | instid1(VALU_DEP_2)
	v_fmac_f32_e32 v156, v4, v11
	v_fma_f32 v158, v3, v11, -v1
	s_clause 0x1
	scratch_load_b128 v[1:4], off, off offset:280
	scratch_load_b128 v[9:12], off, off offset:296
	s_wait_loadcnt_dscnt 0x100
	v_mul_f32_e32 v159, v5, v2
	v_dual_mul_f32 v2, v6, v2 :: v_dual_mul_f32 v161, v7, v4
	s_delay_alu instid0(VALU_DEP_2) | instskip(NEXT) | instid1(VALU_DEP_2)
	v_fmac_f32_e32 v159, v6, v1
	v_fma_f32 v160, v5, v1, -v2
	v_mul_f32_e32 v1, v8, v4
	s_delay_alu instid0(VALU_DEP_4) | instskip(NEXT) | instid1(VALU_DEP_2)
	v_fmac_f32_e32 v161, v8, v3
	v_fma_f32 v162, v7, v3, -v1
	ds_load_2addr_b64 v[1:4], v21 offset0:95 offset1:96
	ds_load_2addr_b64 v[5:8], v21 offset0:97 offset1:98
	s_wait_loadcnt_dscnt 0x1
	v_mul_f32_e32 v163, v1, v10
	v_mul_f32_e32 v165, v3, v12
	s_delay_alu instid0(VALU_DEP_2) | instskip(NEXT) | instid1(VALU_DEP_2)
	v_fmac_f32_e32 v163, v2, v9
	v_dual_mul_f32 v2, v2, v10 :: v_dual_fmac_f32 v165, v4, v11
	s_delay_alu instid0(VALU_DEP_1) | instskip(SKIP_1) | instid1(VALU_DEP_1)
	v_fma_f32 v164, v1, v9, -v2
	v_mul_f32_e32 v1, v4, v12
	v_fma_f32 v166, v3, v11, -v1
	s_clause 0x1
	scratch_load_b128 v[1:4], off, off offset:312
	scratch_load_b128 v[9:12], off, off offset:328
	s_wait_loadcnt_dscnt 0x100
	v_mul_f32_e32 v167, v5, v2
	v_dual_mul_f32 v2, v6, v2 :: v_dual_mul_f32 v169, v7, v4
	s_delay_alu instid0(VALU_DEP_2) | instskip(NEXT) | instid1(VALU_DEP_2)
	v_fmac_f32_e32 v167, v6, v1
	v_fma_f32 v168, v5, v1, -v2
	v_mul_f32_e32 v1, v8, v4
	s_delay_alu instid0(VALU_DEP_4) | instskip(NEXT) | instid1(VALU_DEP_2)
	v_fmac_f32_e32 v169, v8, v3
	v_fma_f32 v170, v7, v3, -v1
	ds_load_2addr_b64 v[1:4], v21 offset0:99 offset1:100
	ds_load_2addr_b64 v[5:8], v21 offset0:101 offset1:102
	s_wait_loadcnt_dscnt 0x1
	v_mul_f32_e32 v171, v1, v10
	v_mul_f32_e32 v173, v3, v12
	s_delay_alu instid0(VALU_DEP_2) | instskip(NEXT) | instid1(VALU_DEP_2)
	v_fmac_f32_e32 v171, v2, v9
	v_dual_mul_f32 v2, v2, v10 :: v_dual_fmac_f32 v173, v4, v11
	s_delay_alu instid0(VALU_DEP_1) | instskip(SKIP_1) | instid1(VALU_DEP_1)
	v_fma_f32 v172, v1, v9, -v2
	v_mul_f32_e32 v1, v4, v12
	;; [unrolled: 25-line block ×3, first 2 shown]
	v_fma_f32 v182, v3, v11, -v1
	s_clause 0x1
	scratch_load_b128 v[1:4], off, off offset:376
	scratch_load_b128 v[9:12], off, off offset:392
	s_wait_loadcnt_dscnt 0x100
	v_mul_f32_e32 v183, v5, v2
	v_mul_f32_e32 v2, v6, v2
	s_delay_alu instid0(VALU_DEP_1) | instskip(SKIP_1) | instid1(VALU_DEP_1)
	v_fma_f32 v184, v5, v1, -v2
	v_add_f32_e32 v2, 0, v23
	v_add_f32_e32 v2, v2, v24
	s_delay_alu instid0(VALU_DEP_1) | instskip(NEXT) | instid1(VALU_DEP_1)
	v_add_f32_e32 v2, v2, v143
	v_add_f32_e32 v2, v2, v144
	s_delay_alu instid0(VALU_DEP_1) | instskip(NEXT) | instid1(VALU_DEP_1)
	v_add_f32_e32 v2, v2, v145
	v_add_f32_e32 v2, v2, v154
	s_delay_alu instid0(VALU_DEP_1) | instskip(NEXT) | instid1(VALU_DEP_1)
	v_add_f32_e32 v2, v2, v150
	v_add_f32_e32 v2, v2, v151
	s_delay_alu instid0(VALU_DEP_1) | instskip(SKIP_1) | instid1(VALU_DEP_2)
	v_add_f32_e32 v2, v2, v15
	v_fmac_f32_e32 v183, v6, v1
	v_dual_mul_f32 v185, v7, v4 :: v_dual_add_f32 v2, v2, v18
	s_delay_alu instid0(VALU_DEP_1) | instskip(NEXT) | instid1(VALU_DEP_1)
	v_dual_mul_f32 v1, v8, v4 :: v_dual_add_f32 v2, v2, v19
	v_fma_f32 v186, v7, v3, -v1
	v_add_f32_e32 v1, 0, v22
	s_delay_alu instid0(VALU_DEP_3) | instskip(NEXT) | instid1(VALU_DEP_2)
	v_dual_fmac_f32 v185, v8, v3 :: v_dual_add_f32 v2, v2, v20
	v_add_f32_e32 v1, v1, v142
	s_delay_alu instid0(VALU_DEP_2) | instskip(NEXT) | instid1(VALU_DEP_2)
	v_add_f32_e32 v5, v2, v155
	v_add_f32_e32 v1, v1, v146
	s_delay_alu instid0(VALU_DEP_2) | instskip(NEXT) | instid1(VALU_DEP_2)
	v_add_f32_e32 v5, v5, v156
	;; [unrolled: 3-line block ×3, first 2 shown]
	v_add_f32_e32 v1, v1, v148
	s_delay_alu instid0(VALU_DEP_1) | instskip(NEXT) | instid1(VALU_DEP_1)
	v_add_f32_e32 v1, v1, v149
	v_add_f32_e32 v1, v1, v13
	s_delay_alu instid0(VALU_DEP_1) | instskip(SKIP_1) | instid1(VALU_DEP_1)
	v_add_f32_e32 v1, v1, v14
	v_add_f32_e32 v14, v5, v161
	v_dual_add_f32 v1, v1, v16 :: v_dual_add_f32 v14, v14, v163
	s_delay_alu instid0(VALU_DEP_1) | instskip(NEXT) | instid1(VALU_DEP_1)
	v_add_f32_e32 v1, v1, v17
	v_dual_add_f32 v14, v14, v165 :: v_dual_add_f32 v1, v1, v152
	s_delay_alu instid0(VALU_DEP_1) | instskip(NEXT) | instid1(VALU_DEP_2)
	v_add_f32_e32 v17, v14, v167
	v_add_f32_e32 v1, v1, v153
	s_delay_alu instid0(VALU_DEP_2) | instskip(NEXT) | instid1(VALU_DEP_2)
	v_add_f32_e32 v17, v17, v169
	v_add_f32_e32 v1, v1, v157
	s_delay_alu instid0(VALU_DEP_1) | instskip(SKIP_2) | instid1(VALU_DEP_1)
	v_add_f32_e32 v6, v1, v158
	ds_load_2addr_b64 v[1:4], v21 offset0:107 offset1:108
	v_dual_add_f32 v17, v17, v171 :: v_dual_add_f32 v6, v6, v160
	v_add_f32_e32 v17, v17, v173
	s_delay_alu instid0(VALU_DEP_2)
	v_add_f32_e32 v13, v6, v162
	ds_load_2addr_b64 v[5:8], v21 offset0:109 offset1:110
	s_wait_loadcnt_dscnt 0x1
	v_mul_f32_e32 v142, v1, v10
	v_dual_mul_f32 v10, v2, v10 :: v_dual_mul_f32 v143, v3, v12
	v_dual_mul_f32 v12, v4, v12 :: v_dual_add_f32 v23, v17, v175
	s_delay_alu instid0(VALU_DEP_3) | instskip(NEXT) | instid1(VALU_DEP_3)
	v_dual_fmac_f32 v142, v2, v9 :: v_dual_add_f32 v13, v13, v164
	v_fma_f32 v144, v1, v9, -v10
	s_delay_alu instid0(VALU_DEP_3) | instskip(NEXT) | instid1(VALU_DEP_4)
	v_fma_f32 v145, v3, v11, -v12
	v_add_f32_e32 v147, v23, v177
	s_delay_alu instid0(VALU_DEP_4) | instskip(NEXT) | instid1(VALU_DEP_1)
	v_add_f32_e32 v13, v13, v166
	v_add_f32_e32 v13, v13, v168
	s_delay_alu instid0(VALU_DEP_1) | instskip(SKIP_2) | instid1(VALU_DEP_1)
	v_add_f32_e32 v18, v13, v170
	scratch_load_b128 v[13:16], off, off offset:440
	v_add_f32_e32 v18, v18, v172
	v_add_f32_e32 v18, v18, v174
	s_delay_alu instid0(VALU_DEP_1)
	v_add_f32_e32 v22, v18, v176
	ds_load_2addr_b64 v[17:20], v21 offset0:111 offset1:112
	v_add_f32_e32 v146, v22, v178
	ds_load_2addr_b64 v[21:24], v21 offset0:113 offset1:114
	v_fmac_f32_e32 v143, v4, v11
	s_clause 0x1
	scratch_load_b128 v[1:4], off, off offset:408
	scratch_load_b128 v[9:12], off, off offset:424
	v_add_f32_e32 v146, v146, v180
	s_delay_alu instid0(VALU_DEP_1) | instskip(NEXT) | instid1(VALU_DEP_1)
	v_add_f32_e32 v146, v146, v182
	v_add_f32_e32 v146, v146, v184
	s_delay_alu instid0(VALU_DEP_1) | instskip(NEXT) | instid1(VALU_DEP_1)
	v_add_f32_e32 v146, v146, v186
	v_add_f32_e32 v144, v146, v144
	s_wait_loadcnt_dscnt 0x200
	v_mul_f32_e32 v146, v23, v16
	v_mul_f32_e32 v152, v21, v14
	s_delay_alu instid0(VALU_DEP_2) | instskip(SKIP_1) | instid1(VALU_DEP_2)
	v_fmac_f32_e32 v146, v24, v15
	s_wait_loadcnt 0x1
	v_dual_fmac_f32 v152, v22, v13 :: v_dual_mul_f32 v149, v7, v4
	s_wait_loadcnt 0x0
	v_dual_mul_f32 v151, v19, v12 :: v_dual_mul_f32 v148, v5, v2
	v_mul_f32_e32 v2, v6, v2
	v_mul_f32_e32 v4, v8, v4
	v_fmac_f32_e32 v149, v8, v3
	v_add_f32_e32 v147, v147, v179
	v_fmac_f32_e32 v151, v20, v11
	v_fma_f32 v2, v5, v1, -v2
	v_fmac_f32_e32 v148, v6, v1
	v_add_f32_e32 v1, v144, v145
	v_dual_add_f32 v147, v147, v181 :: v_dual_mul_f32 v150, v17, v10
	v_mul_f32_e32 v6, v18, v10
	v_fma_f32 v3, v7, v3, -v4
	s_delay_alu instid0(VALU_DEP_4) | instskip(NEXT) | instid1(VALU_DEP_4)
	v_add_f32_e32 v1, v1, v2
	v_dual_add_f32 v147, v147, v183 :: v_dual_mul_f32 v4, v20, v12
	s_delay_alu instid0(VALU_DEP_2) | instskip(NEXT) | instid1(VALU_DEP_2)
	v_dual_fmac_f32 v150, v18, v9 :: v_dual_add_f32 v1, v1, v3
	v_add_f32_e32 v147, v147, v185
	v_mul_f32_e32 v3, v22, v14
	s_delay_alu instid0(VALU_DEP_4) | instskip(NEXT) | instid1(VALU_DEP_3)
	v_fma_f32 v4, v19, v11, -v4
	v_add_f32_e32 v142, v147, v142
	s_delay_alu instid0(VALU_DEP_3) | instskip(NEXT) | instid1(VALU_DEP_2)
	v_fma_f32 v3, v21, v13, -v3
	v_add_f32_e32 v5, v142, v143
	s_delay_alu instid0(VALU_DEP_1) | instskip(SKIP_1) | instid1(VALU_DEP_2)
	v_add_f32_e32 v2, v5, v148
	v_fma_f32 v5, v17, v9, -v6
	v_add_f32_e32 v2, v2, v149
	s_delay_alu instid0(VALU_DEP_2) | instskip(NEXT) | instid1(VALU_DEP_2)
	v_add_f32_e32 v1, v1, v5
	v_dual_mul_f32 v5, v24, v16 :: v_dual_add_f32 v2, v2, v150
	s_delay_alu instid0(VALU_DEP_2) | instskip(NEXT) | instid1(VALU_DEP_2)
	v_add_f32_e32 v1, v1, v4
	v_fma_f32 v4, v23, v15, -v5
	s_delay_alu instid0(VALU_DEP_3) | instskip(NEXT) | instid1(VALU_DEP_1)
	v_add_f32_e32 v2, v2, v151
	v_dual_add_f32 v1, v1, v3 :: v_dual_add_f32 v2, v2, v152
	s_delay_alu instid0(VALU_DEP_1) | instskip(NEXT) | instid1(VALU_DEP_1)
	v_dual_add_f32 v1, v1, v4 :: v_dual_add_f32 v2, v2, v146
	v_dual_sub_f32 v1, v139, v1 :: v_dual_sub_f32 v2, v140, v2
	scratch_store_b64 off, v[1:2], off offset:160
	v_cmpx_lt_u32_e32 19, v0
	s_cbranch_execz .LBB56_317
; %bb.316:
	scratch_load_b64 v[1:2], off, off offset:152
	v_mov_b32_e32 v3, 0
	s_delay_alu instid0(VALU_DEP_1)
	v_mov_b32_e32 v4, v3
	scratch_store_b64 off, v[3:4], off offset:152
	s_wait_loadcnt 0x0
	ds_store_b64 v141, v[1:2]
.LBB56_317:
	s_wait_alu 0xfffe
	s_or_b32 exec_lo, exec_lo, s0
	s_wait_storecnt_dscnt 0x0
	s_barrier_signal -1
	s_barrier_wait -1
	global_inv scope:SCOPE_SE
	s_clause 0x4
	scratch_load_b128 v[5:8], off, off offset:160
	scratch_load_b128 v[1:4], off, off offset:176
	;; [unrolled: 1-line block ×5, first 2 shown]
	v_mov_b32_e32 v21, 0
	ds_load_b128 v[142:145], v21 offset:624
	ds_load_b128 v[146:149], v21 offset:640
	;; [unrolled: 1-line block ×3, first 2 shown]
	scratch_load_b64 v[22:23], off, off offset:152
	s_mov_b32 s0, exec_lo
	s_wait_loadcnt_dscnt 0x502
	v_mul_f32_e32 v24, v143, v6
	v_dual_mul_f32 v139, v142, v6 :: v_dual_mul_f32 v140, v144, v8
	v_mul_f32_e32 v6, v145, v8
	s_delay_alu instid0(VALU_DEP_3) | instskip(NEXT) | instid1(VALU_DEP_3)
	v_fma_f32 v24, v142, v5, -v24
	v_dual_fmac_f32 v139, v143, v5 :: v_dual_fmac_f32 v140, v145, v7
	s_wait_loadcnt_dscnt 0x401
	v_mul_f32_e32 v143, v146, v2
	v_fma_f32 v142, v144, v7, -v6
	ds_load_b128 v[5:8], v21 offset:672
	s_wait_loadcnt_dscnt 0x301
	v_dual_mul_f32 v144, v148, v4 :: v_dual_mul_f32 v145, v150, v10
	v_dual_mul_f32 v4, v149, v4 :: v_dual_fmac_f32 v143, v147, v1
	v_mul_f32_e32 v10, v151, v10
	s_delay_alu instid0(VALU_DEP_3)
	v_dual_mul_f32 v154, v152, v12 :: v_dual_fmac_f32 v145, v151, v9
	v_mul_f32_e32 v12, v153, v12
	v_mul_f32_e32 v2, v147, v2
	v_fmac_f32_e32 v144, v149, v3
	v_fma_f32 v147, v148, v3, -v4
	v_fma_f32 v148, v150, v9, -v10
	v_fmac_f32_e32 v154, v153, v11
	v_fma_f32 v149, v152, v11, -v12
	ds_load_b128 v[9:12], v21 offset:688
	s_wait_loadcnt_dscnt 0x201
	v_dual_mul_f32 v151, v7, v16 :: v_dual_mul_f32 v150, v5, v14
	v_mul_f32_e32 v14, v6, v14
	v_mul_f32_e32 v16, v8, v16
	s_delay_alu instid0(VALU_DEP_3)
	v_fmac_f32_e32 v151, v8, v15
	v_fma_f32 v146, v146, v1, -v2
	scratch_load_b128 v[1:4], off, off offset:240
	v_fmac_f32_e32 v150, v6, v13
	v_fma_f32 v13, v5, v13, -v14
	v_fma_f32 v14, v7, v15, -v16
	ds_load_b128 v[5:8], v21 offset:704
	s_wait_loadcnt_dscnt 0x201
	v_mul_f32_e32 v15, v9, v18
	v_mul_f32_e32 v16, v10, v18
	;; [unrolled: 1-line block ×3, first 2 shown]
	s_delay_alu instid0(VALU_DEP_3) | instskip(NEXT) | instid1(VALU_DEP_3)
	v_dual_mul_f32 v20, v12, v20 :: v_dual_fmac_f32 v15, v10, v17
	v_fma_f32 v16, v9, v17, -v16
	s_delay_alu instid0(VALU_DEP_3) | instskip(NEXT) | instid1(VALU_DEP_3)
	v_fmac_f32_e32 v18, v12, v19
	v_fma_f32 v17, v11, v19, -v20
	scratch_load_b128 v[9:12], off, off offset:256
	s_wait_loadcnt_dscnt 0x100
	v_mul_f32_e32 v19, v5, v2
	v_mul_f32_e32 v2, v6, v2
	v_mul_f32_e32 v20, v7, v4
	s_delay_alu instid0(VALU_DEP_3) | instskip(NEXT) | instid1(VALU_DEP_3)
	v_dual_mul_f32 v4, v8, v4 :: v_dual_fmac_f32 v19, v6, v1
	v_fma_f32 v152, v5, v1, -v2
	s_delay_alu instid0(VALU_DEP_3) | instskip(NEXT) | instid1(VALU_DEP_3)
	v_fmac_f32_e32 v20, v8, v3
	v_fma_f32 v153, v7, v3, -v4
	ds_load_b128 v[1:4], v21 offset:720
	ds_load_b128 v[5:8], v21 offset:736
	s_wait_loadcnt_dscnt 0x1
	v_mul_f32_e32 v155, v1, v10
	v_mul_f32_e32 v10, v2, v10
	s_delay_alu instid0(VALU_DEP_2) | instskip(NEXT) | instid1(VALU_DEP_2)
	v_dual_mul_f32 v156, v3, v12 :: v_dual_fmac_f32 v155, v2, v9
	v_fma_f32 v157, v1, v9, -v10
	v_mul_f32_e32 v1, v4, v12
	s_delay_alu instid0(VALU_DEP_3) | instskip(NEXT) | instid1(VALU_DEP_2)
	v_fmac_f32_e32 v156, v4, v11
	v_fma_f32 v158, v3, v11, -v1
	s_clause 0x1
	scratch_load_b128 v[1:4], off, off offset:272
	scratch_load_b128 v[9:12], off, off offset:288
	s_wait_loadcnt_dscnt 0x100
	v_mul_f32_e32 v159, v5, v2
	v_dual_mul_f32 v2, v6, v2 :: v_dual_mul_f32 v161, v7, v4
	s_delay_alu instid0(VALU_DEP_2) | instskip(NEXT) | instid1(VALU_DEP_2)
	v_fmac_f32_e32 v159, v6, v1
	v_fma_f32 v160, v5, v1, -v2
	v_mul_f32_e32 v1, v8, v4
	s_delay_alu instid0(VALU_DEP_4) | instskip(NEXT) | instid1(VALU_DEP_2)
	v_fmac_f32_e32 v161, v8, v3
	v_fma_f32 v162, v7, v3, -v1
	ds_load_b128 v[1:4], v21 offset:752
	ds_load_b128 v[5:8], v21 offset:768
	s_wait_loadcnt_dscnt 0x1
	v_mul_f32_e32 v163, v1, v10
	v_mul_f32_e32 v165, v3, v12
	s_delay_alu instid0(VALU_DEP_2) | instskip(NEXT) | instid1(VALU_DEP_2)
	v_fmac_f32_e32 v163, v2, v9
	v_dual_mul_f32 v2, v2, v10 :: v_dual_fmac_f32 v165, v4, v11
	s_delay_alu instid0(VALU_DEP_1) | instskip(SKIP_1) | instid1(VALU_DEP_1)
	v_fma_f32 v164, v1, v9, -v2
	v_mul_f32_e32 v1, v4, v12
	v_fma_f32 v166, v3, v11, -v1
	s_clause 0x1
	scratch_load_b128 v[1:4], off, off offset:304
	scratch_load_b128 v[9:12], off, off offset:320
	s_wait_loadcnt_dscnt 0x100
	v_mul_f32_e32 v167, v5, v2
	v_dual_mul_f32 v169, v7, v4 :: v_dual_mul_f32 v2, v6, v2
	s_delay_alu instid0(VALU_DEP_2) | instskip(NEXT) | instid1(VALU_DEP_2)
	v_fmac_f32_e32 v167, v6, v1
	v_fmac_f32_e32 v169, v8, v3
	s_delay_alu instid0(VALU_DEP_3) | instskip(SKIP_1) | instid1(VALU_DEP_1)
	v_fma_f32 v168, v5, v1, -v2
	v_mul_f32_e32 v1, v8, v4
	v_fma_f32 v170, v7, v3, -v1
	ds_load_b128 v[1:4], v21 offset:784
	ds_load_b128 v[5:8], v21 offset:800
	s_wait_loadcnt_dscnt 0x1
	v_mul_f32_e32 v171, v1, v10
	v_mul_f32_e32 v173, v3, v12
	s_delay_alu instid0(VALU_DEP_2) | instskip(NEXT) | instid1(VALU_DEP_2)
	v_fmac_f32_e32 v171, v2, v9
	v_dual_mul_f32 v2, v2, v10 :: v_dual_fmac_f32 v173, v4, v11
	s_delay_alu instid0(VALU_DEP_1) | instskip(SKIP_1) | instid1(VALU_DEP_1)
	v_fma_f32 v172, v1, v9, -v2
	v_mul_f32_e32 v1, v4, v12
	v_fma_f32 v174, v3, v11, -v1
	s_clause 0x1
	scratch_load_b128 v[1:4], off, off offset:336
	scratch_load_b128 v[9:12], off, off offset:352
	s_wait_loadcnt_dscnt 0x100
	v_mul_f32_e32 v175, v5, v2
	v_dual_mul_f32 v2, v6, v2 :: v_dual_mul_f32 v177, v7, v4
	s_delay_alu instid0(VALU_DEP_2) | instskip(NEXT) | instid1(VALU_DEP_2)
	v_fmac_f32_e32 v175, v6, v1
	v_fma_f32 v176, v5, v1, -v2
	v_mul_f32_e32 v1, v8, v4
	s_delay_alu instid0(VALU_DEP_4) | instskip(NEXT) | instid1(VALU_DEP_2)
	v_fmac_f32_e32 v177, v8, v3
	v_fma_f32 v178, v7, v3, -v1
	ds_load_b128 v[1:4], v21 offset:816
	ds_load_b128 v[5:8], v21 offset:832
	s_wait_loadcnt_dscnt 0x1
	v_mul_f32_e32 v179, v1, v10
	v_mul_f32_e32 v181, v3, v12
	s_delay_alu instid0(VALU_DEP_2) | instskip(NEXT) | instid1(VALU_DEP_2)
	v_fmac_f32_e32 v179, v2, v9
	v_dual_mul_f32 v2, v2, v10 :: v_dual_fmac_f32 v181, v4, v11
	s_delay_alu instid0(VALU_DEP_1) | instskip(SKIP_1) | instid1(VALU_DEP_1)
	v_fma_f32 v180, v1, v9, -v2
	v_mul_f32_e32 v1, v4, v12
	v_fma_f32 v182, v3, v11, -v1
	s_clause 0x1
	scratch_load_b128 v[1:4], off, off offset:368
	scratch_load_b128 v[9:12], off, off offset:384
	s_wait_loadcnt_dscnt 0x100
	v_mul_f32_e32 v183, v5, v2
	v_mul_f32_e32 v2, v6, v2
	s_delay_alu instid0(VALU_DEP_1) | instskip(SKIP_1) | instid1(VALU_DEP_1)
	v_fma_f32 v184, v5, v1, -v2
	v_add_f32_e32 v2, 0, v139
	v_add_f32_e32 v2, v2, v140
	scratch_load_b64 v[139:140], off, off offset:448
	v_add_f32_e32 v2, v2, v143
	s_delay_alu instid0(VALU_DEP_1) | instskip(NEXT) | instid1(VALU_DEP_1)
	v_add_f32_e32 v2, v2, v144
	v_add_f32_e32 v2, v2, v145
	s_delay_alu instid0(VALU_DEP_1) | instskip(NEXT) | instid1(VALU_DEP_1)
	v_add_f32_e32 v2, v2, v154
	;; [unrolled: 3-line block ×3, first 2 shown]
	v_dual_add_f32 v2, v2, v15 :: v_dual_mul_f32 v185, v7, v4
	s_delay_alu instid0(VALU_DEP_1) | instskip(NEXT) | instid1(VALU_DEP_1)
	v_add_f32_e32 v2, v2, v18
	v_add_f32_e32 v2, v2, v19
	s_delay_alu instid0(VALU_DEP_3) | instskip(SKIP_1) | instid1(VALU_DEP_3)
	v_fmac_f32_e32 v185, v8, v3
	v_fmac_f32_e32 v183, v6, v1
	v_add_f32_e32 v2, v2, v20
	s_delay_alu instid0(VALU_DEP_1) | instskip(NEXT) | instid1(VALU_DEP_1)
	v_add_f32_e32 v5, v2, v155
	v_add_f32_e32 v5, v5, v156
	s_delay_alu instid0(VALU_DEP_1) | instskip(SKIP_1) | instid1(VALU_DEP_1)
	v_add_f32_e32 v5, v5, v159
	v_mul_f32_e32 v1, v8, v4
	v_fma_f32 v186, v7, v3, -v1
	v_add_f32_e32 v1, 0, v24
	s_delay_alu instid0(VALU_DEP_1) | instskip(NEXT) | instid1(VALU_DEP_1)
	v_add_f32_e32 v1, v1, v142
	v_add_f32_e32 v1, v1, v146
	s_delay_alu instid0(VALU_DEP_1) | instskip(NEXT) | instid1(VALU_DEP_1)
	v_add_f32_e32 v1, v1, v147
	;; [unrolled: 3-line block ×3, first 2 shown]
	v_add_f32_e32 v1, v1, v13
	s_delay_alu instid0(VALU_DEP_1) | instskip(SKIP_1) | instid1(VALU_DEP_1)
	v_add_f32_e32 v1, v1, v14
	v_add_f32_e32 v14, v5, v161
	;; [unrolled: 1-line block ×3, first 2 shown]
	s_delay_alu instid0(VALU_DEP_1) | instskip(NEXT) | instid1(VALU_DEP_1)
	v_dual_add_f32 v14, v14, v165 :: v_dual_add_f32 v1, v1, v16
	v_add_f32_e32 v1, v1, v17
	s_delay_alu instid0(VALU_DEP_1) | instskip(NEXT) | instid1(VALU_DEP_1)
	v_add_f32_e32 v1, v1, v152
	v_add_f32_e32 v1, v1, v153
	s_delay_alu instid0(VALU_DEP_1) | instskip(NEXT) | instid1(VALU_DEP_1)
	v_add_f32_e32 v1, v1, v157
	v_add_f32_e32 v6, v1, v158
	ds_load_b128 v[1:4], v21 offset:848
	v_add_f32_e32 v6, v6, v160
	s_delay_alu instid0(VALU_DEP_1)
	v_add_f32_e32 v13, v6, v162
	ds_load_b128 v[5:8], v21 offset:864
	s_wait_loadcnt_dscnt 0x101
	v_mul_f32_e32 v24, v1, v10
	v_mul_f32_e32 v10, v2, v10
	v_mul_f32_e32 v148, v3, v12
	v_mul_f32_e32 v12, v4, v12
	s_delay_alu instid0(VALU_DEP_4) | instskip(NEXT) | instid1(VALU_DEP_4)
	v_fmac_f32_e32 v24, v2, v9
	v_fma_f32 v149, v1, v9, -v10
	s_delay_alu instid0(VALU_DEP_4) | instskip(NEXT) | instid1(VALU_DEP_4)
	v_fmac_f32_e32 v148, v4, v11
	v_fma_f32 v150, v3, v11, -v12
	s_clause 0x1
	scratch_load_b128 v[1:4], off, off offset:400
	scratch_load_b128 v[9:12], off, off offset:416
	s_wait_loadcnt_dscnt 0x100
	v_dual_add_f32 v17, v14, v167 :: v_dual_mul_f32 v154, v7, v4
	s_delay_alu instid0(VALU_DEP_1)
	v_add_f32_e32 v17, v17, v169
	v_mul_f32_e32 v153, v5, v2
	v_mul_f32_e32 v2, v6, v2
	;; [unrolled: 1-line block ×3, first 2 shown]
	v_fmac_f32_e32 v154, v8, v3
	v_add_f32_e32 v17, v17, v171
	v_fmac_f32_e32 v153, v6, v1
	v_fma_f32 v2, v5, v1, -v2
	v_fma_f32 v1, v7, v3, -v4
	s_delay_alu instid0(VALU_DEP_4) | instskip(NEXT) | instid1(VALU_DEP_1)
	v_add_f32_e32 v17, v17, v173
	v_add_f32_e32 v17, v17, v175
	s_delay_alu instid0(VALU_DEP_1) | instskip(SKIP_1) | instid1(VALU_DEP_2)
	v_add_f32_e32 v142, v17, v177
	v_add_f32_e32 v13, v13, v164
	;; [unrolled: 1-line block ×3, first 2 shown]
	s_delay_alu instid0(VALU_DEP_2) | instskip(SKIP_2) | instid1(VALU_DEP_1)
	v_add_f32_e32 v13, v13, v166
	ds_load_b128 v[142:145], v21 offset:896
	v_add_f32_e32 v152, v147, v181
	v_add_f32_e32 v152, v152, v183
	s_delay_alu instid0(VALU_DEP_1) | instskip(NEXT) | instid1(VALU_DEP_1)
	v_add_f32_e32 v152, v152, v185
	v_add_f32_e32 v24, v152, v24
	s_delay_alu instid0(VALU_DEP_1) | instskip(NEXT) | instid1(VALU_DEP_1)
	v_add_f32_e32 v24, v24, v148
	v_dual_add_f32 v13, v13, v168 :: v_dual_add_f32 v4, v24, v153
	s_delay_alu instid0(VALU_DEP_1) | instskip(SKIP_2) | instid1(VALU_DEP_1)
	v_add_f32_e32 v18, v13, v170
	scratch_load_b128 v[13:16], off, off offset:432
	v_add_f32_e32 v18, v18, v172
	v_add_f32_e32 v18, v18, v174
	s_delay_alu instid0(VALU_DEP_1) | instskip(NEXT) | instid1(VALU_DEP_1)
	v_add_f32_e32 v18, v18, v176
	v_add_f32_e32 v18, v18, v178
	s_delay_alu instid0(VALU_DEP_1)
	v_add_f32_e32 v146, v18, v180
	ds_load_b128 v[17:20], v21 offset:880
	s_wait_loadcnt_dscnt 0x100
	v_dual_mul_f32 v152, v19, v12 :: v_dual_add_f32 v151, v146, v182
	ds_load_b64 v[146:147], v21 offset:912
	v_dual_mul_f32 v3, v18, v10 :: v_dual_fmac_f32 v152, v20, v11
	v_add_f32_e32 v151, v151, v184
	s_delay_alu instid0(VALU_DEP_2) | instskip(NEXT) | instid1(VALU_DEP_2)
	v_fma_f32 v3, v17, v9, -v3
	v_add_f32_e32 v151, v151, v186
	s_wait_dscnt 0x0
	s_delay_alu instid0(VALU_DEP_1) | instskip(NEXT) | instid1(VALU_DEP_1)
	v_dual_add_f32 v149, v151, v149 :: v_dual_mul_f32 v148, v146, v140
	v_dual_add_f32 v149, v149, v150 :: v_dual_fmac_f32 v148, v147, v139
	s_delay_alu instid0(VALU_DEP_1) | instskip(NEXT) | instid1(VALU_DEP_1)
	v_add_f32_e32 v2, v149, v2
	v_dual_add_f32 v1, v2, v1 :: v_dual_add_f32 v2, v4, v154
	s_wait_loadcnt 0x0
	v_dual_mul_f32 v150, v144, v16 :: v_dual_mul_f32 v155, v142, v14
	v_mul_f32_e32 v4, v143, v14
	s_delay_alu instid0(VALU_DEP_2) | instskip(SKIP_1) | instid1(VALU_DEP_3)
	v_dual_fmac_f32 v150, v145, v15 :: v_dual_fmac_f32 v155, v143, v13
	v_mul_f32_e32 v151, v17, v10
	v_fma_f32 v4, v142, v13, -v4
	s_delay_alu instid0(VALU_DEP_2) | instskip(NEXT) | instid1(VALU_DEP_1)
	v_fmac_f32_e32 v151, v18, v9
	v_add_f32_e32 v2, v2, v151
	s_delay_alu instid0(VALU_DEP_1) | instskip(NEXT) | instid1(VALU_DEP_1)
	v_add_f32_e32 v2, v2, v152
	v_dual_add_f32 v2, v2, v155 :: v_dual_mul_f32 v5, v20, v12
	s_delay_alu instid0(VALU_DEP_1) | instskip(NEXT) | instid1(VALU_DEP_2)
	v_add_f32_e32 v2, v2, v150
	v_fma_f32 v5, v19, v11, -v5
	v_add_f32_e32 v1, v1, v3
	v_mul_f32_e32 v3, v145, v16
	s_delay_alu instid0(VALU_DEP_2) | instskip(SKIP_1) | instid1(VALU_DEP_3)
	v_dual_add_f32 v2, v2, v148 :: v_dual_add_f32 v1, v1, v5
	v_mul_f32_e32 v5, v147, v140
	v_fma_f32 v3, v144, v15, -v3
	s_delay_alu instid0(VALU_DEP_3) | instskip(NEXT) | instid1(VALU_DEP_3)
	v_dual_sub_f32 v2, v23, v2 :: v_dual_add_f32 v1, v1, v4
	v_fma_f32 v4, v146, v139, -v5
	s_delay_alu instid0(VALU_DEP_2) | instskip(NEXT) | instid1(VALU_DEP_1)
	v_add_f32_e32 v1, v1, v3
	v_add_f32_e32 v1, v1, v4
	s_delay_alu instid0(VALU_DEP_1)
	v_sub_f32_e32 v1, v22, v1
	scratch_store_b64 off, v[1:2], off offset:152
	v_cmpx_lt_u32_e32 18, v0
	s_cbranch_execz .LBB56_319
; %bb.318:
	scratch_load_b64 v[1:2], off, off offset:144
	v_mov_b32_e32 v22, v21
	scratch_store_b64 off, v[21:22], off offset:144
	s_wait_loadcnt 0x0
	ds_store_b64 v141, v[1:2]
.LBB56_319:
	s_wait_alu 0xfffe
	s_or_b32 exec_lo, exec_lo, s0
	s_wait_storecnt_dscnt 0x0
	s_barrier_signal -1
	s_barrier_wait -1
	global_inv scope:SCOPE_SE
	s_clause 0x4
	scratch_load_b128 v[5:8], off, off offset:152
	scratch_load_b128 v[1:4], off, off offset:168
	;; [unrolled: 1-line block ×5, first 2 shown]
	ds_load_2addr_b64 v[142:145], v21 offset0:77 offset1:78
	ds_load_2addr_b64 v[146:149], v21 offset0:79 offset1:80
	;; [unrolled: 1-line block ×3, first 2 shown]
	scratch_load_b64 v[139:140], off, off offset:144
	s_mov_b32 s0, exec_lo
	s_wait_loadcnt_dscnt 0x502
	v_mul_f32_e32 v22, v143, v6
	v_dual_mul_f32 v23, v142, v6 :: v_dual_mul_f32 v24, v144, v8
	v_mul_f32_e32 v6, v145, v8
	s_delay_alu instid0(VALU_DEP_3) | instskip(NEXT) | instid1(VALU_DEP_3)
	v_fma_f32 v22, v142, v5, -v22
	v_dual_fmac_f32 v23, v143, v5 :: v_dual_fmac_f32 v24, v145, v7
	s_wait_loadcnt_dscnt 0x401
	v_mul_f32_e32 v143, v146, v2
	v_fma_f32 v142, v144, v7, -v6
	ds_load_2addr_b64 v[5:8], v21 offset0:83 offset1:84
	s_wait_loadcnt_dscnt 0x301
	v_dual_mul_f32 v144, v148, v4 :: v_dual_mul_f32 v145, v150, v10
	v_dual_mul_f32 v4, v149, v4 :: v_dual_fmac_f32 v143, v147, v1
	v_mul_f32_e32 v10, v151, v10
	s_delay_alu instid0(VALU_DEP_3)
	v_dual_mul_f32 v154, v152, v12 :: v_dual_fmac_f32 v145, v151, v9
	v_mul_f32_e32 v12, v153, v12
	v_mul_f32_e32 v2, v147, v2
	v_fmac_f32_e32 v144, v149, v3
	v_fma_f32 v147, v148, v3, -v4
	v_fma_f32 v148, v150, v9, -v10
	v_fmac_f32_e32 v154, v153, v11
	v_fma_f32 v149, v152, v11, -v12
	ds_load_2addr_b64 v[9:12], v21 offset0:85 offset1:86
	s_wait_loadcnt_dscnt 0x201
	v_mul_f32_e32 v150, v5, v14
	v_dual_mul_f32 v14, v6, v14 :: v_dual_mul_f32 v151, v7, v16
	v_mul_f32_e32 v16, v8, v16
	s_delay_alu instid0(VALU_DEP_3) | instskip(NEXT) | instid1(VALU_DEP_3)
	v_fmac_f32_e32 v150, v6, v13
	v_fma_f32 v13, v5, v13, -v14
	s_delay_alu instid0(VALU_DEP_4) | instskip(NEXT) | instid1(VALU_DEP_4)
	v_fmac_f32_e32 v151, v8, v15
	v_fma_f32 v14, v7, v15, -v16
	ds_load_2addr_b64 v[5:8], v21 offset0:87 offset1:88
	s_wait_loadcnt_dscnt 0x101
	v_mul_f32_e32 v15, v9, v18
	v_mul_f32_e32 v16, v10, v18
	;; [unrolled: 1-line block ×3, first 2 shown]
	s_delay_alu instid0(VALU_DEP_3)
	v_dual_mul_f32 v20, v12, v20 :: v_dual_fmac_f32 v15, v10, v17
	v_fma_f32 v146, v146, v1, -v2
	scratch_load_b128 v[1:4], off, off offset:232
	v_fma_f32 v16, v9, v17, -v16
	v_fmac_f32_e32 v18, v12, v19
	v_fma_f32 v17, v11, v19, -v20
	scratch_load_b128 v[9:12], off, off offset:248
	s_wait_loadcnt_dscnt 0x100
	v_mul_f32_e32 v19, v5, v2
	v_mul_f32_e32 v2, v6, v2
	;; [unrolled: 1-line block ×3, first 2 shown]
	s_delay_alu instid0(VALU_DEP_3) | instskip(NEXT) | instid1(VALU_DEP_3)
	v_dual_mul_f32 v4, v8, v4 :: v_dual_fmac_f32 v19, v6, v1
	v_fma_f32 v152, v5, v1, -v2
	s_delay_alu instid0(VALU_DEP_3) | instskip(NEXT) | instid1(VALU_DEP_3)
	v_fmac_f32_e32 v20, v8, v3
	v_fma_f32 v153, v7, v3, -v4
	ds_load_2addr_b64 v[1:4], v21 offset0:89 offset1:90
	ds_load_2addr_b64 v[5:8], v21 offset0:91 offset1:92
	s_wait_loadcnt_dscnt 0x1
	v_mul_f32_e32 v155, v1, v10
	v_mul_f32_e32 v10, v2, v10
	s_delay_alu instid0(VALU_DEP_2) | instskip(NEXT) | instid1(VALU_DEP_2)
	v_dual_mul_f32 v156, v3, v12 :: v_dual_fmac_f32 v155, v2, v9
	v_fma_f32 v157, v1, v9, -v10
	v_mul_f32_e32 v1, v4, v12
	s_delay_alu instid0(VALU_DEP_3) | instskip(NEXT) | instid1(VALU_DEP_2)
	v_fmac_f32_e32 v156, v4, v11
	v_fma_f32 v158, v3, v11, -v1
	s_clause 0x1
	scratch_load_b128 v[1:4], off, off offset:264
	scratch_load_b128 v[9:12], off, off offset:280
	s_wait_loadcnt_dscnt 0x100
	v_mul_f32_e32 v159, v5, v2
	v_dual_mul_f32 v2, v6, v2 :: v_dual_mul_f32 v161, v7, v4
	s_delay_alu instid0(VALU_DEP_2) | instskip(NEXT) | instid1(VALU_DEP_2)
	v_fmac_f32_e32 v159, v6, v1
	v_fma_f32 v160, v5, v1, -v2
	v_mul_f32_e32 v1, v8, v4
	s_delay_alu instid0(VALU_DEP_4) | instskip(NEXT) | instid1(VALU_DEP_2)
	v_fmac_f32_e32 v161, v8, v3
	v_fma_f32 v162, v7, v3, -v1
	ds_load_2addr_b64 v[1:4], v21 offset0:93 offset1:94
	ds_load_2addr_b64 v[5:8], v21 offset0:95 offset1:96
	s_wait_loadcnt_dscnt 0x1
	v_mul_f32_e32 v163, v1, v10
	v_mul_f32_e32 v165, v3, v12
	s_delay_alu instid0(VALU_DEP_2) | instskip(NEXT) | instid1(VALU_DEP_2)
	v_fmac_f32_e32 v163, v2, v9
	v_dual_mul_f32 v2, v2, v10 :: v_dual_fmac_f32 v165, v4, v11
	s_delay_alu instid0(VALU_DEP_1) | instskip(SKIP_1) | instid1(VALU_DEP_1)
	v_fma_f32 v164, v1, v9, -v2
	v_mul_f32_e32 v1, v4, v12
	v_fma_f32 v166, v3, v11, -v1
	s_clause 0x1
	scratch_load_b128 v[1:4], off, off offset:296
	scratch_load_b128 v[9:12], off, off offset:312
	s_wait_loadcnt_dscnt 0x100
	v_mul_f32_e32 v167, v5, v2
	v_dual_mul_f32 v2, v6, v2 :: v_dual_mul_f32 v169, v7, v4
	s_delay_alu instid0(VALU_DEP_2) | instskip(NEXT) | instid1(VALU_DEP_2)
	v_fmac_f32_e32 v167, v6, v1
	v_fma_f32 v168, v5, v1, -v2
	v_mul_f32_e32 v1, v8, v4
	s_delay_alu instid0(VALU_DEP_4) | instskip(NEXT) | instid1(VALU_DEP_2)
	v_fmac_f32_e32 v169, v8, v3
	v_fma_f32 v170, v7, v3, -v1
	ds_load_2addr_b64 v[1:4], v21 offset0:97 offset1:98
	ds_load_2addr_b64 v[5:8], v21 offset0:99 offset1:100
	s_wait_loadcnt_dscnt 0x1
	v_mul_f32_e32 v171, v1, v10
	v_mul_f32_e32 v173, v3, v12
	s_delay_alu instid0(VALU_DEP_2) | instskip(NEXT) | instid1(VALU_DEP_2)
	v_fmac_f32_e32 v171, v2, v9
	v_dual_mul_f32 v2, v2, v10 :: v_dual_fmac_f32 v173, v4, v11
	s_delay_alu instid0(VALU_DEP_1) | instskip(SKIP_1) | instid1(VALU_DEP_1)
	v_fma_f32 v172, v1, v9, -v2
	v_mul_f32_e32 v1, v4, v12
	;; [unrolled: 25-line block ×3, first 2 shown]
	v_fma_f32 v182, v3, v11, -v1
	s_clause 0x1
	scratch_load_b128 v[1:4], off, off offset:360
	scratch_load_b128 v[9:12], off, off offset:376
	s_wait_loadcnt_dscnt 0x100
	v_mul_f32_e32 v183, v5, v2
	v_mul_f32_e32 v2, v6, v2
	s_delay_alu instid0(VALU_DEP_1) | instskip(SKIP_1) | instid1(VALU_DEP_1)
	v_fma_f32 v184, v5, v1, -v2
	v_add_f32_e32 v2, 0, v23
	v_add_f32_e32 v2, v2, v24
	s_delay_alu instid0(VALU_DEP_1) | instskip(NEXT) | instid1(VALU_DEP_1)
	v_add_f32_e32 v2, v2, v143
	v_add_f32_e32 v2, v2, v144
	s_delay_alu instid0(VALU_DEP_1) | instskip(NEXT) | instid1(VALU_DEP_1)
	;; [unrolled: 3-line block ×3, first 2 shown]
	v_add_f32_e32 v2, v2, v150
	v_add_f32_e32 v2, v2, v151
	s_delay_alu instid0(VALU_DEP_1) | instskip(SKIP_1) | instid1(VALU_DEP_2)
	v_dual_add_f32 v2, v2, v15 :: v_dual_mul_f32 v185, v7, v4
	v_fmac_f32_e32 v183, v6, v1
	v_dual_add_f32 v2, v2, v18 :: v_dual_mul_f32 v1, v8, v4
	s_delay_alu instid0(VALU_DEP_1) | instskip(NEXT) | instid1(VALU_DEP_4)
	v_add_f32_e32 v2, v2, v19
	v_fmac_f32_e32 v185, v8, v3
	s_delay_alu instid0(VALU_DEP_3) | instskip(NEXT) | instid1(VALU_DEP_3)
	v_fma_f32 v186, v7, v3, -v1
	v_dual_add_f32 v2, v2, v20 :: v_dual_add_f32 v1, 0, v22
	s_delay_alu instid0(VALU_DEP_1) | instskip(NEXT) | instid1(VALU_DEP_1)
	v_dual_add_f32 v2, v2, v155 :: v_dual_add_f32 v1, v1, v142
	v_add_f32_e32 v5, v2, v156
	s_delay_alu instid0(VALU_DEP_2) | instskip(NEXT) | instid1(VALU_DEP_1)
	v_add_f32_e32 v1, v1, v146
	v_add_f32_e32 v1, v1, v147
	s_delay_alu instid0(VALU_DEP_1) | instskip(NEXT) | instid1(VALU_DEP_1)
	v_add_f32_e32 v1, v1, v148
	v_add_f32_e32 v1, v1, v149
	s_delay_alu instid0(VALU_DEP_1) | instskip(SKIP_1) | instid1(VALU_DEP_2)
	v_add_f32_e32 v1, v1, v13
	v_add_f32_e32 v13, v5, v159
	;; [unrolled: 1-line block ×3, first 2 shown]
	s_delay_alu instid0(VALU_DEP_2) | instskip(NEXT) | instid1(VALU_DEP_1)
	v_add_f32_e32 v13, v13, v161
	v_add_f32_e32 v13, v13, v163
	s_delay_alu instid0(VALU_DEP_1) | instskip(NEXT) | instid1(VALU_DEP_1)
	v_add_f32_e32 v18, v13, v165
	v_dual_add_f32 v18, v18, v167 :: v_dual_add_f32 v1, v1, v16
	s_delay_alu instid0(VALU_DEP_1) | instskip(NEXT) | instid1(VALU_DEP_2)
	v_add_f32_e32 v18, v18, v169
	v_add_f32_e32 v1, v1, v17
	s_delay_alu instid0(VALU_DEP_1) | instskip(NEXT) | instid1(VALU_DEP_1)
	v_add_f32_e32 v1, v1, v152
	v_add_f32_e32 v1, v1, v153
	s_delay_alu instid0(VALU_DEP_1) | instskip(NEXT) | instid1(VALU_DEP_1)
	v_add_f32_e32 v1, v1, v157
	v_add_f32_e32 v1, v1, v158
	s_delay_alu instid0(VALU_DEP_1)
	v_add_f32_e32 v6, v1, v160
	ds_load_2addr_b64 v[1:4], v21 offset0:105 offset1:106
	v_add_f32_e32 v22, v18, v171
	v_add_f32_e32 v14, v6, v162
	scratch_load_b128 v[5:8], off, off offset:392
	v_add_f32_e32 v22, v22, v173
	v_add_f32_e32 v14, v14, v164
	s_delay_alu instid0(VALU_DEP_1)
	v_add_f32_e32 v17, v14, v166
	ds_load_2addr_b64 v[13:16], v21 offset0:107 offset1:108
	s_wait_loadcnt_dscnt 0x101
	v_mul_f32_e32 v142, v1, v10
	v_dual_mul_f32 v10, v2, v10 :: v_dual_mul_f32 v143, v3, v12
	v_mul_f32_e32 v12, v4, v12
	v_add_f32_e32 v22, v22, v175
	s_delay_alu instid0(VALU_DEP_4) | instskip(NEXT) | instid1(VALU_DEP_4)
	v_fmac_f32_e32 v142, v2, v9
	v_fma_f32 v144, v1, v9, -v10
	v_fmac_f32_e32 v143, v4, v11
	v_fma_f32 v145, v3, v11, -v12
	s_clause 0x1
	scratch_load_b128 v[1:4], off, off offset:408
	scratch_load_b128 v[9:12], off, off offset:424
	v_add_f32_e32 v17, v17, v168
	s_delay_alu instid0(VALU_DEP_1) | instskip(NEXT) | instid1(VALU_DEP_1)
	v_add_f32_e32 v17, v17, v170
	v_add_f32_e32 v17, v17, v172
	s_delay_alu instid0(VALU_DEP_1)
	v_add_f32_e32 v23, v17, v174
	scratch_load_b128 v[17:20], off, off offset:440
	s_wait_loadcnt_dscnt 0x300
	v_mul_f32_e32 v146, v13, v6
	v_dual_mul_f32 v6, v14, v6 :: v_dual_mul_f32 v147, v15, v8
	v_mul_f32_e32 v8, v16, v8
	s_delay_alu instid0(VALU_DEP_3) | instskip(NEXT) | instid1(VALU_DEP_3)
	v_dual_fmac_f32 v146, v14, v5 :: v_dual_add_f32 v23, v23, v176
	v_fma_f32 v148, v13, v5, -v6
	s_delay_alu instid0(VALU_DEP_4) | instskip(NEXT) | instid1(VALU_DEP_4)
	v_fmac_f32_e32 v147, v16, v7
	v_fma_f32 v149, v15, v7, -v8
	ds_load_2addr_b64 v[5:8], v21 offset0:109 offset1:110
	v_add_f32_e32 v23, v23, v178
	s_delay_alu instid0(VALU_DEP_1) | instskip(NEXT) | instid1(VALU_DEP_1)
	v_dual_add_f32 v13, v22, v177 :: v_dual_add_f32 v22, v23, v180
	v_add_f32_e32 v150, v22, v182
	s_delay_alu instid0(VALU_DEP_1) | instskip(NEXT) | instid1(VALU_DEP_1)
	v_add_f32_e32 v150, v150, v184
	v_add_f32_e32 v150, v150, v186
	s_delay_alu instid0(VALU_DEP_1) | instskip(NEXT) | instid1(VALU_DEP_1)
	v_add_f32_e32 v144, v150, v144
	v_add_f32_e32 v144, v144, v145
	s_delay_alu instid0(VALU_DEP_1)
	v_dual_add_f32 v144, v144, v148 :: v_dual_add_f32 v23, v13, v179
	ds_load_2addr_b64 v[13:16], v21 offset0:111 offset1:112
	s_wait_loadcnt_dscnt 0x201
	v_mul_f32_e32 v152, v5, v2
	v_mul_f32_e32 v150, v7, v4
	;; [unrolled: 1-line block ×4, first 2 shown]
	s_delay_alu instid0(VALU_DEP_4) | instskip(NEXT) | instid1(VALU_DEP_4)
	v_fmac_f32_e32 v152, v6, v1
	v_fmac_f32_e32 v150, v8, v3
	s_delay_alu instid0(VALU_DEP_4) | instskip(NEXT) | instid1(VALU_DEP_4)
	v_fma_f32 v3, v7, v3, -v4
	v_fma_f32 v2, v5, v1, -v2
	v_add_f32_e32 v1, v144, v149
	s_wait_loadcnt_dscnt 0x100
	v_mul_f32_e32 v153, v15, v12
	v_dual_mul_f32 v4, v16, v12 :: v_dual_add_f32 v151, v23, v181
	ds_load_2addr_b64 v[21:24], v21 offset0:113 offset1:114
	v_dual_mul_f32 v6, v14, v10 :: v_dual_fmac_f32 v153, v16, v11
	v_fma_f32 v4, v15, v11, -v4
	v_add_f32_e32 v151, v151, v183
	s_delay_alu instid0(VALU_DEP_1) | instskip(NEXT) | instid1(VALU_DEP_1)
	v_add_f32_e32 v151, v151, v185
	v_add_f32_e32 v142, v151, v142
	s_delay_alu instid0(VALU_DEP_1) | instskip(SKIP_2) | instid1(VALU_DEP_2)
	v_dual_mul_f32 v151, v13, v10 :: v_dual_add_f32 v142, v142, v143
	s_wait_loadcnt_dscnt 0x0
	v_mul_f32_e32 v145, v23, v20
	v_fmac_f32_e32 v151, v14, v9
	s_delay_alu instid0(VALU_DEP_2) | instskip(SKIP_1) | instid1(VALU_DEP_2)
	v_dual_add_f32 v142, v142, v146 :: v_dual_fmac_f32 v145, v24, v19
	v_add_f32_e32 v1, v1, v2
	v_add_f32_e32 v5, v142, v147
	s_delay_alu instid0(VALU_DEP_1) | instskip(SKIP_1) | instid1(VALU_DEP_2)
	v_add_f32_e32 v2, v5, v152
	v_fma_f32 v5, v13, v9, -v6
	v_add_f32_e32 v2, v2, v150
	s_delay_alu instid0(VALU_DEP_1) | instskip(NEXT) | instid1(VALU_DEP_1)
	v_dual_mul_f32 v143, v21, v18 :: v_dual_add_f32 v2, v2, v151
	v_fmac_f32_e32 v143, v22, v17
	s_delay_alu instid0(VALU_DEP_2) | instskip(NEXT) | instid1(VALU_DEP_1)
	v_add_f32_e32 v2, v2, v153
	v_add_f32_e32 v2, v2, v143
	s_delay_alu instid0(VALU_DEP_1) | instskip(SKIP_1) | instid1(VALU_DEP_2)
	v_dual_add_f32 v2, v2, v145 :: v_dual_add_f32 v1, v1, v3
	v_mul_f32_e32 v3, v22, v18
	v_dual_sub_f32 v2, v140, v2 :: v_dual_add_f32 v1, v1, v5
	v_mul_f32_e32 v5, v24, v20
	s_delay_alu instid0(VALU_DEP_3) | instskip(NEXT) | instid1(VALU_DEP_3)
	v_fma_f32 v3, v21, v17, -v3
	v_add_f32_e32 v1, v1, v4
	s_delay_alu instid0(VALU_DEP_3) | instskip(NEXT) | instid1(VALU_DEP_2)
	v_fma_f32 v4, v23, v19, -v5
	v_add_f32_e32 v1, v1, v3
	s_delay_alu instid0(VALU_DEP_1) | instskip(NEXT) | instid1(VALU_DEP_1)
	v_add_f32_e32 v1, v1, v4
	v_sub_f32_e32 v1, v139, v1
	scratch_store_b64 off, v[1:2], off offset:144
	v_cmpx_lt_u32_e32 17, v0
	s_cbranch_execz .LBB56_321
; %bb.320:
	scratch_load_b64 v[1:2], off, off offset:136
	v_mov_b32_e32 v3, 0
	s_delay_alu instid0(VALU_DEP_1)
	v_mov_b32_e32 v4, v3
	scratch_store_b64 off, v[3:4], off offset:136
	s_wait_loadcnt 0x0
	ds_store_b64 v141, v[1:2]
.LBB56_321:
	s_wait_alu 0xfffe
	s_or_b32 exec_lo, exec_lo, s0
	s_wait_storecnt_dscnt 0x0
	s_barrier_signal -1
	s_barrier_wait -1
	global_inv scope:SCOPE_SE
	s_clause 0x4
	scratch_load_b128 v[5:8], off, off offset:144
	scratch_load_b128 v[1:4], off, off offset:160
	;; [unrolled: 1-line block ×5, first 2 shown]
	v_mov_b32_e32 v21, 0
	ds_load_b128 v[142:145], v21 offset:608
	ds_load_b128 v[146:149], v21 offset:624
	;; [unrolled: 1-line block ×3, first 2 shown]
	scratch_load_b64 v[22:23], off, off offset:136
	s_mov_b32 s0, exec_lo
	s_wait_loadcnt_dscnt 0x502
	v_mul_f32_e32 v24, v143, v6
	v_dual_mul_f32 v139, v142, v6 :: v_dual_mul_f32 v140, v144, v8
	v_mul_f32_e32 v6, v145, v8
	s_delay_alu instid0(VALU_DEP_3) | instskip(NEXT) | instid1(VALU_DEP_3)
	v_fma_f32 v24, v142, v5, -v24
	v_dual_fmac_f32 v139, v143, v5 :: v_dual_fmac_f32 v140, v145, v7
	s_wait_loadcnt_dscnt 0x401
	v_mul_f32_e32 v143, v146, v2
	v_fma_f32 v142, v144, v7, -v6
	ds_load_b128 v[5:8], v21 offset:656
	s_wait_loadcnt_dscnt 0x301
	v_dual_mul_f32 v144, v148, v4 :: v_dual_mul_f32 v145, v150, v10
	v_dual_mul_f32 v4, v149, v4 :: v_dual_fmac_f32 v143, v147, v1
	v_mul_f32_e32 v10, v151, v10
	s_delay_alu instid0(VALU_DEP_3)
	v_dual_mul_f32 v154, v152, v12 :: v_dual_fmac_f32 v145, v151, v9
	v_mul_f32_e32 v12, v153, v12
	v_mul_f32_e32 v2, v147, v2
	v_fmac_f32_e32 v144, v149, v3
	v_fma_f32 v147, v148, v3, -v4
	v_fma_f32 v148, v150, v9, -v10
	v_fmac_f32_e32 v154, v153, v11
	v_fma_f32 v149, v152, v11, -v12
	ds_load_b128 v[9:12], v21 offset:672
	s_wait_loadcnt_dscnt 0x201
	v_dual_mul_f32 v151, v7, v16 :: v_dual_mul_f32 v150, v5, v14
	v_mul_f32_e32 v14, v6, v14
	v_mul_f32_e32 v16, v8, v16
	s_delay_alu instid0(VALU_DEP_3)
	v_fmac_f32_e32 v151, v8, v15
	v_fma_f32 v146, v146, v1, -v2
	scratch_load_b128 v[1:4], off, off offset:224
	v_fmac_f32_e32 v150, v6, v13
	v_fma_f32 v13, v5, v13, -v14
	v_fma_f32 v14, v7, v15, -v16
	ds_load_b128 v[5:8], v21 offset:688
	s_wait_loadcnt_dscnt 0x201
	v_mul_f32_e32 v15, v9, v18
	v_mul_f32_e32 v16, v10, v18
	;; [unrolled: 1-line block ×3, first 2 shown]
	s_delay_alu instid0(VALU_DEP_3) | instskip(NEXT) | instid1(VALU_DEP_3)
	v_dual_mul_f32 v20, v12, v20 :: v_dual_fmac_f32 v15, v10, v17
	v_fma_f32 v16, v9, v17, -v16
	s_delay_alu instid0(VALU_DEP_3) | instskip(NEXT) | instid1(VALU_DEP_3)
	v_fmac_f32_e32 v18, v12, v19
	v_fma_f32 v17, v11, v19, -v20
	scratch_load_b128 v[9:12], off, off offset:240
	s_wait_loadcnt_dscnt 0x100
	v_mul_f32_e32 v19, v5, v2
	v_mul_f32_e32 v2, v6, v2
	;; [unrolled: 1-line block ×3, first 2 shown]
	s_delay_alu instid0(VALU_DEP_3) | instskip(NEXT) | instid1(VALU_DEP_3)
	v_dual_mul_f32 v4, v8, v4 :: v_dual_fmac_f32 v19, v6, v1
	v_fma_f32 v152, v5, v1, -v2
	s_delay_alu instid0(VALU_DEP_3) | instskip(NEXT) | instid1(VALU_DEP_3)
	v_fmac_f32_e32 v20, v8, v3
	v_fma_f32 v153, v7, v3, -v4
	ds_load_b128 v[1:4], v21 offset:704
	ds_load_b128 v[5:8], v21 offset:720
	s_wait_loadcnt_dscnt 0x1
	v_mul_f32_e32 v155, v1, v10
	v_mul_f32_e32 v10, v2, v10
	s_delay_alu instid0(VALU_DEP_2) | instskip(NEXT) | instid1(VALU_DEP_2)
	v_dual_mul_f32 v156, v3, v12 :: v_dual_fmac_f32 v155, v2, v9
	v_fma_f32 v157, v1, v9, -v10
	v_mul_f32_e32 v1, v4, v12
	s_delay_alu instid0(VALU_DEP_3) | instskip(NEXT) | instid1(VALU_DEP_2)
	v_fmac_f32_e32 v156, v4, v11
	v_fma_f32 v158, v3, v11, -v1
	s_clause 0x1
	scratch_load_b128 v[1:4], off, off offset:256
	scratch_load_b128 v[9:12], off, off offset:272
	s_wait_loadcnt_dscnt 0x100
	v_mul_f32_e32 v159, v5, v2
	v_dual_mul_f32 v2, v6, v2 :: v_dual_mul_f32 v161, v7, v4
	s_delay_alu instid0(VALU_DEP_2) | instskip(NEXT) | instid1(VALU_DEP_2)
	v_fmac_f32_e32 v159, v6, v1
	v_fma_f32 v160, v5, v1, -v2
	v_mul_f32_e32 v1, v8, v4
	s_delay_alu instid0(VALU_DEP_4) | instskip(NEXT) | instid1(VALU_DEP_2)
	v_fmac_f32_e32 v161, v8, v3
	v_fma_f32 v162, v7, v3, -v1
	ds_load_b128 v[1:4], v21 offset:736
	ds_load_b128 v[5:8], v21 offset:752
	s_wait_loadcnt_dscnt 0x1
	v_mul_f32_e32 v163, v1, v10
	v_mul_f32_e32 v165, v3, v12
	s_delay_alu instid0(VALU_DEP_2) | instskip(NEXT) | instid1(VALU_DEP_2)
	v_fmac_f32_e32 v163, v2, v9
	v_dual_mul_f32 v2, v2, v10 :: v_dual_fmac_f32 v165, v4, v11
	s_delay_alu instid0(VALU_DEP_1) | instskip(SKIP_1) | instid1(VALU_DEP_1)
	v_fma_f32 v164, v1, v9, -v2
	v_mul_f32_e32 v1, v4, v12
	v_fma_f32 v166, v3, v11, -v1
	s_clause 0x1
	scratch_load_b128 v[1:4], off, off offset:288
	scratch_load_b128 v[9:12], off, off offset:304
	s_wait_loadcnt_dscnt 0x100
	v_mul_f32_e32 v167, v5, v2
	v_dual_mul_f32 v169, v7, v4 :: v_dual_mul_f32 v2, v6, v2
	s_delay_alu instid0(VALU_DEP_2) | instskip(NEXT) | instid1(VALU_DEP_2)
	v_fmac_f32_e32 v167, v6, v1
	v_fmac_f32_e32 v169, v8, v3
	s_delay_alu instid0(VALU_DEP_3) | instskip(SKIP_1) | instid1(VALU_DEP_1)
	v_fma_f32 v168, v5, v1, -v2
	v_mul_f32_e32 v1, v8, v4
	v_fma_f32 v170, v7, v3, -v1
	ds_load_b128 v[1:4], v21 offset:768
	ds_load_b128 v[5:8], v21 offset:784
	s_wait_loadcnt_dscnt 0x1
	v_mul_f32_e32 v171, v1, v10
	v_mul_f32_e32 v173, v3, v12
	s_delay_alu instid0(VALU_DEP_2) | instskip(NEXT) | instid1(VALU_DEP_2)
	v_fmac_f32_e32 v171, v2, v9
	v_dual_mul_f32 v2, v2, v10 :: v_dual_fmac_f32 v173, v4, v11
	s_delay_alu instid0(VALU_DEP_1) | instskip(SKIP_1) | instid1(VALU_DEP_1)
	v_fma_f32 v172, v1, v9, -v2
	v_mul_f32_e32 v1, v4, v12
	v_fma_f32 v174, v3, v11, -v1
	s_clause 0x1
	scratch_load_b128 v[1:4], off, off offset:320
	scratch_load_b128 v[9:12], off, off offset:336
	s_wait_loadcnt_dscnt 0x100
	v_mul_f32_e32 v175, v5, v2
	v_dual_mul_f32 v2, v6, v2 :: v_dual_mul_f32 v177, v7, v4
	s_delay_alu instid0(VALU_DEP_2) | instskip(NEXT) | instid1(VALU_DEP_2)
	v_fmac_f32_e32 v175, v6, v1
	v_fma_f32 v176, v5, v1, -v2
	v_mul_f32_e32 v1, v8, v4
	s_delay_alu instid0(VALU_DEP_4) | instskip(NEXT) | instid1(VALU_DEP_2)
	v_fmac_f32_e32 v177, v8, v3
	v_fma_f32 v178, v7, v3, -v1
	ds_load_b128 v[1:4], v21 offset:800
	ds_load_b128 v[5:8], v21 offset:816
	s_wait_loadcnt_dscnt 0x1
	v_mul_f32_e32 v179, v1, v10
	v_mul_f32_e32 v181, v3, v12
	s_delay_alu instid0(VALU_DEP_2) | instskip(NEXT) | instid1(VALU_DEP_2)
	v_fmac_f32_e32 v179, v2, v9
	v_dual_mul_f32 v2, v2, v10 :: v_dual_fmac_f32 v181, v4, v11
	s_delay_alu instid0(VALU_DEP_1) | instskip(SKIP_1) | instid1(VALU_DEP_1)
	v_fma_f32 v180, v1, v9, -v2
	v_mul_f32_e32 v1, v4, v12
	v_fma_f32 v182, v3, v11, -v1
	s_clause 0x1
	scratch_load_b128 v[1:4], off, off offset:352
	scratch_load_b128 v[9:12], off, off offset:368
	s_wait_loadcnt_dscnt 0x100
	v_mul_f32_e32 v183, v5, v2
	v_mul_f32_e32 v2, v6, v2
	s_delay_alu instid0(VALU_DEP_1) | instskip(SKIP_1) | instid1(VALU_DEP_1)
	v_fma_f32 v184, v5, v1, -v2
	v_add_f32_e32 v2, 0, v139
	v_add_f32_e32 v2, v2, v140
	s_delay_alu instid0(VALU_DEP_1) | instskip(NEXT) | instid1(VALU_DEP_1)
	v_add_f32_e32 v2, v2, v143
	v_add_f32_e32 v2, v2, v144
	s_delay_alu instid0(VALU_DEP_1) | instskip(NEXT) | instid1(VALU_DEP_1)
	;; [unrolled: 3-line block ×4, first 2 shown]
	v_dual_add_f32 v2, v2, v15 :: v_dual_mul_f32 v185, v7, v4
	v_add_f32_e32 v2, v2, v18
	s_delay_alu instid0(VALU_DEP_1) | instskip(SKIP_1) | instid1(VALU_DEP_2)
	v_add_f32_e32 v2, v2, v19
	v_fmac_f32_e32 v183, v6, v1
	v_dual_fmac_f32 v185, v8, v3 :: v_dual_add_f32 v2, v2, v20
	s_delay_alu instid0(VALU_DEP_1) | instskip(NEXT) | instid1(VALU_DEP_1)
	v_dual_mul_f32 v1, v8, v4 :: v_dual_add_f32 v2, v2, v155
	v_fma_f32 v186, v7, v3, -v1
	v_add_f32_e32 v1, 0, v24
	s_delay_alu instid0(VALU_DEP_3) | instskip(NEXT) | instid1(VALU_DEP_2)
	v_add_f32_e32 v5, v2, v156
	v_add_f32_e32 v1, v1, v142
	s_delay_alu instid0(VALU_DEP_1) | instskip(NEXT) | instid1(VALU_DEP_1)
	v_add_f32_e32 v1, v1, v146
	v_add_f32_e32 v1, v1, v147
	s_delay_alu instid0(VALU_DEP_1) | instskip(NEXT) | instid1(VALU_DEP_1)
	v_add_f32_e32 v1, v1, v148
	v_add_f32_e32 v1, v1, v149
	s_delay_alu instid0(VALU_DEP_1) | instskip(SKIP_1) | instid1(VALU_DEP_1)
	v_add_f32_e32 v1, v1, v13
	v_add_f32_e32 v13, v5, v159
	;; [unrolled: 1-line block ×3, first 2 shown]
	s_delay_alu instid0(VALU_DEP_1) | instskip(NEXT) | instid1(VALU_DEP_1)
	v_add_f32_e32 v13, v13, v163
	v_add_f32_e32 v18, v13, v165
	s_delay_alu instid0(VALU_DEP_1) | instskip(NEXT) | instid1(VALU_DEP_1)
	v_dual_add_f32 v18, v18, v167 :: v_dual_add_f32 v1, v1, v14
	v_dual_add_f32 v18, v18, v169 :: v_dual_add_f32 v1, v1, v16
	s_delay_alu instid0(VALU_DEP_1) | instskip(NEXT) | instid1(VALU_DEP_1)
	v_add_f32_e32 v1, v1, v17
	v_add_f32_e32 v1, v1, v152
	s_delay_alu instid0(VALU_DEP_1) | instskip(NEXT) | instid1(VALU_DEP_1)
	v_add_f32_e32 v1, v1, v153
	v_add_f32_e32 v1, v1, v157
	;; [unrolled: 3-line block ×3, first 2 shown]
	scratch_load_b128 v[1:4], off, off offset:384
	v_add_f32_e32 v139, v18, v171
	v_add_f32_e32 v14, v6, v162
	ds_load_b128 v[5:8], v21 offset:832
	v_add_f32_e32 v142, v139, v173
	v_add_f32_e32 v14, v14, v164
	s_delay_alu instid0(VALU_DEP_1)
	v_add_f32_e32 v17, v14, v166
	ds_load_b128 v[13:16], v21 offset:848
	s_wait_loadcnt_dscnt 0x101
	v_mul_f32_e32 v24, v5, v10
	v_mul_f32_e32 v10, v6, v10
	;; [unrolled: 1-line block ×4, first 2 shown]
	v_add_f32_e32 v142, v142, v175
	v_fmac_f32_e32 v24, v6, v9
	v_fma_f32 v149, v5, v9, -v10
	v_fmac_f32_e32 v148, v8, v11
	v_fma_f32 v150, v7, v11, -v12
	scratch_load_b128 v[5:8], off, off offset:400
	v_add_f32_e32 v142, v142, v177
	scratch_load_b128 v[9:12], off, off offset:416
	s_wait_loadcnt_dscnt 0x200
	v_mul_f32_e32 v151, v13, v2
	v_mul_f32_e32 v2, v14, v2
	;; [unrolled: 1-line block ×3, first 2 shown]
	s_delay_alu instid0(VALU_DEP_3) | instskip(NEXT) | instid1(VALU_DEP_3)
	v_dual_mul_f32 v4, v16, v4 :: v_dual_fmac_f32 v151, v14, v1
	v_fma_f32 v153, v13, v1, -v2
	v_add_f32_e32 v13, v142, v179
	s_delay_alu instid0(VALU_DEP_4) | instskip(NEXT) | instid1(VALU_DEP_4)
	v_fmac_f32_e32 v152, v16, v3
	v_fma_f32 v154, v15, v3, -v4
	ds_load_b128 v[1:4], v21 offset:864
	v_add_f32_e32 v142, v13, v181
	v_add_f32_e32 v17, v17, v168
	s_delay_alu instid0(VALU_DEP_2) | instskip(NEXT) | instid1(VALU_DEP_1)
	v_add_f32_e32 v147, v142, v183
	v_dual_add_f32 v156, v147, v185 :: v_dual_add_f32 v17, v17, v170
	s_delay_alu instid0(VALU_DEP_1) | instskip(NEXT) | instid1(VALU_DEP_1)
	v_add_f32_e32 v24, v156, v24
	v_add_f32_e32 v24, v24, v148
	s_delay_alu instid0(VALU_DEP_1) | instskip(NEXT) | instid1(VALU_DEP_1)
	v_dual_add_f32 v17, v17, v172 :: v_dual_add_f32 v24, v24, v151
	v_add_f32_e32 v140, v17, v174
	scratch_load_b128 v[17:20], off, off offset:432
	v_add_f32_e32 v24, v24, v152
	v_add_f32_e32 v143, v140, v176
	scratch_load_b64 v[139:140], off, off offset:448
	v_add_f32_e32 v143, v143, v178
	s_delay_alu instid0(VALU_DEP_1) | instskip(NEXT) | instid1(VALU_DEP_1)
	v_add_f32_e32 v143, v143, v180
	v_add_f32_e32 v14, v143, v182
	ds_load_b128 v[142:145], v21 offset:896
	v_add_f32_e32 v146, v14, v184
	ds_load_b128 v[13:16], v21 offset:880
	s_wait_loadcnt_dscnt 0x302
	v_mul_f32_e32 v148, v3, v8
	v_mul_f32_e32 v8, v4, v8
	s_delay_alu instid0(VALU_DEP_2) | instskip(SKIP_3) | instid1(VALU_DEP_1)
	v_dual_fmac_f32 v148, v4, v7 :: v_dual_add_f32 v155, v146, v186
	ds_load_b64 v[146:147], v21 offset:912
	s_wait_loadcnt_dscnt 0x0
	v_dual_add_f32 v149, v155, v149 :: v_dual_mul_f32 v152, v146, v140
	v_add_f32_e32 v149, v149, v150
	v_mul_f32_e32 v150, v13, v10
	v_mul_f32_e32 v155, v1, v6
	;; [unrolled: 1-line block ×3, first 2 shown]
	v_fmac_f32_e32 v152, v147, v139
	s_delay_alu instid0(VALU_DEP_4) | instskip(NEXT) | instid1(VALU_DEP_4)
	v_fmac_f32_e32 v150, v14, v9
	v_fmac_f32_e32 v155, v2, v5
	s_delay_alu instid0(VALU_DEP_4) | instskip(SKIP_1) | instid1(VALU_DEP_3)
	v_fma_f32 v1, v1, v5, -v6
	v_fma_f32 v2, v3, v7, -v8
	v_dual_mul_f32 v3, v14, v10 :: v_dual_add_f32 v4, v24, v155
	v_add_f32_e32 v149, v149, v153
	s_delay_alu instid0(VALU_DEP_2) | instskip(NEXT) | instid1(VALU_DEP_2)
	v_fma_f32 v3, v13, v9, -v3
	v_dual_add_f32 v149, v149, v154 :: v_dual_mul_f32 v154, v144, v20
	s_delay_alu instid0(VALU_DEP_1) | instskip(NEXT) | instid1(VALU_DEP_2)
	v_dual_mul_f32 v153, v142, v18 :: v_dual_fmac_f32 v154, v145, v19
	v_add_f32_e32 v1, v149, v1
	s_delay_alu instid0(VALU_DEP_2) | instskip(NEXT) | instid1(VALU_DEP_2)
	v_fmac_f32_e32 v153, v143, v17
	v_dual_add_f32 v1, v1, v2 :: v_dual_add_f32 v2, v4, v148
	v_mul_f32_e32 v151, v15, v12
	v_mul_f32_e32 v4, v143, v18
	s_delay_alu instid0(VALU_DEP_2) | instskip(NEXT) | instid1(VALU_DEP_2)
	v_dual_add_f32 v2, v2, v150 :: v_dual_fmac_f32 v151, v16, v11
	v_fma_f32 v4, v142, v17, -v4
	s_delay_alu instid0(VALU_DEP_2) | instskip(NEXT) | instid1(VALU_DEP_1)
	v_dual_add_f32 v2, v2, v151 :: v_dual_mul_f32 v5, v16, v12
	v_add_f32_e32 v2, v2, v153
	s_delay_alu instid0(VALU_DEP_2) | instskip(NEXT) | instid1(VALU_DEP_2)
	v_fma_f32 v5, v15, v11, -v5
	v_add_f32_e32 v2, v2, v154
	s_delay_alu instid0(VALU_DEP_1) | instskip(NEXT) | instid1(VALU_DEP_1)
	v_dual_add_f32 v2, v2, v152 :: v_dual_add_f32 v1, v1, v3
	v_dual_mul_f32 v3, v145, v20 :: v_dual_sub_f32 v2, v23, v2
	s_delay_alu instid0(VALU_DEP_2) | instskip(SKIP_1) | instid1(VALU_DEP_3)
	v_add_f32_e32 v1, v1, v5
	v_mul_f32_e32 v5, v147, v140
	v_fma_f32 v3, v144, v19, -v3
	s_delay_alu instid0(VALU_DEP_3) | instskip(NEXT) | instid1(VALU_DEP_3)
	v_add_f32_e32 v1, v1, v4
	v_fma_f32 v4, v146, v139, -v5
	s_delay_alu instid0(VALU_DEP_2) | instskip(NEXT) | instid1(VALU_DEP_1)
	v_add_f32_e32 v1, v1, v3
	v_add_f32_e32 v1, v1, v4
	s_delay_alu instid0(VALU_DEP_1)
	v_sub_f32_e32 v1, v22, v1
	scratch_store_b64 off, v[1:2], off offset:136
	v_cmpx_lt_u32_e32 16, v0
	s_cbranch_execz .LBB56_323
; %bb.322:
	scratch_load_b64 v[1:2], off, off offset:128
	v_mov_b32_e32 v22, v21
	scratch_store_b64 off, v[21:22], off offset:128
	s_wait_loadcnt 0x0
	ds_store_b64 v141, v[1:2]
.LBB56_323:
	s_wait_alu 0xfffe
	s_or_b32 exec_lo, exec_lo, s0
	s_wait_storecnt_dscnt 0x0
	s_barrier_signal -1
	s_barrier_wait -1
	global_inv scope:SCOPE_SE
	s_clause 0x4
	scratch_load_b128 v[5:8], off, off offset:136
	scratch_load_b128 v[1:4], off, off offset:152
	;; [unrolled: 1-line block ×5, first 2 shown]
	ds_load_2addr_b64 v[142:145], v21 offset0:75 offset1:76
	ds_load_2addr_b64 v[146:149], v21 offset0:77 offset1:78
	;; [unrolled: 1-line block ×3, first 2 shown]
	scratch_load_b64 v[139:140], off, off offset:128
	s_mov_b32 s0, exec_lo
	s_wait_loadcnt_dscnt 0x502
	v_mul_f32_e32 v22, v143, v6
	v_dual_mul_f32 v23, v142, v6 :: v_dual_mul_f32 v24, v144, v8
	v_mul_f32_e32 v6, v145, v8
	s_delay_alu instid0(VALU_DEP_3) | instskip(NEXT) | instid1(VALU_DEP_3)
	v_fma_f32 v22, v142, v5, -v22
	v_dual_fmac_f32 v23, v143, v5 :: v_dual_fmac_f32 v24, v145, v7
	s_wait_loadcnt_dscnt 0x401
	v_mul_f32_e32 v143, v146, v2
	v_fma_f32 v142, v144, v7, -v6
	ds_load_2addr_b64 v[5:8], v21 offset0:81 offset1:82
	s_wait_loadcnt_dscnt 0x301
	v_dual_mul_f32 v144, v148, v4 :: v_dual_mul_f32 v145, v150, v10
	v_dual_mul_f32 v4, v149, v4 :: v_dual_fmac_f32 v143, v147, v1
	v_mul_f32_e32 v10, v151, v10
	s_delay_alu instid0(VALU_DEP_3)
	v_dual_mul_f32 v154, v152, v12 :: v_dual_fmac_f32 v145, v151, v9
	v_mul_f32_e32 v12, v153, v12
	v_mul_f32_e32 v2, v147, v2
	v_fmac_f32_e32 v144, v149, v3
	v_fma_f32 v147, v148, v3, -v4
	v_fma_f32 v148, v150, v9, -v10
	v_fmac_f32_e32 v154, v153, v11
	v_fma_f32 v149, v152, v11, -v12
	ds_load_2addr_b64 v[9:12], v21 offset0:83 offset1:84
	s_wait_loadcnt_dscnt 0x201
	v_mul_f32_e32 v150, v5, v14
	v_dual_mul_f32 v14, v6, v14 :: v_dual_mul_f32 v151, v7, v16
	v_mul_f32_e32 v16, v8, v16
	s_delay_alu instid0(VALU_DEP_3) | instskip(NEXT) | instid1(VALU_DEP_3)
	v_fmac_f32_e32 v150, v6, v13
	v_fma_f32 v13, v5, v13, -v14
	s_delay_alu instid0(VALU_DEP_4) | instskip(NEXT) | instid1(VALU_DEP_4)
	v_fmac_f32_e32 v151, v8, v15
	v_fma_f32 v14, v7, v15, -v16
	ds_load_2addr_b64 v[5:8], v21 offset0:85 offset1:86
	s_wait_loadcnt_dscnt 0x101
	v_mul_f32_e32 v15, v9, v18
	v_mul_f32_e32 v16, v10, v18
	;; [unrolled: 1-line block ×3, first 2 shown]
	s_delay_alu instid0(VALU_DEP_3)
	v_dual_mul_f32 v20, v12, v20 :: v_dual_fmac_f32 v15, v10, v17
	v_fma_f32 v146, v146, v1, -v2
	scratch_load_b128 v[1:4], off, off offset:216
	v_fma_f32 v16, v9, v17, -v16
	v_fmac_f32_e32 v18, v12, v19
	v_fma_f32 v17, v11, v19, -v20
	scratch_load_b128 v[9:12], off, off offset:232
	s_wait_loadcnt_dscnt 0x100
	v_mul_f32_e32 v19, v5, v2
	v_mul_f32_e32 v2, v6, v2
	;; [unrolled: 1-line block ×3, first 2 shown]
	s_delay_alu instid0(VALU_DEP_3) | instskip(NEXT) | instid1(VALU_DEP_3)
	v_dual_mul_f32 v4, v8, v4 :: v_dual_fmac_f32 v19, v6, v1
	v_fma_f32 v152, v5, v1, -v2
	s_delay_alu instid0(VALU_DEP_3) | instskip(NEXT) | instid1(VALU_DEP_3)
	v_fmac_f32_e32 v20, v8, v3
	v_fma_f32 v153, v7, v3, -v4
	ds_load_2addr_b64 v[1:4], v21 offset0:87 offset1:88
	ds_load_2addr_b64 v[5:8], v21 offset0:89 offset1:90
	s_wait_loadcnt_dscnt 0x1
	v_mul_f32_e32 v155, v1, v10
	v_mul_f32_e32 v10, v2, v10
	s_delay_alu instid0(VALU_DEP_2) | instskip(NEXT) | instid1(VALU_DEP_2)
	v_dual_mul_f32 v156, v3, v12 :: v_dual_fmac_f32 v155, v2, v9
	v_fma_f32 v157, v1, v9, -v10
	v_mul_f32_e32 v1, v4, v12
	s_delay_alu instid0(VALU_DEP_3) | instskip(NEXT) | instid1(VALU_DEP_2)
	v_fmac_f32_e32 v156, v4, v11
	v_fma_f32 v158, v3, v11, -v1
	s_clause 0x1
	scratch_load_b128 v[1:4], off, off offset:248
	scratch_load_b128 v[9:12], off, off offset:264
	s_wait_loadcnt_dscnt 0x100
	v_mul_f32_e32 v159, v5, v2
	v_dual_mul_f32 v2, v6, v2 :: v_dual_mul_f32 v161, v7, v4
	s_delay_alu instid0(VALU_DEP_2) | instskip(NEXT) | instid1(VALU_DEP_2)
	v_fmac_f32_e32 v159, v6, v1
	v_fma_f32 v160, v5, v1, -v2
	v_mul_f32_e32 v1, v8, v4
	s_delay_alu instid0(VALU_DEP_4) | instskip(NEXT) | instid1(VALU_DEP_2)
	v_fmac_f32_e32 v161, v8, v3
	v_fma_f32 v162, v7, v3, -v1
	ds_load_2addr_b64 v[1:4], v21 offset0:91 offset1:92
	ds_load_2addr_b64 v[5:8], v21 offset0:93 offset1:94
	s_wait_loadcnt_dscnt 0x1
	v_mul_f32_e32 v163, v1, v10
	v_mul_f32_e32 v165, v3, v12
	s_delay_alu instid0(VALU_DEP_2) | instskip(NEXT) | instid1(VALU_DEP_2)
	v_fmac_f32_e32 v163, v2, v9
	v_dual_mul_f32 v2, v2, v10 :: v_dual_fmac_f32 v165, v4, v11
	s_delay_alu instid0(VALU_DEP_1) | instskip(SKIP_1) | instid1(VALU_DEP_1)
	v_fma_f32 v164, v1, v9, -v2
	v_mul_f32_e32 v1, v4, v12
	v_fma_f32 v166, v3, v11, -v1
	s_clause 0x1
	scratch_load_b128 v[1:4], off, off offset:280
	scratch_load_b128 v[9:12], off, off offset:296
	s_wait_loadcnt_dscnt 0x100
	v_mul_f32_e32 v167, v5, v2
	v_dual_mul_f32 v2, v6, v2 :: v_dual_mul_f32 v169, v7, v4
	s_delay_alu instid0(VALU_DEP_2) | instskip(NEXT) | instid1(VALU_DEP_2)
	v_fmac_f32_e32 v167, v6, v1
	v_fma_f32 v168, v5, v1, -v2
	v_mul_f32_e32 v1, v8, v4
	s_delay_alu instid0(VALU_DEP_4) | instskip(NEXT) | instid1(VALU_DEP_2)
	v_fmac_f32_e32 v169, v8, v3
	v_fma_f32 v170, v7, v3, -v1
	ds_load_2addr_b64 v[1:4], v21 offset0:95 offset1:96
	ds_load_2addr_b64 v[5:8], v21 offset0:97 offset1:98
	s_wait_loadcnt_dscnt 0x1
	v_mul_f32_e32 v171, v1, v10
	v_mul_f32_e32 v173, v3, v12
	s_delay_alu instid0(VALU_DEP_2) | instskip(NEXT) | instid1(VALU_DEP_2)
	v_fmac_f32_e32 v171, v2, v9
	v_dual_mul_f32 v2, v2, v10 :: v_dual_fmac_f32 v173, v4, v11
	s_delay_alu instid0(VALU_DEP_1) | instskip(SKIP_1) | instid1(VALU_DEP_1)
	v_fma_f32 v172, v1, v9, -v2
	v_mul_f32_e32 v1, v4, v12
	;; [unrolled: 25-line block ×4, first 2 shown]
	v_fma_f32 v190, v3, v11, -v1
	s_clause 0x1
	scratch_load_b128 v[1:4], off, off offset:376
	scratch_load_b128 v[9:12], off, off offset:392
	s_wait_loadcnt_dscnt 0x100
	v_mul_f32_e32 v191, v5, v2
	v_mul_f32_e32 v2, v6, v2
	s_delay_alu instid0(VALU_DEP_1) | instskip(SKIP_1) | instid1(VALU_DEP_1)
	v_fma_f32 v192, v5, v1, -v2
	v_add_f32_e32 v2, 0, v23
	v_add_f32_e32 v2, v2, v24
	s_delay_alu instid0(VALU_DEP_1) | instskip(NEXT) | instid1(VALU_DEP_1)
	v_add_f32_e32 v2, v2, v143
	v_add_f32_e32 v2, v2, v144
	s_delay_alu instid0(VALU_DEP_1) | instskip(NEXT) | instid1(VALU_DEP_1)
	;; [unrolled: 3-line block ×6, first 2 shown]
	v_add_f32_e32 v2, v2, v155
	v_add_f32_e32 v2, v2, v156
	v_fmac_f32_e32 v191, v6, v1
	s_delay_alu instid0(VALU_DEP_2) | instskip(NEXT) | instid1(VALU_DEP_1)
	v_dual_add_f32 v2, v2, v159 :: v_dual_mul_f32 v193, v7, v4
	v_add_f32_e32 v2, v2, v161
	s_delay_alu instid0(VALU_DEP_1) | instskip(NEXT) | instid1(VALU_DEP_1)
	v_add_f32_e32 v5, v2, v163
	v_add_f32_e32 v5, v5, v165
	s_delay_alu instid0(VALU_DEP_1) | instskip(SKIP_1) | instid1(VALU_DEP_1)
	v_add_f32_e32 v5, v5, v167
	v_mul_f32_e32 v1, v8, v4
	v_fma_f32 v194, v7, v3, -v1
	v_add_f32_e32 v1, 0, v22
	s_delay_alu instid0(VALU_DEP_1) | instskip(NEXT) | instid1(VALU_DEP_1)
	v_add_f32_e32 v1, v1, v142
	v_add_f32_e32 v1, v1, v146
	s_delay_alu instid0(VALU_DEP_1) | instskip(NEXT) | instid1(VALU_DEP_1)
	v_add_f32_e32 v1, v1, v147
	;; [unrolled: 3-line block ×3, first 2 shown]
	v_add_f32_e32 v1, v1, v13
	s_delay_alu instid0(VALU_DEP_1) | instskip(SKIP_1) | instid1(VALU_DEP_2)
	v_add_f32_e32 v1, v1, v14
	v_add_f32_e32 v14, v5, v169
	;; [unrolled: 1-line block ×3, first 2 shown]
	s_delay_alu instid0(VALU_DEP_1) | instskip(NEXT) | instid1(VALU_DEP_1)
	v_add_f32_e32 v1, v1, v17
	v_add_f32_e32 v1, v1, v152
	s_delay_alu instid0(VALU_DEP_1) | instskip(NEXT) | instid1(VALU_DEP_1)
	v_add_f32_e32 v1, v1, v153
	v_add_f32_e32 v1, v1, v157
	;; [unrolled: 3-line block ×4, first 2 shown]
	s_delay_alu instid0(VALU_DEP_1) | instskip(SKIP_3) | instid1(VALU_DEP_2)
	v_dual_add_f32 v6, v1, v166 :: v_dual_fmac_f32 v193, v8, v3
	ds_load_2addr_b64 v[1:4], v21 offset0:107 offset1:108
	v_add_f32_e32 v14, v14, v171
	v_add_f32_e32 v6, v6, v168
	;; [unrolled: 1-line block ×3, first 2 shown]
	s_delay_alu instid0(VALU_DEP_2)
	v_add_f32_e32 v13, v6, v170
	ds_load_2addr_b64 v[5:8], v21 offset0:109 offset1:110
	s_wait_loadcnt_dscnt 0x1
	v_dual_mul_f32 v142, v1, v10 :: v_dual_mul_f32 v143, v3, v12
	v_mul_f32_e32 v10, v2, v10
	v_dual_mul_f32 v12, v4, v12 :: v_dual_add_f32 v17, v14, v175
	s_delay_alu instid0(VALU_DEP_3) | instskip(NEXT) | instid1(VALU_DEP_3)
	v_dual_fmac_f32 v142, v2, v9 :: v_dual_fmac_f32 v143, v4, v11
	v_fma_f32 v144, v1, v9, -v10
	s_delay_alu instid0(VALU_DEP_3) | instskip(SKIP_4) | instid1(VALU_DEP_1)
	v_fma_f32 v145, v3, v11, -v12
	s_clause 0x1
	scratch_load_b128 v[1:4], off, off offset:408
	scratch_load_b128 v[9:12], off, off offset:424
	v_add_f32_e32 v13, v13, v172
	v_add_f32_e32 v13, v13, v174
	s_delay_alu instid0(VALU_DEP_1) | instskip(NEXT) | instid1(VALU_DEP_1)
	v_add_f32_e32 v13, v13, v176
	v_add_f32_e32 v18, v13, v178
	scratch_load_b128 v[13:16], off, off offset:440
	v_dual_add_f32 v17, v17, v177 :: v_dual_add_f32 v18, v18, v180
	s_delay_alu instid0(VALU_DEP_1) | instskip(NEXT) | instid1(VALU_DEP_1)
	v_dual_add_f32 v17, v17, v179 :: v_dual_add_f32 v18, v18, v182
	v_dual_add_f32 v17, v17, v181 :: v_dual_add_f32 v22, v18, v184
	s_delay_alu instid0(VALU_DEP_1) | instskip(SKIP_4) | instid1(VALU_DEP_1)
	v_add_f32_e32 v23, v17, v183
	ds_load_2addr_b64 v[17:20], v21 offset0:111 offset1:112
	v_dual_add_f32 v146, v22, v186 :: v_dual_add_f32 v147, v23, v185
	ds_load_2addr_b64 v[21:24], v21 offset0:113 offset1:114
	v_add_f32_e32 v146, v146, v188
	v_add_f32_e32 v146, v146, v190
	s_delay_alu instid0(VALU_DEP_1) | instskip(NEXT) | instid1(VALU_DEP_1)
	v_add_f32_e32 v146, v146, v192
	v_add_f32_e32 v146, v146, v194
	s_delay_alu instid0(VALU_DEP_1)
	v_add_f32_e32 v144, v146, v144
	s_wait_loadcnt_dscnt 0x202
	v_dual_mul_f32 v148, v5, v2 :: v_dual_add_f32 v147, v147, v187
	s_wait_loadcnt_dscnt 0x101
	v_mul_f32_e32 v150, v17, v10
	v_dual_mul_f32 v2, v6, v2 :: v_dual_mul_f32 v149, v7, v4
	s_delay_alu instid0(VALU_DEP_3) | instskip(SKIP_1) | instid1(VALU_DEP_3)
	v_dual_mul_f32 v4, v8, v4 :: v_dual_add_f32 v147, v147, v189
	v_fmac_f32_e32 v148, v6, v1
	v_fma_f32 v2, v5, v1, -v2
	v_dual_add_f32 v1, v144, v145 :: v_dual_mul_f32 v6, v18, v10
	s_delay_alu instid0(VALU_DEP_4) | instskip(SKIP_2) | instid1(VALU_DEP_4)
	v_add_f32_e32 v147, v147, v191
	v_fmac_f32_e32 v149, v8, v3
	v_fma_f32 v3, v7, v3, -v4
	v_add_f32_e32 v1, v1, v2
	v_mul_f32_e32 v151, v19, v12
	v_dual_add_f32 v147, v147, v193 :: v_dual_mul_f32 v4, v20, v12
	s_delay_alu instid0(VALU_DEP_3) | instskip(SKIP_2) | instid1(VALU_DEP_3)
	v_dual_fmac_f32 v150, v18, v9 :: v_dual_add_f32 v1, v1, v3
	s_wait_loadcnt_dscnt 0x0
	v_mul_f32_e32 v152, v21, v14
	v_add_f32_e32 v142, v147, v142
	v_mul_f32_e32 v3, v22, v14
	v_fmac_f32_e32 v151, v20, v11
	v_fma_f32 v4, v19, v11, -v4
	s_delay_alu instid0(VALU_DEP_4) | instskip(SKIP_2) | instid1(VALU_DEP_3)
	v_dual_mul_f32 v146, v23, v16 :: v_dual_add_f32 v5, v142, v143
	v_fmac_f32_e32 v152, v22, v13
	v_fma_f32 v3, v21, v13, -v3
	v_fmac_f32_e32 v146, v24, v15
	s_delay_alu instid0(VALU_DEP_4) | instskip(SKIP_1) | instid1(VALU_DEP_2)
	v_add_f32_e32 v2, v5, v148
	v_fma_f32 v5, v17, v9, -v6
	v_add_f32_e32 v2, v2, v149
	s_delay_alu instid0(VALU_DEP_2) | instskip(NEXT) | instid1(VALU_DEP_2)
	v_add_f32_e32 v1, v1, v5
	v_dual_mul_f32 v5, v24, v16 :: v_dual_add_f32 v2, v2, v150
	s_delay_alu instid0(VALU_DEP_2) | instskip(NEXT) | instid1(VALU_DEP_2)
	v_add_f32_e32 v1, v1, v4
	v_fma_f32 v4, v23, v15, -v5
	s_delay_alu instid0(VALU_DEP_3) | instskip(NEXT) | instid1(VALU_DEP_1)
	v_add_f32_e32 v2, v2, v151
	v_dual_add_f32 v1, v1, v3 :: v_dual_add_f32 v2, v2, v152
	s_delay_alu instid0(VALU_DEP_1) | instskip(NEXT) | instid1(VALU_DEP_1)
	v_dual_add_f32 v1, v1, v4 :: v_dual_add_f32 v2, v2, v146
	v_dual_sub_f32 v1, v139, v1 :: v_dual_sub_f32 v2, v140, v2
	scratch_store_b64 off, v[1:2], off offset:128
	v_cmpx_lt_u32_e32 15, v0
	s_cbranch_execz .LBB56_325
; %bb.324:
	scratch_load_b64 v[1:2], off, off offset:120
	v_mov_b32_e32 v3, 0
	s_delay_alu instid0(VALU_DEP_1)
	v_mov_b32_e32 v4, v3
	scratch_store_b64 off, v[3:4], off offset:120
	s_wait_loadcnt 0x0
	ds_store_b64 v141, v[1:2]
.LBB56_325:
	s_wait_alu 0xfffe
	s_or_b32 exec_lo, exec_lo, s0
	s_wait_storecnt_dscnt 0x0
	s_barrier_signal -1
	s_barrier_wait -1
	global_inv scope:SCOPE_SE
	s_clause 0x4
	scratch_load_b128 v[5:8], off, off offset:128
	scratch_load_b128 v[1:4], off, off offset:144
	scratch_load_b128 v[9:12], off, off offset:160
	scratch_load_b128 v[13:16], off, off offset:176
	scratch_load_b128 v[17:20], off, off offset:192
	v_mov_b32_e32 v21, 0
	ds_load_b128 v[142:145], v21 offset:592
	ds_load_b128 v[146:149], v21 offset:608
	;; [unrolled: 1-line block ×3, first 2 shown]
	scratch_load_b64 v[22:23], off, off offset:120
	s_mov_b32 s0, exec_lo
	s_wait_loadcnt_dscnt 0x502
	v_mul_f32_e32 v24, v143, v6
	v_dual_mul_f32 v139, v142, v6 :: v_dual_mul_f32 v140, v144, v8
	v_mul_f32_e32 v6, v145, v8
	s_delay_alu instid0(VALU_DEP_3) | instskip(NEXT) | instid1(VALU_DEP_3)
	v_fma_f32 v24, v142, v5, -v24
	v_dual_fmac_f32 v139, v143, v5 :: v_dual_fmac_f32 v140, v145, v7
	s_wait_loadcnt_dscnt 0x401
	v_mul_f32_e32 v143, v146, v2
	v_fma_f32 v142, v144, v7, -v6
	ds_load_b128 v[5:8], v21 offset:640
	s_wait_loadcnt_dscnt 0x301
	v_dual_mul_f32 v144, v148, v4 :: v_dual_mul_f32 v145, v150, v10
	v_dual_mul_f32 v4, v149, v4 :: v_dual_fmac_f32 v143, v147, v1
	v_mul_f32_e32 v10, v151, v10
	s_delay_alu instid0(VALU_DEP_3)
	v_dual_mul_f32 v154, v152, v12 :: v_dual_fmac_f32 v145, v151, v9
	v_mul_f32_e32 v12, v153, v12
	v_mul_f32_e32 v2, v147, v2
	v_fmac_f32_e32 v144, v149, v3
	v_fma_f32 v147, v148, v3, -v4
	v_fma_f32 v148, v150, v9, -v10
	v_fmac_f32_e32 v154, v153, v11
	v_fma_f32 v149, v152, v11, -v12
	ds_load_b128 v[9:12], v21 offset:656
	s_wait_loadcnt_dscnt 0x201
	v_dual_mul_f32 v151, v7, v16 :: v_dual_mul_f32 v150, v5, v14
	v_mul_f32_e32 v14, v6, v14
	v_mul_f32_e32 v16, v8, v16
	s_delay_alu instid0(VALU_DEP_3)
	v_fmac_f32_e32 v151, v8, v15
	v_fma_f32 v146, v146, v1, -v2
	scratch_load_b128 v[1:4], off, off offset:208
	v_fmac_f32_e32 v150, v6, v13
	v_fma_f32 v13, v5, v13, -v14
	v_fma_f32 v14, v7, v15, -v16
	ds_load_b128 v[5:8], v21 offset:672
	s_wait_loadcnt_dscnt 0x201
	v_mul_f32_e32 v15, v9, v18
	v_mul_f32_e32 v16, v10, v18
	;; [unrolled: 1-line block ×3, first 2 shown]
	s_delay_alu instid0(VALU_DEP_3) | instskip(NEXT) | instid1(VALU_DEP_3)
	v_dual_mul_f32 v20, v12, v20 :: v_dual_fmac_f32 v15, v10, v17
	v_fma_f32 v16, v9, v17, -v16
	s_delay_alu instid0(VALU_DEP_3) | instskip(NEXT) | instid1(VALU_DEP_3)
	v_fmac_f32_e32 v18, v12, v19
	v_fma_f32 v17, v11, v19, -v20
	scratch_load_b128 v[9:12], off, off offset:224
	s_wait_loadcnt_dscnt 0x100
	v_mul_f32_e32 v19, v5, v2
	v_mul_f32_e32 v2, v6, v2
	;; [unrolled: 1-line block ×3, first 2 shown]
	s_delay_alu instid0(VALU_DEP_3) | instskip(NEXT) | instid1(VALU_DEP_3)
	v_dual_mul_f32 v4, v8, v4 :: v_dual_fmac_f32 v19, v6, v1
	v_fma_f32 v152, v5, v1, -v2
	s_delay_alu instid0(VALU_DEP_3) | instskip(NEXT) | instid1(VALU_DEP_3)
	v_fmac_f32_e32 v20, v8, v3
	v_fma_f32 v153, v7, v3, -v4
	ds_load_b128 v[1:4], v21 offset:688
	ds_load_b128 v[5:8], v21 offset:704
	s_wait_loadcnt_dscnt 0x1
	v_mul_f32_e32 v155, v1, v10
	v_mul_f32_e32 v10, v2, v10
	s_delay_alu instid0(VALU_DEP_2) | instskip(NEXT) | instid1(VALU_DEP_2)
	v_dual_mul_f32 v156, v3, v12 :: v_dual_fmac_f32 v155, v2, v9
	v_fma_f32 v157, v1, v9, -v10
	v_mul_f32_e32 v1, v4, v12
	s_delay_alu instid0(VALU_DEP_3) | instskip(NEXT) | instid1(VALU_DEP_2)
	v_fmac_f32_e32 v156, v4, v11
	v_fma_f32 v158, v3, v11, -v1
	s_clause 0x1
	scratch_load_b128 v[1:4], off, off offset:240
	scratch_load_b128 v[9:12], off, off offset:256
	s_wait_loadcnt_dscnt 0x100
	v_mul_f32_e32 v159, v5, v2
	v_dual_mul_f32 v2, v6, v2 :: v_dual_mul_f32 v161, v7, v4
	s_delay_alu instid0(VALU_DEP_2) | instskip(NEXT) | instid1(VALU_DEP_2)
	v_fmac_f32_e32 v159, v6, v1
	v_fma_f32 v160, v5, v1, -v2
	v_mul_f32_e32 v1, v8, v4
	s_delay_alu instid0(VALU_DEP_4) | instskip(NEXT) | instid1(VALU_DEP_2)
	v_fmac_f32_e32 v161, v8, v3
	v_fma_f32 v162, v7, v3, -v1
	ds_load_b128 v[1:4], v21 offset:720
	ds_load_b128 v[5:8], v21 offset:736
	s_wait_loadcnt_dscnt 0x1
	v_mul_f32_e32 v163, v1, v10
	v_mul_f32_e32 v165, v3, v12
	s_delay_alu instid0(VALU_DEP_2) | instskip(NEXT) | instid1(VALU_DEP_2)
	v_fmac_f32_e32 v163, v2, v9
	v_dual_mul_f32 v2, v2, v10 :: v_dual_fmac_f32 v165, v4, v11
	s_delay_alu instid0(VALU_DEP_1) | instskip(SKIP_1) | instid1(VALU_DEP_1)
	v_fma_f32 v164, v1, v9, -v2
	v_mul_f32_e32 v1, v4, v12
	v_fma_f32 v166, v3, v11, -v1
	s_clause 0x1
	scratch_load_b128 v[1:4], off, off offset:272
	scratch_load_b128 v[9:12], off, off offset:288
	s_wait_loadcnt_dscnt 0x100
	v_mul_f32_e32 v167, v5, v2
	v_dual_mul_f32 v169, v7, v4 :: v_dual_mul_f32 v2, v6, v2
	s_delay_alu instid0(VALU_DEP_2) | instskip(NEXT) | instid1(VALU_DEP_2)
	v_fmac_f32_e32 v167, v6, v1
	v_fmac_f32_e32 v169, v8, v3
	s_delay_alu instid0(VALU_DEP_3) | instskip(SKIP_1) | instid1(VALU_DEP_1)
	v_fma_f32 v168, v5, v1, -v2
	v_mul_f32_e32 v1, v8, v4
	v_fma_f32 v170, v7, v3, -v1
	ds_load_b128 v[1:4], v21 offset:752
	ds_load_b128 v[5:8], v21 offset:768
	s_wait_loadcnt_dscnt 0x1
	v_mul_f32_e32 v171, v1, v10
	v_mul_f32_e32 v173, v3, v12
	s_delay_alu instid0(VALU_DEP_2) | instskip(NEXT) | instid1(VALU_DEP_2)
	v_fmac_f32_e32 v171, v2, v9
	v_dual_mul_f32 v2, v2, v10 :: v_dual_fmac_f32 v173, v4, v11
	s_delay_alu instid0(VALU_DEP_1) | instskip(SKIP_1) | instid1(VALU_DEP_1)
	v_fma_f32 v172, v1, v9, -v2
	v_mul_f32_e32 v1, v4, v12
	v_fma_f32 v174, v3, v11, -v1
	s_clause 0x1
	scratch_load_b128 v[1:4], off, off offset:304
	scratch_load_b128 v[9:12], off, off offset:320
	s_wait_loadcnt_dscnt 0x100
	v_mul_f32_e32 v175, v5, v2
	v_dual_mul_f32 v2, v6, v2 :: v_dual_mul_f32 v177, v7, v4
	s_delay_alu instid0(VALU_DEP_2) | instskip(NEXT) | instid1(VALU_DEP_2)
	v_fmac_f32_e32 v175, v6, v1
	v_fma_f32 v176, v5, v1, -v2
	v_mul_f32_e32 v1, v8, v4
	s_delay_alu instid0(VALU_DEP_4) | instskip(NEXT) | instid1(VALU_DEP_2)
	v_fmac_f32_e32 v177, v8, v3
	v_fma_f32 v178, v7, v3, -v1
	ds_load_b128 v[1:4], v21 offset:784
	ds_load_b128 v[5:8], v21 offset:800
	s_wait_loadcnt_dscnt 0x1
	v_mul_f32_e32 v179, v1, v10
	v_mul_f32_e32 v181, v3, v12
	s_delay_alu instid0(VALU_DEP_2) | instskip(NEXT) | instid1(VALU_DEP_2)
	v_fmac_f32_e32 v179, v2, v9
	v_dual_mul_f32 v2, v2, v10 :: v_dual_fmac_f32 v181, v4, v11
	s_delay_alu instid0(VALU_DEP_1) | instskip(SKIP_1) | instid1(VALU_DEP_1)
	v_fma_f32 v180, v1, v9, -v2
	v_mul_f32_e32 v1, v4, v12
	v_fma_f32 v182, v3, v11, -v1
	s_clause 0x1
	scratch_load_b128 v[1:4], off, off offset:336
	scratch_load_b128 v[9:12], off, off offset:352
	s_wait_loadcnt_dscnt 0x100
	v_mul_f32_e32 v183, v5, v2
	v_dual_mul_f32 v2, v6, v2 :: v_dual_mul_f32 v185, v7, v4
	s_delay_alu instid0(VALU_DEP_2) | instskip(NEXT) | instid1(VALU_DEP_2)
	v_fmac_f32_e32 v183, v6, v1
	v_fma_f32 v184, v5, v1, -v2
	v_mul_f32_e32 v1, v8, v4
	s_delay_alu instid0(VALU_DEP_4) | instskip(NEXT) | instid1(VALU_DEP_2)
	v_fmac_f32_e32 v185, v8, v3
	v_fma_f32 v186, v7, v3, -v1
	ds_load_b128 v[1:4], v21 offset:816
	ds_load_b128 v[5:8], v21 offset:832
	s_wait_loadcnt_dscnt 0x1
	v_mul_f32_e32 v187, v1, v10
	v_mul_f32_e32 v189, v3, v12
	s_delay_alu instid0(VALU_DEP_2) | instskip(NEXT) | instid1(VALU_DEP_2)
	v_fmac_f32_e32 v187, v2, v9
	v_dual_mul_f32 v2, v2, v10 :: v_dual_fmac_f32 v189, v4, v11
	s_delay_alu instid0(VALU_DEP_1) | instskip(SKIP_1) | instid1(VALU_DEP_1)
	v_fma_f32 v188, v1, v9, -v2
	v_mul_f32_e32 v1, v4, v12
	v_fma_f32 v190, v3, v11, -v1
	s_clause 0x1
	scratch_load_b128 v[1:4], off, off offset:368
	scratch_load_b128 v[9:12], off, off offset:384
	s_wait_loadcnt_dscnt 0x100
	v_mul_f32_e32 v191, v5, v2
	v_mul_f32_e32 v2, v6, v2
	s_delay_alu instid0(VALU_DEP_1) | instskip(SKIP_1) | instid1(VALU_DEP_1)
	v_fma_f32 v192, v5, v1, -v2
	v_add_f32_e32 v2, 0, v139
	v_add_f32_e32 v2, v2, v140
	scratch_load_b64 v[139:140], off, off offset:448
	v_add_f32_e32 v2, v2, v143
	s_delay_alu instid0(VALU_DEP_1) | instskip(NEXT) | instid1(VALU_DEP_1)
	v_add_f32_e32 v2, v2, v144
	v_add_f32_e32 v2, v2, v145
	s_delay_alu instid0(VALU_DEP_1) | instskip(NEXT) | instid1(VALU_DEP_1)
	v_add_f32_e32 v2, v2, v154
	;; [unrolled: 3-line block ×6, first 2 shown]
	v_add_f32_e32 v2, v2, v159
	s_delay_alu instid0(VALU_DEP_1) | instskip(SKIP_2) | instid1(VALU_DEP_3)
	v_add_f32_e32 v2, v2, v161
	v_fmac_f32_e32 v191, v6, v1
	v_mul_f32_e32 v1, v8, v4
	v_add_f32_e32 v5, v2, v163
	s_delay_alu instid0(VALU_DEP_2) | instskip(SKIP_1) | instid1(VALU_DEP_3)
	v_fma_f32 v194, v7, v3, -v1
	v_add_f32_e32 v1, 0, v24
	v_add_f32_e32 v5, v5, v165
	s_delay_alu instid0(VALU_DEP_2) | instskip(NEXT) | instid1(VALU_DEP_2)
	v_add_f32_e32 v1, v1, v142
	v_add_f32_e32 v5, v5, v167
	v_mul_f32_e32 v193, v7, v4
	s_delay_alu instid0(VALU_DEP_3) | instskip(NEXT) | instid1(VALU_DEP_1)
	v_add_f32_e32 v1, v1, v146
	v_add_f32_e32 v1, v1, v147
	s_delay_alu instid0(VALU_DEP_1) | instskip(NEXT) | instid1(VALU_DEP_1)
	v_add_f32_e32 v1, v1, v148
	v_add_f32_e32 v1, v1, v149
	s_delay_alu instid0(VALU_DEP_1) | instskip(NEXT) | instid1(VALU_DEP_1)
	v_add_f32_e32 v1, v1, v13
	v_add_f32_e32 v1, v1, v14
	;; [unrolled: 1-line block ×3, first 2 shown]
	s_delay_alu instid0(VALU_DEP_2) | instskip(NEXT) | instid1(VALU_DEP_1)
	v_add_f32_e32 v1, v1, v16
	v_add_f32_e32 v1, v1, v17
	s_delay_alu instid0(VALU_DEP_1) | instskip(NEXT) | instid1(VALU_DEP_1)
	v_add_f32_e32 v1, v1, v152
	v_add_f32_e32 v1, v1, v153
	s_delay_alu instid0(VALU_DEP_1) | instskip(NEXT) | instid1(VALU_DEP_1)
	v_add_f32_e32 v1, v1, v157
	v_add_f32_e32 v1, v1, v158
	s_delay_alu instid0(VALU_DEP_1) | instskip(NEXT) | instid1(VALU_DEP_1)
	v_add_f32_e32 v1, v1, v160
	v_add_f32_e32 v1, v1, v162
	s_delay_alu instid0(VALU_DEP_1) | instskip(NEXT) | instid1(VALU_DEP_1)
	v_add_f32_e32 v1, v1, v164
	v_dual_add_f32 v6, v1, v166 :: v_dual_fmac_f32 v193, v8, v3
	ds_load_b128 v[1:4], v21 offset:848
	v_add_f32_e32 v14, v14, v171
	v_add_f32_e32 v6, v6, v168
	s_delay_alu instid0(VALU_DEP_2) | instskip(NEXT) | instid1(VALU_DEP_2)
	v_add_f32_e32 v14, v14, v173
	v_add_f32_e32 v13, v6, v170
	ds_load_b128 v[5:8], v21 offset:864
	s_wait_loadcnt_dscnt 0x101
	v_mul_f32_e32 v24, v1, v10
	v_mul_f32_e32 v10, v2, v10
	;; [unrolled: 1-line block ×4, first 2 shown]
	s_delay_alu instid0(VALU_DEP_4) | instskip(NEXT) | instid1(VALU_DEP_4)
	v_fmac_f32_e32 v24, v2, v9
	v_fma_f32 v149, v1, v9, -v10
	s_delay_alu instid0(VALU_DEP_4) | instskip(NEXT) | instid1(VALU_DEP_4)
	v_fmac_f32_e32 v148, v4, v11
	v_fma_f32 v150, v3, v11, -v12
	s_clause 0x1
	scratch_load_b128 v[1:4], off, off offset:400
	scratch_load_b128 v[9:12], off, off offset:416
	s_wait_loadcnt_dscnt 0x100
	v_dual_mul_f32 v154, v7, v4 :: v_dual_mul_f32 v153, v5, v2
	v_mul_f32_e32 v2, v6, v2
	v_mul_f32_e32 v4, v8, v4
	s_delay_alu instid0(VALU_DEP_3) | instskip(NEXT) | instid1(VALU_DEP_3)
	v_dual_fmac_f32 v154, v8, v3 :: v_dual_add_f32 v13, v13, v172
	v_fma_f32 v2, v5, v1, -v2
	s_delay_alu instid0(VALU_DEP_2) | instskip(NEXT) | instid1(VALU_DEP_1)
	v_add_f32_e32 v13, v13, v174
	v_add_f32_e32 v13, v13, v176
	s_delay_alu instid0(VALU_DEP_1) | instskip(NEXT) | instid1(VALU_DEP_1)
	v_add_f32_e32 v18, v13, v178
	v_add_f32_e32 v18, v18, v180
	s_delay_alu instid0(VALU_DEP_1) | instskip(NEXT) | instid1(VALU_DEP_1)
	;; [unrolled: 3-line block ×5, first 2 shown]
	v_add_f32_e32 v151, v151, v194
	v_add_f32_e32 v149, v151, v149
	s_delay_alu instid0(VALU_DEP_1) | instskip(SKIP_4) | instid1(VALU_DEP_1)
	v_add_f32_e32 v149, v149, v150
	v_add_f32_e32 v17, v14, v175
	scratch_load_b128 v[13:16], off, off offset:432
	v_add_f32_e32 v2, v149, v2
	v_add_f32_e32 v17, v17, v177
	;; [unrolled: 1-line block ×3, first 2 shown]
	s_delay_alu instid0(VALU_DEP_1) | instskip(NEXT) | instid1(VALU_DEP_1)
	v_add_f32_e32 v17, v17, v181
	v_add_f32_e32 v17, v17, v183
	s_delay_alu instid0(VALU_DEP_1)
	v_add_f32_e32 v142, v17, v185
	ds_load_b128 v[17:20], v21 offset:880
	v_add_f32_e32 v147, v142, v187
	ds_load_b128 v[142:145], v21 offset:896
	v_add_f32_e32 v152, v147, v189
	ds_load_b64 v[146:147], v21 offset:912
	v_add_f32_e32 v152, v152, v191
	s_wait_loadcnt_dscnt 0x102
	s_delay_alu instid0(VALU_DEP_1) | instskip(SKIP_1) | instid1(VALU_DEP_2)
	v_dual_add_f32 v152, v152, v193 :: v_dual_mul_f32 v151, v17, v10
	v_mul_f32_e32 v5, v20, v12
	v_add_f32_e32 v24, v152, v24
	s_delay_alu instid0(VALU_DEP_3) | instskip(NEXT) | instid1(VALU_DEP_3)
	v_dual_mul_f32 v152, v19, v12 :: v_dual_fmac_f32 v151, v18, v9
	v_fma_f32 v5, v19, v11, -v5
	s_delay_alu instid0(VALU_DEP_3) | instskip(NEXT) | instid1(VALU_DEP_3)
	v_add_f32_e32 v24, v24, v148
	v_fmac_f32_e32 v152, v20, v11
	s_wait_dscnt 0x0
	v_mul_f32_e32 v148, v146, v140
	s_delay_alu instid0(VALU_DEP_1) | instskip(SKIP_1) | instid1(VALU_DEP_2)
	v_dual_fmac_f32 v148, v147, v139 :: v_dual_fmac_f32 v153, v6, v1
	v_fma_f32 v1, v7, v3, -v4
	v_dual_mul_f32 v3, v18, v10 :: v_dual_add_f32 v4, v24, v153
	s_delay_alu instid0(VALU_DEP_2) | instskip(NEXT) | instid1(VALU_DEP_2)
	v_add_f32_e32 v1, v2, v1
	v_fma_f32 v3, v17, v9, -v3
	s_delay_alu instid0(VALU_DEP_1) | instskip(NEXT) | instid1(VALU_DEP_1)
	v_dual_add_f32 v2, v4, v154 :: v_dual_add_f32 v1, v1, v3
	v_dual_add_f32 v2, v2, v151 :: v_dual_add_f32 v1, v1, v5
	v_mul_f32_e32 v5, v147, v140
	s_delay_alu instid0(VALU_DEP_2)
	v_add_f32_e32 v2, v2, v152
	s_wait_loadcnt 0x0
	v_mul_f32_e32 v155, v142, v14
	v_mul_f32_e32 v4, v143, v14
	v_mul_f32_e32 v150, v144, v16
	v_mul_f32_e32 v3, v145, v16
	s_delay_alu instid0(VALU_DEP_4) | instskip(NEXT) | instid1(VALU_DEP_4)
	v_fmac_f32_e32 v155, v143, v13
	v_fma_f32 v4, v142, v13, -v4
	s_delay_alu instid0(VALU_DEP_4) | instskip(NEXT) | instid1(VALU_DEP_4)
	v_fmac_f32_e32 v150, v145, v15
	v_fma_f32 v3, v144, v15, -v3
	s_delay_alu instid0(VALU_DEP_3) | instskip(SKIP_1) | instid1(VALU_DEP_2)
	v_dual_add_f32 v2, v2, v155 :: v_dual_add_f32 v1, v1, v4
	v_fma_f32 v4, v146, v139, -v5
	v_dual_add_f32 v2, v2, v150 :: v_dual_add_f32 v1, v1, v3
	s_delay_alu instid0(VALU_DEP_1) | instskip(NEXT) | instid1(VALU_DEP_1)
	v_add_f32_e32 v2, v2, v148
	v_dual_add_f32 v1, v1, v4 :: v_dual_sub_f32 v2, v23, v2
	s_delay_alu instid0(VALU_DEP_1)
	v_sub_f32_e32 v1, v22, v1
	scratch_store_b64 off, v[1:2], off offset:120
	v_cmpx_lt_u32_e32 14, v0
	s_cbranch_execz .LBB56_327
; %bb.326:
	scratch_load_b64 v[1:2], off, off offset:112
	v_mov_b32_e32 v22, v21
	scratch_store_b64 off, v[21:22], off offset:112
	s_wait_loadcnt 0x0
	ds_store_b64 v141, v[1:2]
.LBB56_327:
	s_wait_alu 0xfffe
	s_or_b32 exec_lo, exec_lo, s0
	s_wait_storecnt_dscnt 0x0
	s_barrier_signal -1
	s_barrier_wait -1
	global_inv scope:SCOPE_SE
	s_clause 0x4
	scratch_load_b128 v[5:8], off, off offset:120
	scratch_load_b128 v[1:4], off, off offset:136
	;; [unrolled: 1-line block ×5, first 2 shown]
	ds_load_2addr_b64 v[142:145], v21 offset0:73 offset1:74
	ds_load_2addr_b64 v[146:149], v21 offset0:75 offset1:76
	;; [unrolled: 1-line block ×3, first 2 shown]
	scratch_load_b64 v[139:140], off, off offset:112
	s_mov_b32 s0, exec_lo
	s_wait_loadcnt_dscnt 0x502
	v_mul_f32_e32 v22, v143, v6
	v_dual_mul_f32 v23, v142, v6 :: v_dual_mul_f32 v24, v144, v8
	v_mul_f32_e32 v6, v145, v8
	s_delay_alu instid0(VALU_DEP_3) | instskip(NEXT) | instid1(VALU_DEP_3)
	v_fma_f32 v22, v142, v5, -v22
	v_dual_fmac_f32 v23, v143, v5 :: v_dual_fmac_f32 v24, v145, v7
	s_wait_loadcnt_dscnt 0x401
	v_mul_f32_e32 v143, v146, v2
	v_fma_f32 v142, v144, v7, -v6
	ds_load_2addr_b64 v[5:8], v21 offset0:79 offset1:80
	s_wait_loadcnt_dscnt 0x301
	v_dual_mul_f32 v144, v148, v4 :: v_dual_mul_f32 v145, v150, v10
	v_dual_mul_f32 v4, v149, v4 :: v_dual_fmac_f32 v143, v147, v1
	v_mul_f32_e32 v10, v151, v10
	s_delay_alu instid0(VALU_DEP_3)
	v_dual_mul_f32 v154, v152, v12 :: v_dual_fmac_f32 v145, v151, v9
	v_mul_f32_e32 v12, v153, v12
	v_mul_f32_e32 v2, v147, v2
	v_fmac_f32_e32 v144, v149, v3
	v_fma_f32 v147, v148, v3, -v4
	v_fma_f32 v148, v150, v9, -v10
	v_fmac_f32_e32 v154, v153, v11
	v_fma_f32 v149, v152, v11, -v12
	ds_load_2addr_b64 v[9:12], v21 offset0:81 offset1:82
	s_wait_loadcnt_dscnt 0x201
	v_mul_f32_e32 v150, v5, v14
	v_dual_mul_f32 v14, v6, v14 :: v_dual_mul_f32 v151, v7, v16
	v_mul_f32_e32 v16, v8, v16
	s_delay_alu instid0(VALU_DEP_3) | instskip(NEXT) | instid1(VALU_DEP_3)
	v_fmac_f32_e32 v150, v6, v13
	v_fma_f32 v13, v5, v13, -v14
	s_delay_alu instid0(VALU_DEP_4) | instskip(NEXT) | instid1(VALU_DEP_4)
	v_fmac_f32_e32 v151, v8, v15
	v_fma_f32 v14, v7, v15, -v16
	ds_load_2addr_b64 v[5:8], v21 offset0:83 offset1:84
	s_wait_loadcnt_dscnt 0x101
	v_mul_f32_e32 v15, v9, v18
	v_mul_f32_e32 v16, v10, v18
	;; [unrolled: 1-line block ×3, first 2 shown]
	s_delay_alu instid0(VALU_DEP_3)
	v_dual_mul_f32 v20, v12, v20 :: v_dual_fmac_f32 v15, v10, v17
	v_fma_f32 v146, v146, v1, -v2
	scratch_load_b128 v[1:4], off, off offset:200
	v_fma_f32 v16, v9, v17, -v16
	v_fmac_f32_e32 v18, v12, v19
	v_fma_f32 v17, v11, v19, -v20
	scratch_load_b128 v[9:12], off, off offset:216
	s_wait_loadcnt_dscnt 0x100
	v_mul_f32_e32 v19, v5, v2
	v_mul_f32_e32 v2, v6, v2
	;; [unrolled: 1-line block ×3, first 2 shown]
	s_delay_alu instid0(VALU_DEP_3) | instskip(NEXT) | instid1(VALU_DEP_3)
	v_dual_mul_f32 v4, v8, v4 :: v_dual_fmac_f32 v19, v6, v1
	v_fma_f32 v152, v5, v1, -v2
	s_delay_alu instid0(VALU_DEP_3) | instskip(NEXT) | instid1(VALU_DEP_3)
	v_fmac_f32_e32 v20, v8, v3
	v_fma_f32 v153, v7, v3, -v4
	ds_load_2addr_b64 v[1:4], v21 offset0:85 offset1:86
	ds_load_2addr_b64 v[5:8], v21 offset0:87 offset1:88
	s_wait_loadcnt_dscnt 0x1
	v_mul_f32_e32 v155, v1, v10
	v_mul_f32_e32 v10, v2, v10
	s_delay_alu instid0(VALU_DEP_2) | instskip(NEXT) | instid1(VALU_DEP_2)
	v_dual_mul_f32 v156, v3, v12 :: v_dual_fmac_f32 v155, v2, v9
	v_fma_f32 v157, v1, v9, -v10
	v_mul_f32_e32 v1, v4, v12
	s_delay_alu instid0(VALU_DEP_3) | instskip(NEXT) | instid1(VALU_DEP_2)
	v_fmac_f32_e32 v156, v4, v11
	v_fma_f32 v158, v3, v11, -v1
	s_clause 0x1
	scratch_load_b128 v[1:4], off, off offset:232
	scratch_load_b128 v[9:12], off, off offset:248
	s_wait_loadcnt_dscnt 0x100
	v_mul_f32_e32 v159, v5, v2
	v_dual_mul_f32 v2, v6, v2 :: v_dual_mul_f32 v161, v7, v4
	s_delay_alu instid0(VALU_DEP_2) | instskip(NEXT) | instid1(VALU_DEP_2)
	v_fmac_f32_e32 v159, v6, v1
	v_fma_f32 v160, v5, v1, -v2
	v_mul_f32_e32 v1, v8, v4
	s_delay_alu instid0(VALU_DEP_4) | instskip(NEXT) | instid1(VALU_DEP_2)
	v_fmac_f32_e32 v161, v8, v3
	v_fma_f32 v162, v7, v3, -v1
	ds_load_2addr_b64 v[1:4], v21 offset0:89 offset1:90
	ds_load_2addr_b64 v[5:8], v21 offset0:91 offset1:92
	s_wait_loadcnt_dscnt 0x1
	v_mul_f32_e32 v163, v1, v10
	v_mul_f32_e32 v165, v3, v12
	s_delay_alu instid0(VALU_DEP_2) | instskip(NEXT) | instid1(VALU_DEP_2)
	v_fmac_f32_e32 v163, v2, v9
	v_dual_mul_f32 v2, v2, v10 :: v_dual_fmac_f32 v165, v4, v11
	s_delay_alu instid0(VALU_DEP_1) | instskip(SKIP_1) | instid1(VALU_DEP_1)
	v_fma_f32 v164, v1, v9, -v2
	v_mul_f32_e32 v1, v4, v12
	v_fma_f32 v166, v3, v11, -v1
	s_clause 0x1
	scratch_load_b128 v[1:4], off, off offset:264
	scratch_load_b128 v[9:12], off, off offset:280
	s_wait_loadcnt_dscnt 0x100
	v_mul_f32_e32 v167, v5, v2
	v_dual_mul_f32 v2, v6, v2 :: v_dual_mul_f32 v169, v7, v4
	s_delay_alu instid0(VALU_DEP_2) | instskip(NEXT) | instid1(VALU_DEP_2)
	v_fmac_f32_e32 v167, v6, v1
	v_fma_f32 v168, v5, v1, -v2
	v_mul_f32_e32 v1, v8, v4
	s_delay_alu instid0(VALU_DEP_4) | instskip(NEXT) | instid1(VALU_DEP_2)
	v_fmac_f32_e32 v169, v8, v3
	v_fma_f32 v170, v7, v3, -v1
	ds_load_2addr_b64 v[1:4], v21 offset0:93 offset1:94
	ds_load_2addr_b64 v[5:8], v21 offset0:95 offset1:96
	s_wait_loadcnt_dscnt 0x1
	v_mul_f32_e32 v171, v1, v10
	v_mul_f32_e32 v173, v3, v12
	s_delay_alu instid0(VALU_DEP_2) | instskip(NEXT) | instid1(VALU_DEP_2)
	v_fmac_f32_e32 v171, v2, v9
	v_dual_mul_f32 v2, v2, v10 :: v_dual_fmac_f32 v173, v4, v11
	s_delay_alu instid0(VALU_DEP_1) | instskip(SKIP_1) | instid1(VALU_DEP_1)
	v_fma_f32 v172, v1, v9, -v2
	v_mul_f32_e32 v1, v4, v12
	;; [unrolled: 25-line block ×4, first 2 shown]
	v_fma_f32 v190, v3, v11, -v1
	s_clause 0x1
	scratch_load_b128 v[1:4], off, off offset:360
	scratch_load_b128 v[9:12], off, off offset:376
	s_wait_loadcnt_dscnt 0x100
	v_mul_f32_e32 v191, v5, v2
	v_mul_f32_e32 v2, v6, v2
	s_delay_alu instid0(VALU_DEP_1) | instskip(SKIP_1) | instid1(VALU_DEP_1)
	v_fma_f32 v192, v5, v1, -v2
	v_add_f32_e32 v2, 0, v23
	v_add_f32_e32 v2, v2, v24
	s_delay_alu instid0(VALU_DEP_1) | instskip(NEXT) | instid1(VALU_DEP_1)
	v_add_f32_e32 v2, v2, v143
	v_add_f32_e32 v2, v2, v144
	s_delay_alu instid0(VALU_DEP_1) | instskip(NEXT) | instid1(VALU_DEP_1)
	;; [unrolled: 3-line block ×6, first 2 shown]
	v_add_f32_e32 v2, v2, v155
	v_add_f32_e32 v2, v2, v156
	v_fmac_f32_e32 v191, v6, v1
	s_delay_alu instid0(VALU_DEP_2) | instskip(NEXT) | instid1(VALU_DEP_1)
	v_dual_add_f32 v2, v2, v159 :: v_dual_mul_f32 v193, v7, v4
	v_dual_add_f32 v2, v2, v161 :: v_dual_mul_f32 v1, v8, v4
	s_delay_alu instid0(VALU_DEP_1) | instskip(NEXT) | instid1(VALU_DEP_2)
	v_add_f32_e32 v2, v2, v163
	v_fma_f32 v194, v7, v3, -v1
	v_add_f32_e32 v1, 0, v22
	s_delay_alu instid0(VALU_DEP_3) | instskip(NEXT) | instid1(VALU_DEP_2)
	v_add_f32_e32 v5, v2, v165
	v_add_f32_e32 v1, v1, v142
	s_delay_alu instid0(VALU_DEP_1) | instskip(NEXT) | instid1(VALU_DEP_1)
	v_add_f32_e32 v1, v1, v146
	v_add_f32_e32 v1, v1, v147
	s_delay_alu instid0(VALU_DEP_1) | instskip(NEXT) | instid1(VALU_DEP_1)
	v_add_f32_e32 v1, v1, v148
	v_add_f32_e32 v1, v1, v149
	s_delay_alu instid0(VALU_DEP_1) | instskip(SKIP_1) | instid1(VALU_DEP_2)
	v_add_f32_e32 v1, v1, v13
	v_add_f32_e32 v13, v5, v167
	;; [unrolled: 1-line block ×3, first 2 shown]
	s_delay_alu instid0(VALU_DEP_2) | instskip(NEXT) | instid1(VALU_DEP_2)
	v_add_f32_e32 v13, v13, v169
	v_add_f32_e32 v1, v1, v16
	s_delay_alu instid0(VALU_DEP_1) | instskip(NEXT) | instid1(VALU_DEP_1)
	v_add_f32_e32 v1, v1, v17
	v_add_f32_e32 v1, v1, v152
	s_delay_alu instid0(VALU_DEP_1) | instskip(NEXT) | instid1(VALU_DEP_1)
	;; [unrolled: 3-line block ×5, first 2 shown]
	v_add_f32_e32 v1, v1, v166
	v_dual_add_f32 v6, v1, v168 :: v_dual_fmac_f32 v193, v8, v3
	ds_load_2addr_b64 v[1:4], v21 offset0:105 offset1:106
	v_dual_add_f32 v13, v13, v171 :: v_dual_add_f32 v14, v6, v170
	scratch_load_b128 v[5:8], off, off offset:392
	v_add_f32_e32 v18, v13, v173
	v_add_f32_e32 v14, v14, v172
	s_delay_alu instid0(VALU_DEP_1)
	v_add_f32_e32 v17, v14, v174
	ds_load_2addr_b64 v[13:16], v21 offset0:107 offset1:108
	s_wait_loadcnt_dscnt 0x101
	v_mul_f32_e32 v142, v1, v10
	v_dual_mul_f32 v10, v2, v10 :: v_dual_mul_f32 v143, v3, v12
	v_mul_f32_e32 v12, v4, v12
	v_add_f32_e32 v18, v18, v175
	s_delay_alu instid0(VALU_DEP_4) | instskip(NEXT) | instid1(VALU_DEP_4)
	v_fmac_f32_e32 v142, v2, v9
	v_fma_f32 v144, v1, v9, -v10
	v_fmac_f32_e32 v143, v4, v11
	v_fma_f32 v145, v3, v11, -v12
	s_clause 0x1
	scratch_load_b128 v[1:4], off, off offset:408
	scratch_load_b128 v[9:12], off, off offset:424
	v_add_f32_e32 v18, v18, v177
	s_delay_alu instid0(VALU_DEP_1) | instskip(NEXT) | instid1(VALU_DEP_1)
	v_add_f32_e32 v22, v18, v179
	v_add_f32_e32 v22, v22, v181
	s_wait_loadcnt_dscnt 0x200
	v_mul_f32_e32 v146, v13, v6
	v_dual_mul_f32 v6, v14, v6 :: v_dual_mul_f32 v147, v15, v8
	v_mul_f32_e32 v8, v16, v8
	v_add_f32_e32 v22, v22, v183
	s_delay_alu instid0(VALU_DEP_4) | instskip(NEXT) | instid1(VALU_DEP_4)
	v_fmac_f32_e32 v146, v14, v5
	v_fma_f32 v148, v13, v5, -v6
	v_fmac_f32_e32 v147, v16, v7
	v_fma_f32 v149, v15, v7, -v8
	ds_load_2addr_b64 v[5:8], v21 offset0:109 offset1:110
	v_add_f32_e32 v17, v17, v176
	v_add_f32_e32 v13, v22, v185
	s_delay_alu instid0(VALU_DEP_2) | instskip(NEXT) | instid1(VALU_DEP_1)
	v_add_f32_e32 v17, v17, v178
	v_add_f32_e32 v17, v17, v180
	s_delay_alu instid0(VALU_DEP_1) | instskip(SKIP_2) | instid1(VALU_DEP_1)
	v_add_f32_e32 v23, v17, v182
	scratch_load_b128 v[17:20], off, off offset:440
	v_add_f32_e32 v23, v23, v184
	v_add_f32_e32 v23, v23, v186
	s_delay_alu instid0(VALU_DEP_1)
	v_dual_add_f32 v22, v23, v188 :: v_dual_add_f32 v23, v13, v187
	ds_load_2addr_b64 v[13:16], v21 offset0:111 offset1:112
	s_wait_loadcnt_dscnt 0x201
	v_mul_f32_e32 v152, v5, v2
	v_mul_f32_e32 v2, v6, v2
	v_dual_add_f32 v150, v22, v190 :: v_dual_add_f32 v151, v23, v189
	ds_load_2addr_b64 v[21:24], v21 offset0:113 offset1:114
	v_fmac_f32_e32 v152, v6, v1
	v_fma_f32 v2, v5, v1, -v2
	v_dual_add_f32 v150, v150, v192 :: v_dual_add_f32 v151, v151, v191
	s_delay_alu instid0(VALU_DEP_1) | instskip(NEXT) | instid1(VALU_DEP_1)
	v_dual_add_f32 v150, v150, v194 :: v_dual_add_f32 v151, v151, v193
	v_add_f32_e32 v144, v150, v144
	s_delay_alu instid0(VALU_DEP_2)
	v_add_f32_e32 v142, v151, v142
	s_wait_loadcnt_dscnt 0x101
	v_mul_f32_e32 v6, v14, v10
	v_mul_f32_e32 v150, v7, v4
	;; [unrolled: 1-line block ×3, first 2 shown]
	v_add_f32_e32 v144, v144, v145
	v_dual_add_f32 v142, v142, v143 :: v_dual_mul_f32 v151, v13, v10
	s_delay_alu instid0(VALU_DEP_4) | instskip(NEXT) | instid1(VALU_DEP_4)
	v_fmac_f32_e32 v150, v8, v3
	v_fma_f32 v3, v7, v3, -v4
	s_delay_alu instid0(VALU_DEP_4) | instskip(NEXT) | instid1(VALU_DEP_4)
	v_add_f32_e32 v144, v144, v148
	v_dual_add_f32 v142, v142, v146 :: v_dual_mul_f32 v153, v15, v12
	v_dual_mul_f32 v4, v16, v12 :: v_dual_fmac_f32 v151, v14, v9
	s_delay_alu instid0(VALU_DEP_3) | instskip(NEXT) | instid1(VALU_DEP_3)
	v_add_f32_e32 v1, v144, v149
	v_add_f32_e32 v5, v142, v147
	s_delay_alu instid0(VALU_DEP_4) | instskip(NEXT) | instid1(VALU_DEP_4)
	v_fmac_f32_e32 v153, v16, v11
	v_fma_f32 v4, v15, v11, -v4
	s_delay_alu instid0(VALU_DEP_4) | instskip(NEXT) | instid1(VALU_DEP_4)
	v_add_f32_e32 v1, v1, v2
	v_add_f32_e32 v2, v5, v152
	v_fma_f32 v5, v13, v9, -v6
	s_delay_alu instid0(VALU_DEP_2) | instskip(NEXT) | instid1(VALU_DEP_1)
	v_dual_add_f32 v1, v1, v3 :: v_dual_add_f32 v2, v2, v150
	v_dual_add_f32 v1, v1, v5 :: v_dual_add_f32 v2, v2, v151
	s_delay_alu instid0(VALU_DEP_1)
	v_dual_add_f32 v1, v1, v4 :: v_dual_add_f32 v2, v2, v153
	s_wait_loadcnt_dscnt 0x0
	v_mul_f32_e32 v143, v21, v18
	v_mul_f32_e32 v3, v22, v18
	;; [unrolled: 1-line block ×4, first 2 shown]
	s_delay_alu instid0(VALU_DEP_4) | instskip(NEXT) | instid1(VALU_DEP_4)
	v_fmac_f32_e32 v143, v22, v17
	v_fma_f32 v3, v21, v17, -v3
	s_delay_alu instid0(VALU_DEP_4) | instskip(NEXT) | instid1(VALU_DEP_4)
	v_fmac_f32_e32 v145, v24, v19
	v_fma_f32 v4, v23, v19, -v5
	s_delay_alu instid0(VALU_DEP_4) | instskip(NEXT) | instid1(VALU_DEP_1)
	v_add_f32_e32 v2, v2, v143
	v_dual_add_f32 v1, v1, v3 :: v_dual_add_f32 v2, v2, v145
	s_delay_alu instid0(VALU_DEP_1) | instskip(NEXT) | instid1(VALU_DEP_1)
	v_dual_add_f32 v1, v1, v4 :: v_dual_sub_f32 v2, v140, v2
	v_sub_f32_e32 v1, v139, v1
	scratch_store_b64 off, v[1:2], off offset:112
	v_cmpx_lt_u32_e32 13, v0
	s_cbranch_execz .LBB56_329
; %bb.328:
	scratch_load_b64 v[1:2], off, off offset:104
	v_mov_b32_e32 v3, 0
	s_delay_alu instid0(VALU_DEP_1)
	v_mov_b32_e32 v4, v3
	scratch_store_b64 off, v[3:4], off offset:104
	s_wait_loadcnt 0x0
	ds_store_b64 v141, v[1:2]
.LBB56_329:
	s_wait_alu 0xfffe
	s_or_b32 exec_lo, exec_lo, s0
	s_wait_storecnt_dscnt 0x0
	s_barrier_signal -1
	s_barrier_wait -1
	global_inv scope:SCOPE_SE
	s_clause 0x4
	scratch_load_b128 v[5:8], off, off offset:112
	scratch_load_b128 v[1:4], off, off offset:128
	;; [unrolled: 1-line block ×5, first 2 shown]
	v_mov_b32_e32 v21, 0
	ds_load_b128 v[142:145], v21 offset:576
	ds_load_b128 v[146:149], v21 offset:592
	;; [unrolled: 1-line block ×3, first 2 shown]
	scratch_load_b64 v[22:23], off, off offset:104
	s_mov_b32 s0, exec_lo
	s_wait_loadcnt_dscnt 0x502
	v_mul_f32_e32 v24, v143, v6
	v_dual_mul_f32 v139, v142, v6 :: v_dual_mul_f32 v140, v144, v8
	v_mul_f32_e32 v6, v145, v8
	s_delay_alu instid0(VALU_DEP_3) | instskip(NEXT) | instid1(VALU_DEP_3)
	v_fma_f32 v24, v142, v5, -v24
	v_dual_fmac_f32 v139, v143, v5 :: v_dual_fmac_f32 v140, v145, v7
	s_wait_loadcnt_dscnt 0x401
	v_mul_f32_e32 v143, v146, v2
	v_fma_f32 v142, v144, v7, -v6
	ds_load_b128 v[5:8], v21 offset:624
	s_wait_loadcnt_dscnt 0x301
	v_dual_mul_f32 v144, v148, v4 :: v_dual_mul_f32 v145, v150, v10
	v_dual_mul_f32 v4, v149, v4 :: v_dual_fmac_f32 v143, v147, v1
	v_mul_f32_e32 v10, v151, v10
	s_delay_alu instid0(VALU_DEP_3)
	v_dual_mul_f32 v154, v152, v12 :: v_dual_fmac_f32 v145, v151, v9
	v_mul_f32_e32 v12, v153, v12
	v_mul_f32_e32 v2, v147, v2
	v_fmac_f32_e32 v144, v149, v3
	v_fma_f32 v147, v148, v3, -v4
	v_fma_f32 v148, v150, v9, -v10
	v_fmac_f32_e32 v154, v153, v11
	v_fma_f32 v149, v152, v11, -v12
	ds_load_b128 v[9:12], v21 offset:640
	s_wait_loadcnt_dscnt 0x201
	v_dual_mul_f32 v151, v7, v16 :: v_dual_mul_f32 v150, v5, v14
	v_mul_f32_e32 v14, v6, v14
	v_mul_f32_e32 v16, v8, v16
	s_delay_alu instid0(VALU_DEP_3)
	v_fmac_f32_e32 v151, v8, v15
	v_fma_f32 v146, v146, v1, -v2
	scratch_load_b128 v[1:4], off, off offset:192
	v_fmac_f32_e32 v150, v6, v13
	v_fma_f32 v13, v5, v13, -v14
	v_fma_f32 v14, v7, v15, -v16
	ds_load_b128 v[5:8], v21 offset:656
	s_wait_loadcnt_dscnt 0x201
	v_mul_f32_e32 v15, v9, v18
	v_mul_f32_e32 v16, v10, v18
	;; [unrolled: 1-line block ×3, first 2 shown]
	s_delay_alu instid0(VALU_DEP_3) | instskip(NEXT) | instid1(VALU_DEP_3)
	v_dual_mul_f32 v20, v12, v20 :: v_dual_fmac_f32 v15, v10, v17
	v_fma_f32 v16, v9, v17, -v16
	s_delay_alu instid0(VALU_DEP_3) | instskip(NEXT) | instid1(VALU_DEP_3)
	v_fmac_f32_e32 v18, v12, v19
	v_fma_f32 v17, v11, v19, -v20
	scratch_load_b128 v[9:12], off, off offset:208
	s_wait_loadcnt_dscnt 0x100
	v_mul_f32_e32 v19, v5, v2
	v_mul_f32_e32 v2, v6, v2
	v_mul_f32_e32 v20, v7, v4
	s_delay_alu instid0(VALU_DEP_3) | instskip(NEXT) | instid1(VALU_DEP_3)
	v_dual_mul_f32 v4, v8, v4 :: v_dual_fmac_f32 v19, v6, v1
	v_fma_f32 v152, v5, v1, -v2
	s_delay_alu instid0(VALU_DEP_3) | instskip(NEXT) | instid1(VALU_DEP_3)
	v_fmac_f32_e32 v20, v8, v3
	v_fma_f32 v153, v7, v3, -v4
	ds_load_b128 v[1:4], v21 offset:672
	ds_load_b128 v[5:8], v21 offset:688
	s_wait_loadcnt_dscnt 0x1
	v_mul_f32_e32 v155, v1, v10
	v_mul_f32_e32 v10, v2, v10
	s_delay_alu instid0(VALU_DEP_2) | instskip(NEXT) | instid1(VALU_DEP_2)
	v_dual_mul_f32 v156, v3, v12 :: v_dual_fmac_f32 v155, v2, v9
	v_fma_f32 v157, v1, v9, -v10
	v_mul_f32_e32 v1, v4, v12
	s_delay_alu instid0(VALU_DEP_3) | instskip(NEXT) | instid1(VALU_DEP_2)
	v_fmac_f32_e32 v156, v4, v11
	v_fma_f32 v158, v3, v11, -v1
	s_clause 0x1
	scratch_load_b128 v[1:4], off, off offset:224
	scratch_load_b128 v[9:12], off, off offset:240
	s_wait_loadcnt_dscnt 0x100
	v_mul_f32_e32 v159, v5, v2
	v_dual_mul_f32 v2, v6, v2 :: v_dual_mul_f32 v161, v7, v4
	s_delay_alu instid0(VALU_DEP_2) | instskip(NEXT) | instid1(VALU_DEP_2)
	v_fmac_f32_e32 v159, v6, v1
	v_fma_f32 v160, v5, v1, -v2
	v_mul_f32_e32 v1, v8, v4
	s_delay_alu instid0(VALU_DEP_4) | instskip(NEXT) | instid1(VALU_DEP_2)
	v_fmac_f32_e32 v161, v8, v3
	v_fma_f32 v162, v7, v3, -v1
	ds_load_b128 v[1:4], v21 offset:704
	ds_load_b128 v[5:8], v21 offset:720
	s_wait_loadcnt_dscnt 0x1
	v_mul_f32_e32 v163, v1, v10
	v_mul_f32_e32 v165, v3, v12
	s_delay_alu instid0(VALU_DEP_2) | instskip(NEXT) | instid1(VALU_DEP_2)
	v_fmac_f32_e32 v163, v2, v9
	v_dual_mul_f32 v2, v2, v10 :: v_dual_fmac_f32 v165, v4, v11
	s_delay_alu instid0(VALU_DEP_1) | instskip(SKIP_1) | instid1(VALU_DEP_1)
	v_fma_f32 v164, v1, v9, -v2
	v_mul_f32_e32 v1, v4, v12
	v_fma_f32 v166, v3, v11, -v1
	s_clause 0x1
	scratch_load_b128 v[1:4], off, off offset:256
	scratch_load_b128 v[9:12], off, off offset:272
	s_wait_loadcnt_dscnt 0x100
	v_mul_f32_e32 v167, v5, v2
	v_dual_mul_f32 v169, v7, v4 :: v_dual_mul_f32 v2, v6, v2
	s_delay_alu instid0(VALU_DEP_2) | instskip(NEXT) | instid1(VALU_DEP_2)
	v_fmac_f32_e32 v167, v6, v1
	v_fmac_f32_e32 v169, v8, v3
	s_delay_alu instid0(VALU_DEP_3) | instskip(SKIP_1) | instid1(VALU_DEP_1)
	v_fma_f32 v168, v5, v1, -v2
	v_mul_f32_e32 v1, v8, v4
	v_fma_f32 v170, v7, v3, -v1
	ds_load_b128 v[1:4], v21 offset:736
	ds_load_b128 v[5:8], v21 offset:752
	s_wait_loadcnt_dscnt 0x1
	v_mul_f32_e32 v171, v1, v10
	v_mul_f32_e32 v173, v3, v12
	s_delay_alu instid0(VALU_DEP_2) | instskip(NEXT) | instid1(VALU_DEP_2)
	v_fmac_f32_e32 v171, v2, v9
	v_dual_mul_f32 v2, v2, v10 :: v_dual_fmac_f32 v173, v4, v11
	s_delay_alu instid0(VALU_DEP_1) | instskip(SKIP_1) | instid1(VALU_DEP_1)
	v_fma_f32 v172, v1, v9, -v2
	v_mul_f32_e32 v1, v4, v12
	v_fma_f32 v174, v3, v11, -v1
	s_clause 0x1
	scratch_load_b128 v[1:4], off, off offset:288
	scratch_load_b128 v[9:12], off, off offset:304
	s_wait_loadcnt_dscnt 0x100
	v_mul_f32_e32 v175, v5, v2
	v_dual_mul_f32 v2, v6, v2 :: v_dual_mul_f32 v177, v7, v4
	s_delay_alu instid0(VALU_DEP_2) | instskip(NEXT) | instid1(VALU_DEP_2)
	v_fmac_f32_e32 v175, v6, v1
	v_fma_f32 v176, v5, v1, -v2
	v_mul_f32_e32 v1, v8, v4
	s_delay_alu instid0(VALU_DEP_4) | instskip(NEXT) | instid1(VALU_DEP_2)
	v_fmac_f32_e32 v177, v8, v3
	v_fma_f32 v178, v7, v3, -v1
	ds_load_b128 v[1:4], v21 offset:768
	ds_load_b128 v[5:8], v21 offset:784
	s_wait_loadcnt_dscnt 0x1
	v_mul_f32_e32 v179, v1, v10
	v_mul_f32_e32 v181, v3, v12
	s_delay_alu instid0(VALU_DEP_2) | instskip(NEXT) | instid1(VALU_DEP_2)
	v_fmac_f32_e32 v179, v2, v9
	v_dual_mul_f32 v2, v2, v10 :: v_dual_fmac_f32 v181, v4, v11
	s_delay_alu instid0(VALU_DEP_1) | instskip(SKIP_1) | instid1(VALU_DEP_1)
	v_fma_f32 v180, v1, v9, -v2
	v_mul_f32_e32 v1, v4, v12
	v_fma_f32 v182, v3, v11, -v1
	s_clause 0x1
	scratch_load_b128 v[1:4], off, off offset:320
	scratch_load_b128 v[9:12], off, off offset:336
	s_wait_loadcnt_dscnt 0x100
	v_mul_f32_e32 v183, v5, v2
	v_dual_mul_f32 v2, v6, v2 :: v_dual_mul_f32 v185, v7, v4
	s_delay_alu instid0(VALU_DEP_2) | instskip(NEXT) | instid1(VALU_DEP_2)
	v_fmac_f32_e32 v183, v6, v1
	v_fma_f32 v184, v5, v1, -v2
	v_mul_f32_e32 v1, v8, v4
	s_delay_alu instid0(VALU_DEP_4) | instskip(NEXT) | instid1(VALU_DEP_2)
	v_fmac_f32_e32 v185, v8, v3
	v_fma_f32 v186, v7, v3, -v1
	ds_load_b128 v[1:4], v21 offset:800
	ds_load_b128 v[5:8], v21 offset:816
	s_wait_loadcnt_dscnt 0x1
	v_mul_f32_e32 v187, v1, v10
	v_mul_f32_e32 v189, v3, v12
	s_delay_alu instid0(VALU_DEP_2) | instskip(NEXT) | instid1(VALU_DEP_2)
	v_fmac_f32_e32 v187, v2, v9
	v_dual_mul_f32 v2, v2, v10 :: v_dual_fmac_f32 v189, v4, v11
	s_delay_alu instid0(VALU_DEP_1) | instskip(SKIP_1) | instid1(VALU_DEP_1)
	v_fma_f32 v188, v1, v9, -v2
	v_mul_f32_e32 v1, v4, v12
	v_fma_f32 v190, v3, v11, -v1
	s_clause 0x1
	scratch_load_b128 v[1:4], off, off offset:352
	scratch_load_b128 v[9:12], off, off offset:368
	s_wait_loadcnt_dscnt 0x100
	v_mul_f32_e32 v191, v5, v2
	v_mul_f32_e32 v2, v6, v2
	s_delay_alu instid0(VALU_DEP_1) | instskip(SKIP_1) | instid1(VALU_DEP_1)
	v_fma_f32 v192, v5, v1, -v2
	v_add_f32_e32 v2, 0, v139
	v_add_f32_e32 v2, v2, v140
	s_delay_alu instid0(VALU_DEP_1) | instskip(NEXT) | instid1(VALU_DEP_1)
	v_add_f32_e32 v2, v2, v143
	v_add_f32_e32 v2, v2, v144
	s_delay_alu instid0(VALU_DEP_1) | instskip(NEXT) | instid1(VALU_DEP_1)
	;; [unrolled: 3-line block ×7, first 2 shown]
	v_add_f32_e32 v2, v2, v159
	v_add_f32_e32 v2, v2, v161
	v_fmac_f32_e32 v191, v6, v1
	v_mul_f32_e32 v1, v8, v4
	s_delay_alu instid0(VALU_DEP_3) | instskip(NEXT) | instid1(VALU_DEP_2)
	v_dual_mul_f32 v193, v7, v4 :: v_dual_add_f32 v2, v2, v163
	v_fma_f32 v194, v7, v3, -v1
	v_add_f32_e32 v1, 0, v24
	s_delay_alu instid0(VALU_DEP_3) | instskip(NEXT) | instid1(VALU_DEP_2)
	v_add_f32_e32 v5, v2, v165
	v_add_f32_e32 v1, v1, v142
	s_delay_alu instid0(VALU_DEP_1) | instskip(NEXT) | instid1(VALU_DEP_1)
	v_add_f32_e32 v1, v1, v146
	v_add_f32_e32 v1, v1, v147
	s_delay_alu instid0(VALU_DEP_1) | instskip(NEXT) | instid1(VALU_DEP_1)
	v_add_f32_e32 v1, v1, v148
	v_add_f32_e32 v1, v1, v149
	s_delay_alu instid0(VALU_DEP_1) | instskip(SKIP_1) | instid1(VALU_DEP_2)
	v_add_f32_e32 v1, v1, v13
	v_add_f32_e32 v13, v5, v167
	;; [unrolled: 1-line block ×3, first 2 shown]
	s_delay_alu instid0(VALU_DEP_2) | instskip(NEXT) | instid1(VALU_DEP_2)
	v_add_f32_e32 v13, v13, v169
	v_add_f32_e32 v1, v1, v16
	s_delay_alu instid0(VALU_DEP_1) | instskip(NEXT) | instid1(VALU_DEP_1)
	v_add_f32_e32 v1, v1, v17
	v_add_f32_e32 v1, v1, v152
	s_delay_alu instid0(VALU_DEP_1) | instskip(NEXT) | instid1(VALU_DEP_1)
	;; [unrolled: 3-line block ×5, first 2 shown]
	v_add_f32_e32 v1, v1, v166
	v_dual_add_f32 v6, v1, v168 :: v_dual_fmac_f32 v193, v8, v3
	scratch_load_b128 v[1:4], off, off offset:384
	v_dual_add_f32 v13, v13, v171 :: v_dual_add_f32 v14, v6, v170
	ds_load_b128 v[5:8], v21 offset:832
	v_add_f32_e32 v18, v13, v173
	v_add_f32_e32 v14, v14, v172
	s_delay_alu instid0(VALU_DEP_1)
	v_add_f32_e32 v17, v14, v174
	ds_load_b128 v[13:16], v21 offset:848
	s_wait_loadcnt_dscnt 0x101
	v_mul_f32_e32 v24, v5, v10
	v_add_f32_e32 v18, v18, v175
	v_mul_f32_e32 v10, v6, v10
	v_mul_f32_e32 v148, v7, v12
	;; [unrolled: 1-line block ×3, first 2 shown]
	v_fmac_f32_e32 v24, v6, v9
	v_add_f32_e32 v18, v18, v177
	v_fma_f32 v149, v5, v9, -v10
	v_fmac_f32_e32 v148, v8, v11
	v_fma_f32 v150, v7, v11, -v12
	scratch_load_b128 v[9:12], off, off offset:416
	v_add_f32_e32 v139, v18, v179
	scratch_load_b128 v[5:8], off, off offset:400
	v_add_f32_e32 v142, v139, v181
	s_delay_alu instid0(VALU_DEP_1) | instskip(SKIP_1) | instid1(VALU_DEP_1)
	v_add_f32_e32 v142, v142, v183
	s_wait_loadcnt_dscnt 0x200
	v_dual_add_f32 v142, v142, v185 :: v_dual_mul_f32 v151, v13, v2
	v_mul_f32_e32 v2, v14, v2
	v_mul_f32_e32 v152, v15, v4
	s_delay_alu instid0(VALU_DEP_3) | instskip(NEXT) | instid1(VALU_DEP_3)
	v_dual_mul_f32 v4, v16, v4 :: v_dual_fmac_f32 v151, v14, v1
	v_fma_f32 v153, v13, v1, -v2
	v_add_f32_e32 v13, v142, v187
	s_delay_alu instid0(VALU_DEP_4) | instskip(NEXT) | instid1(VALU_DEP_4)
	v_fmac_f32_e32 v152, v16, v3
	v_fma_f32 v154, v15, v3, -v4
	ds_load_b128 v[1:4], v21 offset:864
	v_add_f32_e32 v142, v13, v189
	v_add_f32_e32 v17, v17, v176
	s_delay_alu instid0(VALU_DEP_1) | instskip(NEXT) | instid1(VALU_DEP_1)
	v_add_f32_e32 v17, v17, v178
	v_add_f32_e32 v17, v17, v180
	s_delay_alu instid0(VALU_DEP_1)
	v_add_f32_e32 v140, v17, v182
	scratch_load_b128 v[17:20], off, off offset:432
	v_add_f32_e32 v147, v142, v191
	v_add_f32_e32 v143, v140, v184
	scratch_load_b64 v[139:140], off, off offset:448
	v_add_f32_e32 v156, v147, v193
	s_delay_alu instid0(VALU_DEP_1) | instskip(NEXT) | instid1(VALU_DEP_1)
	v_dual_add_f32 v143, v143, v186 :: v_dual_add_f32 v24, v156, v24
	v_add_f32_e32 v143, v143, v188
	s_delay_alu instid0(VALU_DEP_2) | instskip(NEXT) | instid1(VALU_DEP_2)
	v_add_f32_e32 v24, v24, v148
	v_add_f32_e32 v14, v143, v190
	ds_load_b128 v[142:145], v21 offset:896
	v_add_f32_e32 v24, v24, v151
	v_add_f32_e32 v146, v14, v192
	ds_load_b128 v[13:16], v21 offset:880
	v_add_f32_e32 v24, v24, v152
	s_wait_loadcnt_dscnt 0x202
	v_mul_f32_e32 v148, v3, v8
	v_dual_mul_f32 v8, v4, v8 :: v_dual_add_f32 v155, v146, v194
	ds_load_b64 v[146:147], v21 offset:912
	s_wait_dscnt 0x1
	v_dual_fmac_f32 v148, v4, v7 :: v_dual_mul_f32 v151, v15, v12
	s_delay_alu instid0(VALU_DEP_1) | instskip(SKIP_2) | instid1(VALU_DEP_1)
	v_fmac_f32_e32 v151, v16, v11
	s_wait_loadcnt_dscnt 0x0
	v_dual_add_f32 v149, v155, v149 :: v_dual_mul_f32 v152, v146, v140
	v_add_f32_e32 v149, v149, v150
	v_mul_f32_e32 v150, v13, v10
	s_delay_alu instid0(VALU_DEP_2) | instskip(SKIP_1) | instid1(VALU_DEP_2)
	v_dual_fmac_f32 v152, v147, v139 :: v_dual_add_f32 v149, v149, v153
	v_mul_f32_e32 v153, v142, v18
	v_dual_fmac_f32 v150, v14, v9 :: v_dual_add_f32 v149, v149, v154
	s_delay_alu instid0(VALU_DEP_2) | instskip(SKIP_2) | instid1(VALU_DEP_2)
	v_fmac_f32_e32 v153, v143, v17
	v_mul_f32_e32 v155, v1, v6
	v_mul_f32_e32 v6, v2, v6
	v_dual_mul_f32 v154, v144, v20 :: v_dual_fmac_f32 v155, v2, v5
	s_delay_alu instid0(VALU_DEP_2) | instskip(SKIP_3) | instid1(VALU_DEP_4)
	v_fma_f32 v1, v1, v5, -v6
	v_fma_f32 v2, v3, v7, -v8
	v_mul_f32_e32 v3, v14, v10
	v_mul_f32_e32 v5, v16, v12
	v_dual_add_f32 v4, v24, v155 :: v_dual_add_f32 v1, v149, v1
	v_fmac_f32_e32 v154, v145, v19
	s_delay_alu instid0(VALU_DEP_4) | instskip(NEXT) | instid1(VALU_DEP_4)
	v_fma_f32 v3, v13, v9, -v3
	v_fma_f32 v5, v15, v11, -v5
	s_delay_alu instid0(VALU_DEP_4) | instskip(NEXT) | instid1(VALU_DEP_1)
	v_dual_add_f32 v1, v1, v2 :: v_dual_add_f32 v2, v4, v148
	v_dual_mul_f32 v4, v143, v18 :: v_dual_add_f32 v1, v1, v3
	s_delay_alu instid0(VALU_DEP_2) | instskip(NEXT) | instid1(VALU_DEP_2)
	v_dual_add_f32 v2, v2, v150 :: v_dual_mul_f32 v3, v145, v20
	v_fma_f32 v4, v142, v17, -v4
	s_delay_alu instid0(VALU_DEP_2) | instskip(SKIP_1) | instid1(VALU_DEP_4)
	v_dual_add_f32 v1, v1, v5 :: v_dual_add_f32 v2, v2, v151
	v_mul_f32_e32 v5, v147, v140
	v_fma_f32 v3, v144, v19, -v3
	s_delay_alu instid0(VALU_DEP_3) | instskip(NEXT) | instid1(VALU_DEP_3)
	v_dual_add_f32 v1, v1, v4 :: v_dual_add_f32 v2, v2, v153
	v_fma_f32 v4, v146, v139, -v5
	s_delay_alu instid0(VALU_DEP_2) | instskip(NEXT) | instid1(VALU_DEP_1)
	v_dual_add_f32 v1, v1, v3 :: v_dual_add_f32 v2, v2, v154
	v_add_f32_e32 v1, v1, v4
	s_delay_alu instid0(VALU_DEP_2) | instskip(NEXT) | instid1(VALU_DEP_1)
	v_add_f32_e32 v2, v2, v152
	v_dual_sub_f32 v1, v22, v1 :: v_dual_sub_f32 v2, v23, v2
	scratch_store_b64 off, v[1:2], off offset:104
	v_cmpx_lt_u32_e32 12, v0
	s_cbranch_execz .LBB56_331
; %bb.330:
	scratch_load_b64 v[1:2], off, off offset:96
	v_mov_b32_e32 v22, v21
	scratch_store_b64 off, v[21:22], off offset:96
	s_wait_loadcnt 0x0
	ds_store_b64 v141, v[1:2]
.LBB56_331:
	s_wait_alu 0xfffe
	s_or_b32 exec_lo, exec_lo, s0
	s_wait_storecnt_dscnt 0x0
	s_barrier_signal -1
	s_barrier_wait -1
	global_inv scope:SCOPE_SE
	s_clause 0x4
	scratch_load_b128 v[5:8], off, off offset:104
	scratch_load_b128 v[1:4], off, off offset:120
	;; [unrolled: 1-line block ×5, first 2 shown]
	ds_load_2addr_b64 v[142:145], v21 offset0:71 offset1:72
	ds_load_2addr_b64 v[146:149], v21 offset0:73 offset1:74
	;; [unrolled: 1-line block ×3, first 2 shown]
	scratch_load_b64 v[139:140], off, off offset:96
	s_mov_b32 s0, exec_lo
	s_wait_loadcnt_dscnt 0x502
	v_mul_f32_e32 v22, v143, v6
	v_dual_mul_f32 v23, v142, v6 :: v_dual_mul_f32 v24, v144, v8
	v_mul_f32_e32 v6, v145, v8
	s_delay_alu instid0(VALU_DEP_3) | instskip(NEXT) | instid1(VALU_DEP_3)
	v_fma_f32 v22, v142, v5, -v22
	v_dual_fmac_f32 v23, v143, v5 :: v_dual_fmac_f32 v24, v145, v7
	s_wait_loadcnt_dscnt 0x401
	v_mul_f32_e32 v143, v146, v2
	v_fma_f32 v142, v144, v7, -v6
	ds_load_2addr_b64 v[5:8], v21 offset0:77 offset1:78
	s_wait_loadcnt_dscnt 0x301
	v_dual_mul_f32 v144, v148, v4 :: v_dual_mul_f32 v145, v150, v10
	v_dual_mul_f32 v4, v149, v4 :: v_dual_fmac_f32 v143, v147, v1
	v_mul_f32_e32 v10, v151, v10
	s_delay_alu instid0(VALU_DEP_3)
	v_dual_mul_f32 v154, v152, v12 :: v_dual_fmac_f32 v145, v151, v9
	v_mul_f32_e32 v12, v153, v12
	v_mul_f32_e32 v2, v147, v2
	v_fmac_f32_e32 v144, v149, v3
	v_fma_f32 v147, v148, v3, -v4
	v_fma_f32 v148, v150, v9, -v10
	v_fmac_f32_e32 v154, v153, v11
	v_fma_f32 v149, v152, v11, -v12
	ds_load_2addr_b64 v[9:12], v21 offset0:79 offset1:80
	s_wait_loadcnt_dscnt 0x201
	v_mul_f32_e32 v150, v5, v14
	v_dual_mul_f32 v14, v6, v14 :: v_dual_mul_f32 v151, v7, v16
	v_mul_f32_e32 v16, v8, v16
	s_delay_alu instid0(VALU_DEP_3) | instskip(NEXT) | instid1(VALU_DEP_3)
	v_fmac_f32_e32 v150, v6, v13
	v_fma_f32 v13, v5, v13, -v14
	s_delay_alu instid0(VALU_DEP_4) | instskip(NEXT) | instid1(VALU_DEP_4)
	v_fmac_f32_e32 v151, v8, v15
	v_fma_f32 v14, v7, v15, -v16
	ds_load_2addr_b64 v[5:8], v21 offset0:81 offset1:82
	s_wait_loadcnt_dscnt 0x101
	v_mul_f32_e32 v15, v9, v18
	v_mul_f32_e32 v16, v10, v18
	;; [unrolled: 1-line block ×3, first 2 shown]
	s_delay_alu instid0(VALU_DEP_3)
	v_dual_mul_f32 v20, v12, v20 :: v_dual_fmac_f32 v15, v10, v17
	v_fma_f32 v146, v146, v1, -v2
	scratch_load_b128 v[1:4], off, off offset:184
	v_fma_f32 v16, v9, v17, -v16
	v_fmac_f32_e32 v18, v12, v19
	v_fma_f32 v17, v11, v19, -v20
	scratch_load_b128 v[9:12], off, off offset:200
	s_wait_loadcnt_dscnt 0x100
	v_mul_f32_e32 v19, v5, v2
	v_mul_f32_e32 v2, v6, v2
	;; [unrolled: 1-line block ×3, first 2 shown]
	s_delay_alu instid0(VALU_DEP_3) | instskip(NEXT) | instid1(VALU_DEP_3)
	v_dual_mul_f32 v4, v8, v4 :: v_dual_fmac_f32 v19, v6, v1
	v_fma_f32 v152, v5, v1, -v2
	s_delay_alu instid0(VALU_DEP_3) | instskip(NEXT) | instid1(VALU_DEP_3)
	v_fmac_f32_e32 v20, v8, v3
	v_fma_f32 v153, v7, v3, -v4
	ds_load_2addr_b64 v[1:4], v21 offset0:83 offset1:84
	ds_load_2addr_b64 v[5:8], v21 offset0:85 offset1:86
	s_wait_loadcnt_dscnt 0x1
	v_mul_f32_e32 v155, v1, v10
	v_mul_f32_e32 v10, v2, v10
	s_delay_alu instid0(VALU_DEP_2) | instskip(NEXT) | instid1(VALU_DEP_2)
	v_dual_mul_f32 v156, v3, v12 :: v_dual_fmac_f32 v155, v2, v9
	v_fma_f32 v157, v1, v9, -v10
	v_mul_f32_e32 v1, v4, v12
	s_delay_alu instid0(VALU_DEP_3) | instskip(NEXT) | instid1(VALU_DEP_2)
	v_fmac_f32_e32 v156, v4, v11
	v_fma_f32 v158, v3, v11, -v1
	s_clause 0x1
	scratch_load_b128 v[1:4], off, off offset:216
	scratch_load_b128 v[9:12], off, off offset:232
	s_wait_loadcnt_dscnt 0x100
	v_mul_f32_e32 v159, v5, v2
	v_dual_mul_f32 v2, v6, v2 :: v_dual_mul_f32 v161, v7, v4
	s_delay_alu instid0(VALU_DEP_2) | instskip(NEXT) | instid1(VALU_DEP_2)
	v_fmac_f32_e32 v159, v6, v1
	v_fma_f32 v160, v5, v1, -v2
	v_mul_f32_e32 v1, v8, v4
	s_delay_alu instid0(VALU_DEP_4) | instskip(NEXT) | instid1(VALU_DEP_2)
	v_fmac_f32_e32 v161, v8, v3
	v_fma_f32 v162, v7, v3, -v1
	ds_load_2addr_b64 v[1:4], v21 offset0:87 offset1:88
	ds_load_2addr_b64 v[5:8], v21 offset0:89 offset1:90
	s_wait_loadcnt_dscnt 0x1
	v_mul_f32_e32 v163, v1, v10
	v_mul_f32_e32 v165, v3, v12
	s_delay_alu instid0(VALU_DEP_2) | instskip(NEXT) | instid1(VALU_DEP_2)
	v_fmac_f32_e32 v163, v2, v9
	v_dual_mul_f32 v2, v2, v10 :: v_dual_fmac_f32 v165, v4, v11
	s_delay_alu instid0(VALU_DEP_1) | instskip(SKIP_1) | instid1(VALU_DEP_1)
	v_fma_f32 v164, v1, v9, -v2
	v_mul_f32_e32 v1, v4, v12
	v_fma_f32 v166, v3, v11, -v1
	s_clause 0x1
	scratch_load_b128 v[1:4], off, off offset:248
	scratch_load_b128 v[9:12], off, off offset:264
	s_wait_loadcnt_dscnt 0x100
	v_mul_f32_e32 v167, v5, v2
	v_dual_mul_f32 v2, v6, v2 :: v_dual_mul_f32 v169, v7, v4
	s_delay_alu instid0(VALU_DEP_2) | instskip(NEXT) | instid1(VALU_DEP_2)
	v_fmac_f32_e32 v167, v6, v1
	v_fma_f32 v168, v5, v1, -v2
	v_mul_f32_e32 v1, v8, v4
	s_delay_alu instid0(VALU_DEP_4) | instskip(NEXT) | instid1(VALU_DEP_2)
	v_fmac_f32_e32 v169, v8, v3
	v_fma_f32 v170, v7, v3, -v1
	ds_load_2addr_b64 v[1:4], v21 offset0:91 offset1:92
	ds_load_2addr_b64 v[5:8], v21 offset0:93 offset1:94
	s_wait_loadcnt_dscnt 0x1
	v_mul_f32_e32 v171, v1, v10
	v_mul_f32_e32 v173, v3, v12
	s_delay_alu instid0(VALU_DEP_2) | instskip(NEXT) | instid1(VALU_DEP_2)
	v_fmac_f32_e32 v171, v2, v9
	v_dual_mul_f32 v2, v2, v10 :: v_dual_fmac_f32 v173, v4, v11
	s_delay_alu instid0(VALU_DEP_1) | instskip(SKIP_1) | instid1(VALU_DEP_1)
	v_fma_f32 v172, v1, v9, -v2
	v_mul_f32_e32 v1, v4, v12
	;; [unrolled: 25-line block ×5, first 2 shown]
	v_fma_f32 v198, v3, v11, -v1
	s_clause 0x1
	scratch_load_b128 v[1:4], off, off offset:376
	scratch_load_b128 v[9:12], off, off offset:392
	s_wait_loadcnt_dscnt 0x100
	v_mul_f32_e32 v199, v5, v2
	v_mul_f32_e32 v2, v6, v2
	s_delay_alu instid0(VALU_DEP_2) | instskip(NEXT) | instid1(VALU_DEP_2)
	v_fmac_f32_e32 v199, v6, v1
	v_fma_f32 v200, v5, v1, -v2
	v_dual_mul_f32 v1, v8, v4 :: v_dual_add_f32 v2, 0, v23
	s_delay_alu instid0(VALU_DEP_1) | instskip(NEXT) | instid1(VALU_DEP_2)
	v_fma_f32 v202, v7, v3, -v1
	v_dual_add_f32 v1, 0, v22 :: v_dual_add_f32 v2, v2, v24
	s_delay_alu instid0(VALU_DEP_1) | instskip(NEXT) | instid1(VALU_DEP_1)
	v_dual_add_f32 v1, v1, v142 :: v_dual_add_f32 v2, v2, v143
	v_dual_add_f32 v1, v1, v146 :: v_dual_add_f32 v2, v2, v144
	s_delay_alu instid0(VALU_DEP_1) | instskip(NEXT) | instid1(VALU_DEP_1)
	v_dual_add_f32 v1, v1, v147 :: v_dual_add_f32 v2, v2, v145
	;; [unrolled: 3-line block ×5, first 2 shown]
	v_add_f32_e32 v1, v1, v152
	s_delay_alu instid0(VALU_DEP_1) | instskip(NEXT) | instid1(VALU_DEP_1)
	v_dual_add_f32 v2, v2, v20 :: v_dual_add_f32 v1, v1, v153
	v_dual_add_f32 v2, v2, v155 :: v_dual_add_f32 v1, v1, v157
	s_delay_alu instid0(VALU_DEP_1) | instskip(NEXT) | instid1(VALU_DEP_1)
	v_dual_add_f32 v2, v2, v156 :: v_dual_add_f32 v1, v1, v158
	v_dual_add_f32 v2, v2, v159 :: v_dual_add_f32 v1, v1, v160
	;; [unrolled: 3-line block ×4, first 2 shown]
	s_delay_alu instid0(VALU_DEP_1) | instskip(NEXT) | instid1(VALU_DEP_1)
	v_dual_add_f32 v2, v2, v169 :: v_dual_add_f32 v1, v1, v170
	v_add_f32_e32 v1, v1, v172
	s_delay_alu instid0(VALU_DEP_1) | instskip(NEXT) | instid1(VALU_DEP_1)
	v_dual_add_f32 v6, v1, v174 :: v_dual_add_f32 v5, v2, v171
	v_dual_add_f32 v6, v6, v176 :: v_dual_add_f32 v5, v5, v173
	s_delay_alu instid0(VALU_DEP_1) | instskip(NEXT) | instid1(VALU_DEP_2)
	v_add_f32_e32 v13, v6, v178
	v_add_f32_e32 v5, v5, v175
	v_mul_f32_e32 v201, v7, v4
	s_delay_alu instid0(VALU_DEP_3) | instskip(NEXT) | instid1(VALU_DEP_2)
	v_add_f32_e32 v13, v13, v180
	v_dual_add_f32 v14, v5, v177 :: v_dual_fmac_f32 v201, v8, v3
	ds_load_2addr_b64 v[1:4], v21 offset0:107 offset1:108
	ds_load_2addr_b64 v[5:8], v21 offset0:109 offset1:110
	v_add_f32_e32 v13, v13, v182
	s_delay_alu instid0(VALU_DEP_1) | instskip(NEXT) | instid1(VALU_DEP_1)
	v_add_f32_e32 v13, v13, v184
	v_add_f32_e32 v18, v13, v186
	s_delay_alu instid0(VALU_DEP_1)
	v_add_f32_e32 v18, v18, v188
	s_wait_loadcnt_dscnt 0x1
	v_dual_mul_f32 v142, v1, v10 :: v_dual_mul_f32 v143, v3, v12
	v_mul_f32_e32 v10, v2, v10
	v_mul_f32_e32 v12, v4, v12
	v_add_f32_e32 v14, v14, v179
	s_delay_alu instid0(VALU_DEP_4) | instskip(NEXT) | instid1(VALU_DEP_4)
	v_dual_fmac_f32 v142, v2, v9 :: v_dual_fmac_f32 v143, v4, v11
	v_fma_f32 v144, v1, v9, -v10
	s_delay_alu instid0(VALU_DEP_4)
	v_fma_f32 v145, v3, v11, -v12
	s_clause 0x1
	scratch_load_b128 v[1:4], off, off offset:408
	scratch_load_b128 v[9:12], off, off offset:424
	v_add_f32_e32 v14, v14, v181
	v_add_f32_e32 v18, v18, v190
	s_delay_alu instid0(VALU_DEP_2) | instskip(SKIP_2) | instid1(VALU_DEP_1)
	v_add_f32_e32 v17, v14, v183
	scratch_load_b128 v[13:16], off, off offset:440
	v_dual_add_f32 v22, v18, v192 :: v_dual_add_f32 v17, v17, v185
	v_add_f32_e32 v146, v22, v194
	s_delay_alu instid0(VALU_DEP_1) | instskip(NEXT) | instid1(VALU_DEP_1)
	v_add_f32_e32 v146, v146, v196
	v_add_f32_e32 v146, v146, v198
	s_delay_alu instid0(VALU_DEP_1) | instskip(NEXT) | instid1(VALU_DEP_1)
	v_add_f32_e32 v146, v146, v200
	v_add_f32_e32 v146, v146, v202
	s_delay_alu instid0(VALU_DEP_1)
	v_add_f32_e32 v144, v146, v144
	s_wait_loadcnt_dscnt 0x200
	v_mul_f32_e32 v148, v5, v2
	v_add_f32_e32 v17, v17, v187
	v_mul_f32_e32 v149, v7, v4
	v_mul_f32_e32 v4, v8, v4
	;; [unrolled: 1-line block ×3, first 2 shown]
	v_fmac_f32_e32 v148, v6, v1
	v_add_f32_e32 v17, v17, v189
	v_fmac_f32_e32 v149, v8, v3
	v_fma_f32 v3, v7, v3, -v4
	v_fma_f32 v2, v5, v1, -v2
	v_add_f32_e32 v1, v144, v145
	v_add_f32_e32 v23, v17, v191
	ds_load_2addr_b64 v[17:20], v21 offset0:111 offset1:112
	v_add_f32_e32 v1, v1, v2
	v_add_f32_e32 v147, v23, v193
	ds_load_2addr_b64 v[21:24], v21 offset0:113 offset1:114
	v_add_f32_e32 v1, v1, v3
	s_wait_loadcnt_dscnt 0x101
	v_mul_f32_e32 v150, v17, v10
	v_dual_mul_f32 v6, v18, v10 :: v_dual_mul_f32 v151, v19, v12
	v_mul_f32_e32 v4, v20, v12
	s_wait_loadcnt_dscnt 0x0
	v_dual_mul_f32 v152, v21, v14 :: v_dual_add_f32 v147, v147, v195
	v_fmac_f32_e32 v150, v18, v9
	v_mul_f32_e32 v3, v22, v14
	v_fmac_f32_e32 v151, v20, v11
	v_fma_f32 v4, v19, v11, -v4
	v_add_f32_e32 v147, v147, v197
	v_mul_f32_e32 v146, v23, v16
	v_fmac_f32_e32 v152, v22, v13
	v_fma_f32 v3, v21, v13, -v3
	s_delay_alu instid0(VALU_DEP_4) | instskip(NEXT) | instid1(VALU_DEP_1)
	v_add_f32_e32 v147, v147, v199
	v_dual_fmac_f32 v146, v24, v15 :: v_dual_add_f32 v147, v147, v201
	s_delay_alu instid0(VALU_DEP_1) | instskip(NEXT) | instid1(VALU_DEP_1)
	v_add_f32_e32 v142, v147, v142
	v_add_f32_e32 v5, v142, v143
	s_delay_alu instid0(VALU_DEP_1) | instskip(SKIP_1) | instid1(VALU_DEP_2)
	v_add_f32_e32 v2, v5, v148
	v_fma_f32 v5, v17, v9, -v6
	v_add_f32_e32 v2, v2, v149
	s_delay_alu instid0(VALU_DEP_2) | instskip(NEXT) | instid1(VALU_DEP_2)
	v_add_f32_e32 v1, v1, v5
	v_dual_mul_f32 v5, v24, v16 :: v_dual_add_f32 v2, v2, v150
	s_delay_alu instid0(VALU_DEP_2) | instskip(NEXT) | instid1(VALU_DEP_2)
	v_add_f32_e32 v1, v1, v4
	v_fma_f32 v4, v23, v15, -v5
	s_delay_alu instid0(VALU_DEP_3) | instskip(NEXT) | instid1(VALU_DEP_1)
	v_add_f32_e32 v2, v2, v151
	v_dual_add_f32 v1, v1, v3 :: v_dual_add_f32 v2, v2, v152
	s_delay_alu instid0(VALU_DEP_1) | instskip(NEXT) | instid1(VALU_DEP_1)
	v_dual_add_f32 v1, v1, v4 :: v_dual_add_f32 v2, v2, v146
	v_dual_sub_f32 v1, v139, v1 :: v_dual_sub_f32 v2, v140, v2
	scratch_store_b64 off, v[1:2], off offset:96
	v_cmpx_lt_u32_e32 11, v0
	s_cbranch_execz .LBB56_333
; %bb.332:
	scratch_load_b64 v[1:2], off, off offset:88
	v_mov_b32_e32 v3, 0
	s_delay_alu instid0(VALU_DEP_1)
	v_mov_b32_e32 v4, v3
	scratch_store_b64 off, v[3:4], off offset:88
	s_wait_loadcnt 0x0
	ds_store_b64 v141, v[1:2]
.LBB56_333:
	s_wait_alu 0xfffe
	s_or_b32 exec_lo, exec_lo, s0
	s_wait_storecnt_dscnt 0x0
	s_barrier_signal -1
	s_barrier_wait -1
	global_inv scope:SCOPE_SE
	s_clause 0x4
	scratch_load_b128 v[5:8], off, off offset:96
	scratch_load_b128 v[1:4], off, off offset:112
	;; [unrolled: 1-line block ×5, first 2 shown]
	v_mov_b32_e32 v21, 0
	ds_load_b128 v[142:145], v21 offset:560
	ds_load_b128 v[146:149], v21 offset:576
	ds_load_b128 v[150:153], v21 offset:592
	scratch_load_b64 v[22:23], off, off offset:88
	s_mov_b32 s0, exec_lo
	s_wait_loadcnt_dscnt 0x502
	v_mul_f32_e32 v24, v143, v6
	v_dual_mul_f32 v139, v142, v6 :: v_dual_mul_f32 v140, v144, v8
	v_mul_f32_e32 v6, v145, v8
	s_delay_alu instid0(VALU_DEP_3) | instskip(NEXT) | instid1(VALU_DEP_3)
	v_fma_f32 v24, v142, v5, -v24
	v_dual_fmac_f32 v139, v143, v5 :: v_dual_fmac_f32 v140, v145, v7
	s_wait_loadcnt_dscnt 0x401
	v_mul_f32_e32 v143, v146, v2
	v_fma_f32 v142, v144, v7, -v6
	ds_load_b128 v[5:8], v21 offset:608
	s_wait_loadcnt_dscnt 0x301
	v_dual_mul_f32 v144, v148, v4 :: v_dual_mul_f32 v145, v150, v10
	v_dual_mul_f32 v4, v149, v4 :: v_dual_fmac_f32 v143, v147, v1
	v_mul_f32_e32 v10, v151, v10
	s_delay_alu instid0(VALU_DEP_3)
	v_dual_mul_f32 v154, v152, v12 :: v_dual_fmac_f32 v145, v151, v9
	v_mul_f32_e32 v12, v153, v12
	v_mul_f32_e32 v2, v147, v2
	v_fmac_f32_e32 v144, v149, v3
	v_fma_f32 v147, v148, v3, -v4
	v_fma_f32 v148, v150, v9, -v10
	v_fmac_f32_e32 v154, v153, v11
	v_fma_f32 v149, v152, v11, -v12
	ds_load_b128 v[9:12], v21 offset:624
	s_wait_loadcnt_dscnt 0x201
	v_dual_mul_f32 v151, v7, v16 :: v_dual_mul_f32 v150, v5, v14
	v_mul_f32_e32 v14, v6, v14
	v_mul_f32_e32 v16, v8, v16
	s_delay_alu instid0(VALU_DEP_3)
	v_fmac_f32_e32 v151, v8, v15
	v_fma_f32 v146, v146, v1, -v2
	scratch_load_b128 v[1:4], off, off offset:176
	v_fmac_f32_e32 v150, v6, v13
	v_fma_f32 v13, v5, v13, -v14
	v_fma_f32 v14, v7, v15, -v16
	ds_load_b128 v[5:8], v21 offset:640
	s_wait_loadcnt_dscnt 0x201
	v_mul_f32_e32 v15, v9, v18
	v_mul_f32_e32 v16, v10, v18
	;; [unrolled: 1-line block ×3, first 2 shown]
	s_delay_alu instid0(VALU_DEP_3) | instskip(NEXT) | instid1(VALU_DEP_3)
	v_dual_mul_f32 v20, v12, v20 :: v_dual_fmac_f32 v15, v10, v17
	v_fma_f32 v16, v9, v17, -v16
	s_delay_alu instid0(VALU_DEP_3) | instskip(NEXT) | instid1(VALU_DEP_3)
	v_fmac_f32_e32 v18, v12, v19
	v_fma_f32 v17, v11, v19, -v20
	scratch_load_b128 v[9:12], off, off offset:192
	s_wait_loadcnt_dscnt 0x100
	v_mul_f32_e32 v19, v5, v2
	v_mul_f32_e32 v2, v6, v2
	;; [unrolled: 1-line block ×3, first 2 shown]
	s_delay_alu instid0(VALU_DEP_3) | instskip(NEXT) | instid1(VALU_DEP_3)
	v_dual_mul_f32 v4, v8, v4 :: v_dual_fmac_f32 v19, v6, v1
	v_fma_f32 v152, v5, v1, -v2
	s_delay_alu instid0(VALU_DEP_3) | instskip(NEXT) | instid1(VALU_DEP_3)
	v_fmac_f32_e32 v20, v8, v3
	v_fma_f32 v153, v7, v3, -v4
	ds_load_b128 v[1:4], v21 offset:656
	ds_load_b128 v[5:8], v21 offset:672
	s_wait_loadcnt_dscnt 0x1
	v_mul_f32_e32 v155, v1, v10
	v_mul_f32_e32 v10, v2, v10
	s_delay_alu instid0(VALU_DEP_2) | instskip(NEXT) | instid1(VALU_DEP_2)
	v_dual_mul_f32 v156, v3, v12 :: v_dual_fmac_f32 v155, v2, v9
	v_fma_f32 v157, v1, v9, -v10
	v_mul_f32_e32 v1, v4, v12
	s_delay_alu instid0(VALU_DEP_3) | instskip(NEXT) | instid1(VALU_DEP_2)
	v_fmac_f32_e32 v156, v4, v11
	v_fma_f32 v158, v3, v11, -v1
	s_clause 0x1
	scratch_load_b128 v[1:4], off, off offset:208
	scratch_load_b128 v[9:12], off, off offset:224
	s_wait_loadcnt_dscnt 0x100
	v_mul_f32_e32 v159, v5, v2
	v_dual_mul_f32 v2, v6, v2 :: v_dual_mul_f32 v161, v7, v4
	s_delay_alu instid0(VALU_DEP_2) | instskip(NEXT) | instid1(VALU_DEP_2)
	v_fmac_f32_e32 v159, v6, v1
	v_fma_f32 v160, v5, v1, -v2
	v_mul_f32_e32 v1, v8, v4
	s_delay_alu instid0(VALU_DEP_4) | instskip(NEXT) | instid1(VALU_DEP_2)
	v_fmac_f32_e32 v161, v8, v3
	v_fma_f32 v162, v7, v3, -v1
	ds_load_b128 v[1:4], v21 offset:688
	ds_load_b128 v[5:8], v21 offset:704
	s_wait_loadcnt_dscnt 0x1
	v_mul_f32_e32 v163, v1, v10
	v_mul_f32_e32 v165, v3, v12
	s_delay_alu instid0(VALU_DEP_2) | instskip(NEXT) | instid1(VALU_DEP_2)
	v_fmac_f32_e32 v163, v2, v9
	v_dual_mul_f32 v2, v2, v10 :: v_dual_fmac_f32 v165, v4, v11
	s_delay_alu instid0(VALU_DEP_1) | instskip(SKIP_1) | instid1(VALU_DEP_1)
	v_fma_f32 v164, v1, v9, -v2
	v_mul_f32_e32 v1, v4, v12
	v_fma_f32 v166, v3, v11, -v1
	s_clause 0x1
	scratch_load_b128 v[1:4], off, off offset:240
	scratch_load_b128 v[9:12], off, off offset:256
	s_wait_loadcnt_dscnt 0x100
	v_mul_f32_e32 v167, v5, v2
	v_dual_mul_f32 v169, v7, v4 :: v_dual_mul_f32 v2, v6, v2
	s_delay_alu instid0(VALU_DEP_2) | instskip(NEXT) | instid1(VALU_DEP_2)
	v_fmac_f32_e32 v167, v6, v1
	v_fmac_f32_e32 v169, v8, v3
	s_delay_alu instid0(VALU_DEP_3) | instskip(SKIP_1) | instid1(VALU_DEP_1)
	v_fma_f32 v168, v5, v1, -v2
	v_mul_f32_e32 v1, v8, v4
	v_fma_f32 v170, v7, v3, -v1
	ds_load_b128 v[1:4], v21 offset:720
	ds_load_b128 v[5:8], v21 offset:736
	s_wait_loadcnt_dscnt 0x1
	v_mul_f32_e32 v171, v1, v10
	v_mul_f32_e32 v173, v3, v12
	s_delay_alu instid0(VALU_DEP_2) | instskip(NEXT) | instid1(VALU_DEP_2)
	v_fmac_f32_e32 v171, v2, v9
	v_dual_mul_f32 v2, v2, v10 :: v_dual_fmac_f32 v173, v4, v11
	s_delay_alu instid0(VALU_DEP_1) | instskip(SKIP_1) | instid1(VALU_DEP_1)
	v_fma_f32 v172, v1, v9, -v2
	v_mul_f32_e32 v1, v4, v12
	v_fma_f32 v174, v3, v11, -v1
	s_clause 0x1
	scratch_load_b128 v[1:4], off, off offset:272
	scratch_load_b128 v[9:12], off, off offset:288
	s_wait_loadcnt_dscnt 0x100
	v_mul_f32_e32 v175, v5, v2
	v_dual_mul_f32 v2, v6, v2 :: v_dual_mul_f32 v177, v7, v4
	s_delay_alu instid0(VALU_DEP_2) | instskip(NEXT) | instid1(VALU_DEP_2)
	v_fmac_f32_e32 v175, v6, v1
	v_fma_f32 v176, v5, v1, -v2
	v_mul_f32_e32 v1, v8, v4
	s_delay_alu instid0(VALU_DEP_4) | instskip(NEXT) | instid1(VALU_DEP_2)
	v_fmac_f32_e32 v177, v8, v3
	v_fma_f32 v178, v7, v3, -v1
	ds_load_b128 v[1:4], v21 offset:752
	ds_load_b128 v[5:8], v21 offset:768
	s_wait_loadcnt_dscnt 0x1
	v_mul_f32_e32 v179, v1, v10
	v_mul_f32_e32 v181, v3, v12
	s_delay_alu instid0(VALU_DEP_2) | instskip(NEXT) | instid1(VALU_DEP_2)
	v_fmac_f32_e32 v179, v2, v9
	v_dual_mul_f32 v2, v2, v10 :: v_dual_fmac_f32 v181, v4, v11
	s_delay_alu instid0(VALU_DEP_1) | instskip(SKIP_1) | instid1(VALU_DEP_1)
	v_fma_f32 v180, v1, v9, -v2
	v_mul_f32_e32 v1, v4, v12
	v_fma_f32 v182, v3, v11, -v1
	s_clause 0x1
	scratch_load_b128 v[1:4], off, off offset:304
	scratch_load_b128 v[9:12], off, off offset:320
	s_wait_loadcnt_dscnt 0x100
	v_mul_f32_e32 v183, v5, v2
	v_dual_mul_f32 v2, v6, v2 :: v_dual_mul_f32 v185, v7, v4
	s_delay_alu instid0(VALU_DEP_2) | instskip(NEXT) | instid1(VALU_DEP_2)
	v_fmac_f32_e32 v183, v6, v1
	v_fma_f32 v184, v5, v1, -v2
	v_mul_f32_e32 v1, v8, v4
	s_delay_alu instid0(VALU_DEP_4) | instskip(NEXT) | instid1(VALU_DEP_2)
	v_fmac_f32_e32 v185, v8, v3
	;; [unrolled: 25-line block ×3, first 2 shown]
	v_fma_f32 v194, v7, v3, -v1
	ds_load_b128 v[1:4], v21 offset:816
	ds_load_b128 v[5:8], v21 offset:832
	s_wait_loadcnt_dscnt 0x1
	v_mul_f32_e32 v195, v1, v10
	v_mul_f32_e32 v197, v3, v12
	s_delay_alu instid0(VALU_DEP_2) | instskip(NEXT) | instid1(VALU_DEP_2)
	v_fmac_f32_e32 v195, v2, v9
	v_dual_mul_f32 v2, v2, v10 :: v_dual_fmac_f32 v197, v4, v11
	s_delay_alu instid0(VALU_DEP_1) | instskip(SKIP_1) | instid1(VALU_DEP_1)
	v_fma_f32 v196, v1, v9, -v2
	v_mul_f32_e32 v1, v4, v12
	v_fma_f32 v198, v3, v11, -v1
	s_clause 0x1
	scratch_load_b128 v[1:4], off, off offset:368
	scratch_load_b128 v[9:12], off, off offset:384
	s_wait_loadcnt_dscnt 0x100
	v_mul_f32_e32 v199, v5, v2
	v_dual_mul_f32 v2, v6, v2 :: v_dual_mul_f32 v201, v7, v4
	s_delay_alu instid0(VALU_DEP_2) | instskip(NEXT) | instid1(VALU_DEP_2)
	v_fmac_f32_e32 v199, v6, v1
	v_fma_f32 v200, v5, v1, -v2
	v_dual_add_f32 v2, 0, v139 :: v_dual_mul_f32 v1, v8, v4
	s_delay_alu instid0(VALU_DEP_1) | instskip(NEXT) | instid1(VALU_DEP_2)
	v_dual_fmac_f32 v201, v8, v3 :: v_dual_add_f32 v2, v2, v140
	v_fma_f32 v202, v7, v3, -v1
	scratch_load_b64 v[139:140], off, off offset:448
	v_add_f32_e32 v2, v2, v143
	s_delay_alu instid0(VALU_DEP_1) | instskip(NEXT) | instid1(VALU_DEP_1)
	v_add_f32_e32 v2, v2, v144
	v_dual_add_f32 v1, 0, v24 :: v_dual_add_f32 v2, v2, v145
	s_delay_alu instid0(VALU_DEP_1) | instskip(NEXT) | instid1(VALU_DEP_2)
	v_add_f32_e32 v1, v1, v142
	v_add_f32_e32 v2, v2, v154
	s_delay_alu instid0(VALU_DEP_2) | instskip(NEXT) | instid1(VALU_DEP_1)
	v_add_f32_e32 v1, v1, v146
	v_dual_add_f32 v2, v2, v150 :: v_dual_add_f32 v1, v1, v147
	s_delay_alu instid0(VALU_DEP_1) | instskip(NEXT) | instid1(VALU_DEP_1)
	v_dual_add_f32 v2, v2, v151 :: v_dual_add_f32 v1, v1, v148
	v_dual_add_f32 v2, v2, v15 :: v_dual_add_f32 v1, v1, v149
	s_delay_alu instid0(VALU_DEP_1) | instskip(NEXT) | instid1(VALU_DEP_1)
	v_dual_add_f32 v2, v2, v18 :: v_dual_add_f32 v1, v1, v13
	v_add_f32_e32 v2, v2, v19
	s_delay_alu instid0(VALU_DEP_1) | instskip(NEXT) | instid1(VALU_DEP_1)
	v_add_f32_e32 v2, v2, v20
	v_add_f32_e32 v2, v2, v155
	s_delay_alu instid0(VALU_DEP_1) | instskip(NEXT) | instid1(VALU_DEP_1)
	v_add_f32_e32 v2, v2, v156
	;; [unrolled: 3-line block ×4, first 2 shown]
	v_add_f32_e32 v2, v2, v167
	s_delay_alu instid0(VALU_DEP_1) | instskip(NEXT) | instid1(VALU_DEP_1)
	v_dual_add_f32 v2, v2, v169 :: v_dual_add_f32 v1, v1, v14
	v_add_f32_e32 v1, v1, v16
	s_delay_alu instid0(VALU_DEP_1) | instskip(NEXT) | instid1(VALU_DEP_1)
	v_add_f32_e32 v1, v1, v17
	v_add_f32_e32 v1, v1, v152
	s_delay_alu instid0(VALU_DEP_1) | instskip(NEXT) | instid1(VALU_DEP_1)
	v_add_f32_e32 v1, v1, v153
	;; [unrolled: 3-line block ×6, first 2 shown]
	v_add_f32_e32 v1, v1, v172
	s_delay_alu instid0(VALU_DEP_1) | instskip(SKIP_2) | instid1(VALU_DEP_1)
	v_dual_add_f32 v6, v1, v174 :: v_dual_add_f32 v5, v2, v171
	ds_load_b128 v[1:4], v21 offset:848
	v_dual_add_f32 v6, v6, v176 :: v_dual_add_f32 v5, v5, v173
	v_add_f32_e32 v13, v6, v178
	s_delay_alu instid0(VALU_DEP_2) | instskip(NEXT) | instid1(VALU_DEP_2)
	v_add_f32_e32 v5, v5, v175
	v_add_f32_e32 v13, v13, v180
	s_delay_alu instid0(VALU_DEP_2)
	v_add_f32_e32 v14, v5, v177
	ds_load_b128 v[5:8], v21 offset:864
	v_add_f32_e32 v13, v13, v182
	s_wait_loadcnt_dscnt 0x101
	v_mul_f32_e32 v24, v1, v10
	v_mul_f32_e32 v10, v2, v10
	;; [unrolled: 1-line block ×4, first 2 shown]
	s_delay_alu instid0(VALU_DEP_4) | instskip(NEXT) | instid1(VALU_DEP_4)
	v_dual_add_f32 v13, v13, v184 :: v_dual_fmac_f32 v24, v2, v9
	v_fma_f32 v149, v1, v9, -v10
	s_delay_alu instid0(VALU_DEP_4) | instskip(NEXT) | instid1(VALU_DEP_4)
	v_fmac_f32_e32 v148, v4, v11
	v_fma_f32 v150, v3, v11, -v12
	s_clause 0x1
	scratch_load_b128 v[1:4], off, off offset:400
	scratch_load_b128 v[9:12], off, off offset:416
	v_add_f32_e32 v18, v13, v186
	v_add_f32_e32 v14, v14, v179
	s_delay_alu instid0(VALU_DEP_2) | instskip(NEXT) | instid1(VALU_DEP_2)
	v_add_f32_e32 v18, v18, v188
	v_add_f32_e32 v14, v14, v181
	s_delay_alu instid0(VALU_DEP_2) | instskip(NEXT) | instid1(VALU_DEP_1)
	v_add_f32_e32 v18, v18, v190
	v_add_f32_e32 v18, v18, v192
	s_delay_alu instid0(VALU_DEP_1) | instskip(NEXT) | instid1(VALU_DEP_1)
	v_add_f32_e32 v18, v18, v194
	v_add_f32_e32 v146, v18, v196
	s_delay_alu instid0(VALU_DEP_1) | instskip(NEXT) | instid1(VALU_DEP_1)
	;; [unrolled: 3-line block ×3, first 2 shown]
	v_add_f32_e32 v151, v151, v202
	v_add_f32_e32 v149, v151, v149
	s_delay_alu instid0(VALU_DEP_1) | instskip(SKIP_4) | instid1(VALU_DEP_3)
	v_add_f32_e32 v149, v149, v150
	s_wait_loadcnt_dscnt 0x100
	v_mul_f32_e32 v153, v5, v2
	v_mul_f32_e32 v2, v6, v2
	;; [unrolled: 1-line block ×3, first 2 shown]
	v_dual_mul_f32 v4, v8, v4 :: v_dual_fmac_f32 v153, v6, v1
	s_delay_alu instid0(VALU_DEP_3)
	v_fma_f32 v2, v5, v1, -v2
	v_add_f32_e32 v17, v14, v183
	scratch_load_b128 v[13:16], off, off offset:432
	v_fmac_f32_e32 v154, v8, v3
	v_fma_f32 v1, v7, v3, -v4
	v_add_f32_e32 v2, v149, v2
	v_add_f32_e32 v17, v17, v185
	s_delay_alu instid0(VALU_DEP_2) | instskip(NEXT) | instid1(VALU_DEP_2)
	v_add_f32_e32 v1, v2, v1
	v_add_f32_e32 v17, v17, v187
	s_delay_alu instid0(VALU_DEP_1) | instskip(NEXT) | instid1(VALU_DEP_1)
	v_add_f32_e32 v17, v17, v189
	v_add_f32_e32 v17, v17, v191
	s_delay_alu instid0(VALU_DEP_1)
	v_add_f32_e32 v142, v17, v193
	ds_load_b128 v[17:20], v21 offset:880
	v_add_f32_e32 v147, v142, v195
	ds_load_b128 v[142:145], v21 offset:896
	v_add_f32_e32 v152, v147, v197
	ds_load_b64 v[146:147], v21 offset:912
	v_add_f32_e32 v152, v152, v199
	s_wait_loadcnt_dscnt 0x102
	s_delay_alu instid0(VALU_DEP_1) | instskip(SKIP_2) | instid1(VALU_DEP_3)
	v_dual_add_f32 v152, v152, v201 :: v_dual_mul_f32 v151, v17, v10
	v_mul_f32_e32 v3, v18, v10
	v_mul_f32_e32 v5, v20, v12
	v_add_f32_e32 v24, v152, v24
	s_delay_alu instid0(VALU_DEP_4) | instskip(NEXT) | instid1(VALU_DEP_4)
	v_dual_mul_f32 v152, v19, v12 :: v_dual_fmac_f32 v151, v18, v9
	v_fma_f32 v3, v17, v9, -v3
	s_delay_alu instid0(VALU_DEP_4) | instskip(NEXT) | instid1(VALU_DEP_4)
	v_fma_f32 v5, v19, v11, -v5
	v_add_f32_e32 v24, v24, v148
	s_delay_alu instid0(VALU_DEP_4) | instskip(SKIP_2) | instid1(VALU_DEP_3)
	v_fmac_f32_e32 v152, v20, v11
	s_wait_dscnt 0x0
	v_dual_mul_f32 v148, v146, v140 :: v_dual_add_f32 v1, v1, v3
	v_add_f32_e32 v4, v24, v153
	s_delay_alu instid0(VALU_DEP_2) | instskip(NEXT) | instid1(VALU_DEP_2)
	v_dual_fmac_f32 v148, v147, v139 :: v_dual_add_f32 v1, v1, v5
	v_dual_mul_f32 v5, v147, v140 :: v_dual_add_f32 v2, v4, v154
	s_delay_alu instid0(VALU_DEP_1) | instskip(NEXT) | instid1(VALU_DEP_1)
	v_add_f32_e32 v2, v2, v151
	v_add_f32_e32 v2, v2, v152
	s_wait_loadcnt 0x0
	v_mul_f32_e32 v155, v142, v14
	v_mul_f32_e32 v4, v143, v14
	;; [unrolled: 1-line block ×4, first 2 shown]
	s_delay_alu instid0(VALU_DEP_4) | instskip(NEXT) | instid1(VALU_DEP_4)
	v_fmac_f32_e32 v155, v143, v13
	v_fma_f32 v4, v142, v13, -v4
	s_delay_alu instid0(VALU_DEP_4) | instskip(NEXT) | instid1(VALU_DEP_4)
	v_fmac_f32_e32 v150, v145, v15
	v_fma_f32 v3, v144, v15, -v3
	s_delay_alu instid0(VALU_DEP_3) | instskip(SKIP_1) | instid1(VALU_DEP_2)
	v_dual_add_f32 v2, v2, v155 :: v_dual_add_f32 v1, v1, v4
	v_fma_f32 v4, v146, v139, -v5
	v_dual_add_f32 v2, v2, v150 :: v_dual_add_f32 v1, v1, v3
	s_delay_alu instid0(VALU_DEP_1) | instskip(NEXT) | instid1(VALU_DEP_1)
	v_add_f32_e32 v2, v2, v148
	v_dual_add_f32 v1, v1, v4 :: v_dual_sub_f32 v2, v23, v2
	s_delay_alu instid0(VALU_DEP_1)
	v_sub_f32_e32 v1, v22, v1
	scratch_store_b64 off, v[1:2], off offset:88
	v_cmpx_lt_u32_e32 10, v0
	s_cbranch_execz .LBB56_335
; %bb.334:
	scratch_load_b64 v[1:2], off, off offset:80
	v_mov_b32_e32 v22, v21
	scratch_store_b64 off, v[21:22], off offset:80
	s_wait_loadcnt 0x0
	ds_store_b64 v141, v[1:2]
.LBB56_335:
	s_wait_alu 0xfffe
	s_or_b32 exec_lo, exec_lo, s0
	s_wait_storecnt_dscnt 0x0
	s_barrier_signal -1
	s_barrier_wait -1
	global_inv scope:SCOPE_SE
	s_clause 0x4
	scratch_load_b128 v[5:8], off, off offset:88
	scratch_load_b128 v[1:4], off, off offset:104
	scratch_load_b128 v[9:12], off, off offset:120
	scratch_load_b128 v[13:16], off, off offset:136
	scratch_load_b128 v[17:20], off, off offset:152
	ds_load_2addr_b64 v[142:145], v21 offset0:69 offset1:70
	ds_load_2addr_b64 v[146:149], v21 offset0:71 offset1:72
	;; [unrolled: 1-line block ×3, first 2 shown]
	scratch_load_b64 v[139:140], off, off offset:80
	s_mov_b32 s0, exec_lo
	s_wait_loadcnt_dscnt 0x502
	v_mul_f32_e32 v22, v143, v6
	v_dual_mul_f32 v23, v142, v6 :: v_dual_mul_f32 v24, v144, v8
	v_mul_f32_e32 v6, v145, v8
	s_delay_alu instid0(VALU_DEP_3) | instskip(NEXT) | instid1(VALU_DEP_3)
	v_fma_f32 v22, v142, v5, -v22
	v_dual_fmac_f32 v23, v143, v5 :: v_dual_fmac_f32 v24, v145, v7
	s_wait_loadcnt_dscnt 0x401
	v_mul_f32_e32 v143, v146, v2
	v_fma_f32 v142, v144, v7, -v6
	ds_load_2addr_b64 v[5:8], v21 offset0:75 offset1:76
	s_wait_loadcnt_dscnt 0x301
	v_dual_mul_f32 v144, v148, v4 :: v_dual_mul_f32 v145, v150, v10
	v_dual_mul_f32 v4, v149, v4 :: v_dual_fmac_f32 v143, v147, v1
	v_mul_f32_e32 v10, v151, v10
	s_delay_alu instid0(VALU_DEP_3)
	v_dual_mul_f32 v154, v152, v12 :: v_dual_fmac_f32 v145, v151, v9
	v_mul_f32_e32 v12, v153, v12
	v_mul_f32_e32 v2, v147, v2
	v_fmac_f32_e32 v144, v149, v3
	v_fma_f32 v147, v148, v3, -v4
	v_fma_f32 v148, v150, v9, -v10
	v_fmac_f32_e32 v154, v153, v11
	v_fma_f32 v149, v152, v11, -v12
	ds_load_2addr_b64 v[9:12], v21 offset0:77 offset1:78
	s_wait_loadcnt_dscnt 0x201
	v_mul_f32_e32 v150, v5, v14
	v_dual_mul_f32 v14, v6, v14 :: v_dual_mul_f32 v151, v7, v16
	v_mul_f32_e32 v16, v8, v16
	s_delay_alu instid0(VALU_DEP_3) | instskip(NEXT) | instid1(VALU_DEP_3)
	v_fmac_f32_e32 v150, v6, v13
	v_fma_f32 v13, v5, v13, -v14
	s_delay_alu instid0(VALU_DEP_4) | instskip(NEXT) | instid1(VALU_DEP_4)
	v_fmac_f32_e32 v151, v8, v15
	v_fma_f32 v14, v7, v15, -v16
	ds_load_2addr_b64 v[5:8], v21 offset0:79 offset1:80
	s_wait_loadcnt_dscnt 0x101
	v_mul_f32_e32 v15, v9, v18
	v_mul_f32_e32 v16, v10, v18
	;; [unrolled: 1-line block ×3, first 2 shown]
	s_delay_alu instid0(VALU_DEP_3)
	v_dual_mul_f32 v20, v12, v20 :: v_dual_fmac_f32 v15, v10, v17
	v_fma_f32 v146, v146, v1, -v2
	scratch_load_b128 v[1:4], off, off offset:168
	v_fma_f32 v16, v9, v17, -v16
	v_fmac_f32_e32 v18, v12, v19
	v_fma_f32 v17, v11, v19, -v20
	scratch_load_b128 v[9:12], off, off offset:184
	s_wait_loadcnt_dscnt 0x100
	v_mul_f32_e32 v19, v5, v2
	v_mul_f32_e32 v2, v6, v2
	;; [unrolled: 1-line block ×3, first 2 shown]
	s_delay_alu instid0(VALU_DEP_3) | instskip(NEXT) | instid1(VALU_DEP_3)
	v_dual_mul_f32 v4, v8, v4 :: v_dual_fmac_f32 v19, v6, v1
	v_fma_f32 v152, v5, v1, -v2
	s_delay_alu instid0(VALU_DEP_3) | instskip(NEXT) | instid1(VALU_DEP_3)
	v_fmac_f32_e32 v20, v8, v3
	v_fma_f32 v153, v7, v3, -v4
	ds_load_2addr_b64 v[1:4], v21 offset0:81 offset1:82
	ds_load_2addr_b64 v[5:8], v21 offset0:83 offset1:84
	s_wait_loadcnt_dscnt 0x1
	v_mul_f32_e32 v155, v1, v10
	v_mul_f32_e32 v10, v2, v10
	s_delay_alu instid0(VALU_DEP_2) | instskip(NEXT) | instid1(VALU_DEP_2)
	v_dual_mul_f32 v156, v3, v12 :: v_dual_fmac_f32 v155, v2, v9
	v_fma_f32 v157, v1, v9, -v10
	v_mul_f32_e32 v1, v4, v12
	s_delay_alu instid0(VALU_DEP_3) | instskip(NEXT) | instid1(VALU_DEP_2)
	v_fmac_f32_e32 v156, v4, v11
	v_fma_f32 v158, v3, v11, -v1
	s_clause 0x1
	scratch_load_b128 v[1:4], off, off offset:200
	scratch_load_b128 v[9:12], off, off offset:216
	s_wait_loadcnt_dscnt 0x100
	v_mul_f32_e32 v159, v5, v2
	v_dual_mul_f32 v2, v6, v2 :: v_dual_mul_f32 v161, v7, v4
	s_delay_alu instid0(VALU_DEP_2) | instskip(NEXT) | instid1(VALU_DEP_2)
	v_fmac_f32_e32 v159, v6, v1
	v_fma_f32 v160, v5, v1, -v2
	v_mul_f32_e32 v1, v8, v4
	s_delay_alu instid0(VALU_DEP_4) | instskip(NEXT) | instid1(VALU_DEP_2)
	v_fmac_f32_e32 v161, v8, v3
	v_fma_f32 v162, v7, v3, -v1
	ds_load_2addr_b64 v[1:4], v21 offset0:85 offset1:86
	ds_load_2addr_b64 v[5:8], v21 offset0:87 offset1:88
	s_wait_loadcnt_dscnt 0x1
	v_mul_f32_e32 v163, v1, v10
	v_mul_f32_e32 v165, v3, v12
	s_delay_alu instid0(VALU_DEP_2) | instskip(NEXT) | instid1(VALU_DEP_2)
	v_fmac_f32_e32 v163, v2, v9
	v_dual_mul_f32 v2, v2, v10 :: v_dual_fmac_f32 v165, v4, v11
	s_delay_alu instid0(VALU_DEP_1) | instskip(SKIP_1) | instid1(VALU_DEP_1)
	v_fma_f32 v164, v1, v9, -v2
	v_mul_f32_e32 v1, v4, v12
	v_fma_f32 v166, v3, v11, -v1
	s_clause 0x1
	scratch_load_b128 v[1:4], off, off offset:232
	scratch_load_b128 v[9:12], off, off offset:248
	s_wait_loadcnt_dscnt 0x100
	v_mul_f32_e32 v167, v5, v2
	v_dual_mul_f32 v2, v6, v2 :: v_dual_mul_f32 v169, v7, v4
	s_delay_alu instid0(VALU_DEP_2) | instskip(NEXT) | instid1(VALU_DEP_2)
	v_fmac_f32_e32 v167, v6, v1
	v_fma_f32 v168, v5, v1, -v2
	v_mul_f32_e32 v1, v8, v4
	s_delay_alu instid0(VALU_DEP_4) | instskip(NEXT) | instid1(VALU_DEP_2)
	v_fmac_f32_e32 v169, v8, v3
	v_fma_f32 v170, v7, v3, -v1
	ds_load_2addr_b64 v[1:4], v21 offset0:89 offset1:90
	ds_load_2addr_b64 v[5:8], v21 offset0:91 offset1:92
	s_wait_loadcnt_dscnt 0x1
	v_mul_f32_e32 v171, v1, v10
	v_mul_f32_e32 v173, v3, v12
	s_delay_alu instid0(VALU_DEP_2) | instskip(NEXT) | instid1(VALU_DEP_2)
	v_fmac_f32_e32 v171, v2, v9
	v_dual_mul_f32 v2, v2, v10 :: v_dual_fmac_f32 v173, v4, v11
	s_delay_alu instid0(VALU_DEP_1) | instskip(SKIP_1) | instid1(VALU_DEP_1)
	v_fma_f32 v172, v1, v9, -v2
	v_mul_f32_e32 v1, v4, v12
	;; [unrolled: 25-line block ×5, first 2 shown]
	v_fma_f32 v198, v3, v11, -v1
	s_clause 0x1
	scratch_load_b128 v[1:4], off, off offset:360
	scratch_load_b128 v[9:12], off, off offset:376
	s_wait_loadcnt_dscnt 0x100
	v_mul_f32_e32 v199, v5, v2
	v_mul_f32_e32 v2, v6, v2
	s_delay_alu instid0(VALU_DEP_2) | instskip(NEXT) | instid1(VALU_DEP_2)
	v_fmac_f32_e32 v199, v6, v1
	v_fma_f32 v200, v5, v1, -v2
	v_dual_add_f32 v2, 0, v23 :: v_dual_mul_f32 v1, v8, v4
	s_delay_alu instid0(VALU_DEP_1) | instskip(NEXT) | instid1(VALU_DEP_2)
	v_add_f32_e32 v2, v2, v24
	v_fma_f32 v202, v7, v3, -v1
	s_delay_alu instid0(VALU_DEP_2) | instskip(NEXT) | instid1(VALU_DEP_1)
	v_dual_add_f32 v1, 0, v22 :: v_dual_add_f32 v2, v2, v143
	v_dual_add_f32 v1, v1, v142 :: v_dual_add_f32 v2, v2, v144
	s_delay_alu instid0(VALU_DEP_1) | instskip(NEXT) | instid1(VALU_DEP_1)
	v_add_f32_e32 v2, v2, v145
	v_add_f32_e32 v2, v2, v154
	s_delay_alu instid0(VALU_DEP_1) | instskip(NEXT) | instid1(VALU_DEP_1)
	v_add_f32_e32 v2, v2, v150
	v_dual_add_f32 v1, v1, v146 :: v_dual_add_f32 v2, v2, v151
	s_delay_alu instid0(VALU_DEP_1) | instskip(NEXT) | instid1(VALU_DEP_1)
	v_add_f32_e32 v1, v1, v147
	v_dual_add_f32 v2, v2, v15 :: v_dual_add_f32 v1, v1, v148
	s_delay_alu instid0(VALU_DEP_1) | instskip(NEXT) | instid1(VALU_DEP_1)
	v_dual_add_f32 v2, v2, v18 :: v_dual_add_f32 v1, v1, v149
	v_dual_add_f32 v2, v2, v19 :: v_dual_add_f32 v1, v1, v13
	s_delay_alu instid0(VALU_DEP_1) | instskip(NEXT) | instid1(VALU_DEP_1)
	v_dual_add_f32 v2, v2, v20 :: v_dual_add_f32 v1, v1, v14
	;; [unrolled: 3-line block ×3, first 2 shown]
	v_dual_add_f32 v2, v2, v159 :: v_dual_add_f32 v1, v1, v152
	s_delay_alu instid0(VALU_DEP_1) | instskip(NEXT) | instid1(VALU_DEP_1)
	v_add_f32_e32 v2, v2, v161
	v_dual_add_f32 v1, v1, v153 :: v_dual_add_f32 v2, v2, v163
	s_delay_alu instid0(VALU_DEP_1) | instskip(NEXT) | instid1(VALU_DEP_1)
	v_add_f32_e32 v1, v1, v157
	v_dual_add_f32 v2, v2, v165 :: v_dual_add_f32 v1, v1, v158
	s_delay_alu instid0(VALU_DEP_1) | instskip(NEXT) | instid1(VALU_DEP_1)
	v_dual_add_f32 v2, v2, v167 :: v_dual_add_f32 v1, v1, v160
	v_dual_add_f32 v2, v2, v169 :: v_dual_add_f32 v1, v1, v162
	s_delay_alu instid0(VALU_DEP_1) | instskip(NEXT) | instid1(VALU_DEP_1)
	v_add_f32_e32 v1, v1, v164
	v_add_f32_e32 v1, v1, v166
	s_delay_alu instid0(VALU_DEP_1) | instskip(NEXT) | instid1(VALU_DEP_1)
	v_add_f32_e32 v1, v1, v168
	v_add_f32_e32 v1, v1, v170
	;; [unrolled: 3-line block ×3, first 2 shown]
	s_delay_alu instid0(VALU_DEP_1) | instskip(SKIP_1) | instid1(VALU_DEP_2)
	v_add_f32_e32 v6, v1, v176
	v_dual_add_f32 v2, v2, v171 :: v_dual_mul_f32 v201, v7, v4
	v_add_f32_e32 v14, v6, v178
	s_delay_alu instid0(VALU_DEP_2) | instskip(NEXT) | instid1(VALU_DEP_3)
	v_add_f32_e32 v5, v2, v173
	v_fmac_f32_e32 v201, v8, v3
	ds_load_2addr_b64 v[1:4], v21 offset0:105 offset1:106
	v_dual_add_f32 v14, v14, v180 :: v_dual_add_f32 v13, v5, v175
	scratch_load_b128 v[5:8], off, off offset:392
	v_add_f32_e32 v17, v14, v182
	v_add_f32_e32 v13, v13, v177
	s_delay_alu instid0(VALU_DEP_2) | instskip(NEXT) | instid1(VALU_DEP_2)
	v_add_f32_e32 v17, v17, v184
	v_add_f32_e32 v13, v13, v179
	s_delay_alu instid0(VALU_DEP_2) | instskip(NEXT) | instid1(VALU_DEP_2)
	v_add_f32_e32 v17, v17, v186
	v_add_f32_e32 v18, v13, v181
	ds_load_2addr_b64 v[13:16], v21 offset0:107 offset1:108
	s_wait_loadcnt_dscnt 0x101
	v_mul_f32_e32 v142, v1, v10
	v_dual_mul_f32 v10, v2, v10 :: v_dual_mul_f32 v143, v3, v12
	v_mul_f32_e32 v12, v4, v12
	s_delay_alu instid0(VALU_DEP_3) | instskip(NEXT) | instid1(VALU_DEP_3)
	v_dual_add_f32 v17, v17, v188 :: v_dual_fmac_f32 v142, v2, v9
	v_fma_f32 v144, v1, v9, -v10
	s_delay_alu instid0(VALU_DEP_4) | instskip(NEXT) | instid1(VALU_DEP_4)
	v_fmac_f32_e32 v143, v4, v11
	v_fma_f32 v145, v3, v11, -v12
	s_clause 0x1
	scratch_load_b128 v[1:4], off, off offset:408
	scratch_load_b128 v[9:12], off, off offset:424
	v_add_f32_e32 v23, v17, v190
	s_delay_alu instid0(VALU_DEP_1) | instskip(NEXT) | instid1(VALU_DEP_1)
	v_add_f32_e32 v23, v23, v192
	v_add_f32_e32 v23, v23, v194
	s_wait_loadcnt_dscnt 0x200
	v_mul_f32_e32 v146, v13, v6
	v_dual_add_f32 v18, v18, v183 :: v_dual_mul_f32 v147, v15, v8
	v_mul_f32_e32 v8, v16, v8
	v_mul_f32_e32 v6, v14, v6
	s_delay_alu instid0(VALU_DEP_4) | instskip(NEXT) | instid1(VALU_DEP_4)
	v_fmac_f32_e32 v146, v14, v5
	v_dual_add_f32 v18, v18, v185 :: v_dual_fmac_f32 v147, v16, v7
	s_delay_alu instid0(VALU_DEP_4) | instskip(NEXT) | instid1(VALU_DEP_4)
	v_fma_f32 v149, v15, v7, -v8
	v_fma_f32 v148, v13, v5, -v6
	ds_load_2addr_b64 v[5:8], v21 offset0:109 offset1:110
	v_add_f32_e32 v22, v18, v187
	scratch_load_b128 v[17:20], off, off offset:440
	v_add_f32_e32 v22, v22, v189
	s_delay_alu instid0(VALU_DEP_1) | instskip(NEXT) | instid1(VALU_DEP_1)
	v_add_f32_e32 v22, v22, v191
	v_dual_add_f32 v13, v22, v193 :: v_dual_add_f32 v22, v23, v196
	s_delay_alu instid0(VALU_DEP_1)
	v_dual_add_f32 v23, v13, v195 :: v_dual_add_f32 v150, v22, v198
	ds_load_2addr_b64 v[13:16], v21 offset0:111 offset1:112
	s_wait_loadcnt_dscnt 0x201
	v_mul_f32_e32 v152, v5, v2
	v_dual_mul_f32 v2, v6, v2 :: v_dual_add_f32 v151, v23, v197
	v_add_f32_e32 v150, v150, v200
	ds_load_2addr_b64 v[21:24], v21 offset0:113 offset1:114
	v_fmac_f32_e32 v152, v6, v1
	v_fma_f32 v2, v5, v1, -v2
	v_dual_add_f32 v151, v151, v199 :: v_dual_add_f32 v150, v150, v202
	s_delay_alu instid0(VALU_DEP_1) | instskip(SKIP_2) | instid1(VALU_DEP_3)
	v_dual_add_f32 v151, v151, v201 :: v_dual_add_f32 v144, v150, v144
	v_mul_f32_e32 v150, v7, v4
	v_mul_f32_e32 v4, v8, v4
	v_add_f32_e32 v142, v151, v142
	s_wait_loadcnt_dscnt 0x101
	v_dual_add_f32 v144, v144, v145 :: v_dual_mul_f32 v151, v13, v10
	v_mul_f32_e32 v6, v14, v10
	v_fmac_f32_e32 v150, v8, v3
	v_add_f32_e32 v142, v142, v143
	s_delay_alu instid0(VALU_DEP_4) | instskip(SKIP_3) | instid1(VALU_DEP_4)
	v_add_f32_e32 v144, v144, v148
	v_fma_f32 v3, v7, v3, -v4
	v_mul_f32_e32 v153, v15, v12
	v_mul_f32_e32 v4, v16, v12
	v_dual_add_f32 v142, v142, v146 :: v_dual_add_f32 v1, v144, v149
	v_fmac_f32_e32 v151, v14, v9
	s_delay_alu instid0(VALU_DEP_4) | instskip(NEXT) | instid1(VALU_DEP_4)
	v_fmac_f32_e32 v153, v16, v11
	v_fma_f32 v4, v15, v11, -v4
	s_delay_alu instid0(VALU_DEP_4) | instskip(SKIP_1) | instid1(VALU_DEP_2)
	v_add_f32_e32 v5, v142, v147
	v_add_f32_e32 v1, v1, v2
	;; [unrolled: 1-line block ×3, first 2 shown]
	v_fma_f32 v5, v13, v9, -v6
	s_delay_alu instid0(VALU_DEP_2) | instskip(NEXT) | instid1(VALU_DEP_1)
	v_dual_add_f32 v1, v1, v3 :: v_dual_add_f32 v2, v2, v150
	v_dual_add_f32 v1, v1, v5 :: v_dual_add_f32 v2, v2, v151
	s_delay_alu instid0(VALU_DEP_1)
	v_dual_add_f32 v1, v1, v4 :: v_dual_add_f32 v2, v2, v153
	s_wait_loadcnt_dscnt 0x0
	v_mul_f32_e32 v143, v21, v18
	v_mul_f32_e32 v3, v22, v18
	;; [unrolled: 1-line block ×4, first 2 shown]
	s_delay_alu instid0(VALU_DEP_4) | instskip(NEXT) | instid1(VALU_DEP_4)
	v_fmac_f32_e32 v143, v22, v17
	v_fma_f32 v3, v21, v17, -v3
	s_delay_alu instid0(VALU_DEP_4) | instskip(NEXT) | instid1(VALU_DEP_4)
	v_fmac_f32_e32 v145, v24, v19
	v_fma_f32 v4, v23, v19, -v5
	s_delay_alu instid0(VALU_DEP_4) | instskip(NEXT) | instid1(VALU_DEP_1)
	v_add_f32_e32 v2, v2, v143
	v_dual_add_f32 v1, v1, v3 :: v_dual_add_f32 v2, v2, v145
	s_delay_alu instid0(VALU_DEP_1) | instskip(NEXT) | instid1(VALU_DEP_1)
	v_dual_add_f32 v1, v1, v4 :: v_dual_sub_f32 v2, v140, v2
	v_sub_f32_e32 v1, v139, v1
	scratch_store_b64 off, v[1:2], off offset:80
	v_cmpx_lt_u32_e32 9, v0
	s_cbranch_execz .LBB56_337
; %bb.336:
	scratch_load_b64 v[1:2], off, off offset:72
	v_mov_b32_e32 v3, 0
	s_delay_alu instid0(VALU_DEP_1)
	v_mov_b32_e32 v4, v3
	scratch_store_b64 off, v[3:4], off offset:72
	s_wait_loadcnt 0x0
	ds_store_b64 v141, v[1:2]
.LBB56_337:
	s_wait_alu 0xfffe
	s_or_b32 exec_lo, exec_lo, s0
	s_wait_storecnt_dscnt 0x0
	s_barrier_signal -1
	s_barrier_wait -1
	global_inv scope:SCOPE_SE
	s_clause 0x4
	scratch_load_b128 v[5:8], off, off offset:80
	scratch_load_b128 v[1:4], off, off offset:96
	;; [unrolled: 1-line block ×5, first 2 shown]
	v_mov_b32_e32 v21, 0
	ds_load_b128 v[142:145], v21 offset:544
	ds_load_b128 v[146:149], v21 offset:560
	;; [unrolled: 1-line block ×3, first 2 shown]
	scratch_load_b64 v[22:23], off, off offset:72
	s_mov_b32 s0, exec_lo
	s_wait_loadcnt_dscnt 0x502
	v_mul_f32_e32 v24, v143, v6
	v_dual_mul_f32 v139, v142, v6 :: v_dual_mul_f32 v140, v144, v8
	v_mul_f32_e32 v6, v145, v8
	s_delay_alu instid0(VALU_DEP_3) | instskip(NEXT) | instid1(VALU_DEP_3)
	v_fma_f32 v24, v142, v5, -v24
	v_dual_fmac_f32 v139, v143, v5 :: v_dual_fmac_f32 v140, v145, v7
	s_wait_loadcnt_dscnt 0x401
	v_mul_f32_e32 v143, v146, v2
	v_fma_f32 v142, v144, v7, -v6
	ds_load_b128 v[5:8], v21 offset:592
	s_wait_loadcnt_dscnt 0x301
	v_dual_mul_f32 v144, v148, v4 :: v_dual_mul_f32 v145, v150, v10
	v_dual_mul_f32 v4, v149, v4 :: v_dual_fmac_f32 v143, v147, v1
	v_mul_f32_e32 v10, v151, v10
	s_delay_alu instid0(VALU_DEP_3)
	v_dual_mul_f32 v154, v152, v12 :: v_dual_fmac_f32 v145, v151, v9
	v_mul_f32_e32 v12, v153, v12
	v_mul_f32_e32 v2, v147, v2
	v_fmac_f32_e32 v144, v149, v3
	v_fma_f32 v147, v148, v3, -v4
	v_fma_f32 v148, v150, v9, -v10
	v_fmac_f32_e32 v154, v153, v11
	v_fma_f32 v149, v152, v11, -v12
	ds_load_b128 v[9:12], v21 offset:608
	s_wait_loadcnt_dscnt 0x201
	v_dual_mul_f32 v151, v7, v16 :: v_dual_mul_f32 v150, v5, v14
	v_mul_f32_e32 v14, v6, v14
	v_mul_f32_e32 v16, v8, v16
	s_delay_alu instid0(VALU_DEP_3)
	v_fmac_f32_e32 v151, v8, v15
	v_fma_f32 v146, v146, v1, -v2
	scratch_load_b128 v[1:4], off, off offset:160
	v_fmac_f32_e32 v150, v6, v13
	v_fma_f32 v13, v5, v13, -v14
	v_fma_f32 v14, v7, v15, -v16
	ds_load_b128 v[5:8], v21 offset:624
	s_wait_loadcnt_dscnt 0x201
	v_mul_f32_e32 v15, v9, v18
	v_mul_f32_e32 v16, v10, v18
	;; [unrolled: 1-line block ×3, first 2 shown]
	s_delay_alu instid0(VALU_DEP_3) | instskip(NEXT) | instid1(VALU_DEP_3)
	v_dual_mul_f32 v20, v12, v20 :: v_dual_fmac_f32 v15, v10, v17
	v_fma_f32 v16, v9, v17, -v16
	s_delay_alu instid0(VALU_DEP_3) | instskip(NEXT) | instid1(VALU_DEP_3)
	v_fmac_f32_e32 v18, v12, v19
	v_fma_f32 v17, v11, v19, -v20
	scratch_load_b128 v[9:12], off, off offset:176
	s_wait_loadcnt_dscnt 0x100
	v_mul_f32_e32 v19, v5, v2
	v_mul_f32_e32 v2, v6, v2
	;; [unrolled: 1-line block ×3, first 2 shown]
	s_delay_alu instid0(VALU_DEP_3) | instskip(NEXT) | instid1(VALU_DEP_3)
	v_dual_mul_f32 v4, v8, v4 :: v_dual_fmac_f32 v19, v6, v1
	v_fma_f32 v152, v5, v1, -v2
	s_delay_alu instid0(VALU_DEP_3) | instskip(NEXT) | instid1(VALU_DEP_3)
	v_fmac_f32_e32 v20, v8, v3
	v_fma_f32 v153, v7, v3, -v4
	ds_load_b128 v[1:4], v21 offset:640
	ds_load_b128 v[5:8], v21 offset:656
	s_wait_loadcnt_dscnt 0x1
	v_mul_f32_e32 v155, v1, v10
	v_mul_f32_e32 v10, v2, v10
	s_delay_alu instid0(VALU_DEP_2) | instskip(NEXT) | instid1(VALU_DEP_2)
	v_dual_mul_f32 v156, v3, v12 :: v_dual_fmac_f32 v155, v2, v9
	v_fma_f32 v157, v1, v9, -v10
	v_mul_f32_e32 v1, v4, v12
	s_delay_alu instid0(VALU_DEP_3) | instskip(NEXT) | instid1(VALU_DEP_2)
	v_fmac_f32_e32 v156, v4, v11
	v_fma_f32 v158, v3, v11, -v1
	s_clause 0x1
	scratch_load_b128 v[1:4], off, off offset:192
	scratch_load_b128 v[9:12], off, off offset:208
	s_wait_loadcnt_dscnt 0x100
	v_mul_f32_e32 v159, v5, v2
	v_dual_mul_f32 v2, v6, v2 :: v_dual_mul_f32 v161, v7, v4
	s_delay_alu instid0(VALU_DEP_2) | instskip(NEXT) | instid1(VALU_DEP_2)
	v_fmac_f32_e32 v159, v6, v1
	v_fma_f32 v160, v5, v1, -v2
	v_mul_f32_e32 v1, v8, v4
	s_delay_alu instid0(VALU_DEP_4) | instskip(NEXT) | instid1(VALU_DEP_2)
	v_fmac_f32_e32 v161, v8, v3
	v_fma_f32 v162, v7, v3, -v1
	ds_load_b128 v[1:4], v21 offset:672
	ds_load_b128 v[5:8], v21 offset:688
	s_wait_loadcnt_dscnt 0x1
	v_mul_f32_e32 v163, v1, v10
	v_mul_f32_e32 v165, v3, v12
	s_delay_alu instid0(VALU_DEP_2) | instskip(NEXT) | instid1(VALU_DEP_2)
	v_fmac_f32_e32 v163, v2, v9
	v_dual_mul_f32 v2, v2, v10 :: v_dual_fmac_f32 v165, v4, v11
	s_delay_alu instid0(VALU_DEP_1) | instskip(SKIP_1) | instid1(VALU_DEP_1)
	v_fma_f32 v164, v1, v9, -v2
	v_mul_f32_e32 v1, v4, v12
	v_fma_f32 v166, v3, v11, -v1
	s_clause 0x1
	scratch_load_b128 v[1:4], off, off offset:224
	scratch_load_b128 v[9:12], off, off offset:240
	s_wait_loadcnt_dscnt 0x100
	v_mul_f32_e32 v167, v5, v2
	v_dual_mul_f32 v169, v7, v4 :: v_dual_mul_f32 v2, v6, v2
	s_delay_alu instid0(VALU_DEP_2) | instskip(NEXT) | instid1(VALU_DEP_2)
	v_fmac_f32_e32 v167, v6, v1
	v_fmac_f32_e32 v169, v8, v3
	s_delay_alu instid0(VALU_DEP_3) | instskip(SKIP_1) | instid1(VALU_DEP_1)
	v_fma_f32 v168, v5, v1, -v2
	v_mul_f32_e32 v1, v8, v4
	v_fma_f32 v170, v7, v3, -v1
	ds_load_b128 v[1:4], v21 offset:704
	ds_load_b128 v[5:8], v21 offset:720
	s_wait_loadcnt_dscnt 0x1
	v_mul_f32_e32 v171, v1, v10
	v_mul_f32_e32 v173, v3, v12
	s_delay_alu instid0(VALU_DEP_2) | instskip(NEXT) | instid1(VALU_DEP_2)
	v_fmac_f32_e32 v171, v2, v9
	v_dual_mul_f32 v2, v2, v10 :: v_dual_fmac_f32 v173, v4, v11
	s_delay_alu instid0(VALU_DEP_1) | instskip(SKIP_1) | instid1(VALU_DEP_1)
	v_fma_f32 v172, v1, v9, -v2
	v_mul_f32_e32 v1, v4, v12
	v_fma_f32 v174, v3, v11, -v1
	s_clause 0x1
	scratch_load_b128 v[1:4], off, off offset:256
	scratch_load_b128 v[9:12], off, off offset:272
	s_wait_loadcnt_dscnt 0x100
	v_mul_f32_e32 v175, v5, v2
	v_dual_mul_f32 v2, v6, v2 :: v_dual_mul_f32 v177, v7, v4
	s_delay_alu instid0(VALU_DEP_2) | instskip(NEXT) | instid1(VALU_DEP_2)
	v_fmac_f32_e32 v175, v6, v1
	v_fma_f32 v176, v5, v1, -v2
	v_mul_f32_e32 v1, v8, v4
	s_delay_alu instid0(VALU_DEP_4) | instskip(NEXT) | instid1(VALU_DEP_2)
	v_fmac_f32_e32 v177, v8, v3
	v_fma_f32 v178, v7, v3, -v1
	ds_load_b128 v[1:4], v21 offset:736
	ds_load_b128 v[5:8], v21 offset:752
	s_wait_loadcnt_dscnt 0x1
	v_mul_f32_e32 v179, v1, v10
	v_mul_f32_e32 v181, v3, v12
	s_delay_alu instid0(VALU_DEP_2) | instskip(NEXT) | instid1(VALU_DEP_2)
	v_fmac_f32_e32 v179, v2, v9
	v_dual_mul_f32 v2, v2, v10 :: v_dual_fmac_f32 v181, v4, v11
	s_delay_alu instid0(VALU_DEP_1) | instskip(SKIP_1) | instid1(VALU_DEP_1)
	v_fma_f32 v180, v1, v9, -v2
	v_mul_f32_e32 v1, v4, v12
	v_fma_f32 v182, v3, v11, -v1
	s_clause 0x1
	scratch_load_b128 v[1:4], off, off offset:288
	scratch_load_b128 v[9:12], off, off offset:304
	s_wait_loadcnt_dscnt 0x100
	v_mul_f32_e32 v183, v5, v2
	v_dual_mul_f32 v2, v6, v2 :: v_dual_mul_f32 v185, v7, v4
	s_delay_alu instid0(VALU_DEP_2) | instskip(NEXT) | instid1(VALU_DEP_2)
	v_fmac_f32_e32 v183, v6, v1
	v_fma_f32 v184, v5, v1, -v2
	v_mul_f32_e32 v1, v8, v4
	s_delay_alu instid0(VALU_DEP_4) | instskip(NEXT) | instid1(VALU_DEP_2)
	v_fmac_f32_e32 v185, v8, v3
	;; [unrolled: 25-line block ×3, first 2 shown]
	v_fma_f32 v194, v7, v3, -v1
	ds_load_b128 v[1:4], v21 offset:800
	ds_load_b128 v[5:8], v21 offset:816
	s_wait_loadcnt_dscnt 0x1
	v_mul_f32_e32 v195, v1, v10
	v_mul_f32_e32 v197, v3, v12
	s_delay_alu instid0(VALU_DEP_2) | instskip(NEXT) | instid1(VALU_DEP_2)
	v_fmac_f32_e32 v195, v2, v9
	v_dual_mul_f32 v2, v2, v10 :: v_dual_fmac_f32 v197, v4, v11
	s_delay_alu instid0(VALU_DEP_1) | instskip(SKIP_1) | instid1(VALU_DEP_1)
	v_fma_f32 v196, v1, v9, -v2
	v_mul_f32_e32 v1, v4, v12
	v_fma_f32 v198, v3, v11, -v1
	s_clause 0x1
	scratch_load_b128 v[1:4], off, off offset:352
	scratch_load_b128 v[9:12], off, off offset:368
	s_wait_loadcnt_dscnt 0x100
	v_mul_f32_e32 v199, v5, v2
	v_mul_f32_e32 v2, v6, v2
	s_delay_alu instid0(VALU_DEP_2) | instskip(NEXT) | instid1(VALU_DEP_2)
	v_fmac_f32_e32 v199, v6, v1
	v_fma_f32 v200, v5, v1, -v2
	v_dual_add_f32 v2, 0, v139 :: v_dual_mul_f32 v1, v8, v4
	s_delay_alu instid0(VALU_DEP_1) | instskip(NEXT) | instid1(VALU_DEP_2)
	v_add_f32_e32 v2, v2, v140
	v_fma_f32 v202, v7, v3, -v1
	s_delay_alu instid0(VALU_DEP_2) | instskip(NEXT) | instid1(VALU_DEP_1)
	v_dual_add_f32 v1, 0, v24 :: v_dual_add_f32 v2, v2, v143
	v_dual_add_f32 v1, v1, v142 :: v_dual_add_f32 v2, v2, v144
	s_delay_alu instid0(VALU_DEP_1) | instskip(NEXT) | instid1(VALU_DEP_1)
	v_add_f32_e32 v2, v2, v145
	v_add_f32_e32 v2, v2, v154
	s_delay_alu instid0(VALU_DEP_1) | instskip(NEXT) | instid1(VALU_DEP_1)
	v_add_f32_e32 v2, v2, v150
	v_dual_add_f32 v1, v1, v146 :: v_dual_add_f32 v2, v2, v151
	s_delay_alu instid0(VALU_DEP_1) | instskip(NEXT) | instid1(VALU_DEP_1)
	v_add_f32_e32 v2, v2, v15
	v_add_f32_e32 v2, v2, v18
	s_delay_alu instid0(VALU_DEP_1) | instskip(NEXT) | instid1(VALU_DEP_1)
	v_add_f32_e32 v2, v2, v19
	v_dual_add_f32 v2, v2, v20 :: v_dual_add_f32 v1, v1, v147
	s_delay_alu instid0(VALU_DEP_1) | instskip(NEXT) | instid1(VALU_DEP_1)
	v_dual_add_f32 v2, v2, v155 :: v_dual_add_f32 v1, v1, v148
	v_dual_add_f32 v2, v2, v156 :: v_dual_add_f32 v1, v1, v149
	s_delay_alu instid0(VALU_DEP_1) | instskip(NEXT) | instid1(VALU_DEP_1)
	v_dual_add_f32 v2, v2, v159 :: v_dual_add_f32 v1, v1, v13
	;; [unrolled: 3-line block ×3, first 2 shown]
	v_add_f32_e32 v2, v2, v165
	s_delay_alu instid0(VALU_DEP_1) | instskip(NEXT) | instid1(VALU_DEP_1)
	v_dual_add_f32 v1, v1, v17 :: v_dual_add_f32 v2, v2, v167
	v_dual_add_f32 v1, v1, v152 :: v_dual_add_f32 v2, v2, v169
	s_delay_alu instid0(VALU_DEP_1) | instskip(NEXT) | instid1(VALU_DEP_1)
	v_add_f32_e32 v1, v1, v153
	v_add_f32_e32 v1, v1, v157
	s_delay_alu instid0(VALU_DEP_1) | instskip(NEXT) | instid1(VALU_DEP_1)
	v_add_f32_e32 v1, v1, v158
	v_add_f32_e32 v1, v1, v160
	;; [unrolled: 3-line block ×6, first 2 shown]
	v_dual_add_f32 v2, v2, v171 :: v_dual_mul_f32 v201, v7, v4
	s_delay_alu instid0(VALU_DEP_2) | instskip(NEXT) | instid1(VALU_DEP_2)
	v_add_f32_e32 v14, v6, v178
	v_add_f32_e32 v5, v2, v173
	s_delay_alu instid0(VALU_DEP_1) | instskip(NEXT) | instid1(VALU_DEP_1)
	v_dual_add_f32 v14, v14, v180 :: v_dual_add_f32 v13, v5, v175
	v_add_f32_e32 v17, v14, v182
	s_delay_alu instid0(VALU_DEP_2) | instskip(NEXT) | instid1(VALU_DEP_2)
	v_add_f32_e32 v13, v13, v177
	v_add_f32_e32 v17, v17, v184
	s_delay_alu instid0(VALU_DEP_2)
	v_add_f32_e32 v13, v13, v179
	v_fmac_f32_e32 v201, v8, v3
	scratch_load_b128 v[1:4], off, off offset:384
	ds_load_b128 v[5:8], v21 offset:832
	v_add_f32_e32 v17, v17, v186
	v_add_f32_e32 v18, v13, v181
	ds_load_b128 v[13:16], v21 offset:848
	v_add_f32_e32 v17, v17, v188
	s_delay_alu instid0(VALU_DEP_1)
	v_add_f32_e32 v140, v17, v190
	s_wait_loadcnt_dscnt 0x101
	v_mul_f32_e32 v24, v5, v10
	v_mul_f32_e32 v10, v6, v10
	;; [unrolled: 1-line block ×4, first 2 shown]
	v_add_f32_e32 v18, v18, v183
	v_fmac_f32_e32 v24, v6, v9
	v_fma_f32 v149, v5, v9, -v10
	v_fmac_f32_e32 v148, v8, v11
	v_fma_f32 v150, v7, v11, -v12
	s_clause 0x1
	scratch_load_b128 v[5:8], off, off offset:400
	scratch_load_b128 v[9:12], off, off offset:416
	v_add_f32_e32 v18, v18, v185
	s_delay_alu instid0(VALU_DEP_1) | instskip(SKIP_4) | instid1(VALU_DEP_1)
	v_add_f32_e32 v139, v18, v187
	scratch_load_b128 v[17:20], off, off offset:432
	v_dual_add_f32 v143, v140, v192 :: v_dual_add_f32 v142, v139, v189
	scratch_load_b64 v[139:140], off, off offset:448
	v_dual_add_f32 v143, v143, v194 :: v_dual_add_f32 v142, v142, v191
	v_dual_add_f32 v143, v143, v196 :: v_dual_add_f32 v142, v142, v193
	s_wait_loadcnt_dscnt 0x400
	v_mul_f32_e32 v151, v13, v2
	v_mul_f32_e32 v2, v14, v2
	;; [unrolled: 1-line block ×3, first 2 shown]
	s_delay_alu instid0(VALU_DEP_3) | instskip(NEXT) | instid1(VALU_DEP_3)
	v_dual_mul_f32 v4, v16, v4 :: v_dual_fmac_f32 v151, v14, v1
	v_fma_f32 v153, v13, v1, -v2
	v_dual_add_f32 v13, v142, v195 :: v_dual_add_f32 v14, v143, v198
	s_delay_alu instid0(VALU_DEP_4) | instskip(NEXT) | instid1(VALU_DEP_4)
	v_fmac_f32_e32 v152, v16, v3
	v_fma_f32 v154, v15, v3, -v4
	ds_load_b128 v[1:4], v21 offset:864
	v_add_f32_e32 v142, v13, v197
	v_add_f32_e32 v146, v14, v200
	ds_load_b128 v[13:16], v21 offset:880
	v_add_f32_e32 v147, v142, v199
	v_add_f32_e32 v155, v146, v202
	ds_load_b128 v[142:145], v21 offset:896
	v_add_f32_e32 v156, v147, v201
	v_add_f32_e32 v149, v155, v149
	ds_load_b64 v[146:147], v21 offset:912
	v_dual_add_f32 v24, v156, v24 :: v_dual_add_f32 v149, v149, v150
	s_wait_loadcnt_dscnt 0x303
	s_delay_alu instid0(VALU_DEP_1) | instskip(NEXT) | instid1(VALU_DEP_2)
	v_dual_mul_f32 v155, v1, v6 :: v_dual_add_f32 v24, v24, v148
	v_dual_mul_f32 v6, v2, v6 :: v_dual_add_f32 v149, v149, v153
	v_mul_f32_e32 v148, v3, v8
	v_mul_f32_e32 v8, v4, v8
	s_delay_alu instid0(VALU_DEP_4) | instskip(NEXT) | instid1(VALU_DEP_4)
	v_add_f32_e32 v24, v24, v151
	v_fma_f32 v1, v1, v5, -v6
	v_add_f32_e32 v149, v149, v154
	s_wait_loadcnt_dscnt 0x202
	v_dual_fmac_f32 v155, v2, v5 :: v_dual_mul_f32 v150, v13, v10
	v_add_f32_e32 v24, v24, v152
	v_fmac_f32_e32 v148, v4, v7
	v_fma_f32 v2, v3, v7, -v8
	v_mul_f32_e32 v3, v14, v10
	s_delay_alu instid0(VALU_DEP_4) | instskip(SKIP_2) | instid1(VALU_DEP_4)
	v_dual_add_f32 v1, v149, v1 :: v_dual_add_f32 v4, v24, v155
	v_mul_f32_e32 v151, v15, v12
	v_dual_mul_f32 v5, v16, v12 :: v_dual_fmac_f32 v150, v14, v9
	v_fma_f32 v3, v13, v9, -v3
	s_delay_alu instid0(VALU_DEP_4)
	v_dual_add_f32 v1, v1, v2 :: v_dual_add_f32 v2, v4, v148
	s_wait_loadcnt_dscnt 0x101
	v_mul_f32_e32 v153, v142, v18
	v_dual_mul_f32 v4, v143, v18 :: v_dual_fmac_f32 v151, v16, v11
	v_fma_f32 v5, v15, v11, -v5
	v_dual_add_f32 v1, v1, v3 :: v_dual_add_f32 v2, v2, v150
	v_mul_f32_e32 v154, v144, v20
	v_mul_f32_e32 v3, v145, v20
	v_fmac_f32_e32 v153, v143, v17
	v_fma_f32 v4, v142, v17, -v4
	v_dual_add_f32 v1, v1, v5 :: v_dual_add_f32 v2, v2, v151
	s_wait_loadcnt_dscnt 0x0
	v_mul_f32_e32 v152, v146, v140
	v_dual_mul_f32 v5, v147, v140 :: v_dual_fmac_f32 v154, v145, v19
	v_fma_f32 v3, v144, v19, -v3
	v_dual_add_f32 v1, v1, v4 :: v_dual_add_f32 v2, v2, v153
	s_delay_alu instid0(VALU_DEP_4) | instskip(NEXT) | instid1(VALU_DEP_4)
	v_fmac_f32_e32 v152, v147, v139
	v_fma_f32 v4, v146, v139, -v5
	s_delay_alu instid0(VALU_DEP_3) | instskip(NEXT) | instid1(VALU_DEP_1)
	v_dual_add_f32 v1, v1, v3 :: v_dual_add_f32 v2, v2, v154
	v_add_f32_e32 v1, v1, v4
	s_delay_alu instid0(VALU_DEP_2) | instskip(NEXT) | instid1(VALU_DEP_1)
	v_add_f32_e32 v2, v2, v152
	v_dual_sub_f32 v1, v22, v1 :: v_dual_sub_f32 v2, v23, v2
	scratch_store_b64 off, v[1:2], off offset:72
	v_cmpx_lt_u32_e32 8, v0
	s_cbranch_execz .LBB56_339
; %bb.338:
	scratch_load_b64 v[1:2], off, off offset:64
	v_mov_b32_e32 v22, v21
	scratch_store_b64 off, v[21:22], off offset:64
	s_wait_loadcnt 0x0
	ds_store_b64 v141, v[1:2]
.LBB56_339:
	s_wait_alu 0xfffe
	s_or_b32 exec_lo, exec_lo, s0
	s_wait_storecnt_dscnt 0x0
	s_barrier_signal -1
	s_barrier_wait -1
	global_inv scope:SCOPE_SE
	s_clause 0x4
	scratch_load_b128 v[5:8], off, off offset:72
	scratch_load_b128 v[1:4], off, off offset:88
	;; [unrolled: 1-line block ×5, first 2 shown]
	ds_load_2addr_b64 v[142:145], v21 offset0:67 offset1:68
	ds_load_2addr_b64 v[146:149], v21 offset0:69 offset1:70
	ds_load_2addr_b64 v[150:153], v21 offset0:71 offset1:72
	scratch_load_b64 v[139:140], off, off offset:64
	s_mov_b32 s0, exec_lo
	s_wait_loadcnt_dscnt 0x502
	v_mul_f32_e32 v22, v143, v6
	v_dual_mul_f32 v23, v142, v6 :: v_dual_mul_f32 v24, v144, v8
	v_mul_f32_e32 v6, v145, v8
	s_delay_alu instid0(VALU_DEP_3) | instskip(NEXT) | instid1(VALU_DEP_3)
	v_fma_f32 v22, v142, v5, -v22
	v_dual_fmac_f32 v23, v143, v5 :: v_dual_fmac_f32 v24, v145, v7
	s_wait_loadcnt_dscnt 0x401
	v_mul_f32_e32 v143, v146, v2
	v_fma_f32 v142, v144, v7, -v6
	ds_load_2addr_b64 v[5:8], v21 offset0:73 offset1:74
	s_wait_loadcnt_dscnt 0x301
	v_dual_mul_f32 v144, v148, v4 :: v_dual_mul_f32 v145, v150, v10
	v_dual_mul_f32 v4, v149, v4 :: v_dual_fmac_f32 v143, v147, v1
	v_mul_f32_e32 v10, v151, v10
	s_delay_alu instid0(VALU_DEP_3)
	v_dual_mul_f32 v154, v152, v12 :: v_dual_fmac_f32 v145, v151, v9
	v_mul_f32_e32 v12, v153, v12
	v_mul_f32_e32 v2, v147, v2
	v_fmac_f32_e32 v144, v149, v3
	v_fma_f32 v147, v148, v3, -v4
	v_fma_f32 v148, v150, v9, -v10
	v_fmac_f32_e32 v154, v153, v11
	v_fma_f32 v149, v152, v11, -v12
	ds_load_2addr_b64 v[9:12], v21 offset0:75 offset1:76
	s_wait_loadcnt_dscnt 0x201
	v_mul_f32_e32 v150, v5, v14
	v_dual_mul_f32 v14, v6, v14 :: v_dual_mul_f32 v151, v7, v16
	v_mul_f32_e32 v16, v8, v16
	s_delay_alu instid0(VALU_DEP_3) | instskip(NEXT) | instid1(VALU_DEP_3)
	v_fmac_f32_e32 v150, v6, v13
	v_fma_f32 v13, v5, v13, -v14
	s_delay_alu instid0(VALU_DEP_4) | instskip(NEXT) | instid1(VALU_DEP_4)
	v_fmac_f32_e32 v151, v8, v15
	v_fma_f32 v14, v7, v15, -v16
	ds_load_2addr_b64 v[5:8], v21 offset0:77 offset1:78
	s_wait_loadcnt_dscnt 0x101
	v_mul_f32_e32 v15, v9, v18
	v_mul_f32_e32 v16, v10, v18
	;; [unrolled: 1-line block ×3, first 2 shown]
	s_delay_alu instid0(VALU_DEP_3)
	v_dual_mul_f32 v20, v12, v20 :: v_dual_fmac_f32 v15, v10, v17
	v_fma_f32 v146, v146, v1, -v2
	scratch_load_b128 v[1:4], off, off offset:152
	v_fma_f32 v16, v9, v17, -v16
	v_fmac_f32_e32 v18, v12, v19
	v_fma_f32 v17, v11, v19, -v20
	scratch_load_b128 v[9:12], off, off offset:168
	s_wait_loadcnt_dscnt 0x100
	v_mul_f32_e32 v19, v5, v2
	v_mul_f32_e32 v2, v6, v2
	;; [unrolled: 1-line block ×3, first 2 shown]
	s_delay_alu instid0(VALU_DEP_3) | instskip(NEXT) | instid1(VALU_DEP_3)
	v_dual_mul_f32 v4, v8, v4 :: v_dual_fmac_f32 v19, v6, v1
	v_fma_f32 v152, v5, v1, -v2
	s_delay_alu instid0(VALU_DEP_3) | instskip(NEXT) | instid1(VALU_DEP_3)
	v_fmac_f32_e32 v20, v8, v3
	v_fma_f32 v153, v7, v3, -v4
	ds_load_2addr_b64 v[1:4], v21 offset0:79 offset1:80
	ds_load_2addr_b64 v[5:8], v21 offset0:81 offset1:82
	s_wait_loadcnt_dscnt 0x1
	v_mul_f32_e32 v155, v1, v10
	v_mul_f32_e32 v10, v2, v10
	s_delay_alu instid0(VALU_DEP_2) | instskip(NEXT) | instid1(VALU_DEP_2)
	v_dual_mul_f32 v156, v3, v12 :: v_dual_fmac_f32 v155, v2, v9
	v_fma_f32 v157, v1, v9, -v10
	v_mul_f32_e32 v1, v4, v12
	s_delay_alu instid0(VALU_DEP_3) | instskip(NEXT) | instid1(VALU_DEP_2)
	v_fmac_f32_e32 v156, v4, v11
	v_fma_f32 v158, v3, v11, -v1
	s_clause 0x1
	scratch_load_b128 v[1:4], off, off offset:184
	scratch_load_b128 v[9:12], off, off offset:200
	s_wait_loadcnt_dscnt 0x100
	v_mul_f32_e32 v159, v5, v2
	v_dual_mul_f32 v2, v6, v2 :: v_dual_mul_f32 v161, v7, v4
	s_delay_alu instid0(VALU_DEP_2) | instskip(NEXT) | instid1(VALU_DEP_2)
	v_fmac_f32_e32 v159, v6, v1
	v_fma_f32 v160, v5, v1, -v2
	v_mul_f32_e32 v1, v8, v4
	s_delay_alu instid0(VALU_DEP_4) | instskip(NEXT) | instid1(VALU_DEP_2)
	v_fmac_f32_e32 v161, v8, v3
	v_fma_f32 v162, v7, v3, -v1
	ds_load_2addr_b64 v[1:4], v21 offset0:83 offset1:84
	ds_load_2addr_b64 v[5:8], v21 offset0:85 offset1:86
	s_wait_loadcnt_dscnt 0x1
	v_mul_f32_e32 v163, v1, v10
	v_mul_f32_e32 v165, v3, v12
	s_delay_alu instid0(VALU_DEP_2) | instskip(NEXT) | instid1(VALU_DEP_2)
	v_fmac_f32_e32 v163, v2, v9
	v_dual_mul_f32 v2, v2, v10 :: v_dual_fmac_f32 v165, v4, v11
	s_delay_alu instid0(VALU_DEP_1) | instskip(SKIP_1) | instid1(VALU_DEP_1)
	v_fma_f32 v164, v1, v9, -v2
	v_mul_f32_e32 v1, v4, v12
	v_fma_f32 v166, v3, v11, -v1
	s_clause 0x1
	scratch_load_b128 v[1:4], off, off offset:216
	scratch_load_b128 v[9:12], off, off offset:232
	s_wait_loadcnt_dscnt 0x100
	v_mul_f32_e32 v167, v5, v2
	v_dual_mul_f32 v2, v6, v2 :: v_dual_mul_f32 v169, v7, v4
	s_delay_alu instid0(VALU_DEP_2) | instskip(NEXT) | instid1(VALU_DEP_2)
	v_fmac_f32_e32 v167, v6, v1
	v_fma_f32 v168, v5, v1, -v2
	v_mul_f32_e32 v1, v8, v4
	s_delay_alu instid0(VALU_DEP_4) | instskip(NEXT) | instid1(VALU_DEP_2)
	v_fmac_f32_e32 v169, v8, v3
	v_fma_f32 v170, v7, v3, -v1
	ds_load_2addr_b64 v[1:4], v21 offset0:87 offset1:88
	ds_load_2addr_b64 v[5:8], v21 offset0:89 offset1:90
	s_wait_loadcnt_dscnt 0x1
	v_mul_f32_e32 v171, v1, v10
	v_mul_f32_e32 v173, v3, v12
	s_delay_alu instid0(VALU_DEP_2) | instskip(NEXT) | instid1(VALU_DEP_2)
	v_fmac_f32_e32 v171, v2, v9
	v_dual_mul_f32 v2, v2, v10 :: v_dual_fmac_f32 v173, v4, v11
	s_delay_alu instid0(VALU_DEP_1) | instskip(SKIP_1) | instid1(VALU_DEP_1)
	v_fma_f32 v172, v1, v9, -v2
	v_mul_f32_e32 v1, v4, v12
	;; [unrolled: 25-line block ×6, first 2 shown]
	v_fma_f32 v206, v3, v11, -v1
	s_clause 0x1
	scratch_load_b128 v[1:4], off, off offset:376
	scratch_load_b128 v[9:12], off, off offset:392
	s_wait_loadcnt_dscnt 0x100
	v_mul_f32_e32 v207, v5, v2
	v_dual_mul_f32 v2, v6, v2 :: v_dual_mul_f32 v209, v7, v4
	s_delay_alu instid0(VALU_DEP_2) | instskip(NEXT) | instid1(VALU_DEP_2)
	v_fmac_f32_e32 v207, v6, v1
	v_fma_f32 v208, v5, v1, -v2
	v_add_f32_e32 v2, 0, v23
	s_delay_alu instid0(VALU_DEP_1) | instskip(NEXT) | instid1(VALU_DEP_1)
	v_dual_fmac_f32 v209, v8, v3 :: v_dual_add_f32 v2, v2, v24
	v_add_f32_e32 v2, v2, v143
	s_delay_alu instid0(VALU_DEP_1) | instskip(NEXT) | instid1(VALU_DEP_1)
	v_add_f32_e32 v2, v2, v144
	v_add_f32_e32 v2, v2, v145
	s_delay_alu instid0(VALU_DEP_1) | instskip(NEXT) | instid1(VALU_DEP_1)
	v_add_f32_e32 v2, v2, v154
	;; [unrolled: 3-line block ×3, first 2 shown]
	v_add_f32_e32 v2, v2, v15
	s_delay_alu instid0(VALU_DEP_1) | instskip(NEXT) | instid1(VALU_DEP_1)
	v_dual_add_f32 v2, v2, v18 :: v_dual_mul_f32 v1, v8, v4
	v_add_f32_e32 v2, v2, v19
	s_delay_alu instid0(VALU_DEP_2) | instskip(NEXT) | instid1(VALU_DEP_2)
	v_fma_f32 v210, v7, v3, -v1
	v_dual_add_f32 v1, 0, v22 :: v_dual_add_f32 v2, v2, v20
	s_delay_alu instid0(VALU_DEP_1) | instskip(NEXT) | instid1(VALU_DEP_1)
	v_dual_add_f32 v1, v1, v142 :: v_dual_add_f32 v2, v2, v155
	v_dual_add_f32 v1, v1, v146 :: v_dual_add_f32 v2, v2, v156
	s_delay_alu instid0(VALU_DEP_1) | instskip(NEXT) | instid1(VALU_DEP_1)
	v_add_f32_e32 v1, v1, v147
	v_dual_add_f32 v2, v2, v159 :: v_dual_add_f32 v1, v1, v148
	s_delay_alu instid0(VALU_DEP_1) | instskip(NEXT) | instid1(VALU_DEP_1)
	v_add_f32_e32 v2, v2, v161
	;; [unrolled: 3-line block ×3, first 2 shown]
	v_dual_add_f32 v2, v2, v165 :: v_dual_add_f32 v1, v1, v14
	s_delay_alu instid0(VALU_DEP_1) | instskip(NEXT) | instid1(VALU_DEP_1)
	v_dual_add_f32 v2, v2, v167 :: v_dual_add_f32 v1, v1, v16
	v_add_f32_e32 v2, v2, v169
	s_delay_alu instid0(VALU_DEP_2) | instskip(NEXT) | instid1(VALU_DEP_1)
	v_add_f32_e32 v1, v1, v17
	v_add_f32_e32 v1, v1, v152
	s_delay_alu instid0(VALU_DEP_1) | instskip(NEXT) | instid1(VALU_DEP_1)
	v_add_f32_e32 v1, v1, v153
	v_add_f32_e32 v1, v1, v157
	s_delay_alu instid0(VALU_DEP_1) | instskip(NEXT) | instid1(VALU_DEP_1)
	v_add_f32_e32 v1, v1, v158
	v_add_f32_e32 v1, v1, v160
	s_delay_alu instid0(VALU_DEP_1) | instskip(NEXT) | instid1(VALU_DEP_1)
	v_add_f32_e32 v1, v1, v162
	v_add_f32_e32 v1, v1, v164
	s_delay_alu instid0(VALU_DEP_1) | instskip(NEXT) | instid1(VALU_DEP_1)
	v_add_f32_e32 v1, v1, v166
	v_add_f32_e32 v1, v1, v168
	s_delay_alu instid0(VALU_DEP_1) | instskip(NEXT) | instid1(VALU_DEP_1)
	v_add_f32_e32 v1, v1, v170
	v_add_f32_e32 v1, v1, v172
	s_delay_alu instid0(VALU_DEP_1) | instskip(NEXT) | instid1(VALU_DEP_1)
	v_add_f32_e32 v1, v1, v174
	v_add_f32_e32 v1, v1, v176
	s_delay_alu instid0(VALU_DEP_1) | instskip(NEXT) | instid1(VALU_DEP_1)
	v_add_f32_e32 v1, v1, v178
	v_add_f32_e32 v1, v1, v180
	s_delay_alu instid0(VALU_DEP_1) | instskip(SKIP_1) | instid1(VALU_DEP_2)
	v_add_f32_e32 v6, v1, v182
	v_add_f32_e32 v2, v2, v171
	;; [unrolled: 1-line block ×3, first 2 shown]
	s_delay_alu instid0(VALU_DEP_2) | instskip(NEXT) | instid1(VALU_DEP_2)
	v_add_f32_e32 v2, v2, v173
	v_add_f32_e32 v13, v6, v186
	s_delay_alu instid0(VALU_DEP_1) | instskip(NEXT) | instid1(VALU_DEP_1)
	v_dual_add_f32 v2, v2, v175 :: v_dual_add_f32 v13, v13, v188
	v_dual_add_f32 v2, v2, v177 :: v_dual_add_f32 v13, v13, v190
	s_delay_alu instid0(VALU_DEP_1) | instskip(SKIP_3) | instid1(VALU_DEP_2)
	v_add_f32_e32 v5, v2, v179
	ds_load_2addr_b64 v[1:4], v21 offset0:107 offset1:108
	v_add_f32_e32 v13, v13, v192
	v_add_f32_e32 v5, v5, v181
	;; [unrolled: 1-line block ×3, first 2 shown]
	s_delay_alu instid0(VALU_DEP_1) | instskip(NEXT) | instid1(VALU_DEP_1)
	v_dual_add_f32 v5, v5, v183 :: v_dual_add_f32 v18, v18, v196
	v_add_f32_e32 v14, v5, v185
	ds_load_2addr_b64 v[5:8], v21 offset0:109 offset1:110
	v_add_f32_e32 v18, v18, v198
	s_wait_loadcnt_dscnt 0x1
	v_dual_mul_f32 v142, v1, v10 :: v_dual_mul_f32 v143, v3, v12
	v_mul_f32_e32 v10, v2, v10
	v_mul_f32_e32 v12, v4, v12
	v_add_f32_e32 v22, v18, v200
	s_delay_alu instid0(VALU_DEP_4) | instskip(NEXT) | instid1(VALU_DEP_4)
	v_dual_fmac_f32 v142, v2, v9 :: v_dual_fmac_f32 v143, v4, v11
	v_fma_f32 v144, v1, v9, -v10
	s_delay_alu instid0(VALU_DEP_4) | instskip(SKIP_4) | instid1(VALU_DEP_1)
	v_fma_f32 v145, v3, v11, -v12
	s_clause 0x1
	scratch_load_b128 v[1:4], off, off offset:408
	scratch_load_b128 v[9:12], off, off offset:424
	v_add_f32_e32 v146, v22, v202
	v_add_f32_e32 v146, v146, v204
	s_delay_alu instid0(VALU_DEP_1) | instskip(NEXT) | instid1(VALU_DEP_1)
	v_add_f32_e32 v146, v146, v206
	v_add_f32_e32 v146, v146, v208
	s_delay_alu instid0(VALU_DEP_1) | instskip(NEXT) | instid1(VALU_DEP_1)
	v_add_f32_e32 v146, v146, v210
	v_add_f32_e32 v144, v146, v144
	s_wait_loadcnt_dscnt 0x100
	v_mul_f32_e32 v148, v5, v2
	v_dual_add_f32 v14, v14, v187 :: v_dual_mul_f32 v149, v7, v4
	v_mul_f32_e32 v4, v8, v4
	v_mul_f32_e32 v2, v6, v2
	s_delay_alu instid0(VALU_DEP_4) | instskip(NEXT) | instid1(VALU_DEP_4)
	v_fmac_f32_e32 v148, v6, v1
	v_dual_add_f32 v14, v14, v189 :: v_dual_fmac_f32 v149, v8, v3
	s_delay_alu instid0(VALU_DEP_4) | instskip(NEXT) | instid1(VALU_DEP_4)
	v_fma_f32 v3, v7, v3, -v4
	v_fma_f32 v2, v5, v1, -v2
	v_add_f32_e32 v1, v144, v145
	s_delay_alu instid0(VALU_DEP_4) | instskip(SKIP_3) | instid1(VALU_DEP_2)
	v_add_f32_e32 v17, v14, v191
	scratch_load_b128 v[13:16], off, off offset:440
	v_add_f32_e32 v1, v1, v2
	v_add_f32_e32 v17, v17, v193
	;; [unrolled: 1-line block ×3, first 2 shown]
	s_delay_alu instid0(VALU_DEP_2) | instskip(NEXT) | instid1(VALU_DEP_1)
	v_add_f32_e32 v17, v17, v195
	v_add_f32_e32 v17, v17, v197
	s_delay_alu instid0(VALU_DEP_1)
	v_add_f32_e32 v23, v17, v199
	ds_load_2addr_b64 v[17:20], v21 offset0:111 offset1:112
	v_add_f32_e32 v147, v23, v201
	ds_load_2addr_b64 v[21:24], v21 offset0:113 offset1:114
	v_add_f32_e32 v147, v147, v203
	s_wait_loadcnt_dscnt 0x101
	s_delay_alu instid0(VALU_DEP_1) | instskip(SKIP_2) | instid1(VALU_DEP_2)
	v_dual_add_f32 v147, v147, v205 :: v_dual_mul_f32 v150, v17, v10
	v_dual_mul_f32 v6, v18, v10 :: v_dual_mul_f32 v151, v19, v12
	v_mul_f32_e32 v4, v20, v12
	v_dual_fmac_f32 v150, v18, v9 :: v_dual_fmac_f32 v151, v20, v11
	s_delay_alu instid0(VALU_DEP_2) | instskip(SKIP_3) | instid1(VALU_DEP_2)
	v_fma_f32 v4, v19, v11, -v4
	s_wait_loadcnt_dscnt 0x0
	v_mul_f32_e32 v146, v23, v16
	v_dual_add_f32 v147, v147, v207 :: v_dual_mul_f32 v152, v21, v14
	v_dual_mul_f32 v3, v22, v14 :: v_dual_fmac_f32 v146, v24, v15
	s_delay_alu instid0(VALU_DEP_2) | instskip(NEXT) | instid1(VALU_DEP_3)
	v_add_f32_e32 v147, v147, v209
	v_fmac_f32_e32 v152, v22, v13
	s_delay_alu instid0(VALU_DEP_3) | instskip(NEXT) | instid1(VALU_DEP_3)
	v_fma_f32 v3, v21, v13, -v3
	v_add_f32_e32 v142, v147, v142
	s_delay_alu instid0(VALU_DEP_1) | instskip(NEXT) | instid1(VALU_DEP_1)
	v_add_f32_e32 v5, v142, v143
	v_add_f32_e32 v2, v5, v148
	v_fma_f32 v5, v17, v9, -v6
	s_delay_alu instid0(VALU_DEP_2) | instskip(NEXT) | instid1(VALU_DEP_2)
	v_add_f32_e32 v2, v2, v149
	v_add_f32_e32 v1, v1, v5
	s_delay_alu instid0(VALU_DEP_2) | instskip(NEXT) | instid1(VALU_DEP_2)
	v_dual_mul_f32 v5, v24, v16 :: v_dual_add_f32 v2, v2, v150
	v_add_f32_e32 v1, v1, v4
	s_delay_alu instid0(VALU_DEP_2) | instskip(NEXT) | instid1(VALU_DEP_3)
	v_fma_f32 v4, v23, v15, -v5
	v_add_f32_e32 v2, v2, v151
	s_delay_alu instid0(VALU_DEP_1) | instskip(NEXT) | instid1(VALU_DEP_1)
	v_dual_add_f32 v1, v1, v3 :: v_dual_add_f32 v2, v2, v152
	v_dual_add_f32 v1, v1, v4 :: v_dual_add_f32 v2, v2, v146
	s_delay_alu instid0(VALU_DEP_1)
	v_dual_sub_f32 v1, v139, v1 :: v_dual_sub_f32 v2, v140, v2
	scratch_store_b64 off, v[1:2], off offset:64
	v_cmpx_lt_u32_e32 7, v0
	s_cbranch_execz .LBB56_341
; %bb.340:
	scratch_load_b64 v[1:2], off, off offset:56
	v_mov_b32_e32 v3, 0
	s_delay_alu instid0(VALU_DEP_1)
	v_mov_b32_e32 v4, v3
	scratch_store_b64 off, v[3:4], off offset:56
	s_wait_loadcnt 0x0
	ds_store_b64 v141, v[1:2]
.LBB56_341:
	s_wait_alu 0xfffe
	s_or_b32 exec_lo, exec_lo, s0
	s_wait_storecnt_dscnt 0x0
	s_barrier_signal -1
	s_barrier_wait -1
	global_inv scope:SCOPE_SE
	s_clause 0x4
	scratch_load_b128 v[5:8], off, off offset:64
	scratch_load_b128 v[1:4], off, off offset:80
	;; [unrolled: 1-line block ×5, first 2 shown]
	v_mov_b32_e32 v139, 0
	ds_load_b128 v[21:24], v139 offset:528
	ds_load_b128 v[142:145], v139 offset:544
	ds_load_b128 v[146:149], v139 offset:560
	scratch_load_b64 v[150:151], off, off offset:56
	s_mov_b32 s0, exec_lo
	s_wait_loadcnt_dscnt 0x502
	v_mul_f32_e32 v140, v22, v6
	v_dual_mul_f32 v152, v21, v6 :: v_dual_mul_f32 v153, v23, v8
	v_mul_f32_e32 v6, v24, v8
	s_wait_loadcnt_dscnt 0x300
	v_mul_f32_e32 v154, v148, v12
	v_fma_f32 v21, v21, v5, -v140
	v_dual_fmac_f32 v152, v22, v5 :: v_dual_fmac_f32 v153, v24, v7
	v_fma_f32 v22, v23, v7, -v6
	ds_load_b128 v[5:8], v139 offset:576
	v_dual_mul_f32 v23, v142, v2 :: v_dual_mul_f32 v24, v144, v4
	v_mul_f32_e32 v4, v145, v4
	v_mul_f32_e32 v140, v146, v10
	;; [unrolled: 1-line block ×5, first 2 shown]
	v_dual_fmac_f32 v23, v143, v1 :: v_dual_fmac_f32 v24, v145, v3
	v_fma_f32 v143, v144, v3, -v4
	v_fmac_f32_e32 v140, v147, v9
	v_fma_f32 v144, v146, v9, -v10
	v_fmac_f32_e32 v154, v149, v11
	v_fma_f32 v145, v148, v11, -v12
	ds_load_b128 v[9:12], v139 offset:592
	s_wait_loadcnt_dscnt 0x201
	v_dual_mul_f32 v147, v7, v16 :: v_dual_mul_f32 v146, v5, v14
	v_mul_f32_e32 v14, v6, v14
	v_mul_f32_e32 v16, v8, v16
	s_delay_alu instid0(VALU_DEP_3)
	v_fmac_f32_e32 v147, v8, v15
	v_fma_f32 v142, v142, v1, -v2
	scratch_load_b128 v[1:4], off, off offset:144
	v_fmac_f32_e32 v146, v6, v13
	v_fma_f32 v13, v5, v13, -v14
	v_fma_f32 v14, v7, v15, -v16
	ds_load_b128 v[5:8], v139 offset:608
	s_wait_loadcnt_dscnt 0x201
	v_mul_f32_e32 v15, v9, v18
	v_mul_f32_e32 v16, v10, v18
	;; [unrolled: 1-line block ×3, first 2 shown]
	s_delay_alu instid0(VALU_DEP_3) | instskip(NEXT) | instid1(VALU_DEP_3)
	v_dual_mul_f32 v20, v12, v20 :: v_dual_fmac_f32 v15, v10, v17
	v_fma_f32 v16, v9, v17, -v16
	s_delay_alu instid0(VALU_DEP_3) | instskip(NEXT) | instid1(VALU_DEP_3)
	v_fmac_f32_e32 v18, v12, v19
	v_fma_f32 v17, v11, v19, -v20
	scratch_load_b128 v[9:12], off, off offset:160
	s_wait_loadcnt_dscnt 0x100
	v_mul_f32_e32 v19, v5, v2
	v_mul_f32_e32 v2, v6, v2
	;; [unrolled: 1-line block ×3, first 2 shown]
	s_delay_alu instid0(VALU_DEP_3) | instskip(NEXT) | instid1(VALU_DEP_3)
	v_dual_mul_f32 v4, v8, v4 :: v_dual_fmac_f32 v19, v6, v1
	v_fma_f32 v148, v5, v1, -v2
	s_delay_alu instid0(VALU_DEP_3) | instskip(NEXT) | instid1(VALU_DEP_3)
	v_fmac_f32_e32 v20, v8, v3
	v_fma_f32 v149, v7, v3, -v4
	ds_load_b128 v[1:4], v139 offset:624
	ds_load_b128 v[5:8], v139 offset:640
	s_wait_loadcnt_dscnt 0x1
	v_mul_f32_e32 v155, v1, v10
	v_mul_f32_e32 v10, v2, v10
	s_delay_alu instid0(VALU_DEP_2) | instskip(NEXT) | instid1(VALU_DEP_2)
	v_dual_mul_f32 v156, v3, v12 :: v_dual_fmac_f32 v155, v2, v9
	v_fma_f32 v157, v1, v9, -v10
	v_mul_f32_e32 v1, v4, v12
	s_delay_alu instid0(VALU_DEP_3) | instskip(NEXT) | instid1(VALU_DEP_2)
	v_fmac_f32_e32 v156, v4, v11
	v_fma_f32 v158, v3, v11, -v1
	s_clause 0x1
	scratch_load_b128 v[1:4], off, off offset:176
	scratch_load_b128 v[9:12], off, off offset:192
	s_wait_loadcnt_dscnt 0x100
	v_mul_f32_e32 v159, v5, v2
	v_dual_mul_f32 v2, v6, v2 :: v_dual_mul_f32 v161, v7, v4
	s_delay_alu instid0(VALU_DEP_2) | instskip(NEXT) | instid1(VALU_DEP_2)
	v_fmac_f32_e32 v159, v6, v1
	v_fma_f32 v160, v5, v1, -v2
	v_mul_f32_e32 v1, v8, v4
	s_delay_alu instid0(VALU_DEP_4) | instskip(NEXT) | instid1(VALU_DEP_2)
	v_fmac_f32_e32 v161, v8, v3
	v_fma_f32 v162, v7, v3, -v1
	ds_load_b128 v[1:4], v139 offset:656
	ds_load_b128 v[5:8], v139 offset:672
	s_wait_loadcnt_dscnt 0x1
	v_mul_f32_e32 v163, v1, v10
	v_mul_f32_e32 v165, v3, v12
	s_delay_alu instid0(VALU_DEP_2) | instskip(NEXT) | instid1(VALU_DEP_2)
	v_fmac_f32_e32 v163, v2, v9
	v_dual_mul_f32 v2, v2, v10 :: v_dual_fmac_f32 v165, v4, v11
	s_delay_alu instid0(VALU_DEP_1) | instskip(SKIP_1) | instid1(VALU_DEP_1)
	v_fma_f32 v164, v1, v9, -v2
	v_mul_f32_e32 v1, v4, v12
	v_fma_f32 v166, v3, v11, -v1
	s_clause 0x1
	scratch_load_b128 v[1:4], off, off offset:208
	scratch_load_b128 v[9:12], off, off offset:224
	s_wait_loadcnt_dscnt 0x100
	v_mul_f32_e32 v167, v5, v2
	v_dual_mul_f32 v2, v6, v2 :: v_dual_mul_f32 v169, v7, v4
	s_delay_alu instid0(VALU_DEP_2) | instskip(NEXT) | instid1(VALU_DEP_2)
	v_fmac_f32_e32 v167, v6, v1
	v_fma_f32 v168, v5, v1, -v2
	v_mul_f32_e32 v1, v8, v4
	s_delay_alu instid0(VALU_DEP_4) | instskip(NEXT) | instid1(VALU_DEP_2)
	v_fmac_f32_e32 v169, v8, v3
	v_fma_f32 v170, v7, v3, -v1
	ds_load_b128 v[1:4], v139 offset:688
	ds_load_b128 v[5:8], v139 offset:704
	s_wait_loadcnt_dscnt 0x1
	v_mul_f32_e32 v171, v1, v10
	v_mul_f32_e32 v173, v3, v12
	s_delay_alu instid0(VALU_DEP_2) | instskip(NEXT) | instid1(VALU_DEP_2)
	v_fmac_f32_e32 v171, v2, v9
	v_dual_mul_f32 v2, v2, v10 :: v_dual_fmac_f32 v173, v4, v11
	s_delay_alu instid0(VALU_DEP_1) | instskip(SKIP_1) | instid1(VALU_DEP_1)
	v_fma_f32 v172, v1, v9, -v2
	v_mul_f32_e32 v1, v4, v12
	;; [unrolled: 25-line block ×6, first 2 shown]
	v_fma_f32 v206, v3, v11, -v1
	s_clause 0x1
	scratch_load_b128 v[1:4], off, off offset:368
	scratch_load_b128 v[9:12], off, off offset:384
	s_wait_loadcnt_dscnt 0x100
	v_mul_f32_e32 v207, v5, v2
	v_mul_f32_e32 v2, v6, v2
	s_delay_alu instid0(VALU_DEP_2) | instskip(NEXT) | instid1(VALU_DEP_2)
	v_fmac_f32_e32 v207, v6, v1
	v_fma_f32 v208, v5, v1, -v2
	v_add_f32_e32 v2, 0, v152
	s_delay_alu instid0(VALU_DEP_1) | instskip(NEXT) | instid1(VALU_DEP_1)
	v_dual_mul_f32 v1, v8, v4 :: v_dual_add_f32 v2, v2, v153
	v_fma_f32 v210, v7, v3, -v1
	s_delay_alu instid0(VALU_DEP_2) | instskip(NEXT) | instid1(VALU_DEP_1)
	v_dual_add_f32 v1, 0, v21 :: v_dual_add_f32 v2, v2, v23
	v_dual_add_f32 v1, v1, v22 :: v_dual_add_f32 v2, v2, v24
	s_delay_alu instid0(VALU_DEP_1) | instskip(NEXT) | instid1(VALU_DEP_1)
	v_add_f32_e32 v2, v2, v140
	v_add_f32_e32 v2, v2, v154
	s_delay_alu instid0(VALU_DEP_1) | instskip(NEXT) | instid1(VALU_DEP_1)
	v_add_f32_e32 v2, v2, v146
	v_dual_add_f32 v1, v1, v142 :: v_dual_add_f32 v2, v2, v147
	s_delay_alu instid0(VALU_DEP_1) | instskip(SKIP_2) | instid1(VALU_DEP_1)
	v_add_f32_e32 v1, v1, v143
	scratch_load_b64 v[142:143], off, off offset:448
	v_dual_add_f32 v2, v2, v15 :: v_dual_add_f32 v1, v1, v144
	v_dual_add_f32 v2, v2, v18 :: v_dual_add_f32 v1, v1, v145
	s_delay_alu instid0(VALU_DEP_1) | instskip(NEXT) | instid1(VALU_DEP_1)
	v_dual_add_f32 v2, v2, v19 :: v_dual_add_f32 v1, v1, v13
	v_dual_add_f32 v2, v2, v20 :: v_dual_add_f32 v1, v1, v14
	s_delay_alu instid0(VALU_DEP_1) | instskip(NEXT) | instid1(VALU_DEP_1)
	;; [unrolled: 3-line block ×3, first 2 shown]
	v_dual_add_f32 v2, v2, v159 :: v_dual_add_f32 v1, v1, v148
	v_add_f32_e32 v2, v2, v161
	s_delay_alu instid0(VALU_DEP_1) | instskip(NEXT) | instid1(VALU_DEP_1)
	v_dual_add_f32 v1, v1, v149 :: v_dual_add_f32 v2, v2, v163
	v_add_f32_e32 v1, v1, v157
	s_delay_alu instid0(VALU_DEP_1) | instskip(NEXT) | instid1(VALU_DEP_1)
	v_dual_add_f32 v2, v2, v165 :: v_dual_add_f32 v1, v1, v158
	v_dual_add_f32 v2, v2, v167 :: v_dual_add_f32 v1, v1, v160
	s_delay_alu instid0(VALU_DEP_1) | instskip(NEXT) | instid1(VALU_DEP_1)
	v_dual_add_f32 v2, v2, v169 :: v_dual_add_f32 v1, v1, v162
	v_dual_add_f32 v2, v2, v171 :: v_dual_add_f32 v1, v1, v164
	s_delay_alu instid0(VALU_DEP_1) | instskip(NEXT) | instid1(VALU_DEP_1)
	v_dual_add_f32 v2, v2, v173 :: v_dual_add_f32 v1, v1, v166
	v_add_f32_e32 v1, v1, v168
	s_delay_alu instid0(VALU_DEP_1) | instskip(NEXT) | instid1(VALU_DEP_1)
	v_add_f32_e32 v1, v1, v170
	v_add_f32_e32 v1, v1, v172
	s_delay_alu instid0(VALU_DEP_1) | instskip(NEXT) | instid1(VALU_DEP_1)
	v_add_f32_e32 v1, v1, v174
	;; [unrolled: 3-line block ×3, first 2 shown]
	v_add_f32_e32 v1, v1, v180
	s_delay_alu instid0(VALU_DEP_1) | instskip(SKIP_1) | instid1(VALU_DEP_2)
	v_add_f32_e32 v6, v1, v182
	v_add_f32_e32 v2, v2, v175
	;; [unrolled: 1-line block ×3, first 2 shown]
	s_delay_alu instid0(VALU_DEP_2) | instskip(NEXT) | instid1(VALU_DEP_2)
	v_add_f32_e32 v2, v2, v177
	v_add_f32_e32 v13, v6, v186
	s_delay_alu instid0(VALU_DEP_2) | instskip(NEXT) | instid1(VALU_DEP_2)
	v_add_f32_e32 v5, v2, v179
	v_add_f32_e32 v13, v13, v188
	;; [unrolled: 3-line block ×3, first 2 shown]
	s_delay_alu instid0(VALU_DEP_2) | instskip(SKIP_1) | instid1(VALU_DEP_3)
	v_add_f32_e32 v5, v5, v183
	v_mul_f32_e32 v209, v7, v4
	v_add_f32_e32 v13, v13, v192
	s_delay_alu instid0(VALU_DEP_2) | instskip(SKIP_3) | instid1(VALU_DEP_1)
	v_dual_add_f32 v14, v5, v185 :: v_dual_fmac_f32 v209, v8, v3
	ds_load_b128 v[1:4], v139 offset:848
	ds_load_b128 v[5:8], v139 offset:864
	v_add_f32_e32 v18, v13, v194
	v_add_f32_e32 v18, v18, v196
	s_delay_alu instid0(VALU_DEP_1) | instskip(NEXT) | instid1(VALU_DEP_1)
	v_add_f32_e32 v18, v18, v198
	v_add_f32_e32 v18, v18, v200
	s_wait_loadcnt_dscnt 0x101
	v_mul_f32_e32 v140, v1, v10
	v_mul_f32_e32 v10, v2, v10
	;; [unrolled: 1-line block ×4, first 2 shown]
	v_add_f32_e32 v14, v14, v187
	v_fmac_f32_e32 v140, v2, v9
	v_fma_f32 v147, v1, v9, -v10
	v_fmac_f32_e32 v146, v4, v11
	v_fma_f32 v148, v3, v11, -v12
	s_clause 0x1
	scratch_load_b128 v[1:4], off, off offset:400
	scratch_load_b128 v[9:12], off, off offset:416
	v_add_f32_e32 v14, v14, v189
	v_add_f32_e32 v18, v18, v202
	s_delay_alu instid0(VALU_DEP_2) | instskip(SKIP_2) | instid1(VALU_DEP_1)
	v_add_f32_e32 v17, v14, v191
	scratch_load_b128 v[13:16], off, off offset:432
	v_dual_add_f32 v144, v18, v204 :: v_dual_add_f32 v17, v17, v193
	v_add_f32_e32 v149, v144, v206
	s_delay_alu instid0(VALU_DEP_2) | instskip(NEXT) | instid1(VALU_DEP_2)
	v_add_f32_e32 v17, v17, v195
	v_add_f32_e32 v149, v149, v208
	s_delay_alu instid0(VALU_DEP_2) | instskip(NEXT) | instid1(VALU_DEP_2)
	v_add_f32_e32 v17, v17, v197
	v_add_f32_e32 v149, v149, v210
	s_delay_alu instid0(VALU_DEP_2) | instskip(NEXT) | instid1(VALU_DEP_2)
	v_add_f32_e32 v17, v17, v199
	v_add_f32_e32 v147, v149, v147
	s_delay_alu instid0(VALU_DEP_2)
	v_add_f32_e32 v21, v17, v201
	ds_load_b128 v[17:20], v139 offset:880
	v_add_f32_e32 v147, v147, v148
	s_wait_loadcnt_dscnt 0x201
	v_dual_mul_f32 v154, v7, v4 :: v_dual_add_f32 v145, v21, v203
	v_mul_f32_e32 v4, v8, v4
	ds_load_b128 v[21:24], v139 offset:896
	v_mul_f32_e32 v153, v5, v2
	v_mul_f32_e32 v2, v6, v2
	v_add_f32_e32 v152, v145, v205
	ds_load_b64 v[144:145], v139 offset:912
	s_wait_loadcnt_dscnt 0x102
	v_mul_f32_e32 v149, v17, v10
	v_fmac_f32_e32 v153, v6, v1
	v_fma_f32 v2, v5, v1, -v2
	v_add_f32_e32 v152, v152, v207
	v_fmac_f32_e32 v154, v8, v3
	v_fma_f32 v1, v7, v3, -v4
	v_mul_f32_e32 v3, v18, v10
	v_add_f32_e32 v2, v147, v2
	v_add_f32_e32 v152, v152, v209
	v_mul_f32_e32 v5, v20, v12
	v_fmac_f32_e32 v149, v18, v9
	v_fma_f32 v3, v17, v9, -v3
	s_delay_alu instid0(VALU_DEP_4) | instskip(SKIP_3) | instid1(VALU_DEP_3)
	v_dual_add_f32 v1, v2, v1 :: v_dual_add_f32 v140, v152, v140
	s_wait_loadcnt_dscnt 0x1
	v_dual_mul_f32 v152, v19, v12 :: v_dual_mul_f32 v155, v21, v14
	v_fma_f32 v5, v19, v11, -v5
	v_dual_add_f32 v1, v1, v3 :: v_dual_add_f32 v140, v140, v146
	s_delay_alu instid0(VALU_DEP_3)
	v_fmac_f32_e32 v152, v20, v11
	v_mul_f32_e32 v148, v23, v16
	v_mul_f32_e32 v3, v24, v16
	v_fmac_f32_e32 v155, v22, v13
	v_add_f32_e32 v4, v140, v153
	s_wait_dscnt 0x0
	v_dual_add_f32 v1, v1, v5 :: v_dual_mul_f32 v146, v144, v143
	v_mul_f32_e32 v5, v145, v143
	v_fmac_f32_e32 v148, v24, v15
	v_add_f32_e32 v2, v4, v154
	v_mul_f32_e32 v4, v22, v14
	v_fma_f32 v3, v23, v15, -v3
	v_fmac_f32_e32 v146, v145, v142
	s_delay_alu instid0(VALU_DEP_4) | instskip(NEXT) | instid1(VALU_DEP_4)
	v_add_f32_e32 v2, v2, v149
	v_fma_f32 v4, v21, v13, -v4
	s_delay_alu instid0(VALU_DEP_2) | instskip(NEXT) | instid1(VALU_DEP_2)
	v_add_f32_e32 v2, v2, v152
	v_add_f32_e32 v1, v1, v4
	v_fma_f32 v4, v144, v142, -v5
	s_delay_alu instid0(VALU_DEP_3) | instskip(NEXT) | instid1(VALU_DEP_1)
	v_add_f32_e32 v2, v2, v155
	v_dual_add_f32 v1, v1, v3 :: v_dual_add_f32 v2, v2, v148
	s_delay_alu instid0(VALU_DEP_1) | instskip(NEXT) | instid1(VALU_DEP_1)
	v_dual_add_f32 v1, v1, v4 :: v_dual_add_f32 v2, v2, v146
	v_dual_sub_f32 v1, v150, v1 :: v_dual_sub_f32 v2, v151, v2
	scratch_store_b64 off, v[1:2], off offset:56
	v_cmpx_lt_u32_e32 6, v0
	s_cbranch_execz .LBB56_343
; %bb.342:
	scratch_load_b64 v[1:2], off, off offset:48
	v_mov_b32_e32 v140, v139
	scratch_store_b64 off, v[139:140], off offset:48
	s_wait_loadcnt 0x0
	ds_store_b64 v141, v[1:2]
.LBB56_343:
	s_wait_alu 0xfffe
	s_or_b32 exec_lo, exec_lo, s0
	s_wait_storecnt_dscnt 0x0
	s_barrier_signal -1
	s_barrier_wait -1
	global_inv scope:SCOPE_SE
	s_clause 0x4
	scratch_load_b128 v[5:8], off, off offset:56
	scratch_load_b128 v[1:4], off, off offset:72
	;; [unrolled: 1-line block ×5, first 2 shown]
	ds_load_2addr_b64 v[21:24], v139 offset0:65 offset1:66
	ds_load_2addr_b64 v[142:145], v139 offset0:67 offset1:68
	;; [unrolled: 1-line block ×3, first 2 shown]
	scratch_load_b64 v[150:151], off, off offset:48
	s_mov_b32 s0, exec_lo
	s_wait_loadcnt_dscnt 0x502
	v_mul_f32_e32 v140, v21, v6
	v_mul_f32_e32 v152, v23, v8
	s_wait_loadcnt_dscnt 0x300
	v_dual_mul_f32 v8, v24, v8 :: v_dual_mul_f32 v153, v146, v10
	v_mul_f32_e32 v6, v22, v6
	v_fmac_f32_e32 v140, v22, v5
	v_mul_f32_e32 v10, v147, v10
	s_delay_alu instid0(VALU_DEP_4)
	v_fma_f32 v22, v23, v7, -v8
	v_dual_mul_f32 v23, v142, v2 :: v_dual_fmac_f32 v152, v24, v7
	v_fmac_f32_e32 v153, v147, v9
	v_fma_f32 v21, v21, v5, -v6
	ds_load_2addr_b64 v[5:8], v139 offset0:71 offset1:72
	v_mul_f32_e32 v24, v144, v4
	v_mul_f32_e32 v4, v145, v4
	;; [unrolled: 1-line block ×5, first 2 shown]
	v_dual_fmac_f32 v23, v143, v1 :: v_dual_fmac_f32 v24, v145, v3
	v_fma_f32 v143, v144, v3, -v4
	v_fma_f32 v144, v146, v9, -v10
	v_fmac_f32_e32 v154, v149, v11
	v_fma_f32 v145, v148, v11, -v12
	ds_load_2addr_b64 v[9:12], v139 offset0:73 offset1:74
	s_wait_loadcnt_dscnt 0x201
	v_dual_mul_f32 v147, v7, v16 :: v_dual_mul_f32 v146, v5, v14
	v_mul_f32_e32 v14, v6, v14
	v_mul_f32_e32 v16, v8, v16
	s_delay_alu instid0(VALU_DEP_3)
	v_fmac_f32_e32 v147, v8, v15
	v_fma_f32 v142, v142, v1, -v2
	scratch_load_b128 v[1:4], off, off offset:136
	v_fmac_f32_e32 v146, v6, v13
	v_fma_f32 v13, v5, v13, -v14
	v_fma_f32 v14, v7, v15, -v16
	ds_load_2addr_b64 v[5:8], v139 offset0:75 offset1:76
	s_wait_loadcnt_dscnt 0x201
	v_mul_f32_e32 v15, v9, v18
	v_mul_f32_e32 v16, v10, v18
	;; [unrolled: 1-line block ×3, first 2 shown]
	s_delay_alu instid0(VALU_DEP_3) | instskip(NEXT) | instid1(VALU_DEP_3)
	v_dual_mul_f32 v20, v12, v20 :: v_dual_fmac_f32 v15, v10, v17
	v_fma_f32 v16, v9, v17, -v16
	s_delay_alu instid0(VALU_DEP_3) | instskip(NEXT) | instid1(VALU_DEP_3)
	v_fmac_f32_e32 v18, v12, v19
	v_fma_f32 v17, v11, v19, -v20
	scratch_load_b128 v[9:12], off, off offset:152
	s_wait_loadcnt_dscnt 0x100
	v_mul_f32_e32 v19, v5, v2
	v_mul_f32_e32 v2, v6, v2
	;; [unrolled: 1-line block ×3, first 2 shown]
	s_delay_alu instid0(VALU_DEP_3) | instskip(NEXT) | instid1(VALU_DEP_3)
	v_dual_mul_f32 v4, v8, v4 :: v_dual_fmac_f32 v19, v6, v1
	v_fma_f32 v148, v5, v1, -v2
	s_delay_alu instid0(VALU_DEP_3) | instskip(NEXT) | instid1(VALU_DEP_3)
	v_fmac_f32_e32 v20, v8, v3
	v_fma_f32 v149, v7, v3, -v4
	ds_load_2addr_b64 v[1:4], v139 offset0:77 offset1:78
	ds_load_2addr_b64 v[5:8], v139 offset0:79 offset1:80
	s_wait_loadcnt_dscnt 0x1
	v_mul_f32_e32 v155, v1, v10
	v_mul_f32_e32 v10, v2, v10
	s_delay_alu instid0(VALU_DEP_2) | instskip(NEXT) | instid1(VALU_DEP_2)
	v_dual_mul_f32 v156, v3, v12 :: v_dual_fmac_f32 v155, v2, v9
	v_fma_f32 v157, v1, v9, -v10
	v_mul_f32_e32 v1, v4, v12
	s_delay_alu instid0(VALU_DEP_3) | instskip(NEXT) | instid1(VALU_DEP_2)
	v_fmac_f32_e32 v156, v4, v11
	v_fma_f32 v158, v3, v11, -v1
	s_clause 0x1
	scratch_load_b128 v[1:4], off, off offset:168
	scratch_load_b128 v[9:12], off, off offset:184
	s_wait_loadcnt_dscnt 0x100
	v_mul_f32_e32 v159, v5, v2
	v_dual_mul_f32 v2, v6, v2 :: v_dual_mul_f32 v161, v7, v4
	s_delay_alu instid0(VALU_DEP_2) | instskip(NEXT) | instid1(VALU_DEP_2)
	v_fmac_f32_e32 v159, v6, v1
	v_fma_f32 v160, v5, v1, -v2
	v_mul_f32_e32 v1, v8, v4
	s_delay_alu instid0(VALU_DEP_4) | instskip(NEXT) | instid1(VALU_DEP_2)
	v_fmac_f32_e32 v161, v8, v3
	v_fma_f32 v162, v7, v3, -v1
	ds_load_2addr_b64 v[1:4], v139 offset0:81 offset1:82
	ds_load_2addr_b64 v[5:8], v139 offset0:83 offset1:84
	s_wait_loadcnt_dscnt 0x1
	v_mul_f32_e32 v163, v1, v10
	v_mul_f32_e32 v165, v3, v12
	s_delay_alu instid0(VALU_DEP_2) | instskip(NEXT) | instid1(VALU_DEP_2)
	v_fmac_f32_e32 v163, v2, v9
	v_dual_mul_f32 v2, v2, v10 :: v_dual_fmac_f32 v165, v4, v11
	s_delay_alu instid0(VALU_DEP_1) | instskip(SKIP_1) | instid1(VALU_DEP_1)
	v_fma_f32 v164, v1, v9, -v2
	v_mul_f32_e32 v1, v4, v12
	v_fma_f32 v166, v3, v11, -v1
	s_clause 0x1
	scratch_load_b128 v[1:4], off, off offset:200
	scratch_load_b128 v[9:12], off, off offset:216
	s_wait_loadcnt_dscnt 0x100
	v_mul_f32_e32 v167, v5, v2
	v_dual_mul_f32 v2, v6, v2 :: v_dual_mul_f32 v169, v7, v4
	s_delay_alu instid0(VALU_DEP_2) | instskip(NEXT) | instid1(VALU_DEP_2)
	v_fmac_f32_e32 v167, v6, v1
	v_fma_f32 v168, v5, v1, -v2
	v_mul_f32_e32 v1, v8, v4
	s_delay_alu instid0(VALU_DEP_4) | instskip(NEXT) | instid1(VALU_DEP_2)
	v_fmac_f32_e32 v169, v8, v3
	v_fma_f32 v170, v7, v3, -v1
	ds_load_2addr_b64 v[1:4], v139 offset0:85 offset1:86
	ds_load_2addr_b64 v[5:8], v139 offset0:87 offset1:88
	s_wait_loadcnt_dscnt 0x1
	v_mul_f32_e32 v171, v1, v10
	v_mul_f32_e32 v173, v3, v12
	s_delay_alu instid0(VALU_DEP_2) | instskip(NEXT) | instid1(VALU_DEP_2)
	v_fmac_f32_e32 v171, v2, v9
	v_dual_mul_f32 v2, v2, v10 :: v_dual_fmac_f32 v173, v4, v11
	s_delay_alu instid0(VALU_DEP_1) | instskip(SKIP_1) | instid1(VALU_DEP_1)
	v_fma_f32 v172, v1, v9, -v2
	v_mul_f32_e32 v1, v4, v12
	v_fma_f32 v174, v3, v11, -v1
	s_clause 0x1
	scratch_load_b128 v[1:4], off, off offset:232
	scratch_load_b128 v[9:12], off, off offset:248
	s_wait_loadcnt_dscnt 0x100
	v_mul_f32_e32 v175, v5, v2
	v_dual_mul_f32 v2, v6, v2 :: v_dual_mul_f32 v177, v7, v4
	s_delay_alu instid0(VALU_DEP_2) | instskip(NEXT) | instid1(VALU_DEP_2)
	v_fmac_f32_e32 v175, v6, v1
	v_fma_f32 v176, v5, v1, -v2
	v_mul_f32_e32 v1, v8, v4
	s_delay_alu instid0(VALU_DEP_4) | instskip(NEXT) | instid1(VALU_DEP_2)
	v_fmac_f32_e32 v177, v8, v3
	v_fma_f32 v178, v7, v3, -v1
	ds_load_2addr_b64 v[1:4], v139 offset0:89 offset1:90
	ds_load_2addr_b64 v[5:8], v139 offset0:91 offset1:92
	s_wait_loadcnt_dscnt 0x1
	v_mul_f32_e32 v179, v1, v10
	v_mul_f32_e32 v181, v3, v12
	s_delay_alu instid0(VALU_DEP_2) | instskip(NEXT) | instid1(VALU_DEP_2)
	v_fmac_f32_e32 v179, v2, v9
	v_dual_mul_f32 v2, v2, v10 :: v_dual_fmac_f32 v181, v4, v11
	s_delay_alu instid0(VALU_DEP_1) | instskip(SKIP_1) | instid1(VALU_DEP_1)
	v_fma_f32 v180, v1, v9, -v2
	v_mul_f32_e32 v1, v4, v12
	v_fma_f32 v182, v3, v11, -v1
	s_clause 0x1
	scratch_load_b128 v[1:4], off, off offset:264
	scratch_load_b128 v[9:12], off, off offset:280
	s_wait_loadcnt_dscnt 0x100
	v_mul_f32_e32 v183, v5, v2
	v_dual_mul_f32 v2, v6, v2 :: v_dual_mul_f32 v185, v7, v4
	s_delay_alu instid0(VALU_DEP_2) | instskip(NEXT) | instid1(VALU_DEP_2)
	v_fmac_f32_e32 v183, v6, v1
	v_fma_f32 v184, v5, v1, -v2
	v_mul_f32_e32 v1, v8, v4
	s_delay_alu instid0(VALU_DEP_4) | instskip(NEXT) | instid1(VALU_DEP_2)
	v_fmac_f32_e32 v185, v8, v3
	v_fma_f32 v186, v7, v3, -v1
	ds_load_2addr_b64 v[1:4], v139 offset0:93 offset1:94
	ds_load_2addr_b64 v[5:8], v139 offset0:95 offset1:96
	s_wait_loadcnt_dscnt 0x1
	v_mul_f32_e32 v187, v1, v10
	v_mul_f32_e32 v189, v3, v12
	s_delay_alu instid0(VALU_DEP_2) | instskip(NEXT) | instid1(VALU_DEP_2)
	v_fmac_f32_e32 v187, v2, v9
	v_dual_mul_f32 v2, v2, v10 :: v_dual_fmac_f32 v189, v4, v11
	s_delay_alu instid0(VALU_DEP_1) | instskip(SKIP_1) | instid1(VALU_DEP_1)
	v_fma_f32 v188, v1, v9, -v2
	v_mul_f32_e32 v1, v4, v12
	v_fma_f32 v190, v3, v11, -v1
	s_clause 0x1
	scratch_load_b128 v[1:4], off, off offset:296
	scratch_load_b128 v[9:12], off, off offset:312
	s_wait_loadcnt_dscnt 0x100
	v_mul_f32_e32 v191, v5, v2
	v_dual_mul_f32 v2, v6, v2 :: v_dual_mul_f32 v193, v7, v4
	s_delay_alu instid0(VALU_DEP_2) | instskip(NEXT) | instid1(VALU_DEP_2)
	v_fmac_f32_e32 v191, v6, v1
	v_fma_f32 v192, v5, v1, -v2
	v_mul_f32_e32 v1, v8, v4
	s_delay_alu instid0(VALU_DEP_4) | instskip(NEXT) | instid1(VALU_DEP_2)
	v_fmac_f32_e32 v193, v8, v3
	v_fma_f32 v194, v7, v3, -v1
	ds_load_2addr_b64 v[1:4], v139 offset0:97 offset1:98
	ds_load_2addr_b64 v[5:8], v139 offset0:99 offset1:100
	s_wait_loadcnt_dscnt 0x1
	v_mul_f32_e32 v195, v1, v10
	v_mul_f32_e32 v197, v3, v12
	s_delay_alu instid0(VALU_DEP_2) | instskip(NEXT) | instid1(VALU_DEP_2)
	v_fmac_f32_e32 v195, v2, v9
	v_dual_mul_f32 v2, v2, v10 :: v_dual_fmac_f32 v197, v4, v11
	s_delay_alu instid0(VALU_DEP_1) | instskip(SKIP_1) | instid1(VALU_DEP_1)
	v_fma_f32 v196, v1, v9, -v2
	v_mul_f32_e32 v1, v4, v12
	v_fma_f32 v198, v3, v11, -v1
	s_clause 0x1
	scratch_load_b128 v[1:4], off, off offset:328
	scratch_load_b128 v[9:12], off, off offset:344
	s_wait_loadcnt_dscnt 0x100
	v_mul_f32_e32 v199, v5, v2
	v_dual_mul_f32 v2, v6, v2 :: v_dual_mul_f32 v201, v7, v4
	s_delay_alu instid0(VALU_DEP_2) | instskip(NEXT) | instid1(VALU_DEP_2)
	v_fmac_f32_e32 v199, v6, v1
	v_fma_f32 v200, v5, v1, -v2
	v_mul_f32_e32 v1, v8, v4
	s_delay_alu instid0(VALU_DEP_4) | instskip(NEXT) | instid1(VALU_DEP_2)
	v_fmac_f32_e32 v201, v8, v3
	v_fma_f32 v202, v7, v3, -v1
	ds_load_2addr_b64 v[1:4], v139 offset0:101 offset1:102
	ds_load_2addr_b64 v[5:8], v139 offset0:103 offset1:104
	s_wait_loadcnt_dscnt 0x1
	v_mul_f32_e32 v203, v1, v10
	v_mul_f32_e32 v205, v3, v12
	s_delay_alu instid0(VALU_DEP_2) | instskip(NEXT) | instid1(VALU_DEP_2)
	v_fmac_f32_e32 v203, v2, v9
	v_dual_mul_f32 v2, v2, v10 :: v_dual_fmac_f32 v205, v4, v11
	s_delay_alu instid0(VALU_DEP_1) | instskip(SKIP_1) | instid1(VALU_DEP_1)
	v_fma_f32 v204, v1, v9, -v2
	v_mul_f32_e32 v1, v4, v12
	v_fma_f32 v206, v3, v11, -v1
	s_clause 0x1
	scratch_load_b128 v[1:4], off, off offset:360
	scratch_load_b128 v[9:12], off, off offset:376
	s_wait_loadcnt_dscnt 0x100
	v_mul_f32_e32 v207, v5, v2
	v_mul_f32_e32 v2, v6, v2
	s_delay_alu instid0(VALU_DEP_2) | instskip(NEXT) | instid1(VALU_DEP_2)
	v_fmac_f32_e32 v207, v6, v1
	v_fma_f32 v208, v5, v1, -v2
	v_add_f32_e32 v2, 0, v140
	s_delay_alu instid0(VALU_DEP_1) | instskip(NEXT) | instid1(VALU_DEP_1)
	v_add_f32_e32 v2, v2, v152
	v_add_f32_e32 v2, v2, v23
	s_delay_alu instid0(VALU_DEP_1) | instskip(NEXT) | instid1(VALU_DEP_1)
	v_add_f32_e32 v2, v2, v24
	v_add_f32_e32 v2, v2, v153
	s_delay_alu instid0(VALU_DEP_1) | instskip(NEXT) | instid1(VALU_DEP_1)
	v_dual_add_f32 v2, v2, v154 :: v_dual_mul_f32 v1, v8, v4
	v_add_f32_e32 v2, v2, v146
	s_delay_alu instid0(VALU_DEP_2) | instskip(NEXT) | instid1(VALU_DEP_2)
	v_fma_f32 v210, v7, v3, -v1
	v_dual_add_f32 v1, 0, v21 :: v_dual_add_f32 v2, v2, v147
	s_delay_alu instid0(VALU_DEP_1) | instskip(NEXT) | instid1(VALU_DEP_1)
	v_dual_add_f32 v1, v1, v22 :: v_dual_add_f32 v2, v2, v15
	v_add_f32_e32 v1, v1, v142
	s_delay_alu instid0(VALU_DEP_1) | instskip(NEXT) | instid1(VALU_DEP_1)
	v_dual_add_f32 v2, v2, v18 :: v_dual_add_f32 v1, v1, v143
	v_dual_add_f32 v2, v2, v19 :: v_dual_add_f32 v1, v1, v144
	s_delay_alu instid0(VALU_DEP_1) | instskip(NEXT) | instid1(VALU_DEP_1)
	v_dual_add_f32 v2, v2, v20 :: v_dual_add_f32 v1, v1, v145
	v_dual_add_f32 v2, v2, v155 :: v_dual_add_f32 v1, v1, v13
	s_delay_alu instid0(VALU_DEP_1) | instskip(NEXT) | instid1(VALU_DEP_1)
	v_add_f32_e32 v2, v2, v156
	v_add_f32_e32 v2, v2, v159
	s_delay_alu instid0(VALU_DEP_1) | instskip(NEXT) | instid1(VALU_DEP_1)
	v_add_f32_e32 v2, v2, v161
	v_add_f32_e32 v2, v2, v163
	;; [unrolled: 3-line block ×4, first 2 shown]
	s_delay_alu instid0(VALU_DEP_1) | instskip(NEXT) | instid1(VALU_DEP_1)
	v_dual_add_f32 v2, v2, v173 :: v_dual_add_f32 v1, v1, v14
	v_add_f32_e32 v1, v1, v16
	s_delay_alu instid0(VALU_DEP_1) | instskip(NEXT) | instid1(VALU_DEP_1)
	v_add_f32_e32 v1, v1, v17
	v_add_f32_e32 v1, v1, v148
	s_delay_alu instid0(VALU_DEP_1) | instskip(NEXT) | instid1(VALU_DEP_1)
	v_add_f32_e32 v1, v1, v149
	;; [unrolled: 3-line block ×9, first 2 shown]
	v_add_f32_e32 v6, v1, v184
	v_add_f32_e32 v2, v2, v175
	s_delay_alu instid0(VALU_DEP_2) | instskip(NEXT) | instid1(VALU_DEP_2)
	v_add_f32_e32 v14, v6, v186
	v_dual_add_f32 v2, v2, v177 :: v_dual_mul_f32 v209, v7, v4
	s_delay_alu instid0(VALU_DEP_2) | instskip(NEXT) | instid1(VALU_DEP_2)
	v_add_f32_e32 v14, v14, v188
	v_add_f32_e32 v2, v2, v179
	s_delay_alu instid0(VALU_DEP_3) | instskip(NEXT) | instid1(VALU_DEP_3)
	v_fmac_f32_e32 v209, v8, v3
	v_add_f32_e32 v17, v14, v190
	s_delay_alu instid0(VALU_DEP_3)
	v_add_f32_e32 v5, v2, v181
	ds_load_2addr_b64 v[1:4], v139 offset0:105 offset1:106
	v_add_f32_e32 v17, v17, v192
	v_add_f32_e32 v13, v5, v183
	scratch_load_b128 v[5:8], off, off offset:392
	v_add_f32_e32 v17, v17, v194
	v_add_f32_e32 v13, v13, v185
	s_delay_alu instid0(VALU_DEP_2) | instskip(NEXT) | instid1(VALU_DEP_2)
	v_add_f32_e32 v17, v17, v196
	v_add_f32_e32 v13, v13, v187
	s_delay_alu instid0(VALU_DEP_2) | instskip(NEXT) | instid1(VALU_DEP_2)
	v_add_f32_e32 v22, v17, v198
	v_add_f32_e32 v18, v13, v189
	ds_load_2addr_b64 v[13:16], v139 offset0:107 offset1:108
	s_wait_loadcnt_dscnt 0x101
	v_mul_f32_e32 v142, v3, v12
	v_mul_f32_e32 v140, v1, v10
	;; [unrolled: 1-line block ×4, first 2 shown]
	v_add_f32_e32 v22, v22, v200
	v_fmac_f32_e32 v142, v4, v11
	v_add_f32_e32 v18, v18, v191
	v_fmac_f32_e32 v140, v2, v9
	v_fma_f32 v143, v1, v9, -v10
	v_fma_f32 v144, v3, v11, -v12
	scratch_load_b128 v[1:4], off, off offset:408
	v_add_f32_e32 v18, v18, v193
	scratch_load_b128 v[9:12], off, off offset:424
	v_add_f32_e32 v22, v22, v202
	s_wait_loadcnt_dscnt 0x200
	v_mul_f32_e32 v145, v13, v6
	v_mul_f32_e32 v6, v14, v6
	;; [unrolled: 1-line block ×3, first 2 shown]
	s_delay_alu instid0(VALU_DEP_3) | instskip(NEXT) | instid1(VALU_DEP_3)
	v_dual_mul_f32 v8, v16, v8 :: v_dual_fmac_f32 v145, v14, v5
	v_fma_f32 v147, v13, v5, -v6
	s_delay_alu instid0(VALU_DEP_3) | instskip(NEXT) | instid1(VALU_DEP_3)
	v_fmac_f32_e32 v146, v16, v7
	v_fma_f32 v148, v15, v7, -v8
	ds_load_2addr_b64 v[5:8], v139 offset0:109 offset1:110
	v_add_f32_e32 v21, v18, v195
	scratch_load_b128 v[17:20], off, off offset:440
	v_add_f32_e32 v21, v21, v197
	s_delay_alu instid0(VALU_DEP_1) | instskip(NEXT) | instid1(VALU_DEP_1)
	v_add_f32_e32 v21, v21, v199
	v_add_f32_e32 v13, v21, v201
	s_delay_alu instid0(VALU_DEP_1) | instskip(NEXT) | instid1(VALU_DEP_1)
	v_dual_add_f32 v21, v22, v204 :: v_dual_add_f32 v22, v13, v203
	v_add_f32_e32 v149, v21, v206
	ds_load_2addr_b64 v[13:16], v139 offset0:111 offset1:112
	v_add_f32_e32 v152, v22, v205
	ds_load_2addr_b64 v[21:24], v139 offset0:113 offset1:114
	v_add_f32_e32 v139, v149, v208
	s_wait_loadcnt_dscnt 0x202
	v_dual_add_f32 v149, v152, v207 :: v_dual_mul_f32 v152, v5, v2
	s_delay_alu instid0(VALU_DEP_2) | instskip(NEXT) | instid1(VALU_DEP_2)
	v_add_f32_e32 v139, v139, v210
	v_dual_mul_f32 v2, v6, v2 :: v_dual_add_f32 v149, v149, v209
	s_delay_alu instid0(VALU_DEP_2) | instskip(SKIP_2) | instid1(VALU_DEP_4)
	v_dual_fmac_f32 v152, v6, v1 :: v_dual_add_f32 v139, v139, v143
	v_mul_f32_e32 v143, v7, v4
	v_mul_f32_e32 v4, v8, v4
	v_add_f32_e32 v140, v149, v140
	v_fma_f32 v2, v5, v1, -v2
	v_add_f32_e32 v139, v139, v144
	s_wait_loadcnt_dscnt 0x101
	v_mul_f32_e32 v149, v13, v10
	v_mul_f32_e32 v6, v14, v10
	v_add_f32_e32 v140, v140, v142
	v_fmac_f32_e32 v143, v8, v3
	v_add_f32_e32 v139, v139, v147
	v_fma_f32 v3, v7, v3, -v4
	v_mul_f32_e32 v153, v15, v12
	v_dual_mul_f32 v4, v16, v12 :: v_dual_fmac_f32 v149, v14, v9
	s_delay_alu instid0(VALU_DEP_4) | instskip(NEXT) | instid1(VALU_DEP_3)
	v_add_f32_e32 v1, v139, v148
	v_fmac_f32_e32 v153, v16, v11
	s_delay_alu instid0(VALU_DEP_3) | instskip(NEXT) | instid1(VALU_DEP_3)
	v_fma_f32 v4, v15, v11, -v4
	v_add_f32_e32 v1, v1, v2
	s_delay_alu instid0(VALU_DEP_1) | instskip(SKIP_4) | instid1(VALU_DEP_2)
	v_add_f32_e32 v1, v1, v3
	s_wait_loadcnt_dscnt 0x0
	v_mul_f32_e32 v142, v21, v18
	v_dual_add_f32 v140, v140, v145 :: v_dual_mul_f32 v3, v22, v18
	v_mul_f32_e32 v144, v23, v20
	v_dual_fmac_f32 v142, v22, v17 :: v_dual_add_f32 v5, v140, v146
	s_delay_alu instid0(VALU_DEP_3) | instskip(NEXT) | instid1(VALU_DEP_3)
	v_fma_f32 v3, v21, v17, -v3
	v_fmac_f32_e32 v144, v24, v19
	s_delay_alu instid0(VALU_DEP_3) | instskip(SKIP_1) | instid1(VALU_DEP_1)
	v_add_f32_e32 v2, v5, v152
	v_fma_f32 v5, v13, v9, -v6
	v_dual_add_f32 v2, v2, v143 :: v_dual_add_f32 v1, v1, v5
	s_delay_alu instid0(VALU_DEP_1) | instskip(NEXT) | instid1(VALU_DEP_2)
	v_dual_mul_f32 v5, v24, v20 :: v_dual_add_f32 v2, v2, v149
	v_add_f32_e32 v1, v1, v4
	s_delay_alu instid0(VALU_DEP_2) | instskip(NEXT) | instid1(VALU_DEP_2)
	v_fma_f32 v4, v23, v19, -v5
	v_dual_add_f32 v2, v2, v153 :: v_dual_add_f32 v1, v1, v3
	s_delay_alu instid0(VALU_DEP_1) | instskip(NEXT) | instid1(VALU_DEP_1)
	v_dual_add_f32 v2, v2, v142 :: v_dual_add_f32 v1, v1, v4
	v_add_f32_e32 v2, v2, v144
	s_delay_alu instid0(VALU_DEP_1)
	v_dual_sub_f32 v1, v150, v1 :: v_dual_sub_f32 v2, v151, v2
	scratch_store_b64 off, v[1:2], off offset:48
	v_cmpx_lt_u32_e32 5, v0
	s_cbranch_execz .LBB56_345
; %bb.344:
	scratch_load_b64 v[1:2], off, off offset:40
	v_mov_b32_e32 v3, 0
	s_delay_alu instid0(VALU_DEP_1)
	v_mov_b32_e32 v4, v3
	scratch_store_b64 off, v[3:4], off offset:40
	s_wait_loadcnt 0x0
	ds_store_b64 v141, v[1:2]
.LBB56_345:
	s_wait_alu 0xfffe
	s_or_b32 exec_lo, exec_lo, s0
	s_wait_storecnt_dscnt 0x0
	s_barrier_signal -1
	s_barrier_wait -1
	global_inv scope:SCOPE_SE
	s_clause 0x4
	scratch_load_b128 v[5:8], off, off offset:48
	scratch_load_b128 v[1:4], off, off offset:64
	;; [unrolled: 1-line block ×5, first 2 shown]
	v_mov_b32_e32 v139, 0
	ds_load_b128 v[21:24], v139 offset:512
	ds_load_b128 v[142:145], v139 offset:528
	;; [unrolled: 1-line block ×3, first 2 shown]
	scratch_load_b64 v[150:151], off, off offset:40
	s_mov_b32 s0, exec_lo
	s_wait_loadcnt_dscnt 0x502
	v_mul_f32_e32 v140, v21, v6
	v_mul_f32_e32 v152, v23, v8
	s_wait_loadcnt_dscnt 0x300
	v_dual_mul_f32 v8, v24, v8 :: v_dual_mul_f32 v153, v146, v10
	v_mul_f32_e32 v6, v22, v6
	v_fmac_f32_e32 v140, v22, v5
	v_mul_f32_e32 v10, v147, v10
	s_delay_alu instid0(VALU_DEP_4) | instskip(SKIP_2) | instid1(VALU_DEP_2)
	v_fma_f32 v22, v23, v7, -v8
	v_dual_mul_f32 v23, v142, v2 :: v_dual_fmac_f32 v152, v24, v7
	v_dual_fmac_f32 v153, v147, v9 :: v_dual_mul_f32 v24, v144, v4
	v_dual_mul_f32 v4, v145, v4 :: v_dual_fmac_f32 v23, v143, v1
	v_fma_f32 v21, v21, v5, -v6
	ds_load_b128 v[5:8], v139 offset:560
	v_mul_f32_e32 v154, v148, v12
	v_mul_f32_e32 v12, v149, v12
	;; [unrolled: 1-line block ×3, first 2 shown]
	v_fmac_f32_e32 v24, v145, v3
	v_fma_f32 v143, v144, v3, -v4
	v_fma_f32 v144, v146, v9, -v10
	v_fmac_f32_e32 v154, v149, v11
	v_fma_f32 v145, v148, v11, -v12
	ds_load_b128 v[9:12], v139 offset:576
	s_wait_loadcnt_dscnt 0x201
	v_dual_mul_f32 v147, v7, v16 :: v_dual_mul_f32 v146, v5, v14
	v_mul_f32_e32 v14, v6, v14
	v_mul_f32_e32 v16, v8, v16
	s_delay_alu instid0(VALU_DEP_3)
	v_fmac_f32_e32 v147, v8, v15
	v_fma_f32 v142, v142, v1, -v2
	scratch_load_b128 v[1:4], off, off offset:128
	v_fmac_f32_e32 v146, v6, v13
	v_fma_f32 v13, v5, v13, -v14
	v_fma_f32 v14, v7, v15, -v16
	s_wait_loadcnt_dscnt 0x200
	v_mul_f32_e32 v15, v9, v18
	v_mul_f32_e32 v16, v10, v18
	;; [unrolled: 1-line block ×4, first 2 shown]
	ds_load_b128 v[5:8], v139 offset:592
	v_fmac_f32_e32 v15, v10, v17
	v_fma_f32 v16, v9, v17, -v16
	v_fmac_f32_e32 v18, v12, v19
	v_fma_f32 v17, v11, v19, -v20
	scratch_load_b128 v[9:12], off, off offset:144
	s_wait_loadcnt_dscnt 0x100
	v_mul_f32_e32 v19, v5, v2
	v_mul_f32_e32 v2, v6, v2
	;; [unrolled: 1-line block ×3, first 2 shown]
	s_delay_alu instid0(VALU_DEP_3) | instskip(NEXT) | instid1(VALU_DEP_3)
	v_dual_mul_f32 v4, v8, v4 :: v_dual_fmac_f32 v19, v6, v1
	v_fma_f32 v148, v5, v1, -v2
	s_delay_alu instid0(VALU_DEP_3) | instskip(NEXT) | instid1(VALU_DEP_3)
	v_fmac_f32_e32 v20, v8, v3
	v_fma_f32 v149, v7, v3, -v4
	ds_load_b128 v[1:4], v139 offset:608
	ds_load_b128 v[5:8], v139 offset:624
	s_wait_loadcnt_dscnt 0x1
	v_mul_f32_e32 v155, v1, v10
	v_mul_f32_e32 v10, v2, v10
	s_delay_alu instid0(VALU_DEP_2) | instskip(NEXT) | instid1(VALU_DEP_2)
	v_dual_mul_f32 v156, v3, v12 :: v_dual_fmac_f32 v155, v2, v9
	v_fma_f32 v157, v1, v9, -v10
	v_mul_f32_e32 v1, v4, v12
	s_delay_alu instid0(VALU_DEP_3) | instskip(NEXT) | instid1(VALU_DEP_2)
	v_fmac_f32_e32 v156, v4, v11
	v_fma_f32 v158, v3, v11, -v1
	s_clause 0x1
	scratch_load_b128 v[1:4], off, off offset:160
	scratch_load_b128 v[9:12], off, off offset:176
	s_wait_loadcnt_dscnt 0x100
	v_mul_f32_e32 v159, v5, v2
	v_dual_mul_f32 v2, v6, v2 :: v_dual_mul_f32 v161, v7, v4
	s_delay_alu instid0(VALU_DEP_2) | instskip(NEXT) | instid1(VALU_DEP_2)
	v_fmac_f32_e32 v159, v6, v1
	v_fma_f32 v160, v5, v1, -v2
	v_mul_f32_e32 v1, v8, v4
	s_delay_alu instid0(VALU_DEP_4) | instskip(NEXT) | instid1(VALU_DEP_2)
	v_fmac_f32_e32 v161, v8, v3
	v_fma_f32 v162, v7, v3, -v1
	ds_load_b128 v[1:4], v139 offset:640
	ds_load_b128 v[5:8], v139 offset:656
	s_wait_loadcnt_dscnt 0x1
	v_mul_f32_e32 v163, v1, v10
	v_mul_f32_e32 v165, v3, v12
	s_delay_alu instid0(VALU_DEP_2) | instskip(NEXT) | instid1(VALU_DEP_2)
	v_fmac_f32_e32 v163, v2, v9
	v_dual_mul_f32 v2, v2, v10 :: v_dual_fmac_f32 v165, v4, v11
	s_delay_alu instid0(VALU_DEP_1) | instskip(SKIP_1) | instid1(VALU_DEP_1)
	v_fma_f32 v164, v1, v9, -v2
	v_mul_f32_e32 v1, v4, v12
	v_fma_f32 v166, v3, v11, -v1
	s_clause 0x1
	scratch_load_b128 v[1:4], off, off offset:192
	scratch_load_b128 v[9:12], off, off offset:208
	s_wait_loadcnt_dscnt 0x100
	v_mul_f32_e32 v167, v5, v2
	v_dual_mul_f32 v2, v6, v2 :: v_dual_mul_f32 v169, v7, v4
	s_delay_alu instid0(VALU_DEP_2) | instskip(NEXT) | instid1(VALU_DEP_2)
	v_fmac_f32_e32 v167, v6, v1
	v_fma_f32 v168, v5, v1, -v2
	v_mul_f32_e32 v1, v8, v4
	s_delay_alu instid0(VALU_DEP_4) | instskip(NEXT) | instid1(VALU_DEP_2)
	v_fmac_f32_e32 v169, v8, v3
	v_fma_f32 v170, v7, v3, -v1
	ds_load_b128 v[1:4], v139 offset:672
	ds_load_b128 v[5:8], v139 offset:688
	s_wait_loadcnt_dscnt 0x1
	v_mul_f32_e32 v171, v1, v10
	v_mul_f32_e32 v173, v3, v12
	s_delay_alu instid0(VALU_DEP_2) | instskip(NEXT) | instid1(VALU_DEP_2)
	v_fmac_f32_e32 v171, v2, v9
	v_dual_mul_f32 v2, v2, v10 :: v_dual_fmac_f32 v173, v4, v11
	s_delay_alu instid0(VALU_DEP_1) | instskip(SKIP_1) | instid1(VALU_DEP_1)
	v_fma_f32 v172, v1, v9, -v2
	v_mul_f32_e32 v1, v4, v12
	;; [unrolled: 25-line block ×6, first 2 shown]
	v_fma_f32 v206, v3, v11, -v1
	s_clause 0x1
	scratch_load_b128 v[1:4], off, off offset:352
	scratch_load_b128 v[9:12], off, off offset:368
	s_wait_loadcnt_dscnt 0x100
	v_mul_f32_e32 v207, v5, v2
	v_mul_f32_e32 v2, v6, v2
	s_delay_alu instid0(VALU_DEP_2) | instskip(NEXT) | instid1(VALU_DEP_2)
	v_fmac_f32_e32 v207, v6, v1
	v_fma_f32 v208, v5, v1, -v2
	v_add_f32_e32 v2, 0, v140
	s_delay_alu instid0(VALU_DEP_1) | instskip(NEXT) | instid1(VALU_DEP_1)
	v_add_f32_e32 v2, v2, v152
	v_add_f32_e32 v2, v2, v23
	s_delay_alu instid0(VALU_DEP_1) | instskip(NEXT) | instid1(VALU_DEP_1)
	v_add_f32_e32 v2, v2, v24
	;; [unrolled: 3-line block ×3, first 2 shown]
	v_dual_add_f32 v2, v2, v146 :: v_dual_mul_f32 v1, v8, v4
	s_delay_alu instid0(VALU_DEP_1) | instskip(NEXT) | instid1(VALU_DEP_2)
	v_add_f32_e32 v2, v2, v147
	v_fma_f32 v210, v7, v3, -v1
	s_delay_alu instid0(VALU_DEP_2) | instskip(NEXT) | instid1(VALU_DEP_1)
	v_dual_add_f32 v1, 0, v21 :: v_dual_add_f32 v2, v2, v15
	v_add_f32_e32 v1, v1, v22
	s_delay_alu instid0(VALU_DEP_2) | instskip(NEXT) | instid1(VALU_DEP_1)
	v_add_f32_e32 v2, v2, v18
	v_dual_add_f32 v1, v1, v142 :: v_dual_add_f32 v2, v2, v19
	s_delay_alu instid0(VALU_DEP_1) | instskip(SKIP_2) | instid1(VALU_DEP_1)
	v_dual_add_f32 v2, v2, v20 :: v_dual_add_f32 v1, v1, v143
	scratch_load_b64 v[142:143], off, off offset:448
	v_dual_add_f32 v2, v2, v155 :: v_dual_add_f32 v1, v1, v144
	v_dual_add_f32 v2, v2, v156 :: v_dual_add_f32 v1, v1, v145
	s_delay_alu instid0(VALU_DEP_1) | instskip(NEXT) | instid1(VALU_DEP_1)
	v_dual_add_f32 v2, v2, v159 :: v_dual_add_f32 v1, v1, v13
	v_dual_add_f32 v2, v2, v161 :: v_dual_add_f32 v1, v1, v14
	s_delay_alu instid0(VALU_DEP_1) | instskip(NEXT) | instid1(VALU_DEP_1)
	v_dual_add_f32 v2, v2, v163 :: v_dual_add_f32 v1, v1, v16
	v_add_f32_e32 v2, v2, v165
	s_delay_alu instid0(VALU_DEP_1) | instskip(NEXT) | instid1(VALU_DEP_1)
	v_dual_add_f32 v1, v1, v17 :: v_dual_add_f32 v2, v2, v167
	v_dual_add_f32 v1, v1, v148 :: v_dual_add_f32 v2, v2, v169
	s_delay_alu instid0(VALU_DEP_1) | instskip(NEXT) | instid1(VALU_DEP_1)
	v_dual_add_f32 v1, v1, v149 :: v_dual_add_f32 v2, v2, v171
	v_add_f32_e32 v1, v1, v157
	s_delay_alu instid0(VALU_DEP_1) | instskip(NEXT) | instid1(VALU_DEP_1)
	v_dual_add_f32 v2, v2, v173 :: v_dual_add_f32 v1, v1, v158
	v_add_f32_e32 v1, v1, v160
	s_delay_alu instid0(VALU_DEP_1) | instskip(NEXT) | instid1(VALU_DEP_1)
	v_add_f32_e32 v1, v1, v162
	v_add_f32_e32 v1, v1, v164
	s_delay_alu instid0(VALU_DEP_1) | instskip(NEXT) | instid1(VALU_DEP_1)
	v_add_f32_e32 v1, v1, v166
	;; [unrolled: 3-line block ×6, first 2 shown]
	v_add_f32_e32 v6, v1, v184
	v_dual_add_f32 v2, v2, v175 :: v_dual_mul_f32 v209, v7, v4
	s_delay_alu instid0(VALU_DEP_2) | instskip(NEXT) | instid1(VALU_DEP_2)
	v_add_f32_e32 v14, v6, v186
	v_dual_add_f32 v2, v2, v177 :: v_dual_fmac_f32 v209, v8, v3
	s_delay_alu instid0(VALU_DEP_2) | instskip(NEXT) | instid1(VALU_DEP_2)
	v_add_f32_e32 v14, v14, v188
	v_add_f32_e32 v2, v2, v179
	s_delay_alu instid0(VALU_DEP_2) | instskip(NEXT) | instid1(VALU_DEP_2)
	v_add_f32_e32 v17, v14, v190
	v_add_f32_e32 v5, v2, v181
	scratch_load_b128 v[1:4], off, off offset:384
	v_add_f32_e32 v17, v17, v192
	v_add_f32_e32 v13, v5, v183
	ds_load_b128 v[5:8], v139 offset:832
	v_add_f32_e32 v17, v17, v194
	v_add_f32_e32 v13, v13, v185
	s_delay_alu instid0(VALU_DEP_2) | instskip(NEXT) | instid1(VALU_DEP_2)
	v_add_f32_e32 v17, v17, v196
	v_add_f32_e32 v13, v13, v187
	s_delay_alu instid0(VALU_DEP_2) | instskip(NEXT) | instid1(VALU_DEP_2)
	v_add_f32_e32 v22, v17, v198
	v_add_f32_e32 v18, v13, v189
	ds_load_b128 v[13:16], v139 offset:848
	v_add_f32_e32 v22, v22, v200
	s_wait_loadcnt_dscnt 0x201
	v_mul_f32_e32 v140, v5, v10
	v_mul_f32_e32 v10, v6, v10
	;; [unrolled: 1-line block ×4, first 2 shown]
	v_add_f32_e32 v22, v22, v202
	v_fmac_f32_e32 v140, v6, v9
	v_fma_f32 v147, v5, v9, -v10
	v_fmac_f32_e32 v146, v8, v11
	v_fma_f32 v148, v7, v11, -v12
	scratch_load_b128 v[5:8], off, off offset:400
	v_add_f32_e32 v18, v18, v191
	scratch_load_b128 v[9:12], off, off offset:416
	v_add_f32_e32 v22, v22, v204
	v_add_f32_e32 v18, v18, v193
	s_delay_alu instid0(VALU_DEP_1) | instskip(SKIP_3) | instid1(VALU_DEP_1)
	v_add_f32_e32 v21, v18, v195
	scratch_load_b128 v[17:20], off, off offset:432
	s_wait_loadcnt_dscnt 0x300
	v_dual_add_f32 v21, v21, v197 :: v_dual_mul_f32 v152, v15, v4
	v_add_f32_e32 v21, v21, v199
	v_mul_f32_e32 v149, v13, v2
	v_mul_f32_e32 v2, v14, v2
	;; [unrolled: 1-line block ×3, first 2 shown]
	s_delay_alu instid0(VALU_DEP_4) | instskip(NEXT) | instid1(VALU_DEP_4)
	v_dual_fmac_f32 v152, v16, v3 :: v_dual_add_f32 v21, v21, v201
	v_fmac_f32_e32 v149, v14, v1
	s_delay_alu instid0(VALU_DEP_4)
	v_fma_f32 v153, v13, v1, -v2
	v_add_f32_e32 v14, v22, v206
	v_fma_f32 v154, v15, v3, -v4
	v_add_f32_e32 v13, v21, v203
	ds_load_b128 v[1:4], v139 offset:864
	v_dual_add_f32 v144, v14, v208 :: v_dual_add_f32 v21, v13, v205
	ds_load_b128 v[13:16], v139 offset:880
	v_add_f32_e32 v155, v144, v210
	v_add_f32_e32 v145, v21, v207
	ds_load_b128 v[21:24], v139 offset:896
	v_dual_add_f32 v147, v155, v147 :: v_dual_add_f32 v156, v145, v209
	ds_load_b64 v[144:145], v139 offset:912
	v_add_f32_e32 v147, v147, v148
	s_wait_loadcnt_dscnt 0x203
	v_dual_add_f32 v140, v156, v140 :: v_dual_mul_f32 v155, v1, v6
	v_mul_f32_e32 v6, v2, v6
	s_delay_alu instid0(VALU_DEP_2) | instskip(SKIP_2) | instid1(VALU_DEP_4)
	v_dual_add_f32 v140, v140, v146 :: v_dual_add_f32 v147, v147, v153
	v_mul_f32_e32 v146, v3, v8
	v_mul_f32_e32 v8, v4, v8
	v_fma_f32 v1, v1, v5, -v6
	s_delay_alu instid0(VALU_DEP_4) | instskip(SKIP_3) | instid1(VALU_DEP_3)
	v_dual_add_f32 v140, v140, v149 :: v_dual_add_f32 v147, v147, v154
	s_wait_loadcnt_dscnt 0x102
	v_dual_fmac_f32 v155, v2, v5 :: v_dual_mul_f32 v148, v13, v10
	v_fmac_f32_e32 v146, v4, v7
	v_add_f32_e32 v140, v140, v152
	v_fma_f32 v2, v3, v7, -v8
	v_mul_f32_e32 v3, v14, v10
	v_add_f32_e32 v1, v147, v1
	s_delay_alu instid0(VALU_DEP_4) | instskip(SKIP_1) | instid1(VALU_DEP_4)
	v_dual_mul_f32 v149, v15, v12 :: v_dual_add_f32 v4, v140, v155
	v_dual_mul_f32 v5, v16, v12 :: v_dual_fmac_f32 v148, v14, v9
	v_fma_f32 v3, v13, v9, -v3
	s_delay_alu instid0(VALU_DEP_4) | instskip(NEXT) | instid1(VALU_DEP_4)
	v_add_f32_e32 v1, v1, v2
	v_add_f32_e32 v2, v4, v146
	s_wait_loadcnt_dscnt 0x1
	v_mul_f32_e32 v153, v21, v18
	v_dual_mul_f32 v4, v22, v18 :: v_dual_fmac_f32 v149, v16, v11
	v_fma_f32 v5, v15, v11, -v5
	v_dual_add_f32 v1, v1, v3 :: v_dual_add_f32 v2, v2, v148
	v_mul_f32_e32 v154, v23, v20
	v_mul_f32_e32 v3, v24, v20
	v_fmac_f32_e32 v153, v22, v17
	v_fma_f32 v4, v21, v17, -v4
	v_add_f32_e32 v1, v1, v5
	v_add_f32_e32 v2, v2, v149
	s_wait_dscnt 0x0
	v_mul_f32_e32 v152, v144, v143
	v_mul_f32_e32 v5, v145, v143
	v_fmac_f32_e32 v154, v24, v19
	v_fma_f32 v3, v23, v19, -v3
	v_dual_add_f32 v1, v1, v4 :: v_dual_add_f32 v2, v2, v153
	v_fmac_f32_e32 v152, v145, v142
	v_fma_f32 v4, v144, v142, -v5
	s_delay_alu instid0(VALU_DEP_3) | instskip(NEXT) | instid1(VALU_DEP_1)
	v_dual_add_f32 v1, v1, v3 :: v_dual_add_f32 v2, v2, v154
	v_add_f32_e32 v1, v1, v4
	s_delay_alu instid0(VALU_DEP_2) | instskip(NEXT) | instid1(VALU_DEP_1)
	v_add_f32_e32 v2, v2, v152
	v_dual_sub_f32 v1, v150, v1 :: v_dual_sub_f32 v2, v151, v2
	scratch_store_b64 off, v[1:2], off offset:40
	v_cmpx_lt_u32_e32 4, v0
	s_cbranch_execz .LBB56_347
; %bb.346:
	scratch_load_b64 v[1:2], off, off offset:32
	v_mov_b32_e32 v140, v139
	scratch_store_b64 off, v[139:140], off offset:32
	s_wait_loadcnt 0x0
	ds_store_b64 v141, v[1:2]
.LBB56_347:
	s_wait_alu 0xfffe
	s_or_b32 exec_lo, exec_lo, s0
	s_wait_storecnt_dscnt 0x0
	s_barrier_signal -1
	s_barrier_wait -1
	global_inv scope:SCOPE_SE
	s_clause 0x4
	scratch_load_b128 v[5:8], off, off offset:40
	scratch_load_b128 v[1:4], off, off offset:56
	;; [unrolled: 1-line block ×5, first 2 shown]
	ds_load_2addr_b64 v[21:24], v139 offset0:63 offset1:64
	ds_load_2addr_b64 v[142:145], v139 offset0:65 offset1:66
	;; [unrolled: 1-line block ×3, first 2 shown]
	scratch_load_b64 v[150:151], off, off offset:32
	s_mov_b32 s0, exec_lo
	s_wait_loadcnt_dscnt 0x502
	v_mul_f32_e32 v140, v21, v6
	v_mul_f32_e32 v152, v23, v8
	s_wait_loadcnt_dscnt 0x300
	v_dual_mul_f32 v8, v24, v8 :: v_dual_mul_f32 v153, v146, v10
	v_mul_f32_e32 v6, v22, v6
	v_fmac_f32_e32 v140, v22, v5
	v_mul_f32_e32 v10, v147, v10
	s_delay_alu instid0(VALU_DEP_4)
	v_fma_f32 v22, v23, v7, -v8
	v_dual_mul_f32 v23, v142, v2 :: v_dual_fmac_f32 v152, v24, v7
	v_fmac_f32_e32 v153, v147, v9
	v_fma_f32 v21, v21, v5, -v6
	ds_load_2addr_b64 v[5:8], v139 offset0:69 offset1:70
	v_mul_f32_e32 v24, v144, v4
	v_mul_f32_e32 v4, v145, v4
	;; [unrolled: 1-line block ×5, first 2 shown]
	v_dual_fmac_f32 v23, v143, v1 :: v_dual_fmac_f32 v24, v145, v3
	v_fma_f32 v143, v144, v3, -v4
	v_fma_f32 v144, v146, v9, -v10
	v_fmac_f32_e32 v154, v149, v11
	v_fma_f32 v145, v148, v11, -v12
	ds_load_2addr_b64 v[9:12], v139 offset0:71 offset1:72
	s_wait_loadcnt_dscnt 0x201
	v_dual_mul_f32 v147, v7, v16 :: v_dual_mul_f32 v146, v5, v14
	v_mul_f32_e32 v14, v6, v14
	v_mul_f32_e32 v16, v8, v16
	s_delay_alu instid0(VALU_DEP_3)
	v_fmac_f32_e32 v147, v8, v15
	v_fma_f32 v142, v142, v1, -v2
	scratch_load_b128 v[1:4], off, off offset:120
	v_fmac_f32_e32 v146, v6, v13
	v_fma_f32 v13, v5, v13, -v14
	v_fma_f32 v14, v7, v15, -v16
	ds_load_2addr_b64 v[5:8], v139 offset0:73 offset1:74
	s_wait_loadcnt_dscnt 0x201
	v_mul_f32_e32 v15, v9, v18
	v_mul_f32_e32 v16, v10, v18
	;; [unrolled: 1-line block ×3, first 2 shown]
	s_delay_alu instid0(VALU_DEP_3) | instskip(NEXT) | instid1(VALU_DEP_3)
	v_dual_mul_f32 v20, v12, v20 :: v_dual_fmac_f32 v15, v10, v17
	v_fma_f32 v16, v9, v17, -v16
	s_delay_alu instid0(VALU_DEP_3) | instskip(NEXT) | instid1(VALU_DEP_3)
	v_fmac_f32_e32 v18, v12, v19
	v_fma_f32 v17, v11, v19, -v20
	scratch_load_b128 v[9:12], off, off offset:136
	s_wait_loadcnt_dscnt 0x100
	v_mul_f32_e32 v19, v5, v2
	v_mul_f32_e32 v2, v6, v2
	;; [unrolled: 1-line block ×3, first 2 shown]
	s_delay_alu instid0(VALU_DEP_3) | instskip(NEXT) | instid1(VALU_DEP_3)
	v_dual_mul_f32 v4, v8, v4 :: v_dual_fmac_f32 v19, v6, v1
	v_fma_f32 v148, v5, v1, -v2
	s_delay_alu instid0(VALU_DEP_3) | instskip(NEXT) | instid1(VALU_DEP_3)
	v_fmac_f32_e32 v20, v8, v3
	v_fma_f32 v149, v7, v3, -v4
	ds_load_2addr_b64 v[1:4], v139 offset0:75 offset1:76
	ds_load_2addr_b64 v[5:8], v139 offset0:77 offset1:78
	s_wait_loadcnt_dscnt 0x1
	v_mul_f32_e32 v155, v1, v10
	v_mul_f32_e32 v10, v2, v10
	s_delay_alu instid0(VALU_DEP_2) | instskip(NEXT) | instid1(VALU_DEP_2)
	v_dual_mul_f32 v156, v3, v12 :: v_dual_fmac_f32 v155, v2, v9
	v_fma_f32 v157, v1, v9, -v10
	v_mul_f32_e32 v1, v4, v12
	s_delay_alu instid0(VALU_DEP_3) | instskip(NEXT) | instid1(VALU_DEP_2)
	v_fmac_f32_e32 v156, v4, v11
	v_fma_f32 v158, v3, v11, -v1
	s_clause 0x1
	scratch_load_b128 v[1:4], off, off offset:152
	scratch_load_b128 v[9:12], off, off offset:168
	s_wait_loadcnt_dscnt 0x100
	v_mul_f32_e32 v159, v5, v2
	v_dual_mul_f32 v2, v6, v2 :: v_dual_mul_f32 v161, v7, v4
	s_delay_alu instid0(VALU_DEP_2) | instskip(NEXT) | instid1(VALU_DEP_2)
	v_fmac_f32_e32 v159, v6, v1
	v_fma_f32 v160, v5, v1, -v2
	v_mul_f32_e32 v1, v8, v4
	s_delay_alu instid0(VALU_DEP_4) | instskip(NEXT) | instid1(VALU_DEP_2)
	v_fmac_f32_e32 v161, v8, v3
	v_fma_f32 v162, v7, v3, -v1
	ds_load_2addr_b64 v[1:4], v139 offset0:79 offset1:80
	ds_load_2addr_b64 v[5:8], v139 offset0:81 offset1:82
	s_wait_loadcnt_dscnt 0x1
	v_mul_f32_e32 v163, v1, v10
	v_mul_f32_e32 v165, v3, v12
	s_delay_alu instid0(VALU_DEP_2) | instskip(NEXT) | instid1(VALU_DEP_2)
	v_fmac_f32_e32 v163, v2, v9
	v_dual_mul_f32 v2, v2, v10 :: v_dual_fmac_f32 v165, v4, v11
	s_delay_alu instid0(VALU_DEP_1) | instskip(SKIP_1) | instid1(VALU_DEP_1)
	v_fma_f32 v164, v1, v9, -v2
	v_mul_f32_e32 v1, v4, v12
	v_fma_f32 v166, v3, v11, -v1
	s_clause 0x1
	scratch_load_b128 v[1:4], off, off offset:184
	scratch_load_b128 v[9:12], off, off offset:200
	s_wait_loadcnt_dscnt 0x100
	v_mul_f32_e32 v167, v5, v2
	v_dual_mul_f32 v2, v6, v2 :: v_dual_mul_f32 v169, v7, v4
	s_delay_alu instid0(VALU_DEP_2) | instskip(NEXT) | instid1(VALU_DEP_2)
	v_fmac_f32_e32 v167, v6, v1
	v_fma_f32 v168, v5, v1, -v2
	v_mul_f32_e32 v1, v8, v4
	s_delay_alu instid0(VALU_DEP_4) | instskip(NEXT) | instid1(VALU_DEP_2)
	v_fmac_f32_e32 v169, v8, v3
	v_fma_f32 v170, v7, v3, -v1
	ds_load_2addr_b64 v[1:4], v139 offset0:83 offset1:84
	ds_load_2addr_b64 v[5:8], v139 offset0:85 offset1:86
	s_wait_loadcnt_dscnt 0x1
	v_mul_f32_e32 v171, v1, v10
	v_mul_f32_e32 v173, v3, v12
	s_delay_alu instid0(VALU_DEP_2) | instskip(NEXT) | instid1(VALU_DEP_2)
	v_fmac_f32_e32 v171, v2, v9
	v_dual_mul_f32 v2, v2, v10 :: v_dual_fmac_f32 v173, v4, v11
	s_delay_alu instid0(VALU_DEP_1) | instskip(SKIP_1) | instid1(VALU_DEP_1)
	v_fma_f32 v172, v1, v9, -v2
	v_mul_f32_e32 v1, v4, v12
	;; [unrolled: 25-line block ×7, first 2 shown]
	v_fma_f32 v214, v3, v11, -v1
	s_clause 0x1
	scratch_load_b128 v[1:4], off, off offset:376
	scratch_load_b128 v[9:12], off, off offset:392
	s_wait_loadcnt_dscnt 0x100
	v_mul_f32_e32 v215, v5, v2
	v_mul_f32_e32 v2, v6, v2
	s_delay_alu instid0(VALU_DEP_2) | instskip(NEXT) | instid1(VALU_DEP_2)
	v_fmac_f32_e32 v215, v6, v1
	v_fma_f32 v216, v5, v1, -v2
	v_add_f32_e32 v2, 0, v140
	v_mul_f32_e32 v1, v8, v4
	s_delay_alu instid0(VALU_DEP_2) | instskip(NEXT) | instid1(VALU_DEP_2)
	v_add_f32_e32 v2, v2, v152
	v_fma_f32 v218, v7, v3, -v1
	s_delay_alu instid0(VALU_DEP_2) | instskip(NEXT) | instid1(VALU_DEP_1)
	v_dual_add_f32 v1, 0, v21 :: v_dual_add_f32 v2, v2, v23
	v_add_f32_e32 v2, v2, v24
	s_delay_alu instid0(VALU_DEP_1) | instskip(NEXT) | instid1(VALU_DEP_1)
	v_add_f32_e32 v2, v2, v153
	v_add_f32_e32 v2, v2, v154
	s_delay_alu instid0(VALU_DEP_1) | instskip(NEXT) | instid1(VALU_DEP_1)
	v_add_f32_e32 v2, v2, v146
	;; [unrolled: 3-line block ×4, first 2 shown]
	v_dual_add_f32 v2, v2, v20 :: v_dual_add_f32 v1, v1, v22
	s_delay_alu instid0(VALU_DEP_1) | instskip(NEXT) | instid1(VALU_DEP_1)
	v_dual_add_f32 v2, v2, v155 :: v_dual_add_f32 v1, v1, v142
	v_dual_add_f32 v2, v2, v156 :: v_dual_add_f32 v1, v1, v143
	s_delay_alu instid0(VALU_DEP_1) | instskip(NEXT) | instid1(VALU_DEP_1)
	v_dual_add_f32 v2, v2, v159 :: v_dual_add_f32 v1, v1, v144
	v_add_f32_e32 v2, v2, v161
	s_delay_alu instid0(VALU_DEP_1) | instskip(NEXT) | instid1(VALU_DEP_1)
	v_dual_add_f32 v1, v1, v145 :: v_dual_add_f32 v2, v2, v163
	v_add_f32_e32 v1, v1, v13
	s_delay_alu instid0(VALU_DEP_1) | instskip(NEXT) | instid1(VALU_DEP_1)
	v_dual_add_f32 v2, v2, v165 :: v_dual_add_f32 v1, v1, v14
	v_dual_add_f32 v2, v2, v167 :: v_dual_add_f32 v1, v1, v16
	s_delay_alu instid0(VALU_DEP_1) | instskip(NEXT) | instid1(VALU_DEP_1)
	v_add_f32_e32 v2, v2, v169
	v_dual_add_f32 v1, v1, v17 :: v_dual_add_f32 v2, v2, v171
	s_delay_alu instid0(VALU_DEP_1) | instskip(NEXT) | instid1(VALU_DEP_1)
	v_dual_add_f32 v1, v1, v148 :: v_dual_add_f32 v2, v2, v173
	v_add_f32_e32 v1, v1, v149
	s_delay_alu instid0(VALU_DEP_1) | instskip(NEXT) | instid1(VALU_DEP_1)
	v_add_f32_e32 v1, v1, v157
	v_add_f32_e32 v1, v1, v158
	s_delay_alu instid0(VALU_DEP_1) | instskip(NEXT) | instid1(VALU_DEP_1)
	v_add_f32_e32 v1, v1, v160
	;; [unrolled: 3-line block ×9, first 2 shown]
	v_add_f32_e32 v6, v1, v190
	v_add_f32_e32 v2, v2, v175
	s_delay_alu instid0(VALU_DEP_2) | instskip(NEXT) | instid1(VALU_DEP_2)
	v_add_f32_e32 v6, v6, v192
	v_add_f32_e32 v2, v2, v177
	s_delay_alu instid0(VALU_DEP_2) | instskip(NEXT) | instid1(VALU_DEP_1)
	v_add_f32_e32 v13, v6, v194
	v_dual_add_f32 v2, v2, v179 :: v_dual_add_f32 v13, v13, v196
	s_delay_alu instid0(VALU_DEP_1) | instskip(NEXT) | instid1(VALU_DEP_1)
	v_dual_add_f32 v2, v2, v181 :: v_dual_add_f32 v13, v13, v198
	v_dual_add_f32 v2, v2, v183 :: v_dual_add_f32 v13, v13, v200
	s_delay_alu instid0(VALU_DEP_1) | instskip(NEXT) | instid1(VALU_DEP_1)
	v_add_f32_e32 v2, v2, v185
	v_dual_add_f32 v18, v13, v202 :: v_dual_add_f32 v5, v2, v187
	s_delay_alu instid0(VALU_DEP_1) | instskip(NEXT) | instid1(VALU_DEP_1)
	v_dual_add_f32 v18, v18, v204 :: v_dual_add_f32 v5, v5, v189
	v_dual_add_f32 v18, v18, v206 :: v_dual_add_f32 v5, v5, v191
	s_delay_alu instid0(VALU_DEP_1) | instskip(SKIP_1) | instid1(VALU_DEP_2)
	v_dual_add_f32 v21, v18, v208 :: v_dual_add_f32 v14, v5, v193
	v_mul_f32_e32 v217, v7, v4
	v_dual_add_f32 v145, v21, v210 :: v_dual_add_f32 v14, v14, v195
	s_delay_alu instid0(VALU_DEP_2) | instskip(SKIP_3) | instid1(VALU_DEP_1)
	v_fmac_f32_e32 v217, v8, v3
	ds_load_2addr_b64 v[1:4], v139 offset0:107 offset1:108
	ds_load_2addr_b64 v[5:8], v139 offset0:109 offset1:110
	v_add_f32_e32 v14, v14, v197
	v_add_f32_e32 v17, v14, v199
	scratch_load_b128 v[13:16], off, off offset:440
	v_add_f32_e32 v17, v17, v201
	s_delay_alu instid0(VALU_DEP_1)
	v_add_f32_e32 v17, v17, v203
	s_wait_loadcnt_dscnt 0x101
	v_mul_f32_e32 v140, v1, v10
	v_mul_f32_e32 v142, v3, v12
	;; [unrolled: 1-line block ×3, first 2 shown]
	v_dual_mul_f32 v12, v4, v12 :: v_dual_add_f32 v17, v17, v205
	s_delay_alu instid0(VALU_DEP_4) | instskip(NEXT) | instid1(VALU_DEP_4)
	v_fmac_f32_e32 v140, v2, v9
	v_fmac_f32_e32 v142, v4, v11
	s_delay_alu instid0(VALU_DEP_4) | instskip(NEXT) | instid1(VALU_DEP_4)
	v_fma_f32 v143, v1, v9, -v10
	v_fma_f32 v144, v3, v11, -v12
	s_clause 0x1
	scratch_load_b128 v[1:4], off, off offset:408
	scratch_load_b128 v[9:12], off, off offset:424
	v_add_f32_e32 v22, v17, v207
	ds_load_2addr_b64 v[17:20], v139 offset0:111 offset1:112
	v_add_f32_e32 v146, v22, v209
	ds_load_2addr_b64 v[21:24], v139 offset0:113 offset1:114
	v_add_f32_e32 v139, v145, v212
	s_delay_alu instid0(VALU_DEP_1) | instskip(NEXT) | instid1(VALU_DEP_1)
	v_add_f32_e32 v139, v139, v214
	v_add_f32_e32 v139, v139, v216
	s_delay_alu instid0(VALU_DEP_1) | instskip(SKIP_1) | instid1(VALU_DEP_1)
	v_add_f32_e32 v139, v139, v218
	s_wait_loadcnt_dscnt 0x200
	v_dual_add_f32 v139, v139, v143 :: v_dual_mul_f32 v152, v21, v14
	v_add_f32_e32 v145, v146, v211
	s_delay_alu instid0(VALU_DEP_2) | instskip(NEXT) | instid1(VALU_DEP_2)
	v_dual_mul_f32 v143, v23, v16 :: v_dual_fmac_f32 v152, v22, v13
	v_add_f32_e32 v145, v145, v213
	s_delay_alu instid0(VALU_DEP_2) | instskip(SKIP_2) | instid1(VALU_DEP_3)
	v_fmac_f32_e32 v143, v24, v15
	s_wait_loadcnt 0x1
	v_mul_f32_e32 v147, v7, v4
	v_dual_mul_f32 v4, v8, v4 :: v_dual_add_f32 v145, v145, v215
	v_mul_f32_e32 v146, v5, v2
	v_mul_f32_e32 v2, v6, v2
	s_wait_loadcnt 0x0
	v_dual_mul_f32 v148, v17, v10 :: v_dual_fmac_f32 v147, v8, v3
	v_add_f32_e32 v145, v145, v217
	v_fmac_f32_e32 v146, v6, v1
	v_fma_f32 v2, v5, v1, -v2
	v_dual_add_f32 v1, v139, v144 :: v_dual_mul_f32 v6, v18, v10
	s_delay_alu instid0(VALU_DEP_4) | instskip(SKIP_2) | instid1(VALU_DEP_4)
	v_add_f32_e32 v140, v145, v140
	v_fma_f32 v3, v7, v3, -v4
	v_mul_f32_e32 v149, v19, v12
	v_dual_add_f32 v1, v1, v2 :: v_dual_mul_f32 v4, v20, v12
	s_delay_alu instid0(VALU_DEP_4) | instskip(NEXT) | instid1(VALU_DEP_3)
	v_dual_add_f32 v5, v140, v142 :: v_dual_fmac_f32 v148, v18, v9
	v_fmac_f32_e32 v149, v20, v11
	s_delay_alu instid0(VALU_DEP_3) | instskip(SKIP_1) | instid1(VALU_DEP_4)
	v_add_f32_e32 v1, v1, v3
	v_mul_f32_e32 v3, v22, v14
	v_add_f32_e32 v2, v5, v146
	v_fma_f32 v5, v17, v9, -v6
	v_fma_f32 v4, v19, v11, -v4
	s_delay_alu instid0(VALU_DEP_4) | instskip(NEXT) | instid1(VALU_DEP_3)
	v_fma_f32 v3, v21, v13, -v3
	v_dual_add_f32 v2, v2, v147 :: v_dual_add_f32 v1, v1, v5
	v_mul_f32_e32 v5, v24, v16
	s_delay_alu instid0(VALU_DEP_2) | instskip(NEXT) | instid1(VALU_DEP_3)
	v_add_f32_e32 v2, v2, v148
	v_add_f32_e32 v1, v1, v4
	s_delay_alu instid0(VALU_DEP_3) | instskip(NEXT) | instid1(VALU_DEP_2)
	v_fma_f32 v4, v23, v15, -v5
	v_dual_add_f32 v2, v2, v149 :: v_dual_add_f32 v1, v1, v3
	s_delay_alu instid0(VALU_DEP_1) | instskip(NEXT) | instid1(VALU_DEP_1)
	v_add_f32_e32 v2, v2, v152
	v_dual_add_f32 v1, v1, v4 :: v_dual_add_f32 v2, v2, v143
	s_delay_alu instid0(VALU_DEP_1)
	v_dual_sub_f32 v1, v150, v1 :: v_dual_sub_f32 v2, v151, v2
	scratch_store_b64 off, v[1:2], off offset:32
	v_cmpx_lt_u32_e32 3, v0
	s_cbranch_execz .LBB56_349
; %bb.348:
	scratch_load_b64 v[1:2], off, off offset:24
	v_mov_b32_e32 v3, 0
	s_delay_alu instid0(VALU_DEP_1)
	v_mov_b32_e32 v4, v3
	scratch_store_b64 off, v[3:4], off offset:24
	s_wait_loadcnt 0x0
	ds_store_b64 v141, v[1:2]
.LBB56_349:
	s_wait_alu 0xfffe
	s_or_b32 exec_lo, exec_lo, s0
	s_wait_storecnt_dscnt 0x0
	s_barrier_signal -1
	s_barrier_wait -1
	global_inv scope:SCOPE_SE
	s_clause 0x4
	scratch_load_b128 v[5:8], off, off offset:32
	scratch_load_b128 v[1:4], off, off offset:48
	;; [unrolled: 1-line block ×5, first 2 shown]
	v_mov_b32_e32 v139, 0
	ds_load_b128 v[21:24], v139 offset:496
	ds_load_b128 v[142:145], v139 offset:512
	;; [unrolled: 1-line block ×3, first 2 shown]
	scratch_load_b64 v[150:151], off, off offset:24
	s_mov_b32 s0, exec_lo
	s_wait_loadcnt_dscnt 0x502
	v_mul_f32_e32 v140, v21, v6
	v_mul_f32_e32 v152, v23, v8
	s_wait_loadcnt_dscnt 0x300
	v_dual_mul_f32 v8, v24, v8 :: v_dual_mul_f32 v153, v146, v10
	v_mul_f32_e32 v6, v22, v6
	v_fmac_f32_e32 v140, v22, v5
	v_mul_f32_e32 v154, v148, v12
	s_delay_alu instid0(VALU_DEP_4) | instskip(SKIP_2) | instid1(VALU_DEP_2)
	v_fma_f32 v22, v23, v7, -v8
	v_dual_mul_f32 v23, v142, v2 :: v_dual_fmac_f32 v152, v24, v7
	v_dual_fmac_f32 v153, v147, v9 :: v_dual_mul_f32 v24, v144, v4
	v_dual_mul_f32 v4, v145, v4 :: v_dual_fmac_f32 v23, v143, v1
	v_fma_f32 v21, v21, v5, -v6
	ds_load_b128 v[5:8], v139 offset:544
	v_mul_f32_e32 v10, v147, v10
	v_mul_f32_e32 v12, v149, v12
	;; [unrolled: 1-line block ×3, first 2 shown]
	v_fmac_f32_e32 v24, v145, v3
	v_fma_f32 v143, v144, v3, -v4
	v_fmac_f32_e32 v154, v149, v11
	v_fma_f32 v144, v146, v9, -v10
	v_fma_f32 v145, v148, v11, -v12
	ds_load_b128 v[9:12], v139 offset:560
	s_wait_loadcnt_dscnt 0x201
	v_dual_mul_f32 v147, v7, v16 :: v_dual_mul_f32 v146, v5, v14
	v_mul_f32_e32 v14, v6, v14
	v_mul_f32_e32 v16, v8, v16
	s_delay_alu instid0(VALU_DEP_3)
	v_fmac_f32_e32 v147, v8, v15
	v_fma_f32 v142, v142, v1, -v2
	scratch_load_b128 v[1:4], off, off offset:112
	v_fmac_f32_e32 v146, v6, v13
	v_fma_f32 v13, v5, v13, -v14
	v_fma_f32 v14, v7, v15, -v16
	s_wait_loadcnt_dscnt 0x200
	v_mul_f32_e32 v15, v9, v18
	v_mul_f32_e32 v16, v10, v18
	;; [unrolled: 1-line block ×4, first 2 shown]
	ds_load_b128 v[5:8], v139 offset:576
	v_fmac_f32_e32 v15, v10, v17
	v_fma_f32 v16, v9, v17, -v16
	v_fmac_f32_e32 v18, v12, v19
	v_fma_f32 v17, v11, v19, -v20
	scratch_load_b128 v[9:12], off, off offset:128
	s_wait_loadcnt_dscnt 0x100
	v_mul_f32_e32 v19, v5, v2
	v_mul_f32_e32 v2, v6, v2
	;; [unrolled: 1-line block ×3, first 2 shown]
	s_delay_alu instid0(VALU_DEP_3) | instskip(NEXT) | instid1(VALU_DEP_3)
	v_dual_mul_f32 v4, v8, v4 :: v_dual_fmac_f32 v19, v6, v1
	v_fma_f32 v148, v5, v1, -v2
	s_delay_alu instid0(VALU_DEP_3) | instskip(NEXT) | instid1(VALU_DEP_3)
	v_fmac_f32_e32 v20, v8, v3
	v_fma_f32 v149, v7, v3, -v4
	ds_load_b128 v[1:4], v139 offset:592
	ds_load_b128 v[5:8], v139 offset:608
	s_wait_loadcnt_dscnt 0x1
	v_mul_f32_e32 v155, v1, v10
	v_mul_f32_e32 v10, v2, v10
	s_delay_alu instid0(VALU_DEP_2) | instskip(NEXT) | instid1(VALU_DEP_2)
	v_dual_mul_f32 v156, v3, v12 :: v_dual_fmac_f32 v155, v2, v9
	v_fma_f32 v157, v1, v9, -v10
	v_mul_f32_e32 v1, v4, v12
	s_delay_alu instid0(VALU_DEP_3) | instskip(NEXT) | instid1(VALU_DEP_2)
	v_fmac_f32_e32 v156, v4, v11
	v_fma_f32 v158, v3, v11, -v1
	s_clause 0x1
	scratch_load_b128 v[1:4], off, off offset:144
	scratch_load_b128 v[9:12], off, off offset:160
	s_wait_loadcnt_dscnt 0x100
	v_mul_f32_e32 v159, v5, v2
	v_dual_mul_f32 v2, v6, v2 :: v_dual_mul_f32 v161, v7, v4
	s_delay_alu instid0(VALU_DEP_2) | instskip(NEXT) | instid1(VALU_DEP_2)
	v_fmac_f32_e32 v159, v6, v1
	v_fma_f32 v160, v5, v1, -v2
	v_mul_f32_e32 v1, v8, v4
	s_delay_alu instid0(VALU_DEP_4) | instskip(NEXT) | instid1(VALU_DEP_2)
	v_fmac_f32_e32 v161, v8, v3
	v_fma_f32 v162, v7, v3, -v1
	ds_load_b128 v[1:4], v139 offset:624
	ds_load_b128 v[5:8], v139 offset:640
	s_wait_loadcnt_dscnt 0x1
	v_mul_f32_e32 v163, v1, v10
	v_mul_f32_e32 v165, v3, v12
	s_delay_alu instid0(VALU_DEP_2) | instskip(NEXT) | instid1(VALU_DEP_2)
	v_fmac_f32_e32 v163, v2, v9
	v_dual_mul_f32 v2, v2, v10 :: v_dual_fmac_f32 v165, v4, v11
	s_delay_alu instid0(VALU_DEP_1) | instskip(SKIP_1) | instid1(VALU_DEP_1)
	v_fma_f32 v164, v1, v9, -v2
	v_mul_f32_e32 v1, v4, v12
	v_fma_f32 v166, v3, v11, -v1
	s_clause 0x1
	scratch_load_b128 v[1:4], off, off offset:176
	scratch_load_b128 v[9:12], off, off offset:192
	s_wait_loadcnt_dscnt 0x100
	v_mul_f32_e32 v167, v5, v2
	v_dual_mul_f32 v2, v6, v2 :: v_dual_mul_f32 v169, v7, v4
	s_delay_alu instid0(VALU_DEP_2) | instskip(NEXT) | instid1(VALU_DEP_2)
	v_fmac_f32_e32 v167, v6, v1
	v_fma_f32 v168, v5, v1, -v2
	v_mul_f32_e32 v1, v8, v4
	s_delay_alu instid0(VALU_DEP_4) | instskip(NEXT) | instid1(VALU_DEP_2)
	v_fmac_f32_e32 v169, v8, v3
	v_fma_f32 v170, v7, v3, -v1
	ds_load_b128 v[1:4], v139 offset:656
	ds_load_b128 v[5:8], v139 offset:672
	s_wait_loadcnt_dscnt 0x1
	v_mul_f32_e32 v171, v1, v10
	v_mul_f32_e32 v173, v3, v12
	s_delay_alu instid0(VALU_DEP_2) | instskip(NEXT) | instid1(VALU_DEP_2)
	v_fmac_f32_e32 v171, v2, v9
	v_dual_mul_f32 v2, v2, v10 :: v_dual_fmac_f32 v173, v4, v11
	s_delay_alu instid0(VALU_DEP_1) | instskip(SKIP_1) | instid1(VALU_DEP_1)
	v_fma_f32 v172, v1, v9, -v2
	v_mul_f32_e32 v1, v4, v12
	;; [unrolled: 25-line block ×7, first 2 shown]
	v_fma_f32 v214, v3, v11, -v1
	s_clause 0x1
	scratch_load_b128 v[1:4], off, off offset:368
	scratch_load_b128 v[9:12], off, off offset:384
	s_wait_loadcnt_dscnt 0x100
	v_mul_f32_e32 v215, v5, v2
	v_dual_mul_f32 v2, v6, v2 :: v_dual_mul_f32 v217, v7, v4
	s_delay_alu instid0(VALU_DEP_2) | instskip(NEXT) | instid1(VALU_DEP_2)
	v_fmac_f32_e32 v215, v6, v1
	v_fma_f32 v216, v5, v1, -v2
	s_delay_alu instid0(VALU_DEP_3) | instskip(NEXT) | instid1(VALU_DEP_1)
	v_dual_add_f32 v2, 0, v140 :: v_dual_fmac_f32 v217, v8, v3
	v_add_f32_e32 v2, v2, v152
	s_delay_alu instid0(VALU_DEP_1) | instskip(NEXT) | instid1(VALU_DEP_1)
	v_add_f32_e32 v2, v2, v23
	v_add_f32_e32 v2, v2, v24
	s_delay_alu instid0(VALU_DEP_1) | instskip(NEXT) | instid1(VALU_DEP_1)
	v_add_f32_e32 v2, v2, v153
	;; [unrolled: 3-line block ×5, first 2 shown]
	v_add_f32_e32 v2, v2, v20
	s_delay_alu instid0(VALU_DEP_1) | instskip(NEXT) | instid1(VALU_DEP_1)
	v_dual_mul_f32 v1, v8, v4 :: v_dual_add_f32 v2, v2, v155
	v_fma_f32 v218, v7, v3, -v1
	s_delay_alu instid0(VALU_DEP_2) | instskip(NEXT) | instid1(VALU_DEP_1)
	v_dual_add_f32 v1, 0, v21 :: v_dual_add_f32 v2, v2, v156
	v_dual_add_f32 v1, v1, v22 :: v_dual_add_f32 v2, v2, v159
	s_delay_alu instid0(VALU_DEP_1) | instskip(NEXT) | instid1(VALU_DEP_1)
	v_dual_add_f32 v1, v1, v142 :: v_dual_add_f32 v2, v2, v161
	v_add_f32_e32 v1, v1, v143
	scratch_load_b64 v[142:143], off, off offset:448
	v_dual_add_f32 v2, v2, v163 :: v_dual_add_f32 v1, v1, v144
	s_delay_alu instid0(VALU_DEP_1) | instskip(NEXT) | instid1(VALU_DEP_1)
	v_add_f32_e32 v2, v2, v165
	v_dual_add_f32 v1, v1, v145 :: v_dual_add_f32 v2, v2, v167
	s_delay_alu instid0(VALU_DEP_1) | instskip(NEXT) | instid1(VALU_DEP_1)
	v_add_f32_e32 v1, v1, v13
	v_dual_add_f32 v2, v2, v169 :: v_dual_add_f32 v1, v1, v14
	s_delay_alu instid0(VALU_DEP_1) | instskip(NEXT) | instid1(VALU_DEP_1)
	v_dual_add_f32 v2, v2, v171 :: v_dual_add_f32 v1, v1, v16
	v_add_f32_e32 v2, v2, v173
	s_delay_alu instid0(VALU_DEP_2) | instskip(NEXT) | instid1(VALU_DEP_1)
	v_add_f32_e32 v1, v1, v17
	v_add_f32_e32 v1, v1, v148
	s_delay_alu instid0(VALU_DEP_1) | instskip(NEXT) | instid1(VALU_DEP_1)
	v_add_f32_e32 v1, v1, v149
	v_add_f32_e32 v1, v1, v157
	s_delay_alu instid0(VALU_DEP_1) | instskip(NEXT) | instid1(VALU_DEP_1)
	;; [unrolled: 3-line block ×9, first 2 shown]
	v_add_f32_e32 v1, v1, v186
	v_add_f32_e32 v1, v1, v188
	s_delay_alu instid0(VALU_DEP_1) | instskip(SKIP_1) | instid1(VALU_DEP_2)
	v_add_f32_e32 v6, v1, v190
	v_add_f32_e32 v2, v2, v175
	;; [unrolled: 1-line block ×3, first 2 shown]
	s_delay_alu instid0(VALU_DEP_2) | instskip(NEXT) | instid1(VALU_DEP_2)
	v_add_f32_e32 v2, v2, v177
	v_add_f32_e32 v13, v6, v194
	s_delay_alu instid0(VALU_DEP_1) | instskip(NEXT) | instid1(VALU_DEP_1)
	v_dual_add_f32 v2, v2, v179 :: v_dual_add_f32 v13, v13, v196
	v_dual_add_f32 v2, v2, v181 :: v_dual_add_f32 v13, v13, v198
	s_delay_alu instid0(VALU_DEP_1) | instskip(NEXT) | instid1(VALU_DEP_1)
	v_dual_add_f32 v2, v2, v183 :: v_dual_add_f32 v13, v13, v200
	v_add_f32_e32 v2, v2, v185
	s_delay_alu instid0(VALU_DEP_1) | instskip(SKIP_2) | instid1(VALU_DEP_1)
	v_dual_add_f32 v18, v13, v202 :: v_dual_add_f32 v5, v2, v187
	ds_load_b128 v[1:4], v139 offset:848
	v_dual_add_f32 v18, v18, v204 :: v_dual_add_f32 v5, v5, v189
	v_dual_add_f32 v18, v18, v206 :: v_dual_add_f32 v5, v5, v191
	s_delay_alu instid0(VALU_DEP_1) | instskip(NEXT) | instid1(VALU_DEP_2)
	v_add_f32_e32 v18, v18, v208
	v_add_f32_e32 v14, v5, v193
	ds_load_b128 v[5:8], v139 offset:864
	v_add_f32_e32 v18, v18, v210
	v_add_f32_e32 v14, v14, v195
	s_wait_loadcnt_dscnt 0x101
	v_mul_f32_e32 v140, v1, v10
	v_mul_f32_e32 v10, v2, v10
	;; [unrolled: 1-line block ×4, first 2 shown]
	v_add_f32_e32 v14, v14, v197
	v_fmac_f32_e32 v140, v2, v9
	v_fma_f32 v147, v1, v9, -v10
	v_fmac_f32_e32 v146, v4, v11
	v_fma_f32 v148, v3, v11, -v12
	s_clause 0x1
	scratch_load_b128 v[1:4], off, off offset:400
	scratch_load_b128 v[9:12], off, off offset:416
	v_add_f32_e32 v17, v14, v199
	scratch_load_b128 v[13:16], off, off offset:432
	v_dual_add_f32 v144, v18, v212 :: v_dual_add_f32 v17, v17, v201
	s_delay_alu instid0(VALU_DEP_1) | instskip(NEXT) | instid1(VALU_DEP_1)
	v_add_f32_e32 v149, v144, v214
	v_add_f32_e32 v149, v149, v216
	s_delay_alu instid0(VALU_DEP_1) | instskip(NEXT) | instid1(VALU_DEP_1)
	v_add_f32_e32 v149, v149, v218
	v_add_f32_e32 v147, v149, v147
	s_delay_alu instid0(VALU_DEP_1) | instskip(SKIP_4) | instid1(VALU_DEP_3)
	v_add_f32_e32 v147, v147, v148
	s_wait_loadcnt_dscnt 0x200
	v_dual_mul_f32 v154, v7, v4 :: v_dual_add_f32 v17, v17, v203
	v_dual_mul_f32 v4, v8, v4 :: v_dual_mul_f32 v153, v5, v2
	v_mul_f32_e32 v2, v6, v2
	v_dual_fmac_f32 v154, v8, v3 :: v_dual_add_f32 v17, v17, v205
	s_delay_alu instid0(VALU_DEP_3) | instskip(NEXT) | instid1(VALU_DEP_3)
	v_fmac_f32_e32 v153, v6, v1
	v_fma_f32 v2, v5, v1, -v2
	v_fma_f32 v1, v7, v3, -v4
	s_delay_alu instid0(VALU_DEP_2) | instskip(NEXT) | instid1(VALU_DEP_1)
	v_dual_add_f32 v17, v17, v207 :: v_dual_add_f32 v2, v147, v2
	v_add_f32_e32 v21, v17, v209
	ds_load_b128 v[17:20], v139 offset:880
	v_add_f32_e32 v1, v2, v1
	v_add_f32_e32 v145, v21, v211
	ds_load_b128 v[21:24], v139 offset:896
	v_add_f32_e32 v152, v145, v213
	ds_load_b64 v[144:145], v139 offset:912
	v_add_f32_e32 v152, v152, v215
	s_wait_loadcnt_dscnt 0x102
	s_delay_alu instid0(VALU_DEP_1) | instskip(SKIP_2) | instid1(VALU_DEP_3)
	v_dual_add_f32 v152, v152, v217 :: v_dual_mul_f32 v149, v17, v10
	v_mul_f32_e32 v3, v18, v10
	v_mul_f32_e32 v5, v20, v12
	v_add_f32_e32 v140, v152, v140
	s_delay_alu instid0(VALU_DEP_4) | instskip(NEXT) | instid1(VALU_DEP_4)
	v_dual_mul_f32 v152, v19, v12 :: v_dual_fmac_f32 v149, v18, v9
	v_fma_f32 v3, v17, v9, -v3
	s_wait_loadcnt_dscnt 0x1
	v_mul_f32_e32 v155, v21, v14
	v_add_f32_e32 v140, v140, v146
	v_fmac_f32_e32 v152, v20, v11
	v_fma_f32 v5, v19, v11, -v5
	v_dual_add_f32 v1, v1, v3 :: v_dual_mul_f32 v148, v23, v16
	s_delay_alu instid0(VALU_DEP_4)
	v_add_f32_e32 v4, v140, v153
	v_mul_f32_e32 v3, v24, v16
	v_fmac_f32_e32 v155, v22, v13
	s_wait_dscnt 0x0
	v_dual_add_f32 v1, v1, v5 :: v_dual_mul_f32 v146, v144, v143
	v_add_f32_e32 v2, v4, v154
	v_dual_mul_f32 v4, v22, v14 :: v_dual_mul_f32 v5, v145, v143
	v_fmac_f32_e32 v148, v24, v15
	v_fma_f32 v3, v23, v15, -v3
	s_delay_alu instid0(VALU_DEP_4) | instskip(NEXT) | instid1(VALU_DEP_4)
	v_add_f32_e32 v2, v2, v149
	v_fma_f32 v4, v21, v13, -v4
	v_fmac_f32_e32 v146, v145, v142
	s_delay_alu instid0(VALU_DEP_3) | instskip(NEXT) | instid1(VALU_DEP_3)
	v_add_f32_e32 v2, v2, v152
	v_add_f32_e32 v1, v1, v4
	v_fma_f32 v4, v144, v142, -v5
	s_delay_alu instid0(VALU_DEP_3) | instskip(NEXT) | instid1(VALU_DEP_1)
	v_add_f32_e32 v2, v2, v155
	v_dual_add_f32 v1, v1, v3 :: v_dual_add_f32 v2, v2, v148
	s_delay_alu instid0(VALU_DEP_1) | instskip(NEXT) | instid1(VALU_DEP_1)
	v_dual_add_f32 v1, v1, v4 :: v_dual_add_f32 v2, v2, v146
	v_dual_sub_f32 v1, v150, v1 :: v_dual_sub_f32 v2, v151, v2
	scratch_store_b64 off, v[1:2], off offset:24
	v_cmpx_lt_u32_e32 2, v0
	s_cbranch_execz .LBB56_351
; %bb.350:
	scratch_load_b64 v[1:2], off, off offset:16
	v_mov_b32_e32 v140, v139
	scratch_store_b64 off, v[139:140], off offset:16
	s_wait_loadcnt 0x0
	ds_store_b64 v141, v[1:2]
.LBB56_351:
	s_wait_alu 0xfffe
	s_or_b32 exec_lo, exec_lo, s0
	s_wait_storecnt_dscnt 0x0
	s_barrier_signal -1
	s_barrier_wait -1
	global_inv scope:SCOPE_SE
	s_clause 0x4
	scratch_load_b128 v[5:8], off, off offset:24
	scratch_load_b128 v[1:4], off, off offset:40
	;; [unrolled: 1-line block ×5, first 2 shown]
	ds_load_2addr_b64 v[21:24], v139 offset0:61 offset1:62
	ds_load_2addr_b64 v[142:145], v139 offset0:63 offset1:64
	;; [unrolled: 1-line block ×3, first 2 shown]
	scratch_load_b64 v[150:151], off, off offset:16
	s_mov_b32 s0, exec_lo
	s_wait_loadcnt_dscnt 0x502
	v_mul_f32_e32 v140, v21, v6
	v_mul_f32_e32 v152, v23, v8
	s_wait_loadcnt_dscnt 0x300
	v_dual_mul_f32 v8, v24, v8 :: v_dual_mul_f32 v153, v146, v10
	v_mul_f32_e32 v6, v22, v6
	v_fmac_f32_e32 v140, v22, v5
	v_mul_f32_e32 v154, v148, v12
	s_delay_alu instid0(VALU_DEP_4)
	v_fma_f32 v22, v23, v7, -v8
	v_dual_mul_f32 v23, v142, v2 :: v_dual_fmac_f32 v152, v24, v7
	v_fmac_f32_e32 v153, v147, v9
	v_fma_f32 v21, v21, v5, -v6
	ds_load_2addr_b64 v[5:8], v139 offset0:67 offset1:68
	v_mul_f32_e32 v24, v144, v4
	v_mul_f32_e32 v4, v145, v4
	;; [unrolled: 1-line block ×5, first 2 shown]
	v_dual_fmac_f32 v23, v143, v1 :: v_dual_fmac_f32 v24, v145, v3
	v_fma_f32 v143, v144, v3, -v4
	v_fmac_f32_e32 v154, v149, v11
	v_fma_f32 v144, v146, v9, -v10
	v_fma_f32 v145, v148, v11, -v12
	ds_load_2addr_b64 v[9:12], v139 offset0:69 offset1:70
	s_wait_loadcnt_dscnt 0x201
	v_dual_mul_f32 v147, v7, v16 :: v_dual_mul_f32 v146, v5, v14
	v_mul_f32_e32 v14, v6, v14
	v_mul_f32_e32 v16, v8, v16
	s_delay_alu instid0(VALU_DEP_3)
	v_fmac_f32_e32 v147, v8, v15
	v_fma_f32 v142, v142, v1, -v2
	scratch_load_b128 v[1:4], off, off offset:104
	v_fmac_f32_e32 v146, v6, v13
	v_fma_f32 v13, v5, v13, -v14
	v_fma_f32 v14, v7, v15, -v16
	ds_load_2addr_b64 v[5:8], v139 offset0:71 offset1:72
	s_wait_loadcnt_dscnt 0x201
	v_mul_f32_e32 v15, v9, v18
	v_mul_f32_e32 v16, v10, v18
	;; [unrolled: 1-line block ×3, first 2 shown]
	s_delay_alu instid0(VALU_DEP_3) | instskip(NEXT) | instid1(VALU_DEP_3)
	v_dual_mul_f32 v20, v12, v20 :: v_dual_fmac_f32 v15, v10, v17
	v_fma_f32 v16, v9, v17, -v16
	s_delay_alu instid0(VALU_DEP_3) | instskip(NEXT) | instid1(VALU_DEP_3)
	v_fmac_f32_e32 v18, v12, v19
	v_fma_f32 v17, v11, v19, -v20
	scratch_load_b128 v[9:12], off, off offset:120
	s_wait_loadcnt_dscnt 0x100
	v_mul_f32_e32 v19, v5, v2
	v_mul_f32_e32 v2, v6, v2
	;; [unrolled: 1-line block ×3, first 2 shown]
	s_delay_alu instid0(VALU_DEP_3) | instskip(NEXT) | instid1(VALU_DEP_3)
	v_dual_mul_f32 v4, v8, v4 :: v_dual_fmac_f32 v19, v6, v1
	v_fma_f32 v148, v5, v1, -v2
	s_delay_alu instid0(VALU_DEP_3) | instskip(NEXT) | instid1(VALU_DEP_3)
	v_fmac_f32_e32 v20, v8, v3
	v_fma_f32 v149, v7, v3, -v4
	ds_load_2addr_b64 v[1:4], v139 offset0:73 offset1:74
	ds_load_2addr_b64 v[5:8], v139 offset0:75 offset1:76
	s_wait_loadcnt_dscnt 0x1
	v_mul_f32_e32 v155, v1, v10
	v_mul_f32_e32 v10, v2, v10
	s_delay_alu instid0(VALU_DEP_2) | instskip(NEXT) | instid1(VALU_DEP_2)
	v_dual_mul_f32 v156, v3, v12 :: v_dual_fmac_f32 v155, v2, v9
	v_fma_f32 v157, v1, v9, -v10
	v_mul_f32_e32 v1, v4, v12
	s_delay_alu instid0(VALU_DEP_3) | instskip(NEXT) | instid1(VALU_DEP_2)
	v_fmac_f32_e32 v156, v4, v11
	v_fma_f32 v158, v3, v11, -v1
	s_clause 0x1
	scratch_load_b128 v[1:4], off, off offset:136
	scratch_load_b128 v[9:12], off, off offset:152
	s_wait_loadcnt_dscnt 0x100
	v_mul_f32_e32 v159, v5, v2
	v_dual_mul_f32 v2, v6, v2 :: v_dual_mul_f32 v161, v7, v4
	s_delay_alu instid0(VALU_DEP_2) | instskip(NEXT) | instid1(VALU_DEP_2)
	v_fmac_f32_e32 v159, v6, v1
	v_fma_f32 v160, v5, v1, -v2
	v_mul_f32_e32 v1, v8, v4
	s_delay_alu instid0(VALU_DEP_4) | instskip(NEXT) | instid1(VALU_DEP_2)
	v_fmac_f32_e32 v161, v8, v3
	v_fma_f32 v162, v7, v3, -v1
	ds_load_2addr_b64 v[1:4], v139 offset0:77 offset1:78
	ds_load_2addr_b64 v[5:8], v139 offset0:79 offset1:80
	s_wait_loadcnt_dscnt 0x1
	v_mul_f32_e32 v163, v1, v10
	v_mul_f32_e32 v165, v3, v12
	s_delay_alu instid0(VALU_DEP_2) | instskip(NEXT) | instid1(VALU_DEP_2)
	v_fmac_f32_e32 v163, v2, v9
	v_dual_mul_f32 v2, v2, v10 :: v_dual_fmac_f32 v165, v4, v11
	s_delay_alu instid0(VALU_DEP_1) | instskip(SKIP_1) | instid1(VALU_DEP_1)
	v_fma_f32 v164, v1, v9, -v2
	v_mul_f32_e32 v1, v4, v12
	v_fma_f32 v166, v3, v11, -v1
	s_clause 0x1
	scratch_load_b128 v[1:4], off, off offset:168
	scratch_load_b128 v[9:12], off, off offset:184
	s_wait_loadcnt_dscnt 0x100
	v_mul_f32_e32 v167, v5, v2
	v_dual_mul_f32 v2, v6, v2 :: v_dual_mul_f32 v169, v7, v4
	s_delay_alu instid0(VALU_DEP_2) | instskip(NEXT) | instid1(VALU_DEP_2)
	v_fmac_f32_e32 v167, v6, v1
	v_fma_f32 v168, v5, v1, -v2
	v_mul_f32_e32 v1, v8, v4
	s_delay_alu instid0(VALU_DEP_4) | instskip(NEXT) | instid1(VALU_DEP_2)
	v_fmac_f32_e32 v169, v8, v3
	v_fma_f32 v170, v7, v3, -v1
	ds_load_2addr_b64 v[1:4], v139 offset0:81 offset1:82
	ds_load_2addr_b64 v[5:8], v139 offset0:83 offset1:84
	s_wait_loadcnt_dscnt 0x1
	v_mul_f32_e32 v171, v1, v10
	v_mul_f32_e32 v173, v3, v12
	s_delay_alu instid0(VALU_DEP_2) | instskip(NEXT) | instid1(VALU_DEP_2)
	v_fmac_f32_e32 v171, v2, v9
	v_dual_mul_f32 v2, v2, v10 :: v_dual_fmac_f32 v173, v4, v11
	s_delay_alu instid0(VALU_DEP_1) | instskip(SKIP_1) | instid1(VALU_DEP_1)
	v_fma_f32 v172, v1, v9, -v2
	v_mul_f32_e32 v1, v4, v12
	;; [unrolled: 25-line block ×7, first 2 shown]
	v_fma_f32 v214, v3, v11, -v1
	s_clause 0x1
	scratch_load_b128 v[1:4], off, off offset:360
	scratch_load_b128 v[9:12], off, off offset:376
	s_wait_loadcnt_dscnt 0x100
	v_mul_f32_e32 v215, v5, v2
	v_mul_f32_e32 v2, v6, v2
	s_delay_alu instid0(VALU_DEP_2) | instskip(NEXT) | instid1(VALU_DEP_2)
	v_fmac_f32_e32 v215, v6, v1
	v_fma_f32 v216, v5, v1, -v2
	v_add_f32_e32 v2, 0, v140
	v_mul_f32_e32 v1, v8, v4
	s_delay_alu instid0(VALU_DEP_2) | instskip(NEXT) | instid1(VALU_DEP_2)
	v_add_f32_e32 v2, v2, v152
	v_fma_f32 v218, v7, v3, -v1
	s_delay_alu instid0(VALU_DEP_2) | instskip(NEXT) | instid1(VALU_DEP_1)
	v_dual_add_f32 v1, 0, v21 :: v_dual_add_f32 v2, v2, v23
	v_dual_add_f32 v1, v1, v22 :: v_dual_add_f32 v2, v2, v24
	s_delay_alu instid0(VALU_DEP_1) | instskip(NEXT) | instid1(VALU_DEP_1)
	v_add_f32_e32 v2, v2, v153
	v_add_f32_e32 v2, v2, v154
	s_delay_alu instid0(VALU_DEP_1) | instskip(NEXT) | instid1(VALU_DEP_1)
	v_add_f32_e32 v2, v2, v146
	v_add_f32_e32 v2, v2, v147
	;; [unrolled: 3-line block ×5, first 2 shown]
	s_delay_alu instid0(VALU_DEP_1) | instskip(NEXT) | instid1(VALU_DEP_1)
	v_add_f32_e32 v2, v2, v159
	v_dual_add_f32 v2, v2, v161 :: v_dual_add_f32 v1, v1, v142
	s_delay_alu instid0(VALU_DEP_1) | instskip(NEXT) | instid1(VALU_DEP_1)
	v_add_f32_e32 v2, v2, v163
	v_dual_add_f32 v1, v1, v143 :: v_dual_add_f32 v2, v2, v165
	s_delay_alu instid0(VALU_DEP_1) | instskip(NEXT) | instid1(VALU_DEP_1)
	v_dual_add_f32 v1, v1, v144 :: v_dual_add_f32 v2, v2, v167
	v_add_f32_e32 v1, v1, v145
	s_delay_alu instid0(VALU_DEP_2) | instskip(NEXT) | instid1(VALU_DEP_1)
	v_add_f32_e32 v2, v2, v169
	v_dual_add_f32 v1, v1, v13 :: v_dual_add_f32 v2, v2, v171
	s_delay_alu instid0(VALU_DEP_1) | instskip(NEXT) | instid1(VALU_DEP_1)
	v_dual_add_f32 v1, v1, v14 :: v_dual_add_f32 v2, v2, v173
	v_add_f32_e32 v1, v1, v16
	s_delay_alu instid0(VALU_DEP_1) | instskip(NEXT) | instid1(VALU_DEP_1)
	v_add_f32_e32 v1, v1, v17
	v_add_f32_e32 v1, v1, v148
	s_delay_alu instid0(VALU_DEP_1) | instskip(NEXT) | instid1(VALU_DEP_1)
	v_add_f32_e32 v1, v1, v149
	;; [unrolled: 3-line block ×11, first 2 shown]
	v_add_f32_e32 v6, v1, v192
	v_dual_add_f32 v2, v2, v175 :: v_dual_mul_f32 v217, v7, v4
	s_delay_alu instid0(VALU_DEP_2) | instskip(NEXT) | instid1(VALU_DEP_2)
	v_add_f32_e32 v14, v6, v194
	v_add_f32_e32 v2, v2, v177
	s_delay_alu instid0(VALU_DEP_2) | instskip(NEXT) | instid1(VALU_DEP_2)
	v_add_f32_e32 v14, v14, v196
	v_add_f32_e32 v2, v2, v179
	s_delay_alu instid0(VALU_DEP_2) | instskip(NEXT) | instid1(VALU_DEP_1)
	v_add_f32_e32 v17, v14, v198
	v_dual_add_f32 v2, v2, v181 :: v_dual_add_f32 v17, v17, v200
	s_delay_alu instid0(VALU_DEP_1) | instskip(NEXT) | instid1(VALU_DEP_1)
	v_dual_add_f32 v2, v2, v183 :: v_dual_add_f32 v17, v17, v202
	v_dual_add_f32 v2, v2, v185 :: v_dual_add_f32 v17, v17, v204
	s_delay_alu instid0(VALU_DEP_1) | instskip(NEXT) | instid1(VALU_DEP_1)
	v_add_f32_e32 v2, v2, v187
	v_dual_add_f32 v22, v17, v206 :: v_dual_add_f32 v5, v2, v189
	s_delay_alu instid0(VALU_DEP_1) | instskip(NEXT) | instid1(VALU_DEP_1)
	v_dual_add_f32 v22, v22, v208 :: v_dual_add_f32 v13, v5, v191
	v_dual_add_f32 v22, v22, v210 :: v_dual_add_f32 v13, v13, v193
	s_delay_alu instid0(VALU_DEP_1)
	v_add_f32_e32 v13, v13, v195
	v_fmac_f32_e32 v217, v8, v3
	scratch_load_b128 v[5:8], off, off offset:392
	ds_load_2addr_b64 v[1:4], v139 offset0:105 offset1:106
	v_add_f32_e32 v18, v13, v197
	ds_load_2addr_b64 v[13:16], v139 offset0:107 offset1:108
	s_wait_loadcnt_dscnt 0x101
	v_mul_f32_e32 v140, v1, v10
	v_mul_f32_e32 v10, v2, v10
	;; [unrolled: 1-line block ×4, first 2 shown]
	s_delay_alu instid0(VALU_DEP_4) | instskip(NEXT) | instid1(VALU_DEP_4)
	v_fmac_f32_e32 v140, v2, v9
	v_fma_f32 v143, v1, v9, -v10
	s_delay_alu instid0(VALU_DEP_4) | instskip(NEXT) | instid1(VALU_DEP_4)
	v_fmac_f32_e32 v142, v4, v11
	v_fma_f32 v144, v3, v11, -v12
	s_clause 0x1
	scratch_load_b128 v[1:4], off, off offset:408
	scratch_load_b128 v[9:12], off, off offset:424
	s_wait_loadcnt_dscnt 0x200
	v_mul_f32_e32 v146, v15, v8
	v_add_f32_e32 v18, v18, v199
	v_dual_mul_f32 v8, v16, v8 :: v_dual_mul_f32 v145, v13, v6
	v_mul_f32_e32 v6, v14, v6
	s_delay_alu instid0(VALU_DEP_4) | instskip(NEXT) | instid1(VALU_DEP_4)
	v_fmac_f32_e32 v146, v16, v7
	v_add_f32_e32 v18, v18, v201
	s_delay_alu instid0(VALU_DEP_4) | instskip(NEXT) | instid1(VALU_DEP_4)
	v_fma_f32 v148, v15, v7, -v8
	v_fma_f32 v147, v13, v5, -v6
	s_delay_alu instid0(VALU_DEP_3) | instskip(SKIP_2) | instid1(VALU_DEP_1)
	v_add_f32_e32 v21, v18, v203
	scratch_load_b128 v[17:20], off, off offset:440
	v_add_f32_e32 v21, v21, v205
	v_add_f32_e32 v21, v21, v207
	s_delay_alu instid0(VALU_DEP_1) | instskip(NEXT) | instid1(VALU_DEP_1)
	v_add_f32_e32 v13, v21, v209
	v_dual_add_f32 v21, v22, v212 :: v_dual_add_f32 v22, v13, v211
	s_delay_alu instid0(VALU_DEP_1)
	v_dual_add_f32 v149, v21, v214 :: v_dual_add_f32 v152, v22, v213
	ds_load_2addr_b64 v[21:24], v139 offset0:113 offset1:114
	v_fmac_f32_e32 v145, v14, v5
	ds_load_2addr_b64 v[5:8], v139 offset0:109 offset1:110
	ds_load_2addr_b64 v[13:16], v139 offset0:111 offset1:112
	v_add_f32_e32 v139, v149, v216
	v_add_f32_e32 v149, v152, v215
	s_delay_alu instid0(VALU_DEP_2) | instskip(NEXT) | instid1(VALU_DEP_2)
	v_add_f32_e32 v139, v139, v218
	v_add_f32_e32 v149, v149, v217
	s_delay_alu instid0(VALU_DEP_1) | instskip(NEXT) | instid1(VALU_DEP_1)
	v_dual_add_f32 v139, v139, v143 :: v_dual_add_f32 v140, v149, v140
	v_dual_add_f32 v139, v139, v144 :: v_dual_add_f32 v140, v140, v142
	s_wait_loadcnt_dscnt 0x201
	v_mul_f32_e32 v152, v5, v2
	s_delay_alu instid0(VALU_DEP_2) | instskip(SKIP_2) | instid1(VALU_DEP_4)
	v_dual_mul_f32 v2, v6, v2 :: v_dual_add_f32 v139, v139, v147
	v_mul_f32_e32 v143, v7, v4
	v_mul_f32_e32 v4, v8, v4
	v_fmac_f32_e32 v152, v6, v1
	s_delay_alu instid0(VALU_DEP_4)
	v_fma_f32 v2, v5, v1, -v2
	v_add_f32_e32 v1, v139, v148
	s_wait_loadcnt_dscnt 0x100
	v_mul_f32_e32 v149, v13, v10
	v_dual_mul_f32 v6, v14, v10 :: v_dual_fmac_f32 v143, v8, v3
	v_fma_f32 v3, v7, v3, -v4
	v_add_f32_e32 v1, v1, v2
	v_mul_f32_e32 v153, v15, v12
	v_dual_mul_f32 v4, v16, v12 :: v_dual_fmac_f32 v149, v14, v9
	s_delay_alu instid0(VALU_DEP_3) | instskip(NEXT) | instid1(VALU_DEP_3)
	v_add_f32_e32 v1, v1, v3
	v_fmac_f32_e32 v153, v16, v11
	s_delay_alu instid0(VALU_DEP_3) | instskip(SKIP_4) | instid1(VALU_DEP_2)
	v_fma_f32 v4, v15, v11, -v4
	s_wait_loadcnt 0x0
	v_mul_f32_e32 v142, v21, v18
	v_dual_add_f32 v140, v140, v145 :: v_dual_mul_f32 v3, v22, v18
	v_mul_f32_e32 v144, v23, v20
	v_dual_fmac_f32 v142, v22, v17 :: v_dual_add_f32 v5, v140, v146
	s_delay_alu instid0(VALU_DEP_3) | instskip(NEXT) | instid1(VALU_DEP_3)
	v_fma_f32 v3, v21, v17, -v3
	v_fmac_f32_e32 v144, v24, v19
	s_delay_alu instid0(VALU_DEP_3) | instskip(SKIP_1) | instid1(VALU_DEP_1)
	v_add_f32_e32 v2, v5, v152
	v_fma_f32 v5, v13, v9, -v6
	v_dual_add_f32 v2, v2, v143 :: v_dual_add_f32 v1, v1, v5
	s_delay_alu instid0(VALU_DEP_1) | instskip(NEXT) | instid1(VALU_DEP_2)
	v_dual_mul_f32 v5, v24, v20 :: v_dual_add_f32 v2, v2, v149
	v_add_f32_e32 v1, v1, v4
	s_delay_alu instid0(VALU_DEP_2) | instskip(NEXT) | instid1(VALU_DEP_2)
	v_fma_f32 v4, v23, v19, -v5
	v_dual_add_f32 v2, v2, v153 :: v_dual_add_f32 v1, v1, v3
	s_delay_alu instid0(VALU_DEP_1) | instskip(NEXT) | instid1(VALU_DEP_1)
	v_dual_add_f32 v2, v2, v142 :: v_dual_add_f32 v1, v1, v4
	v_add_f32_e32 v2, v2, v144
	s_delay_alu instid0(VALU_DEP_1)
	v_dual_sub_f32 v1, v150, v1 :: v_dual_sub_f32 v2, v151, v2
	scratch_store_b64 off, v[1:2], off offset:16
	v_cmpx_lt_u32_e32 1, v0
	s_cbranch_execz .LBB56_353
; %bb.352:
	scratch_load_b64 v[1:2], off, off offset:8
	v_mov_b32_e32 v3, 0
	s_delay_alu instid0(VALU_DEP_1)
	v_mov_b32_e32 v4, v3
	scratch_store_b64 off, v[3:4], off offset:8
	s_wait_loadcnt 0x0
	ds_store_b64 v141, v[1:2]
.LBB56_353:
	s_wait_alu 0xfffe
	s_or_b32 exec_lo, exec_lo, s0
	s_wait_storecnt_dscnt 0x0
	s_barrier_signal -1
	s_barrier_wait -1
	global_inv scope:SCOPE_SE
	s_clause 0x4
	scratch_load_b128 v[5:8], off, off offset:16
	scratch_load_b128 v[1:4], off, off offset:32
	;; [unrolled: 1-line block ×5, first 2 shown]
	v_mov_b32_e32 v139, 0
	ds_load_b128 v[21:24], v139 offset:480
	ds_load_b128 v[142:145], v139 offset:496
	;; [unrolled: 1-line block ×3, first 2 shown]
	scratch_load_b64 v[150:151], off, off offset:8
	s_mov_b32 s0, exec_lo
	s_wait_loadcnt_dscnt 0x502
	v_mul_f32_e32 v140, v21, v6
	v_mul_f32_e32 v152, v23, v8
	s_wait_loadcnt_dscnt 0x300
	v_dual_mul_f32 v8, v24, v8 :: v_dual_mul_f32 v153, v146, v10
	v_mul_f32_e32 v6, v22, v6
	v_fmac_f32_e32 v140, v22, v5
	v_mul_f32_e32 v154, v148, v12
	s_delay_alu instid0(VALU_DEP_4) | instskip(SKIP_2) | instid1(VALU_DEP_2)
	v_fma_f32 v22, v23, v7, -v8
	v_dual_mul_f32 v23, v142, v2 :: v_dual_fmac_f32 v152, v24, v7
	v_dual_fmac_f32 v153, v147, v9 :: v_dual_mul_f32 v24, v144, v4
	v_dual_mul_f32 v4, v145, v4 :: v_dual_fmac_f32 v23, v143, v1
	v_fma_f32 v21, v21, v5, -v6
	ds_load_b128 v[5:8], v139 offset:528
	v_mul_f32_e32 v10, v147, v10
	v_mul_f32_e32 v12, v149, v12
	;; [unrolled: 1-line block ×3, first 2 shown]
	v_fmac_f32_e32 v24, v145, v3
	v_fma_f32 v143, v144, v3, -v4
	v_fmac_f32_e32 v154, v149, v11
	v_fma_f32 v144, v146, v9, -v10
	v_fma_f32 v145, v148, v11, -v12
	ds_load_b128 v[9:12], v139 offset:544
	s_wait_loadcnt_dscnt 0x201
	v_dual_mul_f32 v147, v7, v16 :: v_dual_mul_f32 v146, v5, v14
	v_mul_f32_e32 v14, v6, v14
	v_mul_f32_e32 v16, v8, v16
	s_delay_alu instid0(VALU_DEP_3)
	v_fmac_f32_e32 v147, v8, v15
	v_fma_f32 v142, v142, v1, -v2
	scratch_load_b128 v[1:4], off, off offset:96
	v_fmac_f32_e32 v146, v6, v13
	v_fma_f32 v13, v5, v13, -v14
	v_fma_f32 v14, v7, v15, -v16
	s_wait_loadcnt_dscnt 0x200
	v_mul_f32_e32 v15, v9, v18
	v_mul_f32_e32 v16, v10, v18
	;; [unrolled: 1-line block ×4, first 2 shown]
	ds_load_b128 v[5:8], v139 offset:560
	v_fmac_f32_e32 v15, v10, v17
	v_fma_f32 v16, v9, v17, -v16
	v_fmac_f32_e32 v18, v12, v19
	v_fma_f32 v17, v11, v19, -v20
	scratch_load_b128 v[9:12], off, off offset:112
	s_wait_loadcnt_dscnt 0x100
	v_mul_f32_e32 v19, v5, v2
	v_mul_f32_e32 v2, v6, v2
	;; [unrolled: 1-line block ×3, first 2 shown]
	s_delay_alu instid0(VALU_DEP_3) | instskip(NEXT) | instid1(VALU_DEP_3)
	v_dual_mul_f32 v4, v8, v4 :: v_dual_fmac_f32 v19, v6, v1
	v_fma_f32 v148, v5, v1, -v2
	s_delay_alu instid0(VALU_DEP_3) | instskip(NEXT) | instid1(VALU_DEP_3)
	v_fmac_f32_e32 v20, v8, v3
	v_fma_f32 v149, v7, v3, -v4
	ds_load_b128 v[1:4], v139 offset:576
	ds_load_b128 v[5:8], v139 offset:592
	s_wait_loadcnt_dscnt 0x1
	v_mul_f32_e32 v155, v1, v10
	v_mul_f32_e32 v10, v2, v10
	s_delay_alu instid0(VALU_DEP_2) | instskip(NEXT) | instid1(VALU_DEP_2)
	v_dual_mul_f32 v156, v3, v12 :: v_dual_fmac_f32 v155, v2, v9
	v_fma_f32 v157, v1, v9, -v10
	v_mul_f32_e32 v1, v4, v12
	s_delay_alu instid0(VALU_DEP_3) | instskip(NEXT) | instid1(VALU_DEP_2)
	v_fmac_f32_e32 v156, v4, v11
	v_fma_f32 v158, v3, v11, -v1
	s_clause 0x1
	scratch_load_b128 v[1:4], off, off offset:128
	scratch_load_b128 v[9:12], off, off offset:144
	s_wait_loadcnt_dscnt 0x100
	v_mul_f32_e32 v159, v5, v2
	v_dual_mul_f32 v2, v6, v2 :: v_dual_mul_f32 v161, v7, v4
	s_delay_alu instid0(VALU_DEP_2) | instskip(NEXT) | instid1(VALU_DEP_2)
	v_fmac_f32_e32 v159, v6, v1
	v_fma_f32 v160, v5, v1, -v2
	v_mul_f32_e32 v1, v8, v4
	s_delay_alu instid0(VALU_DEP_4) | instskip(NEXT) | instid1(VALU_DEP_2)
	v_fmac_f32_e32 v161, v8, v3
	v_fma_f32 v162, v7, v3, -v1
	ds_load_b128 v[1:4], v139 offset:608
	ds_load_b128 v[5:8], v139 offset:624
	s_wait_loadcnt_dscnt 0x1
	v_mul_f32_e32 v163, v1, v10
	v_mul_f32_e32 v165, v3, v12
	s_delay_alu instid0(VALU_DEP_2) | instskip(NEXT) | instid1(VALU_DEP_2)
	v_fmac_f32_e32 v163, v2, v9
	v_dual_mul_f32 v2, v2, v10 :: v_dual_fmac_f32 v165, v4, v11
	s_delay_alu instid0(VALU_DEP_1) | instskip(SKIP_1) | instid1(VALU_DEP_1)
	v_fma_f32 v164, v1, v9, -v2
	v_mul_f32_e32 v1, v4, v12
	v_fma_f32 v166, v3, v11, -v1
	s_clause 0x1
	scratch_load_b128 v[1:4], off, off offset:160
	scratch_load_b128 v[9:12], off, off offset:176
	s_wait_loadcnt_dscnt 0x100
	v_mul_f32_e32 v167, v5, v2
	v_dual_mul_f32 v2, v6, v2 :: v_dual_mul_f32 v169, v7, v4
	s_delay_alu instid0(VALU_DEP_2) | instskip(NEXT) | instid1(VALU_DEP_2)
	v_fmac_f32_e32 v167, v6, v1
	v_fma_f32 v168, v5, v1, -v2
	v_mul_f32_e32 v1, v8, v4
	s_delay_alu instid0(VALU_DEP_4) | instskip(NEXT) | instid1(VALU_DEP_2)
	v_fmac_f32_e32 v169, v8, v3
	v_fma_f32 v170, v7, v3, -v1
	ds_load_b128 v[1:4], v139 offset:640
	ds_load_b128 v[5:8], v139 offset:656
	s_wait_loadcnt_dscnt 0x1
	v_mul_f32_e32 v171, v1, v10
	v_mul_f32_e32 v173, v3, v12
	s_delay_alu instid0(VALU_DEP_2) | instskip(NEXT) | instid1(VALU_DEP_2)
	v_fmac_f32_e32 v171, v2, v9
	v_dual_mul_f32 v2, v2, v10 :: v_dual_fmac_f32 v173, v4, v11
	s_delay_alu instid0(VALU_DEP_1) | instskip(SKIP_1) | instid1(VALU_DEP_1)
	v_fma_f32 v172, v1, v9, -v2
	v_mul_f32_e32 v1, v4, v12
	;; [unrolled: 25-line block ×7, first 2 shown]
	v_fma_f32 v214, v3, v11, -v1
	s_clause 0x1
	scratch_load_b128 v[1:4], off, off offset:352
	scratch_load_b128 v[9:12], off, off offset:368
	s_wait_loadcnt_dscnt 0x100
	v_mul_f32_e32 v215, v5, v2
	v_mul_f32_e32 v2, v6, v2
	s_delay_alu instid0(VALU_DEP_2) | instskip(NEXT) | instid1(VALU_DEP_2)
	v_fmac_f32_e32 v215, v6, v1
	v_fma_f32 v216, v5, v1, -v2
	v_add_f32_e32 v2, 0, v140
	v_mul_f32_e32 v1, v8, v4
	s_delay_alu instid0(VALU_DEP_2) | instskip(NEXT) | instid1(VALU_DEP_2)
	v_add_f32_e32 v2, v2, v152
	v_fma_f32 v218, v7, v3, -v1
	s_delay_alu instid0(VALU_DEP_2) | instskip(NEXT) | instid1(VALU_DEP_1)
	v_dual_add_f32 v1, 0, v21 :: v_dual_add_f32 v2, v2, v23
	v_dual_add_f32 v1, v1, v22 :: v_dual_add_f32 v2, v2, v24
	s_delay_alu instid0(VALU_DEP_1) | instskip(NEXT) | instid1(VALU_DEP_1)
	v_add_f32_e32 v2, v2, v153
	v_add_f32_e32 v2, v2, v154
	s_delay_alu instid0(VALU_DEP_1) | instskip(NEXT) | instid1(VALU_DEP_1)
	v_add_f32_e32 v2, v2, v146
	v_add_f32_e32 v2, v2, v147
	;; [unrolled: 3-line block ×6, first 2 shown]
	s_delay_alu instid0(VALU_DEP_1) | instskip(NEXT) | instid1(VALU_DEP_1)
	v_add_f32_e32 v2, v2, v163
	v_dual_add_f32 v2, v2, v165 :: v_dual_add_f32 v1, v1, v142
	s_delay_alu instid0(VALU_DEP_1) | instskip(NEXT) | instid1(VALU_DEP_2)
	v_add_f32_e32 v2, v2, v167
	v_add_f32_e32 v1, v1, v143
	scratch_load_b64 v[142:143], off, off offset:448
	v_dual_add_f32 v2, v2, v169 :: v_dual_add_f32 v1, v1, v144
	s_delay_alu instid0(VALU_DEP_1) | instskip(NEXT) | instid1(VALU_DEP_1)
	v_dual_add_f32 v2, v2, v171 :: v_dual_add_f32 v1, v1, v145
	v_add_f32_e32 v2, v2, v173
	s_delay_alu instid0(VALU_DEP_2) | instskip(NEXT) | instid1(VALU_DEP_1)
	v_add_f32_e32 v1, v1, v13
	v_add_f32_e32 v1, v1, v14
	s_delay_alu instid0(VALU_DEP_1) | instskip(NEXT) | instid1(VALU_DEP_1)
	v_add_f32_e32 v1, v1, v16
	v_add_f32_e32 v1, v1, v17
	s_delay_alu instid0(VALU_DEP_1) | instskip(NEXT) | instid1(VALU_DEP_1)
	;; [unrolled: 3-line block ×11, first 2 shown]
	v_add_f32_e32 v1, v1, v188
	v_add_f32_e32 v1, v1, v190
	s_delay_alu instid0(VALU_DEP_1) | instskip(SKIP_1) | instid1(VALU_DEP_2)
	v_add_f32_e32 v6, v1, v192
	v_add_f32_e32 v2, v2, v175
	;; [unrolled: 1-line block ×3, first 2 shown]
	s_delay_alu instid0(VALU_DEP_2) | instskip(NEXT) | instid1(VALU_DEP_2)
	v_add_f32_e32 v2, v2, v177
	v_add_f32_e32 v14, v14, v196
	s_delay_alu instid0(VALU_DEP_2) | instskip(NEXT) | instid1(VALU_DEP_2)
	v_add_f32_e32 v2, v2, v179
	v_add_f32_e32 v17, v14, v198
	s_delay_alu instid0(VALU_DEP_1) | instskip(NEXT) | instid1(VALU_DEP_1)
	v_dual_add_f32 v2, v2, v181 :: v_dual_add_f32 v17, v17, v200
	v_dual_add_f32 v2, v2, v183 :: v_dual_add_f32 v17, v17, v202
	s_delay_alu instid0(VALU_DEP_1) | instskip(NEXT) | instid1(VALU_DEP_1)
	v_dual_add_f32 v2, v2, v185 :: v_dual_add_f32 v17, v17, v204
	v_add_f32_e32 v2, v2, v187
	s_delay_alu instid0(VALU_DEP_1) | instskip(NEXT) | instid1(VALU_DEP_1)
	v_dual_add_f32 v22, v17, v206 :: v_dual_add_f32 v5, v2, v189
	v_dual_add_f32 v22, v22, v208 :: v_dual_add_f32 v13, v5, v191
	s_delay_alu instid0(VALU_DEP_1) | instskip(NEXT) | instid1(VALU_DEP_1)
	v_dual_add_f32 v22, v22, v210 :: v_dual_add_f32 v13, v13, v193
	v_dual_add_f32 v22, v22, v212 :: v_dual_add_f32 v13, v13, v195
	s_delay_alu instid0(VALU_DEP_1) | instskip(NEXT) | instid1(VALU_DEP_1)
	v_dual_mul_f32 v217, v7, v4 :: v_dual_add_f32 v18, v13, v197
	v_fmac_f32_e32 v217, v8, v3
	scratch_load_b128 v[1:4], off, off offset:384
	ds_load_b128 v[5:8], v139 offset:832
	ds_load_b128 v[13:16], v139 offset:848
	s_wait_loadcnt_dscnt 0x201
	v_mul_f32_e32 v140, v5, v10
	v_mul_f32_e32 v10, v6, v10
	;; [unrolled: 1-line block ×4, first 2 shown]
	s_delay_alu instid0(VALU_DEP_4) | instskip(NEXT) | instid1(VALU_DEP_4)
	v_fmac_f32_e32 v140, v6, v9
	v_fma_f32 v147, v5, v9, -v10
	s_delay_alu instid0(VALU_DEP_4) | instskip(NEXT) | instid1(VALU_DEP_4)
	v_fmac_f32_e32 v146, v8, v11
	v_fma_f32 v148, v7, v11, -v12
	s_clause 0x1
	scratch_load_b128 v[5:8], off, off offset:400
	scratch_load_b128 v[9:12], off, off offset:416
	s_wait_loadcnt_dscnt 0x200
	v_mul_f32_e32 v152, v15, v4
	v_add_f32_e32 v18, v18, v199
	v_dual_mul_f32 v4, v16, v4 :: v_dual_mul_f32 v149, v13, v2
	v_mul_f32_e32 v2, v14, v2
	s_delay_alu instid0(VALU_DEP_4) | instskip(NEXT) | instid1(VALU_DEP_4)
	v_fmac_f32_e32 v152, v16, v3
	v_add_f32_e32 v18, v18, v201
	s_delay_alu instid0(VALU_DEP_4)
	v_fma_f32 v154, v15, v3, -v4
	v_fmac_f32_e32 v149, v14, v1
	v_fma_f32 v153, v13, v1, -v2
	v_add_f32_e32 v14, v22, v214
	v_add_f32_e32 v21, v18, v203
	scratch_load_b128 v[17:20], off, off offset:432
	ds_load_b128 v[1:4], v139 offset:864
	v_dual_add_f32 v144, v14, v216 :: v_dual_add_f32 v21, v21, v205
	s_delay_alu instid0(VALU_DEP_1) | instskip(NEXT) | instid1(VALU_DEP_2)
	v_add_f32_e32 v155, v144, v218
	v_add_f32_e32 v21, v21, v207
	s_delay_alu instid0(VALU_DEP_2) | instskip(NEXT) | instid1(VALU_DEP_2)
	v_add_f32_e32 v147, v155, v147
	v_add_f32_e32 v21, v21, v209
	s_delay_alu instid0(VALU_DEP_2) | instskip(NEXT) | instid1(VALU_DEP_2)
	;; [unrolled: 3-line block ×3, first 2 shown]
	v_add_f32_e32 v147, v147, v153
	v_add_f32_e32 v21, v13, v213
	ds_load_b128 v[13:16], v139 offset:880
	s_wait_loadcnt_dscnt 0x201
	v_mul_f32_e32 v155, v1, v6
	v_mul_f32_e32 v6, v2, v6
	v_add_f32_e32 v147, v147, v154
	v_add_f32_e32 v145, v21, v215
	ds_load_b128 v[21:24], v139 offset:896
	v_fmac_f32_e32 v155, v2, v5
	v_fma_f32 v1, v1, v5, -v6
	v_add_f32_e32 v156, v145, v217
	ds_load_b64 v[144:145], v139 offset:912
	v_dual_add_f32 v1, v147, v1 :: v_dual_add_f32 v140, v156, v140
	s_delay_alu instid0(VALU_DEP_1)
	v_add_f32_e32 v140, v140, v146
	v_mul_f32_e32 v146, v3, v8
	v_mul_f32_e32 v8, v4, v8
	s_wait_loadcnt_dscnt 0x102
	v_dual_mul_f32 v148, v13, v10 :: v_dual_mul_f32 v5, v16, v12
	v_add_f32_e32 v140, v140, v149
	v_fmac_f32_e32 v146, v4, v7
	v_fma_f32 v2, v3, v7, -v8
	v_mul_f32_e32 v3, v14, v10
	v_mul_f32_e32 v149, v15, v12
	v_add_f32_e32 v140, v140, v152
	s_delay_alu instid0(VALU_DEP_4) | instskip(NEXT) | instid1(VALU_DEP_4)
	v_dual_fmac_f32 v148, v14, v9 :: v_dual_add_f32 v1, v1, v2
	v_fma_f32 v3, v13, v9, -v3
	s_delay_alu instid0(VALU_DEP_4) | instskip(NEXT) | instid1(VALU_DEP_4)
	v_fmac_f32_e32 v149, v16, v11
	v_add_f32_e32 v4, v140, v155
	v_fma_f32 v5, v15, v11, -v5
	s_wait_dscnt 0x0
	v_mul_f32_e32 v152, v144, v143
	s_delay_alu instid0(VALU_DEP_3) | instskip(NEXT) | instid1(VALU_DEP_2)
	v_dual_add_f32 v1, v1, v3 :: v_dual_add_f32 v2, v4, v146
	v_fmac_f32_e32 v152, v145, v142
	s_delay_alu instid0(VALU_DEP_2) | instskip(NEXT) | instid1(VALU_DEP_3)
	v_add_f32_e32 v1, v1, v5
	v_dual_mul_f32 v5, v145, v143 :: v_dual_add_f32 v2, v2, v148
	s_wait_loadcnt 0x0
	s_delay_alu instid0(VALU_DEP_1) | instskip(SKIP_3) | instid1(VALU_DEP_4)
	v_dual_add_f32 v2, v2, v149 :: v_dual_mul_f32 v153, v21, v18
	v_mul_f32_e32 v4, v22, v18
	v_mul_f32_e32 v154, v23, v20
	;; [unrolled: 1-line block ×3, first 2 shown]
	v_fmac_f32_e32 v153, v22, v17
	s_delay_alu instid0(VALU_DEP_4) | instskip(NEXT) | instid1(VALU_DEP_4)
	v_fma_f32 v4, v21, v17, -v4
	v_fmac_f32_e32 v154, v24, v19
	s_delay_alu instid0(VALU_DEP_4) | instskip(NEXT) | instid1(VALU_DEP_3)
	v_fma_f32 v3, v23, v19, -v3
	v_dual_add_f32 v2, v2, v153 :: v_dual_add_f32 v1, v1, v4
	v_fma_f32 v4, v144, v142, -v5
	s_delay_alu instid0(VALU_DEP_2) | instskip(NEXT) | instid1(VALU_DEP_1)
	v_dual_add_f32 v2, v2, v154 :: v_dual_add_f32 v1, v1, v3
	v_add_f32_e32 v2, v2, v152
	s_delay_alu instid0(VALU_DEP_1) | instskip(NEXT) | instid1(VALU_DEP_1)
	v_dual_add_f32 v1, v1, v4 :: v_dual_sub_f32 v2, v151, v2
	v_sub_f32_e32 v1, v150, v1
	scratch_store_b64 off, v[1:2], off offset:8
	v_cmpx_ne_u32_e32 0, v0
	s_cbranch_execz .LBB56_355
; %bb.354:
	scratch_load_b64 v[0:1], off, off
	v_mov_b32_e32 v140, v139
	scratch_store_b64 off, v[139:140], off
	s_wait_loadcnt 0x0
	ds_store_b64 v141, v[0:1]
.LBB56_355:
	s_wait_alu 0xfffe
	s_or_b32 exec_lo, exec_lo, s0
	s_wait_storecnt_dscnt 0x0
	s_barrier_signal -1
	s_barrier_wait -1
	global_inv scope:SCOPE_SE
	s_clause 0x6
	scratch_load_b128 v[0:3], off, off offset:8
	scratch_load_b128 v[4:7], off, off offset:24
	;; [unrolled: 1-line block ×7, first 2 shown]
	ds_load_2addr_b64 v[144:147], v139 offset0:59 offset1:60
	ds_load_2addr_b64 v[148:151], v139 offset0:61 offset1:62
	scratch_load_b64 v[152:153], off, off
	s_and_b32 vcc_lo, exec_lo, s18
	s_wait_loadcnt_dscnt 0x701
	v_mul_f32_e32 v24, v144, v1
	v_dual_mul_f32 v154, v146, v3 :: v_dual_mul_f32 v1, v145, v1
	s_delay_alu instid0(VALU_DEP_2) | instskip(NEXT) | instid1(VALU_DEP_2)
	v_dual_mul_f32 v3, v147, v3 :: v_dual_fmac_f32 v24, v145, v0
	v_fmac_f32_e32 v154, v147, v2
	s_delay_alu instid0(VALU_DEP_3) | instskip(NEXT) | instid1(VALU_DEP_3)
	v_fma_f32 v144, v144, v0, -v1
	v_fma_f32 v145, v146, v2, -v3
	ds_load_2addr_b64 v[0:3], v139 offset0:63 offset1:64
	s_wait_loadcnt_dscnt 0x601
	v_dual_mul_f32 v146, v148, v5 :: v_dual_mul_f32 v147, v150, v7
	v_mul_f32_e32 v5, v149, v5
	s_delay_alu instid0(VALU_DEP_2) | instskip(NEXT) | instid1(VALU_DEP_3)
	v_dual_mul_f32 v7, v151, v7 :: v_dual_fmac_f32 v146, v149, v4
	v_fmac_f32_e32 v147, v151, v6
	s_delay_alu instid0(VALU_DEP_3) | instskip(NEXT) | instid1(VALU_DEP_3)
	v_fma_f32 v148, v148, v4, -v5
	v_fma_f32 v149, v150, v6, -v7
	ds_load_2addr_b64 v[4:7], v139 offset0:65 offset1:66
	s_wait_loadcnt_dscnt 0x501
	v_dual_mul_f32 v150, v0, v9 :: v_dual_mul_f32 v151, v2, v11
	v_mul_f32_e32 v9, v1, v9
	s_delay_alu instid0(VALU_DEP_2) | instskip(NEXT) | instid1(VALU_DEP_3)
	v_dual_mul_f32 v11, v3, v11 :: v_dual_fmac_f32 v150, v1, v8
	v_fmac_f32_e32 v151, v3, v10
	s_delay_alu instid0(VALU_DEP_2)
	v_fma_f32 v156, v2, v10, -v11
	s_wait_loadcnt_dscnt 0x400
	v_mul_f32_e32 v158, v6, v15
	v_fma_f32 v155, v0, v8, -v9
	ds_load_2addr_b64 v[0:3], v139 offset0:67 offset1:68
	v_mul_f32_e32 v157, v4, v13
	v_dual_mul_f32 v8, v5, v13 :: v_dual_mul_f32 v9, v7, v15
	s_delay_alu instid0(VALU_DEP_2) | instskip(NEXT) | instid1(VALU_DEP_2)
	v_dual_fmac_f32 v158, v7, v14 :: v_dual_fmac_f32 v157, v5, v12
	v_fma_f32 v12, v4, v12, -v8
	s_delay_alu instid0(VALU_DEP_3) | instskip(SKIP_4) | instid1(VALU_DEP_2)
	v_fma_f32 v13, v6, v14, -v9
	ds_load_2addr_b64 v[4:7], v139 offset0:69 offset1:70
	s_wait_loadcnt_dscnt 0x301
	v_mul_f32_e32 v14, v0, v17
	v_dual_mul_f32 v8, v1, v17 :: v_dual_mul_f32 v15, v2, v19
	v_dual_mul_f32 v9, v3, v19 :: v_dual_fmac_f32 v14, v1, v16
	s_delay_alu instid0(VALU_DEP_2) | instskip(NEXT) | instid1(VALU_DEP_3)
	v_fma_f32 v16, v0, v16, -v8
	v_fmac_f32_e32 v15, v3, v18
	s_delay_alu instid0(VALU_DEP_3) | instskip(SKIP_4) | instid1(VALU_DEP_2)
	v_fma_f32 v17, v2, v18, -v9
	ds_load_2addr_b64 v[0:3], v139 offset0:71 offset1:72
	s_wait_loadcnt_dscnt 0x201
	v_mul_f32_e32 v18, v4, v21
	v_dual_mul_f32 v8, v5, v21 :: v_dual_mul_f32 v19, v6, v23
	v_dual_mul_f32 v9, v7, v23 :: v_dual_fmac_f32 v18, v5, v20
	s_delay_alu instid0(VALU_DEP_2) | instskip(NEXT) | instid1(VALU_DEP_3)
	v_fma_f32 v20, v4, v20, -v8
	v_fmac_f32_e32 v19, v7, v22
	;; [unrolled: 10-line block ×3, first 2 shown]
	s_delay_alu instid0(VALU_DEP_3)
	v_fma_f32 v141, v2, v142, -v9
	s_clause 0x1
	scratch_load_b128 v[0:3], off, off offset:120
	scratch_load_b128 v[8:11], off, off offset:136
	s_wait_loadcnt_dscnt 0x100
	v_mul_f32_e32 v142, v4, v1
	v_mul_f32_e32 v1, v5, v1
	s_delay_alu instid0(VALU_DEP_2) | instskip(NEXT) | instid1(VALU_DEP_2)
	v_dual_mul_f32 v159, v6, v3 :: v_dual_fmac_f32 v142, v5, v0
	v_fma_f32 v143, v4, v0, -v1
	v_mul_f32_e32 v0, v7, v3
	s_delay_alu instid0(VALU_DEP_3) | instskip(NEXT) | instid1(VALU_DEP_2)
	v_fmac_f32_e32 v159, v7, v2
	v_fma_f32 v160, v6, v2, -v0
	ds_load_2addr_b64 v[0:3], v139 offset0:75 offset1:76
	ds_load_2addr_b64 v[4:7], v139 offset0:77 offset1:78
	s_wait_loadcnt_dscnt 0x1
	v_mul_f32_e32 v161, v0, v9
	v_mul_f32_e32 v163, v2, v11
	s_delay_alu instid0(VALU_DEP_2) | instskip(SKIP_1) | instid1(VALU_DEP_3)
	v_fmac_f32_e32 v161, v1, v8
	v_mul_f32_e32 v1, v1, v9
	v_fmac_f32_e32 v163, v3, v10
	s_delay_alu instid0(VALU_DEP_2) | instskip(SKIP_1) | instid1(VALU_DEP_1)
	v_fma_f32 v162, v0, v8, -v1
	v_mul_f32_e32 v0, v3, v11
	v_fma_f32 v164, v2, v10, -v0
	s_clause 0x1
	scratch_load_b128 v[0:3], off, off offset:152
	scratch_load_b128 v[8:11], off, off offset:168
	s_wait_loadcnt_dscnt 0x100
	v_mul_f32_e32 v165, v4, v1
	v_mul_f32_e32 v1, v5, v1
	v_mul_f32_e32 v167, v6, v3
	s_delay_alu instid0(VALU_DEP_3) | instskip(NEXT) | instid1(VALU_DEP_3)
	v_fmac_f32_e32 v165, v5, v0
	v_fma_f32 v166, v4, v0, -v1
	v_mul_f32_e32 v0, v7, v3
	s_delay_alu instid0(VALU_DEP_4) | instskip(NEXT) | instid1(VALU_DEP_2)
	v_fmac_f32_e32 v167, v7, v2
	v_fma_f32 v168, v6, v2, -v0
	ds_load_2addr_b64 v[0:3], v139 offset0:79 offset1:80
	ds_load_2addr_b64 v[4:7], v139 offset0:81 offset1:82
	s_wait_loadcnt_dscnt 0x1
	v_mul_f32_e32 v169, v0, v9
	v_mul_f32_e32 v171, v2, v11
	s_delay_alu instid0(VALU_DEP_2) | instskip(SKIP_1) | instid1(VALU_DEP_3)
	v_fmac_f32_e32 v169, v1, v8
	v_mul_f32_e32 v1, v1, v9
	v_fmac_f32_e32 v171, v3, v10
	s_delay_alu instid0(VALU_DEP_2) | instskip(SKIP_1) | instid1(VALU_DEP_1)
	v_fma_f32 v170, v0, v8, -v1
	v_mul_f32_e32 v0, v3, v11
	v_fma_f32 v172, v2, v10, -v0
	s_clause 0x1
	scratch_load_b128 v[0:3], off, off offset:184
	scratch_load_b128 v[8:11], off, off offset:200
	s_wait_loadcnt_dscnt 0x100
	v_mul_f32_e32 v173, v4, v1
	v_mul_f32_e32 v1, v5, v1
	v_mul_f32_e32 v175, v6, v3
	s_delay_alu instid0(VALU_DEP_3) | instskip(NEXT) | instid1(VALU_DEP_3)
	v_fmac_f32_e32 v173, v5, v0
	v_fma_f32 v174, v4, v0, -v1
	v_mul_f32_e32 v0, v7, v3
	s_delay_alu instid0(VALU_DEP_4) | instskip(NEXT) | instid1(VALU_DEP_2)
	;; [unrolled: 27-line block ×5, first 2 shown]
	v_fmac_f32_e32 v199, v7, v2
	v_fma_f32 v200, v6, v2, -v0
	ds_load_2addr_b64 v[0:3], v139 offset0:95 offset1:96
	ds_load_2addr_b64 v[4:7], v139 offset0:97 offset1:98
	s_wait_loadcnt_dscnt 0x1
	v_mul_f32_e32 v201, v0, v9
	v_mul_f32_e32 v203, v2, v11
	s_delay_alu instid0(VALU_DEP_2) | instskip(SKIP_1) | instid1(VALU_DEP_3)
	v_fmac_f32_e32 v201, v1, v8
	v_mul_f32_e32 v1, v1, v9
	v_fmac_f32_e32 v203, v3, v10
	s_delay_alu instid0(VALU_DEP_2) | instskip(SKIP_1) | instid1(VALU_DEP_1)
	v_fma_f32 v202, v0, v8, -v1
	v_mul_f32_e32 v0, v3, v11
	v_fma_f32 v204, v2, v10, -v0
	s_clause 0x1
	scratch_load_b128 v[0:3], off, off offset:312
	scratch_load_b128 v[8:11], off, off offset:328
	s_wait_loadcnt_dscnt 0x100
	v_mul_f32_e32 v205, v4, v1
	v_mul_f32_e32 v1, v5, v1
	;; [unrolled: 1-line block ×3, first 2 shown]
	s_delay_alu instid0(VALU_DEP_3) | instskip(NEXT) | instid1(VALU_DEP_3)
	v_fmac_f32_e32 v205, v5, v0
	v_fma_f32 v206, v4, v0, -v1
	v_mul_f32_e32 v0, v7, v3
	s_delay_alu instid0(VALU_DEP_1)
	v_fma_f32 v208, v6, v2, -v0
	v_fmac_f32_e32 v207, v7, v2
	ds_load_2addr_b64 v[0:3], v139 offset0:99 offset1:100
	ds_load_2addr_b64 v[4:7], v139 offset0:101 offset1:102
	s_wait_loadcnt_dscnt 0x1
	v_mul_f32_e32 v209, v0, v9
	s_delay_alu instid0(VALU_DEP_1) | instskip(SKIP_1) | instid1(VALU_DEP_1)
	v_fmac_f32_e32 v209, v1, v8
	v_mul_f32_e32 v1, v1, v9
	v_fma_f32 v210, v0, v8, -v1
	v_mul_f32_e32 v0, v3, v11
	s_delay_alu instid0(VALU_DEP_1) | instskip(SKIP_1) | instid1(VALU_DEP_1)
	v_fma_f32 v212, v2, v10, -v0
	v_mul_f32_e32 v211, v2, v11
	v_fmac_f32_e32 v211, v3, v10
	s_clause 0x1
	scratch_load_b128 v[0:3], off, off offset:344
	scratch_load_b128 v[8:11], off, off offset:360
	s_wait_loadcnt_dscnt 0x100
	v_mul_f32_e32 v213, v4, v1
	v_mul_f32_e32 v1, v5, v1
	;; [unrolled: 1-line block ×3, first 2 shown]
	s_delay_alu instid0(VALU_DEP_2) | instskip(NEXT) | instid1(VALU_DEP_2)
	v_fma_f32 v214, v4, v0, -v1
	v_fmac_f32_e32 v215, v7, v2
	v_dual_fmac_f32 v213, v5, v0 :: v_dual_mul_f32 v0, v7, v3
	v_add_f32_e32 v1, 0, v24
	s_delay_alu instid0(VALU_DEP_2) | instskip(NEXT) | instid1(VALU_DEP_2)
	v_fma_f32 v216, v6, v2, -v0
	v_dual_add_f32 v0, 0, v144 :: v_dual_add_f32 v1, v1, v154
	s_delay_alu instid0(VALU_DEP_1) | instskip(NEXT) | instid1(VALU_DEP_1)
	v_dual_add_f32 v0, v0, v145 :: v_dual_add_f32 v1, v1, v146
	v_dual_add_f32 v0, v0, v148 :: v_dual_add_f32 v1, v1, v147
	s_delay_alu instid0(VALU_DEP_1) | instskip(NEXT) | instid1(VALU_DEP_1)
	v_dual_add_f32 v0, v0, v149 :: v_dual_add_f32 v1, v1, v150
	v_add_f32_e32 v0, v0, v155
	s_delay_alu instid0(VALU_DEP_1) | instskip(NEXT) | instid1(VALU_DEP_1)
	v_dual_add_f32 v1, v1, v151 :: v_dual_add_f32 v0, v0, v156
	v_dual_add_f32 v1, v1, v157 :: v_dual_add_f32 v0, v0, v12
	s_delay_alu instid0(VALU_DEP_1) | instskip(NEXT) | instid1(VALU_DEP_1)
	v_dual_add_f32 v1, v1, v158 :: v_dual_add_f32 v0, v0, v13
	v_dual_add_f32 v1, v1, v14 :: v_dual_add_f32 v0, v0, v16
	s_delay_alu instid0(VALU_DEP_1) | instskip(NEXT) | instid1(VALU_DEP_1)
	v_dual_add_f32 v1, v1, v15 :: v_dual_add_f32 v0, v0, v17
	v_dual_add_f32 v1, v1, v18 :: v_dual_add_f32 v0, v0, v20
	s_delay_alu instid0(VALU_DEP_1) | instskip(NEXT) | instid1(VALU_DEP_1)
	v_dual_add_f32 v1, v1, v19 :: v_dual_add_f32 v0, v0, v21
	v_dual_add_f32 v1, v1, v22 :: v_dual_add_f32 v0, v0, v140
	s_delay_alu instid0(VALU_DEP_1) | instskip(NEXT) | instid1(VALU_DEP_1)
	v_dual_add_f32 v1, v1, v23 :: v_dual_add_f32 v0, v0, v141
	v_dual_add_f32 v1, v1, v142 :: v_dual_add_f32 v0, v0, v143
	s_delay_alu instid0(VALU_DEP_1) | instskip(NEXT) | instid1(VALU_DEP_1)
	v_dual_add_f32 v1, v1, v159 :: v_dual_add_f32 v0, v0, v160
	v_dual_add_f32 v1, v1, v161 :: v_dual_add_f32 v0, v0, v162
	s_delay_alu instid0(VALU_DEP_1) | instskip(NEXT) | instid1(VALU_DEP_1)
	v_dual_add_f32 v1, v1, v163 :: v_dual_add_f32 v0, v0, v164
	v_dual_add_f32 v1, v1, v165 :: v_dual_add_f32 v0, v0, v166
	s_delay_alu instid0(VALU_DEP_1) | instskip(NEXT) | instid1(VALU_DEP_1)
	v_dual_add_f32 v1, v1, v167 :: v_dual_add_f32 v0, v0, v168
	v_dual_add_f32 v1, v1, v169 :: v_dual_add_f32 v0, v0, v170
	s_delay_alu instid0(VALU_DEP_1) | instskip(NEXT) | instid1(VALU_DEP_1)
	v_dual_add_f32 v1, v1, v171 :: v_dual_add_f32 v0, v0, v172
	v_dual_add_f32 v1, v1, v173 :: v_dual_add_f32 v0, v0, v174
	s_delay_alu instid0(VALU_DEP_1) | instskip(NEXT) | instid1(VALU_DEP_1)
	v_dual_add_f32 v1, v1, v175 :: v_dual_add_f32 v0, v0, v176
	v_dual_add_f32 v1, v1, v177 :: v_dual_add_f32 v0, v0, v178
	s_delay_alu instid0(VALU_DEP_1) | instskip(NEXT) | instid1(VALU_DEP_1)
	v_dual_add_f32 v1, v1, v179 :: v_dual_add_f32 v0, v0, v180
	v_dual_add_f32 v1, v1, v181 :: v_dual_add_f32 v0, v0, v182
	s_delay_alu instid0(VALU_DEP_1) | instskip(NEXT) | instid1(VALU_DEP_1)
	v_dual_add_f32 v1, v1, v183 :: v_dual_add_f32 v0, v0, v184
	v_dual_add_f32 v1, v1, v185 :: v_dual_add_f32 v0, v0, v186
	s_delay_alu instid0(VALU_DEP_1) | instskip(NEXT) | instid1(VALU_DEP_1)
	v_dual_add_f32 v5, v1, v187 :: v_dual_add_f32 v4, v0, v188
	v_add_f32_e32 v13, v5, v189
	ds_load_2addr_b64 v[0:3], v139 offset0:103 offset1:104
	v_add_f32_e32 v12, v4, v190
	scratch_load_b128 v[4:7], off, off offset:376
	v_dual_add_f32 v13, v13, v191 :: v_dual_add_f32 v12, v12, v192
	s_delay_alu instid0(VALU_DEP_1) | instskip(NEXT) | instid1(VALU_DEP_2)
	v_add_f32_e32 v16, v13, v193
	v_add_f32_e32 v12, v12, v194
	s_delay_alu instid0(VALU_DEP_2) | instskip(NEXT) | instid1(VALU_DEP_2)
	v_add_f32_e32 v16, v16, v195
	v_add_f32_e32 v17, v12, v196
	ds_load_2addr_b64 v[12:15], v139 offset0:105 offset1:106
	s_wait_loadcnt_dscnt 0x101
	v_mul_f32_e32 v24, v0, v9
	v_dual_mul_f32 v9, v1, v9 :: v_dual_mul_f32 v148, v2, v11
	v_mul_f32_e32 v11, v3, v11
	v_add_f32_e32 v17, v17, v198
	s_delay_alu instid0(VALU_DEP_4) | instskip(NEXT) | instid1(VALU_DEP_4)
	v_fmac_f32_e32 v24, v1, v8
	v_fma_f32 v144, v0, v8, -v9
	v_fmac_f32_e32 v148, v3, v10
	v_fma_f32 v149, v2, v10, -v11
	scratch_load_b128 v[0:3], off, off offset:392
	v_dual_add_f32 v16, v16, v197 :: v_dual_add_f32 v17, v17, v200
	scratch_load_b128 v[8:11], off, off offset:408
	v_dual_add_f32 v16, v16, v199 :: v_dual_add_f32 v17, v17, v202
	s_delay_alu instid0(VALU_DEP_1) | instskip(NEXT) | instid1(VALU_DEP_1)
	v_add_f32_e32 v16, v16, v201
	v_dual_add_f32 v20, v17, v204 :: v_dual_add_f32 v21, v16, v203
	scratch_load_b128 v[16:19], off, off offset:424
	v_dual_add_f32 v140, v20, v206 :: v_dual_add_f32 v141, v21, v205
	scratch_load_b128 v[20:23], off, off offset:440
	v_dual_add_f32 v140, v140, v208 :: v_dual_add_f32 v141, v141, v207
	s_delay_alu instid0(VALU_DEP_1) | instskip(SKIP_4) | instid1(VALU_DEP_3)
	v_add_f32_e32 v140, v140, v210
	s_wait_loadcnt_dscnt 0x400
	v_mul_f32_e32 v150, v12, v5
	v_mul_f32_e32 v5, v13, v5
	v_add_f32_e32 v141, v141, v209
	v_fmac_f32_e32 v150, v13, v4
	s_delay_alu instid0(VALU_DEP_3) | instskip(SKIP_1) | instid1(VALU_DEP_1)
	v_fma_f32 v154, v12, v4, -v5
	v_add_f32_e32 v12, v140, v212
	v_dual_add_f32 v140, v141, v211 :: v_dual_add_f32 v141, v12, v214
	s_delay_alu instid0(VALU_DEP_1) | instskip(NEXT) | instid1(VALU_DEP_1)
	v_dual_add_f32 v140, v140, v213 :: v_dual_add_f32 v145, v141, v216
	v_add_f32_e32 v156, v140, v215
	ds_load_2addr_b64 v[140:143], v139 offset0:111 offset1:112
	v_add_f32_e32 v157, v145, v144
	ds_load_2addr_b64 v[144:147], v139 offset0:113 offset1:114
	v_mul_f32_e32 v151, v14, v7
	v_dual_mul_f32 v7, v15, v7 :: v_dual_add_f32 v24, v156, v24
	v_add_f32_e32 v149, v157, v149
	s_delay_alu instid0(VALU_DEP_3) | instskip(NEXT) | instid1(VALU_DEP_3)
	v_fmac_f32_e32 v151, v15, v6
	v_fma_f32 v155, v14, v6, -v7
	ds_load_2addr_b64 v[4:7], v139 offset0:107 offset1:108
	ds_load_2addr_b64 v[12:15], v139 offset0:109 offset1:110
	v_add_f32_e32 v24, v24, v148
	v_add_f32_e32 v148, v149, v154
	s_delay_alu instid0(VALU_DEP_2)
	v_add_f32_e32 v24, v24, v150
	s_wait_loadcnt_dscnt 0x301
	v_mul_f32_e32 v139, v4, v1
	v_dual_mul_f32 v1, v5, v1 :: v_dual_mul_f32 v156, v6, v3
	v_mul_f32_e32 v3, v7, v3
	s_wait_loadcnt_dscnt 0x200
	v_mul_f32_e32 v149, v12, v9
	v_fmac_f32_e32 v139, v5, v0
	v_fma_f32 v0, v4, v0, -v1
	v_add_f32_e32 v4, v148, v155
	v_dual_add_f32 v5, v24, v151 :: v_dual_fmac_f32 v156, v7, v2
	v_fma_f32 v1, v6, v2, -v3
	s_delay_alu instid0(VALU_DEP_3) | instskip(NEXT) | instid1(VALU_DEP_3)
	v_dual_mul_f32 v7, v13, v9 :: v_dual_add_f32 v0, v4, v0
	v_add_f32_e32 v4, v5, v139
	v_mul_f32_e32 v150, v14, v11
	v_mul_f32_e32 v5, v15, v11
	v_fmac_f32_e32 v149, v13, v8
	v_fma_f32 v7, v12, v8, -v7
	v_add_f32_e32 v0, v0, v1
	v_add_f32_e32 v1, v4, v156
	s_wait_loadcnt 0x1
	v_mul_f32_e32 v2, v140, v17
	v_mul_f32_e32 v4, v141, v17
	v_fmac_f32_e32 v150, v15, v10
	v_fma_f32 v5, v14, v10, -v5
	v_dual_add_f32 v0, v0, v7 :: v_dual_add_f32 v1, v1, v149
	v_mul_f32_e32 v3, v142, v19
	v_dual_mul_f32 v7, v143, v19 :: v_dual_fmac_f32 v2, v141, v16
	v_fma_f32 v4, v140, v16, -v4
	s_delay_alu instid0(VALU_DEP_4)
	v_dual_add_f32 v0, v0, v5 :: v_dual_add_f32 v1, v1, v150
	s_wait_loadcnt 0x0
	v_mul_f32_e32 v6, v144, v21
	v_mul_f32_e32 v5, v145, v21
	v_fmac_f32_e32 v3, v143, v18
	v_fma_f32 v7, v142, v18, -v7
	v_dual_add_f32 v0, v0, v4 :: v_dual_add_f32 v1, v1, v2
	v_mul_f32_e32 v9, v146, v23
	v_mul_f32_e32 v2, v147, v23
	v_fmac_f32_e32 v6, v145, v20
	v_fma_f32 v4, v144, v20, -v5
	v_add_f32_e32 v0, v0, v7
	v_add_f32_e32 v1, v1, v3
	v_fmac_f32_e32 v9, v147, v22
	v_fma_f32 v2, v146, v22, -v2
	s_delay_alu instid0(VALU_DEP_3) | instskip(NEXT) | instid1(VALU_DEP_1)
	v_dual_add_f32 v0, v0, v4 :: v_dual_add_f32 v1, v1, v6
	v_dual_add_f32 v0, v0, v2 :: v_dual_add_f32 v1, v1, v9
	s_delay_alu instid0(VALU_DEP_1)
	v_dual_sub_f32 v0, v152, v0 :: v_dual_sub_f32 v1, v153, v1
	scratch_store_b64 off, v[0:1], off
	s_wait_alu 0xfffe
	s_cbranch_vccz .LBB56_468
; %bb.356:
	v_mov_b32_e32 v0, 0
	global_load_b32 v1, v0, s[2:3] offset:220
	s_wait_loadcnt 0x0
	v_cmp_ne_u32_e32 vcc_lo, 56, v1
	s_cbranch_vccz .LBB56_358
; %bb.357:
	v_lshlrev_b32_e32 v1, 3, v1
	s_delay_alu instid0(VALU_DEP_1)
	v_mov_b32_e32 v5, v1
	scratch_load_b64 v[1:2], v5, off offset:-8
	scratch_load_b64 v[3:4], off, off offset:440
	s_wait_loadcnt 0x1
	scratch_store_b64 off, v[1:2], off offset:440
	s_wait_loadcnt 0x0
	scratch_store_b64 v5, v[3:4], off offset:-8
.LBB56_358:
	global_load_b32 v0, v0, s[2:3] offset:216
	s_wait_loadcnt 0x0
	v_cmp_eq_u32_e32 vcc_lo, 55, v0
	s_cbranch_vccnz .LBB56_360
; %bb.359:
	v_lshlrev_b32_e32 v0, 3, v0
	s_delay_alu instid0(VALU_DEP_1)
	v_mov_b32_e32 v4, v0
	scratch_load_b64 v[0:1], v4, off offset:-8
	scratch_load_b64 v[2:3], off, off offset:432
	s_wait_loadcnt 0x1
	scratch_store_b64 off, v[0:1], off offset:432
	s_wait_loadcnt 0x0
	scratch_store_b64 v4, v[2:3], off offset:-8
.LBB56_360:
	v_mov_b32_e32 v0, 0
	global_load_b32 v1, v0, s[2:3] offset:212
	s_wait_loadcnt 0x0
	v_cmp_eq_u32_e32 vcc_lo, 54, v1
	s_cbranch_vccnz .LBB56_362
; %bb.361:
	v_lshlrev_b32_e32 v1, 3, v1
	s_delay_alu instid0(VALU_DEP_1)
	v_mov_b32_e32 v5, v1
	scratch_load_b64 v[1:2], v5, off offset:-8
	scratch_load_b64 v[3:4], off, off offset:424
	s_wait_loadcnt 0x1
	scratch_store_b64 off, v[1:2], off offset:424
	s_wait_loadcnt 0x0
	scratch_store_b64 v5, v[3:4], off offset:-8
.LBB56_362:
	global_load_b32 v0, v0, s[2:3] offset:208
	s_wait_loadcnt 0x0
	v_cmp_eq_u32_e32 vcc_lo, 53, v0
	s_cbranch_vccnz .LBB56_364
; %bb.363:
	v_lshlrev_b32_e32 v0, 3, v0
	s_delay_alu instid0(VALU_DEP_1)
	v_mov_b32_e32 v4, v0
	scratch_load_b64 v[0:1], v4, off offset:-8
	scratch_load_b64 v[2:3], off, off offset:416
	s_wait_loadcnt 0x1
	scratch_store_b64 off, v[0:1], off offset:416
	s_wait_loadcnt 0x0
	scratch_store_b64 v4, v[2:3], off offset:-8
.LBB56_364:
	v_mov_b32_e32 v0, 0
	global_load_b32 v1, v0, s[2:3] offset:204
	s_wait_loadcnt 0x0
	v_cmp_eq_u32_e32 vcc_lo, 52, v1
	s_cbranch_vccnz .LBB56_366
; %bb.365:
	v_lshlrev_b32_e32 v1, 3, v1
	s_delay_alu instid0(VALU_DEP_1)
	v_mov_b32_e32 v5, v1
	scratch_load_b64 v[1:2], v5, off offset:-8
	scratch_load_b64 v[3:4], off, off offset:408
	s_wait_loadcnt 0x1
	scratch_store_b64 off, v[1:2], off offset:408
	s_wait_loadcnt 0x0
	scratch_store_b64 v5, v[3:4], off offset:-8
.LBB56_366:
	;; [unrolled: 31-line block ×27, first 2 shown]
	global_load_b32 v0, v0, s[2:3]
	s_wait_loadcnt 0x0
	v_cmp_eq_u32_e32 vcc_lo, 1, v0
	s_cbranch_vccnz .LBB56_468
; %bb.467:
	v_lshlrev_b32_e32 v0, 3, v0
	s_delay_alu instid0(VALU_DEP_1)
	v_mov_b32_e32 v4, v0
	scratch_load_b64 v[0:1], v4, off offset:-8
	scratch_load_b64 v[2:3], off, off
	s_wait_loadcnt 0x1
	scratch_store_b64 off, v[0:1], off
	s_wait_loadcnt 0x0
	scratch_store_b64 v4, v[2:3], off offset:-8
.LBB56_468:
	s_clause 0x1c
	scratch_load_b128 v[0:3], off, off
	scratch_load_b128 v[4:7], off, off offset:16
	scratch_load_b128 v[8:11], off, off offset:32
	;; [unrolled: 1-line block ×27, first 2 shown]
	scratch_load_b64 v[227:228], off, off offset:448
	s_wait_loadcnt 0x1c
	s_clause 0x1
	global_store_b64 v[25:26], v[0:1], off
	global_store_b64 v[27:28], v[2:3], off
	s_wait_loadcnt 0x1b
	s_clause 0x1
	global_store_b64 v[29:30], v[4:5], off
	global_store_b64 v[31:32], v[6:7], off
	;; [unrolled: 4-line block ×28, first 2 shown]
	s_wait_loadcnt 0x0
	global_store_b64 v[137:138], v[227:228], off
	s_nop 0
	s_sendmsg sendmsg(MSG_DEALLOC_VGPRS)
	s_endpgm
	.section	.rodata,"a",@progbits
	.p2align	6, 0x0
	.amdhsa_kernel _ZN9rocsolver6v33100L18getri_kernel_smallILi57E19rocblas_complex_numIfEPS3_EEvT1_iilPiilS6_bb
		.amdhsa_group_segment_fixed_size 920
		.amdhsa_private_segment_fixed_size 464
		.amdhsa_kernarg_size 60
		.amdhsa_user_sgpr_count 2
		.amdhsa_user_sgpr_dispatch_ptr 0
		.amdhsa_user_sgpr_queue_ptr 0
		.amdhsa_user_sgpr_kernarg_segment_ptr 1
		.amdhsa_user_sgpr_dispatch_id 0
		.amdhsa_user_sgpr_private_segment_size 0
		.amdhsa_wavefront_size32 1
		.amdhsa_uses_dynamic_stack 0
		.amdhsa_enable_private_segment 1
		.amdhsa_system_sgpr_workgroup_id_x 1
		.amdhsa_system_sgpr_workgroup_id_y 0
		.amdhsa_system_sgpr_workgroup_id_z 0
		.amdhsa_system_sgpr_workgroup_info 0
		.amdhsa_system_vgpr_workitem_id 0
		.amdhsa_next_free_vgpr 254
		.amdhsa_next_free_sgpr 19
		.amdhsa_reserve_vcc 1
		.amdhsa_float_round_mode_32 0
		.amdhsa_float_round_mode_16_64 0
		.amdhsa_float_denorm_mode_32 3
		.amdhsa_float_denorm_mode_16_64 3
		.amdhsa_fp16_overflow 0
		.amdhsa_workgroup_processor_mode 1
		.amdhsa_memory_ordered 1
		.amdhsa_forward_progress 1
		.amdhsa_inst_pref_size 255
		.amdhsa_round_robin_scheduling 0
		.amdhsa_exception_fp_ieee_invalid_op 0
		.amdhsa_exception_fp_denorm_src 0
		.amdhsa_exception_fp_ieee_div_zero 0
		.amdhsa_exception_fp_ieee_overflow 0
		.amdhsa_exception_fp_ieee_underflow 0
		.amdhsa_exception_fp_ieee_inexact 0
		.amdhsa_exception_int_div_zero 0
	.end_amdhsa_kernel
	.section	.text._ZN9rocsolver6v33100L18getri_kernel_smallILi57E19rocblas_complex_numIfEPS3_EEvT1_iilPiilS6_bb,"axG",@progbits,_ZN9rocsolver6v33100L18getri_kernel_smallILi57E19rocblas_complex_numIfEPS3_EEvT1_iilPiilS6_bb,comdat
.Lfunc_end56:
	.size	_ZN9rocsolver6v33100L18getri_kernel_smallILi57E19rocblas_complex_numIfEPS3_EEvT1_iilPiilS6_bb, .Lfunc_end56-_ZN9rocsolver6v33100L18getri_kernel_smallILi57E19rocblas_complex_numIfEPS3_EEvT1_iilPiilS6_bb
                                        ; -- End function
	.set _ZN9rocsolver6v33100L18getri_kernel_smallILi57E19rocblas_complex_numIfEPS3_EEvT1_iilPiilS6_bb.num_vgpr, 254
	.set _ZN9rocsolver6v33100L18getri_kernel_smallILi57E19rocblas_complex_numIfEPS3_EEvT1_iilPiilS6_bb.num_agpr, 0
	.set _ZN9rocsolver6v33100L18getri_kernel_smallILi57E19rocblas_complex_numIfEPS3_EEvT1_iilPiilS6_bb.numbered_sgpr, 19
	.set _ZN9rocsolver6v33100L18getri_kernel_smallILi57E19rocblas_complex_numIfEPS3_EEvT1_iilPiilS6_bb.num_named_barrier, 0
	.set _ZN9rocsolver6v33100L18getri_kernel_smallILi57E19rocblas_complex_numIfEPS3_EEvT1_iilPiilS6_bb.private_seg_size, 464
	.set _ZN9rocsolver6v33100L18getri_kernel_smallILi57E19rocblas_complex_numIfEPS3_EEvT1_iilPiilS6_bb.uses_vcc, 1
	.set _ZN9rocsolver6v33100L18getri_kernel_smallILi57E19rocblas_complex_numIfEPS3_EEvT1_iilPiilS6_bb.uses_flat_scratch, 1
	.set _ZN9rocsolver6v33100L18getri_kernel_smallILi57E19rocblas_complex_numIfEPS3_EEvT1_iilPiilS6_bb.has_dyn_sized_stack, 0
	.set _ZN9rocsolver6v33100L18getri_kernel_smallILi57E19rocblas_complex_numIfEPS3_EEvT1_iilPiilS6_bb.has_recursion, 0
	.set _ZN9rocsolver6v33100L18getri_kernel_smallILi57E19rocblas_complex_numIfEPS3_EEvT1_iilPiilS6_bb.has_indirect_call, 0
	.section	.AMDGPU.csdata,"",@progbits
; Kernel info:
; codeLenInByte = 106412
; TotalNumSgprs: 21
; NumVgprs: 254
; ScratchSize: 464
; MemoryBound: 0
; FloatMode: 240
; IeeeMode: 1
; LDSByteSize: 920 bytes/workgroup (compile time only)
; SGPRBlocks: 0
; VGPRBlocks: 31
; NumSGPRsForWavesPerEU: 21
; NumVGPRsForWavesPerEU: 254
; Occupancy: 5
; WaveLimiterHint : 1
; COMPUTE_PGM_RSRC2:SCRATCH_EN: 1
; COMPUTE_PGM_RSRC2:USER_SGPR: 2
; COMPUTE_PGM_RSRC2:TRAP_HANDLER: 0
; COMPUTE_PGM_RSRC2:TGID_X_EN: 1
; COMPUTE_PGM_RSRC2:TGID_Y_EN: 0
; COMPUTE_PGM_RSRC2:TGID_Z_EN: 0
; COMPUTE_PGM_RSRC2:TIDIG_COMP_CNT: 0
	.section	.text._ZN9rocsolver6v33100L18getri_kernel_smallILi58E19rocblas_complex_numIfEPS3_EEvT1_iilPiilS6_bb,"axG",@progbits,_ZN9rocsolver6v33100L18getri_kernel_smallILi58E19rocblas_complex_numIfEPS3_EEvT1_iilPiilS6_bb,comdat
	.globl	_ZN9rocsolver6v33100L18getri_kernel_smallILi58E19rocblas_complex_numIfEPS3_EEvT1_iilPiilS6_bb ; -- Begin function _ZN9rocsolver6v33100L18getri_kernel_smallILi58E19rocblas_complex_numIfEPS3_EEvT1_iilPiilS6_bb
	.p2align	8
	.type	_ZN9rocsolver6v33100L18getri_kernel_smallILi58E19rocblas_complex_numIfEPS3_EEvT1_iilPiilS6_bb,@function
_ZN9rocsolver6v33100L18getri_kernel_smallILi58E19rocblas_complex_numIfEPS3_EEvT1_iilPiilS6_bb: ; @_ZN9rocsolver6v33100L18getri_kernel_smallILi58E19rocblas_complex_numIfEPS3_EEvT1_iilPiilS6_bb
; %bb.0:
	s_mov_b32 s2, exec_lo
	v_cmpx_gt_u32_e32 58, v0
	s_cbranch_execz .LBB57_246
; %bb.1:
	s_clause 0x2
	s_load_b32 s2, s[0:1], 0x38
	s_load_b128 s[12:15], s[0:1], 0x10
	s_load_b128 s[4:7], s[0:1], 0x28
	s_mov_b32 s16, ttmp9
	s_wait_kmcnt 0x0
	s_bitcmp1_b32 s2, 8
	s_cselect_b32 s18, -1, 0
	s_bfe_u32 s2, s2, 0x10008
	s_ashr_i32 s17, ttmp9, 31
	s_cmp_eq_u32 s2, 0
                                        ; implicit-def: $sgpr2_sgpr3
	s_cbranch_scc1 .LBB57_3
; %bb.2:
	s_load_b32 s2, s[0:1], 0x20
	s_mul_u64 s[4:5], s[4:5], s[16:17]
	s_delay_alu instid0(SALU_CYCLE_1) | instskip(NEXT) | instid1(SALU_CYCLE_1)
	s_lshl_b64 s[4:5], s[4:5], 2
	s_add_nc_u64 s[4:5], s[14:15], s[4:5]
	s_wait_kmcnt 0x0
	s_ashr_i32 s3, s2, 31
	s_delay_alu instid0(SALU_CYCLE_1) | instskip(NEXT) | instid1(SALU_CYCLE_1)
	s_lshl_b64 s[2:3], s[2:3], 2
	s_add_nc_u64 s[2:3], s[4:5], s[2:3]
.LBB57_3:
	s_clause 0x1
	s_load_b128 s[8:11], s[0:1], 0x0
	s_load_b32 s4, s[0:1], 0x38
	s_mul_u64 s[0:1], s[12:13], s[16:17]
	v_lshlrev_b32_e32 v13, 3, v0
	s_lshl_b64 s[0:1], s[0:1], 3
	s_wait_kmcnt 0x0
	v_add3_u32 v3, s11, s11, v0
	s_ashr_i32 s13, s10, 31
	s_mov_b32 s12, s10
	s_add_nc_u64 s[0:1], s[8:9], s[0:1]
	s_lshl_b64 s[12:13], s[12:13], 3
	v_add_nc_u32_e32 v5, s11, v3
	v_ashrrev_i32_e32 v4, 31, v3
	s_add_nc_u64 s[0:1], s[0:1], s[12:13]
	s_ashr_i32 s9, s11, 31
	v_add_co_u32 v32, s5, s0, v13
	v_add_nc_u32_e32 v7, s11, v5
	s_mov_b32 s8, s11
	v_lshlrev_b64_e32 v[3:4], 3, v[3:4]
	v_add_co_ci_u32_e64 v33, null, s1, 0, s5
	s_delay_alu instid0(VALU_DEP_3) | instskip(SKIP_3) | instid1(VALU_DEP_1)
	v_add_nc_u32_e32 v9, s11, v7
	s_lshl_b64 s[8:9], s[8:9], 3
	v_ashrrev_i32_e32 v6, 31, v5
	v_add_co_u32 v34, vcc_lo, v32, s8
	v_add_co_ci_u32_e64 v35, null, s9, v33, vcc_lo
	v_add_co_u32 v36, vcc_lo, s0, v3
	v_add_nc_u32_e32 v3, s11, v9
	v_lshlrev_b64_e32 v[5:6], 3, v[5:6]
	v_ashrrev_i32_e32 v8, 31, v7
	v_ashrrev_i32_e32 v10, 31, v9
	s_wait_alu 0xfffd
	v_add_co_ci_u32_e64 v37, null, s1, v4, vcc_lo
	v_add_nc_u32_e32 v11, s11, v3
	v_ashrrev_i32_e32 v4, 31, v3
	v_lshlrev_b64_e32 v[7:8], 3, v[7:8]
	v_add_co_u32 v38, vcc_lo, s0, v5
	s_wait_alu 0xfffd
	v_add_co_ci_u32_e64 v39, null, s1, v6, vcc_lo
	v_lshlrev_b64_e32 v[5:6], 3, v[9:10]
	v_add_nc_u32_e32 v16, s11, v11
	v_lshlrev_b64_e32 v[14:15], 3, v[3:4]
	v_ashrrev_i32_e32 v12, 31, v11
	v_add_co_u32 v40, vcc_lo, s0, v7
	s_delay_alu instid0(VALU_DEP_4)
	v_ashrrev_i32_e32 v17, 31, v16
	v_add_nc_u32_e32 v18, s11, v16
	s_wait_alu 0xfffd
	v_add_co_ci_u32_e64 v41, null, s1, v8, vcc_lo
	v_add_co_u32 v42, vcc_lo, s0, v5
	v_lshlrev_b64_e32 v[11:12], 3, v[11:12]
	s_wait_alu 0xfffd
	v_add_co_ci_u32_e64 v43, null, s1, v6, vcc_lo
	v_add_co_u32 v44, vcc_lo, s0, v14
	s_wait_alu 0xfffd
	v_add_co_ci_u32_e64 v45, null, s1, v15, vcc_lo
	v_lshlrev_b64_e32 v[14:15], 3, v[16:17]
	v_ashrrev_i32_e32 v19, 31, v18
	v_add_nc_u32_e32 v16, s11, v18
	v_add_co_u32 v46, vcc_lo, s0, v11
	s_wait_alu 0xfffd
	v_add_co_ci_u32_e64 v47, null, s1, v12, vcc_lo
	v_lshlrev_b64_e32 v[11:12], 3, v[18:19]
	v_ashrrev_i32_e32 v17, 31, v16
	v_add_nc_u32_e32 v18, s11, v16
	;; [unrolled: 6-line block ×24, first 2 shown]
	v_add_co_u32 v92, vcc_lo, s0, v14
	s_wait_alu 0xfffd
	v_add_co_ci_u32_e64 v93, null, s1, v15, vcc_lo
	v_lshlrev_b64_e32 v[14:15], 3, v[16:17]
	v_add_nc_u32_e32 v16, s11, v18
	v_ashrrev_i32_e32 v19, 31, v18
	v_add_co_u32 v94, vcc_lo, s0, v11
	s_wait_alu 0xfffd
	v_add_co_ci_u32_e64 v95, null, s1, v12, vcc_lo
	v_add_nc_u32_e32 v30, s11, v16
	v_lshlrev_b64_e32 v[11:12], 3, v[18:19]
	v_add_co_u32 v96, vcc_lo, s0, v14
	s_wait_alu 0xfffd
	v_add_co_ci_u32_e64 v97, null, s1, v15, vcc_lo
	v_ashrrev_i32_e32 v31, 31, v30
	s_delay_alu instid0(VALU_DEP_4) | instskip(SKIP_2) | instid1(VALU_DEP_3)
	v_add_co_u32 v98, vcc_lo, s0, v11
	s_wait_alu 0xfffd
	v_add_co_ci_u32_e64 v99, null, s1, v12, vcc_lo
	v_lshlrev_b64_e32 v[11:12], 3, v[30:31]
	v_add_nc_u32_e32 v30, s11, v30
	v_ashrrev_i32_e32 v17, 31, v16
	s_clause 0x4
	global_load_b64 v[1:2], v13, s[0:1]
	global_load_b64 v[3:4], v[34:35], off
	global_load_b64 v[5:6], v[36:37], off
	;; [unrolled: 1-line block ×4, first 2 shown]
	s_bitcmp0_b32 s4, 0
	v_add_nc_u32_e32 v106, s11, v30
	v_ashrrev_i32_e32 v31, 31, v30
	v_lshlrev_b64_e32 v[14:15], 3, v[16:17]
	s_delay_alu instid0(VALU_DEP_3) | instskip(NEXT) | instid1(VALU_DEP_3)
	v_add_nc_u32_e32 v108, s11, v106
	v_lshlrev_b64_e32 v[30:31], 3, v[30:31]
	v_ashrrev_i32_e32 v107, 31, v106
	s_delay_alu instid0(VALU_DEP_4)
	v_add_co_u32 v100, vcc_lo, s0, v14
	s_wait_alu 0xfffd
	v_add_co_ci_u32_e64 v101, null, s1, v15, vcc_lo
	v_add_co_u32 v102, vcc_lo, s0, v11
	v_add_nc_u32_e32 v110, s11, v108
	s_wait_alu 0xfffd
	v_add_co_ci_u32_e64 v103, null, s1, v12, vcc_lo
	v_add_co_u32 v104, vcc_lo, s0, v30
	s_wait_alu 0xfffd
	v_add_co_ci_u32_e64 v105, null, s1, v31, vcc_lo
	v_lshlrev_b64_e32 v[30:31], 3, v[106:107]
	v_ashrrev_i32_e32 v109, 31, v108
	v_add_nc_u32_e32 v112, s11, v110
	v_ashrrev_i32_e32 v111, 31, v110
	s_clause 0x13
	global_load_b64 v[11:12], v[42:43], off
	global_load_b64 v[14:15], v[44:45], off
	;; [unrolled: 1-line block ×20, first 2 shown]
	v_lshlrev_b64_e32 v[108:109], 3, v[108:109]
	v_add_co_u32 v106, vcc_lo, s0, v30
	v_ashrrev_i32_e32 v113, 31, v112
	s_wait_alu 0xfffd
	v_add_co_ci_u32_e64 v107, null, s1, v31, vcc_lo
	v_lshlrev_b64_e32 v[30:31], 3, v[110:111]
	v_add_nc_u32_e32 v115, s11, v112
	v_lshlrev_b64_e32 v[113:114], 3, v[112:113]
	v_add_co_u32 v108, vcc_lo, s0, v108
	s_wait_alu 0xfffd
	v_add_co_ci_u32_e64 v109, null, s1, v109, vcc_lo
	v_add_co_u32 v110, vcc_lo, s0, v30
	v_ashrrev_i32_e32 v116, 31, v115
	v_add_nc_u32_e32 v30, s11, v115
	s_wait_alu 0xfffd
	v_add_co_ci_u32_e64 v111, null, s1, v31, vcc_lo
	v_add_co_u32 v112, vcc_lo, s0, v113
	s_wait_alu 0xfffd
	v_add_co_ci_u32_e64 v113, null, s1, v114, vcc_lo
	v_lshlrev_b64_e32 v[114:115], 3, v[115:116]
	v_add_nc_u32_e32 v116, s11, v30
	v_ashrrev_i32_e32 v31, 31, v30
	s_clause 0xb
	global_load_b64 v[170:171], v[82:83], off
	global_load_b64 v[172:173], v[84:85], off
	;; [unrolled: 1-line block ×12, first 2 shown]
	v_add_nc_u32_e32 v118, s11, v116
	v_lshlrev_b64_e32 v[30:31], 3, v[30:31]
	v_ashrrev_i32_e32 v117, 31, v116
	v_add_co_u32 v114, vcc_lo, s0, v114
	s_delay_alu instid0(VALU_DEP_4)
	v_add_nc_u32_e32 v122, s11, v118
	v_ashrrev_i32_e32 v119, 31, v118
	s_wait_alu 0xfffd
	v_add_co_ci_u32_e64 v115, null, s1, v115, vcc_lo
	v_lshlrev_b64_e32 v[120:121], 3, v[116:117]
	v_add_co_u32 v116, vcc_lo, s0, v30
	v_add_nc_u32_e32 v124, s11, v122
	s_wait_alu 0xfffd
	v_add_co_ci_u32_e64 v117, null, s1, v31, vcc_lo
	v_lshlrev_b64_e32 v[30:31], 3, v[118:119]
	v_ashrrev_i32_e32 v123, 31, v122
	v_add_co_u32 v118, vcc_lo, s0, v120
	v_add_nc_u32_e32 v126, s11, v124
	s_wait_alu 0xfffd
	v_add_co_ci_u32_e64 v119, null, s1, v121, vcc_lo
	v_add_co_u32 v120, vcc_lo, s0, v30
	s_wait_alu 0xfffd
	v_add_co_ci_u32_e64 v121, null, s1, v31, vcc_lo
	v_lshlrev_b64_e32 v[30:31], 3, v[122:123]
	v_ashrrev_i32_e32 v125, 31, v124
	v_add_nc_u32_e32 v128, s11, v126
	v_ashrrev_i32_e32 v127, 31, v126
	s_clause 0x7
	global_load_b64 v[194:195], v[106:107], off
	global_load_b64 v[196:197], v[108:109], off
	;; [unrolled: 1-line block ×8, first 2 shown]
	v_lshlrev_b64_e32 v[124:125], 3, v[124:125]
	v_add_co_u32 v122, vcc_lo, s0, v30
	v_ashrrev_i32_e32 v129, 31, v128
	s_wait_alu 0xfffd
	v_add_co_ci_u32_e64 v123, null, s1, v31, vcc_lo
	v_lshlrev_b64_e32 v[30:31], 3, v[126:127]
	v_add_nc_u32_e32 v131, s11, v128
	v_lshlrev_b64_e32 v[129:130], 3, v[128:129]
	v_add_co_u32 v124, vcc_lo, s0, v124
	s_wait_alu 0xfffd
	v_add_co_ci_u32_e64 v125, null, s1, v125, vcc_lo
	v_add_co_u32 v126, vcc_lo, s0, v30
	v_ashrrev_i32_e32 v132, 31, v131
	v_add_nc_u32_e32 v30, s11, v131
	s_wait_alu 0xfffd
	v_add_co_ci_u32_e64 v127, null, s1, v31, vcc_lo
	v_add_co_u32 v128, vcc_lo, s0, v129
	s_wait_alu 0xfffd
	v_add_co_ci_u32_e64 v129, null, s1, v130, vcc_lo
	v_lshlrev_b64_e32 v[130:131], 3, v[131:132]
	v_add_nc_u32_e32 v132, s11, v30
	v_ashrrev_i32_e32 v31, 31, v30
	s_clause 0x3
	global_load_b64 v[210:211], v[122:123], off
	global_load_b64 v[212:213], v[124:125], off
	;; [unrolled: 1-line block ×4, first 2 shown]
	v_add_nc_u32_e32 v134, s11, v132
	v_lshlrev_b64_e32 v[30:31], 3, v[30:31]
	v_ashrrev_i32_e32 v133, 31, v132
	v_add_co_u32 v130, vcc_lo, s0, v130
	s_delay_alu instid0(VALU_DEP_4)
	v_add_nc_u32_e32 v138, s11, v134
	v_ashrrev_i32_e32 v135, 31, v134
	s_wait_alu 0xfffd
	v_add_co_ci_u32_e64 v131, null, s1, v131, vcc_lo
	v_lshlrev_b64_e32 v[136:137], 3, v[132:133]
	v_add_co_u32 v132, vcc_lo, s0, v30
	v_add_nc_u32_e32 v140, s11, v138
	s_wait_alu 0xfffd
	v_add_co_ci_u32_e64 v133, null, s1, v31, vcc_lo
	v_lshlrev_b64_e32 v[30:31], 3, v[134:135]
	v_ashrrev_i32_e32 v139, 31, v138
	v_add_co_u32 v134, vcc_lo, s0, v136
	v_add_nc_u32_e32 v142, s11, v140
	s_wait_alu 0xfffd
	v_add_co_ci_u32_e64 v135, null, s1, v137, vcc_lo
	v_add_co_u32 v136, vcc_lo, s0, v30
	s_wait_alu 0xfffd
	v_add_co_ci_u32_e64 v137, null, s1, v31, vcc_lo
	v_lshlrev_b64_e32 v[30:31], 3, v[138:139]
	v_ashrrev_i32_e32 v141, 31, v140
	v_add_nc_u32_e32 v144, s11, v142
	v_ashrrev_i32_e32 v143, 31, v142
	s_clause 0x3
	global_load_b64 v[218:219], v[130:131], off
	global_load_b64 v[220:221], v[132:133], off
	;; [unrolled: 1-line block ×4, first 2 shown]
	v_lshlrev_b64_e32 v[140:141], 3, v[140:141]
	v_add_co_u32 v138, vcc_lo, s0, v30
	v_add_nc_u32_e32 v146, s11, v144
	s_wait_alu 0xfffd
	v_add_co_ci_u32_e64 v139, null, s1, v31, vcc_lo
	v_lshlrev_b64_e32 v[30:31], 3, v[142:143]
	v_ashrrev_i32_e32 v145, 31, v144
	v_ashrrev_i32_e32 v147, 31, v146
	v_add_co_u32 v140, vcc_lo, s0, v140
	s_wait_alu 0xfffd
	v_add_co_ci_u32_e64 v141, null, s1, v141, vcc_lo
	v_lshlrev_b64_e32 v[144:145], 3, v[144:145]
	v_add_co_u32 v142, vcc_lo, s0, v30
	s_wait_alu 0xfffd
	v_add_co_ci_u32_e64 v143, null, s1, v31, vcc_lo
	v_lshlrev_b64_e32 v[30:31], 3, v[146:147]
	s_delay_alu instid0(VALU_DEP_4) | instskip(SKIP_2) | instid1(VALU_DEP_3)
	v_add_co_u32 v144, vcc_lo, s0, v144
	s_wait_alu 0xfffd
	v_add_co_ci_u32_e64 v145, null, s1, v145, vcc_lo
	v_add_co_u32 v146, vcc_lo, s0, v30
	s_wait_alu 0xfffd
	v_add_co_ci_u32_e64 v147, null, s1, v31, vcc_lo
	s_clause 0x4
	global_load_b64 v[226:227], v[138:139], off
	global_load_b64 v[228:229], v[140:141], off
	;; [unrolled: 1-line block ×5, first 2 shown]
	s_mov_b32 s1, -1
	s_wait_loadcnt 0x38
	scratch_store_b128 off, v[1:4], off
	s_wait_loadcnt 0x36
	scratch_store_b128 off, v[5:8], off offset:16
	s_wait_loadcnt 0x34
	scratch_store_b128 off, v[9:12], off offset:32
	;; [unrolled: 2-line block ×28, first 2 shown]
	s_cbranch_scc1 .LBB57_244
; %bb.4:
	v_cmp_eq_u32_e64 s0, 0, v0
	s_and_saveexec_b32 s1, s0
; %bb.5:
	v_mov_b32_e32 v1, 0
	ds_store_b32 v1, v1 offset:928
; %bb.6:
	s_wait_alu 0xfffe
	s_or_b32 exec_lo, exec_lo, s1
	s_wait_storecnt_dscnt 0x0
	s_barrier_signal -1
	s_barrier_wait -1
	global_inv scope:SCOPE_SE
	scratch_load_b64 v[1:2], v13, off
	s_wait_loadcnt 0x0
	v_cmp_eq_f32_e32 vcc_lo, 0, v1
	v_cmp_eq_f32_e64 s1, 0, v2
	s_and_b32 s1, vcc_lo, s1
	s_wait_alu 0xfffe
	s_and_saveexec_b32 s4, s1
	s_cbranch_execz .LBB57_10
; %bb.7:
	v_mov_b32_e32 v1, 0
	s_mov_b32 s5, 0
	ds_load_b32 v2, v1 offset:928
	s_wait_dscnt 0x0
	v_readfirstlane_b32 s1, v2
	v_add_nc_u32_e32 v2, 1, v0
	s_cmp_eq_u32 s1, 0
	s_delay_alu instid0(VALU_DEP_1)
	v_cmp_gt_i32_e32 vcc_lo, s1, v2
	s_cselect_b32 s8, -1, 0
	s_wait_alu 0xfffe
	s_or_b32 s8, s8, vcc_lo
	s_wait_alu 0xfffe
	s_and_b32 exec_lo, exec_lo, s8
	s_cbranch_execz .LBB57_10
; %bb.8:
	v_mov_b32_e32 v3, s1
.LBB57_9:                               ; =>This Inner Loop Header: Depth=1
	ds_cmpstore_rtn_b32 v3, v1, v2, v3 offset:928
	s_wait_dscnt 0x0
	v_cmp_ne_u32_e32 vcc_lo, 0, v3
	v_cmp_le_i32_e64 s1, v3, v2
	s_and_b32 s1, vcc_lo, s1
	s_wait_alu 0xfffe
	s_and_b32 s1, exec_lo, s1
	s_wait_alu 0xfffe
	s_or_b32 s5, s1, s5
	s_wait_alu 0xfffe
	s_and_not1_b32 exec_lo, exec_lo, s5
	s_cbranch_execnz .LBB57_9
.LBB57_10:
	s_wait_alu 0xfffe
	s_or_b32 exec_lo, exec_lo, s4
	v_mov_b32_e32 v1, 0
	s_barrier_signal -1
	s_barrier_wait -1
	global_inv scope:SCOPE_SE
	ds_load_b32 v2, v1 offset:928
	s_and_saveexec_b32 s1, s0
	s_cbranch_execz .LBB57_12
; %bb.11:
	s_lshl_b64 s[4:5], s[16:17], 2
	s_wait_alu 0xfffe
	s_add_nc_u64 s[4:5], s[6:7], s[4:5]
	s_wait_dscnt 0x0
	global_store_b32 v1, v2, s[4:5]
.LBB57_12:
	s_wait_alu 0xfffe
	s_or_b32 exec_lo, exec_lo, s1
	s_wait_dscnt 0x0
	v_cmp_ne_u32_e32 vcc_lo, 0, v2
	s_mov_b32 s1, 0
	s_cbranch_vccnz .LBB57_244
; %bb.13:
	v_mov_b32_e32 v7, v13
                                        ; implicit-def: $vgpr3
                                        ; implicit-def: $vgpr5
	scratch_load_b64 v[1:2], v7, off
	s_wait_loadcnt 0x0
	v_cmp_ngt_f32_e64 s1, |v1|, |v2|
	s_wait_alu 0xfffe
	s_and_saveexec_b32 s4, s1
	s_wait_alu 0xfffe
	s_xor_b32 s1, exec_lo, s4
	s_cbranch_execz .LBB57_15
; %bb.14:
	v_div_scale_f32 v3, null, v2, v2, v1
	v_div_scale_f32 v6, vcc_lo, v1, v2, v1
	s_delay_alu instid0(VALU_DEP_2) | instskip(NEXT) | instid1(TRANS32_DEP_1)
	v_rcp_f32_e32 v4, v3
	v_fma_f32 v5, -v3, v4, 1.0
	s_delay_alu instid0(VALU_DEP_1) | instskip(NEXT) | instid1(VALU_DEP_1)
	v_fmac_f32_e32 v4, v5, v4
	v_mul_f32_e32 v5, v6, v4
	s_delay_alu instid0(VALU_DEP_1) | instskip(NEXT) | instid1(VALU_DEP_1)
	v_fma_f32 v8, -v3, v5, v6
	v_fmac_f32_e32 v5, v8, v4
	s_delay_alu instid0(VALU_DEP_1) | instskip(SKIP_1) | instid1(VALU_DEP_1)
	v_fma_f32 v3, -v3, v5, v6
	s_wait_alu 0xfffd
	v_div_fmas_f32 v3, v3, v4, v5
	s_delay_alu instid0(VALU_DEP_1) | instskip(NEXT) | instid1(VALU_DEP_1)
	v_div_fixup_f32 v3, v3, v2, v1
	v_fmac_f32_e32 v2, v1, v3
	s_delay_alu instid0(VALU_DEP_1) | instskip(NEXT) | instid1(VALU_DEP_1)
	v_div_scale_f32 v1, null, v2, v2, 1.0
	v_rcp_f32_e32 v4, v1
	s_delay_alu instid0(TRANS32_DEP_1) | instskip(NEXT) | instid1(VALU_DEP_1)
	v_fma_f32 v5, -v1, v4, 1.0
	v_fmac_f32_e32 v4, v5, v4
	v_div_scale_f32 v5, vcc_lo, 1.0, v2, 1.0
	s_delay_alu instid0(VALU_DEP_1) | instskip(NEXT) | instid1(VALU_DEP_1)
	v_mul_f32_e32 v6, v5, v4
	v_fma_f32 v8, -v1, v6, v5
	s_delay_alu instid0(VALU_DEP_1) | instskip(NEXT) | instid1(VALU_DEP_1)
	v_fmac_f32_e32 v6, v8, v4
	v_fma_f32 v1, -v1, v6, v5
	s_wait_alu 0xfffd
	s_delay_alu instid0(VALU_DEP_1) | instskip(NEXT) | instid1(VALU_DEP_1)
	v_div_fmas_f32 v1, v1, v4, v6
	v_div_fixup_f32 v1, v1, v2, 1.0
	s_delay_alu instid0(VALU_DEP_1) | instskip(SKIP_1) | instid1(VALU_DEP_2)
	v_mul_f32_e32 v3, v3, v1
	v_xor_b32_e32 v4, 0x80000000, v1
                                        ; implicit-def: $vgpr1_vgpr2
	v_xor_b32_e32 v5, 0x80000000, v3
.LBB57_15:
	s_wait_alu 0xfffe
	s_and_not1_saveexec_b32 s1, s1
	s_cbranch_execz .LBB57_17
; %bb.16:
	v_div_scale_f32 v3, null, v1, v1, v2
	v_div_scale_f32 v6, vcc_lo, v2, v1, v2
	s_delay_alu instid0(VALU_DEP_2) | instskip(NEXT) | instid1(TRANS32_DEP_1)
	v_rcp_f32_e32 v4, v3
	v_fma_f32 v5, -v3, v4, 1.0
	s_delay_alu instid0(VALU_DEP_1) | instskip(NEXT) | instid1(VALU_DEP_1)
	v_fmac_f32_e32 v4, v5, v4
	v_mul_f32_e32 v5, v6, v4
	s_delay_alu instid0(VALU_DEP_1) | instskip(NEXT) | instid1(VALU_DEP_1)
	v_fma_f32 v8, -v3, v5, v6
	v_fmac_f32_e32 v5, v8, v4
	s_delay_alu instid0(VALU_DEP_1) | instskip(SKIP_1) | instid1(VALU_DEP_1)
	v_fma_f32 v3, -v3, v5, v6
	s_wait_alu 0xfffd
	v_div_fmas_f32 v3, v3, v4, v5
	s_delay_alu instid0(VALU_DEP_1) | instskip(NEXT) | instid1(VALU_DEP_1)
	v_div_fixup_f32 v4, v3, v1, v2
	v_fmac_f32_e32 v1, v2, v4
	s_delay_alu instid0(VALU_DEP_1) | instskip(SKIP_1) | instid1(VALU_DEP_2)
	v_div_scale_f32 v2, null, v1, v1, 1.0
	v_div_scale_f32 v6, vcc_lo, 1.0, v1, 1.0
	v_rcp_f32_e32 v3, v2
	s_delay_alu instid0(TRANS32_DEP_1) | instskip(NEXT) | instid1(VALU_DEP_1)
	v_fma_f32 v5, -v2, v3, 1.0
	v_fmac_f32_e32 v3, v5, v3
	s_delay_alu instid0(VALU_DEP_1) | instskip(NEXT) | instid1(VALU_DEP_1)
	v_mul_f32_e32 v5, v6, v3
	v_fma_f32 v8, -v2, v5, v6
	s_delay_alu instid0(VALU_DEP_1) | instskip(NEXT) | instid1(VALU_DEP_1)
	v_fmac_f32_e32 v5, v8, v3
	v_fma_f32 v2, -v2, v5, v6
	s_wait_alu 0xfffd
	s_delay_alu instid0(VALU_DEP_1) | instskip(NEXT) | instid1(VALU_DEP_1)
	v_div_fmas_f32 v2, v2, v3, v5
	v_div_fixup_f32 v3, v2, v1, 1.0
	s_delay_alu instid0(VALU_DEP_1)
	v_xor_b32_e32 v5, 0x80000000, v3
	v_mul_f32_e64 v4, v4, -v3
.LBB57_17:
	s_wait_alu 0xfffe
	s_or_b32 exec_lo, exec_lo, s1
	scratch_store_b64 v7, v[3:4], off
	scratch_load_b64 v[2:3], off, off offset:8
	v_xor_b32_e32 v6, 0x80000000, v4
	v_add_nc_u32_e32 v1, 0x1d0, v13
	s_wait_loadcnt 0x0
	ds_store_2addr_b64 v13, v[5:6], v[2:3] offset1:58
	s_wait_storecnt_dscnt 0x0
	s_barrier_signal -1
	s_barrier_wait -1
	global_inv scope:SCOPE_SE
	s_and_saveexec_b32 s1, s0
	s_cbranch_execz .LBB57_19
; %bb.18:
	scratch_load_b64 v[2:3], v7, off
	ds_load_b64 v[4:5], v1
	v_mov_b32_e32 v6, 0
	ds_load_b64 v[8:9], v6 offset:8
	s_wait_loadcnt_dscnt 0x1
	v_mul_f32_e32 v6, v4, v3
	v_mul_f32_e32 v3, v5, v3
	s_delay_alu instid0(VALU_DEP_2) | instskip(NEXT) | instid1(VALU_DEP_2)
	v_fmac_f32_e32 v6, v5, v2
	v_fma_f32 v2, v4, v2, -v3
	s_delay_alu instid0(VALU_DEP_2) | instskip(SKIP_1) | instid1(VALU_DEP_1)
	v_add_f32_e32 v4, 0, v6
	s_wait_dscnt 0x0
	v_dual_add_f32 v2, 0, v2 :: v_dual_mul_f32 v5, v4, v9
	s_delay_alu instid0(VALU_DEP_1) | instskip(NEXT) | instid1(VALU_DEP_1)
	v_mul_f32_e32 v3, v2, v9
	v_fmac_f32_e32 v3, v4, v8
	s_delay_alu instid0(VALU_DEP_3)
	v_fma_f32 v2, v2, v8, -v5
	scratch_store_b64 off, v[2:3], off offset:8
.LBB57_19:
	s_wait_alu 0xfffe
	s_or_b32 exec_lo, exec_lo, s1
	s_wait_loadcnt 0x0
	s_wait_storecnt 0x0
	s_barrier_signal -1
	s_barrier_wait -1
	global_inv scope:SCOPE_SE
	scratch_load_b64 v[2:3], off, off offset:16
	s_mov_b32 s1, exec_lo
	s_wait_loadcnt 0x0
	ds_store_b64 v1, v[2:3]
	s_wait_dscnt 0x0
	s_barrier_signal -1
	s_barrier_wait -1
	global_inv scope:SCOPE_SE
	v_cmpx_gt_u32_e32 2, v0
	s_cbranch_execz .LBB57_23
; %bb.20:
	scratch_load_b64 v[2:3], v7, off
	ds_load_b64 v[4:5], v1
	s_wait_loadcnt_dscnt 0x0
	v_mul_f32_e32 v6, v5, v3
	v_mul_f32_e32 v8, v4, v3
	s_delay_alu instid0(VALU_DEP_2) | instskip(NEXT) | instid1(VALU_DEP_1)
	v_fma_f32 v3, v4, v2, -v6
	v_dual_fmac_f32 v8, v5, v2 :: v_dual_add_f32 v3, 0, v3
	s_delay_alu instid0(VALU_DEP_1)
	v_add_f32_e32 v2, 0, v8
	s_and_saveexec_b32 s4, s0
	s_cbranch_execz .LBB57_22
; %bb.21:
	scratch_load_b64 v[4:5], off, off offset:8
	v_mov_b32_e32 v6, 0
	ds_load_b64 v[8:9], v6 offset:472
	s_wait_loadcnt_dscnt 0x0
	v_mul_f32_e32 v6, v8, v5
	v_mul_f32_e32 v5, v9, v5
	s_delay_alu instid0(VALU_DEP_2) | instskip(NEXT) | instid1(VALU_DEP_2)
	v_fmac_f32_e32 v6, v9, v4
	v_fma_f32 v4, v8, v4, -v5
	s_delay_alu instid0(VALU_DEP_1)
	v_dual_add_f32 v2, v2, v6 :: v_dual_add_f32 v3, v3, v4
.LBB57_22:
	s_wait_alu 0xfffe
	s_or_b32 exec_lo, exec_lo, s4
	v_mov_b32_e32 v4, 0
	ds_load_b64 v[4:5], v4 offset:16
	s_wait_dscnt 0x0
	v_mul_f32_e32 v8, v2, v5
	v_mul_f32_e32 v6, v3, v5
	s_delay_alu instid0(VALU_DEP_2) | instskip(NEXT) | instid1(VALU_DEP_2)
	v_fma_f32 v5, v3, v4, -v8
	v_fmac_f32_e32 v6, v2, v4
	scratch_store_b64 off, v[5:6], off offset:16
.LBB57_23:
	s_wait_alu 0xfffe
	s_or_b32 exec_lo, exec_lo, s1
	s_wait_loadcnt 0x0
	s_wait_storecnt 0x0
	s_barrier_signal -1
	s_barrier_wait -1
	global_inv scope:SCOPE_SE
	scratch_load_b64 v[3:4], off, off offset:24
	v_add_nc_u32_e32 v2, -1, v0
	s_mov_b32 s0, exec_lo
	s_wait_loadcnt 0x0
	ds_store_b64 v1, v[3:4]
	s_wait_dscnt 0x0
	s_barrier_signal -1
	s_barrier_wait -1
	global_inv scope:SCOPE_SE
	v_cmpx_gt_u32_e32 3, v0
	s_cbranch_execz .LBB57_27
; %bb.24:
	v_dual_mov_b32 v3, 0 :: v_dual_add_nc_u32 v4, -1, v0
	v_dual_mov_b32 v6, v13 :: v_dual_add_nc_u32 v5, 0x1d0, v13
	v_mov_b32_e32 v8, 0
	s_mov_b32 s1, 0
.LBB57_25:                              ; =>This Inner Loop Header: Depth=1
	scratch_load_b64 v[9:10], v6, off
	ds_load_b64 v[11:12], v5
	v_add_nc_u32_e32 v6, 8, v6
	s_wait_loadcnt_dscnt 0x0
	v_dual_mul_f32 v14, v12, v10 :: v_dual_add_nc_u32 v5, 8, v5
	v_mul_f32_e32 v10, v11, v10
	s_delay_alu instid0(VALU_DEP_2) | instskip(NEXT) | instid1(VALU_DEP_2)
	v_fma_f32 v11, v11, v9, -v14
	v_fmac_f32_e32 v10, v12, v9
	v_add_nc_u32_e32 v4, 1, v4
	s_delay_alu instid0(VALU_DEP_2) | instskip(NEXT) | instid1(VALU_DEP_2)
	v_dual_add_f32 v8, v8, v11 :: v_dual_add_f32 v3, v3, v10
	v_cmp_lt_u32_e32 vcc_lo, 1, v4
	s_wait_alu 0xfffe
	s_or_b32 s1, vcc_lo, s1
	s_wait_alu 0xfffe
	s_and_not1_b32 exec_lo, exec_lo, s1
	s_cbranch_execnz .LBB57_25
; %bb.26:
	s_or_b32 exec_lo, exec_lo, s1
	v_mov_b32_e32 v4, 0
	ds_load_b64 v[4:5], v4 offset:24
	s_wait_dscnt 0x0
	v_mul_f32_e32 v9, v3, v5
	v_mul_f32_e32 v6, v8, v5
	s_delay_alu instid0(VALU_DEP_2) | instskip(NEXT) | instid1(VALU_DEP_2)
	v_fma_f32 v5, v8, v4, -v9
	v_fmac_f32_e32 v6, v3, v4
	scratch_store_b64 off, v[5:6], off offset:24
.LBB57_27:
	s_wait_alu 0xfffe
	s_or_b32 exec_lo, exec_lo, s0
	s_wait_loadcnt 0x0
	s_wait_storecnt 0x0
	s_barrier_signal -1
	s_barrier_wait -1
	global_inv scope:SCOPE_SE
	scratch_load_b64 v[3:4], off, off offset:32
	s_mov_b32 s0, exec_lo
	s_wait_loadcnt 0x0
	ds_store_b64 v1, v[3:4]
	s_wait_dscnt 0x0
	s_barrier_signal -1
	s_barrier_wait -1
	global_inv scope:SCOPE_SE
	v_cmpx_gt_u32_e32 4, v0
	s_cbranch_execz .LBB57_31
; %bb.28:
	v_dual_mov_b32 v3, 0 :: v_dual_add_nc_u32 v4, -1, v0
	v_dual_mov_b32 v6, v13 :: v_dual_add_nc_u32 v5, 0x1d0, v13
	v_mov_b32_e32 v8, 0
	s_mov_b32 s1, 0
.LBB57_29:                              ; =>This Inner Loop Header: Depth=1
	scratch_load_b64 v[9:10], v6, off
	ds_load_b64 v[11:12], v5
	v_add_nc_u32_e32 v6, 8, v6
	s_wait_loadcnt_dscnt 0x0
	v_dual_mul_f32 v14, v12, v10 :: v_dual_add_nc_u32 v5, 8, v5
	v_mul_f32_e32 v10, v11, v10
	s_delay_alu instid0(VALU_DEP_2) | instskip(NEXT) | instid1(VALU_DEP_2)
	v_fma_f32 v11, v11, v9, -v14
	v_fmac_f32_e32 v10, v12, v9
	v_add_nc_u32_e32 v4, 1, v4
	s_delay_alu instid0(VALU_DEP_2) | instskip(NEXT) | instid1(VALU_DEP_2)
	v_dual_add_f32 v8, v8, v11 :: v_dual_add_f32 v3, v3, v10
	v_cmp_lt_u32_e32 vcc_lo, 2, v4
	s_wait_alu 0xfffe
	s_or_b32 s1, vcc_lo, s1
	s_wait_alu 0xfffe
	s_and_not1_b32 exec_lo, exec_lo, s1
	s_cbranch_execnz .LBB57_29
; %bb.30:
	s_or_b32 exec_lo, exec_lo, s1
	v_mov_b32_e32 v4, 0
	ds_load_b64 v[4:5], v4 offset:32
	s_wait_dscnt 0x0
	v_mul_f32_e32 v9, v3, v5
	v_mul_f32_e32 v6, v8, v5
	s_delay_alu instid0(VALU_DEP_2) | instskip(NEXT) | instid1(VALU_DEP_2)
	v_fma_f32 v5, v8, v4, -v9
	v_fmac_f32_e32 v6, v3, v4
	scratch_store_b64 off, v[5:6], off offset:32
.LBB57_31:
	s_wait_alu 0xfffe
	s_or_b32 exec_lo, exec_lo, s0
	s_wait_loadcnt 0x0
	s_wait_storecnt 0x0
	s_barrier_signal -1
	s_barrier_wait -1
	global_inv scope:SCOPE_SE
	scratch_load_b64 v[3:4], off, off offset:40
	;; [unrolled: 53-line block ×19, first 2 shown]
	s_mov_b32 s0, exec_lo
	s_wait_loadcnt 0x0
	ds_store_b64 v1, v[3:4]
	s_wait_dscnt 0x0
	s_barrier_signal -1
	s_barrier_wait -1
	global_inv scope:SCOPE_SE
	v_cmpx_gt_u32_e32 22, v0
	s_cbranch_execz .LBB57_103
; %bb.100:
	v_dual_mov_b32 v3, 0 :: v_dual_add_nc_u32 v4, -1, v0
	v_dual_mov_b32 v6, v13 :: v_dual_add_nc_u32 v5, 0x1d0, v13
	v_mov_b32_e32 v8, 0
	s_mov_b32 s1, 0
.LBB57_101:                             ; =>This Inner Loop Header: Depth=1
	scratch_load_b64 v[9:10], v6, off
	ds_load_b64 v[11:12], v5
	v_add_nc_u32_e32 v6, 8, v6
	s_wait_loadcnt_dscnt 0x0
	v_dual_mul_f32 v14, v12, v10 :: v_dual_add_nc_u32 v5, 8, v5
	v_mul_f32_e32 v10, v11, v10
	s_delay_alu instid0(VALU_DEP_2) | instskip(NEXT) | instid1(VALU_DEP_2)
	v_fma_f32 v11, v11, v9, -v14
	v_fmac_f32_e32 v10, v12, v9
	v_add_nc_u32_e32 v4, 1, v4
	s_delay_alu instid0(VALU_DEP_2) | instskip(NEXT) | instid1(VALU_DEP_2)
	v_dual_add_f32 v8, v8, v11 :: v_dual_add_f32 v3, v3, v10
	v_cmp_lt_u32_e32 vcc_lo, 20, v4
	s_wait_alu 0xfffe
	s_or_b32 s1, vcc_lo, s1
	s_wait_alu 0xfffe
	s_and_not1_b32 exec_lo, exec_lo, s1
	s_cbranch_execnz .LBB57_101
; %bb.102:
	s_or_b32 exec_lo, exec_lo, s1
	v_mov_b32_e32 v4, 0
	ds_load_b64 v[4:5], v4 offset:176
	s_wait_dscnt 0x0
	v_mul_f32_e32 v9, v3, v5
	v_mul_f32_e32 v6, v8, v5
	s_delay_alu instid0(VALU_DEP_2) | instskip(NEXT) | instid1(VALU_DEP_2)
	v_fma_f32 v5, v8, v4, -v9
	v_fmac_f32_e32 v6, v3, v4
	scratch_store_b64 off, v[5:6], off offset:176
.LBB57_103:
	s_wait_alu 0xfffe
	s_or_b32 exec_lo, exec_lo, s0
	s_wait_loadcnt 0x0
	s_wait_storecnt 0x0
	s_barrier_signal -1
	s_barrier_wait -1
	global_inv scope:SCOPE_SE
	scratch_load_b64 v[3:4], off, off offset:184
	s_mov_b32 s0, exec_lo
	s_wait_loadcnt 0x0
	ds_store_b64 v1, v[3:4]
	s_wait_dscnt 0x0
	s_barrier_signal -1
	s_barrier_wait -1
	global_inv scope:SCOPE_SE
	v_cmpx_gt_u32_e32 23, v0
	s_cbranch_execz .LBB57_107
; %bb.104:
	v_dual_mov_b32 v3, 0 :: v_dual_add_nc_u32 v4, -1, v0
	v_dual_mov_b32 v6, v13 :: v_dual_add_nc_u32 v5, 0x1d0, v13
	v_mov_b32_e32 v8, 0
	s_mov_b32 s1, 0
.LBB57_105:                             ; =>This Inner Loop Header: Depth=1
	scratch_load_b64 v[9:10], v6, off
	ds_load_b64 v[11:12], v5
	v_add_nc_u32_e32 v6, 8, v6
	s_wait_loadcnt_dscnt 0x0
	v_dual_mul_f32 v14, v12, v10 :: v_dual_add_nc_u32 v5, 8, v5
	v_mul_f32_e32 v10, v11, v10
	s_delay_alu instid0(VALU_DEP_2) | instskip(NEXT) | instid1(VALU_DEP_2)
	v_fma_f32 v11, v11, v9, -v14
	v_fmac_f32_e32 v10, v12, v9
	v_add_nc_u32_e32 v4, 1, v4
	s_delay_alu instid0(VALU_DEP_2) | instskip(NEXT) | instid1(VALU_DEP_2)
	v_dual_add_f32 v8, v8, v11 :: v_dual_add_f32 v3, v3, v10
	v_cmp_lt_u32_e32 vcc_lo, 21, v4
	s_wait_alu 0xfffe
	s_or_b32 s1, vcc_lo, s1
	s_wait_alu 0xfffe
	s_and_not1_b32 exec_lo, exec_lo, s1
	s_cbranch_execnz .LBB57_105
; %bb.106:
	s_or_b32 exec_lo, exec_lo, s1
	v_mov_b32_e32 v4, 0
	ds_load_b64 v[4:5], v4 offset:184
	s_wait_dscnt 0x0
	v_mul_f32_e32 v9, v3, v5
	v_mul_f32_e32 v6, v8, v5
	s_delay_alu instid0(VALU_DEP_2) | instskip(NEXT) | instid1(VALU_DEP_2)
	v_fma_f32 v5, v8, v4, -v9
	v_fmac_f32_e32 v6, v3, v4
	scratch_store_b64 off, v[5:6], off offset:184
.LBB57_107:
	s_wait_alu 0xfffe
	s_or_b32 exec_lo, exec_lo, s0
	s_wait_loadcnt 0x0
	s_wait_storecnt 0x0
	s_barrier_signal -1
	s_barrier_wait -1
	global_inv scope:SCOPE_SE
	scratch_load_b64 v[3:4], off, off offset:192
	;; [unrolled: 53-line block ×34, first 2 shown]
	s_mov_b32 s0, exec_lo
	s_wait_loadcnt 0x0
	ds_store_b64 v1, v[3:4]
	s_wait_dscnt 0x0
	s_barrier_signal -1
	s_barrier_wait -1
	global_inv scope:SCOPE_SE
	v_cmpx_gt_u32_e32 56, v0
	s_cbranch_execz .LBB57_239
; %bb.236:
	v_dual_mov_b32 v3, 0 :: v_dual_add_nc_u32 v4, -1, v0
	v_dual_mov_b32 v6, v13 :: v_dual_add_nc_u32 v5, 0x1d0, v13
	v_mov_b32_e32 v8, 0
	s_mov_b32 s1, 0
.LBB57_237:                             ; =>This Inner Loop Header: Depth=1
	scratch_load_b64 v[9:10], v6, off
	ds_load_b64 v[11:12], v5
	v_add_nc_u32_e32 v6, 8, v6
	v_add_nc_u32_e32 v4, 1, v4
	v_add_nc_u32_e32 v5, 8, v5
	s_delay_alu instid0(VALU_DEP_2)
	v_cmp_lt_u32_e32 vcc_lo, 54, v4
	s_wait_alu 0xfffe
	s_or_b32 s1, vcc_lo, s1
	s_wait_loadcnt_dscnt 0x0
	v_mul_f32_e32 v13, v12, v10
	v_mul_f32_e32 v10, v11, v10
	s_delay_alu instid0(VALU_DEP_2) | instskip(NEXT) | instid1(VALU_DEP_2)
	v_fma_f32 v11, v11, v9, -v13
	v_fmac_f32_e32 v10, v12, v9
	s_delay_alu instid0(VALU_DEP_1)
	v_dual_add_f32 v8, v8, v11 :: v_dual_add_f32 v3, v3, v10
	s_wait_alu 0xfffe
	s_and_not1_b32 exec_lo, exec_lo, s1
	s_cbranch_execnz .LBB57_237
; %bb.238:
	s_or_b32 exec_lo, exec_lo, s1
	v_mov_b32_e32 v4, 0
	ds_load_b64 v[4:5], v4 offset:448
	s_wait_dscnt 0x0
	v_mul_f32_e32 v9, v3, v5
	v_mul_f32_e32 v6, v8, v5
	s_delay_alu instid0(VALU_DEP_2) | instskip(NEXT) | instid1(VALU_DEP_2)
	v_fma_f32 v5, v8, v4, -v9
	v_fmac_f32_e32 v6, v3, v4
	scratch_store_b64 off, v[5:6], off offset:448
.LBB57_239:
	s_wait_alu 0xfffe
	s_or_b32 exec_lo, exec_lo, s0
	s_wait_loadcnt 0x0
	s_wait_storecnt 0x0
	s_barrier_signal -1
	s_barrier_wait -1
	global_inv scope:SCOPE_SE
	scratch_load_b64 v[3:4], off, off offset:456
	s_mov_b32 s0, exec_lo
	s_wait_loadcnt 0x0
	ds_store_b64 v1, v[3:4]
	s_wait_dscnt 0x0
	s_barrier_signal -1
	s_barrier_wait -1
	global_inv scope:SCOPE_SE
	v_cmpx_ne_u32_e32 57, v0
	s_cbranch_execz .LBB57_243
; %bb.240:
	v_dual_mov_b32 v3, 0 :: v_dual_mov_b32 v4, 0
	s_mov_b32 s1, 0
.LBB57_241:                             ; =>This Inner Loop Header: Depth=1
	scratch_load_b64 v[5:6], v7, off
	ds_load_b64 v[8:9], v1
	v_add_nc_u32_e32 v2, 1, v2
	v_add_nc_u32_e32 v1, 8, v1
	;; [unrolled: 1-line block ×3, first 2 shown]
	s_delay_alu instid0(VALU_DEP_3)
	v_cmp_lt_u32_e32 vcc_lo, 55, v2
	s_wait_alu 0xfffe
	s_or_b32 s1, vcc_lo, s1
	s_wait_loadcnt_dscnt 0x0
	v_mul_f32_e32 v10, v9, v6
	v_mul_f32_e32 v6, v8, v6
	s_delay_alu instid0(VALU_DEP_2) | instskip(NEXT) | instid1(VALU_DEP_2)
	v_fma_f32 v8, v8, v5, -v10
	v_fmac_f32_e32 v6, v9, v5
	s_delay_alu instid0(VALU_DEP_1)
	v_dual_add_f32 v4, v4, v8 :: v_dual_add_f32 v3, v3, v6
	s_wait_alu 0xfffe
	s_and_not1_b32 exec_lo, exec_lo, s1
	s_cbranch_execnz .LBB57_241
; %bb.242:
	s_or_b32 exec_lo, exec_lo, s1
	v_mov_b32_e32 v1, 0
	ds_load_b64 v[1:2], v1 offset:456
	s_wait_dscnt 0x0
	v_mul_f32_e32 v6, v3, v2
	v_mul_f32_e32 v5, v4, v2
	s_delay_alu instid0(VALU_DEP_2) | instskip(NEXT) | instid1(VALU_DEP_2)
	v_fma_f32 v4, v4, v1, -v6
	v_fmac_f32_e32 v5, v3, v1
	scratch_store_b64 off, v[4:5], off offset:456
.LBB57_243:
	s_wait_alu 0xfffe
	s_or_b32 exec_lo, exec_lo, s0
	s_mov_b32 s1, -1
	s_wait_loadcnt 0x0
	s_wait_storecnt 0x0
	s_barrier_signal -1
	s_barrier_wait -1
	global_inv scope:SCOPE_SE
.LBB57_244:
	s_wait_alu 0xfffe
	s_and_b32 vcc_lo, exec_lo, s1
	s_wait_alu 0xfffe
	s_cbranch_vccz .LBB57_246
; %bb.245:
	v_mov_b32_e32 v1, 0
	s_lshl_b64 s[0:1], s[16:17], 2
	s_wait_alu 0xfffe
	s_add_nc_u64 s[0:1], s[6:7], s[0:1]
	global_load_b32 v1, v1, s[0:1]
	s_wait_loadcnt 0x0
	v_cmp_ne_u32_e32 vcc_lo, 0, v1
	s_cbranch_vccz .LBB57_247
.LBB57_246:
	s_nop 0
	s_sendmsg sendmsg(MSG_DEALLOC_VGPRS)
	s_endpgm
.LBB57_247:
	v_lshl_add_u32 v31, v0, 3, 0x1d0
	s_mov_b32 s0, exec_lo
	v_cmpx_eq_u32_e32 57, v0
	s_cbranch_execz .LBB57_249
; %bb.248:
	scratch_load_b64 v[1:2], off, off offset:448
	v_mov_b32_e32 v3, 0
	s_delay_alu instid0(VALU_DEP_1)
	v_mov_b32_e32 v4, v3
	scratch_store_b64 off, v[3:4], off offset:448
	s_wait_loadcnt 0x0
	ds_store_b64 v31, v[1:2]
.LBB57_249:
	s_wait_alu 0xfffe
	s_or_b32 exec_lo, exec_lo, s0
	s_wait_storecnt_dscnt 0x0
	s_barrier_signal -1
	s_barrier_wait -1
	global_inv scope:SCOPE_SE
	s_clause 0x1
	scratch_load_b64 v[2:3], off, off offset:456
	scratch_load_b64 v[4:5], off, off offset:448
	v_mov_b32_e32 v1, 0
	s_mov_b32 s0, exec_lo
	ds_load_b64 v[6:7], v1 offset:920
	s_wait_loadcnt_dscnt 0x100
	v_mul_f32_e32 v8, v7, v3
	v_mul_f32_e32 v3, v6, v3
	s_delay_alu instid0(VALU_DEP_2) | instskip(NEXT) | instid1(VALU_DEP_2)
	v_fma_f32 v6, v6, v2, -v8
	v_fmac_f32_e32 v3, v7, v2
	s_delay_alu instid0(VALU_DEP_1) | instskip(SKIP_1) | instid1(VALU_DEP_1)
	v_dual_add_f32 v2, 0, v6 :: v_dual_add_f32 v3, 0, v3
	s_wait_loadcnt 0x0
	v_dual_sub_f32 v2, v4, v2 :: v_dual_sub_f32 v3, v5, v3
	scratch_store_b64 off, v[2:3], off offset:448
	v_cmpx_lt_u32_e32 55, v0
	s_cbranch_execz .LBB57_251
; %bb.250:
	scratch_load_b64 v[3:4], off, off offset:440
	v_mov_b32_e32 v2, v1
	scratch_store_b64 off, v[1:2], off offset:440
	s_wait_loadcnt 0x0
	ds_store_b64 v31, v[3:4]
.LBB57_251:
	s_wait_alu 0xfffe
	s_or_b32 exec_lo, exec_lo, s0
	s_wait_storecnt_dscnt 0x0
	s_barrier_signal -1
	s_barrier_wait -1
	global_inv scope:SCOPE_SE
	s_clause 0x1
	scratch_load_b128 v[2:5], off, off offset:448
	scratch_load_b64 v[10:11], off, off offset:440
	ds_load_b128 v[6:9], v1 offset:912
	s_mov_b32 s0, exec_lo
	s_wait_loadcnt_dscnt 0x100
	v_dual_mul_f32 v1, v7, v3 :: v_dual_mul_f32 v12, v8, v5
	v_mul_f32_e32 v3, v6, v3
	s_delay_alu instid0(VALU_DEP_2) | instskip(NEXT) | instid1(VALU_DEP_2)
	v_fma_f32 v1, v6, v2, -v1
	v_dual_fmac_f32 v12, v9, v4 :: v_dual_fmac_f32 v3, v7, v2
	s_delay_alu instid0(VALU_DEP_2) | instskip(NEXT) | instid1(VALU_DEP_2)
	v_add_f32_e32 v1, 0, v1
	v_add_f32_e32 v3, 0, v3
	v_mul_f32_e32 v5, v9, v5
	s_delay_alu instid0(VALU_DEP_1) | instskip(NEXT) | instid1(VALU_DEP_1)
	v_fma_f32 v2, v8, v4, -v5
	v_dual_add_f32 v1, v1, v2 :: v_dual_add_f32 v2, v3, v12
	s_wait_loadcnt 0x0
	s_delay_alu instid0(VALU_DEP_1)
	v_dual_sub_f32 v1, v10, v1 :: v_dual_sub_f32 v2, v11, v2
	scratch_store_b64 off, v[1:2], off offset:440
	v_cmpx_lt_u32_e32 54, v0
	s_cbranch_execz .LBB57_253
; %bb.252:
	scratch_load_b64 v[1:2], off, off offset:432
	v_mov_b32_e32 v3, 0
	s_delay_alu instid0(VALU_DEP_1)
	v_mov_b32_e32 v4, v3
	scratch_store_b64 off, v[3:4], off offset:432
	s_wait_loadcnt 0x0
	ds_store_b64 v31, v[1:2]
.LBB57_253:
	s_wait_alu 0xfffe
	s_or_b32 exec_lo, exec_lo, s0
	s_wait_storecnt_dscnt 0x0
	s_barrier_signal -1
	s_barrier_wait -1
	global_inv scope:SCOPE_SE
	s_clause 0x2
	scratch_load_b128 v[2:5], off, off offset:440
	scratch_load_b64 v[10:11], off, off offset:456
	scratch_load_b64 v[12:13], off, off offset:432
	v_mov_b32_e32 v1, 0
	ds_load_2addr_b64 v[6:9], v1 offset0:113 offset1:114
	ds_load_b64 v[14:15], v1 offset:920
	s_mov_b32 s0, exec_lo
	s_wait_loadcnt_dscnt 0x201
	v_dual_mul_f32 v16, v7, v3 :: v_dual_mul_f32 v17, v8, v5
	s_wait_loadcnt_dscnt 0x100
	v_mul_f32_e32 v18, v14, v11
	v_mul_f32_e32 v3, v6, v3
	;; [unrolled: 1-line block ×3, first 2 shown]
	v_fma_f32 v6, v6, v2, -v16
	s_delay_alu instid0(VALU_DEP_4) | instskip(NEXT) | instid1(VALU_DEP_4)
	v_fmac_f32_e32 v18, v15, v10
	v_fmac_f32_e32 v3, v7, v2
	v_mul_f32_e32 v2, v15, v11
	s_delay_alu instid0(VALU_DEP_1) | instskip(SKIP_3) | instid1(VALU_DEP_1)
	v_fma_f32 v2, v14, v10, -v2
	v_fmac_f32_e32 v17, v9, v4
	v_fma_f32 v4, v8, v4, -v5
	v_add_f32_e32 v5, 0, v6
	v_add_f32_e32 v4, v5, v4
	s_delay_alu instid0(VALU_DEP_1) | instskip(SKIP_1) | instid1(VALU_DEP_1)
	v_dual_add_f32 v2, v4, v2 :: v_dual_add_f32 v3, 0, v3
	s_wait_loadcnt 0x0
	v_dual_sub_f32 v2, v12, v2 :: v_dual_add_f32 v3, v3, v17
	s_delay_alu instid0(VALU_DEP_1) | instskip(NEXT) | instid1(VALU_DEP_1)
	v_add_f32_e32 v3, v3, v18
	v_sub_f32_e32 v3, v13, v3
	scratch_store_b64 off, v[2:3], off offset:432
	v_cmpx_lt_u32_e32 53, v0
	s_cbranch_execz .LBB57_255
; %bb.254:
	scratch_load_b64 v[3:4], off, off offset:424
	v_mov_b32_e32 v2, v1
	scratch_store_b64 off, v[1:2], off offset:424
	s_wait_loadcnt 0x0
	ds_store_b64 v31, v[3:4]
.LBB57_255:
	s_wait_alu 0xfffe
	s_or_b32 exec_lo, exec_lo, s0
	s_wait_storecnt_dscnt 0x0
	s_barrier_signal -1
	s_barrier_wait -1
	global_inv scope:SCOPE_SE
	s_clause 0x2
	scratch_load_b128 v[2:5], off, off offset:432
	scratch_load_b128 v[6:9], off, off offset:448
	scratch_load_b64 v[18:19], off, off offset:424
	ds_load_b128 v[10:13], v1 offset:896
	ds_load_b128 v[14:17], v1 offset:912
	s_mov_b32 s0, exec_lo
	s_wait_loadcnt_dscnt 0x201
	v_dual_mul_f32 v1, v10, v3 :: v_dual_mul_f32 v20, v12, v5
	s_wait_loadcnt_dscnt 0x100
	v_dual_mul_f32 v3, v11, v3 :: v_dual_mul_f32 v22, v16, v9
	v_mul_f32_e32 v5, v13, v5
	s_delay_alu instid0(VALU_DEP_3) | instskip(NEXT) | instid1(VALU_DEP_3)
	v_dual_mul_f32 v21, v14, v7 :: v_dual_fmac_f32 v20, v13, v4
	v_fma_f32 v3, v10, v2, -v3
	s_delay_alu instid0(VALU_DEP_4) | instskip(SKIP_2) | instid1(VALU_DEP_4)
	v_dual_fmac_f32 v1, v11, v2 :: v_dual_fmac_f32 v22, v17, v8
	v_mul_f32_e32 v2, v15, v7
	v_fma_f32 v4, v12, v4, -v5
	v_add_f32_e32 v3, 0, v3
	v_fmac_f32_e32 v21, v15, v6
	s_delay_alu instid0(VALU_DEP_4) | instskip(NEXT) | instid1(VALU_DEP_3)
	v_fma_f32 v2, v14, v6, -v2
	v_add_f32_e32 v3, v3, v4
	s_delay_alu instid0(VALU_DEP_1) | instskip(NEXT) | instid1(VALU_DEP_1)
	v_dual_add_f32 v1, 0, v1 :: v_dual_add_f32 v2, v3, v2
	v_add_f32_e32 v1, v1, v20
	s_delay_alu instid0(VALU_DEP_1) | instskip(NEXT) | instid1(VALU_DEP_1)
	v_add_f32_e32 v1, v1, v21
	v_add_f32_e32 v3, v1, v22
	v_mul_f32_e32 v5, v17, v9
	s_delay_alu instid0(VALU_DEP_1) | instskip(NEXT) | instid1(VALU_DEP_1)
	v_fma_f32 v4, v16, v8, -v5
	v_add_f32_e32 v2, v2, v4
	s_wait_loadcnt 0x0
	s_delay_alu instid0(VALU_DEP_1)
	v_dual_sub_f32 v1, v18, v2 :: v_dual_sub_f32 v2, v19, v3
	scratch_store_b64 off, v[1:2], off offset:424
	v_cmpx_lt_u32_e32 52, v0
	s_cbranch_execz .LBB57_257
; %bb.256:
	scratch_load_b64 v[1:2], off, off offset:416
	v_mov_b32_e32 v3, 0
	s_delay_alu instid0(VALU_DEP_1)
	v_mov_b32_e32 v4, v3
	scratch_store_b64 off, v[3:4], off offset:416
	s_wait_loadcnt 0x0
	ds_store_b64 v31, v[1:2]
.LBB57_257:
	s_wait_alu 0xfffe
	s_or_b32 exec_lo, exec_lo, s0
	s_wait_storecnt_dscnt 0x0
	s_barrier_signal -1
	s_barrier_wait -1
	global_inv scope:SCOPE_SE
	s_clause 0x3
	scratch_load_b128 v[2:5], off, off offset:424
	scratch_load_b128 v[6:9], off, off offset:440
	scratch_load_b64 v[18:19], off, off offset:456
	scratch_load_b64 v[20:21], off, off offset:416
	v_mov_b32_e32 v1, 0
	ds_load_2addr_b64 v[10:13], v1 offset0:111 offset1:112
	ds_load_2addr_b64 v[14:17], v1 offset0:113 offset1:114
	ds_load_b64 v[22:23], v1 offset:920
	s_mov_b32 s0, exec_lo
	s_wait_loadcnt_dscnt 0x302
	v_dual_mul_f32 v24, v10, v3 :: v_dual_mul_f32 v25, v12, v5
	s_wait_loadcnt_dscnt 0x201
	v_dual_mul_f32 v26, v14, v7 :: v_dual_mul_f32 v5, v13, v5
	;; [unrolled: 2-line block ×3, first 2 shown]
	v_dual_fmac_f32 v24, v11, v2 :: v_dual_fmac_f32 v25, v13, v4
	s_delay_alu instid0(VALU_DEP_3) | instskip(SKIP_1) | instid1(VALU_DEP_3)
	v_fmac_f32_e32 v26, v15, v6
	v_fma_f32 v4, v12, v4, -v5
	v_dual_fmac_f32 v28, v23, v18 :: v_dual_add_f32 v5, 0, v24
	v_mul_f32_e32 v3, v11, v3
	s_delay_alu instid0(VALU_DEP_1) | instskip(SKIP_1) | instid1(VALU_DEP_2)
	v_fma_f32 v3, v10, v2, -v3
	v_dual_mul_f32 v2, v15, v7 :: v_dual_mul_f32 v7, v17, v9
	v_add_f32_e32 v3, 0, v3
	s_delay_alu instid0(VALU_DEP_2) | instskip(NEXT) | instid1(VALU_DEP_3)
	v_fma_f32 v2, v14, v6, -v2
	v_fma_f32 v6, v16, v8, -v7
	s_delay_alu instid0(VALU_DEP_3) | instskip(NEXT) | instid1(VALU_DEP_1)
	v_add_f32_e32 v3, v3, v4
	v_add_f32_e32 v2, v3, v2
	;; [unrolled: 1-line block ×3, first 2 shown]
	s_delay_alu instid0(VALU_DEP_2) | instskip(NEXT) | instid1(VALU_DEP_2)
	v_dual_add_f32 v2, v2, v6 :: v_dual_mul_f32 v5, v23, v19
	v_add_f32_e32 v3, v4, v26
	s_delay_alu instid0(VALU_DEP_2) | instskip(NEXT) | instid1(VALU_DEP_1)
	v_fma_f32 v4, v22, v18, -v5
	v_add_f32_e32 v2, v2, v4
	s_wait_loadcnt 0x0
	s_delay_alu instid0(VALU_DEP_1) | instskip(NEXT) | instid1(VALU_DEP_1)
	v_dual_fmac_f32 v27, v17, v8 :: v_dual_sub_f32 v2, v20, v2
	v_add_f32_e32 v3, v3, v27
	s_delay_alu instid0(VALU_DEP_1) | instskip(NEXT) | instid1(VALU_DEP_1)
	v_add_f32_e32 v3, v3, v28
	v_sub_f32_e32 v3, v21, v3
	scratch_store_b64 off, v[2:3], off offset:416
	v_cmpx_lt_u32_e32 51, v0
	s_cbranch_execz .LBB57_259
; %bb.258:
	scratch_load_b64 v[3:4], off, off offset:408
	v_mov_b32_e32 v2, v1
	scratch_store_b64 off, v[1:2], off offset:408
	s_wait_loadcnt 0x0
	ds_store_b64 v31, v[3:4]
.LBB57_259:
	s_wait_alu 0xfffe
	s_or_b32 exec_lo, exec_lo, s0
	s_wait_storecnt_dscnt 0x0
	s_barrier_signal -1
	s_barrier_wait -1
	global_inv scope:SCOPE_SE
	s_clause 0x3
	scratch_load_b128 v[2:5], off, off offset:416
	scratch_load_b128 v[6:9], off, off offset:432
	scratch_load_b128 v[10:13], off, off offset:448
	scratch_load_b64 v[26:27], off, off offset:408
	ds_load_b128 v[14:17], v1 offset:880
	ds_load_b128 v[18:21], v1 offset:896
	;; [unrolled: 1-line block ×3, first 2 shown]
	s_mov_b32 s0, exec_lo
	s_wait_loadcnt_dscnt 0x302
	v_dual_mul_f32 v1, v14, v3 :: v_dual_mul_f32 v28, v16, v5
	v_mul_f32_e32 v3, v15, v3
	v_mul_f32_e32 v5, v17, v5
	s_wait_loadcnt_dscnt 0x201
	v_dual_mul_f32 v29, v18, v7 :: v_dual_mul_f32 v30, v20, v9
	v_fmac_f32_e32 v28, v17, v4
	v_fma_f32 v3, v14, v2, -v3
	s_wait_loadcnt_dscnt 0x100
	v_dual_mul_f32 v148, v22, v11 :: v_dual_mul_f32 v149, v24, v13
	v_dual_fmac_f32 v1, v15, v2 :: v_dual_fmac_f32 v30, v21, v8
	v_mul_f32_e32 v2, v19, v7
	v_fma_f32 v4, v16, v4, -v5
	s_delay_alu instid0(VALU_DEP_4) | instskip(NEXT) | instid1(VALU_DEP_4)
	v_dual_add_f32 v3, 0, v3 :: v_dual_fmac_f32 v148, v23, v10
	v_add_f32_e32 v1, 0, v1
	s_delay_alu instid0(VALU_DEP_4) | instskip(SKIP_1) | instid1(VALU_DEP_4)
	v_fma_f32 v2, v18, v6, -v2
	v_fmac_f32_e32 v149, v25, v12
	v_add_f32_e32 v3, v3, v4
	v_dual_mul_f32 v5, v21, v9 :: v_dual_mul_f32 v4, v23, v11
	s_delay_alu instid0(VALU_DEP_2) | instskip(NEXT) | instid1(VALU_DEP_2)
	v_add_f32_e32 v2, v3, v2
	v_fma_f32 v5, v20, v8, -v5
	v_fmac_f32_e32 v29, v19, v6
	s_delay_alu instid0(VALU_DEP_4) | instskip(NEXT) | instid1(VALU_DEP_3)
	v_fma_f32 v4, v22, v10, -v4
	v_add_f32_e32 v2, v2, v5
	s_delay_alu instid0(VALU_DEP_1) | instskip(NEXT) | instid1(VALU_DEP_1)
	v_dual_mul_f32 v3, v25, v13 :: v_dual_add_f32 v2, v2, v4
	v_fma_f32 v3, v24, v12, -v3
	s_delay_alu instid0(VALU_DEP_1) | instskip(NEXT) | instid1(VALU_DEP_1)
	v_dual_add_f32 v1, v1, v28 :: v_dual_add_f32 v2, v2, v3
	v_add_f32_e32 v1, v1, v29
	s_delay_alu instid0(VALU_DEP_1) | instskip(NEXT) | instid1(VALU_DEP_1)
	v_add_f32_e32 v1, v1, v30
	v_add_f32_e32 v1, v1, v148
	s_delay_alu instid0(VALU_DEP_1) | instskip(SKIP_1) | instid1(VALU_DEP_1)
	v_add_f32_e32 v3, v1, v149
	s_wait_loadcnt 0x0
	v_dual_sub_f32 v1, v26, v2 :: v_dual_sub_f32 v2, v27, v3
	scratch_store_b64 off, v[1:2], off offset:408
	v_cmpx_lt_u32_e32 50, v0
	s_cbranch_execz .LBB57_261
; %bb.260:
	scratch_load_b64 v[1:2], off, off offset:400
	v_mov_b32_e32 v3, 0
	s_delay_alu instid0(VALU_DEP_1)
	v_mov_b32_e32 v4, v3
	scratch_store_b64 off, v[3:4], off offset:400
	s_wait_loadcnt 0x0
	ds_store_b64 v31, v[1:2]
.LBB57_261:
	s_wait_alu 0xfffe
	s_or_b32 exec_lo, exec_lo, s0
	s_wait_storecnt_dscnt 0x0
	s_barrier_signal -1
	s_barrier_wait -1
	global_inv scope:SCOPE_SE
	s_clause 0x4
	scratch_load_b128 v[2:5], off, off offset:408
	scratch_load_b128 v[6:9], off, off offset:424
	;; [unrolled: 1-line block ×3, first 2 shown]
	scratch_load_b64 v[26:27], off, off offset:456
	scratch_load_b64 v[28:29], off, off offset:400
	v_mov_b32_e32 v1, 0
	ds_load_2addr_b64 v[14:17], v1 offset0:109 offset1:110
	ds_load_2addr_b64 v[18:21], v1 offset0:111 offset1:112
	;; [unrolled: 1-line block ×3, first 2 shown]
	ds_load_b64 v[148:149], v1 offset:920
	s_mov_b32 s0, exec_lo
	s_wait_loadcnt_dscnt 0x403
	v_mul_f32_e32 v30, v14, v3
	s_wait_loadcnt_dscnt 0x302
	v_dual_mul_f32 v152, v20, v9 :: v_dual_mul_f32 v3, v15, v3
	v_dual_mul_f32 v150, v16, v5 :: v_dual_mul_f32 v151, v18, v7
	s_wait_loadcnt_dscnt 0x100
	v_dual_mul_f32 v155, v148, v27 :: v_dual_fmac_f32 v30, v15, v2
	v_mul_f32_e32 v5, v17, v5
	v_fma_f32 v3, v14, v2, -v3
	v_mul_f32_e32 v2, v19, v7
	v_dual_fmac_f32 v150, v17, v4 :: v_dual_fmac_f32 v151, v19, v6
	s_delay_alu instid0(VALU_DEP_4) | instskip(NEXT) | instid1(VALU_DEP_4)
	v_fma_f32 v4, v16, v4, -v5
	v_add_f32_e32 v3, 0, v3
	v_dual_add_f32 v5, 0, v30 :: v_dual_fmac_f32 v152, v21, v8
	v_fma_f32 v2, v18, v6, -v2
	v_dual_mul_f32 v153, v22, v11 :: v_dual_mul_f32 v154, v24, v13
	s_delay_alu instid0(VALU_DEP_3) | instskip(SKIP_1) | instid1(VALU_DEP_3)
	v_dual_add_f32 v3, v3, v4 :: v_dual_add_f32 v4, v5, v150
	v_mul_f32_e32 v7, v21, v9
	v_dual_fmac_f32 v153, v23, v10 :: v_dual_fmac_f32 v154, v25, v12
	s_delay_alu instid0(VALU_DEP_3) | instskip(NEXT) | instid1(VALU_DEP_3)
	v_dual_add_f32 v2, v3, v2 :: v_dual_add_f32 v3, v4, v151
	v_fma_f32 v6, v20, v8, -v7
	v_dual_mul_f32 v5, v23, v11 :: v_dual_mul_f32 v4, v25, v13
	s_delay_alu instid0(VALU_DEP_2) | instskip(NEXT) | instid1(VALU_DEP_2)
	v_add_f32_e32 v2, v2, v6
	v_fma_f32 v5, v22, v10, -v5
	v_dual_add_f32 v3, v3, v152 :: v_dual_mul_f32 v6, v149, v27
	s_delay_alu instid0(VALU_DEP_4) | instskip(NEXT) | instid1(VALU_DEP_3)
	v_fma_f32 v4, v24, v12, -v4
	v_add_f32_e32 v2, v2, v5
	s_delay_alu instid0(VALU_DEP_3) | instskip(NEXT) | instid1(VALU_DEP_4)
	v_add_f32_e32 v3, v3, v153
	v_fma_f32 v5, v148, v26, -v6
	s_delay_alu instid0(VALU_DEP_3) | instskip(NEXT) | instid1(VALU_DEP_1)
	v_dual_add_f32 v2, v2, v4 :: v_dual_fmac_f32 v155, v149, v26
	v_dual_add_f32 v3, v3, v154 :: v_dual_add_f32 v2, v2, v5
	s_wait_loadcnt 0x0
	s_delay_alu instid0(VALU_DEP_1) | instskip(NEXT) | instid1(VALU_DEP_1)
	v_dual_add_f32 v3, v3, v155 :: v_dual_sub_f32 v2, v28, v2
	v_sub_f32_e32 v3, v29, v3
	scratch_store_b64 off, v[2:3], off offset:400
	v_cmpx_lt_u32_e32 49, v0
	s_cbranch_execz .LBB57_263
; %bb.262:
	scratch_load_b64 v[3:4], off, off offset:392
	v_mov_b32_e32 v2, v1
	scratch_store_b64 off, v[1:2], off offset:392
	s_wait_loadcnt 0x0
	ds_store_b64 v31, v[3:4]
.LBB57_263:
	s_wait_alu 0xfffe
	s_or_b32 exec_lo, exec_lo, s0
	s_wait_storecnt_dscnt 0x0
	s_barrier_signal -1
	s_barrier_wait -1
	global_inv scope:SCOPE_SE
	s_clause 0x4
	scratch_load_b128 v[2:5], off, off offset:400
	scratch_load_b128 v[6:9], off, off offset:416
	;; [unrolled: 1-line block ×4, first 2 shown]
	scratch_load_b64 v[152:153], off, off offset:392
	ds_load_b128 v[18:21], v1 offset:864
	ds_load_b128 v[22:25], v1 offset:880
	ds_load_b128 v[26:29], v1 offset:896
	ds_load_b128 v[148:151], v1 offset:912
	s_mov_b32 s0, exec_lo
	s_wait_loadcnt_dscnt 0x403
	v_dual_mul_f32 v1, v18, v3 :: v_dual_mul_f32 v30, v20, v5
	v_mul_f32_e32 v3, v19, v3
	s_wait_loadcnt_dscnt 0x302
	v_dual_mul_f32 v5, v21, v5 :: v_dual_mul_f32 v154, v22, v7
	s_delay_alu instid0(VALU_DEP_3) | instskip(NEXT) | instid1(VALU_DEP_3)
	v_dual_mul_f32 v155, v24, v9 :: v_dual_fmac_f32 v30, v21, v4
	v_fma_f32 v3, v18, v2, -v3
	s_wait_loadcnt_dscnt 0x100
	v_dual_mul_f32 v158, v148, v15 :: v_dual_mul_f32 v159, v150, v17
	v_fmac_f32_e32 v1, v19, v2
	v_mul_f32_e32 v2, v23, v7
	v_fma_f32 v4, v20, v4, -v5
	v_dual_add_f32 v3, 0, v3 :: v_dual_fmac_f32 v154, v23, v6
	v_fmac_f32_e32 v158, v149, v14
	s_delay_alu instid0(VALU_DEP_4) | instskip(SKIP_1) | instid1(VALU_DEP_4)
	v_fma_f32 v2, v22, v6, -v2
	v_dual_mul_f32 v156, v26, v11 :: v_dual_mul_f32 v157, v28, v13
	v_add_f32_e32 v3, v3, v4
	v_dual_mul_f32 v5, v25, v9 :: v_dual_mul_f32 v4, v27, v11
	s_delay_alu instid0(VALU_DEP_3) | instskip(NEXT) | instid1(VALU_DEP_3)
	v_dual_fmac_f32 v155, v25, v8 :: v_dual_fmac_f32 v156, v27, v10
	v_add_f32_e32 v2, v3, v2
	s_delay_alu instid0(VALU_DEP_3) | instskip(SKIP_2) | instid1(VALU_DEP_3)
	v_fma_f32 v5, v24, v8, -v5
	v_mul_f32_e32 v3, v29, v13
	v_fma_f32 v4, v26, v10, -v4
	v_dual_fmac_f32 v159, v151, v16 :: v_dual_add_f32 v2, v2, v5
	v_add_f32_e32 v1, 0, v1
	v_mul_f32_e32 v5, v149, v15
	v_fma_f32 v3, v28, v12, -v3
	s_delay_alu instid0(VALU_DEP_3) | instskip(SKIP_1) | instid1(VALU_DEP_4)
	v_dual_add_f32 v2, v2, v4 :: v_dual_add_f32 v1, v1, v30
	v_dual_fmac_f32 v157, v29, v12 :: v_dual_mul_f32 v4, v151, v17
	v_fma_f32 v5, v148, v14, -v5
	s_delay_alu instid0(VALU_DEP_3) | instskip(NEXT) | instid1(VALU_DEP_3)
	v_dual_add_f32 v2, v2, v3 :: v_dual_add_f32 v1, v1, v154
	v_fma_f32 v3, v150, v16, -v4
	s_delay_alu instid0(VALU_DEP_2) | instskip(NEXT) | instid1(VALU_DEP_1)
	v_dual_add_f32 v2, v2, v5 :: v_dual_add_f32 v1, v1, v155
	v_dual_add_f32 v2, v2, v3 :: v_dual_add_f32 v1, v1, v156
	s_delay_alu instid0(VALU_DEP_1) | instskip(NEXT) | instid1(VALU_DEP_1)
	v_add_f32_e32 v1, v1, v157
	v_add_f32_e32 v1, v1, v158
	s_delay_alu instid0(VALU_DEP_1) | instskip(SKIP_1) | instid1(VALU_DEP_1)
	v_add_f32_e32 v3, v1, v159
	s_wait_loadcnt 0x0
	v_dual_sub_f32 v1, v152, v2 :: v_dual_sub_f32 v2, v153, v3
	scratch_store_b64 off, v[1:2], off offset:392
	v_cmpx_lt_u32_e32 48, v0
	s_cbranch_execz .LBB57_265
; %bb.264:
	scratch_load_b64 v[1:2], off, off offset:384
	v_mov_b32_e32 v3, 0
	s_delay_alu instid0(VALU_DEP_1)
	v_mov_b32_e32 v4, v3
	scratch_store_b64 off, v[3:4], off offset:384
	s_wait_loadcnt 0x0
	ds_store_b64 v31, v[1:2]
.LBB57_265:
	s_wait_alu 0xfffe
	s_or_b32 exec_lo, exec_lo, s0
	s_wait_storecnt_dscnt 0x0
	s_barrier_signal -1
	s_barrier_wait -1
	global_inv scope:SCOPE_SE
	s_clause 0x5
	scratch_load_b128 v[2:5], off, off offset:392
	scratch_load_b128 v[6:9], off, off offset:408
	;; [unrolled: 1-line block ×4, first 2 shown]
	scratch_load_b64 v[152:153], off, off offset:456
	scratch_load_b64 v[154:155], off, off offset:384
	v_mov_b32_e32 v1, 0
	ds_load_2addr_b64 v[18:21], v1 offset0:107 offset1:108
	ds_load_2addr_b64 v[22:25], v1 offset0:109 offset1:110
	;; [unrolled: 1-line block ×4, first 2 shown]
	ds_load_b64 v[156:157], v1 offset:920
	s_mov_b32 s0, exec_lo
	s_wait_loadcnt_dscnt 0x504
	v_mul_f32_e32 v30, v18, v3
	s_wait_loadcnt_dscnt 0x302
	v_dual_mul_f32 v3, v19, v3 :: v_dual_mul_f32 v162, v28, v13
	v_dual_mul_f32 v158, v20, v5 :: v_dual_mul_f32 v159, v22, v7
	s_wait_loadcnt_dscnt 0x100
	v_dual_mul_f32 v165, v156, v153 :: v_dual_fmac_f32 v30, v19, v2
	v_mul_f32_e32 v5, v21, v5
	v_fma_f32 v3, v18, v2, -v3
	v_dual_mul_f32 v160, v24, v9 :: v_dual_mul_f32 v161, v26, v11
	v_mul_f32_e32 v2, v23, v7
	s_delay_alu instid0(VALU_DEP_3) | instskip(SKIP_1) | instid1(VALU_DEP_4)
	v_dual_fmac_f32 v158, v21, v4 :: v_dual_add_f32 v3, 0, v3
	v_fma_f32 v4, v20, v4, -v5
	v_dual_add_f32 v5, 0, v30 :: v_dual_fmac_f32 v160, v25, v8
	s_delay_alu instid0(VALU_DEP_4) | instskip(SKIP_1) | instid1(VALU_DEP_3)
	v_fma_f32 v2, v22, v6, -v2
	v_fmac_f32_e32 v159, v23, v6
	v_dual_add_f32 v3, v3, v4 :: v_dual_add_f32 v4, v5, v158
	v_mul_f32_e32 v7, v25, v9
	v_dual_fmac_f32 v161, v27, v10 :: v_dual_fmac_f32 v162, v29, v12
	s_delay_alu instid0(VALU_DEP_3) | instskip(NEXT) | instid1(VALU_DEP_3)
	v_dual_add_f32 v2, v3, v2 :: v_dual_add_f32 v3, v4, v159
	v_fma_f32 v6, v24, v8, -v7
	v_dual_mul_f32 v5, v27, v11 :: v_dual_mul_f32 v4, v29, v13
	v_dual_mul_f32 v163, v148, v15 :: v_dual_mul_f32 v164, v150, v17
	s_delay_alu instid0(VALU_DEP_3) | instskip(NEXT) | instid1(VALU_DEP_3)
	v_add_f32_e32 v2, v2, v6
	v_fma_f32 v5, v26, v10, -v5
	v_dual_add_f32 v3, v3, v160 :: v_dual_mul_f32 v6, v149, v15
	v_fma_f32 v4, v28, v12, -v4
	v_dual_fmac_f32 v163, v149, v14 :: v_dual_fmac_f32 v164, v151, v16
	s_delay_alu instid0(VALU_DEP_4) | instskip(NEXT) | instid1(VALU_DEP_4)
	v_add_f32_e32 v2, v2, v5
	v_add_f32_e32 v3, v3, v161
	v_fma_f32 v6, v148, v14, -v6
	s_delay_alu instid0(VALU_DEP_3) | instskip(NEXT) | instid1(VALU_DEP_3)
	v_dual_add_f32 v2, v2, v4 :: v_dual_mul_f32 v5, v151, v17
	v_dual_add_f32 v3, v3, v162 :: v_dual_mul_f32 v4, v157, v153
	s_delay_alu instid0(VALU_DEP_2) | instskip(NEXT) | instid1(VALU_DEP_3)
	v_add_f32_e32 v2, v2, v6
	v_fma_f32 v5, v150, v16, -v5
	s_delay_alu instid0(VALU_DEP_3) | instskip(NEXT) | instid1(VALU_DEP_4)
	v_add_f32_e32 v3, v3, v163
	v_fma_f32 v4, v156, v152, -v4
	s_delay_alu instid0(VALU_DEP_2) | instskip(NEXT) | instid1(VALU_DEP_1)
	v_dual_add_f32 v2, v2, v5 :: v_dual_add_f32 v3, v3, v164
	v_add_f32_e32 v2, v2, v4
	s_wait_loadcnt 0x0
	s_delay_alu instid0(VALU_DEP_1) | instskip(NEXT) | instid1(VALU_DEP_1)
	v_dual_fmac_f32 v165, v157, v152 :: v_dual_sub_f32 v2, v154, v2
	v_add_f32_e32 v3, v3, v165
	s_delay_alu instid0(VALU_DEP_1)
	v_sub_f32_e32 v3, v155, v3
	scratch_store_b64 off, v[2:3], off offset:384
	v_cmpx_lt_u32_e32 47, v0
	s_cbranch_execz .LBB57_267
; %bb.266:
	scratch_load_b64 v[3:4], off, off offset:376
	v_mov_b32_e32 v2, v1
	scratch_store_b64 off, v[1:2], off offset:376
	s_wait_loadcnt 0x0
	ds_store_b64 v31, v[3:4]
.LBB57_267:
	s_wait_alu 0xfffe
	s_or_b32 exec_lo, exec_lo, s0
	s_wait_storecnt_dscnt 0x0
	s_barrier_signal -1
	s_barrier_wait -1
	global_inv scope:SCOPE_SE
	s_clause 0x5
	scratch_load_b128 v[2:5], off, off offset:384
	scratch_load_b128 v[6:9], off, off offset:400
	;; [unrolled: 1-line block ×5, first 2 shown]
	scratch_load_b64 v[160:161], off, off offset:376
	ds_load_b128 v[22:25], v1 offset:848
	ds_load_b128 v[26:29], v1 offset:864
	;; [unrolled: 1-line block ×5, first 2 shown]
	s_mov_b32 s0, exec_lo
	s_wait_loadcnt_dscnt 0x504
	v_dual_mul_f32 v1, v22, v3 :: v_dual_mul_f32 v30, v24, v5
	v_mul_f32_e32 v3, v23, v3
	s_wait_loadcnt_dscnt 0x403
	v_dual_mul_f32 v5, v25, v5 :: v_dual_mul_f32 v162, v26, v7
	s_delay_alu instid0(VALU_DEP_3) | instskip(NEXT) | instid1(VALU_DEP_3)
	v_dual_mul_f32 v163, v28, v9 :: v_dual_fmac_f32 v30, v25, v4
	v_fma_f32 v3, v22, v2, -v3
	v_fmac_f32_e32 v1, v23, v2
	v_mul_f32_e32 v2, v27, v7
	v_fma_f32 v4, v24, v4, -v5
	s_wait_loadcnt_dscnt 0x302
	v_dual_mul_f32 v164, v148, v11 :: v_dual_mul_f32 v165, v150, v13
	v_dual_add_f32 v3, 0, v3 :: v_dual_fmac_f32 v162, v27, v6
	v_fma_f32 v2, v26, v6, -v2
	s_delay_alu instid0(VALU_DEP_3)
	v_fmac_f32_e32 v164, v149, v10
	s_wait_loadcnt_dscnt 0x201
	v_dual_mul_f32 v166, v152, v15 :: v_dual_mul_f32 v167, v154, v17
	v_dual_add_f32 v3, v3, v4 :: v_dual_mul_f32 v4, v149, v11
	v_add_f32_e32 v1, 0, v1
	v_fmac_f32_e32 v163, v29, v8
	s_delay_alu instid0(VALU_DEP_4) | instskip(NEXT) | instid1(VALU_DEP_4)
	v_fmac_f32_e32 v166, v153, v14
	v_add_f32_e32 v2, v3, v2
	v_fma_f32 v4, v148, v10, -v4
	v_mul_f32_e32 v5, v29, v9
	s_wait_loadcnt_dscnt 0x100
	v_dual_mul_f32 v3, v151, v13 :: v_dual_mul_f32 v168, v156, v19
	v_mul_f32_e32 v169, v158, v21
	v_fmac_f32_e32 v165, v151, v12
	v_fma_f32 v5, v28, v8, -v5
	v_add_f32_e32 v1, v1, v30
	v_fma_f32 v3, v150, v12, -v3
	v_dual_fmac_f32 v168, v157, v18 :: v_dual_fmac_f32 v167, v155, v16
	s_delay_alu instid0(VALU_DEP_4) | instskip(NEXT) | instid1(VALU_DEP_1)
	v_dual_add_f32 v2, v2, v5 :: v_dual_fmac_f32 v169, v159, v20
	v_add_f32_e32 v2, v2, v4
	v_dual_mul_f32 v4, v155, v17 :: v_dual_add_f32 v1, v1, v162
	s_delay_alu instid0(VALU_DEP_2) | instskip(NEXT) | instid1(VALU_DEP_2)
	v_add_f32_e32 v2, v2, v3
	v_fma_f32 v4, v154, v16, -v4
	v_mul_f32_e32 v5, v153, v15
	v_mul_f32_e32 v3, v157, v19
	s_delay_alu instid0(VALU_DEP_2) | instskip(SKIP_1) | instid1(VALU_DEP_3)
	v_fma_f32 v5, v152, v14, -v5
	v_add_f32_e32 v1, v1, v163
	v_fma_f32 v3, v156, v18, -v3
	s_delay_alu instid0(VALU_DEP_3) | instskip(NEXT) | instid1(VALU_DEP_1)
	v_add_f32_e32 v2, v2, v5
	v_dual_mul_f32 v5, v159, v21 :: v_dual_add_f32 v2, v2, v4
	s_delay_alu instid0(VALU_DEP_4) | instskip(NEXT) | instid1(VALU_DEP_2)
	v_add_f32_e32 v1, v1, v164
	v_fma_f32 v4, v158, v20, -v5
	s_delay_alu instid0(VALU_DEP_2) | instskip(NEXT) | instid1(VALU_DEP_1)
	v_dual_add_f32 v2, v2, v3 :: v_dual_add_f32 v1, v1, v165
	v_dual_add_f32 v2, v2, v4 :: v_dual_add_f32 v1, v1, v166
	s_delay_alu instid0(VALU_DEP_1) | instskip(NEXT) | instid1(VALU_DEP_1)
	v_add_f32_e32 v1, v1, v167
	v_add_f32_e32 v1, v1, v168
	s_delay_alu instid0(VALU_DEP_1) | instskip(SKIP_1) | instid1(VALU_DEP_1)
	v_add_f32_e32 v3, v1, v169
	s_wait_loadcnt 0x0
	v_dual_sub_f32 v1, v160, v2 :: v_dual_sub_f32 v2, v161, v3
	scratch_store_b64 off, v[1:2], off offset:376
	v_cmpx_lt_u32_e32 46, v0
	s_cbranch_execz .LBB57_269
; %bb.268:
	scratch_load_b64 v[1:2], off, off offset:368
	v_mov_b32_e32 v3, 0
	s_delay_alu instid0(VALU_DEP_1)
	v_mov_b32_e32 v4, v3
	scratch_store_b64 off, v[3:4], off offset:368
	s_wait_loadcnt 0x0
	ds_store_b64 v31, v[1:2]
.LBB57_269:
	s_wait_alu 0xfffe
	s_or_b32 exec_lo, exec_lo, s0
	s_wait_storecnt_dscnt 0x0
	s_barrier_signal -1
	s_barrier_wait -1
	global_inv scope:SCOPE_SE
	s_clause 0x6
	scratch_load_b128 v[2:5], off, off offset:376
	scratch_load_b128 v[6:9], off, off offset:392
	;; [unrolled: 1-line block ×5, first 2 shown]
	scratch_load_b64 v[160:161], off, off offset:456
	scratch_load_b64 v[162:163], off, off offset:368
	v_mov_b32_e32 v1, 0
	ds_load_2addr_b64 v[22:25], v1 offset0:105 offset1:106
	ds_load_2addr_b64 v[26:29], v1 offset0:107 offset1:108
	;; [unrolled: 1-line block ×5, first 2 shown]
	ds_load_b64 v[164:165], v1 offset:920
	s_mov_b32 s0, exec_lo
	s_wait_loadcnt_dscnt 0x605
	v_mul_f32_e32 v30, v22, v3
	s_wait_loadcnt_dscnt 0x504
	v_dual_mul_f32 v168, v28, v9 :: v_dual_mul_f32 v3, v23, v3
	v_dual_mul_f32 v166, v24, v5 :: v_dual_mul_f32 v167, v26, v7
	s_wait_loadcnt_dscnt 0x100
	v_dual_mul_f32 v175, v164, v161 :: v_dual_fmac_f32 v30, v23, v2
	v_mul_f32_e32 v5, v25, v5
	v_fma_f32 v3, v22, v2, -v3
	v_mul_f32_e32 v2, v27, v7
	v_fmac_f32_e32 v166, v25, v4
	v_fmac_f32_e32 v168, v29, v8
	v_fma_f32 v4, v24, v4, -v5
	v_add_f32_e32 v3, 0, v3
	v_add_f32_e32 v5, 0, v30
	v_fma_f32 v2, v26, v6, -v2
	v_fmac_f32_e32 v167, v27, v6
	v_dual_mul_f32 v169, v148, v11 :: v_dual_mul_f32 v170, v150, v13
	s_delay_alu instid0(VALU_DEP_4) | instskip(SKIP_1) | instid1(VALU_DEP_3)
	v_dual_add_f32 v3, v3, v4 :: v_dual_add_f32 v4, v5, v166
	v_mul_f32_e32 v7, v29, v9
	v_dual_mul_f32 v5, v149, v11 :: v_dual_fmac_f32 v170, v151, v12
	s_delay_alu instid0(VALU_DEP_3) | instskip(SKIP_1) | instid1(VALU_DEP_4)
	v_dual_add_f32 v2, v3, v2 :: v_dual_mul_f32 v171, v152, v15
	v_mul_f32_e32 v172, v154, v17
	v_fma_f32 v6, v28, v8, -v7
	v_dual_mul_f32 v173, v156, v19 :: v_dual_mul_f32 v174, v158, v21
	s_delay_alu instid0(VALU_DEP_3) | instskip(NEXT) | instid1(VALU_DEP_3)
	v_dual_fmac_f32 v171, v153, v14 :: v_dual_fmac_f32 v172, v155, v16
	v_add_f32_e32 v2, v2, v6
	v_mul_f32_e32 v6, v153, v15
	v_dual_add_f32 v3, v4, v167 :: v_dual_mul_f32 v4, v151, v13
	v_fma_f32 v5, v148, v10, -v5
	v_fmac_f32_e32 v173, v157, v18
	s_delay_alu instid0(VALU_DEP_4) | instskip(NEXT) | instid1(VALU_DEP_4)
	v_fma_f32 v6, v152, v14, -v6
	v_add_f32_e32 v3, v3, v168
	s_delay_alu instid0(VALU_DEP_4) | instskip(SKIP_3) | instid1(VALU_DEP_3)
	v_dual_fmac_f32 v169, v149, v10 :: v_dual_add_f32 v2, v2, v5
	v_fma_f32 v4, v150, v12, -v4
	v_mul_f32_e32 v5, v155, v17
	v_fmac_f32_e32 v174, v159, v20
	v_dual_add_f32 v3, v3, v169 :: v_dual_add_f32 v2, v2, v4
	v_mul_f32_e32 v4, v157, v19
	s_delay_alu instid0(VALU_DEP_4) | instskip(NEXT) | instid1(VALU_DEP_3)
	v_fma_f32 v5, v154, v16, -v5
	v_add_f32_e32 v2, v2, v6
	s_delay_alu instid0(VALU_DEP_4) | instskip(SKIP_2) | instid1(VALU_DEP_3)
	v_add_f32_e32 v3, v3, v170
	v_mul_f32_e32 v6, v159, v21
	v_fma_f32 v4, v156, v18, -v4
	v_dual_add_f32 v2, v2, v5 :: v_dual_add_f32 v3, v3, v171
	v_mul_f32_e32 v5, v165, v161
	s_delay_alu instid0(VALU_DEP_4) | instskip(NEXT) | instid1(VALU_DEP_3)
	v_fma_f32 v6, v158, v20, -v6
	v_add_f32_e32 v2, v2, v4
	s_delay_alu instid0(VALU_DEP_4) | instskip(NEXT) | instid1(VALU_DEP_4)
	v_add_f32_e32 v3, v3, v172
	v_fma_f32 v4, v164, v160, -v5
	s_delay_alu instid0(VALU_DEP_2) | instskip(NEXT) | instid1(VALU_DEP_1)
	v_dual_add_f32 v2, v2, v6 :: v_dual_add_f32 v3, v3, v173
	v_dual_add_f32 v2, v2, v4 :: v_dual_add_f32 v3, v3, v174
	s_wait_loadcnt 0x0
	s_delay_alu instid0(VALU_DEP_1) | instskip(NEXT) | instid1(VALU_DEP_1)
	v_dual_fmac_f32 v175, v165, v160 :: v_dual_sub_f32 v2, v162, v2
	v_add_f32_e32 v3, v3, v175
	s_delay_alu instid0(VALU_DEP_1)
	v_sub_f32_e32 v3, v163, v3
	scratch_store_b64 off, v[2:3], off offset:368
	v_cmpx_lt_u32_e32 45, v0
	s_cbranch_execz .LBB57_271
; %bb.270:
	scratch_load_b64 v[3:4], off, off offset:360
	v_mov_b32_e32 v2, v1
	scratch_store_b64 off, v[1:2], off offset:360
	s_wait_loadcnt 0x0
	ds_store_b64 v31, v[3:4]
.LBB57_271:
	s_wait_alu 0xfffe
	s_or_b32 exec_lo, exec_lo, s0
	s_wait_storecnt_dscnt 0x0
	s_barrier_signal -1
	s_barrier_wait -1
	global_inv scope:SCOPE_SE
	s_clause 0x6
	scratch_load_b128 v[2:5], off, off offset:368
	scratch_load_b128 v[6:9], off, off offset:384
	;; [unrolled: 1-line block ×6, first 2 shown]
	scratch_load_b64 v[168:169], off, off offset:360
	ds_load_b128 v[26:29], v1 offset:832
	ds_load_b128 v[148:151], v1 offset:848
	;; [unrolled: 1-line block ×6, first 2 shown]
	s_mov_b32 s0, exec_lo
	s_wait_loadcnt_dscnt 0x605
	v_dual_mul_f32 v1, v26, v3 :: v_dual_mul_f32 v30, v28, v5
	v_mul_f32_e32 v3, v27, v3
	s_wait_loadcnt_dscnt 0x504
	v_dual_mul_f32 v170, v148, v7 :: v_dual_mul_f32 v171, v150, v9
	s_delay_alu instid0(VALU_DEP_3) | instskip(NEXT) | instid1(VALU_DEP_3)
	v_dual_fmac_f32 v1, v27, v2 :: v_dual_fmac_f32 v30, v29, v4
	v_fma_f32 v3, v26, v2, -v3
	v_mul_f32_e32 v2, v149, v7
	s_wait_loadcnt_dscnt 0x403
	v_dual_mul_f32 v172, v152, v11 :: v_dual_mul_f32 v173, v154, v13
	s_delay_alu instid0(VALU_DEP_3) | instskip(NEXT) | instid1(VALU_DEP_3)
	v_dual_fmac_f32 v170, v149, v6 :: v_dual_add_f32 v3, 0, v3
	v_fma_f32 v2, v148, v6, -v2
	v_mul_f32_e32 v5, v29, v5
	s_delay_alu instid0(VALU_DEP_4) | instskip(SKIP_2) | instid1(VALU_DEP_3)
	v_dual_fmac_f32 v172, v153, v10 :: v_dual_add_f32 v1, 0, v1
	s_wait_loadcnt_dscnt 0x201
	v_dual_mul_f32 v176, v160, v19 :: v_dual_mul_f32 v177, v162, v21
	v_fma_f32 v4, v28, v4, -v5
	v_dual_mul_f32 v5, v151, v9 :: v_dual_mul_f32 v174, v156, v15
	s_delay_alu instid0(VALU_DEP_3) | instskip(SKIP_1) | instid1(VALU_DEP_3)
	v_dual_mul_f32 v175, v158, v17 :: v_dual_fmac_f32 v176, v161, v18
	v_fmac_f32_e32 v171, v151, v8
	v_fma_f32 v5, v150, v8, -v5
	v_dual_add_f32 v3, v3, v4 :: v_dual_mul_f32 v4, v153, v11
	s_wait_loadcnt_dscnt 0x100
	v_dual_mul_f32 v178, v164, v23 :: v_dual_mul_f32 v179, v166, v25
	v_fmac_f32_e32 v174, v157, v14
	s_delay_alu instid0(VALU_DEP_3) | instskip(SKIP_3) | instid1(VALU_DEP_4)
	v_add_f32_e32 v2, v3, v2
	v_fma_f32 v4, v152, v10, -v4
	v_mul_f32_e32 v3, v155, v13
	v_fmac_f32_e32 v175, v159, v16
	v_dual_fmac_f32 v177, v163, v20 :: v_dual_add_f32 v2, v2, v5
	v_add_f32_e32 v1, v1, v30
	s_delay_alu instid0(VALU_DEP_4) | instskip(SKIP_1) | instid1(VALU_DEP_3)
	v_fma_f32 v3, v154, v12, -v3
	v_dual_fmac_f32 v179, v167, v24 :: v_dual_fmac_f32 v178, v165, v22
	v_dual_add_f32 v2, v2, v4 :: v_dual_add_f32 v1, v1, v170
	v_mul_f32_e32 v4, v159, v17
	s_delay_alu instid0(VALU_DEP_2) | instskip(NEXT) | instid1(VALU_DEP_2)
	v_dual_fmac_f32 v173, v155, v12 :: v_dual_add_f32 v2, v2, v3
	v_fma_f32 v4, v158, v16, -v4
	v_mul_f32_e32 v5, v157, v15
	s_delay_alu instid0(VALU_DEP_1) | instskip(NEXT) | instid1(VALU_DEP_1)
	v_fma_f32 v5, v156, v14, -v5
	v_dual_add_f32 v1, v1, v171 :: v_dual_add_f32 v2, v2, v5
	s_delay_alu instid0(VALU_DEP_1) | instskip(NEXT) | instid1(VALU_DEP_1)
	v_dual_mul_f32 v5, v163, v21 :: v_dual_add_f32 v2, v2, v4
	v_fma_f32 v5, v162, v20, -v5
	v_mul_f32_e32 v3, v161, v19
	v_mul_f32_e32 v4, v165, v23
	s_delay_alu instid0(VALU_DEP_2) | instskip(SKIP_1) | instid1(VALU_DEP_3)
	v_fma_f32 v3, v160, v18, -v3
	v_add_f32_e32 v1, v1, v172
	v_fma_f32 v4, v164, v22, -v4
	s_delay_alu instid0(VALU_DEP_3) | instskip(NEXT) | instid1(VALU_DEP_1)
	v_dual_add_f32 v2, v2, v3 :: v_dual_mul_f32 v3, v167, v25
	v_add_f32_e32 v2, v2, v5
	s_delay_alu instid0(VALU_DEP_4) | instskip(NEXT) | instid1(VALU_DEP_3)
	v_add_f32_e32 v1, v1, v173
	v_fma_f32 v3, v166, v24, -v3
	s_delay_alu instid0(VALU_DEP_2) | instskip(NEXT) | instid1(VALU_DEP_1)
	v_dual_add_f32 v2, v2, v4 :: v_dual_add_f32 v1, v1, v174
	v_add_f32_e32 v2, v2, v3
	s_delay_alu instid0(VALU_DEP_2) | instskip(NEXT) | instid1(VALU_DEP_1)
	v_add_f32_e32 v1, v1, v175
	v_add_f32_e32 v1, v1, v176
	s_delay_alu instid0(VALU_DEP_1) | instskip(NEXT) | instid1(VALU_DEP_1)
	v_add_f32_e32 v1, v1, v177
	v_add_f32_e32 v1, v1, v178
	s_delay_alu instid0(VALU_DEP_1) | instskip(SKIP_1) | instid1(VALU_DEP_1)
	v_add_f32_e32 v3, v1, v179
	s_wait_loadcnt 0x0
	v_dual_sub_f32 v1, v168, v2 :: v_dual_sub_f32 v2, v169, v3
	scratch_store_b64 off, v[1:2], off offset:360
	v_cmpx_lt_u32_e32 44, v0
	s_cbranch_execz .LBB57_273
; %bb.272:
	scratch_load_b64 v[1:2], off, off offset:352
	v_mov_b32_e32 v3, 0
	s_delay_alu instid0(VALU_DEP_1)
	v_mov_b32_e32 v4, v3
	scratch_store_b64 off, v[3:4], off offset:352
	s_wait_loadcnt 0x0
	ds_store_b64 v31, v[1:2]
.LBB57_273:
	s_wait_alu 0xfffe
	s_or_b32 exec_lo, exec_lo, s0
	s_wait_storecnt_dscnt 0x0
	s_barrier_signal -1
	s_barrier_wait -1
	global_inv scope:SCOPE_SE
	s_clause 0x7
	scratch_load_b128 v[2:5], off, off offset:360
	scratch_load_b128 v[6:9], off, off offset:376
	;; [unrolled: 1-line block ×6, first 2 shown]
	scratch_load_b64 v[168:169], off, off offset:456
	scratch_load_b64 v[170:171], off, off offset:352
	v_mov_b32_e32 v1, 0
	ds_load_2addr_b64 v[26:29], v1 offset0:103 offset1:104
	ds_load_2addr_b64 v[148:151], v1 offset0:105 offset1:106
	;; [unrolled: 1-line block ×6, first 2 shown]
	ds_load_b64 v[172:173], v1 offset:920
	s_mov_b32 s0, exec_lo
	s_wait_loadcnt_dscnt 0x706
	v_mul_f32_e32 v30, v26, v3
	v_dual_mul_f32 v174, v28, v5 :: v_dual_mul_f32 v3, v27, v3
	s_wait_loadcnt_dscnt 0x605
	v_dual_mul_f32 v175, v148, v7 :: v_dual_mul_f32 v176, v150, v9
	v_mul_f32_e32 v5, v29, v5
	s_wait_loadcnt_dscnt 0x100
	v_dual_mul_f32 v185, v172, v169 :: v_dual_fmac_f32 v30, v27, v2
	v_fma_f32 v3, v26, v2, -v3
	v_mul_f32_e32 v2, v149, v7
	v_fmac_f32_e32 v174, v29, v4
	v_fmac_f32_e32 v176, v151, v8
	v_fma_f32 v4, v28, v4, -v5
	v_add_f32_e32 v3, 0, v3
	v_add_f32_e32 v5, 0, v30
	v_mul_f32_e32 v7, v151, v9
	v_fma_f32 v2, v148, v6, -v2
	v_fmac_f32_e32 v175, v149, v6
	s_delay_alu instid0(VALU_DEP_4) | instskip(SKIP_3) | instid1(VALU_DEP_4)
	v_dual_add_f32 v3, v3, v4 :: v_dual_add_f32 v4, v5, v174
	v_mul_f32_e32 v5, v153, v11
	v_fma_f32 v6, v150, v8, -v7
	v_dual_mul_f32 v177, v152, v11 :: v_dual_mul_f32 v178, v154, v13
	v_dual_add_f32 v2, v3, v2 :: v_dual_add_f32 v3, v4, v175
	v_mul_f32_e32 v4, v155, v13
	v_fma_f32 v5, v152, v10, -v5
	s_delay_alu instid0(VALU_DEP_4) | instskip(NEXT) | instid1(VALU_DEP_4)
	v_fmac_f32_e32 v178, v155, v12
	v_add_f32_e32 v2, v2, v6
	v_fmac_f32_e32 v177, v153, v10
	v_dual_add_f32 v3, v3, v176 :: v_dual_mul_f32 v6, v157, v15
	v_fma_f32 v4, v154, v12, -v4
	s_delay_alu instid0(VALU_DEP_4) | instskip(SKIP_1) | instid1(VALU_DEP_4)
	v_dual_add_f32 v2, v2, v5 :: v_dual_mul_f32 v179, v156, v15
	v_mul_f32_e32 v180, v158, v17
	v_add_f32_e32 v3, v3, v177
	v_mul_f32_e32 v5, v159, v17
	v_fma_f32 v6, v156, v14, -v6
	v_dual_add_f32 v2, v2, v4 :: v_dual_fmac_f32 v179, v157, v14
	v_fmac_f32_e32 v180, v159, v16
	v_mul_f32_e32 v4, v161, v19
	v_fma_f32 v5, v158, v16, -v5
	s_delay_alu instid0(VALU_DEP_4) | instskip(SKIP_4) | instid1(VALU_DEP_4)
	v_add_f32_e32 v2, v2, v6
	v_add_f32_e32 v3, v3, v178
	v_dual_mul_f32 v181, v160, v19 :: v_dual_mul_f32 v182, v162, v21
	v_mul_f32_e32 v6, v163, v21
	v_fma_f32 v4, v160, v18, -v4
	v_dual_add_f32 v2, v2, v5 :: v_dual_add_f32 v3, v3, v179
	s_delay_alu instid0(VALU_DEP_4) | instskip(NEXT) | instid1(VALU_DEP_4)
	v_fmac_f32_e32 v181, v161, v18
	v_fma_f32 v6, v162, v20, -v6
	v_dual_mul_f32 v183, v164, v23 :: v_dual_mul_f32 v184, v166, v25
	s_delay_alu instid0(VALU_DEP_4) | instskip(SKIP_2) | instid1(VALU_DEP_4)
	v_add_f32_e32 v2, v2, v4
	v_add_f32_e32 v3, v3, v180
	v_dual_mul_f32 v5, v165, v23 :: v_dual_fmac_f32 v182, v163, v20
	v_dual_mul_f32 v4, v167, v25 :: v_dual_fmac_f32 v183, v165, v22
	s_delay_alu instid0(VALU_DEP_3) | instskip(NEXT) | instid1(VALU_DEP_3)
	v_dual_add_f32 v2, v2, v6 :: v_dual_add_f32 v3, v3, v181
	v_fma_f32 v5, v164, v22, -v5
	v_mul_f32_e32 v6, v173, v169
	v_fmac_f32_e32 v184, v167, v24
	v_fma_f32 v4, v166, v24, -v4
	s_delay_alu instid0(VALU_DEP_4) | instskip(NEXT) | instid1(VALU_DEP_4)
	v_dual_add_f32 v3, v3, v182 :: v_dual_add_f32 v2, v2, v5
	v_fma_f32 v5, v172, v168, -v6
	s_delay_alu instid0(VALU_DEP_2) | instskip(NEXT) | instid1(VALU_DEP_1)
	v_add_f32_e32 v3, v3, v183
	v_add_f32_e32 v3, v3, v184
	s_delay_alu instid0(VALU_DEP_4) | instskip(NEXT) | instid1(VALU_DEP_1)
	v_add_f32_e32 v2, v2, v4
	v_dual_fmac_f32 v185, v173, v168 :: v_dual_add_f32 v2, v2, v5
	s_wait_loadcnt 0x0
	s_delay_alu instid0(VALU_DEP_1) | instskip(NEXT) | instid1(VALU_DEP_1)
	v_dual_sub_f32 v2, v170, v2 :: v_dual_add_f32 v3, v3, v185
	v_sub_f32_e32 v3, v171, v3
	scratch_store_b64 off, v[2:3], off offset:352
	v_cmpx_lt_u32_e32 43, v0
	s_cbranch_execz .LBB57_275
; %bb.274:
	scratch_load_b64 v[3:4], off, off offset:344
	v_mov_b32_e32 v2, v1
	scratch_store_b64 off, v[1:2], off offset:344
	s_wait_loadcnt 0x0
	ds_store_b64 v31, v[3:4]
.LBB57_275:
	s_wait_alu 0xfffe
	s_or_b32 exec_lo, exec_lo, s0
	s_wait_storecnt_dscnt 0x0
	s_barrier_signal -1
	s_barrier_wait -1
	global_inv scope:SCOPE_SE
	s_clause 0x7
	scratch_load_b128 v[2:5], off, off offset:352
	scratch_load_b128 v[6:9], off, off offset:368
	;; [unrolled: 1-line block ×7, first 2 shown]
	scratch_load_b64 v[176:177], off, off offset:344
	ds_load_b128 v[148:151], v1 offset:816
	ds_load_b128 v[152:155], v1 offset:832
	;; [unrolled: 1-line block ×7, first 2 shown]
	s_mov_b32 s0, exec_lo
	s_wait_loadcnt_dscnt 0x706
	v_dual_mul_f32 v1, v148, v3 :: v_dual_mul_f32 v30, v150, v5
	v_mul_f32_e32 v3, v149, v3
	s_wait_loadcnt_dscnt 0x605
	v_dual_mul_f32 v5, v151, v5 :: v_dual_mul_f32 v178, v152, v7
	s_delay_alu instid0(VALU_DEP_3) | instskip(NEXT) | instid1(VALU_DEP_3)
	v_dual_mul_f32 v179, v154, v9 :: v_dual_fmac_f32 v30, v151, v4
	v_fma_f32 v3, v148, v2, -v3
	v_fmac_f32_e32 v1, v149, v2
	v_mul_f32_e32 v2, v153, v7
	v_fma_f32 v4, v150, v4, -v5
	s_wait_loadcnt_dscnt 0x504
	v_dual_mul_f32 v180, v156, v11 :: v_dual_mul_f32 v181, v158, v13
	v_dual_add_f32 v3, 0, v3 :: v_dual_fmac_f32 v178, v153, v6
	s_wait_loadcnt_dscnt 0x403
	v_dual_mul_f32 v182, v160, v15 :: v_dual_mul_f32 v183, v162, v17
	s_delay_alu instid0(VALU_DEP_3) | instskip(SKIP_1) | instid1(VALU_DEP_3)
	v_dual_mul_f32 v5, v155, v9 :: v_dual_fmac_f32 v180, v157, v10
	v_fma_f32 v2, v152, v6, -v2
	v_dual_add_f32 v3, v3, v4 :: v_dual_fmac_f32 v182, v161, v14
	s_delay_alu instid0(VALU_DEP_3)
	v_fma_f32 v5, v154, v8, -v5
	v_mul_f32_e32 v4, v157, v11
	s_wait_loadcnt_dscnt 0x302
	v_dual_mul_f32 v184, v164, v19 :: v_dual_mul_f32 v185, v166, v21
	v_add_f32_e32 v2, v3, v2
	v_mul_f32_e32 v3, v159, v13
	v_fma_f32 v4, v156, v10, -v4
	s_delay_alu instid0(VALU_DEP_4)
	v_fmac_f32_e32 v184, v165, v18
	s_wait_loadcnt_dscnt 0x201
	v_dual_mul_f32 v186, v168, v23 :: v_dual_mul_f32 v187, v170, v25
	v_add_f32_e32 v2, v2, v5
	v_add_f32_e32 v1, 0, v1
	v_fma_f32 v3, v158, v12, -v3
	s_wait_loadcnt_dscnt 0x100
	v_dual_fmac_f32 v183, v163, v16 :: v_dual_mul_f32 v188, v172, v27
	v_mul_f32_e32 v189, v174, v29
	v_dual_add_f32 v1, v1, v30 :: v_dual_add_f32 v2, v2, v4
	v_mul_f32_e32 v4, v163, v17
	v_fmac_f32_e32 v179, v155, v8
	v_dual_fmac_f32 v185, v167, v20 :: v_dual_fmac_f32 v188, v173, v26
	s_delay_alu instid0(VALU_DEP_4) | instskip(NEXT) | instid1(VALU_DEP_4)
	v_add_f32_e32 v1, v1, v178
	v_fma_f32 v4, v162, v16, -v4
	v_mul_f32_e32 v5, v161, v15
	v_add_f32_e32 v2, v2, v3
	v_fmac_f32_e32 v186, v169, v22
	v_add_f32_e32 v1, v1, v179
	v_fmac_f32_e32 v189, v175, v28
	v_fma_f32 v5, v160, v14, -v5
	s_delay_alu instid0(VALU_DEP_1) | instskip(NEXT) | instid1(VALU_DEP_1)
	v_dual_fmac_f32 v181, v159, v12 :: v_dual_add_f32 v2, v2, v5
	v_dual_mul_f32 v5, v167, v21 :: v_dual_add_f32 v2, v2, v4
	s_delay_alu instid0(VALU_DEP_1) | instskip(SKIP_2) | instid1(VALU_DEP_2)
	v_fma_f32 v5, v166, v20, -v5
	v_mul_f32_e32 v3, v165, v19
	v_mul_f32_e32 v4, v169, v23
	v_fma_f32 v3, v164, v18, -v3
	v_add_f32_e32 v1, v1, v180
	s_delay_alu instid0(VALU_DEP_3) | instskip(NEXT) | instid1(VALU_DEP_3)
	v_fma_f32 v4, v168, v22, -v4
	v_dual_add_f32 v2, v2, v3 :: v_dual_mul_f32 v3, v171, v25
	s_delay_alu instid0(VALU_DEP_1) | instskip(NEXT) | instid1(VALU_DEP_4)
	v_add_f32_e32 v2, v2, v5
	v_add_f32_e32 v1, v1, v181
	v_mul_f32_e32 v5, v173, v27
	s_delay_alu instid0(VALU_DEP_4) | instskip(NEXT) | instid1(VALU_DEP_3)
	v_fma_f32 v3, v170, v24, -v3
	v_dual_add_f32 v2, v2, v4 :: v_dual_add_f32 v1, v1, v182
	v_mul_f32_e32 v4, v175, v29
	v_fmac_f32_e32 v187, v171, v24
	v_fma_f32 v5, v172, v26, -v5
	s_delay_alu instid0(VALU_DEP_4) | instskip(SKIP_2) | instid1(VALU_DEP_2)
	v_add_f32_e32 v2, v2, v3
	v_add_f32_e32 v1, v1, v183
	v_fma_f32 v3, v174, v28, -v4
	v_dual_add_f32 v2, v2, v5 :: v_dual_add_f32 v1, v1, v184
	s_delay_alu instid0(VALU_DEP_1) | instskip(NEXT) | instid1(VALU_DEP_1)
	v_dual_add_f32 v2, v2, v3 :: v_dual_add_f32 v1, v1, v185
	v_add_f32_e32 v1, v1, v186
	s_delay_alu instid0(VALU_DEP_1) | instskip(NEXT) | instid1(VALU_DEP_1)
	v_add_f32_e32 v1, v1, v187
	v_add_f32_e32 v1, v1, v188
	s_delay_alu instid0(VALU_DEP_1) | instskip(SKIP_1) | instid1(VALU_DEP_1)
	v_add_f32_e32 v3, v1, v189
	s_wait_loadcnt 0x0
	v_dual_sub_f32 v1, v176, v2 :: v_dual_sub_f32 v2, v177, v3
	scratch_store_b64 off, v[1:2], off offset:344
	v_cmpx_lt_u32_e32 42, v0
	s_cbranch_execz .LBB57_277
; %bb.276:
	scratch_load_b64 v[1:2], off, off offset:336
	v_mov_b32_e32 v3, 0
	s_delay_alu instid0(VALU_DEP_1)
	v_mov_b32_e32 v4, v3
	scratch_store_b64 off, v[3:4], off offset:336
	s_wait_loadcnt 0x0
	ds_store_b64 v31, v[1:2]
.LBB57_277:
	s_wait_alu 0xfffe
	s_or_b32 exec_lo, exec_lo, s0
	s_wait_storecnt_dscnt 0x0
	s_barrier_signal -1
	s_barrier_wait -1
	global_inv scope:SCOPE_SE
	s_clause 0x8
	scratch_load_b128 v[2:5], off, off offset:344
	scratch_load_b128 v[6:9], off, off offset:360
	;; [unrolled: 1-line block ×7, first 2 shown]
	scratch_load_b64 v[176:177], off, off offset:456
	scratch_load_b64 v[178:179], off, off offset:336
	v_mov_b32_e32 v1, 0
	ds_load_2addr_b64 v[148:151], v1 offset0:101 offset1:102
	ds_load_2addr_b64 v[152:155], v1 offset0:103 offset1:104
	;; [unrolled: 1-line block ×7, first 2 shown]
	ds_load_b64 v[180:181], v1 offset:920
	s_mov_b32 s0, exec_lo
	s_wait_loadcnt_dscnt 0x807
	v_mul_f32_e32 v30, v148, v3
	v_dual_mul_f32 v3, v149, v3 :: v_dual_mul_f32 v182, v150, v5
	s_wait_loadcnt_dscnt 0x706
	v_mul_f32_e32 v183, v152, v7
	v_mul_f32_e32 v5, v151, v5
	s_wait_loadcnt_dscnt 0x302
	v_mul_f32_e32 v192, v170, v25
	v_fma_f32 v3, v148, v2, -v3
	v_dual_mul_f32 v184, v154, v9 :: v_dual_mul_f32 v185, v156, v11
	s_wait_loadcnt_dscnt 0x100
	v_dual_mul_f32 v195, v180, v177 :: v_dual_fmac_f32 v30, v149, v2
	v_mul_f32_e32 v2, v153, v7
	v_dual_fmac_f32 v182, v151, v4 :: v_dual_add_f32 v3, 0, v3
	v_fma_f32 v4, v150, v4, -v5
	s_delay_alu instid0(VALU_DEP_4) | instskip(SKIP_2) | instid1(VALU_DEP_4)
	v_dual_add_f32 v5, 0, v30 :: v_dual_fmac_f32 v184, v155, v8
	v_mul_f32_e32 v7, v155, v9
	v_fma_f32 v2, v152, v6, -v2
	v_add_f32_e32 v3, v3, v4
	v_fmac_f32_e32 v183, v153, v6
	v_add_f32_e32 v4, v5, v182
	v_mul_f32_e32 v5, v157, v11
	v_fma_f32 v6, v154, v8, -v7
	v_add_f32_e32 v2, v3, v2
	v_dual_mul_f32 v186, v158, v13 :: v_dual_mul_f32 v187, v160, v15
	v_dual_add_f32 v3, v4, v183 :: v_dual_mul_f32 v4, v159, v13
	v_fma_f32 v5, v156, v10, -v5
	s_delay_alu instid0(VALU_DEP_4)
	v_add_f32_e32 v2, v2, v6
	v_fmac_f32_e32 v185, v157, v10
	v_mul_f32_e32 v6, v161, v15
	v_fmac_f32_e32 v186, v159, v12
	v_add_f32_e32 v3, v3, v184
	v_fma_f32 v4, v158, v12, -v4
	v_add_f32_e32 v2, v2, v5
	v_dual_mul_f32 v188, v162, v17 :: v_dual_mul_f32 v189, v164, v19
	s_delay_alu instid0(VALU_DEP_4)
	v_add_f32_e32 v3, v3, v185
	v_mul_f32_e32 v5, v163, v17
	v_fma_f32 v6, v160, v14, -v6
	v_dual_add_f32 v2, v2, v4 :: v_dual_fmac_f32 v187, v161, v14
	v_fmac_f32_e32 v188, v163, v16
	v_mul_f32_e32 v4, v165, v19
	v_fma_f32 v5, v162, v16, -v5
	s_delay_alu instid0(VALU_DEP_4) | instskip(SKIP_3) | instid1(VALU_DEP_3)
	v_add_f32_e32 v2, v2, v6
	v_add_f32_e32 v3, v3, v186
	v_dual_mul_f32 v6, v167, v21 :: v_dual_fmac_f32 v189, v165, v18
	v_fma_f32 v4, v164, v18, -v4
	v_dual_add_f32 v2, v2, v5 :: v_dual_add_f32 v3, v3, v187
	v_dual_mul_f32 v190, v166, v21 :: v_dual_mul_f32 v191, v168, v23
	s_delay_alu instid0(VALU_DEP_4) | instskip(NEXT) | instid1(VALU_DEP_3)
	v_fma_f32 v6, v166, v20, -v6
	v_add_f32_e32 v2, v2, v4
	s_delay_alu instid0(VALU_DEP_4) | instskip(NEXT) | instid1(VALU_DEP_4)
	v_add_f32_e32 v3, v3, v188
	v_dual_mul_f32 v5, v169, v23 :: v_dual_fmac_f32 v190, v167, v20
	v_dual_mul_f32 v4, v171, v25 :: v_dual_fmac_f32 v191, v169, v22
	s_delay_alu instid0(VALU_DEP_3) | instskip(NEXT) | instid1(VALU_DEP_3)
	v_dual_add_f32 v2, v2, v6 :: v_dual_add_f32 v3, v3, v189
	v_fma_f32 v5, v168, v22, -v5
	v_dual_mul_f32 v193, v172, v27 :: v_dual_mul_f32 v194, v174, v29
	s_delay_alu instid0(VALU_DEP_3) | instskip(NEXT) | instid1(VALU_DEP_2)
	v_dual_mul_f32 v6, v173, v27 :: v_dual_add_f32 v3, v3, v190
	v_dual_fmac_f32 v192, v171, v24 :: v_dual_fmac_f32 v193, v173, v26
	v_fma_f32 v4, v170, v24, -v4
	s_delay_alu instid0(VALU_DEP_3) | instskip(SKIP_3) | instid1(VALU_DEP_4)
	v_dual_add_f32 v2, v2, v5 :: v_dual_add_f32 v3, v3, v191
	v_mul_f32_e32 v5, v175, v29
	v_fma_f32 v6, v172, v26, -v6
	v_fmac_f32_e32 v194, v175, v28
	v_add_f32_e32 v2, v2, v4
	v_dual_add_f32 v3, v3, v192 :: v_dual_mul_f32 v4, v181, v177
	v_fma_f32 v5, v174, v28, -v5
	s_delay_alu instid0(VALU_DEP_2) | instskip(SKIP_1) | instid1(VALU_DEP_4)
	v_dual_add_f32 v2, v2, v6 :: v_dual_add_f32 v3, v3, v193
	v_fmac_f32_e32 v195, v181, v176
	v_fma_f32 v4, v180, v176, -v4
	s_delay_alu instid0(VALU_DEP_3) | instskip(NEXT) | instid1(VALU_DEP_1)
	v_dual_add_f32 v2, v2, v5 :: v_dual_add_f32 v3, v3, v194
	v_dual_add_f32 v2, v2, v4 :: v_dual_add_f32 v3, v3, v195
	s_wait_loadcnt 0x0
	s_delay_alu instid0(VALU_DEP_1)
	v_dual_sub_f32 v2, v178, v2 :: v_dual_sub_f32 v3, v179, v3
	scratch_store_b64 off, v[2:3], off offset:336
	v_cmpx_lt_u32_e32 41, v0
	s_cbranch_execz .LBB57_279
; %bb.278:
	scratch_load_b64 v[3:4], off, off offset:328
	v_mov_b32_e32 v2, v1
	scratch_store_b64 off, v[1:2], off offset:328
	s_wait_loadcnt 0x0
	ds_store_b64 v31, v[3:4]
.LBB57_279:
	s_wait_alu 0xfffe
	s_or_b32 exec_lo, exec_lo, s0
	s_wait_storecnt_dscnt 0x0
	s_barrier_signal -1
	s_barrier_wait -1
	global_inv scope:SCOPE_SE
	s_clause 0x8
	scratch_load_b128 v[2:5], off, off offset:336
	scratch_load_b128 v[6:9], off, off offset:352
	;; [unrolled: 1-line block ×8, first 2 shown]
	scratch_load_b64 v[184:185], off, off offset:328
	ds_load_b128 v[152:155], v1 offset:800
	ds_load_b128 v[156:159], v1 offset:816
	;; [unrolled: 1-line block ×8, first 2 shown]
	s_mov_b32 s0, exec_lo
	s_wait_loadcnt_dscnt 0x807
	v_dual_mul_f32 v1, v152, v3 :: v_dual_mul_f32 v30, v154, v5
	v_mul_f32_e32 v3, v153, v3
	s_wait_loadcnt_dscnt 0x706
	v_dual_mul_f32 v5, v155, v5 :: v_dual_mul_f32 v186, v156, v7
	v_mul_f32_e32 v187, v158, v9
	s_wait_loadcnt_dscnt 0x100
	v_dual_fmac_f32 v1, v153, v2 :: v_dual_mul_f32 v198, v180, v149
	v_fma_f32 v3, v152, v2, -v3
	v_dual_mul_f32 v199, v182, v151 :: v_dual_fmac_f32 v30, v155, v4
	v_mul_f32_e32 v2, v157, v7
	v_fma_f32 v4, v154, v4, -v5
	s_delay_alu instid0(VALU_DEP_4) | instskip(SKIP_2) | instid1(VALU_DEP_2)
	v_dual_add_f32 v3, 0, v3 :: v_dual_fmac_f32 v186, v157, v6
	v_dual_mul_f32 v188, v160, v11 :: v_dual_mul_f32 v189, v162, v13
	v_dual_mul_f32 v190, v164, v15 :: v_dual_mul_f32 v191, v166, v17
	v_dual_mul_f32 v5, v159, v9 :: v_dual_fmac_f32 v188, v161, v10
	v_fma_f32 v2, v156, v6, -v2
	s_delay_alu instid0(VALU_DEP_3) | instskip(NEXT) | instid1(VALU_DEP_3)
	v_dual_add_f32 v3, v3, v4 :: v_dual_fmac_f32 v190, v165, v14
	v_fma_f32 v5, v158, v8, -v5
	v_mul_f32_e32 v4, v161, v11
	v_dual_mul_f32 v192, v168, v19 :: v_dual_mul_f32 v193, v170, v21
	s_delay_alu instid0(VALU_DEP_4) | instskip(SKIP_1) | instid1(VALU_DEP_4)
	v_add_f32_e32 v2, v3, v2
	v_mul_f32_e32 v3, v163, v13
	v_fma_f32 v4, v160, v10, -v4
	s_delay_alu instid0(VALU_DEP_4)
	v_fmac_f32_e32 v192, v169, v18
	v_dual_mul_f32 v194, v172, v23 :: v_dual_mul_f32 v195, v174, v25
	v_add_f32_e32 v2, v2, v5
	v_add_f32_e32 v1, 0, v1
	v_fma_f32 v3, v162, v12, -v3
	v_dual_fmac_f32 v191, v167, v16 :: v_dual_mul_f32 v196, v176, v27
	v_mul_f32_e32 v197, v178, v29
	s_delay_alu instid0(VALU_DEP_4) | instskip(SKIP_3) | instid1(VALU_DEP_4)
	v_dual_add_f32 v1, v1, v30 :: v_dual_add_f32 v2, v2, v4
	v_mul_f32_e32 v4, v167, v17
	v_fmac_f32_e32 v187, v159, v8
	v_dual_fmac_f32 v193, v171, v20 :: v_dual_fmac_f32 v196, v177, v26
	v_add_f32_e32 v1, v1, v186
	s_delay_alu instid0(VALU_DEP_4)
	v_fma_f32 v4, v166, v16, -v4
	v_mul_f32_e32 v5, v165, v15
	v_add_f32_e32 v2, v2, v3
	v_fmac_f32_e32 v194, v173, v22
	v_add_f32_e32 v1, v1, v187
	v_fmac_f32_e32 v197, v179, v28
	v_fma_f32 v5, v164, v14, -v5
	v_fmac_f32_e32 v189, v163, v12
	v_dual_fmac_f32 v199, v183, v150 :: v_dual_fmac_f32 v198, v181, v148
	s_delay_alu instid0(VALU_DEP_3) | instskip(NEXT) | instid1(VALU_DEP_1)
	v_add_f32_e32 v2, v2, v5
	v_dual_mul_f32 v5, v171, v21 :: v_dual_add_f32 v2, v2, v4
	s_delay_alu instid0(VALU_DEP_1) | instskip(SKIP_2) | instid1(VALU_DEP_2)
	v_fma_f32 v5, v170, v20, -v5
	v_mul_f32_e32 v3, v169, v19
	v_mul_f32_e32 v4, v173, v23
	v_fma_f32 v3, v168, v18, -v3
	v_add_f32_e32 v1, v1, v188
	s_delay_alu instid0(VALU_DEP_3) | instskip(NEXT) | instid1(VALU_DEP_3)
	v_fma_f32 v4, v172, v22, -v4
	v_dual_add_f32 v2, v2, v3 :: v_dual_mul_f32 v3, v175, v25
	s_delay_alu instid0(VALU_DEP_1) | instskip(NEXT) | instid1(VALU_DEP_4)
	v_add_f32_e32 v2, v2, v5
	v_add_f32_e32 v1, v1, v189
	s_delay_alu instid0(VALU_DEP_3) | instskip(NEXT) | instid1(VALU_DEP_2)
	v_fma_f32 v3, v174, v24, -v3
	v_dual_add_f32 v2, v2, v4 :: v_dual_add_f32 v1, v1, v190
	v_mul_f32_e32 v4, v179, v29
	s_delay_alu instid0(VALU_DEP_2) | instskip(SKIP_1) | instid1(VALU_DEP_3)
	v_dual_fmac_f32 v195, v175, v24 :: v_dual_add_f32 v2, v2, v3
	v_mul_f32_e32 v3, v181, v149
	v_fma_f32 v4, v178, v28, -v4
	v_mul_f32_e32 v5, v177, v27
	s_delay_alu instid0(VALU_DEP_3) | instskip(NEXT) | instid1(VALU_DEP_2)
	v_fma_f32 v3, v180, v148, -v3
	v_fma_f32 v5, v176, v26, -v5
	s_delay_alu instid0(VALU_DEP_1) | instskip(NEXT) | instid1(VALU_DEP_1)
	v_dual_add_f32 v1, v1, v191 :: v_dual_add_f32 v2, v2, v5
	v_dual_mul_f32 v5, v183, v151 :: v_dual_add_f32 v2, v2, v4
	s_delay_alu instid0(VALU_DEP_2) | instskip(NEXT) | instid1(VALU_DEP_2)
	v_add_f32_e32 v1, v1, v192
	v_fma_f32 v4, v182, v150, -v5
	s_delay_alu instid0(VALU_DEP_2) | instskip(NEXT) | instid1(VALU_DEP_1)
	v_dual_add_f32 v2, v2, v3 :: v_dual_add_f32 v1, v1, v193
	v_dual_add_f32 v2, v2, v4 :: v_dual_add_f32 v1, v1, v194
	s_delay_alu instid0(VALU_DEP_1) | instskip(NEXT) | instid1(VALU_DEP_1)
	v_add_f32_e32 v1, v1, v195
	v_add_f32_e32 v1, v1, v196
	s_delay_alu instid0(VALU_DEP_1) | instskip(NEXT) | instid1(VALU_DEP_1)
	v_add_f32_e32 v1, v1, v197
	v_add_f32_e32 v1, v1, v198
	s_delay_alu instid0(VALU_DEP_1) | instskip(SKIP_1) | instid1(VALU_DEP_1)
	v_add_f32_e32 v3, v1, v199
	s_wait_loadcnt 0x0
	v_dual_sub_f32 v1, v184, v2 :: v_dual_sub_f32 v2, v185, v3
	scratch_store_b64 off, v[1:2], off offset:328
	v_cmpx_lt_u32_e32 40, v0
	s_cbranch_execz .LBB57_281
; %bb.280:
	scratch_load_b64 v[1:2], off, off offset:320
	v_mov_b32_e32 v3, 0
	s_delay_alu instid0(VALU_DEP_1)
	v_mov_b32_e32 v4, v3
	scratch_store_b64 off, v[3:4], off offset:320
	s_wait_loadcnt 0x0
	ds_store_b64 v31, v[1:2]
.LBB57_281:
	s_wait_alu 0xfffe
	s_or_b32 exec_lo, exec_lo, s0
	s_wait_storecnt_dscnt 0x0
	s_barrier_signal -1
	s_barrier_wait -1
	global_inv scope:SCOPE_SE
	s_clause 0x9
	scratch_load_b128 v[2:5], off, off offset:328
	scratch_load_b128 v[6:9], off, off offset:344
	;; [unrolled: 1-line block ×8, first 2 shown]
	scratch_load_b64 v[184:185], off, off offset:456
	scratch_load_b64 v[186:187], off, off offset:320
	v_mov_b32_e32 v1, 0
	ds_load_2addr_b64 v[152:155], v1 offset0:99 offset1:100
	ds_load_2addr_b64 v[156:159], v1 offset0:101 offset1:102
	;; [unrolled: 1-line block ×8, first 2 shown]
	ds_load_b64 v[188:189], v1 offset:920
	s_mov_b32 s0, exec_lo
	s_wait_loadcnt_dscnt 0x908
	v_mul_f32_e32 v30, v152, v3
	s_wait_loadcnt_dscnt 0x807
	v_dual_mul_f32 v190, v154, v5 :: v_dual_mul_f32 v191, v156, v7
	v_mul_f32_e32 v3, v153, v3
	v_mul_f32_e32 v5, v155, v5
	s_wait_loadcnt_dscnt 0x706
	v_dual_mul_f32 v192, v158, v9 :: v_dual_mul_f32 v193, v160, v11
	s_wait_loadcnt_dscnt 0x302
	v_mul_f32_e32 v202, v178, v29
	v_fma_f32 v3, v152, v2, -v3
	s_wait_loadcnt_dscnt 0x100
	v_dual_mul_f32 v205, v188, v185 :: v_dual_fmac_f32 v30, v153, v2
	v_mul_f32_e32 v2, v157, v7
	s_delay_alu instid0(VALU_DEP_3) | instskip(SKIP_1) | instid1(VALU_DEP_4)
	v_dual_fmac_f32 v190, v155, v4 :: v_dual_add_f32 v3, 0, v3
	v_fma_f32 v4, v154, v4, -v5
	v_dual_add_f32 v5, 0, v30 :: v_dual_fmac_f32 v192, v159, v8
	v_mul_f32_e32 v7, v159, v9
	v_fma_f32 v2, v156, v6, -v2
	s_delay_alu instid0(VALU_DEP_4)
	v_add_f32_e32 v3, v3, v4
	v_fmac_f32_e32 v191, v157, v6
	v_add_f32_e32 v4, v5, v190
	v_mul_f32_e32 v5, v161, v11
	v_fma_f32 v6, v158, v8, -v7
	v_add_f32_e32 v2, v3, v2
	v_dual_mul_f32 v194, v162, v13 :: v_dual_mul_f32 v195, v164, v15
	v_dual_add_f32 v3, v4, v191 :: v_dual_mul_f32 v4, v163, v13
	v_fma_f32 v5, v160, v10, -v5
	s_delay_alu instid0(VALU_DEP_4)
	v_add_f32_e32 v2, v2, v6
	v_fmac_f32_e32 v193, v161, v10
	v_mul_f32_e32 v6, v165, v15
	v_fmac_f32_e32 v194, v163, v12
	v_add_f32_e32 v3, v3, v192
	v_fma_f32 v4, v162, v12, -v4
	v_add_f32_e32 v2, v2, v5
	v_dual_mul_f32 v196, v166, v17 :: v_dual_mul_f32 v197, v168, v19
	s_delay_alu instid0(VALU_DEP_4)
	v_add_f32_e32 v3, v3, v193
	v_mul_f32_e32 v5, v167, v17
	v_fma_f32 v6, v164, v14, -v6
	v_dual_add_f32 v2, v2, v4 :: v_dual_fmac_f32 v195, v165, v14
	v_fmac_f32_e32 v196, v167, v16
	v_mul_f32_e32 v4, v169, v19
	v_fma_f32 v5, v166, v16, -v5
	s_delay_alu instid0(VALU_DEP_4) | instskip(SKIP_3) | instid1(VALU_DEP_3)
	v_add_f32_e32 v2, v2, v6
	v_add_f32_e32 v3, v3, v194
	v_dual_mul_f32 v6, v171, v21 :: v_dual_fmac_f32 v197, v169, v18
	v_fma_f32 v4, v168, v18, -v4
	v_dual_add_f32 v2, v2, v5 :: v_dual_add_f32 v3, v3, v195
	v_dual_mul_f32 v198, v170, v21 :: v_dual_mul_f32 v199, v172, v23
	s_delay_alu instid0(VALU_DEP_4) | instskip(NEXT) | instid1(VALU_DEP_3)
	v_fma_f32 v6, v170, v20, -v6
	v_add_f32_e32 v2, v2, v4
	s_delay_alu instid0(VALU_DEP_4) | instskip(NEXT) | instid1(VALU_DEP_4)
	v_add_f32_e32 v3, v3, v196
	v_dual_mul_f32 v5, v173, v23 :: v_dual_fmac_f32 v198, v171, v20
	v_dual_mul_f32 v200, v174, v25 :: v_dual_mul_f32 v201, v176, v27
	s_delay_alu instid0(VALU_DEP_3) | instskip(SKIP_1) | instid1(VALU_DEP_4)
	v_dual_add_f32 v2, v2, v6 :: v_dual_add_f32 v3, v3, v197
	v_dual_mul_f32 v4, v175, v25 :: v_dual_fmac_f32 v199, v173, v22
	v_fma_f32 v5, v172, v22, -v5
	s_delay_alu instid0(VALU_DEP_3) | instskip(SKIP_1) | instid1(VALU_DEP_4)
	v_dual_mul_f32 v6, v177, v27 :: v_dual_add_f32 v3, v3, v198
	v_dual_fmac_f32 v200, v175, v24 :: v_dual_fmac_f32 v201, v177, v26
	v_fma_f32 v4, v174, v24, -v4
	s_delay_alu instid0(VALU_DEP_3) | instskip(SKIP_3) | instid1(VALU_DEP_4)
	v_dual_add_f32 v2, v2, v5 :: v_dual_add_f32 v3, v3, v199
	v_mul_f32_e32 v5, v179, v29
	v_fma_f32 v6, v176, v26, -v6
	v_dual_mul_f32 v203, v180, v149 :: v_dual_mul_f32 v204, v182, v151
	v_add_f32_e32 v2, v2, v4
	v_dual_add_f32 v3, v3, v200 :: v_dual_mul_f32 v4, v181, v149
	v_fmac_f32_e32 v202, v179, v28
	v_fma_f32 v5, v178, v28, -v5
	s_delay_alu instid0(VALU_DEP_3) | instskip(SKIP_2) | instid1(VALU_DEP_3)
	v_dual_add_f32 v2, v2, v6 :: v_dual_add_f32 v3, v3, v201
	v_dual_mul_f32 v6, v183, v151 :: v_dual_fmac_f32 v203, v181, v148
	v_fma_f32 v4, v180, v148, -v4
	v_add_f32_e32 v2, v2, v5
	v_mul_f32_e32 v5, v189, v185
	v_add_f32_e32 v3, v3, v202
	v_dual_fmac_f32 v204, v183, v150 :: v_dual_fmac_f32 v205, v189, v184
	v_fma_f32 v6, v182, v150, -v6
	s_delay_alu instid0(VALU_DEP_3) | instskip(SKIP_1) | instid1(VALU_DEP_2)
	v_dual_add_f32 v2, v2, v4 :: v_dual_add_f32 v3, v3, v203
	v_fma_f32 v4, v188, v184, -v5
	v_dual_add_f32 v2, v2, v6 :: v_dual_add_f32 v3, v3, v204
	s_delay_alu instid0(VALU_DEP_1) | instskip(SKIP_1) | instid1(VALU_DEP_1)
	v_dual_add_f32 v2, v2, v4 :: v_dual_add_f32 v3, v3, v205
	s_wait_loadcnt 0x0
	v_dual_sub_f32 v2, v186, v2 :: v_dual_sub_f32 v3, v187, v3
	scratch_store_b64 off, v[2:3], off offset:320
	v_cmpx_lt_u32_e32 39, v0
	s_cbranch_execz .LBB57_283
; %bb.282:
	scratch_load_b64 v[3:4], off, off offset:312
	v_mov_b32_e32 v2, v1
	scratch_store_b64 off, v[1:2], off offset:312
	s_wait_loadcnt 0x0
	ds_store_b64 v31, v[3:4]
.LBB57_283:
	s_wait_alu 0xfffe
	s_or_b32 exec_lo, exec_lo, s0
	s_wait_storecnt_dscnt 0x0
	s_barrier_signal -1
	s_barrier_wait -1
	global_inv scope:SCOPE_SE
	s_clause 0x9
	scratch_load_b128 v[2:5], off, off offset:320
	scratch_load_b128 v[6:9], off, off offset:336
	scratch_load_b128 v[10:13], off, off offset:352
	scratch_load_b128 v[14:17], off, off offset:368
	scratch_load_b128 v[18:21], off, off offset:384
	scratch_load_b128 v[22:25], off, off offset:400
	scratch_load_b128 v[26:29], off, off offset:416
	scratch_load_b128 v[148:151], off, off offset:432
	scratch_load_b128 v[152:155], off, off offset:448
	scratch_load_b64 v[192:193], off, off offset:312
	ds_load_b128 v[156:159], v1 offset:784
	ds_load_b128 v[160:163], v1 offset:800
	;; [unrolled: 1-line block ×9, first 2 shown]
	s_mov_b32 s0, exec_lo
	s_wait_loadcnt_dscnt 0x908
	v_dual_mul_f32 v1, v156, v3 :: v_dual_mul_f32 v30, v158, v5
	v_mul_f32_e32 v5, v159, v5
	v_mul_f32_e32 v3, v157, v3
	s_wait_loadcnt_dscnt 0x807
	v_dual_mul_f32 v194, v160, v7 :: v_dual_mul_f32 v195, v162, v9
	s_wait_loadcnt_dscnt 0x201
	v_dual_fmac_f32 v1, v157, v2 :: v_dual_mul_f32 v206, v184, v149
	v_fma_f32 v3, v156, v2, -v3
	s_wait_loadcnt_dscnt 0x100
	v_dual_mul_f32 v209, v190, v155 :: v_dual_fmac_f32 v30, v159, v4
	v_mul_f32_e32 v2, v161, v7
	v_fma_f32 v4, v158, v4, -v5
	v_dual_add_f32 v3, 0, v3 :: v_dual_fmac_f32 v194, v161, v6
	v_dual_mul_f32 v196, v164, v11 :: v_dual_mul_f32 v197, v166, v13
	v_dual_mul_f32 v198, v168, v15 :: v_dual_mul_f32 v199, v170, v17
	s_delay_alu instid0(VALU_DEP_2) | instskip(SKIP_1) | instid1(VALU_DEP_3)
	v_dual_mul_f32 v5, v163, v9 :: v_dual_fmac_f32 v196, v165, v10
	v_fma_f32 v2, v160, v6, -v2
	v_dual_add_f32 v3, v3, v4 :: v_dual_fmac_f32 v198, v169, v14
	s_delay_alu instid0(VALU_DEP_3) | instskip(SKIP_1) | instid1(VALU_DEP_3)
	v_fma_f32 v5, v162, v8, -v5
	v_dual_mul_f32 v200, v172, v19 :: v_dual_mul_f32 v201, v174, v21
	v_add_f32_e32 v2, v3, v2
	v_dual_mul_f32 v4, v165, v11 :: v_dual_mul_f32 v3, v167, v13
	s_delay_alu instid0(VALU_DEP_3) | instskip(SKIP_1) | instid1(VALU_DEP_4)
	v_fmac_f32_e32 v200, v173, v18
	v_dual_mul_f32 v202, v176, v23 :: v_dual_mul_f32 v203, v178, v25
	v_add_f32_e32 v2, v2, v5
	v_add_f32_e32 v1, 0, v1
	v_fma_f32 v4, v164, v10, -v4
	v_fma_f32 v3, v166, v12, -v3
	v_dual_fmac_f32 v199, v171, v16 :: v_dual_mul_f32 v204, v180, v27
	v_mul_f32_e32 v205, v182, v29
	s_delay_alu instid0(VALU_DEP_4) | instskip(SKIP_3) | instid1(VALU_DEP_4)
	v_dual_add_f32 v1, v1, v30 :: v_dual_add_f32 v2, v2, v4
	v_mul_f32_e32 v4, v171, v17
	v_fmac_f32_e32 v195, v163, v8
	v_dual_mul_f32 v207, v186, v151 :: v_dual_mul_f32 v208, v188, v153
	v_add_f32_e32 v1, v1, v194
	s_delay_alu instid0(VALU_DEP_4) | instskip(SKIP_4) | instid1(VALU_DEP_4)
	v_fma_f32 v4, v170, v16, -v4
	v_mul_f32_e32 v5, v169, v15
	v_dual_add_f32 v2, v2, v3 :: v_dual_fmac_f32 v201, v175, v20
	v_fmac_f32_e32 v204, v181, v26
	v_add_f32_e32 v1, v1, v195
	v_fma_f32 v5, v168, v14, -v5
	v_dual_fmac_f32 v197, v167, v12 :: v_dual_fmac_f32 v202, v177, v22
	v_fmac_f32_e32 v205, v183, v28
	s_delay_alu instid0(VALU_DEP_3) | instskip(SKIP_2) | instid1(VALU_DEP_3)
	v_dual_fmac_f32 v209, v191, v154 :: v_dual_add_f32 v2, v2, v5
	v_dual_mul_f32 v5, v175, v21 :: v_dual_fmac_f32 v206, v185, v148
	v_fmac_f32_e32 v208, v189, v152
	v_add_f32_e32 v2, v2, v4
	s_delay_alu instid0(VALU_DEP_3) | instskip(SKIP_2) | instid1(VALU_DEP_2)
	v_fma_f32 v5, v174, v20, -v5
	v_mul_f32_e32 v3, v173, v19
	v_mul_f32_e32 v4, v177, v23
	v_fma_f32 v3, v172, v18, -v3
	v_add_f32_e32 v1, v1, v196
	s_delay_alu instid0(VALU_DEP_3) | instskip(NEXT) | instid1(VALU_DEP_3)
	v_fma_f32 v4, v176, v22, -v4
	v_dual_add_f32 v2, v2, v3 :: v_dual_mul_f32 v3, v179, v25
	s_delay_alu instid0(VALU_DEP_1) | instskip(NEXT) | instid1(VALU_DEP_4)
	v_add_f32_e32 v2, v2, v5
	v_add_f32_e32 v1, v1, v197
	s_delay_alu instid0(VALU_DEP_3) | instskip(NEXT) | instid1(VALU_DEP_2)
	v_fma_f32 v3, v178, v24, -v3
	v_dual_add_f32 v2, v2, v4 :: v_dual_add_f32 v1, v1, v198
	v_mul_f32_e32 v4, v183, v29
	s_delay_alu instid0(VALU_DEP_2) | instskip(SKIP_1) | instid1(VALU_DEP_3)
	v_dual_fmac_f32 v203, v179, v24 :: v_dual_add_f32 v2, v2, v3
	v_mul_f32_e32 v3, v185, v149
	v_fma_f32 v4, v182, v28, -v4
	v_mul_f32_e32 v5, v181, v27
	s_delay_alu instid0(VALU_DEP_3) | instskip(NEXT) | instid1(VALU_DEP_2)
	v_fma_f32 v3, v184, v148, -v3
	v_fma_f32 v5, v180, v26, -v5
	s_delay_alu instid0(VALU_DEP_1) | instskip(NEXT) | instid1(VALU_DEP_1)
	v_dual_add_f32 v1, v1, v199 :: v_dual_add_f32 v2, v2, v5
	v_dual_mul_f32 v5, v187, v151 :: v_dual_add_f32 v2, v2, v4
	s_delay_alu instid0(VALU_DEP_2) | instskip(SKIP_1) | instid1(VALU_DEP_3)
	v_add_f32_e32 v1, v1, v200
	v_mul_f32_e32 v4, v189, v153
	v_fma_f32 v5, v186, v150, -v5
	s_delay_alu instid0(VALU_DEP_4) | instskip(SKIP_1) | instid1(VALU_DEP_4)
	v_dual_add_f32 v2, v2, v3 :: v_dual_fmac_f32 v207, v187, v150
	v_mul_f32_e32 v3, v191, v155
	v_fma_f32 v4, v188, v152, -v4
	s_delay_alu instid0(VALU_DEP_3) | instskip(SKIP_1) | instid1(VALU_DEP_4)
	v_add_f32_e32 v2, v2, v5
	v_add_f32_e32 v1, v1, v201
	v_fma_f32 v3, v190, v154, -v3
	s_delay_alu instid0(VALU_DEP_2) | instskip(NEXT) | instid1(VALU_DEP_1)
	v_dual_add_f32 v2, v2, v4 :: v_dual_add_f32 v1, v1, v202
	v_add_f32_e32 v2, v2, v3
	s_delay_alu instid0(VALU_DEP_2) | instskip(NEXT) | instid1(VALU_DEP_1)
	v_add_f32_e32 v1, v1, v203
	v_add_f32_e32 v1, v1, v204
	s_delay_alu instid0(VALU_DEP_1) | instskip(NEXT) | instid1(VALU_DEP_1)
	v_add_f32_e32 v1, v1, v205
	v_add_f32_e32 v1, v1, v206
	s_delay_alu instid0(VALU_DEP_1) | instskip(NEXT) | instid1(VALU_DEP_1)
	v_add_f32_e32 v1, v1, v207
	v_add_f32_e32 v1, v1, v208
	s_delay_alu instid0(VALU_DEP_1) | instskip(SKIP_1) | instid1(VALU_DEP_1)
	v_add_f32_e32 v3, v1, v209
	s_wait_loadcnt 0x0
	v_dual_sub_f32 v1, v192, v2 :: v_dual_sub_f32 v2, v193, v3
	scratch_store_b64 off, v[1:2], off offset:312
	v_cmpx_lt_u32_e32 38, v0
	s_cbranch_execz .LBB57_285
; %bb.284:
	scratch_load_b64 v[1:2], off, off offset:304
	v_mov_b32_e32 v3, 0
	s_delay_alu instid0(VALU_DEP_1)
	v_mov_b32_e32 v4, v3
	scratch_store_b64 off, v[3:4], off offset:304
	s_wait_loadcnt 0x0
	ds_store_b64 v31, v[1:2]
.LBB57_285:
	s_wait_alu 0xfffe
	s_or_b32 exec_lo, exec_lo, s0
	s_wait_storecnt_dscnt 0x0
	s_barrier_signal -1
	s_barrier_wait -1
	global_inv scope:SCOPE_SE
	s_clause 0xa
	scratch_load_b128 v[2:5], off, off offset:312
	scratch_load_b128 v[6:9], off, off offset:328
	;; [unrolled: 1-line block ×9, first 2 shown]
	scratch_load_b64 v[192:193], off, off offset:456
	scratch_load_b64 v[194:195], off, off offset:304
	v_mov_b32_e32 v1, 0
	ds_load_2addr_b64 v[156:159], v1 offset0:97 offset1:98
	ds_load_2addr_b64 v[160:163], v1 offset0:99 offset1:100
	;; [unrolled: 1-line block ×9, first 2 shown]
	ds_load_b64 v[196:197], v1 offset:920
	s_mov_b32 s0, exec_lo
	s_wait_loadcnt_dscnt 0xa09
	v_mul_f32_e32 v30, v156, v3
	s_wait_loadcnt_dscnt 0x908
	v_dual_mul_f32 v198, v158, v5 :: v_dual_mul_f32 v199, v160, v7
	v_mul_f32_e32 v3, v157, v3
	v_mul_f32_e32 v5, v159, v5
	s_wait_loadcnt_dscnt 0x807
	v_dual_mul_f32 v200, v162, v9 :: v_dual_mul_f32 v201, v164, v11
	s_wait_loadcnt_dscnt 0x403
	v_mul_f32_e32 v210, v182, v29
	v_fma_f32 v3, v156, v2, -v3
	s_wait_loadcnt_dscnt 0x100
	v_dual_mul_f32 v215, v196, v193 :: v_dual_fmac_f32 v30, v157, v2
	v_mul_f32_e32 v2, v161, v7
	s_delay_alu instid0(VALU_DEP_3) | instskip(SKIP_1) | instid1(VALU_DEP_4)
	v_dual_fmac_f32 v198, v159, v4 :: v_dual_add_f32 v3, 0, v3
	v_fma_f32 v4, v158, v4, -v5
	v_dual_add_f32 v5, 0, v30 :: v_dual_fmac_f32 v200, v163, v8
	v_mul_f32_e32 v7, v163, v9
	v_fma_f32 v2, v160, v6, -v2
	s_delay_alu instid0(VALU_DEP_4)
	v_add_f32_e32 v3, v3, v4
	v_fmac_f32_e32 v199, v161, v6
	v_add_f32_e32 v4, v5, v198
	v_mul_f32_e32 v5, v165, v11
	v_fma_f32 v6, v162, v8, -v7
	v_add_f32_e32 v2, v3, v2
	v_dual_mul_f32 v202, v166, v13 :: v_dual_mul_f32 v203, v168, v15
	v_dual_add_f32 v3, v4, v199 :: v_dual_mul_f32 v4, v167, v13
	v_fma_f32 v5, v164, v10, -v5
	s_delay_alu instid0(VALU_DEP_4)
	v_add_f32_e32 v2, v2, v6
	v_fmac_f32_e32 v201, v165, v10
	v_mul_f32_e32 v6, v169, v15
	v_fmac_f32_e32 v202, v167, v12
	v_add_f32_e32 v3, v3, v200
	v_fma_f32 v4, v166, v12, -v4
	v_add_f32_e32 v2, v2, v5
	v_dual_mul_f32 v204, v170, v17 :: v_dual_mul_f32 v205, v172, v19
	s_delay_alu instid0(VALU_DEP_4)
	v_add_f32_e32 v3, v3, v201
	v_mul_f32_e32 v5, v171, v17
	v_fma_f32 v6, v168, v14, -v6
	v_dual_add_f32 v2, v2, v4 :: v_dual_fmac_f32 v203, v169, v14
	v_fmac_f32_e32 v204, v171, v16
	v_mul_f32_e32 v4, v173, v19
	v_fma_f32 v5, v170, v16, -v5
	s_delay_alu instid0(VALU_DEP_4) | instskip(SKIP_3) | instid1(VALU_DEP_3)
	v_add_f32_e32 v2, v2, v6
	v_add_f32_e32 v3, v3, v202
	v_dual_mul_f32 v6, v175, v21 :: v_dual_fmac_f32 v205, v173, v18
	v_fma_f32 v4, v172, v18, -v4
	v_dual_add_f32 v2, v2, v5 :: v_dual_add_f32 v3, v3, v203
	v_dual_mul_f32 v206, v174, v21 :: v_dual_mul_f32 v207, v176, v23
	s_delay_alu instid0(VALU_DEP_4) | instskip(NEXT) | instid1(VALU_DEP_3)
	v_fma_f32 v6, v174, v20, -v6
	v_add_f32_e32 v2, v2, v4
	s_delay_alu instid0(VALU_DEP_4) | instskip(NEXT) | instid1(VALU_DEP_4)
	v_add_f32_e32 v3, v3, v204
	v_dual_mul_f32 v5, v177, v23 :: v_dual_fmac_f32 v206, v175, v20
	v_dual_mul_f32 v208, v178, v25 :: v_dual_mul_f32 v209, v180, v27
	s_delay_alu instid0(VALU_DEP_3) | instskip(SKIP_1) | instid1(VALU_DEP_4)
	v_dual_add_f32 v2, v2, v6 :: v_dual_add_f32 v3, v3, v205
	v_dual_mul_f32 v4, v179, v25 :: v_dual_fmac_f32 v207, v177, v22
	v_fma_f32 v5, v176, v22, -v5
	s_delay_alu instid0(VALU_DEP_3) | instskip(SKIP_1) | instid1(VALU_DEP_4)
	v_dual_mul_f32 v6, v181, v27 :: v_dual_add_f32 v3, v3, v206
	v_dual_fmac_f32 v208, v179, v24 :: v_dual_fmac_f32 v209, v181, v26
	v_fma_f32 v4, v178, v24, -v4
	s_delay_alu instid0(VALU_DEP_3) | instskip(SKIP_3) | instid1(VALU_DEP_4)
	v_dual_add_f32 v2, v2, v5 :: v_dual_add_f32 v3, v3, v207
	v_mul_f32_e32 v5, v183, v29
	v_fma_f32 v6, v180, v26, -v6
	v_dual_mul_f32 v211, v184, v149 :: v_dual_mul_f32 v212, v186, v151
	v_add_f32_e32 v2, v2, v4
	v_dual_add_f32 v3, v3, v208 :: v_dual_mul_f32 v4, v185, v149
	v_fmac_f32_e32 v210, v183, v28
	v_fma_f32 v5, v182, v28, -v5
	s_delay_alu instid0(VALU_DEP_3) | instskip(SKIP_2) | instid1(VALU_DEP_3)
	v_dual_add_f32 v2, v2, v6 :: v_dual_add_f32 v3, v3, v209
	v_dual_mul_f32 v6, v187, v151 :: v_dual_fmac_f32 v211, v185, v148
	v_fma_f32 v4, v184, v148, -v4
	v_add_f32_e32 v2, v2, v5
	v_mul_f32_e32 v5, v189, v153
	v_add_f32_e32 v3, v3, v210
	v_dual_mul_f32 v213, v188, v153 :: v_dual_mul_f32 v214, v190, v155
	v_fmac_f32_e32 v212, v187, v150
	v_fma_f32 v6, v186, v150, -v6
	s_delay_alu instid0(VALU_DEP_4) | instskip(SKIP_1) | instid1(VALU_DEP_2)
	v_dual_add_f32 v2, v2, v4 :: v_dual_add_f32 v3, v3, v211
	v_dual_mul_f32 v4, v191, v155 :: v_dual_fmac_f32 v215, v197, v192
	v_dual_fmac_f32 v213, v189, v152 :: v_dual_add_f32 v2, v2, v6
	s_delay_alu instid0(VALU_DEP_3) | instskip(SKIP_3) | instid1(VALU_DEP_4)
	v_add_f32_e32 v3, v3, v212
	v_fma_f32 v5, v188, v152, -v5
	v_fmac_f32_e32 v214, v191, v154
	v_fma_f32 v4, v190, v154, -v4
	v_add_f32_e32 v3, v3, v213
	s_delay_alu instid0(VALU_DEP_1) | instskip(SKIP_1) | instid1(VALU_DEP_2)
	v_dual_mul_f32 v6, v197, v193 :: v_dual_add_f32 v3, v3, v214
	v_add_f32_e32 v2, v2, v5
	v_fma_f32 v5, v196, v192, -v6
	s_delay_alu instid0(VALU_DEP_2) | instskip(SKIP_1) | instid1(VALU_DEP_1)
	v_dual_add_f32 v3, v3, v215 :: v_dual_add_f32 v2, v2, v4
	s_wait_loadcnt 0x0
	v_dual_sub_f32 v3, v195, v3 :: v_dual_add_f32 v2, v2, v5
	s_delay_alu instid0(VALU_DEP_1)
	v_sub_f32_e32 v2, v194, v2
	scratch_store_b64 off, v[2:3], off offset:304
	v_cmpx_lt_u32_e32 37, v0
	s_cbranch_execz .LBB57_287
; %bb.286:
	scratch_load_b64 v[3:4], off, off offset:296
	v_mov_b32_e32 v2, v1
	scratch_store_b64 off, v[1:2], off offset:296
	s_wait_loadcnt 0x0
	ds_store_b64 v31, v[3:4]
.LBB57_287:
	s_wait_alu 0xfffe
	s_or_b32 exec_lo, exec_lo, s0
	s_wait_storecnt_dscnt 0x0
	s_barrier_signal -1
	s_barrier_wait -1
	global_inv scope:SCOPE_SE
	s_clause 0xa
	scratch_load_b128 v[2:5], off, off offset:304
	scratch_load_b128 v[6:9], off, off offset:320
	;; [unrolled: 1-line block ×10, first 2 shown]
	scratch_load_b64 v[200:201], off, off offset:296
	ds_load_b128 v[160:163], v1 offset:768
	ds_load_b128 v[164:167], v1 offset:784
	;; [unrolled: 1-line block ×10, first 2 shown]
	s_mov_b32 s0, exec_lo
	s_wait_loadcnt_dscnt 0xa09
	v_dual_mul_f32 v1, v160, v3 :: v_dual_mul_f32 v30, v162, v5
	s_wait_loadcnt_dscnt 0x908
	v_dual_mul_f32 v5, v163, v5 :: v_dual_mul_f32 v202, v164, v7
	v_mul_f32_e32 v203, v166, v9
	v_mul_f32_e32 v3, v161, v3
	v_dual_fmac_f32 v1, v161, v2 :: v_dual_fmac_f32 v30, v163, v4
	s_wait_loadcnt_dscnt 0x100
	v_dual_mul_f32 v216, v192, v153 :: v_dual_mul_f32 v219, v198, v159
	s_delay_alu instid0(VALU_DEP_3) | instskip(SKIP_3) | instid1(VALU_DEP_4)
	v_fma_f32 v3, v160, v2, -v3
	v_mul_f32_e32 v2, v165, v7
	v_fma_f32 v4, v162, v4, -v5
	v_dual_mul_f32 v204, v168, v11 :: v_dual_mul_f32 v205, v170, v13
	v_dual_add_f32 v3, 0, v3 :: v_dual_fmac_f32 v202, v165, v6
	v_dual_mul_f32 v206, v172, v15 :: v_dual_mul_f32 v207, v174, v17
	s_delay_alu instid0(VALU_DEP_3) | instskip(SKIP_1) | instid1(VALU_DEP_3)
	v_dual_mul_f32 v5, v167, v9 :: v_dual_fmac_f32 v204, v169, v10
	v_fma_f32 v2, v164, v6, -v2
	v_dual_add_f32 v3, v3, v4 :: v_dual_fmac_f32 v206, v173, v14
	s_delay_alu instid0(VALU_DEP_3) | instskip(SKIP_1) | instid1(VALU_DEP_3)
	v_fma_f32 v5, v166, v8, -v5
	v_dual_mul_f32 v208, v176, v19 :: v_dual_mul_f32 v209, v178, v21
	v_add_f32_e32 v2, v3, v2
	v_dual_mul_f32 v3, v171, v13 :: v_dual_mul_f32 v4, v169, v11
	s_delay_alu instid0(VALU_DEP_3) | instskip(SKIP_1) | instid1(VALU_DEP_4)
	v_fmac_f32_e32 v208, v177, v18
	v_dual_mul_f32 v210, v180, v23 :: v_dual_mul_f32 v211, v182, v25
	v_add_f32_e32 v2, v2, v5
	v_add_f32_e32 v1, 0, v1
	v_fma_f32 v4, v168, v10, -v4
	v_fma_f32 v3, v170, v12, -v3
	v_dual_fmac_f32 v207, v175, v16 :: v_dual_mul_f32 v214, v188, v149
	v_mul_f32_e32 v215, v190, v151
	s_delay_alu instid0(VALU_DEP_4) | instskip(SKIP_3) | instid1(VALU_DEP_4)
	v_dual_add_f32 v1, v1, v30 :: v_dual_add_f32 v2, v2, v4
	v_mul_f32_e32 v4, v175, v17
	v_dual_fmac_f32 v203, v167, v8 :: v_dual_mul_f32 v212, v184, v27
	v_mul_f32_e32 v213, v186, v29
	v_add_f32_e32 v1, v1, v202
	s_delay_alu instid0(VALU_DEP_4) | instskip(SKIP_4) | instid1(VALU_DEP_4)
	v_fma_f32 v4, v174, v16, -v4
	v_mul_f32_e32 v5, v173, v15
	v_dual_add_f32 v2, v2, v3 :: v_dual_fmac_f32 v209, v179, v20
	v_fmac_f32_e32 v212, v185, v26
	v_add_f32_e32 v1, v1, v203
	v_fma_f32 v5, v172, v14, -v5
	v_dual_fmac_f32 v205, v171, v12 :: v_dual_fmac_f32 v210, v181, v22
	v_fmac_f32_e32 v213, v187, v28
	v_dual_mul_f32 v217, v194, v155 :: v_dual_mul_f32 v218, v196, v157
	s_delay_alu instid0(VALU_DEP_4) | instskip(SKIP_2) | instid1(VALU_DEP_4)
	v_add_f32_e32 v2, v2, v5
	v_mul_f32_e32 v5, v179, v21
	v_fmac_f32_e32 v219, v199, v158
	v_dual_fmac_f32 v217, v195, v154 :: v_dual_fmac_f32 v214, v189, v148
	s_delay_alu instid0(VALU_DEP_4) | instskip(NEXT) | instid1(VALU_DEP_4)
	v_add_f32_e32 v2, v2, v4
	v_fma_f32 v5, v178, v20, -v5
	v_mul_f32_e32 v3, v177, v19
	v_mul_f32_e32 v4, v181, v23
	v_fmac_f32_e32 v216, v193, v152
	v_fmac_f32_e32 v218, v197, v156
	s_delay_alu instid0(VALU_DEP_4) | instskip(SKIP_2) | instid1(VALU_DEP_3)
	v_fma_f32 v3, v176, v18, -v3
	v_add_f32_e32 v1, v1, v204
	v_fma_f32 v4, v180, v22, -v4
	v_dual_add_f32 v2, v2, v3 :: v_dual_mul_f32 v3, v183, v25
	s_delay_alu instid0(VALU_DEP_1) | instskip(NEXT) | instid1(VALU_DEP_4)
	v_add_f32_e32 v2, v2, v5
	v_add_f32_e32 v1, v1, v205
	s_delay_alu instid0(VALU_DEP_3) | instskip(NEXT) | instid1(VALU_DEP_2)
	v_fma_f32 v3, v182, v24, -v3
	v_dual_add_f32 v2, v2, v4 :: v_dual_add_f32 v1, v1, v206
	v_mul_f32_e32 v4, v187, v29
	s_delay_alu instid0(VALU_DEP_2) | instskip(SKIP_1) | instid1(VALU_DEP_3)
	v_dual_fmac_f32 v211, v183, v24 :: v_dual_add_f32 v2, v2, v3
	v_mul_f32_e32 v3, v189, v149
	v_fma_f32 v4, v186, v28, -v4
	v_mul_f32_e32 v5, v185, v27
	s_delay_alu instid0(VALU_DEP_3) | instskip(NEXT) | instid1(VALU_DEP_2)
	v_fma_f32 v3, v188, v148, -v3
	v_fma_f32 v5, v184, v26, -v5
	s_delay_alu instid0(VALU_DEP_1) | instskip(NEXT) | instid1(VALU_DEP_1)
	v_dual_add_f32 v1, v1, v207 :: v_dual_add_f32 v2, v2, v5
	v_dual_mul_f32 v5, v191, v151 :: v_dual_add_f32 v2, v2, v4
	s_delay_alu instid0(VALU_DEP_2) | instskip(SKIP_1) | instid1(VALU_DEP_3)
	v_add_f32_e32 v1, v1, v208
	v_mul_f32_e32 v4, v193, v153
	v_fma_f32 v5, v190, v150, -v5
	s_delay_alu instid0(VALU_DEP_4) | instskip(SKIP_1) | instid1(VALU_DEP_4)
	v_dual_add_f32 v2, v2, v3 :: v_dual_fmac_f32 v215, v191, v150
	v_mul_f32_e32 v3, v195, v155
	v_fma_f32 v4, v192, v152, -v4
	s_delay_alu instid0(VALU_DEP_3) | instskip(SKIP_1) | instid1(VALU_DEP_4)
	v_add_f32_e32 v2, v2, v5
	v_add_f32_e32 v1, v1, v209
	v_fma_f32 v3, v194, v154, -v3
	s_delay_alu instid0(VALU_DEP_2) | instskip(SKIP_1) | instid1(VALU_DEP_2)
	v_dual_add_f32 v2, v2, v4 :: v_dual_add_f32 v1, v1, v210
	v_dual_mul_f32 v4, v199, v159 :: v_dual_mul_f32 v5, v197, v157
	v_add_f32_e32 v2, v2, v3
	s_delay_alu instid0(VALU_DEP_2) | instskip(NEXT) | instid1(VALU_DEP_3)
	v_fma_f32 v3, v198, v158, -v4
	v_fma_f32 v5, v196, v156, -v5
	s_delay_alu instid0(VALU_DEP_1) | instskip(NEXT) | instid1(VALU_DEP_1)
	v_dual_add_f32 v1, v1, v211 :: v_dual_add_f32 v2, v2, v5
	v_dual_add_f32 v1, v1, v212 :: v_dual_add_f32 v2, v2, v3
	s_delay_alu instid0(VALU_DEP_1) | instskip(NEXT) | instid1(VALU_DEP_1)
	v_add_f32_e32 v1, v1, v213
	v_add_f32_e32 v1, v1, v214
	s_delay_alu instid0(VALU_DEP_1) | instskip(NEXT) | instid1(VALU_DEP_1)
	v_add_f32_e32 v1, v1, v215
	v_add_f32_e32 v1, v1, v216
	;; [unrolled: 3-line block ×3, first 2 shown]
	s_delay_alu instid0(VALU_DEP_1) | instskip(SKIP_1) | instid1(VALU_DEP_1)
	v_add_f32_e32 v3, v1, v219
	s_wait_loadcnt 0x0
	v_dual_sub_f32 v1, v200, v2 :: v_dual_sub_f32 v2, v201, v3
	scratch_store_b64 off, v[1:2], off offset:296
	v_cmpx_lt_u32_e32 36, v0
	s_cbranch_execz .LBB57_289
; %bb.288:
	scratch_load_b64 v[1:2], off, off offset:288
	v_mov_b32_e32 v3, 0
	s_delay_alu instid0(VALU_DEP_1)
	v_mov_b32_e32 v4, v3
	scratch_store_b64 off, v[3:4], off offset:288
	s_wait_loadcnt 0x0
	ds_store_b64 v31, v[1:2]
.LBB57_289:
	s_wait_alu 0xfffe
	s_or_b32 exec_lo, exec_lo, s0
	s_wait_storecnt_dscnt 0x0
	s_barrier_signal -1
	s_barrier_wait -1
	global_inv scope:SCOPE_SE
	s_clause 0xb
	scratch_load_b128 v[2:5], off, off offset:296
	scratch_load_b128 v[6:9], off, off offset:312
	;; [unrolled: 1-line block ×10, first 2 shown]
	scratch_load_b64 v[200:201], off, off offset:456
	scratch_load_b64 v[202:203], off, off offset:288
	v_mov_b32_e32 v1, 0
	ds_load_2addr_b64 v[160:163], v1 offset0:95 offset1:96
	ds_load_2addr_b64 v[164:167], v1 offset0:97 offset1:98
	;; [unrolled: 1-line block ×10, first 2 shown]
	ds_load_b64 v[204:205], v1 offset:920
	s_mov_b32 s0, exec_lo
	s_wait_loadcnt_dscnt 0xb0a
	v_mul_f32_e32 v30, v160, v3
	s_wait_loadcnt_dscnt 0xa09
	v_dual_mul_f32 v206, v162, v5 :: v_dual_mul_f32 v207, v164, v7
	v_mul_f32_e32 v3, v161, v3
	v_mul_f32_e32 v5, v163, v5
	s_wait_loadcnt_dscnt 0x908
	v_dual_mul_f32 v208, v166, v9 :: v_dual_mul_f32 v209, v168, v11
	s_wait_loadcnt_dscnt 0x504
	v_mul_f32_e32 v218, v186, v29
	v_fma_f32 v3, v160, v2, -v3
	s_wait_loadcnt_dscnt 0x100
	v_dual_fmac_f32 v30, v161, v2 :: v_dual_mul_f32 v225, v204, v201
	v_mul_f32_e32 v2, v165, v7
	s_delay_alu instid0(VALU_DEP_3) | instskip(SKIP_1) | instid1(VALU_DEP_4)
	v_dual_fmac_f32 v206, v163, v4 :: v_dual_add_f32 v3, 0, v3
	v_fma_f32 v4, v162, v4, -v5
	v_dual_add_f32 v5, 0, v30 :: v_dual_fmac_f32 v208, v167, v8
	v_mul_f32_e32 v7, v167, v9
	v_fma_f32 v2, v164, v6, -v2
	s_delay_alu instid0(VALU_DEP_4)
	v_add_f32_e32 v3, v3, v4
	v_fmac_f32_e32 v207, v165, v6
	v_add_f32_e32 v4, v5, v206
	v_mul_f32_e32 v5, v169, v11
	v_fma_f32 v6, v166, v8, -v7
	v_add_f32_e32 v2, v3, v2
	v_dual_mul_f32 v210, v170, v13 :: v_dual_mul_f32 v211, v172, v15
	v_dual_add_f32 v3, v4, v207 :: v_dual_mul_f32 v4, v171, v13
	v_fma_f32 v5, v168, v10, -v5
	s_delay_alu instid0(VALU_DEP_4)
	v_add_f32_e32 v2, v2, v6
	v_fmac_f32_e32 v209, v169, v10
	v_mul_f32_e32 v6, v173, v15
	v_fmac_f32_e32 v210, v171, v12
	v_add_f32_e32 v3, v3, v208
	v_fma_f32 v4, v170, v12, -v4
	v_add_f32_e32 v2, v2, v5
	v_dual_mul_f32 v212, v174, v17 :: v_dual_mul_f32 v213, v176, v19
	s_delay_alu instid0(VALU_DEP_4)
	v_add_f32_e32 v3, v3, v209
	v_mul_f32_e32 v5, v175, v17
	v_fma_f32 v6, v172, v14, -v6
	v_dual_add_f32 v2, v2, v4 :: v_dual_fmac_f32 v211, v173, v14
	v_fmac_f32_e32 v212, v175, v16
	v_mul_f32_e32 v4, v177, v19
	v_fma_f32 v5, v174, v16, -v5
	s_delay_alu instid0(VALU_DEP_4) | instskip(SKIP_3) | instid1(VALU_DEP_3)
	v_add_f32_e32 v2, v2, v6
	v_add_f32_e32 v3, v3, v210
	v_dual_mul_f32 v6, v179, v21 :: v_dual_fmac_f32 v213, v177, v18
	v_fma_f32 v4, v176, v18, -v4
	v_dual_add_f32 v2, v2, v5 :: v_dual_add_f32 v3, v3, v211
	v_dual_mul_f32 v214, v178, v21 :: v_dual_mul_f32 v215, v180, v23
	s_delay_alu instid0(VALU_DEP_4) | instskip(NEXT) | instid1(VALU_DEP_3)
	v_fma_f32 v6, v178, v20, -v6
	v_add_f32_e32 v2, v2, v4
	s_delay_alu instid0(VALU_DEP_4) | instskip(NEXT) | instid1(VALU_DEP_4)
	v_add_f32_e32 v3, v3, v212
	v_dual_mul_f32 v5, v181, v23 :: v_dual_fmac_f32 v214, v179, v20
	v_dual_mul_f32 v216, v182, v25 :: v_dual_mul_f32 v217, v184, v27
	s_delay_alu instid0(VALU_DEP_3) | instskip(SKIP_1) | instid1(VALU_DEP_4)
	v_dual_add_f32 v2, v2, v6 :: v_dual_add_f32 v3, v3, v213
	v_dual_mul_f32 v4, v183, v25 :: v_dual_fmac_f32 v215, v181, v22
	v_fma_f32 v5, v180, v22, -v5
	s_delay_alu instid0(VALU_DEP_3) | instskip(SKIP_1) | instid1(VALU_DEP_4)
	v_dual_mul_f32 v6, v185, v27 :: v_dual_add_f32 v3, v3, v214
	v_dual_fmac_f32 v216, v183, v24 :: v_dual_fmac_f32 v217, v185, v26
	v_fma_f32 v4, v182, v24, -v4
	s_delay_alu instid0(VALU_DEP_3) | instskip(SKIP_3) | instid1(VALU_DEP_4)
	v_dual_add_f32 v2, v2, v5 :: v_dual_add_f32 v3, v3, v215
	v_mul_f32_e32 v5, v187, v29
	v_fma_f32 v6, v184, v26, -v6
	v_dual_mul_f32 v219, v188, v149 :: v_dual_mul_f32 v220, v190, v151
	v_add_f32_e32 v2, v2, v4
	v_dual_add_f32 v3, v3, v216 :: v_dual_mul_f32 v4, v189, v149
	v_fmac_f32_e32 v218, v187, v28
	v_fma_f32 v5, v186, v28, -v5
	s_delay_alu instid0(VALU_DEP_3) | instskip(SKIP_2) | instid1(VALU_DEP_3)
	v_dual_add_f32 v2, v2, v6 :: v_dual_add_f32 v3, v3, v217
	v_dual_mul_f32 v6, v191, v151 :: v_dual_fmac_f32 v219, v189, v148
	v_fma_f32 v4, v188, v148, -v4
	v_add_f32_e32 v2, v2, v5
	v_mul_f32_e32 v5, v193, v153
	v_add_f32_e32 v3, v3, v218
	v_dual_mul_f32 v221, v192, v153 :: v_dual_mul_f32 v222, v194, v155
	v_fmac_f32_e32 v220, v191, v150
	v_fma_f32 v6, v190, v150, -v6
	s_delay_alu instid0(VALU_DEP_4) | instskip(SKIP_2) | instid1(VALU_DEP_3)
	v_dual_add_f32 v2, v2, v4 :: v_dual_add_f32 v3, v3, v219
	v_dual_mul_f32 v223, v196, v157 :: v_dual_mul_f32 v224, v198, v159
	v_dual_mul_f32 v4, v195, v155 :: v_dual_fmac_f32 v221, v193, v152
	v_dual_add_f32 v2, v2, v6 :: v_dual_add_f32 v3, v3, v220
	v_fma_f32 v5, v192, v152, -v5
	v_dual_fmac_f32 v222, v195, v154 :: v_dual_fmac_f32 v225, v205, v200
	v_fmac_f32_e32 v223, v197, v156
	v_fma_f32 v4, v194, v154, -v4
	v_add_f32_e32 v3, v3, v221
	v_mul_f32_e32 v6, v197, v157
	v_dual_add_f32 v2, v2, v5 :: v_dual_mul_f32 v5, v199, v159
	v_fmac_f32_e32 v224, v199, v158
	s_delay_alu instid0(VALU_DEP_4) | instskip(NEXT) | instid1(VALU_DEP_4)
	v_add_f32_e32 v3, v3, v222
	v_fma_f32 v6, v196, v156, -v6
	s_delay_alu instid0(VALU_DEP_4) | instskip(SKIP_2) | instid1(VALU_DEP_3)
	v_add_f32_e32 v2, v2, v4
	v_mul_f32_e32 v4, v205, v201
	v_fma_f32 v5, v198, v158, -v5
	v_dual_add_f32 v3, v3, v223 :: v_dual_add_f32 v2, v2, v6
	s_delay_alu instid0(VALU_DEP_3) | instskip(NEXT) | instid1(VALU_DEP_2)
	v_fma_f32 v4, v204, v200, -v4
	v_add_f32_e32 v3, v3, v224
	s_delay_alu instid0(VALU_DEP_1) | instskip(SKIP_1) | instid1(VALU_DEP_1)
	v_add_f32_e32 v3, v3, v225
	s_wait_loadcnt 0x0
	v_dual_add_f32 v2, v2, v5 :: v_dual_sub_f32 v3, v203, v3
	s_delay_alu instid0(VALU_DEP_1) | instskip(NEXT) | instid1(VALU_DEP_1)
	v_add_f32_e32 v2, v2, v4
	v_sub_f32_e32 v2, v202, v2
	scratch_store_b64 off, v[2:3], off offset:288
	v_cmpx_lt_u32_e32 35, v0
	s_cbranch_execz .LBB57_291
; %bb.290:
	scratch_load_b64 v[3:4], off, off offset:280
	v_mov_b32_e32 v2, v1
	scratch_store_b64 off, v[1:2], off offset:280
	s_wait_loadcnt 0x0
	ds_store_b64 v31, v[3:4]
.LBB57_291:
	s_wait_alu 0xfffe
	s_or_b32 exec_lo, exec_lo, s0
	s_wait_storecnt_dscnt 0x0
	s_barrier_signal -1
	s_barrier_wait -1
	global_inv scope:SCOPE_SE
	s_clause 0xb
	scratch_load_b128 v[2:5], off, off offset:288
	scratch_load_b128 v[6:9], off, off offset:304
	;; [unrolled: 1-line block ×11, first 2 shown]
	scratch_load_b64 v[208:209], off, off offset:280
	ds_load_b128 v[164:167], v1 offset:752
	ds_load_b128 v[168:171], v1 offset:768
	;; [unrolled: 1-line block ×11, first 2 shown]
	s_mov_b32 s0, exec_lo
	s_wait_loadcnt_dscnt 0xb0a
	v_dual_mul_f32 v1, v164, v3 :: v_dual_mul_f32 v30, v166, v5
	s_wait_loadcnt_dscnt 0xa09
	v_dual_mul_f32 v5, v167, v5 :: v_dual_mul_f32 v210, v168, v7
	v_mul_f32_e32 v211, v170, v9
	v_mul_f32_e32 v3, v165, v3
	v_dual_fmac_f32 v1, v165, v2 :: v_dual_fmac_f32 v30, v167, v4
	s_wait_loadcnt_dscnt 0x908
	v_dual_mul_f32 v212, v172, v11 :: v_dual_mul_f32 v213, v174, v13
	s_wait_loadcnt_dscnt 0x201
	v_mul_f32_e32 v226, v200, v157
	v_fma_f32 v3, v164, v2, -v3
	s_wait_loadcnt_dscnt 0x100
	v_mul_f32_e32 v229, v206, v163
	v_mul_f32_e32 v2, v169, v7
	v_fma_f32 v4, v166, v4, -v5
	v_dual_mul_f32 v214, v176, v15 :: v_dual_mul_f32 v215, v178, v17
	v_dual_add_f32 v3, 0, v3 :: v_dual_fmac_f32 v210, v169, v6
	v_dual_mul_f32 v5, v171, v9 :: v_dual_fmac_f32 v212, v173, v10
	v_fma_f32 v2, v168, v6, -v2
	s_delay_alu instid0(VALU_DEP_3) | instskip(NEXT) | instid1(VALU_DEP_3)
	v_dual_add_f32 v3, v3, v4 :: v_dual_fmac_f32 v214, v177, v14
	v_fma_f32 v5, v170, v8, -v5
	v_dual_mul_f32 v216, v180, v19 :: v_dual_mul_f32 v217, v182, v21
	s_delay_alu instid0(VALU_DEP_3) | instskip(SKIP_2) | instid1(VALU_DEP_3)
	v_add_f32_e32 v2, v3, v2
	v_dual_mul_f32 v3, v175, v13 :: v_dual_mul_f32 v218, v184, v23
	v_dual_mul_f32 v219, v186, v25 :: v_dual_mul_f32 v4, v173, v11
	v_add_f32_e32 v2, v2, v5
	v_dual_add_f32 v1, 0, v1 :: v_dual_fmac_f32 v216, v181, v18
	s_delay_alu instid0(VALU_DEP_4) | instskip(NEXT) | instid1(VALU_DEP_4)
	v_fma_f32 v3, v174, v12, -v3
	v_fma_f32 v4, v172, v10, -v4
	v_fmac_f32_e32 v215, v179, v16
	s_delay_alu instid0(VALU_DEP_4) | instskip(SKIP_1) | instid1(VALU_DEP_4)
	v_dual_add_f32 v1, v1, v30 :: v_dual_mul_f32 v222, v192, v149
	v_mul_f32_e32 v223, v194, v151
	v_add_f32_e32 v2, v2, v4
	s_delay_alu instid0(VALU_DEP_3) | instskip(SKIP_2) | instid1(VALU_DEP_3)
	v_dual_mul_f32 v4, v179, v17 :: v_dual_add_f32 v1, v1, v210
	v_dual_fmac_f32 v211, v171, v8 :: v_dual_mul_f32 v220, v188, v27
	v_mul_f32_e32 v221, v190, v29
	v_fma_f32 v4, v178, v16, -v4
	v_mul_f32_e32 v5, v177, v15
	v_add_f32_e32 v2, v2, v3
	v_dual_add_f32 v1, v1, v211 :: v_dual_mul_f32 v224, v196, v153
	v_mul_f32_e32 v225, v198, v155
	s_delay_alu instid0(VALU_DEP_4) | instskip(SKIP_3) | instid1(VALU_DEP_4)
	v_fma_f32 v5, v176, v14, -v5
	v_dual_fmac_f32 v213, v175, v12 :: v_dual_fmac_f32 v218, v185, v22
	v_fmac_f32_e32 v221, v191, v28
	v_dual_fmac_f32 v217, v183, v20 :: v_dual_fmac_f32 v220, v189, v26
	v_add_f32_e32 v2, v2, v5
	v_mul_f32_e32 v5, v183, v21
	v_dual_mul_f32 v227, v202, v159 :: v_dual_mul_f32 v228, v204, v161
	s_delay_alu instid0(VALU_DEP_3) | instskip(NEXT) | instid1(VALU_DEP_3)
	v_dual_fmac_f32 v225, v199, v154 :: v_dual_add_f32 v2, v2, v4
	v_fma_f32 v5, v182, v20, -v5
	v_mul_f32_e32 v3, v181, v19
	v_mul_f32_e32 v4, v185, v23
	v_dual_fmac_f32 v228, v205, v160 :: v_dual_fmac_f32 v227, v203, v158
	v_fmac_f32_e32 v222, v193, v148
	s_delay_alu instid0(VALU_DEP_4) | instskip(SKIP_3) | instid1(VALU_DEP_4)
	v_fma_f32 v3, v180, v18, -v3
	v_add_f32_e32 v1, v1, v212
	v_fma_f32 v4, v184, v22, -v4
	v_dual_fmac_f32 v229, v207, v162 :: v_dual_fmac_f32 v224, v197, v152
	v_dual_add_f32 v2, v2, v3 :: v_dual_mul_f32 v3, v187, v25
	v_fmac_f32_e32 v226, v201, v156
	s_delay_alu instid0(VALU_DEP_2) | instskip(SKIP_1) | instid1(VALU_DEP_4)
	v_add_f32_e32 v2, v2, v5
	v_add_f32_e32 v1, v1, v213
	v_fma_f32 v3, v186, v24, -v3
	s_delay_alu instid0(VALU_DEP_2) | instskip(SKIP_1) | instid1(VALU_DEP_2)
	v_dual_add_f32 v2, v2, v4 :: v_dual_add_f32 v1, v1, v214
	v_mul_f32_e32 v4, v191, v29
	v_dual_fmac_f32 v219, v187, v24 :: v_dual_add_f32 v2, v2, v3
	v_mul_f32_e32 v3, v193, v149
	s_delay_alu instid0(VALU_DEP_3) | instskip(SKIP_1) | instid1(VALU_DEP_3)
	v_fma_f32 v4, v190, v28, -v4
	v_mul_f32_e32 v5, v189, v27
	v_fma_f32 v3, v192, v148, -v3
	s_delay_alu instid0(VALU_DEP_2) | instskip(NEXT) | instid1(VALU_DEP_1)
	v_fma_f32 v5, v188, v26, -v5
	v_dual_add_f32 v1, v1, v215 :: v_dual_add_f32 v2, v2, v5
	s_delay_alu instid0(VALU_DEP_1) | instskip(NEXT) | instid1(VALU_DEP_2)
	v_dual_mul_f32 v5, v195, v151 :: v_dual_add_f32 v2, v2, v4
	v_add_f32_e32 v1, v1, v216
	v_mul_f32_e32 v4, v197, v153
	s_delay_alu instid0(VALU_DEP_3) | instskip(NEXT) | instid1(VALU_DEP_4)
	v_fma_f32 v5, v194, v150, -v5
	v_dual_add_f32 v2, v2, v3 :: v_dual_fmac_f32 v223, v195, v150
	v_mul_f32_e32 v3, v199, v155
	s_delay_alu instid0(VALU_DEP_4) | instskip(NEXT) | instid1(VALU_DEP_3)
	v_fma_f32 v4, v196, v152, -v4
	v_add_f32_e32 v2, v2, v5
	v_add_f32_e32 v1, v1, v217
	s_delay_alu instid0(VALU_DEP_4) | instskip(NEXT) | instid1(VALU_DEP_3)
	v_fma_f32 v3, v198, v154, -v3
	v_dual_add_f32 v2, v2, v4 :: v_dual_mul_f32 v5, v201, v157
	s_delay_alu instid0(VALU_DEP_3) | instskip(NEXT) | instid1(VALU_DEP_2)
	v_dual_add_f32 v1, v1, v218 :: v_dual_mul_f32 v4, v203, v159
	v_add_f32_e32 v2, v2, v3
	s_delay_alu instid0(VALU_DEP_3) | instskip(NEXT) | instid1(VALU_DEP_3)
	v_fma_f32 v5, v200, v156, -v5
	v_add_f32_e32 v1, v1, v219
	v_mul_f32_e32 v3, v205, v161
	v_fma_f32 v4, v202, v158, -v4
	s_delay_alu instid0(VALU_DEP_4) | instskip(NEXT) | instid1(VALU_DEP_3)
	v_dual_add_f32 v2, v2, v5 :: v_dual_mul_f32 v5, v207, v163
	v_fma_f32 v3, v204, v160, -v3
	s_delay_alu instid0(VALU_DEP_2) | instskip(SKIP_1) | instid1(VALU_DEP_4)
	v_add_f32_e32 v2, v2, v4
	v_add_f32_e32 v1, v1, v220
	v_fma_f32 v4, v206, v162, -v5
	s_delay_alu instid0(VALU_DEP_2) | instskip(NEXT) | instid1(VALU_DEP_1)
	v_dual_add_f32 v2, v2, v3 :: v_dual_add_f32 v1, v1, v221
	v_dual_add_f32 v2, v2, v4 :: v_dual_add_f32 v1, v1, v222
	s_delay_alu instid0(VALU_DEP_1) | instskip(NEXT) | instid1(VALU_DEP_1)
	v_add_f32_e32 v1, v1, v223
	v_add_f32_e32 v1, v1, v224
	s_delay_alu instid0(VALU_DEP_1) | instskip(NEXT) | instid1(VALU_DEP_1)
	v_add_f32_e32 v1, v1, v225
	v_add_f32_e32 v1, v1, v226
	;; [unrolled: 3-line block ×3, first 2 shown]
	s_delay_alu instid0(VALU_DEP_1) | instskip(SKIP_1) | instid1(VALU_DEP_1)
	v_add_f32_e32 v3, v1, v229
	s_wait_loadcnt 0x0
	v_dual_sub_f32 v1, v208, v2 :: v_dual_sub_f32 v2, v209, v3
	scratch_store_b64 off, v[1:2], off offset:280
	v_cmpx_lt_u32_e32 34, v0
	s_cbranch_execz .LBB57_293
; %bb.292:
	scratch_load_b64 v[1:2], off, off offset:272
	v_mov_b32_e32 v3, 0
	s_delay_alu instid0(VALU_DEP_1)
	v_mov_b32_e32 v4, v3
	scratch_store_b64 off, v[3:4], off offset:272
	s_wait_loadcnt 0x0
	ds_store_b64 v31, v[1:2]
.LBB57_293:
	s_wait_alu 0xfffe
	s_or_b32 exec_lo, exec_lo, s0
	s_wait_storecnt_dscnt 0x0
	s_barrier_signal -1
	s_barrier_wait -1
	global_inv scope:SCOPE_SE
	s_clause 0xc
	scratch_load_b128 v[2:5], off, off offset:280
	scratch_load_b128 v[6:9], off, off offset:296
	scratch_load_b128 v[10:13], off, off offset:312
	scratch_load_b128 v[14:17], off, off offset:328
	scratch_load_b128 v[18:21], off, off offset:344
	scratch_load_b128 v[22:25], off, off offset:360
	scratch_load_b128 v[26:29], off, off offset:376
	scratch_load_b128 v[148:151], off, off offset:392
	scratch_load_b128 v[152:155], off, off offset:408
	scratch_load_b128 v[156:159], off, off offset:424
	scratch_load_b128 v[160:163], off, off offset:440
	scratch_load_b64 v[208:209], off, off offset:456
	scratch_load_b64 v[210:211], off, off offset:272
	v_mov_b32_e32 v1, 0
	ds_load_2addr_b64 v[164:167], v1 offset0:93 offset1:94
	ds_load_2addr_b64 v[168:171], v1 offset0:95 offset1:96
	ds_load_2addr_b64 v[172:175], v1 offset0:97 offset1:98
	ds_load_2addr_b64 v[176:179], v1 offset0:99 offset1:100
	ds_load_2addr_b64 v[180:183], v1 offset0:101 offset1:102
	ds_load_2addr_b64 v[184:187], v1 offset0:103 offset1:104
	ds_load_2addr_b64 v[188:191], v1 offset0:105 offset1:106
	ds_load_2addr_b64 v[192:195], v1 offset0:107 offset1:108
	ds_load_2addr_b64 v[196:199], v1 offset0:109 offset1:110
	ds_load_2addr_b64 v[200:203], v1 offset0:111 offset1:112
	ds_load_2addr_b64 v[204:207], v1 offset0:113 offset1:114
	ds_load_b64 v[212:213], v1 offset:920
	s_mov_b32 s0, exec_lo
	s_wait_loadcnt_dscnt 0xc0b
	v_mul_f32_e32 v30, v164, v3
	s_wait_loadcnt_dscnt 0xb0a
	v_dual_mul_f32 v214, v166, v5 :: v_dual_mul_f32 v215, v168, v7
	v_mul_f32_e32 v3, v165, v3
	v_mul_f32_e32 v5, v167, v5
	s_wait_loadcnt_dscnt 0xa09
	v_dual_mul_f32 v216, v170, v9 :: v_dual_mul_f32 v217, v172, v11
	s_wait_loadcnt_dscnt 0x605
	v_mul_f32_e32 v226, v190, v29
	v_fma_f32 v3, v164, v2, -v3
	v_fmac_f32_e32 v30, v165, v2
	s_wait_loadcnt_dscnt 0x100
	v_dual_mul_f32 v2, v169, v7 :: v_dual_mul_f32 v235, v212, v209
	s_delay_alu instid0(VALU_DEP_3) | instskip(SKIP_4) | instid1(VALU_DEP_4)
	v_dual_fmac_f32 v214, v167, v4 :: v_dual_add_f32 v3, 0, v3
	v_fma_f32 v4, v166, v4, -v5
	v_dual_add_f32 v5, 0, v30 :: v_dual_fmac_f32 v216, v171, v8
	v_mul_f32_e32 v7, v171, v9
	v_fma_f32 v2, v168, v6, -v2
	v_add_f32_e32 v3, v3, v4
	v_fmac_f32_e32 v215, v169, v6
	v_add_f32_e32 v4, v5, v214
	v_mul_f32_e32 v5, v173, v11
	v_fma_f32 v6, v170, v8, -v7
	v_add_f32_e32 v2, v3, v2
	v_dual_mul_f32 v218, v174, v13 :: v_dual_mul_f32 v219, v176, v15
	v_dual_add_f32 v3, v4, v215 :: v_dual_mul_f32 v4, v175, v13
	v_fma_f32 v5, v172, v10, -v5
	s_delay_alu instid0(VALU_DEP_4)
	v_add_f32_e32 v2, v2, v6
	v_fmac_f32_e32 v217, v173, v10
	v_mul_f32_e32 v6, v177, v15
	v_fmac_f32_e32 v218, v175, v12
	v_add_f32_e32 v3, v3, v216
	v_fma_f32 v4, v174, v12, -v4
	v_add_f32_e32 v2, v2, v5
	v_dual_mul_f32 v220, v178, v17 :: v_dual_mul_f32 v221, v180, v19
	s_delay_alu instid0(VALU_DEP_4)
	v_add_f32_e32 v3, v3, v217
	v_mul_f32_e32 v5, v179, v17
	v_fma_f32 v6, v176, v14, -v6
	v_dual_add_f32 v2, v2, v4 :: v_dual_fmac_f32 v219, v177, v14
	v_fmac_f32_e32 v220, v179, v16
	v_mul_f32_e32 v4, v181, v19
	v_fma_f32 v5, v178, v16, -v5
	s_delay_alu instid0(VALU_DEP_4) | instskip(SKIP_3) | instid1(VALU_DEP_3)
	v_add_f32_e32 v2, v2, v6
	v_add_f32_e32 v3, v3, v218
	v_dual_mul_f32 v6, v183, v21 :: v_dual_fmac_f32 v221, v181, v18
	v_fma_f32 v4, v180, v18, -v4
	v_dual_add_f32 v2, v2, v5 :: v_dual_add_f32 v3, v3, v219
	v_dual_mul_f32 v222, v182, v21 :: v_dual_mul_f32 v223, v184, v23
	s_delay_alu instid0(VALU_DEP_4) | instskip(NEXT) | instid1(VALU_DEP_3)
	v_fma_f32 v6, v182, v20, -v6
	v_add_f32_e32 v2, v2, v4
	s_delay_alu instid0(VALU_DEP_4) | instskip(NEXT) | instid1(VALU_DEP_4)
	v_add_f32_e32 v3, v3, v220
	v_dual_mul_f32 v5, v185, v23 :: v_dual_fmac_f32 v222, v183, v20
	v_dual_mul_f32 v224, v186, v25 :: v_dual_mul_f32 v225, v188, v27
	s_delay_alu instid0(VALU_DEP_3) | instskip(SKIP_1) | instid1(VALU_DEP_4)
	v_dual_add_f32 v2, v2, v6 :: v_dual_add_f32 v3, v3, v221
	v_dual_mul_f32 v4, v187, v25 :: v_dual_fmac_f32 v223, v185, v22
	v_fma_f32 v5, v184, v22, -v5
	s_delay_alu instid0(VALU_DEP_3) | instskip(SKIP_1) | instid1(VALU_DEP_4)
	v_dual_mul_f32 v6, v189, v27 :: v_dual_add_f32 v3, v3, v222
	v_dual_fmac_f32 v224, v187, v24 :: v_dual_fmac_f32 v225, v189, v26
	v_fma_f32 v4, v186, v24, -v4
	s_delay_alu instid0(VALU_DEP_3) | instskip(SKIP_3) | instid1(VALU_DEP_4)
	v_dual_add_f32 v2, v2, v5 :: v_dual_add_f32 v3, v3, v223
	v_mul_f32_e32 v5, v191, v29
	v_fma_f32 v6, v188, v26, -v6
	v_dual_mul_f32 v227, v192, v149 :: v_dual_mul_f32 v228, v194, v151
	v_add_f32_e32 v2, v2, v4
	v_dual_add_f32 v3, v3, v224 :: v_dual_mul_f32 v4, v193, v149
	v_fmac_f32_e32 v226, v191, v28
	v_fma_f32 v5, v190, v28, -v5
	s_delay_alu instid0(VALU_DEP_3) | instskip(SKIP_2) | instid1(VALU_DEP_3)
	v_dual_add_f32 v2, v2, v6 :: v_dual_add_f32 v3, v3, v225
	v_dual_mul_f32 v6, v195, v151 :: v_dual_fmac_f32 v227, v193, v148
	v_fma_f32 v4, v192, v148, -v4
	v_add_f32_e32 v2, v2, v5
	v_mul_f32_e32 v5, v197, v153
	v_add_f32_e32 v3, v3, v226
	v_dual_mul_f32 v229, v196, v153 :: v_dual_mul_f32 v230, v198, v155
	v_fmac_f32_e32 v228, v195, v150
	v_fma_f32 v6, v194, v150, -v6
	s_delay_alu instid0(VALU_DEP_4) | instskip(SKIP_2) | instid1(VALU_DEP_2)
	v_dual_add_f32 v2, v2, v4 :: v_dual_add_f32 v3, v3, v227
	v_dual_mul_f32 v231, v200, v157 :: v_dual_mul_f32 v232, v202, v159
	v_dual_mul_f32 v233, v204, v161 :: v_dual_mul_f32 v234, v206, v163
	v_dual_mul_f32 v4, v199, v155 :: v_dual_fmac_f32 v231, v201, v156
	v_fmac_f32_e32 v229, v197, v152
	v_fma_f32 v5, v196, v152, -v5
	v_dual_add_f32 v2, v2, v6 :: v_dual_add_f32 v3, v3, v228
	v_mul_f32_e32 v6, v201, v157
	v_dual_fmac_f32 v230, v199, v154 :: v_dual_fmac_f32 v233, v205, v160
	v_fma_f32 v4, v198, v154, -v4
	s_delay_alu instid0(VALU_DEP_4) | instskip(SKIP_3) | instid1(VALU_DEP_3)
	v_add_f32_e32 v3, v3, v229
	v_dual_add_f32 v2, v2, v5 :: v_dual_mul_f32 v5, v203, v159
	v_fma_f32 v6, v200, v156, -v6
	v_fmac_f32_e32 v232, v203, v158
	v_dual_add_f32 v3, v3, v230 :: v_dual_add_f32 v2, v2, v4
	v_mul_f32_e32 v4, v205, v161
	v_fma_f32 v5, v202, v158, -v5
	v_fmac_f32_e32 v234, v207, v162
	s_delay_alu instid0(VALU_DEP_4) | instskip(SKIP_2) | instid1(VALU_DEP_3)
	v_dual_add_f32 v3, v3, v231 :: v_dual_add_f32 v2, v2, v6
	v_dual_mul_f32 v6, v207, v163 :: v_dual_fmac_f32 v235, v213, v208
	v_fma_f32 v4, v204, v160, -v4
	v_add_f32_e32 v2, v2, v5
	v_mul_f32_e32 v5, v213, v209
	v_add_f32_e32 v3, v3, v232
	v_fma_f32 v6, v206, v162, -v6
	s_delay_alu instid0(VALU_DEP_2) | instskip(NEXT) | instid1(VALU_DEP_1)
	v_add_f32_e32 v3, v3, v233
	v_dual_add_f32 v3, v3, v234 :: v_dual_add_f32 v2, v2, v4
	v_fma_f32 v4, v212, v208, -v5
	s_delay_alu instid0(VALU_DEP_2) | instskip(SKIP_1) | instid1(VALU_DEP_1)
	v_dual_add_f32 v3, v3, v235 :: v_dual_add_f32 v2, v2, v6
	s_wait_loadcnt 0x0
	v_dual_sub_f32 v3, v211, v3 :: v_dual_add_f32 v2, v2, v4
	s_delay_alu instid0(VALU_DEP_1)
	v_sub_f32_e32 v2, v210, v2
	scratch_store_b64 off, v[2:3], off offset:272
	v_cmpx_lt_u32_e32 33, v0
	s_cbranch_execz .LBB57_295
; %bb.294:
	scratch_load_b64 v[3:4], off, off offset:264
	v_mov_b32_e32 v2, v1
	scratch_store_b64 off, v[1:2], off offset:264
	s_wait_loadcnt 0x0
	ds_store_b64 v31, v[3:4]
.LBB57_295:
	s_wait_alu 0xfffe
	s_or_b32 exec_lo, exec_lo, s0
	s_wait_storecnt_dscnt 0x0
	s_barrier_signal -1
	s_barrier_wait -1
	global_inv scope:SCOPE_SE
	s_clause 0xc
	scratch_load_b128 v[2:5], off, off offset:272
	scratch_load_b128 v[6:9], off, off offset:288
	scratch_load_b128 v[10:13], off, off offset:304
	scratch_load_b128 v[14:17], off, off offset:320
	scratch_load_b128 v[18:21], off, off offset:336
	scratch_load_b128 v[22:25], off, off offset:352
	scratch_load_b128 v[26:29], off, off offset:368
	scratch_load_b128 v[148:151], off, off offset:384
	scratch_load_b128 v[152:155], off, off offset:400
	scratch_load_b128 v[156:159], off, off offset:416
	scratch_load_b128 v[160:163], off, off offset:432
	scratch_load_b128 v[164:167], off, off offset:448
	scratch_load_b64 v[216:217], off, off offset:264
	ds_load_b128 v[168:171], v1 offset:736
	ds_load_b128 v[172:175], v1 offset:752
	;; [unrolled: 1-line block ×12, first 2 shown]
	s_mov_b32 s0, exec_lo
	s_wait_loadcnt_dscnt 0xc0b
	v_dual_mul_f32 v1, v168, v3 :: v_dual_mul_f32 v30, v170, v5
	s_wait_loadcnt_dscnt 0xb0a
	v_dual_mul_f32 v5, v171, v5 :: v_dual_mul_f32 v218, v172, v7
	v_mul_f32_e32 v219, v174, v9
	s_delay_alu instid0(VALU_DEP_3)
	v_fmac_f32_e32 v1, v169, v2
	v_dual_mul_f32 v3, v169, v3 :: v_dual_fmac_f32 v30, v171, v4
	s_wait_loadcnt_dscnt 0xa09
	v_dual_mul_f32 v220, v176, v11 :: v_dual_mul_f32 v221, v178, v13
	s_wait_loadcnt_dscnt 0x201
	v_mul_f32_e32 v236, v208, v161
	v_fma_f32 v3, v168, v2, -v3
	s_wait_loadcnt_dscnt 0x100
	v_mul_f32_e32 v239, v214, v167
	v_mul_f32_e32 v2, v173, v7
	v_fma_f32 v4, v170, v4, -v5
	v_dual_mul_f32 v222, v180, v15 :: v_dual_mul_f32 v223, v182, v17
	v_dual_add_f32 v3, 0, v3 :: v_dual_fmac_f32 v218, v173, v6
	v_dual_mul_f32 v5, v175, v9 :: v_dual_fmac_f32 v220, v177, v10
	v_fma_f32 v2, v172, v6, -v2
	s_delay_alu instid0(VALU_DEP_3) | instskip(NEXT) | instid1(VALU_DEP_3)
	v_dual_add_f32 v3, v3, v4 :: v_dual_fmac_f32 v222, v181, v14
	v_fma_f32 v5, v174, v8, -v5
	v_dual_mul_f32 v224, v184, v19 :: v_dual_mul_f32 v225, v186, v21
	s_delay_alu instid0(VALU_DEP_3) | instskip(SKIP_2) | instid1(VALU_DEP_3)
	v_add_f32_e32 v2, v3, v2
	v_dual_mul_f32 v3, v179, v13 :: v_dual_mul_f32 v226, v188, v23
	v_dual_mul_f32 v227, v190, v25 :: v_dual_mul_f32 v4, v177, v11
	v_add_f32_e32 v2, v2, v5
	v_dual_add_f32 v1, 0, v1 :: v_dual_fmac_f32 v224, v185, v18
	s_delay_alu instid0(VALU_DEP_4) | instskip(NEXT) | instid1(VALU_DEP_4)
	v_fma_f32 v3, v178, v12, -v3
	v_fma_f32 v4, v176, v10, -v4
	v_fmac_f32_e32 v223, v183, v16
	s_delay_alu instid0(VALU_DEP_4) | instskip(SKIP_1) | instid1(VALU_DEP_4)
	v_dual_add_f32 v1, v1, v30 :: v_dual_mul_f32 v230, v196, v149
	v_mul_f32_e32 v231, v198, v151
	v_add_f32_e32 v2, v2, v4
	s_delay_alu instid0(VALU_DEP_3) | instskip(SKIP_2) | instid1(VALU_DEP_3)
	v_dual_mul_f32 v4, v183, v17 :: v_dual_add_f32 v1, v1, v218
	v_dual_fmac_f32 v219, v175, v8 :: v_dual_mul_f32 v228, v192, v27
	v_mul_f32_e32 v229, v194, v29
	v_fma_f32 v4, v182, v16, -v4
	v_mul_f32_e32 v5, v181, v15
	v_add_f32_e32 v2, v2, v3
	v_dual_add_f32 v1, v1, v219 :: v_dual_mul_f32 v232, v200, v153
	v_mul_f32_e32 v233, v202, v155
	s_delay_alu instid0(VALU_DEP_4) | instskip(SKIP_3) | instid1(VALU_DEP_4)
	v_fma_f32 v5, v180, v14, -v5
	v_fmac_f32_e32 v221, v179, v12
	v_dual_fmac_f32 v229, v195, v28 :: v_dual_fmac_f32 v226, v189, v22
	v_dual_mul_f32 v234, v204, v157 :: v_dual_mul_f32 v235, v206, v159
	v_add_f32_e32 v2, v2, v5
	v_mul_f32_e32 v5, v187, v21
	v_dual_fmac_f32 v225, v187, v20 :: v_dual_fmac_f32 v228, v193, v26
	v_dual_mul_f32 v237, v210, v163 :: v_dual_mul_f32 v238, v212, v165
	s_delay_alu instid0(VALU_DEP_3) | instskip(SKIP_3) | instid1(VALU_DEP_3)
	v_fma_f32 v5, v186, v20, -v5
	v_dual_mul_f32 v3, v185, v19 :: v_dual_add_f32 v2, v2, v4
	v_dual_mul_f32 v4, v189, v23 :: v_dual_fmac_f32 v235, v207, v158
	v_dual_fmac_f32 v233, v203, v154 :: v_dual_fmac_f32 v236, v209, v160
	v_fma_f32 v3, v184, v18, -v3
	v_add_f32_e32 v1, v1, v220
	s_delay_alu instid0(VALU_DEP_4) | instskip(SKIP_1) | instid1(VALU_DEP_4)
	v_fma_f32 v4, v188, v22, -v4
	v_dual_fmac_f32 v230, v197, v148 :: v_dual_fmac_f32 v239, v215, v166
	v_dual_add_f32 v2, v2, v3 :: v_dual_mul_f32 v3, v191, v25
	v_fmac_f32_e32 v232, v201, v152
	v_fmac_f32_e32 v234, v205, v156
	;; [unrolled: 1-line block ×3, first 2 shown]
	s_delay_alu instid0(VALU_DEP_4) | instskip(SKIP_2) | instid1(VALU_DEP_2)
	v_add_f32_e32 v2, v2, v5
	v_add_f32_e32 v1, v1, v221
	v_fma_f32 v3, v190, v24, -v3
	v_dual_add_f32 v2, v2, v4 :: v_dual_add_f32 v1, v1, v222
	v_mul_f32_e32 v4, v195, v29
	s_delay_alu instid0(VALU_DEP_2) | instskip(SKIP_1) | instid1(VALU_DEP_3)
	v_dual_fmac_f32 v227, v191, v24 :: v_dual_add_f32 v2, v2, v3
	v_mul_f32_e32 v3, v197, v149
	v_fma_f32 v4, v194, v28, -v4
	v_mul_f32_e32 v5, v193, v27
	s_delay_alu instid0(VALU_DEP_3) | instskip(NEXT) | instid1(VALU_DEP_2)
	v_fma_f32 v3, v196, v148, -v3
	v_fma_f32 v5, v192, v26, -v5
	s_delay_alu instid0(VALU_DEP_1) | instskip(NEXT) | instid1(VALU_DEP_1)
	v_dual_add_f32 v1, v1, v223 :: v_dual_add_f32 v2, v2, v5
	v_dual_mul_f32 v5, v199, v151 :: v_dual_add_f32 v2, v2, v4
	s_delay_alu instid0(VALU_DEP_2) | instskip(SKIP_1) | instid1(VALU_DEP_3)
	v_add_f32_e32 v1, v1, v224
	v_mul_f32_e32 v4, v201, v153
	v_fma_f32 v5, v198, v150, -v5
	s_delay_alu instid0(VALU_DEP_4) | instskip(SKIP_1) | instid1(VALU_DEP_4)
	v_dual_add_f32 v2, v2, v3 :: v_dual_fmac_f32 v231, v199, v150
	v_mul_f32_e32 v3, v203, v155
	v_fma_f32 v4, v200, v152, -v4
	s_delay_alu instid0(VALU_DEP_3) | instskip(SKIP_1) | instid1(VALU_DEP_4)
	v_add_f32_e32 v2, v2, v5
	v_add_f32_e32 v1, v1, v225
	v_fma_f32 v3, v202, v154, -v3
	s_delay_alu instid0(VALU_DEP_3) | instskip(NEXT) | instid1(VALU_DEP_3)
	v_dual_add_f32 v2, v2, v4 :: v_dual_mul_f32 v5, v205, v157
	v_dual_add_f32 v1, v1, v226 :: v_dual_mul_f32 v4, v207, v159
	s_delay_alu instid0(VALU_DEP_2) | instskip(NEXT) | instid1(VALU_DEP_3)
	v_add_f32_e32 v2, v2, v3
	v_fma_f32 v5, v204, v156, -v5
	s_delay_alu instid0(VALU_DEP_3) | instskip(SKIP_2) | instid1(VALU_DEP_4)
	v_add_f32_e32 v1, v1, v227
	v_mul_f32_e32 v3, v209, v161
	v_fma_f32 v4, v206, v158, -v4
	v_dual_add_f32 v2, v2, v5 :: v_dual_mul_f32 v5, v211, v163
	s_delay_alu instid0(VALU_DEP_3) | instskip(NEXT) | instid1(VALU_DEP_2)
	v_fma_f32 v3, v208, v160, -v3
	v_add_f32_e32 v2, v2, v4
	v_add_f32_e32 v1, v1, v228
	v_mul_f32_e32 v4, v213, v165
	v_fma_f32 v5, v210, v162, -v5
	s_delay_alu instid0(VALU_DEP_4) | instskip(SKIP_1) | instid1(VALU_DEP_4)
	v_dual_add_f32 v2, v2, v3 :: v_dual_fmac_f32 v237, v211, v162
	v_mul_f32_e32 v3, v215, v167
	v_fma_f32 v4, v212, v164, -v4
	s_delay_alu instid0(VALU_DEP_3) | instskip(SKIP_1) | instid1(VALU_DEP_4)
	v_add_f32_e32 v2, v2, v5
	v_add_f32_e32 v1, v1, v229
	v_fma_f32 v3, v214, v166, -v3
	s_delay_alu instid0(VALU_DEP_2) | instskip(NEXT) | instid1(VALU_DEP_1)
	v_dual_add_f32 v2, v2, v4 :: v_dual_add_f32 v1, v1, v230
	v_add_f32_e32 v2, v2, v3
	s_delay_alu instid0(VALU_DEP_2) | instskip(NEXT) | instid1(VALU_DEP_1)
	v_add_f32_e32 v1, v1, v231
	v_add_f32_e32 v1, v1, v232
	s_delay_alu instid0(VALU_DEP_1) | instskip(NEXT) | instid1(VALU_DEP_1)
	v_add_f32_e32 v1, v1, v233
	v_add_f32_e32 v1, v1, v234
	s_delay_alu instid0(VALU_DEP_1) | instskip(NEXT) | instid1(VALU_DEP_1)
	;; [unrolled: 3-line block ×3, first 2 shown]
	v_add_f32_e32 v1, v1, v237
	v_add_f32_e32 v1, v1, v238
	s_delay_alu instid0(VALU_DEP_1) | instskip(SKIP_1) | instid1(VALU_DEP_1)
	v_add_f32_e32 v3, v1, v239
	s_wait_loadcnt 0x0
	v_dual_sub_f32 v1, v216, v2 :: v_dual_sub_f32 v2, v217, v3
	scratch_store_b64 off, v[1:2], off offset:264
	v_cmpx_lt_u32_e32 32, v0
	s_cbranch_execz .LBB57_297
; %bb.296:
	scratch_load_b64 v[1:2], off, off offset:256
	v_mov_b32_e32 v3, 0
	s_delay_alu instid0(VALU_DEP_1)
	v_mov_b32_e32 v4, v3
	scratch_store_b64 off, v[3:4], off offset:256
	s_wait_loadcnt 0x0
	ds_store_b64 v31, v[1:2]
.LBB57_297:
	s_wait_alu 0xfffe
	s_or_b32 exec_lo, exec_lo, s0
	s_wait_storecnt_dscnt 0x0
	s_barrier_signal -1
	s_barrier_wait -1
	global_inv scope:SCOPE_SE
	s_clause 0xd
	scratch_load_b128 v[2:5], off, off offset:264
	scratch_load_b128 v[6:9], off, off offset:280
	scratch_load_b128 v[10:13], off, off offset:296
	scratch_load_b128 v[14:17], off, off offset:312
	scratch_load_b128 v[18:21], off, off offset:328
	scratch_load_b128 v[22:25], off, off offset:344
	scratch_load_b128 v[26:29], off, off offset:360
	scratch_load_b128 v[148:151], off, off offset:376
	scratch_load_b128 v[152:155], off, off offset:392
	scratch_load_b128 v[156:159], off, off offset:408
	scratch_load_b128 v[160:163], off, off offset:424
	scratch_load_b128 v[164:167], off, off offset:440
	scratch_load_b64 v[216:217], off, off offset:456
	scratch_load_b64 v[218:219], off, off offset:256
	v_mov_b32_e32 v1, 0
	ds_load_2addr_b64 v[168:171], v1 offset0:91 offset1:92
	ds_load_2addr_b64 v[172:175], v1 offset0:93 offset1:94
	;; [unrolled: 1-line block ×12, first 2 shown]
	ds_load_b64 v[220:221], v1 offset:920
	s_mov_b32 s0, exec_lo
	s_wait_loadcnt_dscnt 0xd0c
	v_mul_f32_e32 v30, v168, v3
	s_wait_loadcnt_dscnt 0xc0b
	v_dual_mul_f32 v222, v170, v5 :: v_dual_mul_f32 v223, v172, v7
	v_mul_f32_e32 v3, v169, v3
	v_mul_f32_e32 v5, v171, v5
	s_wait_loadcnt_dscnt 0xb0a
	v_dual_mul_f32 v224, v174, v9 :: v_dual_mul_f32 v225, v176, v11
	s_wait_loadcnt_dscnt 0x706
	v_mul_f32_e32 v234, v194, v29
	v_fma_f32 v3, v168, v2, -v3
	v_fmac_f32_e32 v30, v169, v2
	v_mul_f32_e32 v2, v173, v7
	s_wait_loadcnt_dscnt 0x100
	v_dual_fmac_f32 v222, v171, v4 :: v_dual_mul_f32 v245, v220, v217
	v_fma_f32 v4, v170, v4, -v5
	v_add_f32_e32 v3, 0, v3
	v_dual_add_f32 v5, 0, v30 :: v_dual_fmac_f32 v224, v175, v8
	v_mul_f32_e32 v7, v175, v9
	v_fma_f32 v2, v172, v6, -v2
	s_delay_alu instid0(VALU_DEP_4)
	v_add_f32_e32 v3, v3, v4
	v_fmac_f32_e32 v223, v173, v6
	v_add_f32_e32 v4, v5, v222
	v_mul_f32_e32 v5, v177, v11
	v_fma_f32 v6, v174, v8, -v7
	v_add_f32_e32 v2, v3, v2
	v_dual_mul_f32 v226, v178, v13 :: v_dual_mul_f32 v227, v180, v15
	v_dual_add_f32 v3, v4, v223 :: v_dual_mul_f32 v4, v179, v13
	v_fma_f32 v5, v176, v10, -v5
	s_delay_alu instid0(VALU_DEP_4)
	v_add_f32_e32 v2, v2, v6
	v_fmac_f32_e32 v225, v177, v10
	v_mul_f32_e32 v6, v181, v15
	v_fmac_f32_e32 v226, v179, v12
	v_add_f32_e32 v3, v3, v224
	v_fma_f32 v4, v178, v12, -v4
	v_add_f32_e32 v2, v2, v5
	v_dual_mul_f32 v228, v182, v17 :: v_dual_mul_f32 v229, v184, v19
	s_delay_alu instid0(VALU_DEP_4)
	v_add_f32_e32 v3, v3, v225
	v_mul_f32_e32 v5, v183, v17
	v_fma_f32 v6, v180, v14, -v6
	v_dual_add_f32 v2, v2, v4 :: v_dual_fmac_f32 v227, v181, v14
	v_fmac_f32_e32 v228, v183, v16
	v_mul_f32_e32 v4, v185, v19
	v_fma_f32 v5, v182, v16, -v5
	s_delay_alu instid0(VALU_DEP_4) | instskip(SKIP_3) | instid1(VALU_DEP_3)
	v_add_f32_e32 v2, v2, v6
	v_add_f32_e32 v3, v3, v226
	v_dual_mul_f32 v6, v187, v21 :: v_dual_fmac_f32 v229, v185, v18
	v_fma_f32 v4, v184, v18, -v4
	v_dual_add_f32 v2, v2, v5 :: v_dual_add_f32 v3, v3, v227
	v_dual_mul_f32 v230, v186, v21 :: v_dual_mul_f32 v231, v188, v23
	s_delay_alu instid0(VALU_DEP_4) | instskip(NEXT) | instid1(VALU_DEP_3)
	v_fma_f32 v6, v186, v20, -v6
	v_add_f32_e32 v2, v2, v4
	s_delay_alu instid0(VALU_DEP_4) | instskip(NEXT) | instid1(VALU_DEP_4)
	v_add_f32_e32 v3, v3, v228
	v_dual_mul_f32 v5, v189, v23 :: v_dual_fmac_f32 v230, v187, v20
	v_dual_mul_f32 v232, v190, v25 :: v_dual_mul_f32 v233, v192, v27
	s_delay_alu instid0(VALU_DEP_3) | instskip(SKIP_1) | instid1(VALU_DEP_4)
	v_dual_add_f32 v2, v2, v6 :: v_dual_add_f32 v3, v3, v229
	v_dual_mul_f32 v4, v191, v25 :: v_dual_fmac_f32 v231, v189, v22
	v_fma_f32 v5, v188, v22, -v5
	s_delay_alu instid0(VALU_DEP_3) | instskip(SKIP_1) | instid1(VALU_DEP_4)
	v_dual_mul_f32 v6, v193, v27 :: v_dual_add_f32 v3, v3, v230
	v_dual_fmac_f32 v232, v191, v24 :: v_dual_fmac_f32 v233, v193, v26
	v_fma_f32 v4, v190, v24, -v4
	s_delay_alu instid0(VALU_DEP_3) | instskip(SKIP_3) | instid1(VALU_DEP_4)
	v_dual_add_f32 v2, v2, v5 :: v_dual_add_f32 v3, v3, v231
	v_mul_f32_e32 v5, v195, v29
	v_fma_f32 v6, v192, v26, -v6
	v_dual_mul_f32 v235, v196, v149 :: v_dual_mul_f32 v236, v198, v151
	v_add_f32_e32 v2, v2, v4
	v_dual_add_f32 v3, v3, v232 :: v_dual_mul_f32 v4, v197, v149
	v_fmac_f32_e32 v234, v195, v28
	v_fma_f32 v5, v194, v28, -v5
	s_delay_alu instid0(VALU_DEP_3) | instskip(SKIP_2) | instid1(VALU_DEP_3)
	v_dual_add_f32 v2, v2, v6 :: v_dual_add_f32 v3, v3, v233
	v_dual_mul_f32 v6, v199, v151 :: v_dual_fmac_f32 v235, v197, v148
	v_fma_f32 v4, v196, v148, -v4
	v_add_f32_e32 v2, v2, v5
	v_mul_f32_e32 v5, v201, v153
	v_add_f32_e32 v3, v3, v234
	v_dual_mul_f32 v237, v200, v153 :: v_dual_mul_f32 v238, v202, v155
	v_fmac_f32_e32 v236, v199, v150
	v_fma_f32 v6, v198, v150, -v6
	s_delay_alu instid0(VALU_DEP_4) | instskip(SKIP_2) | instid1(VALU_DEP_2)
	v_dual_add_f32 v2, v2, v4 :: v_dual_add_f32 v3, v3, v235
	v_dual_mul_f32 v239, v204, v157 :: v_dual_mul_f32 v240, v206, v159
	v_dual_mul_f32 v241, v208, v161 :: v_dual_mul_f32 v242, v210, v163
	v_dual_mul_f32 v4, v203, v155 :: v_dual_fmac_f32 v239, v205, v156
	v_fmac_f32_e32 v237, v201, v152
	v_fma_f32 v5, v200, v152, -v5
	v_dual_add_f32 v2, v2, v6 :: v_dual_add_f32 v3, v3, v236
	v_mul_f32_e32 v6, v205, v157
	v_dual_fmac_f32 v238, v203, v154 :: v_dual_fmac_f32 v241, v209, v160
	v_fma_f32 v4, v202, v154, -v4
	s_delay_alu instid0(VALU_DEP_4) | instskip(SKIP_3) | instid1(VALU_DEP_3)
	v_add_f32_e32 v3, v3, v237
	v_dual_add_f32 v2, v2, v5 :: v_dual_mul_f32 v5, v207, v159
	v_fma_f32 v6, v204, v156, -v6
	v_fmac_f32_e32 v240, v207, v158
	v_dual_add_f32 v3, v3, v238 :: v_dual_add_f32 v2, v2, v4
	v_mul_f32_e32 v4, v209, v161
	v_fma_f32 v5, v206, v158, -v5
	v_dual_mul_f32 v243, v212, v165 :: v_dual_mul_f32 v244, v214, v167
	s_delay_alu instid0(VALU_DEP_4) | instskip(NEXT) | instid1(VALU_DEP_2)
	v_dual_add_f32 v3, v3, v239 :: v_dual_add_f32 v2, v2, v6
	v_dual_mul_f32 v6, v211, v163 :: v_dual_fmac_f32 v243, v213, v164
	v_dual_fmac_f32 v242, v211, v162 :: v_dual_fmac_f32 v245, v221, v216
	s_delay_alu instid0(VALU_DEP_3)
	v_add_f32_e32 v2, v2, v5
	v_mul_f32_e32 v5, v213, v165
	v_add_f32_e32 v3, v3, v240
	v_fma_f32 v6, v210, v162, -v6
	v_fma_f32 v4, v208, v160, -v4
	v_fmac_f32_e32 v244, v215, v166
	v_fma_f32 v5, v212, v164, -v5
	v_add_f32_e32 v3, v3, v241
	s_delay_alu instid0(VALU_DEP_1) | instskip(SKIP_1) | instid1(VALU_DEP_2)
	v_dual_add_f32 v3, v3, v242 :: v_dual_add_f32 v2, v2, v4
	v_mul_f32_e32 v4, v215, v167
	v_dual_add_f32 v3, v3, v243 :: v_dual_add_f32 v2, v2, v6
	v_mul_f32_e32 v6, v221, v217
	s_delay_alu instid0(VALU_DEP_3) | instskip(NEXT) | instid1(VALU_DEP_3)
	v_fma_f32 v4, v214, v166, -v4
	v_add_f32_e32 v3, v3, v244
	s_delay_alu instid0(VALU_DEP_1) | instskip(SKIP_3) | instid1(VALU_DEP_2)
	v_add_f32_e32 v3, v3, v245
	v_add_f32_e32 v2, v2, v5
	v_fma_f32 v5, v220, v216, -v6
	s_wait_loadcnt 0x0
	v_dual_sub_f32 v3, v219, v3 :: v_dual_add_f32 v2, v2, v4
	s_delay_alu instid0(VALU_DEP_1) | instskip(NEXT) | instid1(VALU_DEP_1)
	v_add_f32_e32 v2, v2, v5
	v_sub_f32_e32 v2, v218, v2
	scratch_store_b64 off, v[2:3], off offset:256
	v_cmpx_lt_u32_e32 31, v0
	s_cbranch_execz .LBB57_299
; %bb.298:
	scratch_load_b64 v[3:4], off, off offset:248
	v_mov_b32_e32 v2, v1
	scratch_store_b64 off, v[1:2], off offset:248
	s_wait_loadcnt 0x0
	ds_store_b64 v31, v[3:4]
.LBB57_299:
	s_wait_alu 0xfffe
	s_or_b32 exec_lo, exec_lo, s0
	s_wait_storecnt_dscnt 0x0
	s_barrier_signal -1
	s_barrier_wait -1
	global_inv scope:SCOPE_SE
	s_clause 0xd
	scratch_load_b128 v[2:5], off, off offset:256
	scratch_load_b128 v[6:9], off, off offset:272
	scratch_load_b128 v[10:13], off, off offset:288
	scratch_load_b128 v[14:17], off, off offset:304
	scratch_load_b128 v[18:21], off, off offset:320
	scratch_load_b128 v[22:25], off, off offset:336
	scratch_load_b128 v[26:29], off, off offset:352
	scratch_load_b128 v[148:151], off, off offset:368
	scratch_load_b128 v[152:155], off, off offset:384
	scratch_load_b128 v[156:159], off, off offset:400
	scratch_load_b128 v[160:163], off, off offset:416
	scratch_load_b128 v[164:167], off, off offset:432
	scratch_load_b128 v[168:171], off, off offset:448
	scratch_load_b64 v[224:225], off, off offset:248
	ds_load_b128 v[172:175], v1 offset:720
	ds_load_b128 v[176:179], v1 offset:736
	;; [unrolled: 1-line block ×13, first 2 shown]
	s_mov_b32 s0, exec_lo
	s_wait_loadcnt_dscnt 0xd0c
	v_dual_mul_f32 v1, v172, v3 :: v_dual_mul_f32 v30, v174, v5
	s_wait_loadcnt_dscnt 0xc0b
	v_dual_mul_f32 v5, v175, v5 :: v_dual_mul_f32 v226, v176, v7
	v_mul_f32_e32 v227, v178, v9
	s_wait_loadcnt_dscnt 0xb0a
	v_dual_fmac_f32 v1, v173, v2 :: v_dual_mul_f32 v228, v180, v11
	v_mul_f32_e32 v229, v182, v13
	v_dual_mul_f32 v3, v173, v3 :: v_dual_fmac_f32 v30, v175, v4
	s_wait_loadcnt_dscnt 0xa09
	v_dual_mul_f32 v230, v184, v15 :: v_dual_mul_f32 v231, v186, v17
	s_wait_loadcnt_dscnt 0x201
	v_mul_f32_e32 v246, v216, v165
	v_fma_f32 v3, v172, v2, -v3
	s_wait_loadcnt_dscnt 0x100
	v_mul_f32_e32 v249, v222, v171
	v_mul_f32_e32 v2, v177, v7
	v_fma_f32 v4, v174, v4, -v5
	v_dual_mul_f32 v5, v179, v9 :: v_dual_fmac_f32 v228, v181, v10
	v_dual_add_f32 v3, 0, v3 :: v_dual_fmac_f32 v226, v177, v6
	s_delay_alu instid0(VALU_DEP_4) | instskip(NEXT) | instid1(VALU_DEP_3)
	v_fma_f32 v2, v176, v6, -v2
	v_fma_f32 v5, v178, v8, -v5
	s_delay_alu instid0(VALU_DEP_3) | instskip(SKIP_2) | instid1(VALU_DEP_3)
	v_dual_fmac_f32 v230, v185, v14 :: v_dual_add_f32 v3, v3, v4
	v_dual_mul_f32 v232, v188, v19 :: v_dual_mul_f32 v233, v190, v21
	v_dual_mul_f32 v234, v192, v23 :: v_dual_mul_f32 v235, v194, v25
	v_add_f32_e32 v2, v3, v2
	s_delay_alu instid0(VALU_DEP_3) | instskip(SKIP_1) | instid1(VALU_DEP_3)
	v_dual_mul_f32 v3, v183, v13 :: v_dual_fmac_f32 v232, v189, v18
	v_dual_mul_f32 v4, v181, v11 :: v_dual_fmac_f32 v231, v187, v16
	v_add_f32_e32 v2, v2, v5
	v_add_f32_e32 v1, 0, v1
	s_delay_alu instid0(VALU_DEP_4) | instskip(NEXT) | instid1(VALU_DEP_4)
	v_fma_f32 v3, v182, v12, -v3
	v_fma_f32 v4, v180, v10, -v4
	v_dual_mul_f32 v238, v200, v149 :: v_dual_mul_f32 v239, v202, v151
	s_delay_alu instid0(VALU_DEP_4) | instskip(SKIP_1) | instid1(VALU_DEP_4)
	v_dual_add_f32 v1, v1, v30 :: v_dual_mul_f32 v236, v196, v27
	v_mul_f32_e32 v237, v198, v29
	v_add_f32_e32 v2, v2, v4
	s_delay_alu instid0(VALU_DEP_3) | instskip(SKIP_2) | instid1(VALU_DEP_3)
	v_dual_mul_f32 v4, v187, v17 :: v_dual_add_f32 v1, v1, v226
	v_dual_fmac_f32 v227, v179, v8 :: v_dual_mul_f32 v240, v204, v153
	v_mul_f32_e32 v241, v206, v155
	v_fma_f32 v4, v186, v16, -v4
	v_mul_f32_e32 v5, v185, v15
	v_add_f32_e32 v2, v2, v3
	v_add_f32_e32 v1, v1, v227
	v_dual_fmac_f32 v237, v199, v28 :: v_dual_mul_f32 v242, v208, v157
	v_mul_f32_e32 v243, v210, v159
	v_fma_f32 v5, v184, v14, -v5
	v_dual_fmac_f32 v229, v183, v12 :: v_dual_fmac_f32 v234, v193, v22
	v_dual_fmac_f32 v233, v191, v20 :: v_dual_fmac_f32 v236, v197, v26
	s_delay_alu instid0(VALU_DEP_3) | instskip(SKIP_2) | instid1(VALU_DEP_3)
	v_add_f32_e32 v2, v2, v5
	v_mul_f32_e32 v5, v191, v21
	v_dual_mul_f32 v244, v212, v161 :: v_dual_mul_f32 v245, v214, v163
	v_dual_fmac_f32 v243, v211, v158 :: v_dual_add_f32 v2, v2, v4
	s_delay_alu instid0(VALU_DEP_3) | instskip(SKIP_4) | instid1(VALU_DEP_4)
	v_fma_f32 v5, v190, v20, -v5
	v_mul_f32_e32 v3, v189, v19
	v_mul_f32_e32 v4, v193, v23
	v_dual_mul_f32 v247, v218, v167 :: v_dual_mul_f32 v248, v220, v169
	v_fmac_f32_e32 v238, v201, v148
	v_fma_f32 v3, v188, v18, -v3
	v_add_f32_e32 v1, v1, v228
	v_fma_f32 v4, v192, v22, -v4
	v_dual_fmac_f32 v241, v207, v154 :: v_dual_fmac_f32 v244, v213, v160
	s_delay_alu instid0(VALU_DEP_4) | instskip(SKIP_2) | instid1(VALU_DEP_3)
	v_dual_add_f32 v2, v2, v3 :: v_dual_mul_f32 v3, v195, v25
	v_fmac_f32_e32 v247, v219, v166
	v_dual_fmac_f32 v249, v223, v170 :: v_dual_fmac_f32 v240, v205, v152
	v_add_f32_e32 v2, v2, v5
	v_add_f32_e32 v1, v1, v229
	v_fma_f32 v3, v194, v24, -v3
	v_fmac_f32_e32 v242, v209, v156
	v_fmac_f32_e32 v246, v217, v164
	s_delay_alu instid0(VALU_DEP_4) | instskip(SKIP_3) | instid1(VALU_DEP_4)
	v_dual_add_f32 v2, v2, v4 :: v_dual_add_f32 v1, v1, v230
	v_mul_f32_e32 v4, v199, v29
	v_fmac_f32_e32 v235, v195, v24
	v_fmac_f32_e32 v248, v221, v168
	v_dual_add_f32 v2, v2, v3 :: v_dual_mul_f32 v3, v201, v149
	s_delay_alu instid0(VALU_DEP_4) | instskip(SKIP_1) | instid1(VALU_DEP_3)
	v_fma_f32 v4, v198, v28, -v4
	v_mul_f32_e32 v5, v197, v27
	v_fma_f32 v3, v200, v148, -v3
	s_delay_alu instid0(VALU_DEP_2) | instskip(NEXT) | instid1(VALU_DEP_1)
	v_fma_f32 v5, v196, v26, -v5
	v_dual_add_f32 v1, v1, v231 :: v_dual_add_f32 v2, v2, v5
	s_delay_alu instid0(VALU_DEP_1) | instskip(NEXT) | instid1(VALU_DEP_2)
	v_dual_mul_f32 v5, v203, v151 :: v_dual_add_f32 v2, v2, v4
	v_add_f32_e32 v1, v1, v232
	v_mul_f32_e32 v4, v205, v153
	s_delay_alu instid0(VALU_DEP_3) | instskip(NEXT) | instid1(VALU_DEP_4)
	v_fma_f32 v5, v202, v150, -v5
	v_dual_add_f32 v2, v2, v3 :: v_dual_fmac_f32 v239, v203, v150
	v_mul_f32_e32 v3, v207, v155
	s_delay_alu instid0(VALU_DEP_4) | instskip(NEXT) | instid1(VALU_DEP_3)
	v_fma_f32 v4, v204, v152, -v4
	v_add_f32_e32 v2, v2, v5
	v_add_f32_e32 v1, v1, v233
	s_delay_alu instid0(VALU_DEP_4) | instskip(NEXT) | instid1(VALU_DEP_3)
	v_fma_f32 v3, v206, v154, -v3
	v_dual_add_f32 v2, v2, v4 :: v_dual_mul_f32 v5, v209, v157
	s_delay_alu instid0(VALU_DEP_3) | instskip(NEXT) | instid1(VALU_DEP_2)
	v_dual_add_f32 v1, v1, v234 :: v_dual_mul_f32 v4, v211, v159
	v_add_f32_e32 v2, v2, v3
	s_delay_alu instid0(VALU_DEP_3) | instskip(NEXT) | instid1(VALU_DEP_3)
	v_fma_f32 v5, v208, v156, -v5
	v_add_f32_e32 v1, v1, v235
	v_mul_f32_e32 v3, v213, v161
	v_fma_f32 v4, v210, v158, -v4
	s_delay_alu instid0(VALU_DEP_4) | instskip(NEXT) | instid1(VALU_DEP_3)
	v_dual_add_f32 v2, v2, v5 :: v_dual_mul_f32 v5, v215, v163
	v_fma_f32 v3, v212, v160, -v3
	s_delay_alu instid0(VALU_DEP_2) | instskip(SKIP_3) | instid1(VALU_DEP_4)
	v_add_f32_e32 v2, v2, v4
	v_add_f32_e32 v1, v1, v236
	v_mul_f32_e32 v4, v217, v165
	v_fma_f32 v5, v214, v162, -v5
	v_dual_add_f32 v2, v2, v3 :: v_dual_fmac_f32 v245, v215, v162
	v_mul_f32_e32 v3, v219, v167
	s_delay_alu instid0(VALU_DEP_4) | instskip(NEXT) | instid1(VALU_DEP_3)
	v_fma_f32 v4, v216, v164, -v4
	v_add_f32_e32 v2, v2, v5
	v_add_f32_e32 v1, v1, v237
	s_delay_alu instid0(VALU_DEP_4) | instskip(NEXT) | instid1(VALU_DEP_2)
	v_fma_f32 v3, v218, v166, -v3
	v_dual_add_f32 v2, v2, v4 :: v_dual_add_f32 v1, v1, v238
	v_dual_mul_f32 v4, v223, v171 :: v_dual_mul_f32 v5, v221, v169
	s_delay_alu instid0(VALU_DEP_2) | instskip(NEXT) | instid1(VALU_DEP_2)
	v_add_f32_e32 v2, v2, v3
	v_fma_f32 v3, v222, v170, -v4
	s_delay_alu instid0(VALU_DEP_3) | instskip(NEXT) | instid1(VALU_DEP_1)
	v_fma_f32 v5, v220, v168, -v5
	v_dual_add_f32 v1, v1, v239 :: v_dual_add_f32 v2, v2, v5
	s_delay_alu instid0(VALU_DEP_1) | instskip(NEXT) | instid1(VALU_DEP_1)
	v_dual_add_f32 v1, v1, v240 :: v_dual_add_f32 v2, v2, v3
	v_add_f32_e32 v1, v1, v241
	s_delay_alu instid0(VALU_DEP_1) | instskip(NEXT) | instid1(VALU_DEP_1)
	v_add_f32_e32 v1, v1, v242
	v_add_f32_e32 v1, v1, v243
	s_delay_alu instid0(VALU_DEP_1) | instskip(NEXT) | instid1(VALU_DEP_1)
	v_add_f32_e32 v1, v1, v244
	;; [unrolled: 3-line block ×4, first 2 shown]
	v_add_f32_e32 v3, v1, v249
	s_wait_loadcnt 0x0
	s_delay_alu instid0(VALU_DEP_1)
	v_dual_sub_f32 v1, v224, v2 :: v_dual_sub_f32 v2, v225, v3
	scratch_store_b64 off, v[1:2], off offset:248
	v_cmpx_lt_u32_e32 30, v0
	s_cbranch_execz .LBB57_301
; %bb.300:
	scratch_load_b64 v[1:2], off, off offset:240
	v_mov_b32_e32 v3, 0
	s_delay_alu instid0(VALU_DEP_1)
	v_mov_b32_e32 v4, v3
	scratch_store_b64 off, v[3:4], off offset:240
	s_wait_loadcnt 0x0
	ds_store_b64 v31, v[1:2]
.LBB57_301:
	s_wait_alu 0xfffe
	s_or_b32 exec_lo, exec_lo, s0
	s_wait_storecnt_dscnt 0x0
	s_barrier_signal -1
	s_barrier_wait -1
	global_inv scope:SCOPE_SE
	s_clause 0x4
	scratch_load_b128 v[2:5], off, off offset:248
	scratch_load_b128 v[6:9], off, off offset:264
	;; [unrolled: 1-line block ×5, first 2 shown]
	v_mov_b32_e32 v1, 0
	ds_load_2addr_b64 v[22:25], v1 offset0:89 offset1:90
	ds_load_2addr_b64 v[26:29], v1 offset0:91 offset1:92
	;; [unrolled: 1-line block ×3, first 2 shown]
	scratch_load_b64 v[152:153], off, off offset:240
	s_mov_b32 s0, exec_lo
	s_wait_loadcnt_dscnt 0x502
	v_mul_f32_e32 v30, v23, v3
	v_dual_mul_f32 v154, v22, v3 :: v_dual_mul_f32 v155, v24, v5
	v_mul_f32_e32 v3, v25, v5
	s_wait_loadcnt_dscnt 0x300
	v_mul_f32_e32 v156, v150, v13
	v_fma_f32 v22, v22, v2, -v30
	v_dual_fmac_f32 v154, v23, v2 :: v_dual_fmac_f32 v155, v25, v4
	v_fma_f32 v23, v24, v4, -v3
	v_mul_f32_e32 v24, v26, v7
	v_mul_f32_e32 v7, v27, v7
	;; [unrolled: 1-line block ×3, first 2 shown]
	v_dual_mul_f32 v9, v29, v9 :: v_dual_mul_f32 v30, v148, v11
	ds_load_2addr_b64 v[2:5], v1 offset0:95 offset1:96
	v_fmac_f32_e32 v24, v27, v6
	v_fma_f32 v26, v26, v6, -v7
	v_fmac_f32_e32 v25, v29, v8
	v_fma_f32 v27, v28, v8, -v9
	scratch_load_b128 v[6:9], off, off offset:328
	v_dual_mul_f32 v11, v149, v11 :: v_dual_fmac_f32 v156, v151, v12
	v_dual_mul_f32 v13, v151, v13 :: v_dual_fmac_f32 v30, v149, v10
	s_delay_alu instid0(VALU_DEP_2) | instskip(NEXT) | instid1(VALU_DEP_2)
	v_fma_f32 v28, v148, v10, -v11
	v_fma_f32 v29, v150, v12, -v13
	ds_load_2addr_b64 v[10:13], v1 offset0:97 offset1:98
	s_wait_loadcnt_dscnt 0x301
	v_mul_f32_e32 v148, v2, v15
	v_mul_f32_e32 v15, v3, v15
	v_mul_f32_e32 v149, v4, v17
	s_delay_alu instid0(VALU_DEP_3) | instskip(SKIP_1) | instid1(VALU_DEP_2)
	v_dual_mul_f32 v17, v5, v17 :: v_dual_fmac_f32 v148, v3, v14
	s_wait_loadcnt_dscnt 0x200
	v_dual_fmac_f32 v149, v5, v16 :: v_dual_mul_f32 v158, v12, v21
	v_fma_f32 v150, v2, v14, -v15
	v_mul_f32_e32 v14, v11, v19
	v_fma_f32 v151, v4, v16, -v17
	ds_load_2addr_b64 v[2:5], v1 offset0:99 offset1:100
	v_dual_mul_f32 v157, v10, v19 :: v_dual_fmac_f32 v158, v13, v20
	v_mul_f32_e32 v15, v13, v21
	s_delay_alu instid0(VALU_DEP_1) | instskip(SKIP_1) | instid1(VALU_DEP_3)
	v_fma_f32 v19, v12, v20, -v15
	s_wait_loadcnt_dscnt 0x0
	v_dual_mul_f32 v160, v4, v9 :: v_dual_fmac_f32 v157, v11, v18
	v_fma_f32 v18, v10, v18, -v14
	scratch_load_b128 v[10:13], off, off offset:344
	v_mul_f32_e32 v159, v2, v7
	v_mul_f32_e32 v7, v3, v7
	;; [unrolled: 1-line block ×3, first 2 shown]
	s_delay_alu instid0(VALU_DEP_3) | instskip(NEXT) | instid1(VALU_DEP_3)
	v_dual_fmac_f32 v160, v5, v8 :: v_dual_fmac_f32 v159, v3, v6
	v_fma_f32 v161, v2, v6, -v7
	s_delay_alu instid0(VALU_DEP_3)
	v_fma_f32 v162, v4, v8, -v9
	ds_load_2addr_b64 v[2:5], v1 offset0:101 offset1:102
	ds_load_2addr_b64 v[6:9], v1 offset0:103 offset1:104
	s_wait_loadcnt_dscnt 0x1
	v_mul_f32_e32 v163, v2, v11
	v_dual_mul_f32 v11, v3, v11 :: v_dual_mul_f32 v164, v4, v13
	s_delay_alu instid0(VALU_DEP_2) | instskip(NEXT) | instid1(VALU_DEP_2)
	v_fmac_f32_e32 v163, v3, v10
	v_fma_f32 v165, v2, v10, -v11
	v_mul_f32_e32 v2, v5, v13
	s_delay_alu instid0(VALU_DEP_4) | instskip(NEXT) | instid1(VALU_DEP_2)
	v_fmac_f32_e32 v164, v5, v12
	v_fma_f32 v166, v4, v12, -v2
	s_clause 0x1
	scratch_load_b128 v[2:5], off, off offset:360
	scratch_load_b128 v[10:13], off, off offset:376
	s_wait_loadcnt_dscnt 0x100
	v_mul_f32_e32 v167, v6, v3
	v_mul_f32_e32 v3, v7, v3
	s_delay_alu instid0(VALU_DEP_2) | instskip(NEXT) | instid1(VALU_DEP_2)
	v_fmac_f32_e32 v167, v7, v2
	v_fma_f32 v168, v6, v2, -v3
	v_dual_mul_f32 v2, v9, v5 :: v_dual_add_f32 v3, 0, v154
	v_mul_f32_e32 v169, v8, v5
	s_delay_alu instid0(VALU_DEP_2) | instskip(SKIP_1) | instid1(VALU_DEP_4)
	v_fma_f32 v170, v8, v4, -v2
	v_add_f32_e32 v2, 0, v22
	v_add_f32_e32 v6, v3, v155
	s_delay_alu instid0(VALU_DEP_2) | instskip(NEXT) | instid1(VALU_DEP_2)
	v_add_f32_e32 v2, v2, v23
	v_add_f32_e32 v14, v6, v24
	s_delay_alu instid0(VALU_DEP_2) | instskip(NEXT) | instid1(VALU_DEP_1)
	v_add_f32_e32 v7, v2, v26
	v_dual_add_f32 v14, v14, v25 :: v_dual_add_f32 v15, v7, v27
	s_delay_alu instid0(VALU_DEP_1) | instskip(SKIP_2) | instid1(VALU_DEP_1)
	v_add_f32_e32 v14, v14, v30
	scratch_load_b64 v[26:27], off, off offset:456
	v_add_f32_e32 v15, v15, v28
	v_dual_add_f32 v20, v15, v29 :: v_dual_fmac_f32 v169, v9, v4
	scratch_load_b128 v[2:5], off, off offset:392
	ds_load_2addr_b64 v[6:9], v1 offset0:105 offset1:106
	v_add_f32_e32 v21, v14, v156
	ds_load_2addr_b64 v[14:17], v1 offset0:107 offset1:108
	v_add_f32_e32 v20, v20, v150
	s_delay_alu instid0(VALU_DEP_1) | instskip(NEXT) | instid1(VALU_DEP_1)
	v_add_f32_e32 v20, v20, v151
	v_add_f32_e32 v18, v20, v18
	s_wait_loadcnt_dscnt 0x201
	v_mul_f32_e32 v30, v6, v11
	s_delay_alu instid0(VALU_DEP_1) | instskip(SKIP_1) | instid1(VALU_DEP_2)
	v_dual_fmac_f32 v30, v7, v10 :: v_dual_add_f32 v21, v21, v148
	v_mul_f32_e32 v148, v8, v13
	v_add_f32_e32 v21, v21, v149
	s_delay_alu instid0(VALU_DEP_2) | instskip(NEXT) | instid1(VALU_DEP_2)
	v_dual_mul_f32 v11, v7, v11 :: v_dual_fmac_f32 v148, v9, v12
	v_add_f32_e32 v22, v21, v157
	s_delay_alu instid0(VALU_DEP_2) | instskip(NEXT) | instid1(VALU_DEP_2)
	v_fma_f32 v150, v6, v10, -v11
	v_dual_add_f32 v22, v22, v158 :: v_dual_mul_f32 v13, v9, v13
	s_delay_alu instid0(VALU_DEP_1) | instskip(NEXT) | instid1(VALU_DEP_2)
	v_add_f32_e32 v22, v22, v159
	v_fma_f32 v151, v8, v12, -v13
	s_clause 0x1
	scratch_load_b128 v[6:9], off, off offset:408
	scratch_load_b128 v[10:13], off, off offset:424
	v_add_f32_e32 v23, v18, v19
	scratch_load_b128 v[18:21], off, off offset:440
	v_add_f32_e32 v22, v22, v160
	s_wait_loadcnt_dscnt 0x300
	v_mul_f32_e32 v149, v14, v3
	v_dual_mul_f32 v3, v15, v3 :: v_dual_mul_f32 v154, v16, v5
	v_add_f32_e32 v23, v23, v161
	s_delay_alu instid0(VALU_DEP_2) | instskip(NEXT) | instid1(VALU_DEP_2)
	v_fma_f32 v155, v14, v2, -v3
	v_dual_fmac_f32 v154, v17, v4 :: v_dual_add_f32 v23, v23, v162
	s_delay_alu instid0(VALU_DEP_1) | instskip(NEXT) | instid1(VALU_DEP_1)
	v_dual_add_f32 v14, v22, v163 :: v_dual_add_f32 v23, v23, v165
	v_add_f32_e32 v22, v14, v164
	s_delay_alu instid0(VALU_DEP_1) | instskip(SKIP_1) | instid1(VALU_DEP_4)
	v_add_f32_e32 v29, v22, v167
	v_fmac_f32_e32 v149, v15, v2
	v_add_f32_e32 v15, v23, v166
	ds_load_2addr_b64 v[22:25], v1 offset0:113 offset1:114
	v_add_f32_e32 v158, v29, v169
	v_dual_mul_f32 v5, v17, v5 :: v_dual_add_f32 v28, v15, v168
	s_delay_alu instid0(VALU_DEP_2) | instskip(NEXT) | instid1(VALU_DEP_2)
	v_add_f32_e32 v30, v158, v30
	v_fma_f32 v156, v16, v4, -v5
	ds_load_2addr_b64 v[2:5], v1 offset0:109 offset1:110
	ds_load_2addr_b64 v[14:17], v1 offset0:111 offset1:112
	v_dual_add_f32 v157, v28, v170 :: v_dual_add_f32 v30, v30, v148
	ds_load_b64 v[28:29], v1 offset:920
	v_add_f32_e32 v150, v157, v150
	v_add_f32_e32 v30, v30, v149
	s_delay_alu instid0(VALU_DEP_2) | instskip(NEXT) | instid1(VALU_DEP_1)
	v_add_f32_e32 v150, v150, v151
	v_add_f32_e32 v150, v150, v155
	s_wait_loadcnt_dscnt 0x202
	v_mul_f32_e32 v157, v2, v7
	v_dual_mul_f32 v7, v3, v7 :: v_dual_mul_f32 v148, v4, v9
	v_mul_f32_e32 v9, v5, v9
	s_wait_loadcnt_dscnt 0x101
	v_mul_f32_e32 v151, v14, v11
	v_dual_mul_f32 v149, v16, v13 :: v_dual_add_f32 v150, v150, v156
	s_wait_loadcnt 0x0
	v_mul_f32_e32 v156, v24, v21
	v_fma_f32 v2, v2, v6, -v7
	v_dual_fmac_f32 v157, v3, v6 :: v_dual_fmac_f32 v148, v5, v8
	v_add_f32_e32 v30, v30, v154
	s_wait_dscnt 0x0
	v_mul_f32_e32 v154, v28, v27
	v_fma_f32 v3, v4, v8, -v9
	v_mul_f32_e32 v4, v15, v11
	v_add_f32_e32 v2, v150, v2
	v_add_f32_e32 v5, v30, v157
	v_dual_mul_f32 v155, v22, v19 :: v_dual_mul_f32 v6, v17, v13
	s_delay_alu instid0(VALU_DEP_3) | instskip(SKIP_1) | instid1(VALU_DEP_4)
	v_dual_fmac_f32 v151, v15, v10 :: v_dual_add_f32 v2, v2, v3
	v_fma_f32 v4, v14, v10, -v4
	v_add_f32_e32 v3, v5, v148
	v_mul_f32_e32 v5, v23, v19
	v_fma_f32 v6, v16, v12, -v6
	s_delay_alu instid0(VALU_DEP_4) | instskip(NEXT) | instid1(VALU_DEP_4)
	v_dual_fmac_f32 v155, v23, v18 :: v_dual_add_f32 v2, v2, v4
	v_add_f32_e32 v3, v3, v151
	v_fmac_f32_e32 v149, v17, v12
	v_mul_f32_e32 v4, v25, v21
	v_fma_f32 v5, v22, v18, -v5
	v_add_f32_e32 v2, v2, v6
	s_delay_alu instid0(VALU_DEP_4) | instskip(SKIP_2) | instid1(VALU_DEP_3)
	v_dual_mul_f32 v6, v29, v27 :: v_dual_add_f32 v3, v3, v149
	v_fmac_f32_e32 v156, v25, v20
	v_fma_f32 v4, v24, v20, -v4
	v_dual_fmac_f32 v154, v29, v26 :: v_dual_add_f32 v3, v3, v155
	v_add_f32_e32 v2, v2, v5
	v_fma_f32 v5, v28, v26, -v6
	s_delay_alu instid0(VALU_DEP_3) | instskip(NEXT) | instid1(VALU_DEP_1)
	v_add_f32_e32 v3, v3, v156
	v_dual_add_f32 v2, v2, v4 :: v_dual_add_f32 v3, v3, v154
	s_delay_alu instid0(VALU_DEP_1) | instskip(NEXT) | instid1(VALU_DEP_1)
	v_dual_add_f32 v2, v2, v5 :: v_dual_sub_f32 v3, v153, v3
	v_sub_f32_e32 v2, v152, v2
	scratch_store_b64 off, v[2:3], off offset:240
	v_cmpx_lt_u32_e32 29, v0
	s_cbranch_execz .LBB57_303
; %bb.302:
	scratch_load_b64 v[3:4], off, off offset:232
	v_mov_b32_e32 v2, v1
	scratch_store_b64 off, v[1:2], off offset:232
	s_wait_loadcnt 0x0
	ds_store_b64 v31, v[3:4]
.LBB57_303:
	s_wait_alu 0xfffe
	s_or_b32 exec_lo, exec_lo, s0
	s_wait_storecnt_dscnt 0x0
	s_barrier_signal -1
	s_barrier_wait -1
	global_inv scope:SCOPE_SE
	s_clause 0x4
	scratch_load_b128 v[2:5], off, off offset:240
	scratch_load_b128 v[6:9], off, off offset:256
	;; [unrolled: 1-line block ×5, first 2 shown]
	ds_load_b128 v[22:25], v1 offset:704
	ds_load_b128 v[26:29], v1 offset:720
	;; [unrolled: 1-line block ×3, first 2 shown]
	scratch_load_b64 v[152:153], off, off offset:232
	s_mov_b32 s0, exec_lo
	s_wait_loadcnt_dscnt 0x502
	v_dual_mul_f32 v30, v23, v3 :: v_dual_mul_f32 v155, v24, v5
	v_dual_mul_f32 v154, v22, v3 :: v_dual_mul_f32 v3, v25, v5
	s_wait_loadcnt_dscnt 0x300
	v_mul_f32_e32 v156, v150, v13
	s_delay_alu instid0(VALU_DEP_3) | instskip(NEXT) | instid1(VALU_DEP_3)
	v_fma_f32 v22, v22, v2, -v30
	v_dual_fmac_f32 v155, v25, v4 :: v_dual_fmac_f32 v154, v23, v2
	v_fma_f32 v23, v24, v4, -v3
	ds_load_b128 v[2:5], v1 offset:752
	v_dual_mul_f32 v24, v26, v7 :: v_dual_mul_f32 v25, v28, v9
	v_mul_f32_e32 v7, v27, v7
	v_dual_mul_f32 v9, v29, v9 :: v_dual_mul_f32 v30, v148, v11
	s_delay_alu instid0(VALU_DEP_3) | instskip(SKIP_2) | instid1(VALU_DEP_4)
	v_dual_mul_f32 v11, v149, v11 :: v_dual_fmac_f32 v24, v27, v6
	v_mul_f32_e32 v13, v151, v13
	v_fmac_f32_e32 v25, v29, v8
	v_fma_f32 v27, v28, v8, -v9
	v_fmac_f32_e32 v30, v149, v10
	v_fma_f32 v28, v148, v10, -v11
	;; [unrolled: 2-line block ×3, first 2 shown]
	ds_load_b128 v[10:13], v1 offset:768
	v_fma_f32 v26, v26, v6, -v7
	scratch_load_b128 v[6:9], off, off offset:320
	s_wait_loadcnt_dscnt 0x301
	v_mul_f32_e32 v148, v2, v15
	v_mul_f32_e32 v15, v3, v15
	v_mul_f32_e32 v149, v4, v17
	s_delay_alu instid0(VALU_DEP_3) | instskip(NEXT) | instid1(VALU_DEP_3)
	v_dual_mul_f32 v17, v5, v17 :: v_dual_fmac_f32 v148, v3, v14
	v_fma_f32 v14, v2, v14, -v15
	s_delay_alu instid0(VALU_DEP_3) | instskip(NEXT) | instid1(VALU_DEP_3)
	v_fmac_f32_e32 v149, v5, v16
	v_fma_f32 v15, v4, v16, -v17
	ds_load_b128 v[2:5], v1 offset:784
	s_wait_loadcnt_dscnt 0x201
	v_mul_f32_e32 v16, v10, v19
	v_mul_f32_e32 v17, v11, v19
	;; [unrolled: 1-line block ×3, first 2 shown]
	s_delay_alu instid0(VALU_DEP_3) | instskip(NEXT) | instid1(VALU_DEP_3)
	v_dual_mul_f32 v21, v13, v21 :: v_dual_fmac_f32 v16, v11, v18
	v_fma_f32 v17, v10, v18, -v17
	s_delay_alu instid0(VALU_DEP_3) | instskip(NEXT) | instid1(VALU_DEP_3)
	v_fmac_f32_e32 v19, v13, v20
	v_fma_f32 v18, v12, v20, -v21
	scratch_load_b128 v[10:13], off, off offset:336
	s_wait_loadcnt_dscnt 0x100
	v_mul_f32_e32 v20, v2, v7
	v_mul_f32_e32 v7, v3, v7
	v_mul_f32_e32 v21, v4, v9
	s_delay_alu instid0(VALU_DEP_3) | instskip(NEXT) | instid1(VALU_DEP_3)
	v_dual_mul_f32 v9, v5, v9 :: v_dual_fmac_f32 v20, v3, v6
	v_fma_f32 v150, v2, v6, -v7
	s_delay_alu instid0(VALU_DEP_3) | instskip(NEXT) | instid1(VALU_DEP_3)
	v_fmac_f32_e32 v21, v5, v8
	v_fma_f32 v151, v4, v8, -v9
	ds_load_b128 v[2:5], v1 offset:800
	ds_load_b128 v[6:9], v1 offset:816
	s_wait_loadcnt_dscnt 0x1
	v_mul_f32_e32 v157, v2, v11
	v_dual_mul_f32 v11, v3, v11 :: v_dual_mul_f32 v158, v4, v13
	s_delay_alu instid0(VALU_DEP_2) | instskip(NEXT) | instid1(VALU_DEP_2)
	v_fmac_f32_e32 v157, v3, v10
	v_fma_f32 v159, v2, v10, -v11
	v_mul_f32_e32 v2, v5, v13
	s_delay_alu instid0(VALU_DEP_4) | instskip(NEXT) | instid1(VALU_DEP_2)
	v_fmac_f32_e32 v158, v5, v12
	v_fma_f32 v160, v4, v12, -v2
	s_clause 0x1
	scratch_load_b128 v[2:5], off, off offset:352
	scratch_load_b128 v[10:13], off, off offset:368
	s_wait_loadcnt_dscnt 0x100
	v_mul_f32_e32 v161, v6, v3
	v_mul_f32_e32 v3, v7, v3
	;; [unrolled: 1-line block ×3, first 2 shown]
	s_delay_alu instid0(VALU_DEP_3) | instskip(NEXT) | instid1(VALU_DEP_3)
	v_fmac_f32_e32 v161, v7, v2
	v_fma_f32 v162, v6, v2, -v3
	v_mul_f32_e32 v2, v9, v5
	s_delay_alu instid0(VALU_DEP_4) | instskip(NEXT) | instid1(VALU_DEP_2)
	v_fmac_f32_e32 v163, v9, v4
	v_fma_f32 v164, v8, v4, -v2
	ds_load_b128 v[2:5], v1 offset:832
	ds_load_b128 v[6:9], v1 offset:848
	s_wait_loadcnt_dscnt 0x1
	v_mul_f32_e32 v165, v2, v11
	v_mul_f32_e32 v167, v4, v13
	s_delay_alu instid0(VALU_DEP_2) | instskip(SKIP_1) | instid1(VALU_DEP_3)
	v_fmac_f32_e32 v165, v3, v10
	v_mul_f32_e32 v3, v3, v11
	v_fmac_f32_e32 v167, v5, v12
	s_delay_alu instid0(VALU_DEP_2) | instskip(SKIP_1) | instid1(VALU_DEP_1)
	v_fma_f32 v166, v2, v10, -v3
	v_mul_f32_e32 v2, v5, v13
	v_fma_f32 v168, v4, v12, -v2
	s_clause 0x1
	scratch_load_b128 v[2:5], off, off offset:384
	scratch_load_b128 v[10:13], off, off offset:400
	s_wait_loadcnt_dscnt 0x100
	v_mul_f32_e32 v169, v6, v3
	v_mul_f32_e32 v3, v7, v3
	s_delay_alu instid0(VALU_DEP_2) | instskip(NEXT) | instid1(VALU_DEP_2)
	v_fmac_f32_e32 v169, v7, v2
	v_fma_f32 v170, v6, v2, -v3
	v_dual_mul_f32 v2, v9, v5 :: v_dual_add_f32 v3, 0, v154
	s_delay_alu instid0(VALU_DEP_1) | instskip(NEXT) | instid1(VALU_DEP_2)
	v_fma_f32 v172, v8, v4, -v2
	v_dual_add_f32 v2, 0, v22 :: v_dual_add_f32 v3, v3, v155
	s_delay_alu instid0(VALU_DEP_1) | instskip(NEXT) | instid1(VALU_DEP_1)
	v_dual_add_f32 v2, v2, v23 :: v_dual_add_f32 v3, v3, v24
	v_add_f32_e32 v2, v2, v26
	s_delay_alu instid0(VALU_DEP_1) | instskip(NEXT) | instid1(VALU_DEP_1)
	v_add_f32_e32 v2, v2, v27
	v_add_f32_e32 v2, v2, v28
	s_delay_alu instid0(VALU_DEP_1) | instskip(NEXT) | instid1(VALU_DEP_1)
	v_add_f32_e32 v7, v2, v29
	v_add_f32_e32 v7, v7, v14
	s_delay_alu instid0(VALU_DEP_1) | instskip(NEXT) | instid1(VALU_DEP_1)
	v_add_f32_e32 v14, v7, v15
	v_add_f32_e32 v14, v14, v17
	s_delay_alu instid0(VALU_DEP_1) | instskip(NEXT) | instid1(VALU_DEP_1)
	v_dual_add_f32 v14, v14, v18 :: v_dual_add_f32 v3, v3, v25
	v_add_f32_e32 v14, v14, v150
	s_delay_alu instid0(VALU_DEP_2) | instskip(NEXT) | instid1(VALU_DEP_1)
	v_add_f32_e32 v6, v3, v30
	v_add_f32_e32 v6, v6, v156
	s_delay_alu instid0(VALU_DEP_1) | instskip(NEXT) | instid1(VALU_DEP_1)
	v_add_f32_e32 v6, v6, v148
	v_add_f32_e32 v15, v6, v149
	s_delay_alu instid0(VALU_DEP_1) | instskip(NEXT) | instid1(VALU_DEP_1)
	;; [unrolled: 3-line block ×3, first 2 shown]
	v_dual_add_f32 v19, v14, v151 :: v_dual_add_f32 v18, v15, v20
	v_add_f32_e32 v19, v19, v159
	scratch_load_b128 v[14:17], off, off offset:448
	v_dual_add_f32 v18, v18, v21 :: v_dual_add_f32 v19, v19, v160
	s_delay_alu instid0(VALU_DEP_1) | instskip(NEXT) | instid1(VALU_DEP_2)
	v_add_f32_e32 v18, v18, v157
	v_dual_mul_f32 v171, v8, v5 :: v_dual_add_f32 v22, v19, v162
	s_delay_alu instid0(VALU_DEP_1)
	v_dual_add_f32 v18, v18, v158 :: v_dual_fmac_f32 v171, v9, v4
	ds_load_b128 v[2:5], v1 offset:864
	ds_load_b128 v[6:9], v1 offset:880
	v_add_f32_e32 v30, v22, v164
	v_add_f32_e32 v23, v18, v161
	ds_load_b128 v[18:21], v1 offset:896
	v_add_f32_e32 v148, v23, v163
	ds_load_b128 v[22:25], v1 offset:912
	v_dual_add_f32 v1, v30, v166 :: v_dual_add_f32 v30, v148, v165
	s_delay_alu instid0(VALU_DEP_1) | instskip(SKIP_2) | instid1(VALU_DEP_2)
	v_add_f32_e32 v30, v30, v167
	s_wait_loadcnt_dscnt 0x103
	v_dual_mul_f32 v26, v2, v11 :: v_dual_mul_f32 v27, v4, v13
	v_add_f32_e32 v30, v30, v169
	s_delay_alu instid0(VALU_DEP_2) | instskip(NEXT) | instid1(VALU_DEP_2)
	v_dual_mul_f32 v13, v5, v13 :: v_dual_fmac_f32 v26, v3, v10
	v_dual_fmac_f32 v27, v5, v12 :: v_dual_add_f32 v30, v30, v171
	v_mul_f32_e32 v11, v3, v11
	s_delay_alu instid0(VALU_DEP_3) | instskip(NEXT) | instid1(VALU_DEP_3)
	v_fma_f32 v29, v4, v12, -v13
	v_add_f32_e32 v26, v30, v26
	s_delay_alu instid0(VALU_DEP_3)
	v_fma_f32 v28, v2, v10, -v11
	s_clause 0x1
	scratch_load_b128 v[2:5], off, off offset:416
	scratch_load_b128 v[10:13], off, off offset:432
	s_wait_loadcnt_dscnt 0x200
	v_mul_f32_e32 v154, v22, v15
	s_delay_alu instid0(VALU_DEP_1)
	v_fmac_f32_e32 v154, v23, v14
	s_wait_loadcnt 0x1
	v_mul_f32_e32 v148, v6, v3
	s_wait_loadcnt 0x0
	v_mul_f32_e32 v150, v18, v11
	v_mul_f32_e32 v3, v7, v3
	s_delay_alu instid0(VALU_DEP_3) | instskip(NEXT) | instid1(VALU_DEP_3)
	v_dual_add_f32 v1, v1, v168 :: v_dual_fmac_f32 v148, v7, v2
	v_dual_fmac_f32 v150, v19, v10 :: v_dual_mul_f32 v149, v8, v5
	s_delay_alu instid0(VALU_DEP_3) | instskip(SKIP_1) | instid1(VALU_DEP_3)
	v_fma_f32 v3, v6, v2, -v3
	v_add_f32_e32 v2, v26, v27
	v_dual_mul_f32 v6, v19, v11 :: v_dual_fmac_f32 v149, v9, v4
	s_delay_alu instid0(VALU_DEP_2) | instskip(NEXT) | instid1(VALU_DEP_1)
	v_dual_add_f32 v2, v2, v148 :: v_dual_add_f32 v1, v1, v170
	v_add_f32_e32 v2, v2, v149
	s_delay_alu instid0(VALU_DEP_1) | instskip(NEXT) | instid1(VALU_DEP_1)
	v_dual_add_f32 v2, v2, v150 :: v_dual_add_f32 v1, v1, v172
	v_dual_add_f32 v1, v1, v28 :: v_dual_mul_f32 v28, v24, v17
	v_mul_f32_e32 v151, v20, v13
	s_delay_alu instid0(VALU_DEP_2) | instskip(NEXT) | instid1(VALU_DEP_3)
	v_add_f32_e32 v1, v1, v29
	v_fmac_f32_e32 v28, v25, v16
	s_delay_alu instid0(VALU_DEP_3) | instskip(NEXT) | instid1(VALU_DEP_3)
	v_fmac_f32_e32 v151, v21, v12
	v_add_f32_e32 v1, v1, v3
	s_delay_alu instid0(VALU_DEP_2) | instskip(NEXT) | instid1(VALU_DEP_1)
	v_dual_mul_f32 v3, v21, v13 :: v_dual_add_f32 v2, v2, v151
	v_fma_f32 v3, v20, v12, -v3
	s_delay_alu instid0(VALU_DEP_2) | instskip(NEXT) | instid1(VALU_DEP_1)
	v_dual_add_f32 v2, v2, v154 :: v_dual_mul_f32 v5, v9, v5
	v_add_f32_e32 v2, v2, v28
	s_delay_alu instid0(VALU_DEP_2) | instskip(SKIP_1) | instid1(VALU_DEP_3)
	v_fma_f32 v4, v8, v4, -v5
	v_fma_f32 v5, v18, v10, -v6
	v_sub_f32_e32 v2, v153, v2
	s_delay_alu instid0(VALU_DEP_3) | instskip(NEXT) | instid1(VALU_DEP_1)
	v_dual_add_f32 v1, v1, v4 :: v_dual_mul_f32 v4, v23, v15
	v_add_f32_e32 v1, v1, v5
	v_mul_f32_e32 v5, v25, v17
	s_delay_alu instid0(VALU_DEP_3) | instskip(NEXT) | instid1(VALU_DEP_3)
	v_fma_f32 v4, v22, v14, -v4
	v_add_f32_e32 v1, v1, v3
	s_delay_alu instid0(VALU_DEP_3) | instskip(NEXT) | instid1(VALU_DEP_2)
	v_fma_f32 v3, v24, v16, -v5
	v_add_f32_e32 v1, v1, v4
	s_delay_alu instid0(VALU_DEP_1) | instskip(NEXT) | instid1(VALU_DEP_1)
	v_add_f32_e32 v1, v1, v3
	v_sub_f32_e32 v1, v152, v1
	scratch_store_b64 off, v[1:2], off offset:232
	v_cmpx_lt_u32_e32 28, v0
	s_cbranch_execz .LBB57_305
; %bb.304:
	scratch_load_b64 v[1:2], off, off offset:224
	v_mov_b32_e32 v3, 0
	s_delay_alu instid0(VALU_DEP_1)
	v_mov_b32_e32 v4, v3
	scratch_store_b64 off, v[3:4], off offset:224
	s_wait_loadcnt 0x0
	ds_store_b64 v31, v[1:2]
.LBB57_305:
	s_wait_alu 0xfffe
	s_or_b32 exec_lo, exec_lo, s0
	s_wait_storecnt_dscnt 0x0
	s_barrier_signal -1
	s_barrier_wait -1
	global_inv scope:SCOPE_SE
	s_clause 0x4
	scratch_load_b128 v[2:5], off, off offset:232
	scratch_load_b128 v[6:9], off, off offset:248
	;; [unrolled: 1-line block ×5, first 2 shown]
	v_mov_b32_e32 v1, 0
	ds_load_2addr_b64 v[22:25], v1 offset0:87 offset1:88
	ds_load_2addr_b64 v[26:29], v1 offset0:89 offset1:90
	;; [unrolled: 1-line block ×3, first 2 shown]
	scratch_load_b64 v[152:153], off, off offset:224
	s_mov_b32 s0, exec_lo
	s_wait_loadcnt_dscnt 0x502
	v_mul_f32_e32 v30, v23, v3
	v_dual_mul_f32 v154, v22, v3 :: v_dual_mul_f32 v155, v24, v5
	v_mul_f32_e32 v3, v25, v5
	s_wait_loadcnt_dscnt 0x300
	v_mul_f32_e32 v156, v150, v13
	v_fma_f32 v22, v22, v2, -v30
	v_dual_fmac_f32 v154, v23, v2 :: v_dual_fmac_f32 v155, v25, v4
	v_fma_f32 v23, v24, v4, -v3
	ds_load_2addr_b64 v[2:5], v1 offset0:93 offset1:94
	v_mul_f32_e32 v24, v26, v7
	v_mul_f32_e32 v7, v27, v7
	;; [unrolled: 1-line block ×3, first 2 shown]
	v_dual_mul_f32 v9, v29, v9 :: v_dual_mul_f32 v30, v148, v11
	v_dual_mul_f32 v11, v149, v11 :: v_dual_fmac_f32 v156, v151, v12
	v_mul_f32_e32 v13, v151, v13
	s_delay_alu instid0(VALU_DEP_4) | instskip(NEXT) | instid1(VALU_DEP_4)
	v_dual_fmac_f32 v24, v27, v6 :: v_dual_fmac_f32 v25, v29, v8
	v_fma_f32 v27, v28, v8, -v9
	v_fmac_f32_e32 v30, v149, v10
	v_fma_f32 v28, v148, v10, -v11
	v_fma_f32 v29, v150, v12, -v13
	ds_load_2addr_b64 v[10:13], v1 offset0:95 offset1:96
	v_fma_f32 v26, v26, v6, -v7
	scratch_load_b128 v[6:9], off, off offset:312
	s_wait_loadcnt_dscnt 0x301
	v_mul_f32_e32 v148, v2, v15
	v_mul_f32_e32 v15, v3, v15
	;; [unrolled: 1-line block ×3, first 2 shown]
	s_delay_alu instid0(VALU_DEP_3) | instskip(NEXT) | instid1(VALU_DEP_3)
	v_dual_mul_f32 v17, v5, v17 :: v_dual_fmac_f32 v148, v3, v14
	v_fma_f32 v14, v2, v14, -v15
	s_delay_alu instid0(VALU_DEP_3) | instskip(NEXT) | instid1(VALU_DEP_3)
	v_fmac_f32_e32 v149, v5, v16
	v_fma_f32 v15, v4, v16, -v17
	ds_load_2addr_b64 v[2:5], v1 offset0:97 offset1:98
	s_wait_loadcnt_dscnt 0x201
	v_mul_f32_e32 v16, v10, v19
	v_mul_f32_e32 v17, v11, v19
	;; [unrolled: 1-line block ×3, first 2 shown]
	s_delay_alu instid0(VALU_DEP_3) | instskip(NEXT) | instid1(VALU_DEP_3)
	v_dual_mul_f32 v21, v13, v21 :: v_dual_fmac_f32 v16, v11, v18
	v_fma_f32 v17, v10, v18, -v17
	s_delay_alu instid0(VALU_DEP_3) | instskip(NEXT) | instid1(VALU_DEP_3)
	v_fmac_f32_e32 v19, v13, v20
	v_fma_f32 v18, v12, v20, -v21
	scratch_load_b128 v[10:13], off, off offset:328
	s_wait_loadcnt_dscnt 0x100
	v_mul_f32_e32 v20, v2, v7
	v_mul_f32_e32 v7, v3, v7
	;; [unrolled: 1-line block ×3, first 2 shown]
	s_delay_alu instid0(VALU_DEP_3) | instskip(NEXT) | instid1(VALU_DEP_3)
	v_dual_mul_f32 v9, v5, v9 :: v_dual_fmac_f32 v20, v3, v6
	v_fma_f32 v150, v2, v6, -v7
	s_delay_alu instid0(VALU_DEP_3) | instskip(NEXT) | instid1(VALU_DEP_3)
	v_fmac_f32_e32 v21, v5, v8
	v_fma_f32 v151, v4, v8, -v9
	ds_load_2addr_b64 v[2:5], v1 offset0:99 offset1:100
	ds_load_2addr_b64 v[6:9], v1 offset0:101 offset1:102
	s_wait_loadcnt_dscnt 0x1
	v_mul_f32_e32 v157, v2, v11
	v_dual_mul_f32 v11, v3, v11 :: v_dual_mul_f32 v158, v4, v13
	s_delay_alu instid0(VALU_DEP_2) | instskip(NEXT) | instid1(VALU_DEP_2)
	v_fmac_f32_e32 v157, v3, v10
	v_fma_f32 v159, v2, v10, -v11
	v_mul_f32_e32 v2, v5, v13
	s_delay_alu instid0(VALU_DEP_4) | instskip(NEXT) | instid1(VALU_DEP_2)
	v_fmac_f32_e32 v158, v5, v12
	v_fma_f32 v160, v4, v12, -v2
	s_clause 0x1
	scratch_load_b128 v[2:5], off, off offset:344
	scratch_load_b128 v[10:13], off, off offset:360
	s_wait_loadcnt_dscnt 0x100
	v_mul_f32_e32 v161, v6, v3
	v_mul_f32_e32 v3, v7, v3
	;; [unrolled: 1-line block ×3, first 2 shown]
	s_delay_alu instid0(VALU_DEP_3) | instskip(NEXT) | instid1(VALU_DEP_3)
	v_fmac_f32_e32 v161, v7, v2
	v_fma_f32 v162, v6, v2, -v3
	v_mul_f32_e32 v2, v9, v5
	s_delay_alu instid0(VALU_DEP_4) | instskip(NEXT) | instid1(VALU_DEP_2)
	v_fmac_f32_e32 v163, v9, v4
	v_fma_f32 v164, v8, v4, -v2
	ds_load_2addr_b64 v[2:5], v1 offset0:103 offset1:104
	ds_load_2addr_b64 v[6:9], v1 offset0:105 offset1:106
	s_wait_loadcnt_dscnt 0x1
	v_mul_f32_e32 v165, v2, v11
	v_mul_f32_e32 v167, v4, v13
	s_delay_alu instid0(VALU_DEP_2) | instskip(SKIP_1) | instid1(VALU_DEP_3)
	v_fmac_f32_e32 v165, v3, v10
	v_mul_f32_e32 v3, v3, v11
	v_fmac_f32_e32 v167, v5, v12
	s_delay_alu instid0(VALU_DEP_2) | instskip(SKIP_1) | instid1(VALU_DEP_1)
	v_fma_f32 v166, v2, v10, -v3
	v_mul_f32_e32 v2, v5, v13
	v_fma_f32 v168, v4, v12, -v2
	s_clause 0x1
	scratch_load_b128 v[2:5], off, off offset:376
	scratch_load_b128 v[10:13], off, off offset:392
	s_wait_loadcnt_dscnt 0x100
	v_mul_f32_e32 v169, v6, v3
	v_mul_f32_e32 v3, v7, v3
	s_delay_alu instid0(VALU_DEP_2) | instskip(NEXT) | instid1(VALU_DEP_2)
	v_fmac_f32_e32 v169, v7, v2
	v_fma_f32 v170, v6, v2, -v3
	v_mul_f32_e32 v2, v9, v5
	s_delay_alu instid0(VALU_DEP_1) | instskip(SKIP_1) | instid1(VALU_DEP_1)
	v_fma_f32 v172, v8, v4, -v2
	v_add_f32_e32 v2, 0, v22
	v_add_f32_e32 v2, v2, v23
	s_delay_alu instid0(VALU_DEP_1) | instskip(NEXT) | instid1(VALU_DEP_1)
	v_add_f32_e32 v2, v2, v26
	v_add_f32_e32 v2, v2, v27
	scratch_load_b64 v[26:27], off, off offset:456
	v_dual_add_f32 v2, v2, v28 :: v_dual_add_f32 v3, 0, v154
	s_delay_alu instid0(VALU_DEP_1) | instskip(NEXT) | instid1(VALU_DEP_2)
	v_add_f32_e32 v7, v2, v29
	v_add_f32_e32 v3, v3, v155
	s_delay_alu instid0(VALU_DEP_2) | instskip(NEXT) | instid1(VALU_DEP_1)
	v_add_f32_e32 v7, v7, v14
	v_add_f32_e32 v14, v7, v15
	s_delay_alu instid0(VALU_DEP_1) | instskip(NEXT) | instid1(VALU_DEP_1)
	v_dual_add_f32 v3, v3, v24 :: v_dual_add_f32 v14, v14, v17
	v_dual_add_f32 v3, v3, v25 :: v_dual_add_f32 v14, v14, v18
	s_delay_alu instid0(VALU_DEP_1) | instskip(NEXT) | instid1(VALU_DEP_2)
	v_add_f32_e32 v6, v3, v30
	v_add_f32_e32 v14, v14, v150
	s_delay_alu instid0(VALU_DEP_2) | instskip(NEXT) | instid1(VALU_DEP_1)
	v_add_f32_e32 v6, v6, v156
	v_add_f32_e32 v6, v6, v148
	s_delay_alu instid0(VALU_DEP_1) | instskip(NEXT) | instid1(VALU_DEP_1)
	v_add_f32_e32 v15, v6, v149
	v_add_f32_e32 v15, v15, v16
	s_delay_alu instid0(VALU_DEP_1) | instskip(NEXT) | instid1(VALU_DEP_1)
	v_add_f32_e32 v15, v15, v19
	v_dual_mul_f32 v171, v8, v5 :: v_dual_add_f32 v18, v15, v20
	s_delay_alu instid0(VALU_DEP_1)
	v_dual_add_f32 v18, v18, v21 :: v_dual_fmac_f32 v171, v9, v4
	ds_load_2addr_b64 v[2:5], v1 offset0:107 offset1:108
	ds_load_2addr_b64 v[6:9], v1 offset0:109 offset1:110
	v_add_f32_e32 v19, v14, v151
	v_add_f32_e32 v18, v18, v157
	scratch_load_b128 v[14:17], off, off offset:440
	v_add_f32_e32 v18, v18, v158
	s_delay_alu instid0(VALU_DEP_1) | instskip(NEXT) | instid1(VALU_DEP_1)
	v_add_f32_e32 v18, v18, v161
	v_add_f32_e32 v22, v18, v163
	s_wait_loadcnt_dscnt 0x201
	v_mul_f32_e32 v30, v2, v11
	v_mul_f32_e32 v148, v4, v13
	s_delay_alu instid0(VALU_DEP_3) | instskip(SKIP_4) | instid1(VALU_DEP_1)
	v_add_f32_e32 v29, v22, v165
	ds_load_2addr_b64 v[22:25], v1 offset0:113 offset1:114
	v_fmac_f32_e32 v30, v3, v10
	v_fmac_f32_e32 v148, v5, v12
	v_add_f32_e32 v151, v29, v167
	v_add_f32_e32 v151, v151, v169
	s_delay_alu instid0(VALU_DEP_1) | instskip(NEXT) | instid1(VALU_DEP_1)
	v_add_f32_e32 v151, v151, v171
	v_add_f32_e32 v30, v151, v30
	s_delay_alu instid0(VALU_DEP_1) | instskip(NEXT) | instid1(VALU_DEP_1)
	v_dual_add_f32 v19, v19, v159 :: v_dual_add_f32 v30, v30, v148
	v_add_f32_e32 v19, v19, v160
	s_delay_alu instid0(VALU_DEP_1) | instskip(NEXT) | instid1(VALU_DEP_1)
	v_add_f32_e32 v19, v19, v162
	v_add_f32_e32 v19, v19, v164
	s_delay_alu instid0(VALU_DEP_1) | instskip(SKIP_3) | instid1(VALU_DEP_2)
	v_add_f32_e32 v28, v19, v166
	ds_load_2addr_b64 v[18:21], v1 offset0:111 offset1:112
	v_dual_mul_f32 v13, v5, v13 :: v_dual_add_f32 v150, v28, v168
	v_mul_f32_e32 v11, v3, v11
	v_fma_f32 v154, v4, v12, -v13
	ds_load_b64 v[28:29], v1 offset:920
	v_add_f32_e32 v150, v150, v170
	v_fma_f32 v149, v2, v10, -v11
	s_clause 0x1
	scratch_load_b128 v[2:5], off, off offset:408
	scratch_load_b128 v[10:13], off, off offset:424
	v_add_f32_e32 v150, v150, v172
	s_delay_alu instid0(VALU_DEP_1) | instskip(SKIP_1) | instid1(VALU_DEP_1)
	v_add_f32_e32 v149, v150, v149
	s_wait_loadcnt_dscnt 0x300
	v_dual_add_f32 v149, v149, v154 :: v_dual_mul_f32 v148, v28, v27
	s_delay_alu instid0(VALU_DEP_1) | instskip(SKIP_3) | instid1(VALU_DEP_1)
	v_fmac_f32_e32 v148, v29, v26
	s_wait_loadcnt 0x2
	v_mul_f32_e32 v154, v24, v17
	s_wait_loadcnt 0x1
	v_dual_fmac_f32 v154, v25, v16 :: v_dual_mul_f32 v155, v6, v3
	v_dual_mul_f32 v3, v7, v3 :: v_dual_mul_f32 v156, v8, v5
	s_wait_loadcnt 0x0
	v_dual_mul_f32 v5, v9, v5 :: v_dual_mul_f32 v150, v18, v11
	s_delay_alu instid0(VALU_DEP_3) | instskip(NEXT) | instid1(VALU_DEP_3)
	v_fmac_f32_e32 v155, v7, v2
	v_fma_f32 v3, v6, v2, -v3
	v_fmac_f32_e32 v156, v9, v4
	s_delay_alu instid0(VALU_DEP_4)
	v_fma_f32 v2, v8, v4, -v5
	v_mul_f32_e32 v4, v19, v11
	v_add_f32_e32 v5, v30, v155
	v_add_f32_e32 v3, v149, v3
	v_mul_f32_e32 v6, v21, v13
	v_mul_f32_e32 v151, v20, v13
	v_fma_f32 v4, v18, v10, -v4
	v_fmac_f32_e32 v150, v19, v10
	v_dual_add_f32 v2, v3, v2 :: v_dual_add_f32 v3, v5, v156
	v_mul_f32_e32 v5, v23, v15
	v_fma_f32 v6, v20, v12, -v6
	v_fmac_f32_e32 v151, v21, v12
	s_delay_alu instid0(VALU_DEP_4) | instskip(SKIP_3) | instid1(VALU_DEP_4)
	v_add_f32_e32 v2, v2, v4
	v_mul_f32_e32 v4, v25, v17
	v_fma_f32 v5, v22, v14, -v5
	v_add_f32_e32 v3, v3, v150
	v_add_f32_e32 v2, v2, v6
	v_mul_f32_e32 v6, v29, v27
	v_fma_f32 v4, v24, v16, -v4
	s_delay_alu instid0(VALU_DEP_3) | instskip(NEXT) | instid1(VALU_DEP_3)
	v_dual_add_f32 v3, v3, v151 :: v_dual_add_f32 v2, v2, v5
	v_fma_f32 v5, v28, v26, -v6
	s_delay_alu instid0(VALU_DEP_2) | instskip(NEXT) | instid1(VALU_DEP_1)
	v_add_f32_e32 v2, v2, v4
	v_add_f32_e32 v2, v2, v5
	s_delay_alu instid0(VALU_DEP_1) | instskip(NEXT) | instid1(VALU_DEP_1)
	v_dual_mul_f32 v157, v22, v15 :: v_dual_sub_f32 v2, v152, v2
	v_fmac_f32_e32 v157, v23, v14
	s_delay_alu instid0(VALU_DEP_1) | instskip(NEXT) | instid1(VALU_DEP_1)
	v_add_f32_e32 v3, v3, v157
	v_add_f32_e32 v3, v3, v154
	s_delay_alu instid0(VALU_DEP_1) | instskip(NEXT) | instid1(VALU_DEP_1)
	v_add_f32_e32 v3, v3, v148
	v_sub_f32_e32 v3, v153, v3
	scratch_store_b64 off, v[2:3], off offset:224
	v_cmpx_lt_u32_e32 27, v0
	s_cbranch_execz .LBB57_307
; %bb.306:
	scratch_load_b64 v[3:4], off, off offset:216
	v_mov_b32_e32 v2, v1
	scratch_store_b64 off, v[1:2], off offset:216
	s_wait_loadcnt 0x0
	ds_store_b64 v31, v[3:4]
.LBB57_307:
	s_wait_alu 0xfffe
	s_or_b32 exec_lo, exec_lo, s0
	s_wait_storecnt_dscnt 0x0
	s_barrier_signal -1
	s_barrier_wait -1
	global_inv scope:SCOPE_SE
	s_clause 0x4
	scratch_load_b128 v[2:5], off, off offset:224
	scratch_load_b128 v[6:9], off, off offset:240
	;; [unrolled: 1-line block ×5, first 2 shown]
	ds_load_b128 v[22:25], v1 offset:688
	ds_load_b128 v[26:29], v1 offset:704
	;; [unrolled: 1-line block ×3, first 2 shown]
	scratch_load_b64 v[152:153], off, off offset:216
	s_mov_b32 s0, exec_lo
	s_wait_loadcnt_dscnt 0x502
	v_dual_mul_f32 v30, v23, v3 :: v_dual_mul_f32 v155, v24, v5
	v_dual_mul_f32 v154, v22, v3 :: v_dual_mul_f32 v3, v25, v5
	s_wait_loadcnt_dscnt 0x300
	v_mul_f32_e32 v156, v150, v13
	s_delay_alu instid0(VALU_DEP_3) | instskip(NEXT) | instid1(VALU_DEP_3)
	v_fma_f32 v22, v22, v2, -v30
	v_dual_fmac_f32 v155, v25, v4 :: v_dual_fmac_f32 v154, v23, v2
	v_fma_f32 v23, v24, v4, -v3
	ds_load_b128 v[2:5], v1 offset:736
	v_dual_mul_f32 v24, v26, v7 :: v_dual_mul_f32 v25, v28, v9
	v_mul_f32_e32 v7, v27, v7
	v_dual_mul_f32 v9, v29, v9 :: v_dual_mul_f32 v30, v148, v11
	s_delay_alu instid0(VALU_DEP_3) | instskip(SKIP_2) | instid1(VALU_DEP_4)
	v_dual_mul_f32 v11, v149, v11 :: v_dual_fmac_f32 v24, v27, v6
	v_mul_f32_e32 v13, v151, v13
	v_fmac_f32_e32 v25, v29, v8
	v_fma_f32 v27, v28, v8, -v9
	v_fmac_f32_e32 v30, v149, v10
	v_fma_f32 v28, v148, v10, -v11
	;; [unrolled: 2-line block ×3, first 2 shown]
	ds_load_b128 v[10:13], v1 offset:752
	v_fma_f32 v26, v26, v6, -v7
	scratch_load_b128 v[6:9], off, off offset:304
	s_wait_loadcnt_dscnt 0x301
	v_mul_f32_e32 v148, v2, v15
	v_mul_f32_e32 v15, v3, v15
	;; [unrolled: 1-line block ×3, first 2 shown]
	s_delay_alu instid0(VALU_DEP_3) | instskip(NEXT) | instid1(VALU_DEP_3)
	v_dual_mul_f32 v17, v5, v17 :: v_dual_fmac_f32 v148, v3, v14
	v_fma_f32 v14, v2, v14, -v15
	s_delay_alu instid0(VALU_DEP_3) | instskip(NEXT) | instid1(VALU_DEP_3)
	v_fmac_f32_e32 v149, v5, v16
	v_fma_f32 v15, v4, v16, -v17
	ds_load_b128 v[2:5], v1 offset:768
	s_wait_loadcnt_dscnt 0x201
	v_mul_f32_e32 v16, v10, v19
	v_mul_f32_e32 v17, v11, v19
	;; [unrolled: 1-line block ×3, first 2 shown]
	s_delay_alu instid0(VALU_DEP_3) | instskip(NEXT) | instid1(VALU_DEP_3)
	v_dual_mul_f32 v21, v13, v21 :: v_dual_fmac_f32 v16, v11, v18
	v_fma_f32 v17, v10, v18, -v17
	s_delay_alu instid0(VALU_DEP_3) | instskip(NEXT) | instid1(VALU_DEP_3)
	v_fmac_f32_e32 v19, v13, v20
	v_fma_f32 v18, v12, v20, -v21
	scratch_load_b128 v[10:13], off, off offset:320
	s_wait_loadcnt_dscnt 0x100
	v_mul_f32_e32 v20, v2, v7
	v_mul_f32_e32 v7, v3, v7
	;; [unrolled: 1-line block ×3, first 2 shown]
	s_delay_alu instid0(VALU_DEP_3) | instskip(NEXT) | instid1(VALU_DEP_3)
	v_dual_mul_f32 v9, v5, v9 :: v_dual_fmac_f32 v20, v3, v6
	v_fma_f32 v150, v2, v6, -v7
	s_delay_alu instid0(VALU_DEP_3) | instskip(NEXT) | instid1(VALU_DEP_3)
	v_fmac_f32_e32 v21, v5, v8
	v_fma_f32 v151, v4, v8, -v9
	ds_load_b128 v[2:5], v1 offset:784
	ds_load_b128 v[6:9], v1 offset:800
	s_wait_loadcnt_dscnt 0x1
	v_mul_f32_e32 v157, v2, v11
	v_dual_mul_f32 v11, v3, v11 :: v_dual_mul_f32 v158, v4, v13
	s_delay_alu instid0(VALU_DEP_2) | instskip(NEXT) | instid1(VALU_DEP_2)
	v_fmac_f32_e32 v157, v3, v10
	v_fma_f32 v159, v2, v10, -v11
	v_mul_f32_e32 v2, v5, v13
	s_delay_alu instid0(VALU_DEP_4) | instskip(NEXT) | instid1(VALU_DEP_2)
	v_fmac_f32_e32 v158, v5, v12
	v_fma_f32 v160, v4, v12, -v2
	s_clause 0x1
	scratch_load_b128 v[2:5], off, off offset:336
	scratch_load_b128 v[10:13], off, off offset:352
	s_wait_loadcnt_dscnt 0x100
	v_mul_f32_e32 v161, v6, v3
	v_mul_f32_e32 v3, v7, v3
	;; [unrolled: 1-line block ×3, first 2 shown]
	s_delay_alu instid0(VALU_DEP_3) | instskip(NEXT) | instid1(VALU_DEP_3)
	v_fmac_f32_e32 v161, v7, v2
	v_fma_f32 v162, v6, v2, -v3
	v_mul_f32_e32 v2, v9, v5
	s_delay_alu instid0(VALU_DEP_4) | instskip(NEXT) | instid1(VALU_DEP_2)
	v_fmac_f32_e32 v163, v9, v4
	v_fma_f32 v164, v8, v4, -v2
	ds_load_b128 v[2:5], v1 offset:816
	ds_load_b128 v[6:9], v1 offset:832
	s_wait_loadcnt_dscnt 0x1
	v_mul_f32_e32 v165, v2, v11
	v_mul_f32_e32 v167, v4, v13
	s_delay_alu instid0(VALU_DEP_2) | instskip(SKIP_1) | instid1(VALU_DEP_3)
	v_fmac_f32_e32 v165, v3, v10
	v_mul_f32_e32 v3, v3, v11
	v_fmac_f32_e32 v167, v5, v12
	s_delay_alu instid0(VALU_DEP_2) | instskip(SKIP_1) | instid1(VALU_DEP_1)
	v_fma_f32 v166, v2, v10, -v3
	v_mul_f32_e32 v2, v5, v13
	v_fma_f32 v168, v4, v12, -v2
	s_clause 0x1
	scratch_load_b128 v[2:5], off, off offset:368
	scratch_load_b128 v[10:13], off, off offset:384
	s_wait_loadcnt_dscnt 0x100
	v_mul_f32_e32 v169, v6, v3
	v_mul_f32_e32 v3, v7, v3
	s_delay_alu instid0(VALU_DEP_2) | instskip(NEXT) | instid1(VALU_DEP_2)
	v_fmac_f32_e32 v169, v7, v2
	v_fma_f32 v170, v6, v2, -v3
	v_dual_mul_f32 v2, v9, v5 :: v_dual_add_f32 v3, 0, v154
	s_delay_alu instid0(VALU_DEP_1) | instskip(SKIP_1) | instid1(VALU_DEP_1)
	v_fma_f32 v172, v8, v4, -v2
	v_add_f32_e32 v2, 0, v22
	v_add_f32_e32 v2, v2, v23
	s_delay_alu instid0(VALU_DEP_1) | instskip(NEXT) | instid1(VALU_DEP_1)
	v_add_f32_e32 v2, v2, v26
	v_add_f32_e32 v2, v2, v27
	s_delay_alu instid0(VALU_DEP_1) | instskip(NEXT) | instid1(VALU_DEP_1)
	v_dual_add_f32 v3, v3, v155 :: v_dual_add_f32 v2, v2, v28
	v_dual_add_f32 v3, v3, v24 :: v_dual_add_f32 v2, v2, v29
	s_delay_alu instid0(VALU_DEP_1) | instskip(NEXT) | instid1(VALU_DEP_2)
	v_add_f32_e32 v3, v3, v25
	v_add_f32_e32 v7, v2, v14
	s_delay_alu instid0(VALU_DEP_2) | instskip(NEXT) | instid1(VALU_DEP_2)
	v_add_f32_e32 v3, v3, v30
	v_add_f32_e32 v15, v7, v15
	s_delay_alu instid0(VALU_DEP_2) | instskip(NEXT) | instid1(VALU_DEP_1)
	v_add_f32_e32 v6, v3, v156
	v_dual_add_f32 v15, v15, v17 :: v_dual_add_f32 v14, v6, v148
	s_delay_alu instid0(VALU_DEP_1) | instskip(NEXT) | instid1(VALU_DEP_2)
	v_add_f32_e32 v18, v15, v18
	v_add_f32_e32 v14, v14, v149
	s_delay_alu instid0(VALU_DEP_2) | instskip(NEXT) | instid1(VALU_DEP_2)
	v_add_f32_e32 v18, v18, v150
	v_add_f32_e32 v14, v14, v16
	s_delay_alu instid0(VALU_DEP_2) | instskip(NEXT) | instid1(VALU_DEP_2)
	v_add_f32_e32 v18, v18, v151
	v_add_f32_e32 v19, v14, v19
	v_mul_f32_e32 v171, v8, v5
	ds_load_b128 v[14:17], v1 offset:864
	v_dual_add_f32 v18, v18, v159 :: v_dual_add_f32 v19, v19, v20
	s_delay_alu instid0(VALU_DEP_1) | instskip(NEXT) | instid1(VALU_DEP_2)
	v_add_f32_e32 v23, v18, v160
	v_add_f32_e32 v19, v19, v21
	v_fmac_f32_e32 v171, v9, v4
	ds_load_b128 v[2:5], v1 offset:848
	scratch_load_b128 v[6:9], off, off offset:400
	v_add_f32_e32 v23, v23, v162
	v_add_f32_e32 v22, v19, v157
	scratch_load_b128 v[18:21], off, off offset:448
	v_dual_add_f32 v23, v23, v164 :: v_dual_add_f32 v22, v22, v158
	s_delay_alu instid0(VALU_DEP_1) | instskip(SKIP_3) | instid1(VALU_DEP_2)
	v_add_f32_e32 v22, v22, v161
	s_wait_loadcnt_dscnt 0x200
	v_mul_f32_e32 v26, v2, v11
	v_mul_f32_e32 v11, v3, v11
	v_dual_mul_f32 v27, v4, v13 :: v_dual_fmac_f32 v26, v3, v10
	v_mul_f32_e32 v13, v5, v13
	s_delay_alu instid0(VALU_DEP_3) | instskip(NEXT) | instid1(VALU_DEP_3)
	v_fma_f32 v28, v2, v10, -v11
	v_fmac_f32_e32 v27, v5, v12
	s_delay_alu instid0(VALU_DEP_3)
	v_fma_f32 v29, v4, v12, -v13
	s_clause 0x1
	scratch_load_b128 v[10:13], off, off offset:432
	scratch_load_b128 v[2:5], off, off offset:416
	s_wait_loadcnt 0x3
	v_mul_f32_e32 v30, v14, v7
	v_dual_mul_f32 v7, v15, v7 :: v_dual_mul_f32 v148, v16, v9
	s_delay_alu instid0(VALU_DEP_2) | instskip(NEXT) | instid1(VALU_DEP_2)
	v_dual_mul_f32 v9, v17, v9 :: v_dual_fmac_f32 v30, v15, v6
	v_fma_f32 v149, v14, v6, -v7
	v_add_f32_e32 v14, v22, v163
	s_delay_alu instid0(VALU_DEP_4) | instskip(NEXT) | instid1(VALU_DEP_4)
	v_fmac_f32_e32 v148, v17, v8
	v_fma_f32 v150, v16, v8, -v9
	ds_load_b128 v[6:9], v1 offset:880
	v_dual_add_f32 v22, v23, v166 :: v_dual_add_f32 v23, v14, v165
	ds_load_b128 v[14:17], v1 offset:896
	v_dual_add_f32 v151, v22, v168 :: v_dual_add_f32 v154, v23, v167
	ds_load_b128 v[22:25], v1 offset:912
	s_wait_loadcnt_dscnt 0x101
	v_mul_f32_e32 v155, v16, v13
	s_delay_alu instid0(VALU_DEP_1)
	v_fmac_f32_e32 v155, v17, v12
	v_add_f32_e32 v1, v151, v170
	v_add_f32_e32 v151, v154, v169
	s_wait_loadcnt 0x0
	v_mul_f32_e32 v154, v6, v3
	v_mul_f32_e32 v3, v7, v3
	s_delay_alu instid0(VALU_DEP_3) | instskip(NEXT) | instid1(VALU_DEP_3)
	v_add_f32_e32 v151, v151, v171
	v_fmac_f32_e32 v154, v7, v2
	s_delay_alu instid0(VALU_DEP_3) | instskip(SKIP_1) | instid1(VALU_DEP_4)
	v_fma_f32 v3, v6, v2, -v3
	v_mul_f32_e32 v6, v15, v11
	v_dual_add_f32 v26, v151, v26 :: v_dual_mul_f32 v151, v14, v11
	s_delay_alu instid0(VALU_DEP_1) | instskip(SKIP_2) | instid1(VALU_DEP_3)
	v_add_f32_e32 v26, v26, v27
	s_wait_dscnt 0x0
	v_mul_f32_e32 v27, v22, v19
	v_fmac_f32_e32 v151, v15, v10
	s_delay_alu instid0(VALU_DEP_3) | instskip(NEXT) | instid1(VALU_DEP_3)
	v_add_f32_e32 v26, v26, v30
	v_fmac_f32_e32 v27, v23, v18
	v_add_f32_e32 v1, v1, v172
	s_delay_alu instid0(VALU_DEP_3) | instskip(NEXT) | instid1(VALU_DEP_2)
	v_add_f32_e32 v2, v26, v148
	v_dual_add_f32 v1, v1, v28 :: v_dual_mul_f32 v28, v8, v5
	s_delay_alu instid0(VALU_DEP_2) | instskip(NEXT) | instid1(VALU_DEP_2)
	v_dual_mul_f32 v5, v9, v5 :: v_dual_add_f32 v2, v2, v154
	v_add_f32_e32 v1, v1, v29
	s_delay_alu instid0(VALU_DEP_3) | instskip(NEXT) | instid1(VALU_DEP_3)
	v_fmac_f32_e32 v28, v9, v4
	v_fma_f32 v4, v8, v4, -v5
	v_fma_f32 v5, v14, v10, -v6
	v_mul_f32_e32 v29, v24, v21
	s_delay_alu instid0(VALU_DEP_4) | instskip(NEXT) | instid1(VALU_DEP_2)
	v_dual_add_f32 v1, v1, v149 :: v_dual_add_f32 v2, v2, v28
	v_fmac_f32_e32 v29, v25, v20
	s_delay_alu instid0(VALU_DEP_2) | instskip(NEXT) | instid1(VALU_DEP_1)
	v_dual_add_f32 v1, v1, v150 :: v_dual_add_f32 v2, v2, v151
	v_add_f32_e32 v1, v1, v3
	s_delay_alu instid0(VALU_DEP_2) | instskip(NEXT) | instid1(VALU_DEP_2)
	v_dual_mul_f32 v3, v17, v13 :: v_dual_add_f32 v2, v2, v155
	v_dual_add_f32 v1, v1, v4 :: v_dual_mul_f32 v4, v23, v19
	s_delay_alu instid0(VALU_DEP_2) | instskip(NEXT) | instid1(VALU_DEP_2)
	v_fma_f32 v3, v16, v12, -v3
	v_dual_add_f32 v2, v2, v27 :: v_dual_add_f32 v1, v1, v5
	v_mul_f32_e32 v5, v25, v21
	s_delay_alu instid0(VALU_DEP_4) | instskip(NEXT) | instid1(VALU_DEP_3)
	v_fma_f32 v4, v22, v18, -v4
	v_dual_add_f32 v2, v2, v29 :: v_dual_add_f32 v1, v1, v3
	s_delay_alu instid0(VALU_DEP_3) | instskip(NEXT) | instid1(VALU_DEP_2)
	v_fma_f32 v3, v24, v20, -v5
	v_sub_f32_e32 v2, v153, v2
	s_delay_alu instid0(VALU_DEP_3) | instskip(NEXT) | instid1(VALU_DEP_1)
	v_add_f32_e32 v1, v1, v4
	v_add_f32_e32 v1, v1, v3
	s_delay_alu instid0(VALU_DEP_1)
	v_sub_f32_e32 v1, v152, v1
	scratch_store_b64 off, v[1:2], off offset:216
	v_cmpx_lt_u32_e32 26, v0
	s_cbranch_execz .LBB57_309
; %bb.308:
	scratch_load_b64 v[1:2], off, off offset:208
	v_mov_b32_e32 v3, 0
	s_delay_alu instid0(VALU_DEP_1)
	v_mov_b32_e32 v4, v3
	scratch_store_b64 off, v[3:4], off offset:208
	s_wait_loadcnt 0x0
	ds_store_b64 v31, v[1:2]
.LBB57_309:
	s_wait_alu 0xfffe
	s_or_b32 exec_lo, exec_lo, s0
	s_wait_storecnt_dscnt 0x0
	s_barrier_signal -1
	s_barrier_wait -1
	global_inv scope:SCOPE_SE
	s_clause 0x4
	scratch_load_b128 v[5:8], off, off offset:216
	scratch_load_b128 v[1:4], off, off offset:232
	;; [unrolled: 1-line block ×5, first 2 shown]
	v_mov_b32_e32 v21, 0
	ds_load_2addr_b64 v[22:25], v21 offset0:85 offset1:86
	ds_load_2addr_b64 v[26:29], v21 offset0:87 offset1:88
	;; [unrolled: 1-line block ×3, first 2 shown]
	scratch_load_b64 v[152:153], off, off offset:208
	s_mov_b32 s0, exec_lo
	s_wait_loadcnt_dscnt 0x502
	v_mul_f32_e32 v30, v23, v6
	v_dual_mul_f32 v154, v22, v6 :: v_dual_mul_f32 v155, v24, v8
	v_mul_f32_e32 v6, v25, v8
	s_wait_loadcnt_dscnt 0x300
	v_mul_f32_e32 v156, v150, v12
	v_fma_f32 v22, v22, v5, -v30
	v_dual_fmac_f32 v154, v23, v5 :: v_dual_fmac_f32 v155, v25, v7
	v_fma_f32 v23, v24, v7, -v6
	v_dual_mul_f32 v24, v26, v2 :: v_dual_mul_f32 v25, v28, v4
	v_mul_f32_e32 v2, v27, v2
	v_mul_f32_e32 v4, v29, v4
	ds_load_2addr_b64 v[5:8], v21 offset0:91 offset1:92
	v_mul_f32_e32 v30, v148, v10
	v_dual_fmac_f32 v24, v27, v1 :: v_dual_fmac_f32 v25, v29, v3
	v_fma_f32 v26, v26, v1, -v2
	v_fma_f32 v27, v28, v3, -v4
	v_mul_f32_e32 v12, v151, v12
	scratch_load_b128 v[1:4], off, off offset:296
	v_mul_f32_e32 v10, v149, v10
	v_fmac_f32_e32 v30, v149, v9
	v_fmac_f32_e32 v156, v151, v11
	v_fma_f32 v29, v150, v11, -v12
	s_delay_alu instid0(VALU_DEP_4)
	v_fma_f32 v28, v148, v9, -v10
	ds_load_2addr_b64 v[9:12], v21 offset0:93 offset1:94
	s_wait_loadcnt_dscnt 0x301
	v_mul_f32_e32 v148, v5, v14
	v_dual_mul_f32 v14, v6, v14 :: v_dual_mul_f32 v149, v7, v16
	v_mul_f32_e32 v16, v8, v16
	s_delay_alu instid0(VALU_DEP_3) | instskip(NEXT) | instid1(VALU_DEP_3)
	v_fmac_f32_e32 v148, v6, v13
	v_fma_f32 v13, v5, v13, -v14
	s_delay_alu instid0(VALU_DEP_4) | instskip(NEXT) | instid1(VALU_DEP_4)
	v_fmac_f32_e32 v149, v8, v15
	v_fma_f32 v14, v7, v15, -v16
	ds_load_2addr_b64 v[5:8], v21 offset0:95 offset1:96
	s_wait_loadcnt_dscnt 0x201
	v_mul_f32_e32 v15, v9, v18
	v_mul_f32_e32 v16, v10, v18
	v_mul_f32_e32 v18, v11, v20
	s_delay_alu instid0(VALU_DEP_3) | instskip(NEXT) | instid1(VALU_DEP_3)
	v_dual_mul_f32 v20, v12, v20 :: v_dual_fmac_f32 v15, v10, v17
	v_fma_f32 v16, v9, v17, -v16
	s_delay_alu instid0(VALU_DEP_3) | instskip(NEXT) | instid1(VALU_DEP_3)
	v_fmac_f32_e32 v18, v12, v19
	v_fma_f32 v17, v11, v19, -v20
	scratch_load_b128 v[9:12], off, off offset:312
	s_wait_loadcnt_dscnt 0x100
	v_mul_f32_e32 v19, v5, v2
	v_mul_f32_e32 v2, v6, v2
	;; [unrolled: 1-line block ×3, first 2 shown]
	s_delay_alu instid0(VALU_DEP_3) | instskip(NEXT) | instid1(VALU_DEP_3)
	v_dual_mul_f32 v4, v8, v4 :: v_dual_fmac_f32 v19, v6, v1
	v_fma_f32 v150, v5, v1, -v2
	s_delay_alu instid0(VALU_DEP_3) | instskip(NEXT) | instid1(VALU_DEP_3)
	v_fmac_f32_e32 v20, v8, v3
	v_fma_f32 v151, v7, v3, -v4
	ds_load_2addr_b64 v[1:4], v21 offset0:97 offset1:98
	ds_load_2addr_b64 v[5:8], v21 offset0:99 offset1:100
	s_wait_loadcnt_dscnt 0x1
	v_mul_f32_e32 v157, v1, v10
	v_mul_f32_e32 v10, v2, v10
	s_delay_alu instid0(VALU_DEP_2) | instskip(NEXT) | instid1(VALU_DEP_2)
	v_dual_mul_f32 v158, v3, v12 :: v_dual_fmac_f32 v157, v2, v9
	v_fma_f32 v159, v1, v9, -v10
	v_mul_f32_e32 v1, v4, v12
	s_delay_alu instid0(VALU_DEP_3) | instskip(NEXT) | instid1(VALU_DEP_2)
	v_fmac_f32_e32 v158, v4, v11
	v_fma_f32 v160, v3, v11, -v1
	s_clause 0x1
	scratch_load_b128 v[1:4], off, off offset:328
	scratch_load_b128 v[9:12], off, off offset:344
	s_wait_loadcnt_dscnt 0x100
	v_mul_f32_e32 v161, v5, v2
	v_dual_mul_f32 v2, v6, v2 :: v_dual_mul_f32 v163, v7, v4
	s_delay_alu instid0(VALU_DEP_2) | instskip(NEXT) | instid1(VALU_DEP_2)
	v_fmac_f32_e32 v161, v6, v1
	v_fma_f32 v162, v5, v1, -v2
	v_mul_f32_e32 v1, v8, v4
	s_delay_alu instid0(VALU_DEP_4) | instskip(NEXT) | instid1(VALU_DEP_2)
	v_fmac_f32_e32 v163, v8, v3
	v_fma_f32 v164, v7, v3, -v1
	ds_load_2addr_b64 v[1:4], v21 offset0:101 offset1:102
	ds_load_2addr_b64 v[5:8], v21 offset0:103 offset1:104
	s_wait_loadcnt_dscnt 0x1
	v_mul_f32_e32 v165, v1, v10
	v_mul_f32_e32 v167, v3, v12
	s_delay_alu instid0(VALU_DEP_2) | instskip(NEXT) | instid1(VALU_DEP_2)
	v_fmac_f32_e32 v165, v2, v9
	v_dual_mul_f32 v2, v2, v10 :: v_dual_fmac_f32 v167, v4, v11
	s_delay_alu instid0(VALU_DEP_1) | instskip(SKIP_1) | instid1(VALU_DEP_1)
	v_fma_f32 v166, v1, v9, -v2
	v_mul_f32_e32 v1, v4, v12
	v_fma_f32 v168, v3, v11, -v1
	s_clause 0x1
	scratch_load_b128 v[1:4], off, off offset:360
	scratch_load_b128 v[9:12], off, off offset:376
	s_wait_loadcnt_dscnt 0x100
	v_mul_f32_e32 v169, v5, v2
	v_dual_mul_f32 v2, v6, v2 :: v_dual_mul_f32 v171, v7, v4
	s_delay_alu instid0(VALU_DEP_2) | instskip(NEXT) | instid1(VALU_DEP_2)
	v_fmac_f32_e32 v169, v6, v1
	v_fma_f32 v170, v5, v1, -v2
	v_mul_f32_e32 v1, v8, v4
	s_delay_alu instid0(VALU_DEP_4) | instskip(NEXT) | instid1(VALU_DEP_2)
	v_fmac_f32_e32 v171, v8, v3
	v_fma_f32 v172, v7, v3, -v1
	v_add_f32_e32 v1, 0, v22
	s_delay_alu instid0(VALU_DEP_1) | instskip(NEXT) | instid1(VALU_DEP_1)
	v_add_f32_e32 v1, v1, v23
	v_add_f32_e32 v1, v1, v26
	s_delay_alu instid0(VALU_DEP_1) | instskip(SKIP_2) | instid1(VALU_DEP_1)
	v_dual_add_f32 v1, v1, v27 :: v_dual_add_f32 v2, 0, v154
	scratch_load_b64 v[26:27], off, off offset:456
	v_dual_add_f32 v1, v1, v28 :: v_dual_add_f32 v2, v2, v155
	v_dual_add_f32 v1, v1, v29 :: v_dual_add_f32 v2, v2, v24
	s_delay_alu instid0(VALU_DEP_1) | instskip(NEXT) | instid1(VALU_DEP_2)
	v_add_f32_e32 v6, v1, v13
	v_add_f32_e32 v2, v2, v25
	s_delay_alu instid0(VALU_DEP_1) | instskip(NEXT) | instid1(VALU_DEP_1)
	v_add_f32_e32 v2, v2, v30
	v_add_f32_e32 v5, v2, v156
	scratch_load_b128 v[1:4], off, off offset:392
	v_add_f32_e32 v13, v5, v148
	s_delay_alu instid0(VALU_DEP_1) | instskip(SKIP_2) | instid1(VALU_DEP_1)
	v_dual_add_f32 v13, v13, v149 :: v_dual_add_f32 v14, v6, v14
	ds_load_2addr_b64 v[5:8], v21 offset0:105 offset1:106
	v_dual_add_f32 v13, v13, v15 :: v_dual_add_f32 v14, v14, v16
	v_dual_add_f32 v18, v13, v18 :: v_dual_add_f32 v17, v14, v17
	ds_load_2addr_b64 v[13:16], v21 offset0:107 offset1:108
	v_add_f32_e32 v17, v17, v150
	s_wait_loadcnt_dscnt 0x201
	s_delay_alu instid0(VALU_DEP_1) | instskip(NEXT) | instid1(VALU_DEP_1)
	v_dual_add_f32 v17, v17, v151 :: v_dual_mul_f32 v148, v7, v12
	v_dual_mul_f32 v12, v8, v12 :: v_dual_add_f32 v17, v17, v159
	v_add_f32_e32 v18, v18, v19
	s_delay_alu instid0(VALU_DEP_2) | instskip(NEXT) | instid1(VALU_DEP_3)
	v_fma_f32 v150, v7, v11, -v12
	v_dual_add_f32 v23, v17, v160 :: v_dual_fmac_f32 v148, v8, v11
	s_delay_alu instid0(VALU_DEP_1) | instskip(SKIP_1) | instid1(VALU_DEP_2)
	v_add_f32_e32 v23, v23, v162
	v_mul_f32_e32 v30, v5, v10
	v_dual_mul_f32 v10, v6, v10 :: v_dual_add_f32 v23, v23, v164
	s_delay_alu instid0(VALU_DEP_2) | instskip(NEXT) | instid1(VALU_DEP_2)
	v_fmac_f32_e32 v30, v6, v9
	v_fma_f32 v149, v5, v9, -v10
	s_clause 0x1
	scratch_load_b128 v[5:8], off, off offset:408
	scratch_load_b128 v[9:12], off, off offset:424
	v_dual_add_f32 v18, v18, v20 :: v_dual_add_f32 v23, v23, v166
	s_wait_loadcnt_dscnt 0x200
	v_mul_f32_e32 v151, v13, v2
	v_mul_f32_e32 v2, v14, v2
	;; [unrolled: 1-line block ×3, first 2 shown]
	s_delay_alu instid0(VALU_DEP_3) | instskip(NEXT) | instid1(VALU_DEP_3)
	v_dual_mul_f32 v4, v16, v4 :: v_dual_fmac_f32 v151, v14, v1
	v_fma_f32 v155, v13, v1, -v2
	s_delay_alu instid0(VALU_DEP_3) | instskip(NEXT) | instid1(VALU_DEP_3)
	v_fmac_f32_e32 v154, v16, v3
	v_fma_f32 v156, v15, v3, -v4
	ds_load_2addr_b64 v[1:4], v21 offset0:109 offset1:110
	v_add_f32_e32 v22, v18, v157
	scratch_load_b128 v[17:20], off, off offset:440
	v_add_f32_e32 v14, v23, v168
	s_delay_alu instid0(VALU_DEP_1) | instskip(NEXT) | instid1(VALU_DEP_1)
	v_add_f32_e32 v28, v14, v170
	v_dual_add_f32 v157, v28, v172 :: v_dual_add_f32 v22, v22, v158
	s_delay_alu instid0(VALU_DEP_1) | instskip(NEXT) | instid1(VALU_DEP_1)
	v_add_f32_e32 v149, v157, v149
	v_dual_add_f32 v22, v22, v161 :: v_dual_add_f32 v149, v149, v150
	s_delay_alu instid0(VALU_DEP_1) | instskip(NEXT) | instid1(VALU_DEP_2)
	v_add_f32_e32 v22, v22, v163
	v_add_f32_e32 v149, v149, v155
	s_delay_alu instid0(VALU_DEP_2) | instskip(NEXT) | instid1(VALU_DEP_2)
	v_add_f32_e32 v13, v22, v165
	v_add_f32_e32 v149, v149, v156
	s_delay_alu instid0(VALU_DEP_2) | instskip(SKIP_4) | instid1(VALU_DEP_2)
	v_add_f32_e32 v22, v13, v167
	ds_load_2addr_b64 v[13:16], v21 offset0:111 offset1:112
	s_wait_loadcnt_dscnt 0x201
	v_mul_f32_e32 v157, v1, v6
	v_mul_f32_e32 v6, v2, v6
	v_fmac_f32_e32 v157, v2, v5
	v_add_f32_e32 v29, v22, v169
	ds_load_2addr_b64 v[22:25], v21 offset0:113 offset1:114
	v_fma_f32 v1, v1, v5, -v6
	v_add_f32_e32 v158, v29, v171
	ds_load_b64 v[28:29], v21 offset:920
	v_add_f32_e32 v1, v149, v1
	s_wait_loadcnt_dscnt 0x102
	v_dual_mul_f32 v5, v16, v12 :: v_dual_add_f32 v30, v158, v30
	s_delay_alu instid0(VALU_DEP_1) | instskip(NEXT) | instid1(VALU_DEP_2)
	v_fma_f32 v5, v15, v11, -v5
	v_add_f32_e32 v30, v30, v148
	v_mul_f32_e32 v148, v3, v8
	v_mul_f32_e32 v8, v4, v8
	s_delay_alu instid0(VALU_DEP_1) | instskip(SKIP_1) | instid1(VALU_DEP_2)
	v_fma_f32 v2, v3, v7, -v8
	v_mul_f32_e32 v3, v14, v10
	v_dual_add_f32 v1, v1, v2 :: v_dual_add_f32 v30, v30, v151
	s_delay_alu instid0(VALU_DEP_2) | instskip(SKIP_1) | instid1(VALU_DEP_2)
	v_fma_f32 v3, v13, v9, -v3
	v_mul_f32_e32 v151, v15, v12
	v_add_f32_e32 v1, v1, v3
	s_delay_alu instid0(VALU_DEP_2) | instskip(NEXT) | instid1(VALU_DEP_2)
	v_fmac_f32_e32 v151, v16, v11
	v_dual_fmac_f32 v148, v4, v7 :: v_dual_add_f32 v1, v1, v5
	s_wait_dscnt 0x0
	v_mul_f32_e32 v5, v29, v27
	s_wait_loadcnt 0x0
	v_dual_mul_f32 v3, v25, v20 :: v_dual_add_f32 v30, v30, v154
	v_mul_f32_e32 v155, v22, v18
	v_mul_f32_e32 v150, v13, v10
	;; [unrolled: 1-line block ×3, first 2 shown]
	s_delay_alu instid0(VALU_DEP_4) | instskip(SKIP_4) | instid1(VALU_DEP_4)
	v_fma_f32 v3, v24, v19, -v3
	v_add_f32_e32 v4, v30, v157
	v_fmac_f32_e32 v155, v23, v17
	v_fmac_f32_e32 v150, v14, v9
	;; [unrolled: 1-line block ×3, first 2 shown]
	v_add_f32_e32 v2, v4, v148
	v_mul_f32_e32 v4, v23, v18
	s_delay_alu instid0(VALU_DEP_2) | instskip(NEXT) | instid1(VALU_DEP_2)
	v_add_f32_e32 v2, v2, v150
	v_fma_f32 v4, v22, v17, -v4
	v_mul_f32_e32 v154, v28, v27
	s_delay_alu instid0(VALU_DEP_2) | instskip(NEXT) | instid1(VALU_DEP_2)
	v_dual_add_f32 v2, v2, v151 :: v_dual_add_f32 v1, v1, v4
	v_fmac_f32_e32 v154, v29, v26
	v_fma_f32 v4, v28, v26, -v5
	s_delay_alu instid0(VALU_DEP_3) | instskip(NEXT) | instid1(VALU_DEP_1)
	v_add_f32_e32 v2, v2, v155
	v_dual_add_f32 v1, v1, v3 :: v_dual_add_f32 v2, v2, v156
	s_delay_alu instid0(VALU_DEP_1) | instskip(NEXT) | instid1(VALU_DEP_1)
	v_dual_add_f32 v1, v1, v4 :: v_dual_add_f32 v2, v2, v154
	v_dual_sub_f32 v1, v152, v1 :: v_dual_sub_f32 v2, v153, v2
	scratch_store_b64 off, v[1:2], off offset:208
	v_cmpx_lt_u32_e32 25, v0
	s_cbranch_execz .LBB57_311
; %bb.310:
	scratch_load_b64 v[1:2], off, off offset:200
	v_mov_b32_e32 v22, v21
	scratch_store_b64 off, v[21:22], off offset:200
	s_wait_loadcnt 0x0
	ds_store_b64 v31, v[1:2]
.LBB57_311:
	s_wait_alu 0xfffe
	s_or_b32 exec_lo, exec_lo, s0
	s_wait_storecnt_dscnt 0x0
	s_barrier_signal -1
	s_barrier_wait -1
	global_inv scope:SCOPE_SE
	s_clause 0x4
	scratch_load_b128 v[5:8], off, off offset:208
	scratch_load_b128 v[1:4], off, off offset:224
	;; [unrolled: 1-line block ×5, first 2 shown]
	ds_load_b128 v[22:25], v21 offset:672
	ds_load_b128 v[26:29], v21 offset:688
	;; [unrolled: 1-line block ×3, first 2 shown]
	scratch_load_b64 v[152:153], off, off offset:200
	s_mov_b32 s0, exec_lo
	s_wait_loadcnt_dscnt 0x502
	v_dual_mul_f32 v30, v23, v6 :: v_dual_mul_f32 v155, v24, v8
	v_mul_f32_e32 v154, v22, v6
	v_mul_f32_e32 v6, v25, v8
	s_wait_loadcnt_dscnt 0x300
	v_mul_f32_e32 v156, v150, v12
	v_fma_f32 v22, v22, v5, -v30
	v_dual_fmac_f32 v155, v25, v7 :: v_dual_fmac_f32 v154, v23, v5
	v_mul_f32_e32 v25, v28, v4
	v_fma_f32 v23, v24, v7, -v6
	ds_load_b128 v[5:8], v21 offset:720
	v_mul_f32_e32 v24, v26, v2
	v_mul_f32_e32 v4, v29, v4
	;; [unrolled: 1-line block ×5, first 2 shown]
	v_dual_mul_f32 v2, v27, v2 :: v_dual_fmac_f32 v25, v29, v3
	v_fmac_f32_e32 v24, v27, v1
	v_fma_f32 v27, v28, v3, -v4
	v_fmac_f32_e32 v30, v149, v9
	v_fma_f32 v28, v148, v9, -v10
	;; [unrolled: 2-line block ×3, first 2 shown]
	ds_load_b128 v[9:12], v21 offset:736
	s_wait_loadcnt_dscnt 0x201
	v_mul_f32_e32 v148, v5, v14
	v_dual_mul_f32 v14, v6, v14 :: v_dual_mul_f32 v149, v7, v16
	v_mul_f32_e32 v16, v8, v16
	s_delay_alu instid0(VALU_DEP_3) | instskip(NEXT) | instid1(VALU_DEP_3)
	v_fmac_f32_e32 v148, v6, v13
	v_fma_f32 v13, v5, v13, -v14
	s_delay_alu instid0(VALU_DEP_4) | instskip(NEXT) | instid1(VALU_DEP_4)
	v_fmac_f32_e32 v149, v8, v15
	v_fma_f32 v14, v7, v15, -v16
	ds_load_b128 v[5:8], v21 offset:752
	s_wait_loadcnt_dscnt 0x101
	v_mul_f32_e32 v15, v9, v18
	v_mul_f32_e32 v16, v10, v18
	;; [unrolled: 1-line block ×3, first 2 shown]
	s_delay_alu instid0(VALU_DEP_3)
	v_dual_mul_f32 v20, v12, v20 :: v_dual_fmac_f32 v15, v10, v17
	v_fma_f32 v26, v26, v1, -v2
	scratch_load_b128 v[1:4], off, off offset:288
	v_fma_f32 v16, v9, v17, -v16
	v_fmac_f32_e32 v18, v12, v19
	v_fma_f32 v17, v11, v19, -v20
	scratch_load_b128 v[9:12], off, off offset:304
	s_wait_loadcnt_dscnt 0x100
	v_mul_f32_e32 v19, v5, v2
	v_mul_f32_e32 v2, v6, v2
	v_mul_f32_e32 v20, v7, v4
	s_delay_alu instid0(VALU_DEP_3) | instskip(NEXT) | instid1(VALU_DEP_3)
	v_dual_mul_f32 v4, v8, v4 :: v_dual_fmac_f32 v19, v6, v1
	v_fma_f32 v150, v5, v1, -v2
	s_delay_alu instid0(VALU_DEP_3) | instskip(NEXT) | instid1(VALU_DEP_3)
	v_fmac_f32_e32 v20, v8, v3
	v_fma_f32 v151, v7, v3, -v4
	ds_load_b128 v[1:4], v21 offset:768
	ds_load_b128 v[5:8], v21 offset:784
	s_wait_loadcnt_dscnt 0x1
	v_mul_f32_e32 v157, v1, v10
	v_mul_f32_e32 v10, v2, v10
	s_delay_alu instid0(VALU_DEP_2) | instskip(NEXT) | instid1(VALU_DEP_2)
	v_dual_mul_f32 v158, v3, v12 :: v_dual_fmac_f32 v157, v2, v9
	v_fma_f32 v159, v1, v9, -v10
	v_mul_f32_e32 v1, v4, v12
	s_delay_alu instid0(VALU_DEP_3) | instskip(NEXT) | instid1(VALU_DEP_2)
	v_fmac_f32_e32 v158, v4, v11
	v_fma_f32 v160, v3, v11, -v1
	s_clause 0x1
	scratch_load_b128 v[1:4], off, off offset:320
	scratch_load_b128 v[9:12], off, off offset:336
	s_wait_loadcnt_dscnt 0x100
	v_mul_f32_e32 v161, v5, v2
	v_dual_mul_f32 v2, v6, v2 :: v_dual_mul_f32 v163, v7, v4
	s_delay_alu instid0(VALU_DEP_2) | instskip(NEXT) | instid1(VALU_DEP_2)
	v_fmac_f32_e32 v161, v6, v1
	v_fma_f32 v162, v5, v1, -v2
	v_mul_f32_e32 v1, v8, v4
	s_delay_alu instid0(VALU_DEP_4) | instskip(NEXT) | instid1(VALU_DEP_2)
	v_fmac_f32_e32 v163, v8, v3
	v_fma_f32 v164, v7, v3, -v1
	ds_load_b128 v[1:4], v21 offset:800
	ds_load_b128 v[5:8], v21 offset:816
	s_wait_loadcnt_dscnt 0x1
	v_mul_f32_e32 v165, v1, v10
	v_mul_f32_e32 v167, v3, v12
	s_delay_alu instid0(VALU_DEP_2) | instskip(NEXT) | instid1(VALU_DEP_2)
	v_fmac_f32_e32 v165, v2, v9
	v_dual_mul_f32 v2, v2, v10 :: v_dual_fmac_f32 v167, v4, v11
	s_delay_alu instid0(VALU_DEP_1) | instskip(SKIP_1) | instid1(VALU_DEP_1)
	v_fma_f32 v166, v1, v9, -v2
	v_mul_f32_e32 v1, v4, v12
	v_fma_f32 v168, v3, v11, -v1
	s_clause 0x1
	scratch_load_b128 v[1:4], off, off offset:352
	scratch_load_b128 v[9:12], off, off offset:368
	s_wait_loadcnt_dscnt 0x100
	v_mul_f32_e32 v169, v5, v2
	v_dual_mul_f32 v2, v6, v2 :: v_dual_mul_f32 v171, v7, v4
	s_delay_alu instid0(VALU_DEP_2) | instskip(NEXT) | instid1(VALU_DEP_2)
	v_fmac_f32_e32 v169, v6, v1
	v_fma_f32 v170, v5, v1, -v2
	v_mul_f32_e32 v1, v8, v4
	s_delay_alu instid0(VALU_DEP_4) | instskip(NEXT) | instid1(VALU_DEP_2)
	v_fmac_f32_e32 v171, v8, v3
	v_fma_f32 v172, v7, v3, -v1
	ds_load_b128 v[1:4], v21 offset:832
	ds_load_b128 v[5:8], v21 offset:848
	s_wait_loadcnt_dscnt 0x1
	v_mul_f32_e32 v173, v1, v10
	v_mul_f32_e32 v175, v3, v12
	s_delay_alu instid0(VALU_DEP_2) | instskip(NEXT) | instid1(VALU_DEP_2)
	v_fmac_f32_e32 v173, v2, v9
	v_dual_mul_f32 v2, v2, v10 :: v_dual_fmac_f32 v175, v4, v11
	s_delay_alu instid0(VALU_DEP_1) | instskip(SKIP_1) | instid1(VALU_DEP_1)
	v_fma_f32 v174, v1, v9, -v2
	v_mul_f32_e32 v1, v4, v12
	v_fma_f32 v176, v3, v11, -v1
	s_clause 0x1
	scratch_load_b128 v[1:4], off, off offset:384
	scratch_load_b128 v[9:12], off, off offset:400
	s_wait_loadcnt_dscnt 0x100
	v_mul_f32_e32 v177, v5, v2
	v_dual_mul_f32 v2, v6, v2 :: v_dual_mul_f32 v179, v7, v4
	s_delay_alu instid0(VALU_DEP_1) | instskip(NEXT) | instid1(VALU_DEP_2)
	v_fma_f32 v178, v5, v1, -v2
	v_dual_fmac_f32 v179, v8, v3 :: v_dual_add_f32 v2, 0, v154
	s_delay_alu instid0(VALU_DEP_1) | instskip(NEXT) | instid1(VALU_DEP_1)
	v_add_f32_e32 v2, v2, v155
	v_add_f32_e32 v2, v2, v24
	s_delay_alu instid0(VALU_DEP_1) | instskip(NEXT) | instid1(VALU_DEP_1)
	v_add_f32_e32 v2, v2, v25
	v_add_f32_e32 v2, v2, v30
	;; [unrolled: 3-line block ×5, first 2 shown]
	v_fmac_f32_e32 v177, v6, v1
	v_mul_f32_e32 v1, v8, v4
	s_delay_alu instid0(VALU_DEP_1) | instskip(SKIP_1) | instid1(VALU_DEP_1)
	v_fma_f32 v180, v7, v3, -v1
	v_add_f32_e32 v1, 0, v22
	v_add_f32_e32 v1, v1, v23
	s_delay_alu instid0(VALU_DEP_1) | instskip(NEXT) | instid1(VALU_DEP_1)
	v_add_f32_e32 v1, v1, v26
	v_add_f32_e32 v1, v1, v27
	s_delay_alu instid0(VALU_DEP_1) | instskip(NEXT) | instid1(VALU_DEP_1)
	;; [unrolled: 3-line block ×3, first 2 shown]
	v_add_f32_e32 v1, v1, v13
	v_add_f32_e32 v1, v1, v14
	;; [unrolled: 1-line block ×3, first 2 shown]
	s_delay_alu instid0(VALU_DEP_1) | instskip(NEXT) | instid1(VALU_DEP_1)
	v_dual_add_f32 v1, v1, v16 :: v_dual_add_f32 v14, v14, v157
	v_add_f32_e32 v6, v1, v17
	ds_load_b128 v[1:4], v21 offset:864
	v_add_f32_e32 v14, v14, v158
	v_add_f32_e32 v6, v6, v150
	s_delay_alu instid0(VALU_DEP_2) | instskip(NEXT) | instid1(VALU_DEP_2)
	v_add_f32_e32 v17, v14, v161
	v_add_f32_e32 v13, v6, v151
	ds_load_b128 v[5:8], v21 offset:880
	v_add_f32_e32 v17, v17, v163
	s_delay_alu instid0(VALU_DEP_1) | instskip(SKIP_3) | instid1(VALU_DEP_3)
	v_add_f32_e32 v17, v17, v165
	s_wait_loadcnt_dscnt 0x1
	v_dual_mul_f32 v25, v1, v10 :: v_dual_mul_f32 v26, v3, v12
	v_mul_f32_e32 v10, v2, v10
	v_dual_mul_f32 v12, v4, v12 :: v_dual_add_f32 v17, v17, v167
	s_delay_alu instid0(VALU_DEP_3) | instskip(NEXT) | instid1(VALU_DEP_3)
	v_dual_fmac_f32 v25, v2, v9 :: v_dual_fmac_f32 v26, v4, v11
	v_fma_f32 v27, v1, v9, -v10
	s_delay_alu instid0(VALU_DEP_3) | instskip(SKIP_4) | instid1(VALU_DEP_1)
	v_fma_f32 v28, v3, v11, -v12
	s_clause 0x1
	scratch_load_b128 v[1:4], off, off offset:416
	scratch_load_b128 v[9:12], off, off offset:432
	v_add_f32_e32 v23, v17, v169
	v_add_f32_e32 v30, v23, v171
	s_delay_alu instid0(VALU_DEP_1) | instskip(NEXT) | instid1(VALU_DEP_1)
	v_add_f32_e32 v30, v30, v173
	v_add_f32_e32 v30, v30, v175
	s_delay_alu instid0(VALU_DEP_1) | instskip(NEXT) | instid1(VALU_DEP_1)
	v_add_f32_e32 v30, v30, v177
	v_add_f32_e32 v30, v30, v179
	s_wait_loadcnt_dscnt 0x100
	v_mul_f32_e32 v148, v5, v2
	v_dual_add_f32 v13, v13, v159 :: v_dual_mul_f32 v2, v6, v2
	v_mul_f32_e32 v149, v7, v4
	v_mul_f32_e32 v4, v8, v4
	s_delay_alu instid0(VALU_DEP_3) | instskip(NEXT) | instid1(VALU_DEP_4)
	v_dual_fmac_f32 v148, v6, v1 :: v_dual_add_f32 v13, v13, v160
	v_fma_f32 v2, v5, v1, -v2
	s_delay_alu instid0(VALU_DEP_2) | instskip(NEXT) | instid1(VALU_DEP_1)
	v_add_f32_e32 v13, v13, v162
	v_add_f32_e32 v18, v13, v164
	scratch_load_b128 v[13:16], off, off offset:448
	v_add_f32_e32 v25, v30, v25
	v_add_f32_e32 v18, v18, v166
	s_delay_alu instid0(VALU_DEP_1) | instskip(NEXT) | instid1(VALU_DEP_1)
	v_add_f32_e32 v18, v18, v168
	v_add_f32_e32 v22, v18, v170
	ds_load_b128 v[17:20], v21 offset:896
	v_add_f32_e32 v29, v22, v172
	ds_load_b128 v[21:24], v21 offset:912
	s_wait_loadcnt_dscnt 0x101
	v_mul_f32_e32 v150, v17, v10
	v_add_f32_e32 v29, v29, v174
	v_dual_mul_f32 v151, v19, v12 :: v_dual_mul_f32 v6, v18, v10
	s_delay_alu instid0(VALU_DEP_2) | instskip(NEXT) | instid1(VALU_DEP_2)
	v_dual_fmac_f32 v150, v18, v9 :: v_dual_add_f32 v29, v29, v176
	v_fmac_f32_e32 v151, v20, v11
	s_delay_alu instid0(VALU_DEP_2) | instskip(NEXT) | instid1(VALU_DEP_1)
	v_add_f32_e32 v29, v29, v178
	v_add_f32_e32 v29, v29, v180
	s_delay_alu instid0(VALU_DEP_1) | instskip(SKIP_2) | instid1(VALU_DEP_1)
	v_add_f32_e32 v27, v29, v27
	s_wait_loadcnt_dscnt 0x0
	v_mul_f32_e32 v154, v21, v14
	v_dual_add_f32 v5, v25, v26 :: v_dual_fmac_f32 v154, v22, v13
	v_fmac_f32_e32 v149, v8, v3
	v_fma_f32 v3, v7, v3, -v4
	v_mul_f32_e32 v4, v20, v12
	v_add_f32_e32 v1, v27, v28
	s_delay_alu instid0(VALU_DEP_2) | instskip(NEXT) | instid1(VALU_DEP_2)
	v_fma_f32 v4, v19, v11, -v4
	v_add_f32_e32 v1, v1, v2
	v_add_f32_e32 v2, v5, v148
	v_mul_f32_e32 v29, v23, v16
	v_fma_f32 v5, v17, v9, -v6
	s_delay_alu instid0(VALU_DEP_2) | instskip(NEXT) | instid1(VALU_DEP_1)
	v_dual_add_f32 v2, v2, v149 :: v_dual_fmac_f32 v29, v24, v15
	v_add_f32_e32 v2, v2, v150
	s_delay_alu instid0(VALU_DEP_1) | instskip(NEXT) | instid1(VALU_DEP_1)
	v_add_f32_e32 v2, v2, v151
	v_dual_add_f32 v2, v2, v154 :: v_dual_add_f32 v1, v1, v3
	v_mul_f32_e32 v3, v22, v14
	s_delay_alu instid0(VALU_DEP_2) | instskip(NEXT) | instid1(VALU_DEP_3)
	v_add_f32_e32 v2, v2, v29
	v_add_f32_e32 v1, v1, v5
	v_mul_f32_e32 v5, v24, v16
	s_delay_alu instid0(VALU_DEP_4) | instskip(NEXT) | instid1(VALU_DEP_4)
	v_fma_f32 v3, v21, v13, -v3
	v_sub_f32_e32 v2, v153, v2
	s_delay_alu instid0(VALU_DEP_4) | instskip(NEXT) | instid1(VALU_DEP_4)
	v_add_f32_e32 v1, v1, v4
	v_fma_f32 v4, v23, v15, -v5
	s_delay_alu instid0(VALU_DEP_2) | instskip(NEXT) | instid1(VALU_DEP_1)
	v_add_f32_e32 v1, v1, v3
	v_add_f32_e32 v1, v1, v4
	s_delay_alu instid0(VALU_DEP_1)
	v_sub_f32_e32 v1, v152, v1
	scratch_store_b64 off, v[1:2], off offset:200
	v_cmpx_lt_u32_e32 24, v0
	s_cbranch_execz .LBB57_313
; %bb.312:
	scratch_load_b64 v[1:2], off, off offset:192
	v_mov_b32_e32 v3, 0
	s_delay_alu instid0(VALU_DEP_1)
	v_mov_b32_e32 v4, v3
	scratch_store_b64 off, v[3:4], off offset:192
	s_wait_loadcnt 0x0
	ds_store_b64 v31, v[1:2]
.LBB57_313:
	s_wait_alu 0xfffe
	s_or_b32 exec_lo, exec_lo, s0
	s_wait_storecnt_dscnt 0x0
	s_barrier_signal -1
	s_barrier_wait -1
	global_inv scope:SCOPE_SE
	s_clause 0x4
	scratch_load_b128 v[5:8], off, off offset:200
	scratch_load_b128 v[1:4], off, off offset:216
	;; [unrolled: 1-line block ×5, first 2 shown]
	v_mov_b32_e32 v21, 0
	ds_load_2addr_b64 v[22:25], v21 offset0:83 offset1:84
	ds_load_2addr_b64 v[26:29], v21 offset0:85 offset1:86
	;; [unrolled: 1-line block ×3, first 2 shown]
	scratch_load_b64 v[152:153], off, off offset:192
	s_mov_b32 s0, exec_lo
	s_wait_loadcnt_dscnt 0x502
	v_mul_f32_e32 v30, v23, v6
	v_dual_mul_f32 v154, v22, v6 :: v_dual_mul_f32 v155, v24, v8
	v_mul_f32_e32 v6, v25, v8
	s_wait_loadcnt_dscnt 0x300
	v_mul_f32_e32 v156, v150, v12
	v_fma_f32 v22, v22, v5, -v30
	v_dual_fmac_f32 v154, v23, v5 :: v_dual_fmac_f32 v155, v25, v7
	v_fma_f32 v23, v24, v7, -v6
	v_dual_mul_f32 v24, v26, v2 :: v_dual_mul_f32 v25, v28, v4
	v_mul_f32_e32 v2, v27, v2
	v_mul_f32_e32 v4, v29, v4
	ds_load_2addr_b64 v[5:8], v21 offset0:89 offset1:90
	v_mul_f32_e32 v30, v148, v10
	v_dual_fmac_f32 v24, v27, v1 :: v_dual_fmac_f32 v25, v29, v3
	v_fma_f32 v26, v26, v1, -v2
	v_fma_f32 v27, v28, v3, -v4
	v_mul_f32_e32 v12, v151, v12
	scratch_load_b128 v[1:4], off, off offset:280
	v_mul_f32_e32 v10, v149, v10
	v_fmac_f32_e32 v30, v149, v9
	v_fmac_f32_e32 v156, v151, v11
	v_fma_f32 v29, v150, v11, -v12
	s_delay_alu instid0(VALU_DEP_4)
	v_fma_f32 v28, v148, v9, -v10
	ds_load_2addr_b64 v[9:12], v21 offset0:91 offset1:92
	s_wait_loadcnt_dscnt 0x301
	v_mul_f32_e32 v148, v5, v14
	v_dual_mul_f32 v14, v6, v14 :: v_dual_mul_f32 v149, v7, v16
	v_mul_f32_e32 v16, v8, v16
	s_delay_alu instid0(VALU_DEP_3) | instskip(NEXT) | instid1(VALU_DEP_3)
	v_fmac_f32_e32 v148, v6, v13
	v_fma_f32 v13, v5, v13, -v14
	s_delay_alu instid0(VALU_DEP_4) | instskip(NEXT) | instid1(VALU_DEP_4)
	v_fmac_f32_e32 v149, v8, v15
	v_fma_f32 v14, v7, v15, -v16
	ds_load_2addr_b64 v[5:8], v21 offset0:93 offset1:94
	s_wait_loadcnt_dscnt 0x201
	v_mul_f32_e32 v15, v9, v18
	v_mul_f32_e32 v16, v10, v18
	;; [unrolled: 1-line block ×3, first 2 shown]
	s_delay_alu instid0(VALU_DEP_3) | instskip(NEXT) | instid1(VALU_DEP_3)
	v_dual_mul_f32 v20, v12, v20 :: v_dual_fmac_f32 v15, v10, v17
	v_fma_f32 v16, v9, v17, -v16
	s_delay_alu instid0(VALU_DEP_3) | instskip(NEXT) | instid1(VALU_DEP_3)
	v_fmac_f32_e32 v18, v12, v19
	v_fma_f32 v17, v11, v19, -v20
	scratch_load_b128 v[9:12], off, off offset:296
	s_wait_loadcnt_dscnt 0x100
	v_mul_f32_e32 v19, v5, v2
	v_mul_f32_e32 v2, v6, v2
	;; [unrolled: 1-line block ×3, first 2 shown]
	s_delay_alu instid0(VALU_DEP_3) | instskip(NEXT) | instid1(VALU_DEP_3)
	v_dual_mul_f32 v4, v8, v4 :: v_dual_fmac_f32 v19, v6, v1
	v_fma_f32 v150, v5, v1, -v2
	s_delay_alu instid0(VALU_DEP_3) | instskip(NEXT) | instid1(VALU_DEP_3)
	v_fmac_f32_e32 v20, v8, v3
	v_fma_f32 v151, v7, v3, -v4
	ds_load_2addr_b64 v[1:4], v21 offset0:95 offset1:96
	ds_load_2addr_b64 v[5:8], v21 offset0:97 offset1:98
	s_wait_loadcnt_dscnt 0x1
	v_mul_f32_e32 v157, v1, v10
	v_mul_f32_e32 v10, v2, v10
	s_delay_alu instid0(VALU_DEP_2) | instskip(NEXT) | instid1(VALU_DEP_2)
	v_dual_mul_f32 v158, v3, v12 :: v_dual_fmac_f32 v157, v2, v9
	v_fma_f32 v159, v1, v9, -v10
	v_mul_f32_e32 v1, v4, v12
	s_delay_alu instid0(VALU_DEP_3) | instskip(NEXT) | instid1(VALU_DEP_2)
	v_fmac_f32_e32 v158, v4, v11
	v_fma_f32 v160, v3, v11, -v1
	s_clause 0x1
	scratch_load_b128 v[1:4], off, off offset:312
	scratch_load_b128 v[9:12], off, off offset:328
	s_wait_loadcnt_dscnt 0x100
	v_mul_f32_e32 v161, v5, v2
	v_dual_mul_f32 v2, v6, v2 :: v_dual_mul_f32 v163, v7, v4
	s_delay_alu instid0(VALU_DEP_2) | instskip(NEXT) | instid1(VALU_DEP_2)
	v_fmac_f32_e32 v161, v6, v1
	v_fma_f32 v162, v5, v1, -v2
	v_mul_f32_e32 v1, v8, v4
	s_delay_alu instid0(VALU_DEP_4) | instskip(NEXT) | instid1(VALU_DEP_2)
	v_fmac_f32_e32 v163, v8, v3
	v_fma_f32 v164, v7, v3, -v1
	ds_load_2addr_b64 v[1:4], v21 offset0:99 offset1:100
	ds_load_2addr_b64 v[5:8], v21 offset0:101 offset1:102
	s_wait_loadcnt_dscnt 0x1
	v_mul_f32_e32 v165, v1, v10
	v_mul_f32_e32 v167, v3, v12
	s_delay_alu instid0(VALU_DEP_2) | instskip(NEXT) | instid1(VALU_DEP_2)
	v_fmac_f32_e32 v165, v2, v9
	v_dual_mul_f32 v2, v2, v10 :: v_dual_fmac_f32 v167, v4, v11
	s_delay_alu instid0(VALU_DEP_1) | instskip(SKIP_1) | instid1(VALU_DEP_1)
	v_fma_f32 v166, v1, v9, -v2
	v_mul_f32_e32 v1, v4, v12
	v_fma_f32 v168, v3, v11, -v1
	s_clause 0x1
	scratch_load_b128 v[1:4], off, off offset:344
	scratch_load_b128 v[9:12], off, off offset:360
	s_wait_loadcnt_dscnt 0x100
	v_mul_f32_e32 v169, v5, v2
	v_dual_mul_f32 v2, v6, v2 :: v_dual_mul_f32 v171, v7, v4
	s_delay_alu instid0(VALU_DEP_2) | instskip(NEXT) | instid1(VALU_DEP_2)
	v_fmac_f32_e32 v169, v6, v1
	v_fma_f32 v170, v5, v1, -v2
	v_mul_f32_e32 v1, v8, v4
	s_delay_alu instid0(VALU_DEP_4) | instskip(NEXT) | instid1(VALU_DEP_2)
	v_fmac_f32_e32 v171, v8, v3
	v_fma_f32 v172, v7, v3, -v1
	ds_load_2addr_b64 v[1:4], v21 offset0:103 offset1:104
	ds_load_2addr_b64 v[5:8], v21 offset0:105 offset1:106
	s_wait_loadcnt_dscnt 0x1
	v_mul_f32_e32 v173, v1, v10
	v_mul_f32_e32 v175, v3, v12
	s_delay_alu instid0(VALU_DEP_2) | instskip(NEXT) | instid1(VALU_DEP_2)
	v_fmac_f32_e32 v173, v2, v9
	v_dual_mul_f32 v2, v2, v10 :: v_dual_fmac_f32 v175, v4, v11
	s_delay_alu instid0(VALU_DEP_1) | instskip(SKIP_1) | instid1(VALU_DEP_1)
	v_fma_f32 v174, v1, v9, -v2
	v_mul_f32_e32 v1, v4, v12
	v_fma_f32 v176, v3, v11, -v1
	s_clause 0x1
	scratch_load_b128 v[1:4], off, off offset:376
	scratch_load_b128 v[9:12], off, off offset:392
	s_wait_loadcnt_dscnt 0x100
	v_mul_f32_e32 v177, v5, v2
	v_dual_mul_f32 v2, v6, v2 :: v_dual_mul_f32 v179, v7, v4
	s_delay_alu instid0(VALU_DEP_1) | instskip(SKIP_1) | instid1(VALU_DEP_1)
	v_fma_f32 v178, v5, v1, -v2
	v_add_f32_e32 v2, 0, v154
	v_add_f32_e32 v2, v2, v155
	s_delay_alu instid0(VALU_DEP_1) | instskip(NEXT) | instid1(VALU_DEP_1)
	v_dual_fmac_f32 v179, v8, v3 :: v_dual_add_f32 v2, v2, v24
	v_add_f32_e32 v2, v2, v25
	s_delay_alu instid0(VALU_DEP_1) | instskip(NEXT) | instid1(VALU_DEP_1)
	v_add_f32_e32 v2, v2, v30
	v_add_f32_e32 v2, v2, v156
	s_delay_alu instid0(VALU_DEP_1) | instskip(NEXT) | instid1(VALU_DEP_1)
	v_add_f32_e32 v2, v2, v148
	v_add_f32_e32 v2, v2, v149
	s_delay_alu instid0(VALU_DEP_1) | instskip(NEXT) | instid1(VALU_DEP_1)
	v_add_f32_e32 v5, v2, v15
	v_add_f32_e32 v5, v5, v18
	s_delay_alu instid0(VALU_DEP_1) | instskip(SKIP_2) | instid1(VALU_DEP_1)
	v_add_f32_e32 v5, v5, v19
	v_fmac_f32_e32 v177, v6, v1
	v_mul_f32_e32 v1, v8, v4
	v_fma_f32 v180, v7, v3, -v1
	v_add_f32_e32 v1, 0, v22
	s_delay_alu instid0(VALU_DEP_1) | instskip(NEXT) | instid1(VALU_DEP_1)
	v_add_f32_e32 v1, v1, v23
	v_add_f32_e32 v1, v1, v26
	s_delay_alu instid0(VALU_DEP_1) | instskip(SKIP_2) | instid1(VALU_DEP_1)
	v_add_f32_e32 v1, v1, v27
	scratch_load_b64 v[26:27], off, off offset:456
	v_add_f32_e32 v1, v1, v28
	v_add_f32_e32 v1, v1, v29
	s_delay_alu instid0(VALU_DEP_1) | instskip(NEXT) | instid1(VALU_DEP_1)
	v_add_f32_e32 v1, v1, v13
	v_add_f32_e32 v1, v1, v14
	v_add_f32_e32 v14, v5, v20
	s_delay_alu instid0(VALU_DEP_1) | instskip(NEXT) | instid1(VALU_DEP_1)
	v_dual_add_f32 v1, v1, v16 :: v_dual_add_f32 v14, v14, v157
	v_add_f32_e32 v6, v1, v17
	ds_load_2addr_b64 v[1:4], v21 offset0:107 offset1:108
	v_add_f32_e32 v14, v14, v158
	v_add_f32_e32 v6, v6, v150
	s_delay_alu instid0(VALU_DEP_1)
	v_add_f32_e32 v13, v6, v151
	ds_load_2addr_b64 v[5:8], v21 offset0:109 offset1:110
	s_wait_loadcnt_dscnt 0x101
	v_mul_f32_e32 v30, v1, v10
	v_dual_add_f32 v13, v13, v159 :: v_dual_mul_f32 v10, v2, v10
	v_mul_f32_e32 v148, v3, v12
	v_mul_f32_e32 v12, v4, v12
	s_delay_alu instid0(VALU_DEP_3) | instskip(NEXT) | instid1(VALU_DEP_4)
	v_dual_fmac_f32 v30, v2, v9 :: v_dual_add_f32 v13, v13, v160
	v_fma_f32 v149, v1, v9, -v10
	s_delay_alu instid0(VALU_DEP_4) | instskip(NEXT) | instid1(VALU_DEP_4)
	v_fmac_f32_e32 v148, v4, v11
	v_fma_f32 v150, v3, v11, -v12
	s_clause 0x1
	scratch_load_b128 v[1:4], off, off offset:408
	scratch_load_b128 v[9:12], off, off offset:424
	v_add_f32_e32 v13, v13, v162
	s_delay_alu instid0(VALU_DEP_1) | instskip(SKIP_2) | instid1(VALU_DEP_1)
	v_dual_add_f32 v17, v14, v161 :: v_dual_add_f32 v18, v13, v164
	scratch_load_b128 v[13:16], off, off offset:440
	v_add_f32_e32 v18, v18, v166
	v_dual_add_f32 v18, v18, v168 :: v_dual_add_f32 v17, v17, v163
	s_delay_alu instid0(VALU_DEP_1) | instskip(NEXT) | instid1(VALU_DEP_1)
	v_dual_add_f32 v18, v18, v170 :: v_dual_add_f32 v17, v17, v165
	v_dual_add_f32 v18, v18, v172 :: v_dual_add_f32 v17, v17, v167
	s_delay_alu instid0(VALU_DEP_1) | instskip(NEXT) | instid1(VALU_DEP_1)
	v_dual_add_f32 v28, v18, v174 :: v_dual_add_f32 v17, v17, v169
	v_add_f32_e32 v151, v28, v176
	s_delay_alu instid0(VALU_DEP_1) | instskip(NEXT) | instid1(VALU_DEP_1)
	v_add_f32_e32 v151, v151, v178
	v_add_f32_e32 v151, v151, v180
	s_delay_alu instid0(VALU_DEP_1)
	v_add_f32_e32 v149, v151, v149
	s_wait_loadcnt_dscnt 0x200
	v_mul_f32_e32 v155, v5, v2
	v_mul_f32_e32 v2, v6, v2
	v_add_f32_e32 v22, v17, v171
	ds_load_2addr_b64 v[17:20], v21 offset0:111 offset1:112
	v_mul_f32_e32 v156, v7, v4
	v_mul_f32_e32 v4, v8, v4
	v_fma_f32 v2, v5, v1, -v2
	v_add_f32_e32 v29, v22, v173
	ds_load_2addr_b64 v[22:25], v21 offset0:113 offset1:114
	v_fmac_f32_e32 v156, v8, v3
	v_add_f32_e32 v154, v29, v175
	ds_load_b64 v[28:29], v21 offset:920
	v_add_f32_e32 v154, v154, v177
	s_wait_loadcnt_dscnt 0x102
	s_delay_alu instid0(VALU_DEP_1) | instskip(SKIP_3) | instid1(VALU_DEP_4)
	v_dual_add_f32 v154, v154, v179 :: v_dual_mul_f32 v5, v20, v12
	v_mul_f32_e32 v151, v17, v10
	v_fmac_f32_e32 v155, v6, v1
	v_fma_f32 v1, v7, v3, -v4
	v_add_f32_e32 v30, v154, v30
	v_dual_add_f32 v149, v149, v150 :: v_dual_mul_f32 v154, v19, v12
	v_mul_f32_e32 v3, v18, v10
	s_wait_loadcnt_dscnt 0x1
	v_dual_mul_f32 v157, v22, v14 :: v_dual_mul_f32 v150, v24, v16
	v_add_f32_e32 v30, v30, v148
	s_wait_dscnt 0x0
	v_mul_f32_e32 v148, v28, v27
	v_dual_add_f32 v2, v149, v2 :: v_dual_fmac_f32 v151, v18, v9
	v_fma_f32 v3, v17, v9, -v3
	v_add_f32_e32 v4, v30, v155
	v_dual_fmac_f32 v154, v20, v11 :: v_dual_fmac_f32 v157, v23, v13
	s_delay_alu instid0(VALU_DEP_4) | instskip(SKIP_2) | instid1(VALU_DEP_3)
	v_add_f32_e32 v1, v2, v1
	v_fma_f32 v5, v19, v11, -v5
	v_fmac_f32_e32 v148, v29, v26
	v_add_f32_e32 v1, v1, v3
	v_mul_f32_e32 v3, v25, v16
	v_add_f32_e32 v2, v4, v156
	s_delay_alu instid0(VALU_DEP_2) | instskip(NEXT) | instid1(VALU_DEP_2)
	v_fma_f32 v3, v24, v15, -v3
	v_add_f32_e32 v2, v2, v151
	s_delay_alu instid0(VALU_DEP_1) | instskip(SKIP_1) | instid1(VALU_DEP_2)
	v_add_f32_e32 v2, v2, v154
	v_dual_mul_f32 v4, v23, v14 :: v_dual_add_f32 v1, v1, v5
	v_dual_mul_f32 v5, v29, v27 :: v_dual_add_f32 v2, v2, v157
	s_delay_alu instid0(VALU_DEP_2) | instskip(NEXT) | instid1(VALU_DEP_1)
	v_fma_f32 v4, v22, v13, -v4
	v_add_f32_e32 v1, v1, v4
	s_delay_alu instid0(VALU_DEP_3) | instskip(NEXT) | instid1(VALU_DEP_2)
	v_fma_f32 v4, v28, v26, -v5
	v_add_f32_e32 v1, v1, v3
	s_delay_alu instid0(VALU_DEP_1) | instskip(NEXT) | instid1(VALU_DEP_1)
	v_add_f32_e32 v1, v1, v4
	v_dual_fmac_f32 v150, v25, v15 :: v_dual_sub_f32 v1, v152, v1
	s_delay_alu instid0(VALU_DEP_1) | instskip(NEXT) | instid1(VALU_DEP_1)
	v_add_f32_e32 v2, v2, v150
	v_add_f32_e32 v2, v2, v148
	s_delay_alu instid0(VALU_DEP_1)
	v_sub_f32_e32 v2, v153, v2
	scratch_store_b64 off, v[1:2], off offset:192
	v_cmpx_lt_u32_e32 23, v0
	s_cbranch_execz .LBB57_315
; %bb.314:
	scratch_load_b64 v[1:2], off, off offset:184
	v_mov_b32_e32 v22, v21
	scratch_store_b64 off, v[21:22], off offset:184
	s_wait_loadcnt 0x0
	ds_store_b64 v31, v[1:2]
.LBB57_315:
	s_wait_alu 0xfffe
	s_or_b32 exec_lo, exec_lo, s0
	s_wait_storecnt_dscnt 0x0
	s_barrier_signal -1
	s_barrier_wait -1
	global_inv scope:SCOPE_SE
	s_clause 0x4
	scratch_load_b128 v[5:8], off, off offset:192
	scratch_load_b128 v[1:4], off, off offset:208
	;; [unrolled: 1-line block ×5, first 2 shown]
	ds_load_b128 v[22:25], v21 offset:656
	ds_load_b128 v[26:29], v21 offset:672
	;; [unrolled: 1-line block ×3, first 2 shown]
	scratch_load_b64 v[152:153], off, off offset:184
	s_mov_b32 s0, exec_lo
	s_wait_loadcnt_dscnt 0x502
	v_dual_mul_f32 v30, v23, v6 :: v_dual_mul_f32 v155, v24, v8
	v_mul_f32_e32 v154, v22, v6
	v_mul_f32_e32 v6, v25, v8
	s_wait_loadcnt_dscnt 0x300
	v_mul_f32_e32 v156, v150, v12
	v_fma_f32 v22, v22, v5, -v30
	v_dual_fmac_f32 v155, v25, v7 :: v_dual_fmac_f32 v154, v23, v5
	v_mul_f32_e32 v25, v28, v4
	v_fma_f32 v23, v24, v7, -v6
	ds_load_b128 v[5:8], v21 offset:704
	v_mul_f32_e32 v24, v26, v2
	v_mul_f32_e32 v4, v29, v4
	;; [unrolled: 1-line block ×5, first 2 shown]
	v_dual_mul_f32 v2, v27, v2 :: v_dual_fmac_f32 v25, v29, v3
	v_fmac_f32_e32 v24, v27, v1
	v_fma_f32 v27, v28, v3, -v4
	v_fmac_f32_e32 v30, v149, v9
	v_fma_f32 v28, v148, v9, -v10
	;; [unrolled: 2-line block ×3, first 2 shown]
	ds_load_b128 v[9:12], v21 offset:720
	s_wait_loadcnt_dscnt 0x201
	v_mul_f32_e32 v148, v5, v14
	v_dual_mul_f32 v14, v6, v14 :: v_dual_mul_f32 v149, v7, v16
	v_mul_f32_e32 v16, v8, v16
	s_delay_alu instid0(VALU_DEP_3) | instskip(NEXT) | instid1(VALU_DEP_3)
	v_fmac_f32_e32 v148, v6, v13
	v_fma_f32 v13, v5, v13, -v14
	s_delay_alu instid0(VALU_DEP_4) | instskip(NEXT) | instid1(VALU_DEP_4)
	v_fmac_f32_e32 v149, v8, v15
	v_fma_f32 v14, v7, v15, -v16
	ds_load_b128 v[5:8], v21 offset:736
	s_wait_loadcnt_dscnt 0x101
	v_mul_f32_e32 v15, v9, v18
	v_mul_f32_e32 v16, v10, v18
	;; [unrolled: 1-line block ×3, first 2 shown]
	s_delay_alu instid0(VALU_DEP_3)
	v_dual_mul_f32 v20, v12, v20 :: v_dual_fmac_f32 v15, v10, v17
	v_fma_f32 v26, v26, v1, -v2
	scratch_load_b128 v[1:4], off, off offset:272
	v_fma_f32 v16, v9, v17, -v16
	v_fmac_f32_e32 v18, v12, v19
	v_fma_f32 v17, v11, v19, -v20
	scratch_load_b128 v[9:12], off, off offset:288
	s_wait_loadcnt_dscnt 0x100
	v_mul_f32_e32 v19, v5, v2
	v_mul_f32_e32 v2, v6, v2
	;; [unrolled: 1-line block ×3, first 2 shown]
	s_delay_alu instid0(VALU_DEP_3) | instskip(NEXT) | instid1(VALU_DEP_3)
	v_dual_mul_f32 v4, v8, v4 :: v_dual_fmac_f32 v19, v6, v1
	v_fma_f32 v150, v5, v1, -v2
	s_delay_alu instid0(VALU_DEP_3) | instskip(NEXT) | instid1(VALU_DEP_3)
	v_fmac_f32_e32 v20, v8, v3
	v_fma_f32 v151, v7, v3, -v4
	ds_load_b128 v[1:4], v21 offset:752
	ds_load_b128 v[5:8], v21 offset:768
	s_wait_loadcnt_dscnt 0x1
	v_mul_f32_e32 v157, v1, v10
	v_mul_f32_e32 v10, v2, v10
	s_delay_alu instid0(VALU_DEP_2) | instskip(NEXT) | instid1(VALU_DEP_2)
	v_dual_mul_f32 v158, v3, v12 :: v_dual_fmac_f32 v157, v2, v9
	v_fma_f32 v159, v1, v9, -v10
	v_mul_f32_e32 v1, v4, v12
	s_delay_alu instid0(VALU_DEP_3) | instskip(NEXT) | instid1(VALU_DEP_2)
	v_fmac_f32_e32 v158, v4, v11
	v_fma_f32 v160, v3, v11, -v1
	s_clause 0x1
	scratch_load_b128 v[1:4], off, off offset:304
	scratch_load_b128 v[9:12], off, off offset:320
	s_wait_loadcnt_dscnt 0x100
	v_mul_f32_e32 v161, v5, v2
	v_dual_mul_f32 v2, v6, v2 :: v_dual_mul_f32 v163, v7, v4
	s_delay_alu instid0(VALU_DEP_2) | instskip(NEXT) | instid1(VALU_DEP_2)
	v_fmac_f32_e32 v161, v6, v1
	v_fma_f32 v162, v5, v1, -v2
	v_mul_f32_e32 v1, v8, v4
	s_delay_alu instid0(VALU_DEP_4) | instskip(NEXT) | instid1(VALU_DEP_2)
	v_fmac_f32_e32 v163, v8, v3
	v_fma_f32 v164, v7, v3, -v1
	ds_load_b128 v[1:4], v21 offset:784
	ds_load_b128 v[5:8], v21 offset:800
	s_wait_loadcnt_dscnt 0x1
	v_mul_f32_e32 v165, v1, v10
	v_mul_f32_e32 v167, v3, v12
	s_delay_alu instid0(VALU_DEP_2) | instskip(NEXT) | instid1(VALU_DEP_2)
	v_fmac_f32_e32 v165, v2, v9
	v_dual_mul_f32 v2, v2, v10 :: v_dual_fmac_f32 v167, v4, v11
	s_delay_alu instid0(VALU_DEP_1) | instskip(SKIP_1) | instid1(VALU_DEP_1)
	v_fma_f32 v166, v1, v9, -v2
	v_mul_f32_e32 v1, v4, v12
	v_fma_f32 v168, v3, v11, -v1
	s_clause 0x1
	scratch_load_b128 v[1:4], off, off offset:336
	scratch_load_b128 v[9:12], off, off offset:352
	s_wait_loadcnt_dscnt 0x100
	v_mul_f32_e32 v169, v5, v2
	v_dual_mul_f32 v2, v6, v2 :: v_dual_mul_f32 v171, v7, v4
	s_delay_alu instid0(VALU_DEP_2) | instskip(NEXT) | instid1(VALU_DEP_2)
	v_fmac_f32_e32 v169, v6, v1
	v_fma_f32 v170, v5, v1, -v2
	v_mul_f32_e32 v1, v8, v4
	s_delay_alu instid0(VALU_DEP_4) | instskip(NEXT) | instid1(VALU_DEP_2)
	v_fmac_f32_e32 v171, v8, v3
	v_fma_f32 v172, v7, v3, -v1
	ds_load_b128 v[1:4], v21 offset:816
	ds_load_b128 v[5:8], v21 offset:832
	s_wait_loadcnt_dscnt 0x1
	v_mul_f32_e32 v173, v1, v10
	v_mul_f32_e32 v175, v3, v12
	s_delay_alu instid0(VALU_DEP_2) | instskip(NEXT) | instid1(VALU_DEP_2)
	v_fmac_f32_e32 v173, v2, v9
	v_dual_mul_f32 v2, v2, v10 :: v_dual_fmac_f32 v175, v4, v11
	s_delay_alu instid0(VALU_DEP_1) | instskip(SKIP_1) | instid1(VALU_DEP_1)
	v_fma_f32 v174, v1, v9, -v2
	v_mul_f32_e32 v1, v4, v12
	v_fma_f32 v176, v3, v11, -v1
	s_clause 0x1
	scratch_load_b128 v[1:4], off, off offset:368
	scratch_load_b128 v[9:12], off, off offset:384
	s_wait_loadcnt_dscnt 0x100
	v_mul_f32_e32 v177, v5, v2
	v_dual_mul_f32 v2, v6, v2 :: v_dual_mul_f32 v179, v7, v4
	s_delay_alu instid0(VALU_DEP_1) | instskip(NEXT) | instid1(VALU_DEP_2)
	v_fma_f32 v178, v5, v1, -v2
	v_dual_fmac_f32 v179, v8, v3 :: v_dual_add_f32 v2, 0, v154
	s_delay_alu instid0(VALU_DEP_1) | instskip(SKIP_1) | instid1(VALU_DEP_2)
	v_add_f32_e32 v2, v2, v155
	v_fmac_f32_e32 v177, v6, v1
	v_add_f32_e32 v2, v2, v24
	s_delay_alu instid0(VALU_DEP_1) | instskip(NEXT) | instid1(VALU_DEP_1)
	v_dual_mul_f32 v1, v8, v4 :: v_dual_add_f32 v2, v2, v25
	v_fma_f32 v180, v7, v3, -v1
	s_delay_alu instid0(VALU_DEP_2) | instskip(NEXT) | instid1(VALU_DEP_1)
	v_add_f32_e32 v2, v2, v30
	v_dual_add_f32 v1, 0, v22 :: v_dual_add_f32 v2, v2, v156
	s_delay_alu instid0(VALU_DEP_1) | instskip(NEXT) | instid1(VALU_DEP_1)
	v_dual_add_f32 v1, v1, v23 :: v_dual_add_f32 v2, v2, v148
	v_dual_add_f32 v1, v1, v26 :: v_dual_add_f32 v2, v2, v149
	s_delay_alu instid0(VALU_DEP_1) | instskip(NEXT) | instid1(VALU_DEP_1)
	v_add_f32_e32 v1, v1, v27
	v_dual_add_f32 v2, v2, v15 :: v_dual_add_f32 v1, v1, v28
	s_delay_alu instid0(VALU_DEP_1) | instskip(NEXT) | instid1(VALU_DEP_2)
	v_add_f32_e32 v5, v2, v18
	v_add_f32_e32 v1, v1, v29
	s_delay_alu instid0(VALU_DEP_1) | instskip(NEXT) | instid1(VALU_DEP_3)
	v_add_f32_e32 v1, v1, v13
	v_add_f32_e32 v13, v5, v19
	s_delay_alu instid0(VALU_DEP_2) | instskip(NEXT) | instid1(VALU_DEP_1)
	v_add_f32_e32 v1, v1, v14
	v_add_f32_e32 v1, v1, v16
	s_delay_alu instid0(VALU_DEP_1) | instskip(NEXT) | instid1(VALU_DEP_1)
	v_add_f32_e32 v1, v1, v17
	v_add_f32_e32 v6, v1, v150
	ds_load_b128 v[1:4], v21 offset:848
	v_dual_add_f32 v13, v13, v20 :: v_dual_add_f32 v14, v6, v151
	scratch_load_b128 v[5:8], off, off offset:400
	v_dual_add_f32 v13, v13, v157 :: v_dual_add_f32 v14, v14, v159
	s_delay_alu instid0(VALU_DEP_1) | instskip(SKIP_4) | instid1(VALU_DEP_2)
	v_dual_add_f32 v18, v13, v158 :: v_dual_add_f32 v17, v14, v160
	ds_load_b128 v[13:16], v21 offset:864
	v_add_f32_e32 v18, v18, v161
	s_wait_loadcnt_dscnt 0x101
	v_mul_f32_e32 v26, v3, v12
	v_dual_add_f32 v18, v18, v163 :: v_dual_add_f32 v17, v17, v162
	v_mul_f32_e32 v12, v4, v12
	s_delay_alu instid0(VALU_DEP_3) | instskip(NEXT) | instid1(VALU_DEP_3)
	v_fmac_f32_e32 v26, v4, v11
	v_dual_add_f32 v22, v18, v165 :: v_dual_mul_f32 v25, v1, v10
	v_mul_f32_e32 v10, v2, v10
	s_delay_alu instid0(VALU_DEP_4) | instskip(NEXT) | instid1(VALU_DEP_3)
	v_fma_f32 v28, v3, v11, -v12
	v_add_f32_e32 v22, v22, v167
	s_delay_alu instid0(VALU_DEP_4) | instskip(NEXT) | instid1(VALU_DEP_4)
	v_fmac_f32_e32 v25, v2, v9
	v_fma_f32 v27, v1, v9, -v10
	scratch_load_b128 v[1:4], off, off offset:416
	v_add_f32_e32 v17, v17, v164
	scratch_load_b128 v[9:12], off, off offset:432
	s_wait_loadcnt_dscnt 0x200
	v_dual_add_f32 v22, v22, v169 :: v_dual_mul_f32 v29, v13, v6
	v_mul_f32_e32 v6, v14, v6
	v_dual_add_f32 v17, v17, v166 :: v_dual_mul_f32 v30, v15, v8
	v_mul_f32_e32 v8, v16, v8
	s_delay_alu instid0(VALU_DEP_3) | instskip(NEXT) | instid1(VALU_DEP_3)
	v_fma_f32 v148, v13, v5, -v6
	v_dual_add_f32 v23, v17, v168 :: v_dual_fmac_f32 v30, v16, v7
	scratch_load_b128 v[17:20], off, off offset:448
	v_fma_f32 v149, v15, v7, -v8
	v_add_f32_e32 v23, v23, v170
	s_delay_alu instid0(VALU_DEP_1) | instskip(NEXT) | instid1(VALU_DEP_1)
	v_add_f32_e32 v23, v23, v172
	v_dual_add_f32 v13, v22, v171 :: v_dual_add_f32 v22, v23, v174
	s_delay_alu instid0(VALU_DEP_1)
	v_add_f32_e32 v150, v22, v176
	v_fmac_f32_e32 v29, v14, v5
	ds_load_b128 v[5:8], v21 offset:880
	v_dual_add_f32 v150, v150, v178 :: v_dual_add_f32 v23, v13, v173
	ds_load_b128 v[13:16], v21 offset:896
	v_dual_add_f32 v150, v150, v180 :: v_dual_add_f32 v151, v23, v175
	ds_load_b128 v[21:24], v21 offset:912
	v_add_f32_e32 v27, v150, v27
	s_wait_loadcnt_dscnt 0x202
	v_dual_add_f32 v151, v151, v177 :: v_dual_mul_f32 v154, v5, v2
	s_delay_alu instid0(VALU_DEP_1)
	v_dual_mul_f32 v2, v6, v2 :: v_dual_add_f32 v151, v151, v179
	v_mul_f32_e32 v150, v7, v4
	v_mul_f32_e32 v4, v8, v4
	s_wait_loadcnt_dscnt 0x101
	v_dual_mul_f32 v155, v15, v12 :: v_dual_fmac_f32 v154, v6, v1
	v_dual_add_f32 v25, v151, v25 :: v_dual_mul_f32 v6, v14, v10
	v_dual_add_f32 v27, v27, v28 :: v_dual_fmac_f32 v150, v8, v3
	v_fma_f32 v3, v7, v3, -v4
	s_delay_alu instid0(VALU_DEP_3) | instskip(SKIP_2) | instid1(VALU_DEP_3)
	v_dual_add_f32 v25, v25, v26 :: v_dual_mul_f32 v4, v16, v12
	v_mul_f32_e32 v151, v13, v10
	v_fma_f32 v2, v5, v1, -v2
	v_add_f32_e32 v25, v25, v29
	s_delay_alu instid0(VALU_DEP_4) | instskip(SKIP_2) | instid1(VALU_DEP_3)
	v_fma_f32 v4, v15, v11, -v4
	s_wait_loadcnt_dscnt 0x0
	v_mul_f32_e32 v26, v21, v18
	v_dual_mul_f32 v28, v23, v20 :: v_dual_add_f32 v5, v25, v30
	v_fmac_f32_e32 v151, v14, v9
	s_delay_alu instid0(VALU_DEP_3) | instskip(NEXT) | instid1(VALU_DEP_3)
	v_dual_fmac_f32 v26, v22, v17 :: v_dual_add_f32 v27, v27, v148
	v_fmac_f32_e32 v28, v24, v19
	v_fmac_f32_e32 v155, v16, v11
	s_delay_alu instid0(VALU_DEP_3) | instskip(NEXT) | instid1(VALU_DEP_1)
	v_add_f32_e32 v1, v27, v149
	v_add_f32_e32 v1, v1, v2
	;; [unrolled: 1-line block ×3, first 2 shown]
	v_fma_f32 v5, v13, v9, -v6
	s_delay_alu instid0(VALU_DEP_2) | instskip(NEXT) | instid1(VALU_DEP_1)
	v_add_f32_e32 v2, v2, v150
	v_add_f32_e32 v2, v2, v151
	s_delay_alu instid0(VALU_DEP_1) | instskip(SKIP_2) | instid1(VALU_DEP_2)
	v_add_f32_e32 v2, v2, v155
	v_add_f32_e32 v1, v1, v3
	v_mul_f32_e32 v3, v22, v18
	v_dual_add_f32 v2, v2, v26 :: v_dual_add_f32 v1, v1, v5
	s_delay_alu instid0(VALU_DEP_2) | instskip(NEXT) | instid1(VALU_DEP_2)
	v_fma_f32 v3, v21, v17, -v3
	v_add_f32_e32 v2, v2, v28
	v_mul_f32_e32 v5, v24, v20
	s_delay_alu instid0(VALU_DEP_4) | instskip(NEXT) | instid1(VALU_DEP_3)
	v_add_f32_e32 v1, v1, v4
	v_sub_f32_e32 v2, v153, v2
	s_delay_alu instid0(VALU_DEP_3) | instskip(NEXT) | instid1(VALU_DEP_3)
	v_fma_f32 v4, v23, v19, -v5
	v_add_f32_e32 v1, v1, v3
	s_delay_alu instid0(VALU_DEP_1) | instskip(NEXT) | instid1(VALU_DEP_1)
	v_add_f32_e32 v1, v1, v4
	v_sub_f32_e32 v1, v152, v1
	scratch_store_b64 off, v[1:2], off offset:184
	v_cmpx_lt_u32_e32 22, v0
	s_cbranch_execz .LBB57_317
; %bb.316:
	scratch_load_b64 v[1:2], off, off offset:176
	v_mov_b32_e32 v3, 0
	s_delay_alu instid0(VALU_DEP_1)
	v_mov_b32_e32 v4, v3
	scratch_store_b64 off, v[3:4], off offset:176
	s_wait_loadcnt 0x0
	ds_store_b64 v31, v[1:2]
.LBB57_317:
	s_wait_alu 0xfffe
	s_or_b32 exec_lo, exec_lo, s0
	s_wait_storecnt_dscnt 0x0
	s_barrier_signal -1
	s_barrier_wait -1
	global_inv scope:SCOPE_SE
	s_clause 0x4
	scratch_load_b128 v[5:8], off, off offset:184
	scratch_load_b128 v[1:4], off, off offset:200
	;; [unrolled: 1-line block ×5, first 2 shown]
	v_mov_b32_e32 v21, 0
	ds_load_2addr_b64 v[22:25], v21 offset0:81 offset1:82
	ds_load_2addr_b64 v[26:29], v21 offset0:83 offset1:84
	;; [unrolled: 1-line block ×3, first 2 shown]
	scratch_load_b64 v[152:153], off, off offset:176
	s_mov_b32 s0, exec_lo
	s_wait_loadcnt_dscnt 0x502
	v_mul_f32_e32 v30, v23, v6
	v_dual_mul_f32 v154, v22, v6 :: v_dual_mul_f32 v155, v24, v8
	v_mul_f32_e32 v6, v25, v8
	s_wait_loadcnt_dscnt 0x300
	v_mul_f32_e32 v156, v150, v12
	v_fma_f32 v22, v22, v5, -v30
	v_dual_fmac_f32 v154, v23, v5 :: v_dual_fmac_f32 v155, v25, v7
	v_fma_f32 v23, v24, v7, -v6
	v_dual_mul_f32 v24, v26, v2 :: v_dual_mul_f32 v25, v28, v4
	v_mul_f32_e32 v2, v27, v2
	v_mul_f32_e32 v4, v29, v4
	ds_load_2addr_b64 v[5:8], v21 offset0:87 offset1:88
	v_mul_f32_e32 v30, v148, v10
	v_dual_fmac_f32 v24, v27, v1 :: v_dual_fmac_f32 v25, v29, v3
	v_fma_f32 v26, v26, v1, -v2
	v_fma_f32 v27, v28, v3, -v4
	v_mul_f32_e32 v12, v151, v12
	scratch_load_b128 v[1:4], off, off offset:264
	v_mul_f32_e32 v10, v149, v10
	v_fmac_f32_e32 v30, v149, v9
	v_fmac_f32_e32 v156, v151, v11
	v_fma_f32 v29, v150, v11, -v12
	s_delay_alu instid0(VALU_DEP_4)
	v_fma_f32 v28, v148, v9, -v10
	ds_load_2addr_b64 v[9:12], v21 offset0:89 offset1:90
	s_wait_loadcnt_dscnt 0x301
	v_mul_f32_e32 v148, v5, v14
	v_dual_mul_f32 v14, v6, v14 :: v_dual_mul_f32 v149, v7, v16
	v_mul_f32_e32 v16, v8, v16
	s_delay_alu instid0(VALU_DEP_3) | instskip(NEXT) | instid1(VALU_DEP_3)
	v_fmac_f32_e32 v148, v6, v13
	v_fma_f32 v13, v5, v13, -v14
	s_delay_alu instid0(VALU_DEP_4) | instskip(NEXT) | instid1(VALU_DEP_4)
	v_fmac_f32_e32 v149, v8, v15
	v_fma_f32 v14, v7, v15, -v16
	ds_load_2addr_b64 v[5:8], v21 offset0:91 offset1:92
	s_wait_loadcnt_dscnt 0x201
	v_mul_f32_e32 v15, v9, v18
	v_mul_f32_e32 v16, v10, v18
	;; [unrolled: 1-line block ×3, first 2 shown]
	s_delay_alu instid0(VALU_DEP_3) | instskip(NEXT) | instid1(VALU_DEP_3)
	v_dual_mul_f32 v20, v12, v20 :: v_dual_fmac_f32 v15, v10, v17
	v_fma_f32 v16, v9, v17, -v16
	s_delay_alu instid0(VALU_DEP_3) | instskip(NEXT) | instid1(VALU_DEP_3)
	v_fmac_f32_e32 v18, v12, v19
	v_fma_f32 v17, v11, v19, -v20
	scratch_load_b128 v[9:12], off, off offset:280
	s_wait_loadcnt_dscnt 0x100
	v_mul_f32_e32 v19, v5, v2
	v_mul_f32_e32 v2, v6, v2
	;; [unrolled: 1-line block ×3, first 2 shown]
	s_delay_alu instid0(VALU_DEP_3) | instskip(NEXT) | instid1(VALU_DEP_3)
	v_dual_mul_f32 v4, v8, v4 :: v_dual_fmac_f32 v19, v6, v1
	v_fma_f32 v150, v5, v1, -v2
	s_delay_alu instid0(VALU_DEP_3) | instskip(NEXT) | instid1(VALU_DEP_3)
	v_fmac_f32_e32 v20, v8, v3
	v_fma_f32 v151, v7, v3, -v4
	ds_load_2addr_b64 v[1:4], v21 offset0:93 offset1:94
	ds_load_2addr_b64 v[5:8], v21 offset0:95 offset1:96
	s_wait_loadcnt_dscnt 0x1
	v_mul_f32_e32 v157, v1, v10
	v_mul_f32_e32 v10, v2, v10
	s_delay_alu instid0(VALU_DEP_2) | instskip(NEXT) | instid1(VALU_DEP_2)
	v_dual_mul_f32 v158, v3, v12 :: v_dual_fmac_f32 v157, v2, v9
	v_fma_f32 v159, v1, v9, -v10
	v_mul_f32_e32 v1, v4, v12
	s_delay_alu instid0(VALU_DEP_3) | instskip(NEXT) | instid1(VALU_DEP_2)
	v_fmac_f32_e32 v158, v4, v11
	v_fma_f32 v160, v3, v11, -v1
	s_clause 0x1
	scratch_load_b128 v[1:4], off, off offset:296
	scratch_load_b128 v[9:12], off, off offset:312
	s_wait_loadcnt_dscnt 0x100
	v_mul_f32_e32 v161, v5, v2
	v_dual_mul_f32 v2, v6, v2 :: v_dual_mul_f32 v163, v7, v4
	s_delay_alu instid0(VALU_DEP_2) | instskip(NEXT) | instid1(VALU_DEP_2)
	v_fmac_f32_e32 v161, v6, v1
	v_fma_f32 v162, v5, v1, -v2
	v_mul_f32_e32 v1, v8, v4
	s_delay_alu instid0(VALU_DEP_4) | instskip(NEXT) | instid1(VALU_DEP_2)
	v_fmac_f32_e32 v163, v8, v3
	v_fma_f32 v164, v7, v3, -v1
	ds_load_2addr_b64 v[1:4], v21 offset0:97 offset1:98
	ds_load_2addr_b64 v[5:8], v21 offset0:99 offset1:100
	s_wait_loadcnt_dscnt 0x1
	v_mul_f32_e32 v165, v1, v10
	v_mul_f32_e32 v167, v3, v12
	s_delay_alu instid0(VALU_DEP_2) | instskip(NEXT) | instid1(VALU_DEP_2)
	v_fmac_f32_e32 v165, v2, v9
	v_dual_mul_f32 v2, v2, v10 :: v_dual_fmac_f32 v167, v4, v11
	s_delay_alu instid0(VALU_DEP_1) | instskip(SKIP_1) | instid1(VALU_DEP_1)
	v_fma_f32 v166, v1, v9, -v2
	v_mul_f32_e32 v1, v4, v12
	v_fma_f32 v168, v3, v11, -v1
	s_clause 0x1
	scratch_load_b128 v[1:4], off, off offset:328
	scratch_load_b128 v[9:12], off, off offset:344
	s_wait_loadcnt_dscnt 0x100
	v_mul_f32_e32 v169, v5, v2
	v_dual_mul_f32 v2, v6, v2 :: v_dual_mul_f32 v171, v7, v4
	s_delay_alu instid0(VALU_DEP_2) | instskip(NEXT) | instid1(VALU_DEP_2)
	v_fmac_f32_e32 v169, v6, v1
	v_fma_f32 v170, v5, v1, -v2
	v_mul_f32_e32 v1, v8, v4
	s_delay_alu instid0(VALU_DEP_4) | instskip(NEXT) | instid1(VALU_DEP_2)
	v_fmac_f32_e32 v171, v8, v3
	v_fma_f32 v172, v7, v3, -v1
	ds_load_2addr_b64 v[1:4], v21 offset0:101 offset1:102
	ds_load_2addr_b64 v[5:8], v21 offset0:103 offset1:104
	s_wait_loadcnt_dscnt 0x1
	v_mul_f32_e32 v173, v1, v10
	v_mul_f32_e32 v175, v3, v12
	s_delay_alu instid0(VALU_DEP_2) | instskip(NEXT) | instid1(VALU_DEP_2)
	v_fmac_f32_e32 v173, v2, v9
	v_dual_mul_f32 v2, v2, v10 :: v_dual_fmac_f32 v175, v4, v11
	s_delay_alu instid0(VALU_DEP_1) | instskip(SKIP_1) | instid1(VALU_DEP_1)
	v_fma_f32 v174, v1, v9, -v2
	v_mul_f32_e32 v1, v4, v12
	v_fma_f32 v176, v3, v11, -v1
	s_clause 0x1
	scratch_load_b128 v[1:4], off, off offset:360
	scratch_load_b128 v[9:12], off, off offset:376
	s_wait_loadcnt_dscnt 0x100
	v_mul_f32_e32 v177, v5, v2
	v_dual_mul_f32 v2, v6, v2 :: v_dual_mul_f32 v179, v7, v4
	s_delay_alu instid0(VALU_DEP_1) | instskip(SKIP_1) | instid1(VALU_DEP_1)
	v_fma_f32 v178, v5, v1, -v2
	v_add_f32_e32 v2, 0, v154
	v_add_f32_e32 v2, v2, v155
	s_delay_alu instid0(VALU_DEP_4) | instskip(SKIP_1) | instid1(VALU_DEP_3)
	v_fmac_f32_e32 v179, v8, v3
	v_fmac_f32_e32 v177, v6, v1
	v_add_f32_e32 v2, v2, v24
	s_delay_alu instid0(VALU_DEP_1) | instskip(NEXT) | instid1(VALU_DEP_1)
	v_dual_mul_f32 v1, v8, v4 :: v_dual_add_f32 v2, v2, v25
	v_fma_f32 v180, v7, v3, -v1
	s_delay_alu instid0(VALU_DEP_2) | instskip(NEXT) | instid1(VALU_DEP_1)
	v_add_f32_e32 v2, v2, v30
	v_dual_add_f32 v1, 0, v22 :: v_dual_add_f32 v2, v2, v156
	s_delay_alu instid0(VALU_DEP_1) | instskip(NEXT) | instid1(VALU_DEP_1)
	v_dual_add_f32 v1, v1, v23 :: v_dual_add_f32 v2, v2, v148
	v_dual_add_f32 v1, v1, v26 :: v_dual_add_f32 v2, v2, v149
	s_delay_alu instid0(VALU_DEP_1) | instskip(SKIP_2) | instid1(VALU_DEP_1)
	v_add_f32_e32 v1, v1, v27
	scratch_load_b64 v[26:27], off, off offset:456
	v_dual_add_f32 v2, v2, v15 :: v_dual_add_f32 v1, v1, v28
	v_add_f32_e32 v5, v2, v18
	s_delay_alu instid0(VALU_DEP_2) | instskip(NEXT) | instid1(VALU_DEP_1)
	v_add_f32_e32 v1, v1, v29
	v_add_f32_e32 v1, v1, v13
	s_delay_alu instid0(VALU_DEP_3) | instskip(NEXT) | instid1(VALU_DEP_2)
	v_add_f32_e32 v13, v5, v19
	v_add_f32_e32 v1, v1, v14
	s_delay_alu instid0(VALU_DEP_2) | instskip(NEXT) | instid1(VALU_DEP_1)
	v_add_f32_e32 v13, v13, v20
	v_add_f32_e32 v13, v13, v157
	s_delay_alu instid0(VALU_DEP_1) | instskip(NEXT) | instid1(VALU_DEP_1)
	v_add_f32_e32 v18, v13, v158
	v_dual_add_f32 v1, v1, v16 :: v_dual_add_f32 v18, v18, v161
	s_delay_alu instid0(VALU_DEP_1) | instskip(NEXT) | instid1(VALU_DEP_1)
	v_dual_add_f32 v1, v1, v17 :: v_dual_add_f32 v18, v18, v163
	v_add_f32_e32 v6, v1, v150
	scratch_load_b128 v[1:4], off, off offset:392
	v_add_f32_e32 v22, v18, v165
	v_add_f32_e32 v14, v6, v151
	ds_load_2addr_b64 v[5:8], v21 offset0:105 offset1:106
	v_add_f32_e32 v22, v22, v167
	v_add_f32_e32 v14, v14, v159
	s_delay_alu instid0(VALU_DEP_2) | instskip(NEXT) | instid1(VALU_DEP_2)
	v_add_f32_e32 v22, v22, v169
	v_add_f32_e32 v17, v14, v160
	ds_load_2addr_b64 v[13:16], v21 offset0:107 offset1:108
	v_add_f32_e32 v22, v22, v171
	s_wait_loadcnt_dscnt 0x201
	v_mul_f32_e32 v30, v5, v10
	v_mul_f32_e32 v10, v6, v10
	;; [unrolled: 1-line block ×3, first 2 shown]
	v_dual_mul_f32 v12, v8, v12 :: v_dual_add_f32 v17, v17, v162
	s_delay_alu instid0(VALU_DEP_4) | instskip(NEXT) | instid1(VALU_DEP_4)
	v_fmac_f32_e32 v30, v6, v9
	v_fma_f32 v149, v5, v9, -v10
	s_delay_alu instid0(VALU_DEP_4) | instskip(NEXT) | instid1(VALU_DEP_4)
	v_fmac_f32_e32 v148, v8, v11
	v_fma_f32 v150, v7, v11, -v12
	scratch_load_b128 v[5:8], off, off offset:408
	v_add_f32_e32 v17, v17, v164
	scratch_load_b128 v[9:12], off, off offset:424
	v_add_f32_e32 v17, v17, v166
	s_delay_alu instid0(VALU_DEP_1)
	v_add_f32_e32 v23, v17, v168
	scratch_load_b128 v[17:20], off, off offset:440
	s_wait_loadcnt_dscnt 0x300
	v_dual_mul_f32 v151, v13, v2 :: v_dual_mul_f32 v154, v15, v4
	v_mul_f32_e32 v2, v14, v2
	v_dual_add_f32 v23, v23, v170 :: v_dual_mul_f32 v4, v16, v4
	s_delay_alu instid0(VALU_DEP_3) | instskip(NEXT) | instid1(VALU_DEP_3)
	v_dual_fmac_f32 v151, v14, v1 :: v_dual_fmac_f32 v154, v16, v3
	v_fma_f32 v155, v13, v1, -v2
	s_delay_alu instid0(VALU_DEP_3) | instskip(NEXT) | instid1(VALU_DEP_4)
	v_add_f32_e32 v23, v23, v172
	v_fma_f32 v156, v15, v3, -v4
	ds_load_2addr_b64 v[1:4], v21 offset0:109 offset1:110
	v_add_f32_e32 v23, v23, v174
	s_delay_alu instid0(VALU_DEP_1) | instskip(NEXT) | instid1(VALU_DEP_1)
	v_dual_add_f32 v13, v22, v173 :: v_dual_add_f32 v14, v23, v176
	v_add_f32_e32 v28, v14, v178
	s_delay_alu instid0(VALU_DEP_2)
	v_add_f32_e32 v22, v13, v175
	ds_load_2addr_b64 v[13:16], v21 offset0:111 offset1:112
	v_add_f32_e32 v157, v28, v180
	v_add_f32_e32 v29, v22, v177
	ds_load_2addr_b64 v[22:25], v21 offset0:113 offset1:114
	v_add_f32_e32 v149, v157, v149
	v_add_f32_e32 v158, v29, v179
	ds_load_b64 v[28:29], v21 offset:920
	v_add_f32_e32 v149, v149, v150
	s_delay_alu instid0(VALU_DEP_1) | instskip(SKIP_1) | instid1(VALU_DEP_1)
	v_dual_add_f32 v30, v158, v30 :: v_dual_add_f32 v149, v149, v155
	s_wait_loadcnt_dscnt 0x203
	v_dual_mul_f32 v157, v1, v6 :: v_dual_add_f32 v30, v30, v148
	v_mul_f32_e32 v6, v2, v6
	v_mul_f32_e32 v148, v3, v8
	;; [unrolled: 1-line block ×3, first 2 shown]
	v_add_f32_e32 v149, v149, v156
	s_wait_loadcnt_dscnt 0x102
	v_dual_mul_f32 v150, v13, v10 :: v_dual_fmac_f32 v157, v2, v5
	v_fma_f32 v1, v1, v5, -v6
	v_add_f32_e32 v30, v30, v151
	v_fma_f32 v2, v3, v7, -v8
	v_mul_f32_e32 v3, v14, v10
	v_mul_f32_e32 v151, v15, v12
	s_delay_alu instid0(VALU_DEP_4) | instskip(SKIP_3) | instid1(VALU_DEP_3)
	v_dual_add_f32 v1, v149, v1 :: v_dual_add_f32 v30, v30, v154
	v_mul_f32_e32 v5, v16, v12
	s_wait_dscnt 0x0
	v_mul_f32_e32 v154, v28, v27
	v_dual_fmac_f32 v148, v4, v7 :: v_dual_add_f32 v1, v1, v2
	v_dual_add_f32 v4, v30, v157 :: v_dual_fmac_f32 v151, v16, v11
	v_fma_f32 v3, v13, v9, -v3
	s_wait_loadcnt 0x0
	v_dual_mul_f32 v155, v22, v18 :: v_dual_mul_f32 v156, v24, v20
	v_fmac_f32_e32 v150, v14, v9
	v_add_f32_e32 v2, v4, v148
	v_mul_f32_e32 v4, v23, v18
	v_fma_f32 v5, v15, v11, -v5
	v_add_f32_e32 v1, v1, v3
	v_mul_f32_e32 v3, v25, v20
	v_dual_fmac_f32 v155, v23, v17 :: v_dual_add_f32 v2, v2, v150
	v_fma_f32 v4, v22, v17, -v4
	s_delay_alu instid0(VALU_DEP_4) | instskip(NEXT) | instid1(VALU_DEP_4)
	v_add_f32_e32 v1, v1, v5
	v_fma_f32 v3, v24, v19, -v3
	v_fmac_f32_e32 v156, v25, v19
	v_add_f32_e32 v2, v2, v151
	v_fmac_f32_e32 v154, v29, v26
	v_add_f32_e32 v1, v1, v4
	s_delay_alu instid0(VALU_DEP_1) | instskip(NEXT) | instid1(VALU_DEP_4)
	v_add_f32_e32 v1, v1, v3
	v_add_f32_e32 v2, v2, v155
	s_delay_alu instid0(VALU_DEP_1) | instskip(NEXT) | instid1(VALU_DEP_1)
	v_dual_mul_f32 v5, v29, v27 :: v_dual_add_f32 v2, v2, v156
	v_fma_f32 v4, v28, v26, -v5
	s_delay_alu instid0(VALU_DEP_1) | instskip(NEXT) | instid1(VALU_DEP_1)
	v_dual_add_f32 v2, v2, v154 :: v_dual_add_f32 v1, v1, v4
	v_dual_sub_f32 v2, v153, v2 :: v_dual_sub_f32 v1, v152, v1
	scratch_store_b64 off, v[1:2], off offset:176
	v_cmpx_lt_u32_e32 21, v0
	s_cbranch_execz .LBB57_319
; %bb.318:
	scratch_load_b64 v[1:2], off, off offset:168
	v_mov_b32_e32 v22, v21
	scratch_store_b64 off, v[21:22], off offset:168
	s_wait_loadcnt 0x0
	ds_store_b64 v31, v[1:2]
.LBB57_319:
	s_wait_alu 0xfffe
	s_or_b32 exec_lo, exec_lo, s0
	s_wait_storecnt_dscnt 0x0
	s_barrier_signal -1
	s_barrier_wait -1
	global_inv scope:SCOPE_SE
	s_clause 0x4
	scratch_load_b128 v[5:8], off, off offset:176
	scratch_load_b128 v[1:4], off, off offset:192
	;; [unrolled: 1-line block ×5, first 2 shown]
	ds_load_b128 v[22:25], v21 offset:640
	ds_load_b128 v[26:29], v21 offset:656
	;; [unrolled: 1-line block ×3, first 2 shown]
	scratch_load_b64 v[152:153], off, off offset:168
	s_mov_b32 s0, exec_lo
	s_wait_loadcnt_dscnt 0x502
	v_dual_mul_f32 v30, v23, v6 :: v_dual_mul_f32 v155, v24, v8
	v_mul_f32_e32 v154, v22, v6
	v_mul_f32_e32 v6, v25, v8
	s_wait_loadcnt_dscnt 0x300
	v_mul_f32_e32 v156, v150, v12
	v_fma_f32 v22, v22, v5, -v30
	v_dual_fmac_f32 v155, v25, v7 :: v_dual_fmac_f32 v154, v23, v5
	v_mul_f32_e32 v25, v28, v4
	v_fma_f32 v23, v24, v7, -v6
	ds_load_b128 v[5:8], v21 offset:688
	v_mul_f32_e32 v24, v26, v2
	v_mul_f32_e32 v4, v29, v4
	;; [unrolled: 1-line block ×5, first 2 shown]
	v_dual_mul_f32 v2, v27, v2 :: v_dual_fmac_f32 v25, v29, v3
	v_fmac_f32_e32 v24, v27, v1
	v_fma_f32 v27, v28, v3, -v4
	v_fmac_f32_e32 v30, v149, v9
	v_fma_f32 v28, v148, v9, -v10
	v_fmac_f32_e32 v156, v151, v11
	v_fma_f32 v29, v150, v11, -v12
	ds_load_b128 v[9:12], v21 offset:704
	s_wait_loadcnt_dscnt 0x201
	v_mul_f32_e32 v148, v5, v14
	v_dual_mul_f32 v14, v6, v14 :: v_dual_mul_f32 v149, v7, v16
	v_mul_f32_e32 v16, v8, v16
	s_delay_alu instid0(VALU_DEP_3) | instskip(NEXT) | instid1(VALU_DEP_3)
	v_fmac_f32_e32 v148, v6, v13
	v_fma_f32 v13, v5, v13, -v14
	s_delay_alu instid0(VALU_DEP_4) | instskip(NEXT) | instid1(VALU_DEP_4)
	v_fmac_f32_e32 v149, v8, v15
	v_fma_f32 v14, v7, v15, -v16
	ds_load_b128 v[5:8], v21 offset:720
	s_wait_loadcnt_dscnt 0x101
	v_mul_f32_e32 v15, v9, v18
	v_mul_f32_e32 v16, v10, v18
	;; [unrolled: 1-line block ×3, first 2 shown]
	s_delay_alu instid0(VALU_DEP_3)
	v_dual_mul_f32 v20, v12, v20 :: v_dual_fmac_f32 v15, v10, v17
	v_fma_f32 v26, v26, v1, -v2
	scratch_load_b128 v[1:4], off, off offset:256
	v_fma_f32 v16, v9, v17, -v16
	v_fmac_f32_e32 v18, v12, v19
	v_fma_f32 v17, v11, v19, -v20
	scratch_load_b128 v[9:12], off, off offset:272
	s_wait_loadcnt_dscnt 0x100
	v_mul_f32_e32 v19, v5, v2
	v_mul_f32_e32 v2, v6, v2
	;; [unrolled: 1-line block ×3, first 2 shown]
	s_delay_alu instid0(VALU_DEP_3) | instskip(NEXT) | instid1(VALU_DEP_3)
	v_dual_mul_f32 v4, v8, v4 :: v_dual_fmac_f32 v19, v6, v1
	v_fma_f32 v150, v5, v1, -v2
	s_delay_alu instid0(VALU_DEP_3) | instskip(NEXT) | instid1(VALU_DEP_3)
	v_fmac_f32_e32 v20, v8, v3
	v_fma_f32 v151, v7, v3, -v4
	ds_load_b128 v[1:4], v21 offset:736
	ds_load_b128 v[5:8], v21 offset:752
	s_wait_loadcnt_dscnt 0x1
	v_mul_f32_e32 v157, v1, v10
	v_mul_f32_e32 v10, v2, v10
	s_delay_alu instid0(VALU_DEP_2) | instskip(NEXT) | instid1(VALU_DEP_2)
	v_dual_mul_f32 v158, v3, v12 :: v_dual_fmac_f32 v157, v2, v9
	v_fma_f32 v159, v1, v9, -v10
	v_mul_f32_e32 v1, v4, v12
	s_delay_alu instid0(VALU_DEP_3) | instskip(NEXT) | instid1(VALU_DEP_2)
	v_fmac_f32_e32 v158, v4, v11
	v_fma_f32 v160, v3, v11, -v1
	s_clause 0x1
	scratch_load_b128 v[1:4], off, off offset:288
	scratch_load_b128 v[9:12], off, off offset:304
	s_wait_loadcnt_dscnt 0x100
	v_mul_f32_e32 v161, v5, v2
	v_dual_mul_f32 v2, v6, v2 :: v_dual_mul_f32 v163, v7, v4
	s_delay_alu instid0(VALU_DEP_2) | instskip(NEXT) | instid1(VALU_DEP_2)
	v_fmac_f32_e32 v161, v6, v1
	v_fma_f32 v162, v5, v1, -v2
	v_mul_f32_e32 v1, v8, v4
	s_delay_alu instid0(VALU_DEP_4) | instskip(NEXT) | instid1(VALU_DEP_2)
	v_fmac_f32_e32 v163, v8, v3
	v_fma_f32 v164, v7, v3, -v1
	ds_load_b128 v[1:4], v21 offset:768
	ds_load_b128 v[5:8], v21 offset:784
	s_wait_loadcnt_dscnt 0x1
	v_mul_f32_e32 v165, v1, v10
	v_mul_f32_e32 v167, v3, v12
	s_delay_alu instid0(VALU_DEP_2) | instskip(NEXT) | instid1(VALU_DEP_2)
	v_fmac_f32_e32 v165, v2, v9
	v_dual_mul_f32 v2, v2, v10 :: v_dual_fmac_f32 v167, v4, v11
	s_delay_alu instid0(VALU_DEP_1) | instskip(SKIP_1) | instid1(VALU_DEP_1)
	v_fma_f32 v166, v1, v9, -v2
	v_mul_f32_e32 v1, v4, v12
	v_fma_f32 v168, v3, v11, -v1
	s_clause 0x1
	scratch_load_b128 v[1:4], off, off offset:320
	scratch_load_b128 v[9:12], off, off offset:336
	s_wait_loadcnt_dscnt 0x100
	v_mul_f32_e32 v169, v5, v2
	v_dual_mul_f32 v2, v6, v2 :: v_dual_mul_f32 v171, v7, v4
	s_delay_alu instid0(VALU_DEP_2) | instskip(NEXT) | instid1(VALU_DEP_2)
	v_fmac_f32_e32 v169, v6, v1
	v_fma_f32 v170, v5, v1, -v2
	v_mul_f32_e32 v1, v8, v4
	s_delay_alu instid0(VALU_DEP_4) | instskip(NEXT) | instid1(VALU_DEP_2)
	v_fmac_f32_e32 v171, v8, v3
	v_fma_f32 v172, v7, v3, -v1
	ds_load_b128 v[1:4], v21 offset:800
	ds_load_b128 v[5:8], v21 offset:816
	s_wait_loadcnt_dscnt 0x1
	v_mul_f32_e32 v173, v1, v10
	v_mul_f32_e32 v175, v3, v12
	s_delay_alu instid0(VALU_DEP_2) | instskip(NEXT) | instid1(VALU_DEP_2)
	v_fmac_f32_e32 v173, v2, v9
	v_dual_mul_f32 v2, v2, v10 :: v_dual_fmac_f32 v175, v4, v11
	s_delay_alu instid0(VALU_DEP_1) | instskip(SKIP_1) | instid1(VALU_DEP_1)
	v_fma_f32 v174, v1, v9, -v2
	v_mul_f32_e32 v1, v4, v12
	;; [unrolled: 25-line block ×3, first 2 shown]
	v_fma_f32 v184, v3, v11, -v1
	s_clause 0x1
	scratch_load_b128 v[1:4], off, off offset:384
	scratch_load_b128 v[9:12], off, off offset:400
	s_wait_loadcnt_dscnt 0x100
	v_mul_f32_e32 v185, v5, v2
	v_mul_f32_e32 v2, v6, v2
	s_delay_alu instid0(VALU_DEP_1) | instskip(SKIP_1) | instid1(VALU_DEP_1)
	v_fma_f32 v186, v5, v1, -v2
	v_add_f32_e32 v2, 0, v154
	v_add_f32_e32 v2, v2, v155
	s_delay_alu instid0(VALU_DEP_1) | instskip(NEXT) | instid1(VALU_DEP_1)
	v_add_f32_e32 v2, v2, v24
	v_add_f32_e32 v2, v2, v25
	s_delay_alu instid0(VALU_DEP_1) | instskip(NEXT) | instid1(VALU_DEP_1)
	;; [unrolled: 3-line block ×3, first 2 shown]
	v_add_f32_e32 v2, v2, v148
	v_dual_add_f32 v2, v2, v149 :: v_dual_mul_f32 v187, v7, v4
	s_delay_alu instid0(VALU_DEP_1) | instskip(NEXT) | instid1(VALU_DEP_1)
	v_add_f32_e32 v2, v2, v15
	v_dual_fmac_f32 v187, v8, v3 :: v_dual_add_f32 v2, v2, v18
	s_delay_alu instid0(VALU_DEP_1) | instskip(NEXT) | instid1(VALU_DEP_1)
	v_add_f32_e32 v2, v2, v19
	v_add_f32_e32 v2, v2, v20
	s_delay_alu instid0(VALU_DEP_1) | instskip(NEXT) | instid1(VALU_DEP_1)
	v_add_f32_e32 v5, v2, v157
	v_add_f32_e32 v5, v5, v158
	s_delay_alu instid0(VALU_DEP_1) | instskip(SKIP_2) | instid1(VALU_DEP_1)
	v_add_f32_e32 v5, v5, v161
	v_fmac_f32_e32 v185, v6, v1
	v_mul_f32_e32 v1, v8, v4
	v_fma_f32 v188, v7, v3, -v1
	v_add_f32_e32 v1, 0, v22
	s_delay_alu instid0(VALU_DEP_1) | instskip(NEXT) | instid1(VALU_DEP_1)
	v_add_f32_e32 v1, v1, v23
	v_add_f32_e32 v1, v1, v26
	s_delay_alu instid0(VALU_DEP_1) | instskip(NEXT) | instid1(VALU_DEP_1)
	v_add_f32_e32 v1, v1, v27
	;; [unrolled: 3-line block ×3, first 2 shown]
	v_add_f32_e32 v1, v1, v13
	s_delay_alu instid0(VALU_DEP_1) | instskip(SKIP_1) | instid1(VALU_DEP_1)
	v_add_f32_e32 v1, v1, v14
	v_add_f32_e32 v14, v5, v163
	v_dual_add_f32 v1, v1, v16 :: v_dual_add_f32 v14, v14, v165
	s_delay_alu instid0(VALU_DEP_1) | instskip(NEXT) | instid1(VALU_DEP_1)
	v_dual_add_f32 v1, v1, v17 :: v_dual_add_f32 v14, v14, v167
	v_add_f32_e32 v17, v14, v169
	s_delay_alu instid0(VALU_DEP_1) | instskip(NEXT) | instid1(VALU_DEP_1)
	v_add_f32_e32 v17, v17, v171
	v_add_f32_e32 v17, v17, v173
	s_delay_alu instid0(VALU_DEP_1) | instskip(NEXT) | instid1(VALU_DEP_1)
	v_add_f32_e32 v17, v17, v175
	v_add_f32_e32 v23, v17, v177
	s_delay_alu instid0(VALU_DEP_1) | instskip(NEXT) | instid1(VALU_DEP_1)
	v_dual_add_f32 v1, v1, v150 :: v_dual_add_f32 v30, v23, v179
	v_add_f32_e32 v1, v1, v151
	s_delay_alu instid0(VALU_DEP_1) | instskip(NEXT) | instid1(VALU_DEP_1)
	v_add_f32_e32 v1, v1, v159
	v_add_f32_e32 v6, v1, v160
	ds_load_b128 v[1:4], v21 offset:864
	v_add_f32_e32 v30, v30, v181
	v_add_f32_e32 v6, v6, v162
	s_delay_alu instid0(VALU_DEP_2) | instskip(NEXT) | instid1(VALU_DEP_2)
	v_add_f32_e32 v30, v30, v183
	v_add_f32_e32 v13, v6, v164
	ds_load_b128 v[5:8], v21 offset:880
	v_add_f32_e32 v30, v30, v185
	s_wait_loadcnt_dscnt 0x1
	s_delay_alu instid0(VALU_DEP_1) | instskip(SKIP_2) | instid1(VALU_DEP_3)
	v_dual_add_f32 v30, v30, v187 :: v_dual_mul_f32 v25, v1, v10
	v_mul_f32_e32 v26, v3, v12
	v_mul_f32_e32 v10, v2, v10
	v_dual_mul_f32 v12, v4, v12 :: v_dual_fmac_f32 v25, v2, v9
	s_delay_alu instid0(VALU_DEP_3) | instskip(NEXT) | instid1(VALU_DEP_3)
	v_fmac_f32_e32 v26, v4, v11
	v_fma_f32 v27, v1, v9, -v10
	s_delay_alu instid0(VALU_DEP_3)
	v_fma_f32 v28, v3, v11, -v12
	s_clause 0x1
	scratch_load_b128 v[1:4], off, off offset:416
	scratch_load_b128 v[9:12], off, off offset:432
	s_wait_loadcnt_dscnt 0x100
	v_mul_f32_e32 v148, v5, v2
	v_add_f32_e32 v13, v13, v166
	v_dual_mul_f32 v2, v6, v2 :: v_dual_mul_f32 v149, v7, v4
	v_mul_f32_e32 v4, v8, v4
	s_delay_alu instid0(VALU_DEP_3) | instskip(NEXT) | instid1(VALU_DEP_3)
	v_dual_fmac_f32 v148, v6, v1 :: v_dual_add_f32 v13, v13, v168
	v_fma_f32 v2, v5, v1, -v2
	s_delay_alu instid0(VALU_DEP_4) | instskip(NEXT) | instid1(VALU_DEP_4)
	v_fmac_f32_e32 v149, v8, v3
	v_fma_f32 v3, v7, v3, -v4
	s_delay_alu instid0(VALU_DEP_4) | instskip(NEXT) | instid1(VALU_DEP_1)
	v_add_f32_e32 v13, v13, v170
	v_add_f32_e32 v18, v13, v172
	scratch_load_b128 v[13:16], off, off offset:448
	v_add_f32_e32 v18, v18, v174
	s_delay_alu instid0(VALU_DEP_1) | instskip(NEXT) | instid1(VALU_DEP_1)
	v_add_f32_e32 v18, v18, v176
	v_add_f32_e32 v22, v18, v178
	ds_load_b128 v[17:20], v21 offset:896
	v_add_f32_e32 v29, v22, v180
	ds_load_b128 v[21:24], v21 offset:912
	s_wait_loadcnt_dscnt 0x101
	v_mul_f32_e32 v150, v17, v10
	v_add_f32_e32 v29, v29, v182
	v_add_f32_e32 v25, v30, v25
	v_mul_f32_e32 v6, v18, v10
	v_mul_f32_e32 v4, v20, v12
	s_delay_alu instid0(VALU_DEP_4) | instskip(NEXT) | instid1(VALU_DEP_4)
	v_dual_fmac_f32 v150, v18, v9 :: v_dual_add_f32 v29, v29, v184
	v_add_f32_e32 v5, v25, v26
	s_delay_alu instid0(VALU_DEP_3) | instskip(SKIP_2) | instid1(VALU_DEP_1)
	v_fma_f32 v4, v19, v11, -v4
	s_wait_loadcnt_dscnt 0x0
	v_mul_f32_e32 v154, v21, v14
	v_dual_add_f32 v29, v29, v186 :: v_dual_fmac_f32 v154, v22, v13
	s_delay_alu instid0(VALU_DEP_1) | instskip(SKIP_1) | instid1(VALU_DEP_2)
	v_add_f32_e32 v29, v29, v188
	v_mul_f32_e32 v151, v19, v12
	v_add_f32_e32 v27, v29, v27
	s_delay_alu instid0(VALU_DEP_2) | instskip(SKIP_1) | instid1(VALU_DEP_3)
	v_fmac_f32_e32 v151, v20, v11
	v_mul_f32_e32 v29, v23, v16
	v_add_f32_e32 v1, v27, v28
	s_delay_alu instid0(VALU_DEP_2) | instskip(NEXT) | instid1(VALU_DEP_2)
	v_fmac_f32_e32 v29, v24, v15
	v_add_f32_e32 v1, v1, v2
	v_add_f32_e32 v2, v5, v148
	v_fma_f32 v5, v17, v9, -v6
	s_delay_alu instid0(VALU_DEP_2) | instskip(SKIP_1) | instid1(VALU_DEP_2)
	v_dual_add_f32 v1, v1, v3 :: v_dual_add_f32 v2, v2, v149
	v_mul_f32_e32 v3, v22, v14
	v_dual_add_f32 v1, v1, v5 :: v_dual_add_f32 v2, v2, v150
	v_mul_f32_e32 v5, v24, v16
	s_delay_alu instid0(VALU_DEP_3) | instskip(NEXT) | instid1(VALU_DEP_3)
	v_fma_f32 v3, v21, v13, -v3
	v_dual_add_f32 v1, v1, v4 :: v_dual_add_f32 v2, v2, v151
	s_delay_alu instid0(VALU_DEP_3) | instskip(NEXT) | instid1(VALU_DEP_2)
	v_fma_f32 v4, v23, v15, -v5
	v_dual_add_f32 v1, v1, v3 :: v_dual_add_f32 v2, v2, v154
	s_delay_alu instid0(VALU_DEP_1) | instskip(NEXT) | instid1(VALU_DEP_1)
	v_dual_add_f32 v1, v1, v4 :: v_dual_add_f32 v2, v2, v29
	v_dual_sub_f32 v1, v152, v1 :: v_dual_sub_f32 v2, v153, v2
	scratch_store_b64 off, v[1:2], off offset:168
	v_cmpx_lt_u32_e32 20, v0
	s_cbranch_execz .LBB57_321
; %bb.320:
	scratch_load_b64 v[1:2], off, off offset:160
	v_mov_b32_e32 v3, 0
	s_delay_alu instid0(VALU_DEP_1)
	v_mov_b32_e32 v4, v3
	scratch_store_b64 off, v[3:4], off offset:160
	s_wait_loadcnt 0x0
	ds_store_b64 v31, v[1:2]
.LBB57_321:
	s_wait_alu 0xfffe
	s_or_b32 exec_lo, exec_lo, s0
	s_wait_storecnt_dscnt 0x0
	s_barrier_signal -1
	s_barrier_wait -1
	global_inv scope:SCOPE_SE
	s_clause 0x4
	scratch_load_b128 v[5:8], off, off offset:168
	scratch_load_b128 v[1:4], off, off offset:184
	;; [unrolled: 1-line block ×5, first 2 shown]
	v_mov_b32_e32 v21, 0
	ds_load_2addr_b64 v[22:25], v21 offset0:79 offset1:80
	ds_load_2addr_b64 v[26:29], v21 offset0:81 offset1:82
	;; [unrolled: 1-line block ×3, first 2 shown]
	scratch_load_b64 v[152:153], off, off offset:160
	s_mov_b32 s0, exec_lo
	s_wait_loadcnt_dscnt 0x502
	v_mul_f32_e32 v30, v23, v6
	v_dual_mul_f32 v154, v22, v6 :: v_dual_mul_f32 v155, v24, v8
	v_mul_f32_e32 v6, v25, v8
	s_wait_loadcnt_dscnt 0x300
	v_mul_f32_e32 v156, v150, v12
	v_fma_f32 v22, v22, v5, -v30
	v_dual_fmac_f32 v154, v23, v5 :: v_dual_fmac_f32 v155, v25, v7
	v_fma_f32 v23, v24, v7, -v6
	v_dual_mul_f32 v24, v26, v2 :: v_dual_mul_f32 v25, v28, v4
	v_mul_f32_e32 v2, v27, v2
	v_mul_f32_e32 v4, v29, v4
	ds_load_2addr_b64 v[5:8], v21 offset0:85 offset1:86
	v_mul_f32_e32 v30, v148, v10
	v_dual_fmac_f32 v24, v27, v1 :: v_dual_fmac_f32 v25, v29, v3
	v_fma_f32 v26, v26, v1, -v2
	v_fma_f32 v27, v28, v3, -v4
	v_mul_f32_e32 v12, v151, v12
	scratch_load_b128 v[1:4], off, off offset:248
	v_mul_f32_e32 v10, v149, v10
	v_fmac_f32_e32 v30, v149, v9
	v_fmac_f32_e32 v156, v151, v11
	v_fma_f32 v29, v150, v11, -v12
	s_delay_alu instid0(VALU_DEP_4)
	v_fma_f32 v28, v148, v9, -v10
	ds_load_2addr_b64 v[9:12], v21 offset0:87 offset1:88
	s_wait_loadcnt_dscnt 0x301
	v_mul_f32_e32 v148, v5, v14
	v_dual_mul_f32 v14, v6, v14 :: v_dual_mul_f32 v149, v7, v16
	v_mul_f32_e32 v16, v8, v16
	s_delay_alu instid0(VALU_DEP_3) | instskip(NEXT) | instid1(VALU_DEP_3)
	v_fmac_f32_e32 v148, v6, v13
	v_fma_f32 v13, v5, v13, -v14
	s_delay_alu instid0(VALU_DEP_4) | instskip(NEXT) | instid1(VALU_DEP_4)
	v_fmac_f32_e32 v149, v8, v15
	v_fma_f32 v14, v7, v15, -v16
	ds_load_2addr_b64 v[5:8], v21 offset0:89 offset1:90
	s_wait_loadcnt_dscnt 0x201
	v_mul_f32_e32 v15, v9, v18
	v_mul_f32_e32 v16, v10, v18
	;; [unrolled: 1-line block ×3, first 2 shown]
	s_delay_alu instid0(VALU_DEP_3) | instskip(NEXT) | instid1(VALU_DEP_3)
	v_dual_mul_f32 v20, v12, v20 :: v_dual_fmac_f32 v15, v10, v17
	v_fma_f32 v16, v9, v17, -v16
	s_delay_alu instid0(VALU_DEP_3) | instskip(NEXT) | instid1(VALU_DEP_3)
	v_fmac_f32_e32 v18, v12, v19
	v_fma_f32 v17, v11, v19, -v20
	scratch_load_b128 v[9:12], off, off offset:264
	s_wait_loadcnt_dscnt 0x100
	v_mul_f32_e32 v19, v5, v2
	v_mul_f32_e32 v2, v6, v2
	;; [unrolled: 1-line block ×3, first 2 shown]
	s_delay_alu instid0(VALU_DEP_3) | instskip(NEXT) | instid1(VALU_DEP_3)
	v_dual_mul_f32 v4, v8, v4 :: v_dual_fmac_f32 v19, v6, v1
	v_fma_f32 v150, v5, v1, -v2
	s_delay_alu instid0(VALU_DEP_3) | instskip(NEXT) | instid1(VALU_DEP_3)
	v_fmac_f32_e32 v20, v8, v3
	v_fma_f32 v151, v7, v3, -v4
	ds_load_2addr_b64 v[1:4], v21 offset0:91 offset1:92
	ds_load_2addr_b64 v[5:8], v21 offset0:93 offset1:94
	s_wait_loadcnt_dscnt 0x1
	v_mul_f32_e32 v157, v1, v10
	v_mul_f32_e32 v10, v2, v10
	s_delay_alu instid0(VALU_DEP_2) | instskip(NEXT) | instid1(VALU_DEP_2)
	v_dual_mul_f32 v158, v3, v12 :: v_dual_fmac_f32 v157, v2, v9
	v_fma_f32 v159, v1, v9, -v10
	v_mul_f32_e32 v1, v4, v12
	s_delay_alu instid0(VALU_DEP_3) | instskip(NEXT) | instid1(VALU_DEP_2)
	v_fmac_f32_e32 v158, v4, v11
	v_fma_f32 v160, v3, v11, -v1
	s_clause 0x1
	scratch_load_b128 v[1:4], off, off offset:280
	scratch_load_b128 v[9:12], off, off offset:296
	s_wait_loadcnt_dscnt 0x100
	v_mul_f32_e32 v161, v5, v2
	v_dual_mul_f32 v2, v6, v2 :: v_dual_mul_f32 v163, v7, v4
	s_delay_alu instid0(VALU_DEP_2) | instskip(NEXT) | instid1(VALU_DEP_2)
	v_fmac_f32_e32 v161, v6, v1
	v_fma_f32 v162, v5, v1, -v2
	v_mul_f32_e32 v1, v8, v4
	s_delay_alu instid0(VALU_DEP_4) | instskip(NEXT) | instid1(VALU_DEP_2)
	v_fmac_f32_e32 v163, v8, v3
	v_fma_f32 v164, v7, v3, -v1
	ds_load_2addr_b64 v[1:4], v21 offset0:95 offset1:96
	ds_load_2addr_b64 v[5:8], v21 offset0:97 offset1:98
	s_wait_loadcnt_dscnt 0x1
	v_mul_f32_e32 v165, v1, v10
	v_mul_f32_e32 v167, v3, v12
	s_delay_alu instid0(VALU_DEP_2) | instskip(NEXT) | instid1(VALU_DEP_2)
	v_fmac_f32_e32 v165, v2, v9
	v_dual_mul_f32 v2, v2, v10 :: v_dual_fmac_f32 v167, v4, v11
	s_delay_alu instid0(VALU_DEP_1) | instskip(SKIP_1) | instid1(VALU_DEP_1)
	v_fma_f32 v166, v1, v9, -v2
	v_mul_f32_e32 v1, v4, v12
	v_fma_f32 v168, v3, v11, -v1
	s_clause 0x1
	scratch_load_b128 v[1:4], off, off offset:312
	scratch_load_b128 v[9:12], off, off offset:328
	s_wait_loadcnt_dscnt 0x100
	v_mul_f32_e32 v169, v5, v2
	v_dual_mul_f32 v2, v6, v2 :: v_dual_mul_f32 v171, v7, v4
	s_delay_alu instid0(VALU_DEP_2) | instskip(NEXT) | instid1(VALU_DEP_2)
	v_fmac_f32_e32 v169, v6, v1
	v_fma_f32 v170, v5, v1, -v2
	v_mul_f32_e32 v1, v8, v4
	s_delay_alu instid0(VALU_DEP_4) | instskip(NEXT) | instid1(VALU_DEP_2)
	v_fmac_f32_e32 v171, v8, v3
	v_fma_f32 v172, v7, v3, -v1
	ds_load_2addr_b64 v[1:4], v21 offset0:99 offset1:100
	ds_load_2addr_b64 v[5:8], v21 offset0:101 offset1:102
	s_wait_loadcnt_dscnt 0x1
	v_mul_f32_e32 v173, v1, v10
	v_mul_f32_e32 v175, v3, v12
	s_delay_alu instid0(VALU_DEP_2) | instskip(NEXT) | instid1(VALU_DEP_2)
	v_fmac_f32_e32 v173, v2, v9
	v_dual_mul_f32 v2, v2, v10 :: v_dual_fmac_f32 v175, v4, v11
	s_delay_alu instid0(VALU_DEP_1) | instskip(SKIP_1) | instid1(VALU_DEP_1)
	v_fma_f32 v174, v1, v9, -v2
	v_mul_f32_e32 v1, v4, v12
	;; [unrolled: 25-line block ×3, first 2 shown]
	v_fma_f32 v184, v3, v11, -v1
	s_clause 0x1
	scratch_load_b128 v[1:4], off, off offset:376
	scratch_load_b128 v[9:12], off, off offset:392
	s_wait_loadcnt_dscnt 0x100
	v_mul_f32_e32 v185, v5, v2
	v_mul_f32_e32 v2, v6, v2
	s_delay_alu instid0(VALU_DEP_1) | instskip(SKIP_1) | instid1(VALU_DEP_1)
	v_fma_f32 v186, v5, v1, -v2
	v_add_f32_e32 v2, 0, v154
	v_add_f32_e32 v2, v2, v155
	s_delay_alu instid0(VALU_DEP_1) | instskip(NEXT) | instid1(VALU_DEP_1)
	v_add_f32_e32 v2, v2, v24
	v_add_f32_e32 v2, v2, v25
	s_delay_alu instid0(VALU_DEP_1) | instskip(NEXT) | instid1(VALU_DEP_1)
	v_add_f32_e32 v2, v2, v30
	v_add_f32_e32 v2, v2, v156
	v_fmac_f32_e32 v185, v6, v1
	s_delay_alu instid0(VALU_DEP_2) | instskip(NEXT) | instid1(VALU_DEP_1)
	v_add_f32_e32 v2, v2, v148
	v_dual_add_f32 v2, v2, v149 :: v_dual_mul_f32 v187, v7, v4
	s_delay_alu instid0(VALU_DEP_1) | instskip(NEXT) | instid1(VALU_DEP_1)
	v_add_f32_e32 v2, v2, v15
	v_dual_fmac_f32 v187, v8, v3 :: v_dual_add_f32 v2, v2, v18
	s_delay_alu instid0(VALU_DEP_1) | instskip(NEXT) | instid1(VALU_DEP_1)
	v_dual_mul_f32 v1, v8, v4 :: v_dual_add_f32 v2, v2, v19
	v_fma_f32 v188, v7, v3, -v1
	s_delay_alu instid0(VALU_DEP_2) | instskip(NEXT) | instid1(VALU_DEP_1)
	v_dual_add_f32 v1, 0, v22 :: v_dual_add_f32 v2, v2, v20
	v_add_f32_e32 v1, v1, v23
	s_delay_alu instid0(VALU_DEP_2) | instskip(NEXT) | instid1(VALU_DEP_2)
	v_add_f32_e32 v5, v2, v157
	v_add_f32_e32 v1, v1, v26
	s_delay_alu instid0(VALU_DEP_2) | instskip(NEXT) | instid1(VALU_DEP_2)
	v_add_f32_e32 v5, v5, v158
	v_add_f32_e32 v1, v1, v27
	scratch_load_b64 v[26:27], off, off offset:456
	v_add_f32_e32 v5, v5, v161
	v_add_f32_e32 v1, v1, v28
	s_delay_alu instid0(VALU_DEP_1) | instskip(NEXT) | instid1(VALU_DEP_1)
	v_add_f32_e32 v1, v1, v29
	v_add_f32_e32 v1, v1, v13
	s_delay_alu instid0(VALU_DEP_1) | instskip(SKIP_1) | instid1(VALU_DEP_1)
	v_add_f32_e32 v1, v1, v14
	v_add_f32_e32 v14, v5, v163
	v_dual_add_f32 v1, v1, v16 :: v_dual_add_f32 v14, v14, v165
	s_delay_alu instid0(VALU_DEP_1) | instskip(NEXT) | instid1(VALU_DEP_1)
	v_dual_add_f32 v1, v1, v17 :: v_dual_add_f32 v14, v14, v167
	v_add_f32_e32 v1, v1, v150
	s_delay_alu instid0(VALU_DEP_2) | instskip(NEXT) | instid1(VALU_DEP_2)
	v_add_f32_e32 v17, v14, v169
	v_add_f32_e32 v1, v1, v151
	s_delay_alu instid0(VALU_DEP_2) | instskip(NEXT) | instid1(VALU_DEP_2)
	v_add_f32_e32 v17, v17, v171
	;; [unrolled: 3-line block ×3, first 2 shown]
	v_add_f32_e32 v6, v1, v160
	ds_load_2addr_b64 v[1:4], v21 offset0:107 offset1:108
	v_dual_add_f32 v17, v17, v175 :: v_dual_add_f32 v6, v6, v162
	s_delay_alu instid0(VALU_DEP_1) | instskip(NEXT) | instid1(VALU_DEP_2)
	v_add_f32_e32 v17, v17, v177
	v_add_f32_e32 v13, v6, v164
	ds_load_2addr_b64 v[5:8], v21 offset0:109 offset1:110
	v_add_f32_e32 v22, v17, v179
	s_delay_alu instid0(VALU_DEP_1)
	v_add_f32_e32 v29, v22, v181
	ds_load_2addr_b64 v[22:25], v21 offset0:113 offset1:114
	s_wait_loadcnt_dscnt 0x102
	v_mul_f32_e32 v30, v1, v10
	v_mul_f32_e32 v10, v2, v10
	;; [unrolled: 1-line block ×4, first 2 shown]
	v_add_f32_e32 v154, v29, v183
	v_fmac_f32_e32 v30, v2, v9
	v_fma_f32 v149, v1, v9, -v10
	v_fmac_f32_e32 v148, v4, v11
	v_fma_f32 v150, v3, v11, -v12
	s_clause 0x1
	scratch_load_b128 v[1:4], off, off offset:408
	scratch_load_b128 v[9:12], off, off offset:424
	v_dual_add_f32 v13, v13, v166 :: v_dual_add_f32 v154, v154, v185
	s_delay_alu instid0(VALU_DEP_1) | instskip(NEXT) | instid1(VALU_DEP_1)
	v_dual_add_f32 v13, v13, v168 :: v_dual_add_f32 v154, v154, v187
	v_add_f32_e32 v30, v154, v30
	s_wait_loadcnt_dscnt 0x101
	s_delay_alu instid0(VALU_DEP_1) | instskip(SKIP_3) | instid1(VALU_DEP_3)
	v_dual_add_f32 v30, v30, v148 :: v_dual_mul_f32 v155, v5, v2
	v_mul_f32_e32 v2, v6, v2
	v_dual_add_f32 v13, v13, v170 :: v_dual_mul_f32 v156, v7, v4
	v_mul_f32_e32 v4, v8, v4
	v_fma_f32 v2, v5, v1, -v2
	s_delay_alu instid0(VALU_DEP_3) | instskip(SKIP_3) | instid1(VALU_DEP_1)
	v_add_f32_e32 v18, v13, v172
	scratch_load_b128 v[13:16], off, off offset:440
	v_fmac_f32_e32 v156, v8, v3
	v_add_f32_e32 v18, v18, v174
	v_add_f32_e32 v18, v18, v176
	s_delay_alu instid0(VALU_DEP_1) | instskip(NEXT) | instid1(VALU_DEP_1)
	v_add_f32_e32 v18, v18, v178
	v_add_f32_e32 v18, v18, v180
	s_delay_alu instid0(VALU_DEP_1) | instskip(SKIP_4) | instid1(VALU_DEP_1)
	v_add_f32_e32 v28, v18, v182
	ds_load_2addr_b64 v[17:20], v21 offset0:111 offset1:112
	v_add_f32_e32 v151, v28, v184
	ds_load_b64 v[28:29], v21 offset:920
	v_add_f32_e32 v151, v151, v186
	v_add_f32_e32 v151, v151, v188
	s_wait_loadcnt_dscnt 0x101
	v_mul_f32_e32 v154, v19, v12
	s_wait_dscnt 0x0
	v_dual_mul_f32 v148, v28, v27 :: v_dual_fmac_f32 v155, v6, v1
	v_add_f32_e32 v149, v151, v149
	v_fma_f32 v1, v7, v3, -v4
	v_fmac_f32_e32 v154, v20, v11
	s_delay_alu instid0(VALU_DEP_4) | instskip(NEXT) | instid1(VALU_DEP_4)
	v_fmac_f32_e32 v148, v29, v26
	v_dual_add_f32 v4, v30, v155 :: v_dual_add_f32 v149, v149, v150
	v_mul_f32_e32 v151, v17, v10
	s_delay_alu instid0(VALU_DEP_2) | instskip(NEXT) | instid1(VALU_DEP_1)
	v_add_f32_e32 v2, v149, v2
	v_dual_add_f32 v1, v2, v1 :: v_dual_add_f32 v2, v4, v156
	s_delay_alu instid0(VALU_DEP_3) | instskip(NEXT) | instid1(VALU_DEP_1)
	v_fmac_f32_e32 v151, v18, v9
	v_dual_add_f32 v2, v2, v151 :: v_dual_mul_f32 v5, v20, v12
	s_delay_alu instid0(VALU_DEP_1) | instskip(NEXT) | instid1(VALU_DEP_2)
	v_add_f32_e32 v2, v2, v154
	v_fma_f32 v5, v19, v11, -v5
	s_wait_loadcnt 0x0
	v_dual_mul_f32 v157, v22, v14 :: v_dual_mul_f32 v150, v24, v16
	v_mul_f32_e32 v3, v18, v10
	v_mul_f32_e32 v4, v23, v14
	s_delay_alu instid0(VALU_DEP_3) | instskip(NEXT) | instid1(VALU_DEP_3)
	v_dual_fmac_f32 v150, v25, v15 :: v_dual_fmac_f32 v157, v23, v13
	v_fma_f32 v3, v17, v9, -v3
	s_delay_alu instid0(VALU_DEP_3) | instskip(NEXT) | instid1(VALU_DEP_3)
	v_fma_f32 v4, v22, v13, -v4
	v_add_f32_e32 v2, v2, v157
	s_delay_alu instid0(VALU_DEP_1) | instskip(NEXT) | instid1(VALU_DEP_1)
	v_add_f32_e32 v2, v2, v150
	v_add_f32_e32 v2, v2, v148
	s_delay_alu instid0(VALU_DEP_1) | instskip(SKIP_2) | instid1(VALU_DEP_2)
	v_sub_f32_e32 v2, v153, v2
	v_add_f32_e32 v1, v1, v3
	v_mul_f32_e32 v3, v25, v16
	v_add_f32_e32 v1, v1, v5
	v_mul_f32_e32 v5, v29, v27
	s_delay_alu instid0(VALU_DEP_3) | instskip(NEXT) | instid1(VALU_DEP_3)
	v_fma_f32 v3, v24, v15, -v3
	v_add_f32_e32 v1, v1, v4
	s_delay_alu instid0(VALU_DEP_3) | instskip(NEXT) | instid1(VALU_DEP_2)
	v_fma_f32 v4, v28, v26, -v5
	v_add_f32_e32 v1, v1, v3
	s_delay_alu instid0(VALU_DEP_1) | instskip(NEXT) | instid1(VALU_DEP_1)
	v_add_f32_e32 v1, v1, v4
	v_sub_f32_e32 v1, v152, v1
	scratch_store_b64 off, v[1:2], off offset:160
	v_cmpx_lt_u32_e32 19, v0
	s_cbranch_execz .LBB57_323
; %bb.322:
	scratch_load_b64 v[1:2], off, off offset:152
	v_mov_b32_e32 v22, v21
	scratch_store_b64 off, v[21:22], off offset:152
	s_wait_loadcnt 0x0
	ds_store_b64 v31, v[1:2]
.LBB57_323:
	s_wait_alu 0xfffe
	s_or_b32 exec_lo, exec_lo, s0
	s_wait_storecnt_dscnt 0x0
	s_barrier_signal -1
	s_barrier_wait -1
	global_inv scope:SCOPE_SE
	s_clause 0x4
	scratch_load_b128 v[5:8], off, off offset:160
	scratch_load_b128 v[1:4], off, off offset:176
	;; [unrolled: 1-line block ×5, first 2 shown]
	ds_load_b128 v[22:25], v21 offset:624
	ds_load_b128 v[26:29], v21 offset:640
	;; [unrolled: 1-line block ×3, first 2 shown]
	scratch_load_b64 v[152:153], off, off offset:152
	s_mov_b32 s0, exec_lo
	s_wait_loadcnt_dscnt 0x502
	v_dual_mul_f32 v30, v23, v6 :: v_dual_mul_f32 v155, v24, v8
	v_mul_f32_e32 v154, v22, v6
	v_mul_f32_e32 v6, v25, v8
	s_wait_loadcnt_dscnt 0x300
	v_mul_f32_e32 v156, v150, v12
	v_fma_f32 v22, v22, v5, -v30
	v_dual_fmac_f32 v155, v25, v7 :: v_dual_fmac_f32 v154, v23, v5
	v_mul_f32_e32 v25, v28, v4
	v_fma_f32 v23, v24, v7, -v6
	ds_load_b128 v[5:8], v21 offset:672
	v_mul_f32_e32 v24, v26, v2
	v_mul_f32_e32 v4, v29, v4
	v_mul_f32_e32 v30, v148, v10
	v_mul_f32_e32 v10, v149, v10
	v_mul_f32_e32 v12, v151, v12
	v_dual_mul_f32 v2, v27, v2 :: v_dual_fmac_f32 v25, v29, v3
	v_fmac_f32_e32 v24, v27, v1
	v_fma_f32 v27, v28, v3, -v4
	v_fmac_f32_e32 v30, v149, v9
	v_fma_f32 v28, v148, v9, -v10
	;; [unrolled: 2-line block ×3, first 2 shown]
	ds_load_b128 v[9:12], v21 offset:688
	s_wait_loadcnt_dscnt 0x201
	v_mul_f32_e32 v148, v5, v14
	v_dual_mul_f32 v14, v6, v14 :: v_dual_mul_f32 v149, v7, v16
	v_mul_f32_e32 v16, v8, v16
	s_delay_alu instid0(VALU_DEP_3) | instskip(NEXT) | instid1(VALU_DEP_3)
	v_fmac_f32_e32 v148, v6, v13
	v_fma_f32 v13, v5, v13, -v14
	s_delay_alu instid0(VALU_DEP_4) | instskip(NEXT) | instid1(VALU_DEP_4)
	v_fmac_f32_e32 v149, v8, v15
	v_fma_f32 v14, v7, v15, -v16
	ds_load_b128 v[5:8], v21 offset:704
	s_wait_loadcnt_dscnt 0x101
	v_mul_f32_e32 v15, v9, v18
	v_mul_f32_e32 v16, v10, v18
	;; [unrolled: 1-line block ×3, first 2 shown]
	s_delay_alu instid0(VALU_DEP_3)
	v_dual_mul_f32 v20, v12, v20 :: v_dual_fmac_f32 v15, v10, v17
	v_fma_f32 v26, v26, v1, -v2
	scratch_load_b128 v[1:4], off, off offset:240
	v_fma_f32 v16, v9, v17, -v16
	v_fmac_f32_e32 v18, v12, v19
	v_fma_f32 v17, v11, v19, -v20
	scratch_load_b128 v[9:12], off, off offset:256
	s_wait_loadcnt_dscnt 0x100
	v_mul_f32_e32 v19, v5, v2
	v_mul_f32_e32 v2, v6, v2
	;; [unrolled: 1-line block ×3, first 2 shown]
	s_delay_alu instid0(VALU_DEP_3) | instskip(NEXT) | instid1(VALU_DEP_3)
	v_dual_mul_f32 v4, v8, v4 :: v_dual_fmac_f32 v19, v6, v1
	v_fma_f32 v150, v5, v1, -v2
	s_delay_alu instid0(VALU_DEP_3) | instskip(NEXT) | instid1(VALU_DEP_3)
	v_fmac_f32_e32 v20, v8, v3
	v_fma_f32 v151, v7, v3, -v4
	ds_load_b128 v[1:4], v21 offset:720
	ds_load_b128 v[5:8], v21 offset:736
	s_wait_loadcnt_dscnt 0x1
	v_mul_f32_e32 v157, v1, v10
	v_mul_f32_e32 v10, v2, v10
	s_delay_alu instid0(VALU_DEP_2) | instskip(NEXT) | instid1(VALU_DEP_2)
	v_dual_mul_f32 v158, v3, v12 :: v_dual_fmac_f32 v157, v2, v9
	v_fma_f32 v159, v1, v9, -v10
	v_mul_f32_e32 v1, v4, v12
	s_delay_alu instid0(VALU_DEP_3) | instskip(NEXT) | instid1(VALU_DEP_2)
	v_fmac_f32_e32 v158, v4, v11
	v_fma_f32 v160, v3, v11, -v1
	s_clause 0x1
	scratch_load_b128 v[1:4], off, off offset:272
	scratch_load_b128 v[9:12], off, off offset:288
	s_wait_loadcnt_dscnt 0x100
	v_mul_f32_e32 v161, v5, v2
	v_dual_mul_f32 v2, v6, v2 :: v_dual_mul_f32 v163, v7, v4
	s_delay_alu instid0(VALU_DEP_2) | instskip(NEXT) | instid1(VALU_DEP_2)
	v_fmac_f32_e32 v161, v6, v1
	v_fma_f32 v162, v5, v1, -v2
	v_mul_f32_e32 v1, v8, v4
	s_delay_alu instid0(VALU_DEP_4) | instskip(NEXT) | instid1(VALU_DEP_2)
	v_fmac_f32_e32 v163, v8, v3
	v_fma_f32 v164, v7, v3, -v1
	ds_load_b128 v[1:4], v21 offset:752
	ds_load_b128 v[5:8], v21 offset:768
	s_wait_loadcnt_dscnt 0x1
	v_mul_f32_e32 v165, v1, v10
	v_mul_f32_e32 v167, v3, v12
	s_delay_alu instid0(VALU_DEP_2) | instskip(NEXT) | instid1(VALU_DEP_2)
	v_fmac_f32_e32 v165, v2, v9
	v_dual_mul_f32 v2, v2, v10 :: v_dual_fmac_f32 v167, v4, v11
	s_delay_alu instid0(VALU_DEP_1) | instskip(SKIP_1) | instid1(VALU_DEP_1)
	v_fma_f32 v166, v1, v9, -v2
	v_mul_f32_e32 v1, v4, v12
	v_fma_f32 v168, v3, v11, -v1
	s_clause 0x1
	scratch_load_b128 v[1:4], off, off offset:304
	scratch_load_b128 v[9:12], off, off offset:320
	s_wait_loadcnt_dscnt 0x100
	v_mul_f32_e32 v169, v5, v2
	v_dual_mul_f32 v2, v6, v2 :: v_dual_mul_f32 v171, v7, v4
	s_delay_alu instid0(VALU_DEP_2) | instskip(NEXT) | instid1(VALU_DEP_2)
	v_fmac_f32_e32 v169, v6, v1
	v_fma_f32 v170, v5, v1, -v2
	v_mul_f32_e32 v1, v8, v4
	s_delay_alu instid0(VALU_DEP_4) | instskip(NEXT) | instid1(VALU_DEP_2)
	v_fmac_f32_e32 v171, v8, v3
	v_fma_f32 v172, v7, v3, -v1
	ds_load_b128 v[1:4], v21 offset:784
	ds_load_b128 v[5:8], v21 offset:800
	s_wait_loadcnt_dscnt 0x1
	v_mul_f32_e32 v173, v1, v10
	v_mul_f32_e32 v175, v3, v12
	s_delay_alu instid0(VALU_DEP_2) | instskip(NEXT) | instid1(VALU_DEP_2)
	v_fmac_f32_e32 v173, v2, v9
	v_dual_mul_f32 v2, v2, v10 :: v_dual_fmac_f32 v175, v4, v11
	s_delay_alu instid0(VALU_DEP_1) | instskip(SKIP_1) | instid1(VALU_DEP_1)
	v_fma_f32 v174, v1, v9, -v2
	v_mul_f32_e32 v1, v4, v12
	;; [unrolled: 25-line block ×3, first 2 shown]
	v_fma_f32 v184, v3, v11, -v1
	s_clause 0x1
	scratch_load_b128 v[1:4], off, off offset:368
	scratch_load_b128 v[9:12], off, off offset:384
	s_wait_loadcnt_dscnt 0x100
	v_mul_f32_e32 v185, v5, v2
	v_mul_f32_e32 v2, v6, v2
	s_delay_alu instid0(VALU_DEP_1) | instskip(SKIP_1) | instid1(VALU_DEP_1)
	v_fma_f32 v186, v5, v1, -v2
	v_add_f32_e32 v2, 0, v154
	v_add_f32_e32 v2, v2, v155
	s_delay_alu instid0(VALU_DEP_1) | instskip(NEXT) | instid1(VALU_DEP_1)
	v_add_f32_e32 v2, v2, v24
	v_add_f32_e32 v2, v2, v25
	s_delay_alu instid0(VALU_DEP_1) | instskip(NEXT) | instid1(VALU_DEP_1)
	v_add_f32_e32 v2, v2, v30
	v_add_f32_e32 v2, v2, v156
	v_fmac_f32_e32 v185, v6, v1
	s_delay_alu instid0(VALU_DEP_2) | instskip(NEXT) | instid1(VALU_DEP_1)
	v_add_f32_e32 v2, v2, v148
	v_dual_add_f32 v2, v2, v149 :: v_dual_mul_f32 v187, v7, v4
	s_delay_alu instid0(VALU_DEP_1) | instskip(NEXT) | instid1(VALU_DEP_1)
	v_add_f32_e32 v2, v2, v15
	v_dual_fmac_f32 v187, v8, v3 :: v_dual_add_f32 v2, v2, v18
	s_delay_alu instid0(VALU_DEP_1) | instskip(NEXT) | instid1(VALU_DEP_1)
	v_dual_mul_f32 v1, v8, v4 :: v_dual_add_f32 v2, v2, v19
	v_fma_f32 v188, v7, v3, -v1
	s_delay_alu instid0(VALU_DEP_2) | instskip(NEXT) | instid1(VALU_DEP_1)
	v_dual_add_f32 v1, 0, v22 :: v_dual_add_f32 v2, v2, v20
	v_dual_add_f32 v1, v1, v23 :: v_dual_add_f32 v2, v2, v157
	s_delay_alu instid0(VALU_DEP_1) | instskip(NEXT) | instid1(VALU_DEP_2)
	v_add_f32_e32 v1, v1, v26
	v_add_f32_e32 v5, v2, v158
	s_delay_alu instid0(VALU_DEP_2) | instskip(NEXT) | instid1(VALU_DEP_1)
	v_add_f32_e32 v1, v1, v27
	v_add_f32_e32 v1, v1, v28
	s_delay_alu instid0(VALU_DEP_1) | instskip(NEXT) | instid1(VALU_DEP_1)
	v_add_f32_e32 v1, v1, v29
	v_add_f32_e32 v1, v1, v13
	;; [unrolled: 1-line block ×3, first 2 shown]
	s_delay_alu instid0(VALU_DEP_2) | instskip(NEXT) | instid1(VALU_DEP_2)
	v_add_f32_e32 v1, v1, v14
	v_add_f32_e32 v13, v13, v163
	s_delay_alu instid0(VALU_DEP_1) | instskip(NEXT) | instid1(VALU_DEP_1)
	v_add_f32_e32 v13, v13, v165
	v_add_f32_e32 v18, v13, v167
	s_delay_alu instid0(VALU_DEP_1) | instskip(NEXT) | instid1(VALU_DEP_1)
	v_dual_add_f32 v1, v1, v16 :: v_dual_add_f32 v18, v18, v169
	v_dual_add_f32 v1, v1, v17 :: v_dual_add_f32 v18, v18, v171
	s_delay_alu instid0(VALU_DEP_1) | instskip(NEXT) | instid1(VALU_DEP_1)
	v_dual_add_f32 v1, v1, v150 :: v_dual_add_f32 v22, v18, v173
	v_add_f32_e32 v1, v1, v151
	s_delay_alu instid0(VALU_DEP_2) | instskip(NEXT) | instid1(VALU_DEP_1)
	v_add_f32_e32 v22, v22, v175
	v_dual_add_f32 v1, v1, v159 :: v_dual_add_f32 v22, v22, v177
	s_delay_alu instid0(VALU_DEP_1) | instskip(NEXT) | instid1(VALU_DEP_1)
	v_add_f32_e32 v1, v1, v160
	v_add_f32_e32 v6, v1, v162
	ds_load_b128 v[1:4], v21 offset:848
	v_add_f32_e32 v14, v6, v164
	scratch_load_b128 v[5:8], off, off offset:400
	v_add_f32_e32 v14, v14, v166
	s_delay_alu instid0(VALU_DEP_1)
	v_add_f32_e32 v17, v14, v168
	ds_load_b128 v[13:16], v21 offset:864
	v_add_f32_e32 v17, v17, v170
	s_wait_loadcnt_dscnt 0x101
	v_mul_f32_e32 v25, v1, v10
	v_mul_f32_e32 v10, v2, v10
	v_mul_f32_e32 v26, v3, v12
	v_mul_f32_e32 v12, v4, v12
	v_add_f32_e32 v17, v17, v172
	v_fmac_f32_e32 v25, v2, v9
	v_fma_f32 v27, v1, v9, -v10
	v_fmac_f32_e32 v26, v4, v11
	v_fma_f32 v28, v3, v11, -v12
	s_clause 0x1
	scratch_load_b128 v[1:4], off, off offset:416
	scratch_load_b128 v[9:12], off, off offset:432
	s_wait_loadcnt_dscnt 0x200
	v_mul_f32_e32 v29, v13, v6
	v_mul_f32_e32 v6, v14, v6
	v_mul_f32_e32 v30, v15, v8
	s_delay_alu instid0(VALU_DEP_3) | instskip(NEXT) | instid1(VALU_DEP_3)
	v_dual_mul_f32 v8, v16, v8 :: v_dual_fmac_f32 v29, v14, v5
	v_fma_f32 v148, v13, v5, -v6
	s_delay_alu instid0(VALU_DEP_3) | instskip(NEXT) | instid1(VALU_DEP_3)
	v_fmac_f32_e32 v30, v16, v7
	v_fma_f32 v149, v15, v7, -v8
	ds_load_b128 v[5:8], v21 offset:880
	v_add_f32_e32 v17, v17, v174
	v_add_f32_e32 v13, v22, v179
	s_delay_alu instid0(VALU_DEP_2) | instskip(SKIP_2) | instid1(VALU_DEP_1)
	v_add_f32_e32 v23, v17, v176
	scratch_load_b128 v[17:20], off, off offset:448
	v_add_f32_e32 v23, v23, v178
	v_add_f32_e32 v23, v23, v180
	s_delay_alu instid0(VALU_DEP_1)
	v_dual_add_f32 v22, v23, v182 :: v_dual_add_f32 v23, v13, v181
	ds_load_b128 v[13:16], v21 offset:896
	s_wait_loadcnt_dscnt 0x201
	v_mul_f32_e32 v154, v5, v2
	v_mul_f32_e32 v2, v6, v2
	v_add_f32_e32 v150, v22, v184
	s_delay_alu instid0(VALU_DEP_3) | instskip(NEXT) | instid1(VALU_DEP_3)
	v_fmac_f32_e32 v154, v6, v1
	v_fma_f32 v2, v5, v1, -v2
	s_delay_alu instid0(VALU_DEP_3) | instskip(NEXT) | instid1(VALU_DEP_1)
	v_add_f32_e32 v150, v150, v186
	v_add_f32_e32 v150, v150, v188
	s_delay_alu instid0(VALU_DEP_1)
	v_dual_add_f32 v27, v150, v27 :: v_dual_mul_f32 v150, v7, v4
	s_wait_loadcnt_dscnt 0x100
	v_dual_mul_f32 v155, v15, v12 :: v_dual_mul_f32 v6, v14, v10
	v_add_f32_e32 v151, v23, v183
	ds_load_b128 v[21:24], v21 offset:912
	v_mul_f32_e32 v4, v8, v4
	v_dual_fmac_f32 v150, v8, v3 :: v_dual_add_f32 v27, v27, v28
	v_fmac_f32_e32 v155, v16, v11
	s_delay_alu instid0(VALU_DEP_3) | instskip(SKIP_1) | instid1(VALU_DEP_1)
	v_fma_f32 v3, v7, v3, -v4
	v_dual_mul_f32 v4, v16, v12 :: v_dual_add_f32 v151, v151, v185
	v_fma_f32 v4, v15, v11, -v4
	s_delay_alu instid0(VALU_DEP_2) | instskip(NEXT) | instid1(VALU_DEP_1)
	v_add_f32_e32 v151, v151, v187
	v_add_f32_e32 v25, v151, v25
	v_mul_f32_e32 v151, v13, v10
	s_wait_loadcnt_dscnt 0x0
	s_delay_alu instid0(VALU_DEP_1) | instskip(NEXT) | instid1(VALU_DEP_1)
	v_dual_fmac_f32 v151, v14, v9 :: v_dual_mul_f32 v28, v23, v20
	v_dual_fmac_f32 v28, v24, v19 :: v_dual_add_f32 v25, v25, v26
	v_mul_f32_e32 v26, v21, v18
	s_delay_alu instid0(VALU_DEP_2) | instskip(NEXT) | instid1(VALU_DEP_2)
	v_add_f32_e32 v25, v25, v29
	v_dual_fmac_f32 v26, v22, v17 :: v_dual_add_f32 v27, v27, v148
	s_delay_alu instid0(VALU_DEP_2) | instskip(NEXT) | instid1(VALU_DEP_2)
	v_add_f32_e32 v5, v25, v30
	v_add_f32_e32 v1, v27, v149
	s_delay_alu instid0(VALU_DEP_1) | instskip(NEXT) | instid1(VALU_DEP_3)
	v_add_f32_e32 v1, v1, v2
	v_add_f32_e32 v2, v5, v154
	v_fma_f32 v5, v13, v9, -v6
	s_delay_alu instid0(VALU_DEP_2) | instskip(SKIP_1) | instid1(VALU_DEP_2)
	v_dual_add_f32 v1, v1, v3 :: v_dual_add_f32 v2, v2, v150
	v_mul_f32_e32 v3, v22, v18
	v_dual_add_f32 v1, v1, v5 :: v_dual_add_f32 v2, v2, v151
	v_mul_f32_e32 v5, v24, v20
	s_delay_alu instid0(VALU_DEP_3) | instskip(NEXT) | instid1(VALU_DEP_3)
	v_fma_f32 v3, v21, v17, -v3
	v_dual_add_f32 v1, v1, v4 :: v_dual_add_f32 v2, v2, v155
	s_delay_alu instid0(VALU_DEP_3) | instskip(NEXT) | instid1(VALU_DEP_2)
	v_fma_f32 v4, v23, v19, -v5
	v_dual_add_f32 v1, v1, v3 :: v_dual_add_f32 v2, v2, v26
	s_delay_alu instid0(VALU_DEP_1) | instskip(NEXT) | instid1(VALU_DEP_1)
	v_add_f32_e32 v1, v1, v4
	v_dual_add_f32 v2, v2, v28 :: v_dual_sub_f32 v1, v152, v1
	s_delay_alu instid0(VALU_DEP_1)
	v_sub_f32_e32 v2, v153, v2
	scratch_store_b64 off, v[1:2], off offset:152
	v_cmpx_lt_u32_e32 18, v0
	s_cbranch_execz .LBB57_325
; %bb.324:
	scratch_load_b64 v[1:2], off, off offset:144
	v_mov_b32_e32 v3, 0
	s_delay_alu instid0(VALU_DEP_1)
	v_mov_b32_e32 v4, v3
	scratch_store_b64 off, v[3:4], off offset:144
	s_wait_loadcnt 0x0
	ds_store_b64 v31, v[1:2]
.LBB57_325:
	s_wait_alu 0xfffe
	s_or_b32 exec_lo, exec_lo, s0
	s_wait_storecnt_dscnt 0x0
	s_barrier_signal -1
	s_barrier_wait -1
	global_inv scope:SCOPE_SE
	s_clause 0x4
	scratch_load_b128 v[5:8], off, off offset:152
	scratch_load_b128 v[1:4], off, off offset:168
	;; [unrolled: 1-line block ×5, first 2 shown]
	v_mov_b32_e32 v21, 0
	ds_load_2addr_b64 v[22:25], v21 offset0:77 offset1:78
	ds_load_2addr_b64 v[26:29], v21 offset0:79 offset1:80
	;; [unrolled: 1-line block ×3, first 2 shown]
	scratch_load_b64 v[152:153], off, off offset:144
	s_mov_b32 s0, exec_lo
	s_wait_loadcnt_dscnt 0x502
	v_mul_f32_e32 v30, v23, v6
	v_dual_mul_f32 v154, v22, v6 :: v_dual_mul_f32 v155, v24, v8
	v_mul_f32_e32 v6, v25, v8
	s_wait_loadcnt_dscnt 0x300
	v_mul_f32_e32 v156, v150, v12
	v_fma_f32 v22, v22, v5, -v30
	v_dual_fmac_f32 v154, v23, v5 :: v_dual_fmac_f32 v155, v25, v7
	v_fma_f32 v23, v24, v7, -v6
	v_dual_mul_f32 v24, v26, v2 :: v_dual_mul_f32 v25, v28, v4
	v_mul_f32_e32 v2, v27, v2
	v_mul_f32_e32 v4, v29, v4
	ds_load_2addr_b64 v[5:8], v21 offset0:83 offset1:84
	v_mul_f32_e32 v30, v148, v10
	v_dual_fmac_f32 v24, v27, v1 :: v_dual_fmac_f32 v25, v29, v3
	v_fma_f32 v26, v26, v1, -v2
	v_fma_f32 v27, v28, v3, -v4
	v_mul_f32_e32 v12, v151, v12
	scratch_load_b128 v[1:4], off, off offset:232
	v_mul_f32_e32 v10, v149, v10
	v_fmac_f32_e32 v30, v149, v9
	v_fmac_f32_e32 v156, v151, v11
	v_fma_f32 v29, v150, v11, -v12
	s_delay_alu instid0(VALU_DEP_4)
	v_fma_f32 v28, v148, v9, -v10
	ds_load_2addr_b64 v[9:12], v21 offset0:85 offset1:86
	s_wait_loadcnt_dscnt 0x301
	v_mul_f32_e32 v148, v5, v14
	v_dual_mul_f32 v14, v6, v14 :: v_dual_mul_f32 v149, v7, v16
	v_mul_f32_e32 v16, v8, v16
	s_delay_alu instid0(VALU_DEP_3) | instskip(NEXT) | instid1(VALU_DEP_3)
	v_fmac_f32_e32 v148, v6, v13
	v_fma_f32 v13, v5, v13, -v14
	s_delay_alu instid0(VALU_DEP_4) | instskip(NEXT) | instid1(VALU_DEP_4)
	v_fmac_f32_e32 v149, v8, v15
	v_fma_f32 v14, v7, v15, -v16
	ds_load_2addr_b64 v[5:8], v21 offset0:87 offset1:88
	s_wait_loadcnt_dscnt 0x201
	v_mul_f32_e32 v15, v9, v18
	v_mul_f32_e32 v16, v10, v18
	;; [unrolled: 1-line block ×3, first 2 shown]
	s_delay_alu instid0(VALU_DEP_3) | instskip(NEXT) | instid1(VALU_DEP_3)
	v_dual_mul_f32 v20, v12, v20 :: v_dual_fmac_f32 v15, v10, v17
	v_fma_f32 v16, v9, v17, -v16
	s_delay_alu instid0(VALU_DEP_3) | instskip(NEXT) | instid1(VALU_DEP_3)
	v_fmac_f32_e32 v18, v12, v19
	v_fma_f32 v17, v11, v19, -v20
	scratch_load_b128 v[9:12], off, off offset:248
	s_wait_loadcnt_dscnt 0x100
	v_mul_f32_e32 v19, v5, v2
	v_mul_f32_e32 v2, v6, v2
	;; [unrolled: 1-line block ×3, first 2 shown]
	s_delay_alu instid0(VALU_DEP_3) | instskip(NEXT) | instid1(VALU_DEP_3)
	v_dual_mul_f32 v4, v8, v4 :: v_dual_fmac_f32 v19, v6, v1
	v_fma_f32 v150, v5, v1, -v2
	s_delay_alu instid0(VALU_DEP_3) | instskip(NEXT) | instid1(VALU_DEP_3)
	v_fmac_f32_e32 v20, v8, v3
	v_fma_f32 v151, v7, v3, -v4
	ds_load_2addr_b64 v[1:4], v21 offset0:89 offset1:90
	ds_load_2addr_b64 v[5:8], v21 offset0:91 offset1:92
	s_wait_loadcnt_dscnt 0x1
	v_mul_f32_e32 v157, v1, v10
	v_mul_f32_e32 v10, v2, v10
	s_delay_alu instid0(VALU_DEP_2) | instskip(NEXT) | instid1(VALU_DEP_2)
	v_dual_mul_f32 v158, v3, v12 :: v_dual_fmac_f32 v157, v2, v9
	v_fma_f32 v159, v1, v9, -v10
	v_mul_f32_e32 v1, v4, v12
	s_delay_alu instid0(VALU_DEP_3) | instskip(NEXT) | instid1(VALU_DEP_2)
	v_fmac_f32_e32 v158, v4, v11
	v_fma_f32 v160, v3, v11, -v1
	s_clause 0x1
	scratch_load_b128 v[1:4], off, off offset:264
	scratch_load_b128 v[9:12], off, off offset:280
	s_wait_loadcnt_dscnt 0x100
	v_mul_f32_e32 v161, v5, v2
	v_dual_mul_f32 v2, v6, v2 :: v_dual_mul_f32 v163, v7, v4
	s_delay_alu instid0(VALU_DEP_2) | instskip(NEXT) | instid1(VALU_DEP_2)
	v_fmac_f32_e32 v161, v6, v1
	v_fma_f32 v162, v5, v1, -v2
	v_mul_f32_e32 v1, v8, v4
	s_delay_alu instid0(VALU_DEP_4) | instskip(NEXT) | instid1(VALU_DEP_2)
	v_fmac_f32_e32 v163, v8, v3
	v_fma_f32 v164, v7, v3, -v1
	ds_load_2addr_b64 v[1:4], v21 offset0:93 offset1:94
	ds_load_2addr_b64 v[5:8], v21 offset0:95 offset1:96
	s_wait_loadcnt_dscnt 0x1
	v_mul_f32_e32 v165, v1, v10
	v_mul_f32_e32 v167, v3, v12
	s_delay_alu instid0(VALU_DEP_2) | instskip(NEXT) | instid1(VALU_DEP_2)
	v_fmac_f32_e32 v165, v2, v9
	v_dual_mul_f32 v2, v2, v10 :: v_dual_fmac_f32 v167, v4, v11
	s_delay_alu instid0(VALU_DEP_1) | instskip(SKIP_1) | instid1(VALU_DEP_1)
	v_fma_f32 v166, v1, v9, -v2
	v_mul_f32_e32 v1, v4, v12
	v_fma_f32 v168, v3, v11, -v1
	s_clause 0x1
	scratch_load_b128 v[1:4], off, off offset:296
	scratch_load_b128 v[9:12], off, off offset:312
	s_wait_loadcnt_dscnt 0x100
	v_mul_f32_e32 v169, v5, v2
	v_dual_mul_f32 v2, v6, v2 :: v_dual_mul_f32 v171, v7, v4
	s_delay_alu instid0(VALU_DEP_2) | instskip(NEXT) | instid1(VALU_DEP_2)
	v_fmac_f32_e32 v169, v6, v1
	v_fma_f32 v170, v5, v1, -v2
	v_mul_f32_e32 v1, v8, v4
	s_delay_alu instid0(VALU_DEP_4) | instskip(NEXT) | instid1(VALU_DEP_2)
	v_fmac_f32_e32 v171, v8, v3
	v_fma_f32 v172, v7, v3, -v1
	ds_load_2addr_b64 v[1:4], v21 offset0:97 offset1:98
	ds_load_2addr_b64 v[5:8], v21 offset0:99 offset1:100
	s_wait_loadcnt_dscnt 0x1
	v_mul_f32_e32 v173, v1, v10
	v_mul_f32_e32 v175, v3, v12
	s_delay_alu instid0(VALU_DEP_2) | instskip(NEXT) | instid1(VALU_DEP_2)
	v_fmac_f32_e32 v173, v2, v9
	v_dual_mul_f32 v2, v2, v10 :: v_dual_fmac_f32 v175, v4, v11
	s_delay_alu instid0(VALU_DEP_1) | instskip(SKIP_1) | instid1(VALU_DEP_1)
	v_fma_f32 v174, v1, v9, -v2
	v_mul_f32_e32 v1, v4, v12
	;; [unrolled: 25-line block ×3, first 2 shown]
	v_fma_f32 v184, v3, v11, -v1
	s_clause 0x1
	scratch_load_b128 v[1:4], off, off offset:360
	scratch_load_b128 v[9:12], off, off offset:376
	s_wait_loadcnt_dscnt 0x100
	v_mul_f32_e32 v185, v5, v2
	v_mul_f32_e32 v2, v6, v2
	s_delay_alu instid0(VALU_DEP_1) | instskip(SKIP_1) | instid1(VALU_DEP_1)
	v_fma_f32 v186, v5, v1, -v2
	v_add_f32_e32 v2, 0, v154
	v_add_f32_e32 v2, v2, v155
	s_delay_alu instid0(VALU_DEP_1) | instskip(NEXT) | instid1(VALU_DEP_1)
	v_add_f32_e32 v2, v2, v24
	v_add_f32_e32 v2, v2, v25
	s_delay_alu instid0(VALU_DEP_1) | instskip(NEXT) | instid1(VALU_DEP_1)
	v_add_f32_e32 v2, v2, v30
	v_add_f32_e32 v2, v2, v156
	v_fmac_f32_e32 v185, v6, v1
	s_delay_alu instid0(VALU_DEP_2) | instskip(NEXT) | instid1(VALU_DEP_1)
	v_add_f32_e32 v2, v2, v148
	v_dual_add_f32 v2, v2, v149 :: v_dual_mul_f32 v187, v7, v4
	s_delay_alu instid0(VALU_DEP_1) | instskip(NEXT) | instid1(VALU_DEP_1)
	v_add_f32_e32 v2, v2, v15
	v_dual_fmac_f32 v187, v8, v3 :: v_dual_add_f32 v2, v2, v18
	s_delay_alu instid0(VALU_DEP_1) | instskip(NEXT) | instid1(VALU_DEP_1)
	v_dual_mul_f32 v1, v8, v4 :: v_dual_add_f32 v2, v2, v19
	v_fma_f32 v188, v7, v3, -v1
	s_delay_alu instid0(VALU_DEP_2) | instskip(NEXT) | instid1(VALU_DEP_1)
	v_dual_add_f32 v1, 0, v22 :: v_dual_add_f32 v2, v2, v20
	v_dual_add_f32 v1, v1, v23 :: v_dual_add_f32 v2, v2, v157
	s_delay_alu instid0(VALU_DEP_1) | instskip(NEXT) | instid1(VALU_DEP_2)
	v_add_f32_e32 v1, v1, v26
	v_add_f32_e32 v5, v2, v158
	s_delay_alu instid0(VALU_DEP_2) | instskip(SKIP_2) | instid1(VALU_DEP_1)
	v_add_f32_e32 v1, v1, v27
	scratch_load_b64 v[26:27], off, off offset:456
	v_add_f32_e32 v1, v1, v28
	v_add_f32_e32 v1, v1, v29
	s_delay_alu instid0(VALU_DEP_1) | instskip(SKIP_1) | instid1(VALU_DEP_2)
	v_add_f32_e32 v1, v1, v13
	v_add_f32_e32 v13, v5, v161
	;; [unrolled: 1-line block ×3, first 2 shown]
	s_delay_alu instid0(VALU_DEP_2) | instskip(NEXT) | instid1(VALU_DEP_1)
	v_add_f32_e32 v13, v13, v163
	v_add_f32_e32 v13, v13, v165
	s_delay_alu instid0(VALU_DEP_1) | instskip(NEXT) | instid1(VALU_DEP_1)
	v_add_f32_e32 v18, v13, v167
	v_dual_add_f32 v1, v1, v16 :: v_dual_add_f32 v18, v18, v169
	s_delay_alu instid0(VALU_DEP_1) | instskip(NEXT) | instid1(VALU_DEP_1)
	v_dual_add_f32 v1, v1, v17 :: v_dual_add_f32 v18, v18, v171
	v_dual_add_f32 v1, v1, v150 :: v_dual_add_f32 v22, v18, v173
	s_delay_alu instid0(VALU_DEP_1) | instskip(NEXT) | instid1(VALU_DEP_2)
	v_add_f32_e32 v1, v1, v151
	v_add_f32_e32 v22, v22, v175
	s_delay_alu instid0(VALU_DEP_2) | instskip(NEXT) | instid1(VALU_DEP_1)
	v_add_f32_e32 v1, v1, v159
	v_add_f32_e32 v1, v1, v160
	s_delay_alu instid0(VALU_DEP_1)
	v_add_f32_e32 v6, v1, v162
	scratch_load_b128 v[1:4], off, off offset:392
	v_add_f32_e32 v22, v22, v177
	v_add_f32_e32 v14, v6, v164
	ds_load_2addr_b64 v[5:8], v21 offset0:105 offset1:106
	v_add_f32_e32 v22, v22, v179
	v_add_f32_e32 v14, v14, v166
	s_delay_alu instid0(VALU_DEP_1)
	v_add_f32_e32 v17, v14, v168
	ds_load_2addr_b64 v[13:16], v21 offset0:107 offset1:108
	s_wait_loadcnt_dscnt 0x201
	v_mul_f32_e32 v30, v5, v10
	v_mul_f32_e32 v10, v6, v10
	;; [unrolled: 1-line block ×4, first 2 shown]
	s_delay_alu instid0(VALU_DEP_4) | instskip(NEXT) | instid1(VALU_DEP_4)
	v_fmac_f32_e32 v30, v6, v9
	v_fma_f32 v149, v5, v9, -v10
	s_delay_alu instid0(VALU_DEP_4) | instskip(NEXT) | instid1(VALU_DEP_4)
	v_fmac_f32_e32 v148, v8, v11
	v_fma_f32 v150, v7, v11, -v12
	s_clause 0x1
	scratch_load_b128 v[5:8], off, off offset:408
	scratch_load_b128 v[9:12], off, off offset:424
	s_wait_loadcnt_dscnt 0x200
	v_dual_mul_f32 v154, v15, v4 :: v_dual_mul_f32 v151, v13, v2
	v_mul_f32_e32 v2, v14, v2
	v_mul_f32_e32 v4, v16, v4
	s_delay_alu instid0(VALU_DEP_3) | instskip(NEXT) | instid1(VALU_DEP_3)
	v_dual_fmac_f32 v154, v16, v3 :: v_dual_add_f32 v17, v17, v170
	v_fma_f32 v155, v13, v1, -v2
	v_add_f32_e32 v13, v22, v181
	v_fmac_f32_e32 v151, v14, v1
	v_fma_f32 v156, v15, v3, -v4
	v_add_f32_e32 v17, v17, v172
	ds_load_2addr_b64 v[1:4], v21 offset0:109 offset1:110
	v_add_f32_e32 v22, v13, v183
	v_add_f32_e32 v17, v17, v174
	s_delay_alu instid0(VALU_DEP_2) | instskip(NEXT) | instid1(VALU_DEP_1)
	v_add_f32_e32 v29, v22, v185
	v_add_f32_e32 v158, v29, v187
	s_delay_alu instid0(VALU_DEP_3) | instskip(SKIP_2) | instid1(VALU_DEP_1)
	v_add_f32_e32 v23, v17, v176
	scratch_load_b128 v[17:20], off, off offset:440
	v_add_f32_e32 v30, v158, v30
	v_dual_add_f32 v23, v23, v178 :: v_dual_add_f32 v30, v30, v148
	s_delay_alu instid0(VALU_DEP_1) | instskip(NEXT) | instid1(VALU_DEP_1)
	v_dual_add_f32 v23, v23, v180 :: v_dual_add_f32 v30, v30, v151
	v_add_f32_e32 v23, v23, v182
	s_delay_alu instid0(VALU_DEP_2) | instskip(NEXT) | instid1(VALU_DEP_2)
	v_add_f32_e32 v30, v30, v154
	v_add_f32_e32 v14, v23, v184
	ds_load_2addr_b64 v[22:25], v21 offset0:113 offset1:114
	v_add_f32_e32 v28, v14, v186
	ds_load_2addr_b64 v[13:16], v21 offset0:111 offset1:112
	s_wait_loadcnt_dscnt 0x202
	v_mul_f32_e32 v148, v3, v8
	v_mul_f32_e32 v8, v4, v8
	v_add_f32_e32 v157, v28, v188
	ds_load_b64 v[28:29], v21 offset:920
	v_dual_fmac_f32 v148, v4, v7 :: v_dual_add_f32 v149, v157, v149
	v_mul_f32_e32 v157, v1, v6
	v_mul_f32_e32 v6, v2, v6
	s_delay_alu instid0(VALU_DEP_3) | instskip(NEXT) | instid1(VALU_DEP_2)
	v_add_f32_e32 v149, v149, v150
	v_fma_f32 v1, v1, v5, -v6
	s_delay_alu instid0(VALU_DEP_2) | instskip(SKIP_2) | instid1(VALU_DEP_1)
	v_add_f32_e32 v149, v149, v155
	s_wait_loadcnt_dscnt 0x101
	v_mul_f32_e32 v150, v13, v10
	v_dual_add_f32 v149, v149, v156 :: v_dual_fmac_f32 v150, v14, v9
	s_wait_dscnt 0x0
	v_dual_mul_f32 v154, v28, v27 :: v_dual_fmac_f32 v157, v2, v5
	v_mul_f32_e32 v151, v15, v12
	v_fma_f32 v2, v3, v7, -v8
	v_add_f32_e32 v1, v149, v1
	s_delay_alu instid0(VALU_DEP_4) | instskip(NEXT) | instid1(VALU_DEP_4)
	v_fmac_f32_e32 v154, v29, v26
	v_dual_add_f32 v4, v30, v157 :: v_dual_fmac_f32 v151, v16, v11
	s_delay_alu instid0(VALU_DEP_1) | instskip(NEXT) | instid1(VALU_DEP_1)
	v_dual_add_f32 v1, v1, v2 :: v_dual_add_f32 v2, v4, v148
	v_dual_add_f32 v2, v2, v150 :: v_dual_mul_f32 v5, v16, v12
	s_delay_alu instid0(VALU_DEP_1) | instskip(NEXT) | instid1(VALU_DEP_2)
	v_add_f32_e32 v2, v2, v151
	v_fma_f32 v5, v15, v11, -v5
	s_wait_loadcnt 0x0
	v_dual_mul_f32 v155, v22, v18 :: v_dual_mul_f32 v156, v24, v20
	v_mul_f32_e32 v3, v14, v10
	v_mul_f32_e32 v4, v23, v18
	s_delay_alu instid0(VALU_DEP_3) | instskip(NEXT) | instid1(VALU_DEP_3)
	v_dual_fmac_f32 v155, v23, v17 :: v_dual_fmac_f32 v156, v25, v19
	v_fma_f32 v3, v13, v9, -v3
	s_delay_alu instid0(VALU_DEP_3) | instskip(NEXT) | instid1(VALU_DEP_3)
	v_fma_f32 v4, v22, v17, -v4
	v_add_f32_e32 v2, v2, v155
	s_delay_alu instid0(VALU_DEP_1) | instskip(SKIP_1) | instid1(VALU_DEP_2)
	v_dual_add_f32 v1, v1, v3 :: v_dual_add_f32 v2, v2, v156
	v_mul_f32_e32 v3, v25, v20
	v_add_f32_e32 v1, v1, v5
	s_delay_alu instid0(VALU_DEP_3) | instskip(NEXT) | instid1(VALU_DEP_3)
	v_dual_mul_f32 v5, v29, v27 :: v_dual_add_f32 v2, v2, v154
	v_fma_f32 v3, v24, v19, -v3
	s_delay_alu instid0(VALU_DEP_3) | instskip(NEXT) | instid1(VALU_DEP_3)
	v_add_f32_e32 v1, v1, v4
	v_fma_f32 v4, v28, v26, -v5
	s_delay_alu instid0(VALU_DEP_4) | instskip(NEXT) | instid1(VALU_DEP_3)
	v_sub_f32_e32 v2, v153, v2
	v_add_f32_e32 v1, v1, v3
	s_delay_alu instid0(VALU_DEP_1) | instskip(NEXT) | instid1(VALU_DEP_1)
	v_add_f32_e32 v1, v1, v4
	v_sub_f32_e32 v1, v152, v1
	scratch_store_b64 off, v[1:2], off offset:144
	v_cmpx_lt_u32_e32 17, v0
	s_cbranch_execz .LBB57_327
; %bb.326:
	scratch_load_b64 v[1:2], off, off offset:136
	v_mov_b32_e32 v22, v21
	scratch_store_b64 off, v[21:22], off offset:136
	s_wait_loadcnt 0x0
	ds_store_b64 v31, v[1:2]
.LBB57_327:
	s_wait_alu 0xfffe
	s_or_b32 exec_lo, exec_lo, s0
	s_wait_storecnt_dscnt 0x0
	s_barrier_signal -1
	s_barrier_wait -1
	global_inv scope:SCOPE_SE
	s_clause 0x4
	scratch_load_b128 v[5:8], off, off offset:144
	scratch_load_b128 v[1:4], off, off offset:160
	;; [unrolled: 1-line block ×5, first 2 shown]
	ds_load_b128 v[22:25], v21 offset:608
	ds_load_b128 v[26:29], v21 offset:624
	;; [unrolled: 1-line block ×3, first 2 shown]
	scratch_load_b64 v[152:153], off, off offset:136
	s_mov_b32 s0, exec_lo
	s_wait_loadcnt_dscnt 0x502
	v_dual_mul_f32 v30, v23, v6 :: v_dual_mul_f32 v155, v24, v8
	v_mul_f32_e32 v154, v22, v6
	v_mul_f32_e32 v6, v25, v8
	s_wait_loadcnt_dscnt 0x300
	v_mul_f32_e32 v156, v150, v12
	v_fma_f32 v22, v22, v5, -v30
	v_dual_fmac_f32 v155, v25, v7 :: v_dual_fmac_f32 v154, v23, v5
	v_mul_f32_e32 v25, v28, v4
	v_fma_f32 v23, v24, v7, -v6
	ds_load_b128 v[5:8], v21 offset:656
	v_mul_f32_e32 v24, v26, v2
	v_mul_f32_e32 v4, v29, v4
	;; [unrolled: 1-line block ×5, first 2 shown]
	v_dual_mul_f32 v2, v27, v2 :: v_dual_fmac_f32 v25, v29, v3
	v_fmac_f32_e32 v24, v27, v1
	v_fma_f32 v27, v28, v3, -v4
	v_fmac_f32_e32 v30, v149, v9
	v_fma_f32 v28, v148, v9, -v10
	;; [unrolled: 2-line block ×3, first 2 shown]
	ds_load_b128 v[9:12], v21 offset:672
	s_wait_loadcnt_dscnt 0x201
	v_mul_f32_e32 v148, v5, v14
	v_dual_mul_f32 v14, v6, v14 :: v_dual_mul_f32 v149, v7, v16
	v_mul_f32_e32 v16, v8, v16
	s_delay_alu instid0(VALU_DEP_3) | instskip(NEXT) | instid1(VALU_DEP_3)
	v_fmac_f32_e32 v148, v6, v13
	v_fma_f32 v13, v5, v13, -v14
	s_delay_alu instid0(VALU_DEP_4) | instskip(NEXT) | instid1(VALU_DEP_4)
	v_fmac_f32_e32 v149, v8, v15
	v_fma_f32 v14, v7, v15, -v16
	ds_load_b128 v[5:8], v21 offset:688
	s_wait_loadcnt_dscnt 0x101
	v_mul_f32_e32 v15, v9, v18
	v_mul_f32_e32 v16, v10, v18
	;; [unrolled: 1-line block ×3, first 2 shown]
	s_delay_alu instid0(VALU_DEP_3)
	v_dual_mul_f32 v20, v12, v20 :: v_dual_fmac_f32 v15, v10, v17
	v_fma_f32 v26, v26, v1, -v2
	scratch_load_b128 v[1:4], off, off offset:224
	v_fma_f32 v16, v9, v17, -v16
	v_fmac_f32_e32 v18, v12, v19
	v_fma_f32 v17, v11, v19, -v20
	scratch_load_b128 v[9:12], off, off offset:240
	s_wait_loadcnt_dscnt 0x100
	v_mul_f32_e32 v19, v5, v2
	v_mul_f32_e32 v2, v6, v2
	v_mul_f32_e32 v20, v7, v4
	s_delay_alu instid0(VALU_DEP_3) | instskip(NEXT) | instid1(VALU_DEP_3)
	v_dual_mul_f32 v4, v8, v4 :: v_dual_fmac_f32 v19, v6, v1
	v_fma_f32 v150, v5, v1, -v2
	s_delay_alu instid0(VALU_DEP_3) | instskip(NEXT) | instid1(VALU_DEP_3)
	v_fmac_f32_e32 v20, v8, v3
	v_fma_f32 v151, v7, v3, -v4
	ds_load_b128 v[1:4], v21 offset:704
	ds_load_b128 v[5:8], v21 offset:720
	s_wait_loadcnt_dscnt 0x1
	v_mul_f32_e32 v157, v1, v10
	v_mul_f32_e32 v10, v2, v10
	s_delay_alu instid0(VALU_DEP_2) | instskip(NEXT) | instid1(VALU_DEP_2)
	v_dual_mul_f32 v158, v3, v12 :: v_dual_fmac_f32 v157, v2, v9
	v_fma_f32 v159, v1, v9, -v10
	v_mul_f32_e32 v1, v4, v12
	s_delay_alu instid0(VALU_DEP_3) | instskip(NEXT) | instid1(VALU_DEP_2)
	v_fmac_f32_e32 v158, v4, v11
	v_fma_f32 v160, v3, v11, -v1
	s_clause 0x1
	scratch_load_b128 v[1:4], off, off offset:256
	scratch_load_b128 v[9:12], off, off offset:272
	s_wait_loadcnt_dscnt 0x100
	v_mul_f32_e32 v161, v5, v2
	v_dual_mul_f32 v2, v6, v2 :: v_dual_mul_f32 v163, v7, v4
	s_delay_alu instid0(VALU_DEP_2) | instskip(NEXT) | instid1(VALU_DEP_2)
	v_fmac_f32_e32 v161, v6, v1
	v_fma_f32 v162, v5, v1, -v2
	v_mul_f32_e32 v1, v8, v4
	s_delay_alu instid0(VALU_DEP_4) | instskip(NEXT) | instid1(VALU_DEP_2)
	v_fmac_f32_e32 v163, v8, v3
	v_fma_f32 v164, v7, v3, -v1
	ds_load_b128 v[1:4], v21 offset:736
	ds_load_b128 v[5:8], v21 offset:752
	s_wait_loadcnt_dscnt 0x1
	v_mul_f32_e32 v165, v1, v10
	v_mul_f32_e32 v167, v3, v12
	s_delay_alu instid0(VALU_DEP_2) | instskip(NEXT) | instid1(VALU_DEP_2)
	v_fmac_f32_e32 v165, v2, v9
	v_dual_mul_f32 v2, v2, v10 :: v_dual_fmac_f32 v167, v4, v11
	s_delay_alu instid0(VALU_DEP_1) | instskip(SKIP_1) | instid1(VALU_DEP_1)
	v_fma_f32 v166, v1, v9, -v2
	v_mul_f32_e32 v1, v4, v12
	v_fma_f32 v168, v3, v11, -v1
	s_clause 0x1
	scratch_load_b128 v[1:4], off, off offset:288
	scratch_load_b128 v[9:12], off, off offset:304
	s_wait_loadcnt_dscnt 0x100
	v_mul_f32_e32 v169, v5, v2
	v_dual_mul_f32 v2, v6, v2 :: v_dual_mul_f32 v171, v7, v4
	s_delay_alu instid0(VALU_DEP_2) | instskip(NEXT) | instid1(VALU_DEP_2)
	v_fmac_f32_e32 v169, v6, v1
	v_fma_f32 v170, v5, v1, -v2
	v_mul_f32_e32 v1, v8, v4
	s_delay_alu instid0(VALU_DEP_4) | instskip(NEXT) | instid1(VALU_DEP_2)
	v_fmac_f32_e32 v171, v8, v3
	v_fma_f32 v172, v7, v3, -v1
	ds_load_b128 v[1:4], v21 offset:768
	ds_load_b128 v[5:8], v21 offset:784
	s_wait_loadcnt_dscnt 0x1
	v_mul_f32_e32 v173, v1, v10
	v_mul_f32_e32 v175, v3, v12
	s_delay_alu instid0(VALU_DEP_2) | instskip(NEXT) | instid1(VALU_DEP_2)
	v_fmac_f32_e32 v173, v2, v9
	v_dual_mul_f32 v2, v2, v10 :: v_dual_fmac_f32 v175, v4, v11
	s_delay_alu instid0(VALU_DEP_1) | instskip(SKIP_1) | instid1(VALU_DEP_1)
	v_fma_f32 v174, v1, v9, -v2
	v_mul_f32_e32 v1, v4, v12
	;; [unrolled: 25-line block ×4, first 2 shown]
	v_fma_f32 v192, v3, v11, -v1
	s_clause 0x1
	scratch_load_b128 v[1:4], off, off offset:384
	scratch_load_b128 v[9:12], off, off offset:400
	s_wait_loadcnt_dscnt 0x100
	v_mul_f32_e32 v193, v5, v2
	v_mul_f32_e32 v2, v6, v2
	s_delay_alu instid0(VALU_DEP_1) | instskip(SKIP_1) | instid1(VALU_DEP_1)
	v_fma_f32 v194, v5, v1, -v2
	v_add_f32_e32 v2, 0, v154
	v_add_f32_e32 v2, v2, v155
	s_delay_alu instid0(VALU_DEP_1) | instskip(NEXT) | instid1(VALU_DEP_1)
	v_add_f32_e32 v2, v2, v24
	v_add_f32_e32 v2, v2, v25
	s_delay_alu instid0(VALU_DEP_1) | instskip(NEXT) | instid1(VALU_DEP_1)
	;; [unrolled: 3-line block ×5, first 2 shown]
	v_add_f32_e32 v2, v2, v19
	v_add_f32_e32 v2, v2, v20
	s_delay_alu instid0(VALU_DEP_1) | instskip(SKIP_1) | instid1(VALU_DEP_2)
	v_dual_add_f32 v2, v2, v157 :: v_dual_mul_f32 v195, v7, v4
	v_fmac_f32_e32 v193, v6, v1
	v_dual_add_f32 v2, v2, v158 :: v_dual_fmac_f32 v195, v8, v3
	s_delay_alu instid0(VALU_DEP_1) | instskip(NEXT) | instid1(VALU_DEP_1)
	v_dual_add_f32 v2, v2, v161 :: v_dual_mul_f32 v1, v8, v4
	v_add_f32_e32 v2, v2, v163
	s_delay_alu instid0(VALU_DEP_2) | instskip(SKIP_1) | instid1(VALU_DEP_1)
	v_fma_f32 v196, v7, v3, -v1
	v_add_f32_e32 v1, 0, v22
	v_add_f32_e32 v1, v1, v23
	s_delay_alu instid0(VALU_DEP_1) | instskip(NEXT) | instid1(VALU_DEP_1)
	v_add_f32_e32 v1, v1, v26
	v_add_f32_e32 v1, v1, v27
	s_delay_alu instid0(VALU_DEP_1) | instskip(NEXT) | instid1(VALU_DEP_1)
	v_add_f32_e32 v1, v1, v28
	v_add_f32_e32 v1, v1, v29
	s_delay_alu instid0(VALU_DEP_1) | instskip(NEXT) | instid1(VALU_DEP_1)
	v_add_f32_e32 v1, v1, v13
	v_add_f32_e32 v1, v1, v14
	s_delay_alu instid0(VALU_DEP_1) | instskip(NEXT) | instid1(VALU_DEP_1)
	v_add_f32_e32 v1, v1, v16
	v_add_f32_e32 v1, v1, v17
	s_delay_alu instid0(VALU_DEP_1) | instskip(NEXT) | instid1(VALU_DEP_1)
	v_add_f32_e32 v1, v1, v150
	v_add_f32_e32 v1, v1, v151
	s_delay_alu instid0(VALU_DEP_1) | instskip(NEXT) | instid1(VALU_DEP_1)
	v_add_f32_e32 v1, v1, v159
	v_add_f32_e32 v1, v1, v160
	s_delay_alu instid0(VALU_DEP_1) | instskip(NEXT) | instid1(VALU_DEP_1)
	v_add_f32_e32 v1, v1, v162
	v_add_f32_e32 v1, v1, v164
	s_delay_alu instid0(VALU_DEP_1) | instskip(NEXT) | instid1(VALU_DEP_1)
	v_add_f32_e32 v1, v1, v166
	v_add_f32_e32 v6, v1, v168
	s_delay_alu instid0(VALU_DEP_1) | instskip(NEXT) | instid1(VALU_DEP_1)
	v_add_f32_e32 v6, v6, v170
	v_add_f32_e32 v13, v6, v172
	s_delay_alu instid0(VALU_DEP_1) | instskip(NEXT) | instid1(VALU_DEP_1)
	v_add_f32_e32 v13, v13, v174
	v_add_f32_e32 v13, v13, v176
	s_delay_alu instid0(VALU_DEP_1) | instskip(SKIP_3) | instid1(VALU_DEP_1)
	v_add_f32_e32 v13, v13, v178
	v_add_f32_e32 v5, v2, v165
	ds_load_b128 v[1:4], v21 offset:864
	v_add_f32_e32 v18, v13, v180
	v_dual_add_f32 v5, v5, v167 :: v_dual_add_f32 v18, v18, v182
	s_delay_alu instid0(VALU_DEP_1) | instskip(NEXT) | instid1(VALU_DEP_1)
	v_dual_add_f32 v5, v5, v169 :: v_dual_add_f32 v18, v18, v184
	v_add_f32_e32 v14, v5, v171
	ds_load_b128 v[5:8], v21 offset:880
	v_add_f32_e32 v22, v18, v186
	s_wait_loadcnt_dscnt 0x1
	v_dual_add_f32 v14, v14, v173 :: v_dual_mul_f32 v25, v1, v10
	v_mul_f32_e32 v26, v3, v12
	v_mul_f32_e32 v10, v2, v10
	;; [unrolled: 1-line block ×3, first 2 shown]
	s_delay_alu instid0(VALU_DEP_4) | instskip(NEXT) | instid1(VALU_DEP_4)
	v_add_f32_e32 v14, v14, v175
	v_dual_add_f32 v29, v22, v188 :: v_dual_fmac_f32 v26, v4, v11
	s_delay_alu instid0(VALU_DEP_4) | instskip(NEXT) | instid1(VALU_DEP_4)
	v_fma_f32 v27, v1, v9, -v10
	v_fma_f32 v28, v3, v11, -v12
	s_delay_alu instid0(VALU_DEP_4) | instskip(SKIP_3) | instid1(VALU_DEP_2)
	v_add_f32_e32 v17, v14, v177
	scratch_load_b128 v[13:16], off, off offset:448
	v_add_f32_e32 v29, v29, v190
	v_add_f32_e32 v17, v17, v179
	;; [unrolled: 1-line block ×3, first 2 shown]
	s_delay_alu instid0(VALU_DEP_2) | instskip(NEXT) | instid1(VALU_DEP_2)
	v_add_f32_e32 v17, v17, v181
	v_add_f32_e32 v29, v29, v194
	s_delay_alu instid0(VALU_DEP_2) | instskip(NEXT) | instid1(VALU_DEP_2)
	v_add_f32_e32 v17, v17, v183
	v_add_f32_e32 v29, v29, v196
	s_delay_alu instid0(VALU_DEP_2)
	v_add_f32_e32 v23, v17, v185
	ds_load_b128 v[17:20], v21 offset:896
	v_fmac_f32_e32 v25, v2, v9
	s_clause 0x1
	scratch_load_b128 v[1:4], off, off offset:416
	scratch_load_b128 v[9:12], off, off offset:432
	v_add_f32_e32 v30, v23, v187
	ds_load_b128 v[21:24], v21 offset:912
	v_dual_add_f32 v27, v29, v27 :: v_dual_add_f32 v30, v30, v189
	s_delay_alu instid0(VALU_DEP_1) | instskip(NEXT) | instid1(VALU_DEP_1)
	v_add_f32_e32 v30, v30, v191
	v_add_f32_e32 v30, v30, v193
	s_delay_alu instid0(VALU_DEP_1) | instskip(SKIP_2) | instid1(VALU_DEP_1)
	v_add_f32_e32 v30, v30, v195
	s_wait_loadcnt_dscnt 0x200
	v_dual_mul_f32 v154, v21, v14 :: v_dual_mul_f32 v29, v23, v16
	v_dual_fmac_f32 v154, v22, v13 :: v_dual_fmac_f32 v29, v24, v15
	s_wait_loadcnt 0x1
	v_mul_f32_e32 v148, v5, v2
	s_wait_loadcnt 0x0
	v_mul_f32_e32 v150, v17, v10
	v_dual_mul_f32 v2, v6, v2 :: v_dual_mul_f32 v149, v7, v4
	v_mul_f32_e32 v4, v8, v4
	v_fmac_f32_e32 v148, v6, v1
	v_add_f32_e32 v25, v30, v25
	s_delay_alu instid0(VALU_DEP_4) | instskip(SKIP_2) | instid1(VALU_DEP_4)
	v_fma_f32 v2, v5, v1, -v2
	v_dual_add_f32 v1, v27, v28 :: v_dual_mul_f32 v6, v18, v10
	v_fmac_f32_e32 v149, v8, v3
	v_add_f32_e32 v5, v25, v26
	v_fma_f32 v3, v7, v3, -v4
	s_delay_alu instid0(VALU_DEP_4)
	v_add_f32_e32 v1, v1, v2
	v_mul_f32_e32 v151, v19, v12
	v_mul_f32_e32 v4, v20, v12
	v_add_f32_e32 v2, v5, v148
	v_fmac_f32_e32 v150, v18, v9
	v_fma_f32 v5, v17, v9, -v6
	v_add_f32_e32 v1, v1, v3
	v_mul_f32_e32 v3, v22, v14
	v_dual_add_f32 v2, v2, v149 :: v_dual_fmac_f32 v151, v20, v11
	v_fma_f32 v4, v19, v11, -v4
	s_delay_alu instid0(VALU_DEP_4) | instskip(NEXT) | instid1(VALU_DEP_3)
	v_add_f32_e32 v1, v1, v5
	v_dual_mul_f32 v5, v24, v16 :: v_dual_add_f32 v2, v2, v150
	v_fma_f32 v3, v21, v13, -v3
	s_delay_alu instid0(VALU_DEP_3) | instskip(NEXT) | instid1(VALU_DEP_3)
	v_add_f32_e32 v1, v1, v4
	v_fma_f32 v4, v23, v15, -v5
	s_delay_alu instid0(VALU_DEP_4) | instskip(NEXT) | instid1(VALU_DEP_1)
	v_add_f32_e32 v2, v2, v151
	v_dual_add_f32 v1, v1, v3 :: v_dual_add_f32 v2, v2, v154
	s_delay_alu instid0(VALU_DEP_1) | instskip(NEXT) | instid1(VALU_DEP_1)
	v_dual_add_f32 v1, v1, v4 :: v_dual_add_f32 v2, v2, v29
	v_dual_sub_f32 v1, v152, v1 :: v_dual_sub_f32 v2, v153, v2
	scratch_store_b64 off, v[1:2], off offset:136
	v_cmpx_lt_u32_e32 16, v0
	s_cbranch_execz .LBB57_329
; %bb.328:
	scratch_load_b64 v[1:2], off, off offset:128
	v_mov_b32_e32 v3, 0
	s_delay_alu instid0(VALU_DEP_1)
	v_mov_b32_e32 v4, v3
	scratch_store_b64 off, v[3:4], off offset:128
	s_wait_loadcnt 0x0
	ds_store_b64 v31, v[1:2]
.LBB57_329:
	s_wait_alu 0xfffe
	s_or_b32 exec_lo, exec_lo, s0
	s_wait_storecnt_dscnt 0x0
	s_barrier_signal -1
	s_barrier_wait -1
	global_inv scope:SCOPE_SE
	s_clause 0x4
	scratch_load_b128 v[5:8], off, off offset:136
	scratch_load_b128 v[1:4], off, off offset:152
	;; [unrolled: 1-line block ×5, first 2 shown]
	v_mov_b32_e32 v21, 0
	ds_load_2addr_b64 v[22:25], v21 offset0:75 offset1:76
	ds_load_2addr_b64 v[26:29], v21 offset0:77 offset1:78
	;; [unrolled: 1-line block ×3, first 2 shown]
	scratch_load_b64 v[152:153], off, off offset:128
	s_mov_b32 s0, exec_lo
	s_wait_loadcnt_dscnt 0x502
	v_mul_f32_e32 v30, v23, v6
	v_dual_mul_f32 v154, v22, v6 :: v_dual_mul_f32 v155, v24, v8
	v_mul_f32_e32 v6, v25, v8
	s_wait_loadcnt_dscnt 0x300
	v_mul_f32_e32 v156, v150, v12
	v_fma_f32 v22, v22, v5, -v30
	v_dual_fmac_f32 v154, v23, v5 :: v_dual_fmac_f32 v155, v25, v7
	v_fma_f32 v23, v24, v7, -v6
	v_dual_mul_f32 v24, v26, v2 :: v_dual_mul_f32 v25, v28, v4
	v_mul_f32_e32 v2, v27, v2
	v_mul_f32_e32 v4, v29, v4
	ds_load_2addr_b64 v[5:8], v21 offset0:81 offset1:82
	v_mul_f32_e32 v30, v148, v10
	v_dual_fmac_f32 v24, v27, v1 :: v_dual_fmac_f32 v25, v29, v3
	v_fma_f32 v26, v26, v1, -v2
	v_fma_f32 v27, v28, v3, -v4
	v_mul_f32_e32 v12, v151, v12
	scratch_load_b128 v[1:4], off, off offset:216
	v_mul_f32_e32 v10, v149, v10
	v_fmac_f32_e32 v30, v149, v9
	v_fmac_f32_e32 v156, v151, v11
	v_fma_f32 v29, v150, v11, -v12
	s_delay_alu instid0(VALU_DEP_4)
	v_fma_f32 v28, v148, v9, -v10
	ds_load_2addr_b64 v[9:12], v21 offset0:83 offset1:84
	s_wait_loadcnt_dscnt 0x301
	v_mul_f32_e32 v148, v5, v14
	v_dual_mul_f32 v14, v6, v14 :: v_dual_mul_f32 v149, v7, v16
	v_mul_f32_e32 v16, v8, v16
	s_delay_alu instid0(VALU_DEP_3) | instskip(NEXT) | instid1(VALU_DEP_3)
	v_fmac_f32_e32 v148, v6, v13
	v_fma_f32 v13, v5, v13, -v14
	s_delay_alu instid0(VALU_DEP_4) | instskip(NEXT) | instid1(VALU_DEP_4)
	v_fmac_f32_e32 v149, v8, v15
	v_fma_f32 v14, v7, v15, -v16
	ds_load_2addr_b64 v[5:8], v21 offset0:85 offset1:86
	s_wait_loadcnt_dscnt 0x201
	v_mul_f32_e32 v15, v9, v18
	v_mul_f32_e32 v16, v10, v18
	;; [unrolled: 1-line block ×3, first 2 shown]
	s_delay_alu instid0(VALU_DEP_3) | instskip(NEXT) | instid1(VALU_DEP_3)
	v_dual_mul_f32 v20, v12, v20 :: v_dual_fmac_f32 v15, v10, v17
	v_fma_f32 v16, v9, v17, -v16
	s_delay_alu instid0(VALU_DEP_3) | instskip(NEXT) | instid1(VALU_DEP_3)
	v_fmac_f32_e32 v18, v12, v19
	v_fma_f32 v17, v11, v19, -v20
	scratch_load_b128 v[9:12], off, off offset:232
	s_wait_loadcnt_dscnt 0x100
	v_mul_f32_e32 v19, v5, v2
	v_mul_f32_e32 v2, v6, v2
	;; [unrolled: 1-line block ×3, first 2 shown]
	s_delay_alu instid0(VALU_DEP_3) | instskip(NEXT) | instid1(VALU_DEP_3)
	v_dual_mul_f32 v4, v8, v4 :: v_dual_fmac_f32 v19, v6, v1
	v_fma_f32 v150, v5, v1, -v2
	s_delay_alu instid0(VALU_DEP_3) | instskip(NEXT) | instid1(VALU_DEP_3)
	v_fmac_f32_e32 v20, v8, v3
	v_fma_f32 v151, v7, v3, -v4
	ds_load_2addr_b64 v[1:4], v21 offset0:87 offset1:88
	ds_load_2addr_b64 v[5:8], v21 offset0:89 offset1:90
	s_wait_loadcnt_dscnt 0x1
	v_mul_f32_e32 v157, v1, v10
	v_mul_f32_e32 v10, v2, v10
	s_delay_alu instid0(VALU_DEP_2) | instskip(NEXT) | instid1(VALU_DEP_2)
	v_dual_mul_f32 v158, v3, v12 :: v_dual_fmac_f32 v157, v2, v9
	v_fma_f32 v159, v1, v9, -v10
	v_mul_f32_e32 v1, v4, v12
	s_delay_alu instid0(VALU_DEP_3) | instskip(NEXT) | instid1(VALU_DEP_2)
	v_fmac_f32_e32 v158, v4, v11
	v_fma_f32 v160, v3, v11, -v1
	s_clause 0x1
	scratch_load_b128 v[1:4], off, off offset:248
	scratch_load_b128 v[9:12], off, off offset:264
	s_wait_loadcnt_dscnt 0x100
	v_mul_f32_e32 v161, v5, v2
	v_dual_mul_f32 v2, v6, v2 :: v_dual_mul_f32 v163, v7, v4
	s_delay_alu instid0(VALU_DEP_2) | instskip(NEXT) | instid1(VALU_DEP_2)
	v_fmac_f32_e32 v161, v6, v1
	v_fma_f32 v162, v5, v1, -v2
	v_mul_f32_e32 v1, v8, v4
	s_delay_alu instid0(VALU_DEP_4) | instskip(NEXT) | instid1(VALU_DEP_2)
	v_fmac_f32_e32 v163, v8, v3
	v_fma_f32 v164, v7, v3, -v1
	ds_load_2addr_b64 v[1:4], v21 offset0:91 offset1:92
	ds_load_2addr_b64 v[5:8], v21 offset0:93 offset1:94
	s_wait_loadcnt_dscnt 0x1
	v_mul_f32_e32 v165, v1, v10
	v_mul_f32_e32 v167, v3, v12
	s_delay_alu instid0(VALU_DEP_2) | instskip(NEXT) | instid1(VALU_DEP_2)
	v_fmac_f32_e32 v165, v2, v9
	v_dual_mul_f32 v2, v2, v10 :: v_dual_fmac_f32 v167, v4, v11
	s_delay_alu instid0(VALU_DEP_1) | instskip(SKIP_1) | instid1(VALU_DEP_1)
	v_fma_f32 v166, v1, v9, -v2
	v_mul_f32_e32 v1, v4, v12
	v_fma_f32 v168, v3, v11, -v1
	s_clause 0x1
	scratch_load_b128 v[1:4], off, off offset:280
	scratch_load_b128 v[9:12], off, off offset:296
	s_wait_loadcnt_dscnt 0x100
	v_mul_f32_e32 v169, v5, v2
	v_dual_mul_f32 v2, v6, v2 :: v_dual_mul_f32 v171, v7, v4
	s_delay_alu instid0(VALU_DEP_2) | instskip(NEXT) | instid1(VALU_DEP_2)
	v_fmac_f32_e32 v169, v6, v1
	v_fma_f32 v170, v5, v1, -v2
	v_mul_f32_e32 v1, v8, v4
	s_delay_alu instid0(VALU_DEP_4) | instskip(NEXT) | instid1(VALU_DEP_2)
	v_fmac_f32_e32 v171, v8, v3
	v_fma_f32 v172, v7, v3, -v1
	ds_load_2addr_b64 v[1:4], v21 offset0:95 offset1:96
	ds_load_2addr_b64 v[5:8], v21 offset0:97 offset1:98
	s_wait_loadcnt_dscnt 0x1
	v_mul_f32_e32 v173, v1, v10
	v_mul_f32_e32 v175, v3, v12
	s_delay_alu instid0(VALU_DEP_2) | instskip(NEXT) | instid1(VALU_DEP_2)
	v_fmac_f32_e32 v173, v2, v9
	v_dual_mul_f32 v2, v2, v10 :: v_dual_fmac_f32 v175, v4, v11
	s_delay_alu instid0(VALU_DEP_1) | instskip(SKIP_1) | instid1(VALU_DEP_1)
	v_fma_f32 v174, v1, v9, -v2
	v_mul_f32_e32 v1, v4, v12
	v_fma_f32 v176, v3, v11, -v1
	s_clause 0x1
	scratch_load_b128 v[1:4], off, off offset:312
	scratch_load_b128 v[9:12], off, off offset:328
	s_wait_loadcnt_dscnt 0x100
	v_mul_f32_e32 v177, v5, v2
	v_dual_mul_f32 v2, v6, v2 :: v_dual_mul_f32 v179, v7, v4
	s_delay_alu instid0(VALU_DEP_2) | instskip(NEXT) | instid1(VALU_DEP_2)
	v_fmac_f32_e32 v177, v6, v1
	v_fma_f32 v178, v5, v1, -v2
	v_mul_f32_e32 v1, v8, v4
	s_delay_alu instid0(VALU_DEP_4) | instskip(NEXT) | instid1(VALU_DEP_2)
	v_fmac_f32_e32 v179, v8, v3
	v_fma_f32 v180, v7, v3, -v1
	ds_load_2addr_b64 v[1:4], v21 offset0:99 offset1:100
	ds_load_2addr_b64 v[5:8], v21 offset0:101 offset1:102
	s_wait_loadcnt_dscnt 0x1
	v_mul_f32_e32 v181, v1, v10
	v_mul_f32_e32 v183, v3, v12
	s_delay_alu instid0(VALU_DEP_2) | instskip(NEXT) | instid1(VALU_DEP_2)
	v_fmac_f32_e32 v181, v2, v9
	v_dual_mul_f32 v2, v2, v10 :: v_dual_fmac_f32 v183, v4, v11
	s_delay_alu instid0(VALU_DEP_1) | instskip(SKIP_1) | instid1(VALU_DEP_1)
	v_fma_f32 v182, v1, v9, -v2
	v_mul_f32_e32 v1, v4, v12
	v_fma_f32 v184, v3, v11, -v1
	s_clause 0x1
	scratch_load_b128 v[1:4], off, off offset:344
	scratch_load_b128 v[9:12], off, off offset:360
	s_wait_loadcnt_dscnt 0x100
	v_mul_f32_e32 v185, v5, v2
	v_dual_mul_f32 v2, v6, v2 :: v_dual_mul_f32 v187, v7, v4
	s_delay_alu instid0(VALU_DEP_2) | instskip(NEXT) | instid1(VALU_DEP_2)
	v_fmac_f32_e32 v185, v6, v1
	v_fma_f32 v186, v5, v1, -v2
	v_mul_f32_e32 v1, v8, v4
	s_delay_alu instid0(VALU_DEP_4) | instskip(NEXT) | instid1(VALU_DEP_2)
	v_fmac_f32_e32 v187, v8, v3
	v_fma_f32 v188, v7, v3, -v1
	ds_load_2addr_b64 v[1:4], v21 offset0:103 offset1:104
	ds_load_2addr_b64 v[5:8], v21 offset0:105 offset1:106
	s_wait_loadcnt_dscnt 0x1
	v_mul_f32_e32 v189, v1, v10
	v_mul_f32_e32 v191, v3, v12
	s_delay_alu instid0(VALU_DEP_2) | instskip(NEXT) | instid1(VALU_DEP_2)
	v_fmac_f32_e32 v189, v2, v9
	v_dual_mul_f32 v2, v2, v10 :: v_dual_fmac_f32 v191, v4, v11
	s_delay_alu instid0(VALU_DEP_1) | instskip(SKIP_1) | instid1(VALU_DEP_1)
	v_fma_f32 v190, v1, v9, -v2
	v_mul_f32_e32 v1, v4, v12
	v_fma_f32 v192, v3, v11, -v1
	s_clause 0x1
	scratch_load_b128 v[1:4], off, off offset:376
	scratch_load_b128 v[9:12], off, off offset:392
	s_wait_loadcnt_dscnt 0x100
	v_mul_f32_e32 v193, v5, v2
	v_mul_f32_e32 v2, v6, v2
	s_delay_alu instid0(VALU_DEP_1) | instskip(SKIP_1) | instid1(VALU_DEP_1)
	v_fma_f32 v194, v5, v1, -v2
	v_add_f32_e32 v2, 0, v154
	v_add_f32_e32 v2, v2, v155
	s_delay_alu instid0(VALU_DEP_1) | instskip(NEXT) | instid1(VALU_DEP_1)
	v_add_f32_e32 v2, v2, v24
	v_add_f32_e32 v2, v2, v25
	s_delay_alu instid0(VALU_DEP_1) | instskip(NEXT) | instid1(VALU_DEP_1)
	;; [unrolled: 3-line block ×5, first 2 shown]
	v_add_f32_e32 v2, v2, v19
	v_add_f32_e32 v2, v2, v20
	s_delay_alu instid0(VALU_DEP_1) | instskip(SKIP_1) | instid1(VALU_DEP_2)
	v_dual_add_f32 v2, v2, v157 :: v_dual_mul_f32 v195, v7, v4
	v_fmac_f32_e32 v193, v6, v1
	v_dual_add_f32 v2, v2, v158 :: v_dual_fmac_f32 v195, v8, v3
	s_delay_alu instid0(VALU_DEP_1) | instskip(NEXT) | instid1(VALU_DEP_1)
	v_dual_add_f32 v2, v2, v161 :: v_dual_mul_f32 v1, v8, v4
	v_add_f32_e32 v2, v2, v163
	s_delay_alu instid0(VALU_DEP_2) | instskip(SKIP_1) | instid1(VALU_DEP_1)
	v_fma_f32 v196, v7, v3, -v1
	v_add_f32_e32 v1, 0, v22
	v_add_f32_e32 v1, v1, v23
	s_delay_alu instid0(VALU_DEP_1) | instskip(NEXT) | instid1(VALU_DEP_1)
	v_add_f32_e32 v1, v1, v26
	v_add_f32_e32 v1, v1, v27
	scratch_load_b64 v[26:27], off, off offset:456
	v_add_f32_e32 v1, v1, v28
	s_delay_alu instid0(VALU_DEP_1) | instskip(NEXT) | instid1(VALU_DEP_1)
	v_add_f32_e32 v1, v1, v29
	v_add_f32_e32 v1, v1, v13
	s_delay_alu instid0(VALU_DEP_1) | instskip(NEXT) | instid1(VALU_DEP_1)
	v_add_f32_e32 v1, v1, v14
	v_add_f32_e32 v1, v1, v16
	s_delay_alu instid0(VALU_DEP_1) | instskip(NEXT) | instid1(VALU_DEP_1)
	v_add_f32_e32 v1, v1, v17
	v_add_f32_e32 v1, v1, v150
	s_delay_alu instid0(VALU_DEP_1) | instskip(NEXT) | instid1(VALU_DEP_1)
	v_add_f32_e32 v1, v1, v151
	v_add_f32_e32 v1, v1, v159
	s_delay_alu instid0(VALU_DEP_1) | instskip(NEXT) | instid1(VALU_DEP_1)
	v_add_f32_e32 v1, v1, v160
	v_add_f32_e32 v1, v1, v162
	s_delay_alu instid0(VALU_DEP_1) | instskip(NEXT) | instid1(VALU_DEP_1)
	v_add_f32_e32 v1, v1, v164
	v_add_f32_e32 v1, v1, v166
	s_delay_alu instid0(VALU_DEP_1) | instskip(NEXT) | instid1(VALU_DEP_1)
	v_add_f32_e32 v6, v1, v168
	v_add_f32_e32 v6, v6, v170
	s_delay_alu instid0(VALU_DEP_1) | instskip(NEXT) | instid1(VALU_DEP_1)
	v_add_f32_e32 v13, v6, v172
	v_add_f32_e32 v13, v13, v174
	s_delay_alu instid0(VALU_DEP_1) | instskip(NEXT) | instid1(VALU_DEP_1)
	v_add_f32_e32 v13, v13, v176
	v_add_f32_e32 v13, v13, v178
	v_add_f32_e32 v5, v2, v165
	ds_load_2addr_b64 v[1:4], v21 offset0:107 offset1:108
	v_add_f32_e32 v18, v13, v180
	s_delay_alu instid0(VALU_DEP_1) | instskip(NEXT) | instid1(VALU_DEP_1)
	v_dual_add_f32 v5, v5, v167 :: v_dual_add_f32 v18, v18, v182
	v_dual_add_f32 v5, v5, v169 :: v_dual_add_f32 v18, v18, v184
	s_delay_alu instid0(VALU_DEP_1)
	v_add_f32_e32 v14, v5, v171
	ds_load_2addr_b64 v[5:8], v21 offset0:109 offset1:110
	v_add_f32_e32 v18, v18, v186
	v_add_f32_e32 v14, v14, v173
	s_wait_loadcnt_dscnt 0x101
	v_mul_f32_e32 v30, v1, v10
	v_mul_f32_e32 v10, v2, v10
	;; [unrolled: 1-line block ×4, first 2 shown]
	v_add_f32_e32 v14, v14, v175
	v_fmac_f32_e32 v30, v2, v9
	v_fma_f32 v149, v1, v9, -v10
	v_fmac_f32_e32 v148, v4, v11
	v_fma_f32 v150, v3, v11, -v12
	s_clause 0x1
	scratch_load_b128 v[1:4], off, off offset:408
	scratch_load_b128 v[9:12], off, off offset:424
	v_add_f32_e32 v17, v14, v177
	scratch_load_b128 v[13:16], off, off offset:440
	v_add_f32_e32 v18, v18, v188
	s_delay_alu instid0(VALU_DEP_1) | instskip(NEXT) | instid1(VALU_DEP_1)
	v_add_f32_e32 v28, v18, v190
	v_add_f32_e32 v151, v28, v192
	s_delay_alu instid0(VALU_DEP_1) | instskip(NEXT) | instid1(VALU_DEP_1)
	v_add_f32_e32 v151, v151, v194
	v_add_f32_e32 v151, v151, v196
	s_delay_alu instid0(VALU_DEP_1) | instskip(SKIP_1) | instid1(VALU_DEP_1)
	v_add_f32_e32 v149, v151, v149
	s_wait_loadcnt_dscnt 0x200
	v_dual_add_f32 v149, v149, v150 :: v_dual_mul_f32 v156, v7, v4
	v_mul_f32_e32 v155, v5, v2
	v_mul_f32_e32 v2, v6, v2
	;; [unrolled: 1-line block ×3, first 2 shown]
	s_delay_alu instid0(VALU_DEP_4) | instskip(SKIP_4) | instid1(VALU_DEP_4)
	v_fmac_f32_e32 v156, v8, v3
	v_add_f32_e32 v17, v17, v179
	v_fmac_f32_e32 v155, v6, v1
	v_fma_f32 v2, v5, v1, -v2
	v_fma_f32 v1, v7, v3, -v4
	v_add_f32_e32 v17, v17, v181
	s_delay_alu instid0(VALU_DEP_3) | instskip(NEXT) | instid1(VALU_DEP_2)
	v_add_f32_e32 v2, v149, v2
	v_add_f32_e32 v17, v17, v183
	s_delay_alu instid0(VALU_DEP_2) | instskip(NEXT) | instid1(VALU_DEP_2)
	v_add_f32_e32 v1, v2, v1
	v_add_f32_e32 v17, v17, v185
	s_delay_alu instid0(VALU_DEP_1)
	v_add_f32_e32 v22, v17, v187
	ds_load_2addr_b64 v[17:20], v21 offset0:111 offset1:112
	v_add_f32_e32 v29, v22, v189
	ds_load_2addr_b64 v[22:25], v21 offset0:113 offset1:114
	v_add_f32_e32 v154, v29, v191
	ds_load_b64 v[28:29], v21 offset:920
	v_add_f32_e32 v154, v154, v193
	s_delay_alu instid0(VALU_DEP_1) | instskip(SKIP_2) | instid1(VALU_DEP_2)
	v_add_f32_e32 v154, v154, v195
	s_wait_loadcnt_dscnt 0x102
	v_mul_f32_e32 v3, v18, v10
	v_add_f32_e32 v30, v154, v30
	s_wait_loadcnt_dscnt 0x1
	v_dual_mul_f32 v154, v19, v12 :: v_dual_mul_f32 v157, v22, v14
	v_mul_f32_e32 v150, v24, v16
	v_fma_f32 v3, v17, v9, -v3
	v_add_f32_e32 v30, v30, v148
	s_wait_dscnt 0x0
	v_mul_f32_e32 v148, v28, v27
	v_dual_fmac_f32 v154, v20, v11 :: v_dual_fmac_f32 v157, v23, v13
	v_fmac_f32_e32 v150, v25, v15
	v_add_f32_e32 v4, v30, v155
	s_delay_alu instid0(VALU_DEP_4) | instskip(SKIP_4) | instid1(VALU_DEP_4)
	v_fmac_f32_e32 v148, v29, v26
	v_mul_f32_e32 v151, v17, v10
	v_add_f32_e32 v1, v1, v3
	v_mul_f32_e32 v3, v25, v16
	v_add_f32_e32 v2, v4, v156
	v_dual_mul_f32 v4, v23, v14 :: v_dual_fmac_f32 v151, v18, v9
	s_delay_alu instid0(VALU_DEP_3) | instskip(NEXT) | instid1(VALU_DEP_2)
	v_fma_f32 v3, v24, v15, -v3
	v_fma_f32 v4, v22, v13, -v4
	s_delay_alu instid0(VALU_DEP_3) | instskip(NEXT) | instid1(VALU_DEP_1)
	v_add_f32_e32 v2, v2, v151
	v_add_f32_e32 v2, v2, v154
	s_delay_alu instid0(VALU_DEP_1) | instskip(NEXT) | instid1(VALU_DEP_1)
	v_dual_add_f32 v2, v2, v157 :: v_dual_mul_f32 v5, v20, v12
	v_add_f32_e32 v2, v2, v150
	s_delay_alu instid0(VALU_DEP_2) | instskip(NEXT) | instid1(VALU_DEP_1)
	v_fma_f32 v5, v19, v11, -v5
	v_dual_add_f32 v2, v2, v148 :: v_dual_add_f32 v1, v1, v5
	v_mul_f32_e32 v5, v29, v27
	s_delay_alu instid0(VALU_DEP_2) | instskip(NEXT) | instid1(VALU_DEP_3)
	v_sub_f32_e32 v2, v153, v2
	v_add_f32_e32 v1, v1, v4
	s_delay_alu instid0(VALU_DEP_3) | instskip(NEXT) | instid1(VALU_DEP_2)
	v_fma_f32 v4, v28, v26, -v5
	v_add_f32_e32 v1, v1, v3
	s_delay_alu instid0(VALU_DEP_1) | instskip(NEXT) | instid1(VALU_DEP_1)
	v_add_f32_e32 v1, v1, v4
	v_sub_f32_e32 v1, v152, v1
	scratch_store_b64 off, v[1:2], off offset:128
	v_cmpx_lt_u32_e32 15, v0
	s_cbranch_execz .LBB57_331
; %bb.330:
	scratch_load_b64 v[1:2], off, off offset:120
	v_mov_b32_e32 v22, v21
	scratch_store_b64 off, v[21:22], off offset:120
	s_wait_loadcnt 0x0
	ds_store_b64 v31, v[1:2]
.LBB57_331:
	s_wait_alu 0xfffe
	s_or_b32 exec_lo, exec_lo, s0
	s_wait_storecnt_dscnt 0x0
	s_barrier_signal -1
	s_barrier_wait -1
	global_inv scope:SCOPE_SE
	s_clause 0x4
	scratch_load_b128 v[5:8], off, off offset:128
	scratch_load_b128 v[1:4], off, off offset:144
	;; [unrolled: 1-line block ×5, first 2 shown]
	ds_load_b128 v[22:25], v21 offset:592
	ds_load_b128 v[26:29], v21 offset:608
	;; [unrolled: 1-line block ×3, first 2 shown]
	scratch_load_b64 v[152:153], off, off offset:120
	s_mov_b32 s0, exec_lo
	s_wait_loadcnt_dscnt 0x502
	v_dual_mul_f32 v30, v23, v6 :: v_dual_mul_f32 v155, v24, v8
	v_mul_f32_e32 v154, v22, v6
	v_mul_f32_e32 v6, v25, v8
	s_wait_loadcnt_dscnt 0x300
	v_mul_f32_e32 v156, v150, v12
	v_fma_f32 v22, v22, v5, -v30
	v_dual_fmac_f32 v155, v25, v7 :: v_dual_fmac_f32 v154, v23, v5
	v_mul_f32_e32 v25, v28, v4
	v_fma_f32 v23, v24, v7, -v6
	ds_load_b128 v[5:8], v21 offset:640
	v_mul_f32_e32 v24, v26, v2
	v_mul_f32_e32 v4, v29, v4
	;; [unrolled: 1-line block ×5, first 2 shown]
	v_dual_mul_f32 v2, v27, v2 :: v_dual_fmac_f32 v25, v29, v3
	v_fmac_f32_e32 v24, v27, v1
	v_fma_f32 v27, v28, v3, -v4
	v_fmac_f32_e32 v30, v149, v9
	v_fma_f32 v28, v148, v9, -v10
	;; [unrolled: 2-line block ×3, first 2 shown]
	ds_load_b128 v[9:12], v21 offset:656
	s_wait_loadcnt_dscnt 0x201
	v_mul_f32_e32 v148, v5, v14
	v_dual_mul_f32 v14, v6, v14 :: v_dual_mul_f32 v149, v7, v16
	v_mul_f32_e32 v16, v8, v16
	s_delay_alu instid0(VALU_DEP_3) | instskip(NEXT) | instid1(VALU_DEP_3)
	v_fmac_f32_e32 v148, v6, v13
	v_fma_f32 v13, v5, v13, -v14
	s_delay_alu instid0(VALU_DEP_4) | instskip(NEXT) | instid1(VALU_DEP_4)
	v_fmac_f32_e32 v149, v8, v15
	v_fma_f32 v14, v7, v15, -v16
	ds_load_b128 v[5:8], v21 offset:672
	s_wait_loadcnt_dscnt 0x101
	v_mul_f32_e32 v15, v9, v18
	v_mul_f32_e32 v16, v10, v18
	;; [unrolled: 1-line block ×3, first 2 shown]
	s_delay_alu instid0(VALU_DEP_3)
	v_dual_mul_f32 v20, v12, v20 :: v_dual_fmac_f32 v15, v10, v17
	v_fma_f32 v26, v26, v1, -v2
	scratch_load_b128 v[1:4], off, off offset:208
	v_fma_f32 v16, v9, v17, -v16
	v_fmac_f32_e32 v18, v12, v19
	v_fma_f32 v17, v11, v19, -v20
	scratch_load_b128 v[9:12], off, off offset:224
	s_wait_loadcnt_dscnt 0x100
	v_mul_f32_e32 v19, v5, v2
	v_mul_f32_e32 v2, v6, v2
	;; [unrolled: 1-line block ×3, first 2 shown]
	s_delay_alu instid0(VALU_DEP_3) | instskip(NEXT) | instid1(VALU_DEP_3)
	v_dual_mul_f32 v4, v8, v4 :: v_dual_fmac_f32 v19, v6, v1
	v_fma_f32 v150, v5, v1, -v2
	s_delay_alu instid0(VALU_DEP_3) | instskip(NEXT) | instid1(VALU_DEP_3)
	v_fmac_f32_e32 v20, v8, v3
	v_fma_f32 v151, v7, v3, -v4
	ds_load_b128 v[1:4], v21 offset:688
	ds_load_b128 v[5:8], v21 offset:704
	s_wait_loadcnt_dscnt 0x1
	v_mul_f32_e32 v157, v1, v10
	v_mul_f32_e32 v10, v2, v10
	s_delay_alu instid0(VALU_DEP_2) | instskip(NEXT) | instid1(VALU_DEP_2)
	v_dual_mul_f32 v158, v3, v12 :: v_dual_fmac_f32 v157, v2, v9
	v_fma_f32 v159, v1, v9, -v10
	v_mul_f32_e32 v1, v4, v12
	s_delay_alu instid0(VALU_DEP_3) | instskip(NEXT) | instid1(VALU_DEP_2)
	v_fmac_f32_e32 v158, v4, v11
	v_fma_f32 v160, v3, v11, -v1
	s_clause 0x1
	scratch_load_b128 v[1:4], off, off offset:240
	scratch_load_b128 v[9:12], off, off offset:256
	s_wait_loadcnt_dscnt 0x100
	v_mul_f32_e32 v161, v5, v2
	v_dual_mul_f32 v2, v6, v2 :: v_dual_mul_f32 v163, v7, v4
	s_delay_alu instid0(VALU_DEP_2) | instskip(NEXT) | instid1(VALU_DEP_2)
	v_fmac_f32_e32 v161, v6, v1
	v_fma_f32 v162, v5, v1, -v2
	v_mul_f32_e32 v1, v8, v4
	s_delay_alu instid0(VALU_DEP_4) | instskip(NEXT) | instid1(VALU_DEP_2)
	v_fmac_f32_e32 v163, v8, v3
	v_fma_f32 v164, v7, v3, -v1
	ds_load_b128 v[1:4], v21 offset:720
	ds_load_b128 v[5:8], v21 offset:736
	s_wait_loadcnt_dscnt 0x1
	v_mul_f32_e32 v165, v1, v10
	v_mul_f32_e32 v167, v3, v12
	s_delay_alu instid0(VALU_DEP_2) | instskip(NEXT) | instid1(VALU_DEP_2)
	v_fmac_f32_e32 v165, v2, v9
	v_dual_mul_f32 v2, v2, v10 :: v_dual_fmac_f32 v167, v4, v11
	s_delay_alu instid0(VALU_DEP_1) | instskip(SKIP_1) | instid1(VALU_DEP_1)
	v_fma_f32 v166, v1, v9, -v2
	v_mul_f32_e32 v1, v4, v12
	v_fma_f32 v168, v3, v11, -v1
	s_clause 0x1
	scratch_load_b128 v[1:4], off, off offset:272
	scratch_load_b128 v[9:12], off, off offset:288
	s_wait_loadcnt_dscnt 0x100
	v_mul_f32_e32 v169, v5, v2
	v_dual_mul_f32 v2, v6, v2 :: v_dual_mul_f32 v171, v7, v4
	s_delay_alu instid0(VALU_DEP_2) | instskip(NEXT) | instid1(VALU_DEP_2)
	v_fmac_f32_e32 v169, v6, v1
	v_fma_f32 v170, v5, v1, -v2
	v_mul_f32_e32 v1, v8, v4
	s_delay_alu instid0(VALU_DEP_4) | instskip(NEXT) | instid1(VALU_DEP_2)
	v_fmac_f32_e32 v171, v8, v3
	v_fma_f32 v172, v7, v3, -v1
	ds_load_b128 v[1:4], v21 offset:752
	ds_load_b128 v[5:8], v21 offset:768
	s_wait_loadcnt_dscnt 0x1
	v_mul_f32_e32 v173, v1, v10
	v_mul_f32_e32 v175, v3, v12
	s_delay_alu instid0(VALU_DEP_2) | instskip(NEXT) | instid1(VALU_DEP_2)
	v_fmac_f32_e32 v173, v2, v9
	v_dual_mul_f32 v2, v2, v10 :: v_dual_fmac_f32 v175, v4, v11
	s_delay_alu instid0(VALU_DEP_1) | instskip(SKIP_1) | instid1(VALU_DEP_1)
	v_fma_f32 v174, v1, v9, -v2
	v_mul_f32_e32 v1, v4, v12
	;; [unrolled: 25-line block ×4, first 2 shown]
	v_fma_f32 v192, v3, v11, -v1
	s_clause 0x1
	scratch_load_b128 v[1:4], off, off offset:368
	scratch_load_b128 v[9:12], off, off offset:384
	s_wait_loadcnt_dscnt 0x100
	v_mul_f32_e32 v193, v5, v2
	v_mul_f32_e32 v2, v6, v2
	s_delay_alu instid0(VALU_DEP_1) | instskip(SKIP_1) | instid1(VALU_DEP_1)
	v_fma_f32 v194, v5, v1, -v2
	v_add_f32_e32 v2, 0, v154
	v_add_f32_e32 v2, v2, v155
	s_delay_alu instid0(VALU_DEP_1) | instskip(NEXT) | instid1(VALU_DEP_1)
	v_add_f32_e32 v2, v2, v24
	v_add_f32_e32 v2, v2, v25
	s_delay_alu instid0(VALU_DEP_1) | instskip(NEXT) | instid1(VALU_DEP_1)
	;; [unrolled: 3-line block ×5, first 2 shown]
	v_add_f32_e32 v2, v2, v19
	v_add_f32_e32 v2, v2, v20
	s_delay_alu instid0(VALU_DEP_1) | instskip(SKIP_1) | instid1(VALU_DEP_2)
	v_dual_add_f32 v2, v2, v157 :: v_dual_mul_f32 v195, v7, v4
	v_fmac_f32_e32 v193, v6, v1
	v_dual_add_f32 v2, v2, v158 :: v_dual_fmac_f32 v195, v8, v3
	s_delay_alu instid0(VALU_DEP_1) | instskip(NEXT) | instid1(VALU_DEP_1)
	v_dual_add_f32 v2, v2, v161 :: v_dual_mul_f32 v1, v8, v4
	v_add_f32_e32 v2, v2, v163
	s_delay_alu instid0(VALU_DEP_2) | instskip(NEXT) | instid1(VALU_DEP_2)
	v_fma_f32 v196, v7, v3, -v1
	v_dual_add_f32 v1, 0, v22 :: v_dual_add_f32 v2, v2, v165
	s_delay_alu instid0(VALU_DEP_1) | instskip(NEXT) | instid1(VALU_DEP_2)
	v_add_f32_e32 v1, v1, v23
	v_add_f32_e32 v5, v2, v167
	s_delay_alu instid0(VALU_DEP_2) | instskip(NEXT) | instid1(VALU_DEP_1)
	v_add_f32_e32 v1, v1, v26
	v_add_f32_e32 v1, v1, v27
	s_delay_alu instid0(VALU_DEP_1) | instskip(NEXT) | instid1(VALU_DEP_1)
	v_add_f32_e32 v1, v1, v28
	v_add_f32_e32 v1, v1, v29
	s_delay_alu instid0(VALU_DEP_1) | instskip(SKIP_1) | instid1(VALU_DEP_1)
	v_add_f32_e32 v1, v1, v13
	v_add_f32_e32 v13, v5, v169
	;; [unrolled: 1-line block ×3, first 2 shown]
	s_delay_alu instid0(VALU_DEP_1) | instskip(NEXT) | instid1(VALU_DEP_1)
	v_add_f32_e32 v13, v13, v173
	v_add_f32_e32 v18, v13, v175
	s_delay_alu instid0(VALU_DEP_1) | instskip(NEXT) | instid1(VALU_DEP_1)
	v_add_f32_e32 v18, v18, v177
	v_dual_add_f32 v18, v18, v179 :: v_dual_add_f32 v1, v1, v14
	s_delay_alu instid0(VALU_DEP_1) | instskip(NEXT) | instid1(VALU_DEP_1)
	v_add_f32_e32 v1, v1, v16
	v_add_f32_e32 v1, v1, v17
	s_delay_alu instid0(VALU_DEP_1) | instskip(NEXT) | instid1(VALU_DEP_1)
	v_add_f32_e32 v1, v1, v150
	v_add_f32_e32 v1, v1, v151
	;; [unrolled: 3-line block ×5, first 2 shown]
	s_delay_alu instid0(VALU_DEP_1)
	v_add_f32_e32 v6, v1, v170
	ds_load_b128 v[1:4], v21 offset:848
	v_add_f32_e32 v22, v18, v181
	v_add_f32_e32 v14, v6, v172
	scratch_load_b128 v[5:8], off, off offset:400
	v_add_f32_e32 v22, v22, v183
	v_add_f32_e32 v14, v14, v174
	s_delay_alu instid0(VALU_DEP_2) | instskip(NEXT) | instid1(VALU_DEP_2)
	v_add_f32_e32 v22, v22, v185
	v_add_f32_e32 v17, v14, v176
	ds_load_b128 v[13:16], v21 offset:864
	s_wait_loadcnt_dscnt 0x101
	v_mul_f32_e32 v25, v1, v10
	v_mul_f32_e32 v10, v2, v10
	;; [unrolled: 1-line block ×3, first 2 shown]
	s_delay_alu instid0(VALU_DEP_3) | instskip(NEXT) | instid1(VALU_DEP_3)
	v_dual_mul_f32 v12, v4, v12 :: v_dual_fmac_f32 v25, v2, v9
	v_fma_f32 v27, v1, v9, -v10
	s_delay_alu instid0(VALU_DEP_3) | instskip(NEXT) | instid1(VALU_DEP_3)
	v_fmac_f32_e32 v26, v4, v11
	v_fma_f32 v28, v3, v11, -v12
	s_clause 0x1
	scratch_load_b128 v[1:4], off, off offset:416
	scratch_load_b128 v[9:12], off, off offset:432
	s_wait_loadcnt_dscnt 0x200
	v_mul_f32_e32 v29, v13, v6
	v_mul_f32_e32 v6, v14, v6
	v_mul_f32_e32 v30, v15, v8
	s_delay_alu instid0(VALU_DEP_3) | instskip(NEXT) | instid1(VALU_DEP_3)
	v_dual_mul_f32 v8, v16, v8 :: v_dual_fmac_f32 v29, v14, v5
	v_fma_f32 v148, v13, v5, -v6
	s_delay_alu instid0(VALU_DEP_3) | instskip(NEXT) | instid1(VALU_DEP_3)
	v_fmac_f32_e32 v30, v16, v7
	v_fma_f32 v149, v15, v7, -v8
	ds_load_b128 v[5:8], v21 offset:880
	v_add_f32_e32 v17, v17, v178
	v_add_f32_e32 v13, v22, v187
	s_delay_alu instid0(VALU_DEP_2) | instskip(NEXT) | instid1(VALU_DEP_1)
	v_add_f32_e32 v17, v17, v180
	v_add_f32_e32 v17, v17, v182
	s_delay_alu instid0(VALU_DEP_1) | instskip(SKIP_2) | instid1(VALU_DEP_1)
	v_add_f32_e32 v23, v17, v184
	scratch_load_b128 v[17:20], off, off offset:448
	v_add_f32_e32 v23, v23, v186
	v_add_f32_e32 v23, v23, v188
	s_delay_alu instid0(VALU_DEP_1)
	v_dual_add_f32 v22, v23, v190 :: v_dual_add_f32 v23, v13, v189
	ds_load_b128 v[13:16], v21 offset:896
	s_wait_loadcnt_dscnt 0x201
	v_mul_f32_e32 v154, v5, v2
	v_mul_f32_e32 v2, v6, v2
	v_dual_add_f32 v150, v22, v192 :: v_dual_add_f32 v151, v23, v191
	ds_load_b128 v[21:24], v21 offset:912
	v_fmac_f32_e32 v154, v6, v1
	v_fma_f32 v2, v5, v1, -v2
	v_add_f32_e32 v150, v150, v194
	s_delay_alu instid0(VALU_DEP_1) | instskip(NEXT) | instid1(VALU_DEP_1)
	v_add_f32_e32 v150, v150, v196
	v_dual_add_f32 v27, v150, v27 :: v_dual_mul_f32 v150, v7, v4
	v_mul_f32_e32 v4, v8, v4
	s_wait_loadcnt_dscnt 0x101
	v_dual_mul_f32 v6, v14, v10 :: v_dual_mul_f32 v155, v15, v12
	s_delay_alu instid0(VALU_DEP_3) | instskip(NEXT) | instid1(VALU_DEP_3)
	v_dual_add_f32 v27, v27, v28 :: v_dual_fmac_f32 v150, v8, v3
	v_fma_f32 v3, v7, v3, -v4
	v_mul_f32_e32 v4, v16, v12
	s_delay_alu instid0(VALU_DEP_4) | instskip(NEXT) | instid1(VALU_DEP_4)
	v_fmac_f32_e32 v155, v16, v11
	v_add_f32_e32 v27, v27, v148
	s_delay_alu instid0(VALU_DEP_3) | instskip(NEXT) | instid1(VALU_DEP_2)
	v_fma_f32 v4, v15, v11, -v4
	v_add_f32_e32 v1, v27, v149
	s_delay_alu instid0(VALU_DEP_1) | instskip(SKIP_1) | instid1(VALU_DEP_1)
	v_add_f32_e32 v1, v1, v2
	s_wait_loadcnt_dscnt 0x0
	v_dual_add_f32 v1, v1, v3 :: v_dual_mul_f32 v28, v23, v20
	s_delay_alu instid0(VALU_DEP_1) | instskip(SKIP_1) | instid1(VALU_DEP_2)
	v_dual_mul_f32 v3, v22, v18 :: v_dual_fmac_f32 v28, v24, v19
	v_add_f32_e32 v151, v151, v193
	v_fma_f32 v3, v21, v17, -v3
	s_delay_alu instid0(VALU_DEP_2) | instskip(NEXT) | instid1(VALU_DEP_1)
	v_add_f32_e32 v151, v151, v195
	v_add_f32_e32 v25, v151, v25
	v_mul_f32_e32 v151, v13, v10
	s_delay_alu instid0(VALU_DEP_2) | instskip(NEXT) | instid1(VALU_DEP_2)
	v_add_f32_e32 v25, v25, v26
	v_dual_fmac_f32 v151, v14, v9 :: v_dual_mul_f32 v26, v21, v18
	s_delay_alu instid0(VALU_DEP_2) | instskip(NEXT) | instid1(VALU_DEP_1)
	v_add_f32_e32 v25, v25, v29
	v_dual_fmac_f32 v26, v22, v17 :: v_dual_add_f32 v5, v25, v30
	s_delay_alu instid0(VALU_DEP_1) | instskip(SKIP_1) | instid1(VALU_DEP_1)
	v_add_f32_e32 v2, v5, v154
	v_fma_f32 v5, v13, v9, -v6
	v_dual_add_f32 v2, v2, v150 :: v_dual_add_f32 v1, v1, v5
	s_delay_alu instid0(VALU_DEP_1) | instskip(NEXT) | instid1(VALU_DEP_2)
	v_dual_mul_f32 v5, v24, v20 :: v_dual_add_f32 v2, v2, v151
	v_add_f32_e32 v1, v1, v4
	s_delay_alu instid0(VALU_DEP_2) | instskip(NEXT) | instid1(VALU_DEP_3)
	v_fma_f32 v4, v23, v19, -v5
	v_add_f32_e32 v2, v2, v155
	s_delay_alu instid0(VALU_DEP_1) | instskip(NEXT) | instid1(VALU_DEP_1)
	v_dual_add_f32 v1, v1, v3 :: v_dual_add_f32 v2, v2, v26
	v_add_f32_e32 v1, v1, v4
	s_delay_alu instid0(VALU_DEP_1) | instskip(NEXT) | instid1(VALU_DEP_1)
	v_dual_add_f32 v2, v2, v28 :: v_dual_sub_f32 v1, v152, v1
	v_sub_f32_e32 v2, v153, v2
	scratch_store_b64 off, v[1:2], off offset:120
	v_cmpx_lt_u32_e32 14, v0
	s_cbranch_execz .LBB57_333
; %bb.332:
	scratch_load_b64 v[1:2], off, off offset:112
	v_mov_b32_e32 v3, 0
	s_delay_alu instid0(VALU_DEP_1)
	v_mov_b32_e32 v4, v3
	scratch_store_b64 off, v[3:4], off offset:112
	s_wait_loadcnt 0x0
	ds_store_b64 v31, v[1:2]
.LBB57_333:
	s_wait_alu 0xfffe
	s_or_b32 exec_lo, exec_lo, s0
	s_wait_storecnt_dscnt 0x0
	s_barrier_signal -1
	s_barrier_wait -1
	global_inv scope:SCOPE_SE
	s_clause 0x4
	scratch_load_b128 v[5:8], off, off offset:120
	scratch_load_b128 v[1:4], off, off offset:136
	;; [unrolled: 1-line block ×5, first 2 shown]
	v_mov_b32_e32 v21, 0
	ds_load_2addr_b64 v[22:25], v21 offset0:73 offset1:74
	ds_load_2addr_b64 v[26:29], v21 offset0:75 offset1:76
	ds_load_2addr_b64 v[148:151], v21 offset0:77 offset1:78
	scratch_load_b64 v[152:153], off, off offset:112
	s_mov_b32 s0, exec_lo
	s_wait_loadcnt_dscnt 0x502
	v_mul_f32_e32 v30, v23, v6
	v_dual_mul_f32 v154, v22, v6 :: v_dual_mul_f32 v155, v24, v8
	v_mul_f32_e32 v6, v25, v8
	s_wait_loadcnt_dscnt 0x300
	v_mul_f32_e32 v156, v150, v12
	v_fma_f32 v22, v22, v5, -v30
	v_dual_fmac_f32 v154, v23, v5 :: v_dual_fmac_f32 v155, v25, v7
	v_fma_f32 v23, v24, v7, -v6
	v_dual_mul_f32 v24, v26, v2 :: v_dual_mul_f32 v25, v28, v4
	v_mul_f32_e32 v2, v27, v2
	v_mul_f32_e32 v4, v29, v4
	ds_load_2addr_b64 v[5:8], v21 offset0:79 offset1:80
	v_mul_f32_e32 v30, v148, v10
	v_dual_fmac_f32 v24, v27, v1 :: v_dual_fmac_f32 v25, v29, v3
	v_fma_f32 v26, v26, v1, -v2
	v_fma_f32 v27, v28, v3, -v4
	v_mul_f32_e32 v12, v151, v12
	scratch_load_b128 v[1:4], off, off offset:200
	v_mul_f32_e32 v10, v149, v10
	v_fmac_f32_e32 v30, v149, v9
	v_fmac_f32_e32 v156, v151, v11
	v_fma_f32 v29, v150, v11, -v12
	s_delay_alu instid0(VALU_DEP_4)
	v_fma_f32 v28, v148, v9, -v10
	ds_load_2addr_b64 v[9:12], v21 offset0:81 offset1:82
	s_wait_loadcnt_dscnt 0x301
	v_mul_f32_e32 v148, v5, v14
	v_dual_mul_f32 v14, v6, v14 :: v_dual_mul_f32 v149, v7, v16
	v_mul_f32_e32 v16, v8, v16
	s_delay_alu instid0(VALU_DEP_3) | instskip(NEXT) | instid1(VALU_DEP_3)
	v_fmac_f32_e32 v148, v6, v13
	v_fma_f32 v13, v5, v13, -v14
	s_delay_alu instid0(VALU_DEP_4) | instskip(NEXT) | instid1(VALU_DEP_4)
	v_fmac_f32_e32 v149, v8, v15
	v_fma_f32 v14, v7, v15, -v16
	ds_load_2addr_b64 v[5:8], v21 offset0:83 offset1:84
	s_wait_loadcnt_dscnt 0x201
	v_mul_f32_e32 v15, v9, v18
	v_mul_f32_e32 v16, v10, v18
	;; [unrolled: 1-line block ×3, first 2 shown]
	s_delay_alu instid0(VALU_DEP_3) | instskip(NEXT) | instid1(VALU_DEP_3)
	v_dual_mul_f32 v20, v12, v20 :: v_dual_fmac_f32 v15, v10, v17
	v_fma_f32 v16, v9, v17, -v16
	s_delay_alu instid0(VALU_DEP_3) | instskip(NEXT) | instid1(VALU_DEP_3)
	v_fmac_f32_e32 v18, v12, v19
	v_fma_f32 v17, v11, v19, -v20
	scratch_load_b128 v[9:12], off, off offset:216
	s_wait_loadcnt_dscnt 0x100
	v_mul_f32_e32 v19, v5, v2
	v_mul_f32_e32 v2, v6, v2
	;; [unrolled: 1-line block ×3, first 2 shown]
	s_delay_alu instid0(VALU_DEP_3) | instskip(NEXT) | instid1(VALU_DEP_3)
	v_dual_mul_f32 v4, v8, v4 :: v_dual_fmac_f32 v19, v6, v1
	v_fma_f32 v150, v5, v1, -v2
	s_delay_alu instid0(VALU_DEP_3) | instskip(NEXT) | instid1(VALU_DEP_3)
	v_fmac_f32_e32 v20, v8, v3
	v_fma_f32 v151, v7, v3, -v4
	ds_load_2addr_b64 v[1:4], v21 offset0:85 offset1:86
	ds_load_2addr_b64 v[5:8], v21 offset0:87 offset1:88
	s_wait_loadcnt_dscnt 0x1
	v_mul_f32_e32 v157, v1, v10
	v_mul_f32_e32 v10, v2, v10
	s_delay_alu instid0(VALU_DEP_2) | instskip(NEXT) | instid1(VALU_DEP_2)
	v_dual_mul_f32 v158, v3, v12 :: v_dual_fmac_f32 v157, v2, v9
	v_fma_f32 v159, v1, v9, -v10
	v_mul_f32_e32 v1, v4, v12
	s_delay_alu instid0(VALU_DEP_3) | instskip(NEXT) | instid1(VALU_DEP_2)
	v_fmac_f32_e32 v158, v4, v11
	v_fma_f32 v160, v3, v11, -v1
	s_clause 0x1
	scratch_load_b128 v[1:4], off, off offset:232
	scratch_load_b128 v[9:12], off, off offset:248
	s_wait_loadcnt_dscnt 0x100
	v_mul_f32_e32 v161, v5, v2
	v_dual_mul_f32 v2, v6, v2 :: v_dual_mul_f32 v163, v7, v4
	s_delay_alu instid0(VALU_DEP_2) | instskip(NEXT) | instid1(VALU_DEP_2)
	v_fmac_f32_e32 v161, v6, v1
	v_fma_f32 v162, v5, v1, -v2
	v_mul_f32_e32 v1, v8, v4
	s_delay_alu instid0(VALU_DEP_4) | instskip(NEXT) | instid1(VALU_DEP_2)
	v_fmac_f32_e32 v163, v8, v3
	v_fma_f32 v164, v7, v3, -v1
	ds_load_2addr_b64 v[1:4], v21 offset0:89 offset1:90
	ds_load_2addr_b64 v[5:8], v21 offset0:91 offset1:92
	s_wait_loadcnt_dscnt 0x1
	v_mul_f32_e32 v165, v1, v10
	v_mul_f32_e32 v167, v3, v12
	s_delay_alu instid0(VALU_DEP_2) | instskip(NEXT) | instid1(VALU_DEP_2)
	v_fmac_f32_e32 v165, v2, v9
	v_dual_mul_f32 v2, v2, v10 :: v_dual_fmac_f32 v167, v4, v11
	s_delay_alu instid0(VALU_DEP_1) | instskip(SKIP_1) | instid1(VALU_DEP_1)
	v_fma_f32 v166, v1, v9, -v2
	v_mul_f32_e32 v1, v4, v12
	v_fma_f32 v168, v3, v11, -v1
	s_clause 0x1
	scratch_load_b128 v[1:4], off, off offset:264
	scratch_load_b128 v[9:12], off, off offset:280
	s_wait_loadcnt_dscnt 0x100
	v_mul_f32_e32 v169, v5, v2
	v_dual_mul_f32 v2, v6, v2 :: v_dual_mul_f32 v171, v7, v4
	s_delay_alu instid0(VALU_DEP_2) | instskip(NEXT) | instid1(VALU_DEP_2)
	v_fmac_f32_e32 v169, v6, v1
	v_fma_f32 v170, v5, v1, -v2
	v_mul_f32_e32 v1, v8, v4
	s_delay_alu instid0(VALU_DEP_4) | instskip(NEXT) | instid1(VALU_DEP_2)
	v_fmac_f32_e32 v171, v8, v3
	v_fma_f32 v172, v7, v3, -v1
	ds_load_2addr_b64 v[1:4], v21 offset0:93 offset1:94
	ds_load_2addr_b64 v[5:8], v21 offset0:95 offset1:96
	s_wait_loadcnt_dscnt 0x1
	v_mul_f32_e32 v173, v1, v10
	v_mul_f32_e32 v175, v3, v12
	s_delay_alu instid0(VALU_DEP_2) | instskip(NEXT) | instid1(VALU_DEP_2)
	v_fmac_f32_e32 v173, v2, v9
	v_dual_mul_f32 v2, v2, v10 :: v_dual_fmac_f32 v175, v4, v11
	s_delay_alu instid0(VALU_DEP_1) | instskip(SKIP_1) | instid1(VALU_DEP_1)
	v_fma_f32 v174, v1, v9, -v2
	v_mul_f32_e32 v1, v4, v12
	;; [unrolled: 25-line block ×4, first 2 shown]
	v_fma_f32 v192, v3, v11, -v1
	s_clause 0x1
	scratch_load_b128 v[1:4], off, off offset:360
	scratch_load_b128 v[9:12], off, off offset:376
	s_wait_loadcnt_dscnt 0x100
	v_mul_f32_e32 v193, v5, v2
	v_mul_f32_e32 v2, v6, v2
	s_delay_alu instid0(VALU_DEP_1) | instskip(SKIP_1) | instid1(VALU_DEP_1)
	v_fma_f32 v194, v5, v1, -v2
	v_add_f32_e32 v2, 0, v154
	v_add_f32_e32 v2, v2, v155
	s_delay_alu instid0(VALU_DEP_1) | instskip(NEXT) | instid1(VALU_DEP_1)
	v_add_f32_e32 v2, v2, v24
	v_add_f32_e32 v2, v2, v25
	s_delay_alu instid0(VALU_DEP_1) | instskip(NEXT) | instid1(VALU_DEP_1)
	;; [unrolled: 3-line block ×5, first 2 shown]
	v_add_f32_e32 v2, v2, v19
	v_add_f32_e32 v2, v2, v20
	s_delay_alu instid0(VALU_DEP_1) | instskip(SKIP_1) | instid1(VALU_DEP_2)
	v_dual_add_f32 v2, v2, v157 :: v_dual_mul_f32 v195, v7, v4
	v_fmac_f32_e32 v193, v6, v1
	v_dual_add_f32 v2, v2, v158 :: v_dual_fmac_f32 v195, v8, v3
	s_delay_alu instid0(VALU_DEP_1) | instskip(NEXT) | instid1(VALU_DEP_1)
	v_dual_add_f32 v2, v2, v161 :: v_dual_mul_f32 v1, v8, v4
	v_add_f32_e32 v2, v2, v163
	s_delay_alu instid0(VALU_DEP_2) | instskip(NEXT) | instid1(VALU_DEP_2)
	v_fma_f32 v196, v7, v3, -v1
	v_dual_add_f32 v1, 0, v22 :: v_dual_add_f32 v2, v2, v165
	s_delay_alu instid0(VALU_DEP_1) | instskip(NEXT) | instid1(VALU_DEP_2)
	v_add_f32_e32 v1, v1, v23
	v_add_f32_e32 v5, v2, v167
	s_delay_alu instid0(VALU_DEP_2) | instskip(NEXT) | instid1(VALU_DEP_1)
	v_add_f32_e32 v1, v1, v26
	v_add_f32_e32 v1, v1, v27
	scratch_load_b64 v[26:27], off, off offset:456
	v_add_f32_e32 v1, v1, v28
	s_delay_alu instid0(VALU_DEP_1) | instskip(NEXT) | instid1(VALU_DEP_1)
	v_add_f32_e32 v1, v1, v29
	v_add_f32_e32 v1, v1, v13
	;; [unrolled: 1-line block ×3, first 2 shown]
	s_delay_alu instid0(VALU_DEP_2) | instskip(NEXT) | instid1(VALU_DEP_2)
	v_add_f32_e32 v1, v1, v14
	v_add_f32_e32 v13, v13, v171
	s_delay_alu instid0(VALU_DEP_1) | instskip(NEXT) | instid1(VALU_DEP_1)
	v_add_f32_e32 v13, v13, v173
	v_add_f32_e32 v18, v13, v175
	s_delay_alu instid0(VALU_DEP_4) | instskip(NEXT) | instid1(VALU_DEP_1)
	v_add_f32_e32 v1, v1, v16
	v_add_f32_e32 v1, v1, v17
	s_delay_alu instid0(VALU_DEP_1) | instskip(NEXT) | instid1(VALU_DEP_1)
	v_add_f32_e32 v1, v1, v150
	v_add_f32_e32 v1, v1, v151
	s_delay_alu instid0(VALU_DEP_1) | instskip(NEXT) | instid1(VALU_DEP_1)
	;; [unrolled: 3-line block ×4, first 2 shown]
	v_add_f32_e32 v1, v1, v166
	v_add_f32_e32 v1, v1, v168
	s_delay_alu instid0(VALU_DEP_1)
	v_add_f32_e32 v6, v1, v170
	scratch_load_b128 v[1:4], off, off offset:392
	v_add_f32_e32 v18, v18, v177
	v_add_f32_e32 v14, v6, v172
	ds_load_2addr_b64 v[5:8], v21 offset0:105 offset1:106
	v_add_f32_e32 v18, v18, v179
	v_add_f32_e32 v14, v14, v174
	s_delay_alu instid0(VALU_DEP_2) | instskip(NEXT) | instid1(VALU_DEP_2)
	v_add_f32_e32 v22, v18, v181
	v_add_f32_e32 v17, v14, v176
	ds_load_2addr_b64 v[13:16], v21 offset0:107 offset1:108
	v_add_f32_e32 v22, v22, v183
	s_wait_loadcnt_dscnt 0x201
	v_mul_f32_e32 v30, v5, v10
	v_mul_f32_e32 v10, v6, v10
	;; [unrolled: 1-line block ×4, first 2 shown]
	v_add_f32_e32 v22, v22, v185
	v_fmac_f32_e32 v30, v6, v9
	v_fma_f32 v149, v5, v9, -v10
	v_fmac_f32_e32 v148, v8, v11
	v_fma_f32 v150, v7, v11, -v12
	scratch_load_b128 v[5:8], off, off offset:408
	v_add_f32_e32 v22, v22, v187
	scratch_load_b128 v[9:12], off, off offset:424
	s_wait_loadcnt_dscnt 0x200
	v_mul_f32_e32 v151, v13, v2
	v_mul_f32_e32 v2, v14, v2
	;; [unrolled: 1-line block ×4, first 2 shown]
	s_delay_alu instid0(VALU_DEP_3) | instskip(NEXT) | instid1(VALU_DEP_3)
	v_fma_f32 v155, v13, v1, -v2
	v_dual_add_f32 v13, v22, v189 :: v_dual_fmac_f32 v154, v16, v3
	s_delay_alu instid0(VALU_DEP_3) | instskip(NEXT) | instid1(VALU_DEP_2)
	v_fma_f32 v156, v15, v3, -v4
	v_add_f32_e32 v22, v13, v191
	s_delay_alu instid0(VALU_DEP_1) | instskip(SKIP_4) | instid1(VALU_DEP_1)
	v_add_f32_e32 v29, v22, v193
	v_fmac_f32_e32 v151, v14, v1
	ds_load_2addr_b64 v[1:4], v21 offset0:109 offset1:110
	v_add_f32_e32 v17, v17, v178
	v_add_f32_e32 v158, v29, v195
	;; [unrolled: 1-line block ×3, first 2 shown]
	s_delay_alu instid0(VALU_DEP_1) | instskip(NEXT) | instid1(VALU_DEP_1)
	v_add_f32_e32 v30, v30, v148
	v_dual_add_f32 v17, v17, v180 :: v_dual_add_f32 v30, v30, v151
	s_delay_alu instid0(VALU_DEP_1) | instskip(NEXT) | instid1(VALU_DEP_1)
	v_add_f32_e32 v17, v17, v182
	v_dual_add_f32 v30, v30, v154 :: v_dual_add_f32 v23, v17, v184
	scratch_load_b128 v[17:20], off, off offset:440
	v_add_f32_e32 v23, v23, v186
	s_delay_alu instid0(VALU_DEP_1) | instskip(NEXT) | instid1(VALU_DEP_1)
	v_add_f32_e32 v23, v23, v188
	v_add_f32_e32 v23, v23, v190
	s_delay_alu instid0(VALU_DEP_1)
	v_add_f32_e32 v14, v23, v192
	ds_load_2addr_b64 v[22:25], v21 offset0:113 offset1:114
	v_add_f32_e32 v28, v14, v194
	ds_load_2addr_b64 v[13:16], v21 offset0:111 offset1:112
	s_wait_loadcnt_dscnt 0x202
	v_mul_f32_e32 v148, v3, v8
	v_mul_f32_e32 v8, v4, v8
	v_add_f32_e32 v157, v28, v196
	ds_load_b64 v[28:29], v21 offset:920
	v_dual_fmac_f32 v148, v4, v7 :: v_dual_add_f32 v149, v157, v149
	s_delay_alu instid0(VALU_DEP_1) | instskip(NEXT) | instid1(VALU_DEP_1)
	v_add_f32_e32 v149, v149, v150
	v_add_f32_e32 v149, v149, v155
	s_wait_loadcnt_dscnt 0x101
	v_mul_f32_e32 v150, v13, v10
	s_wait_dscnt 0x0
	v_mul_f32_e32 v154, v28, v27
	s_delay_alu instid0(VALU_DEP_2) | instskip(NEXT) | instid1(VALU_DEP_2)
	v_fmac_f32_e32 v150, v14, v9
	v_fmac_f32_e32 v154, v29, v26
	v_add_f32_e32 v149, v149, v156
	s_wait_loadcnt 0x0
	v_dual_mul_f32 v155, v22, v18 :: v_dual_mul_f32 v156, v24, v20
	v_mul_f32_e32 v151, v15, v12
	s_delay_alu instid0(VALU_DEP_2) | instskip(NEXT) | instid1(VALU_DEP_2)
	v_dual_fmac_f32 v155, v23, v17 :: v_dual_fmac_f32 v156, v25, v19
	v_fmac_f32_e32 v151, v16, v11
	v_mul_f32_e32 v157, v1, v6
	v_mul_f32_e32 v6, v2, v6
	s_delay_alu instid0(VALU_DEP_2) | instskip(NEXT) | instid1(VALU_DEP_2)
	v_fmac_f32_e32 v157, v2, v5
	v_fma_f32 v1, v1, v5, -v6
	v_fma_f32 v2, v3, v7, -v8
	v_mul_f32_e32 v3, v14, v10
	s_delay_alu instid0(VALU_DEP_4) | instskip(NEXT) | instid1(VALU_DEP_4)
	v_dual_mul_f32 v5, v16, v12 :: v_dual_add_f32 v4, v30, v157
	v_add_f32_e32 v1, v149, v1
	s_delay_alu instid0(VALU_DEP_3) | instskip(NEXT) | instid1(VALU_DEP_3)
	v_fma_f32 v3, v13, v9, -v3
	v_fma_f32 v5, v15, v11, -v5
	s_delay_alu instid0(VALU_DEP_3) | instskip(NEXT) | instid1(VALU_DEP_1)
	v_dual_add_f32 v1, v1, v2 :: v_dual_add_f32 v2, v4, v148
	v_dual_mul_f32 v4, v23, v18 :: v_dual_add_f32 v1, v1, v3
	s_delay_alu instid0(VALU_DEP_2) | instskip(NEXT) | instid1(VALU_DEP_2)
	v_dual_add_f32 v2, v2, v150 :: v_dual_mul_f32 v3, v25, v20
	v_fma_f32 v4, v22, v17, -v4
	s_delay_alu instid0(VALU_DEP_2) | instskip(SKIP_1) | instid1(VALU_DEP_4)
	v_dual_add_f32 v1, v1, v5 :: v_dual_add_f32 v2, v2, v151
	v_mul_f32_e32 v5, v29, v27
	v_fma_f32 v3, v24, v19, -v3
	s_delay_alu instid0(VALU_DEP_3) | instskip(NEXT) | instid1(VALU_DEP_3)
	v_dual_add_f32 v1, v1, v4 :: v_dual_add_f32 v2, v2, v155
	v_fma_f32 v4, v28, v26, -v5
	s_delay_alu instid0(VALU_DEP_2) | instskip(NEXT) | instid1(VALU_DEP_1)
	v_dual_add_f32 v1, v1, v3 :: v_dual_add_f32 v2, v2, v156
	v_dual_add_f32 v1, v1, v4 :: v_dual_add_f32 v2, v2, v154
	s_delay_alu instid0(VALU_DEP_1)
	v_dual_sub_f32 v1, v152, v1 :: v_dual_sub_f32 v2, v153, v2
	scratch_store_b64 off, v[1:2], off offset:112
	v_cmpx_lt_u32_e32 13, v0
	s_cbranch_execz .LBB57_335
; %bb.334:
	scratch_load_b64 v[1:2], off, off offset:104
	v_mov_b32_e32 v22, v21
	scratch_store_b64 off, v[21:22], off offset:104
	s_wait_loadcnt 0x0
	ds_store_b64 v31, v[1:2]
.LBB57_335:
	s_wait_alu 0xfffe
	s_or_b32 exec_lo, exec_lo, s0
	s_wait_storecnt_dscnt 0x0
	s_barrier_signal -1
	s_barrier_wait -1
	global_inv scope:SCOPE_SE
	s_clause 0x4
	scratch_load_b128 v[5:8], off, off offset:112
	scratch_load_b128 v[1:4], off, off offset:128
	;; [unrolled: 1-line block ×5, first 2 shown]
	ds_load_b128 v[22:25], v21 offset:576
	ds_load_b128 v[26:29], v21 offset:592
	;; [unrolled: 1-line block ×3, first 2 shown]
	scratch_load_b64 v[152:153], off, off offset:104
	s_mov_b32 s0, exec_lo
	s_wait_loadcnt_dscnt 0x502
	v_dual_mul_f32 v30, v23, v6 :: v_dual_mul_f32 v155, v24, v8
	v_mul_f32_e32 v154, v22, v6
	v_mul_f32_e32 v6, v25, v8
	s_wait_loadcnt_dscnt 0x300
	v_mul_f32_e32 v156, v150, v12
	v_fma_f32 v22, v22, v5, -v30
	v_dual_fmac_f32 v155, v25, v7 :: v_dual_fmac_f32 v154, v23, v5
	v_mul_f32_e32 v25, v28, v4
	v_fma_f32 v23, v24, v7, -v6
	ds_load_b128 v[5:8], v21 offset:624
	v_mul_f32_e32 v24, v26, v2
	v_mul_f32_e32 v4, v29, v4
	;; [unrolled: 1-line block ×5, first 2 shown]
	v_dual_mul_f32 v2, v27, v2 :: v_dual_fmac_f32 v25, v29, v3
	v_fmac_f32_e32 v24, v27, v1
	v_fma_f32 v27, v28, v3, -v4
	v_fmac_f32_e32 v30, v149, v9
	v_fma_f32 v28, v148, v9, -v10
	;; [unrolled: 2-line block ×3, first 2 shown]
	ds_load_b128 v[9:12], v21 offset:640
	s_wait_loadcnt_dscnt 0x201
	v_mul_f32_e32 v148, v5, v14
	v_dual_mul_f32 v14, v6, v14 :: v_dual_mul_f32 v149, v7, v16
	v_mul_f32_e32 v16, v8, v16
	s_delay_alu instid0(VALU_DEP_3) | instskip(NEXT) | instid1(VALU_DEP_3)
	v_fmac_f32_e32 v148, v6, v13
	v_fma_f32 v13, v5, v13, -v14
	s_delay_alu instid0(VALU_DEP_4) | instskip(NEXT) | instid1(VALU_DEP_4)
	v_fmac_f32_e32 v149, v8, v15
	v_fma_f32 v14, v7, v15, -v16
	ds_load_b128 v[5:8], v21 offset:656
	s_wait_loadcnt_dscnt 0x101
	v_mul_f32_e32 v15, v9, v18
	v_mul_f32_e32 v16, v10, v18
	;; [unrolled: 1-line block ×3, first 2 shown]
	s_delay_alu instid0(VALU_DEP_3)
	v_dual_mul_f32 v20, v12, v20 :: v_dual_fmac_f32 v15, v10, v17
	v_fma_f32 v26, v26, v1, -v2
	scratch_load_b128 v[1:4], off, off offset:192
	v_fma_f32 v16, v9, v17, -v16
	v_fmac_f32_e32 v18, v12, v19
	v_fma_f32 v17, v11, v19, -v20
	scratch_load_b128 v[9:12], off, off offset:208
	s_wait_loadcnt_dscnt 0x100
	v_mul_f32_e32 v19, v5, v2
	v_mul_f32_e32 v2, v6, v2
	;; [unrolled: 1-line block ×3, first 2 shown]
	s_delay_alu instid0(VALU_DEP_3) | instskip(NEXT) | instid1(VALU_DEP_3)
	v_dual_mul_f32 v4, v8, v4 :: v_dual_fmac_f32 v19, v6, v1
	v_fma_f32 v150, v5, v1, -v2
	s_delay_alu instid0(VALU_DEP_3) | instskip(NEXT) | instid1(VALU_DEP_3)
	v_fmac_f32_e32 v20, v8, v3
	v_fma_f32 v151, v7, v3, -v4
	ds_load_b128 v[1:4], v21 offset:672
	ds_load_b128 v[5:8], v21 offset:688
	s_wait_loadcnt_dscnt 0x1
	v_mul_f32_e32 v157, v1, v10
	v_mul_f32_e32 v10, v2, v10
	s_delay_alu instid0(VALU_DEP_2) | instskip(NEXT) | instid1(VALU_DEP_2)
	v_dual_mul_f32 v158, v3, v12 :: v_dual_fmac_f32 v157, v2, v9
	v_fma_f32 v159, v1, v9, -v10
	v_mul_f32_e32 v1, v4, v12
	s_delay_alu instid0(VALU_DEP_3) | instskip(NEXT) | instid1(VALU_DEP_2)
	v_fmac_f32_e32 v158, v4, v11
	v_fma_f32 v160, v3, v11, -v1
	s_clause 0x1
	scratch_load_b128 v[1:4], off, off offset:224
	scratch_load_b128 v[9:12], off, off offset:240
	s_wait_loadcnt_dscnt 0x100
	v_mul_f32_e32 v161, v5, v2
	v_dual_mul_f32 v2, v6, v2 :: v_dual_mul_f32 v163, v7, v4
	s_delay_alu instid0(VALU_DEP_2) | instskip(NEXT) | instid1(VALU_DEP_2)
	v_fmac_f32_e32 v161, v6, v1
	v_fma_f32 v162, v5, v1, -v2
	v_mul_f32_e32 v1, v8, v4
	s_delay_alu instid0(VALU_DEP_4) | instskip(NEXT) | instid1(VALU_DEP_2)
	v_fmac_f32_e32 v163, v8, v3
	v_fma_f32 v164, v7, v3, -v1
	ds_load_b128 v[1:4], v21 offset:704
	ds_load_b128 v[5:8], v21 offset:720
	s_wait_loadcnt_dscnt 0x1
	v_mul_f32_e32 v165, v1, v10
	v_mul_f32_e32 v167, v3, v12
	s_delay_alu instid0(VALU_DEP_2) | instskip(NEXT) | instid1(VALU_DEP_2)
	v_fmac_f32_e32 v165, v2, v9
	v_dual_mul_f32 v2, v2, v10 :: v_dual_fmac_f32 v167, v4, v11
	s_delay_alu instid0(VALU_DEP_1) | instskip(SKIP_1) | instid1(VALU_DEP_1)
	v_fma_f32 v166, v1, v9, -v2
	v_mul_f32_e32 v1, v4, v12
	v_fma_f32 v168, v3, v11, -v1
	s_clause 0x1
	scratch_load_b128 v[1:4], off, off offset:256
	scratch_load_b128 v[9:12], off, off offset:272
	s_wait_loadcnt_dscnt 0x100
	v_mul_f32_e32 v169, v5, v2
	v_dual_mul_f32 v2, v6, v2 :: v_dual_mul_f32 v171, v7, v4
	s_delay_alu instid0(VALU_DEP_2) | instskip(NEXT) | instid1(VALU_DEP_2)
	v_fmac_f32_e32 v169, v6, v1
	v_fma_f32 v170, v5, v1, -v2
	v_mul_f32_e32 v1, v8, v4
	s_delay_alu instid0(VALU_DEP_4) | instskip(NEXT) | instid1(VALU_DEP_2)
	v_fmac_f32_e32 v171, v8, v3
	v_fma_f32 v172, v7, v3, -v1
	ds_load_b128 v[1:4], v21 offset:736
	ds_load_b128 v[5:8], v21 offset:752
	s_wait_loadcnt_dscnt 0x1
	v_mul_f32_e32 v173, v1, v10
	v_mul_f32_e32 v175, v3, v12
	s_delay_alu instid0(VALU_DEP_2) | instskip(NEXT) | instid1(VALU_DEP_2)
	v_fmac_f32_e32 v173, v2, v9
	v_dual_mul_f32 v2, v2, v10 :: v_dual_fmac_f32 v175, v4, v11
	s_delay_alu instid0(VALU_DEP_1) | instskip(SKIP_1) | instid1(VALU_DEP_1)
	v_fma_f32 v174, v1, v9, -v2
	v_mul_f32_e32 v1, v4, v12
	;; [unrolled: 25-line block ×5, first 2 shown]
	v_fma_f32 v200, v3, v11, -v1
	s_clause 0x1
	scratch_load_b128 v[1:4], off, off offset:384
	scratch_load_b128 v[9:12], off, off offset:400
	s_wait_loadcnt_dscnt 0x100
	v_mul_f32_e32 v201, v5, v2
	v_mul_f32_e32 v2, v6, v2
	s_delay_alu instid0(VALU_DEP_1) | instskip(SKIP_1) | instid1(VALU_DEP_1)
	v_fma_f32 v202, v5, v1, -v2
	v_add_f32_e32 v2, 0, v154
	v_add_f32_e32 v2, v2, v155
	s_delay_alu instid0(VALU_DEP_1) | instskip(NEXT) | instid1(VALU_DEP_1)
	v_add_f32_e32 v2, v2, v24
	v_add_f32_e32 v2, v2, v25
	s_delay_alu instid0(VALU_DEP_1) | instskip(NEXT) | instid1(VALU_DEP_1)
	;; [unrolled: 3-line block ×8, first 2 shown]
	v_add_f32_e32 v2, v2, v165
	v_add_f32_e32 v2, v2, v167
	s_delay_alu instid0(VALU_DEP_1) | instskip(SKIP_2) | instid1(VALU_DEP_3)
	v_add_f32_e32 v2, v2, v169
	v_fmac_f32_e32 v201, v6, v1
	v_mul_f32_e32 v1, v8, v4
	v_dual_mul_f32 v203, v7, v4 :: v_dual_add_f32 v2, v2, v171
	s_delay_alu instid0(VALU_DEP_2) | instskip(SKIP_1) | instid1(VALU_DEP_3)
	v_fma_f32 v204, v7, v3, -v1
	v_add_f32_e32 v1, 0, v22
	v_add_f32_e32 v5, v2, v173
	s_delay_alu instid0(VALU_DEP_2) | instskip(NEXT) | instid1(VALU_DEP_2)
	v_add_f32_e32 v1, v1, v23
	v_add_f32_e32 v5, v5, v175
	s_delay_alu instid0(VALU_DEP_2) | instskip(NEXT) | instid1(VALU_DEP_2)
	v_add_f32_e32 v1, v1, v26
	v_add_f32_e32 v5, v5, v177
	s_delay_alu instid0(VALU_DEP_2) | instskip(NEXT) | instid1(VALU_DEP_1)
	v_add_f32_e32 v1, v1, v27
	v_add_f32_e32 v1, v1, v28
	s_delay_alu instid0(VALU_DEP_1) | instskip(NEXT) | instid1(VALU_DEP_1)
	v_add_f32_e32 v1, v1, v29
	v_add_f32_e32 v1, v1, v13
	s_delay_alu instid0(VALU_DEP_1) | instskip(SKIP_1) | instid1(VALU_DEP_2)
	v_add_f32_e32 v1, v1, v14
	v_add_f32_e32 v14, v5, v179
	;; [unrolled: 1-line block ×3, first 2 shown]
	s_delay_alu instid0(VALU_DEP_1) | instskip(NEXT) | instid1(VALU_DEP_1)
	v_add_f32_e32 v1, v1, v17
	v_add_f32_e32 v1, v1, v150
	s_delay_alu instid0(VALU_DEP_1) | instskip(NEXT) | instid1(VALU_DEP_1)
	v_add_f32_e32 v1, v1, v151
	v_add_f32_e32 v1, v1, v159
	;; [unrolled: 3-line block ×6, first 2 shown]
	s_delay_alu instid0(VALU_DEP_1) | instskip(SKIP_3) | instid1(VALU_DEP_2)
	v_dual_add_f32 v6, v1, v176 :: v_dual_fmac_f32 v203, v8, v3
	ds_load_b128 v[1:4], v21 offset:864
	v_add_f32_e32 v14, v14, v181
	v_add_f32_e32 v6, v6, v178
	;; [unrolled: 1-line block ×3, first 2 shown]
	s_delay_alu instid0(VALU_DEP_2) | instskip(SKIP_4) | instid1(VALU_DEP_2)
	v_add_f32_e32 v13, v6, v180
	ds_load_b128 v[5:8], v21 offset:880
	s_wait_loadcnt_dscnt 0x1
	v_dual_mul_f32 v25, v1, v10 :: v_dual_mul_f32 v26, v3, v12
	v_mul_f32_e32 v10, v2, v10
	v_dual_mul_f32 v12, v4, v12 :: v_dual_fmac_f32 v25, v2, v9
	s_delay_alu instid0(VALU_DEP_3) | instskip(NEXT) | instid1(VALU_DEP_3)
	v_fmac_f32_e32 v26, v4, v11
	v_fma_f32 v27, v1, v9, -v10
	s_delay_alu instid0(VALU_DEP_3)
	v_fma_f32 v28, v3, v11, -v12
	s_clause 0x1
	scratch_load_b128 v[1:4], off, off offset:416
	scratch_load_b128 v[9:12], off, off offset:432
	s_wait_loadcnt_dscnt 0x100
	v_mul_f32_e32 v148, v5, v2
	v_add_f32_e32 v13, v13, v182
	v_dual_mul_f32 v2, v6, v2 :: v_dual_mul_f32 v149, v7, v4
	v_mul_f32_e32 v4, v8, v4
	s_delay_alu instid0(VALU_DEP_3) | instskip(SKIP_1) | instid1(VALU_DEP_4)
	v_dual_fmac_f32 v148, v6, v1 :: v_dual_add_f32 v13, v13, v184
	v_add_f32_e32 v17, v14, v185
	v_fma_f32 v2, v5, v1, -v2
	v_fmac_f32_e32 v149, v8, v3
	v_fma_f32 v3, v7, v3, -v4
	v_add_f32_e32 v13, v13, v186
	v_add_f32_e32 v17, v17, v187
	s_delay_alu instid0(VALU_DEP_2) | instskip(SKIP_2) | instid1(VALU_DEP_1)
	v_add_f32_e32 v18, v13, v188
	scratch_load_b128 v[13:16], off, off offset:448
	v_dual_add_f32 v17, v17, v189 :: v_dual_add_f32 v18, v18, v190
	v_dual_add_f32 v17, v17, v191 :: v_dual_add_f32 v18, v18, v192
	s_delay_alu instid0(VALU_DEP_1) | instskip(SKIP_4) | instid1(VALU_DEP_1)
	v_dual_add_f32 v23, v17, v193 :: v_dual_add_f32 v22, v18, v194
	ds_load_b128 v[17:20], v21 offset:896
	v_dual_add_f32 v30, v23, v195 :: v_dual_add_f32 v29, v22, v196
	ds_load_b128 v[21:24], v21 offset:912
	v_dual_add_f32 v30, v30, v197 :: v_dual_add_f32 v29, v29, v198
	v_dual_add_f32 v30, v30, v199 :: v_dual_add_f32 v29, v29, v200
	s_delay_alu instid0(VALU_DEP_1) | instskip(SKIP_2) | instid1(VALU_DEP_2)
	v_dual_add_f32 v30, v30, v201 :: v_dual_add_f32 v29, v29, v202
	s_wait_loadcnt_dscnt 0x101
	v_mul_f32_e32 v150, v17, v10
	v_add_f32_e32 v30, v30, v203
	v_dual_mul_f32 v6, v18, v10 :: v_dual_mul_f32 v151, v19, v12
	v_add_f32_e32 v29, v29, v204
	v_mul_f32_e32 v4, v20, v12
	s_delay_alu instid0(VALU_DEP_3) | instskip(NEXT) | instid1(VALU_DEP_3)
	v_dual_fmac_f32 v150, v18, v9 :: v_dual_fmac_f32 v151, v20, v11
	v_add_f32_e32 v27, v29, v27
	s_delay_alu instid0(VALU_DEP_3) | instskip(NEXT) | instid1(VALU_DEP_2)
	v_fma_f32 v4, v19, v11, -v4
	v_add_f32_e32 v1, v27, v28
	s_delay_alu instid0(VALU_DEP_1) | instskip(NEXT) | instid1(VALU_DEP_1)
	v_add_f32_e32 v1, v1, v2
	v_add_f32_e32 v1, v1, v3
	s_wait_loadcnt_dscnt 0x0
	v_dual_mul_f32 v154, v21, v14 :: v_dual_add_f32 v25, v30, v25
	v_mul_f32_e32 v3, v22, v14
	s_delay_alu instid0(VALU_DEP_2) | instskip(NEXT) | instid1(VALU_DEP_3)
	v_dual_mul_f32 v29, v23, v16 :: v_dual_fmac_f32 v154, v22, v13
	v_add_f32_e32 v5, v25, v26
	s_delay_alu instid0(VALU_DEP_3) | instskip(NEXT) | instid1(VALU_DEP_2)
	v_fma_f32 v3, v21, v13, -v3
	v_dual_fmac_f32 v29, v24, v15 :: v_dual_add_f32 v2, v5, v148
	v_fma_f32 v5, v17, v9, -v6
	s_delay_alu instid0(VALU_DEP_2) | instskip(NEXT) | instid1(VALU_DEP_2)
	v_add_f32_e32 v2, v2, v149
	v_add_f32_e32 v1, v1, v5
	s_delay_alu instid0(VALU_DEP_2) | instskip(NEXT) | instid1(VALU_DEP_2)
	v_dual_mul_f32 v5, v24, v16 :: v_dual_add_f32 v2, v2, v150
	v_add_f32_e32 v1, v1, v4
	s_delay_alu instid0(VALU_DEP_2) | instskip(NEXT) | instid1(VALU_DEP_3)
	v_fma_f32 v4, v23, v15, -v5
	v_add_f32_e32 v2, v2, v151
	s_delay_alu instid0(VALU_DEP_1) | instskip(NEXT) | instid1(VALU_DEP_1)
	v_dual_add_f32 v1, v1, v3 :: v_dual_add_f32 v2, v2, v154
	v_dual_add_f32 v1, v1, v4 :: v_dual_add_f32 v2, v2, v29
	s_delay_alu instid0(VALU_DEP_1)
	v_dual_sub_f32 v1, v152, v1 :: v_dual_sub_f32 v2, v153, v2
	scratch_store_b64 off, v[1:2], off offset:104
	v_cmpx_lt_u32_e32 12, v0
	s_cbranch_execz .LBB57_337
; %bb.336:
	scratch_load_b64 v[1:2], off, off offset:96
	v_mov_b32_e32 v3, 0
	s_delay_alu instid0(VALU_DEP_1)
	v_mov_b32_e32 v4, v3
	scratch_store_b64 off, v[3:4], off offset:96
	s_wait_loadcnt 0x0
	ds_store_b64 v31, v[1:2]
.LBB57_337:
	s_wait_alu 0xfffe
	s_or_b32 exec_lo, exec_lo, s0
	s_wait_storecnt_dscnt 0x0
	s_barrier_signal -1
	s_barrier_wait -1
	global_inv scope:SCOPE_SE
	s_clause 0x4
	scratch_load_b128 v[5:8], off, off offset:104
	scratch_load_b128 v[1:4], off, off offset:120
	;; [unrolled: 1-line block ×5, first 2 shown]
	v_mov_b32_e32 v21, 0
	ds_load_2addr_b64 v[22:25], v21 offset0:71 offset1:72
	ds_load_2addr_b64 v[26:29], v21 offset0:73 offset1:74
	;; [unrolled: 1-line block ×3, first 2 shown]
	scratch_load_b64 v[152:153], off, off offset:96
	s_mov_b32 s0, exec_lo
	s_wait_loadcnt_dscnt 0x502
	v_mul_f32_e32 v30, v23, v6
	v_dual_mul_f32 v154, v22, v6 :: v_dual_mul_f32 v155, v24, v8
	v_mul_f32_e32 v6, v25, v8
	s_wait_loadcnt_dscnt 0x300
	v_mul_f32_e32 v156, v150, v12
	v_fma_f32 v22, v22, v5, -v30
	v_dual_fmac_f32 v154, v23, v5 :: v_dual_fmac_f32 v155, v25, v7
	v_fma_f32 v23, v24, v7, -v6
	v_dual_mul_f32 v24, v26, v2 :: v_dual_mul_f32 v25, v28, v4
	v_mul_f32_e32 v2, v27, v2
	v_mul_f32_e32 v4, v29, v4
	ds_load_2addr_b64 v[5:8], v21 offset0:77 offset1:78
	v_mul_f32_e32 v30, v148, v10
	v_dual_fmac_f32 v24, v27, v1 :: v_dual_fmac_f32 v25, v29, v3
	v_fma_f32 v26, v26, v1, -v2
	v_fma_f32 v27, v28, v3, -v4
	v_mul_f32_e32 v12, v151, v12
	scratch_load_b128 v[1:4], off, off offset:184
	v_mul_f32_e32 v10, v149, v10
	v_fmac_f32_e32 v30, v149, v9
	v_fmac_f32_e32 v156, v151, v11
	v_fma_f32 v29, v150, v11, -v12
	s_delay_alu instid0(VALU_DEP_4)
	v_fma_f32 v28, v148, v9, -v10
	ds_load_2addr_b64 v[9:12], v21 offset0:79 offset1:80
	s_wait_loadcnt_dscnt 0x301
	v_mul_f32_e32 v148, v5, v14
	v_dual_mul_f32 v14, v6, v14 :: v_dual_mul_f32 v149, v7, v16
	v_mul_f32_e32 v16, v8, v16
	s_delay_alu instid0(VALU_DEP_3) | instskip(NEXT) | instid1(VALU_DEP_3)
	v_fmac_f32_e32 v148, v6, v13
	v_fma_f32 v13, v5, v13, -v14
	s_delay_alu instid0(VALU_DEP_4) | instskip(NEXT) | instid1(VALU_DEP_4)
	v_fmac_f32_e32 v149, v8, v15
	v_fma_f32 v14, v7, v15, -v16
	ds_load_2addr_b64 v[5:8], v21 offset0:81 offset1:82
	s_wait_loadcnt_dscnt 0x201
	v_mul_f32_e32 v15, v9, v18
	v_mul_f32_e32 v16, v10, v18
	;; [unrolled: 1-line block ×3, first 2 shown]
	s_delay_alu instid0(VALU_DEP_3) | instskip(NEXT) | instid1(VALU_DEP_3)
	v_dual_mul_f32 v20, v12, v20 :: v_dual_fmac_f32 v15, v10, v17
	v_fma_f32 v16, v9, v17, -v16
	s_delay_alu instid0(VALU_DEP_3) | instskip(NEXT) | instid1(VALU_DEP_3)
	v_fmac_f32_e32 v18, v12, v19
	v_fma_f32 v17, v11, v19, -v20
	scratch_load_b128 v[9:12], off, off offset:200
	s_wait_loadcnt_dscnt 0x100
	v_mul_f32_e32 v19, v5, v2
	v_mul_f32_e32 v2, v6, v2
	;; [unrolled: 1-line block ×3, first 2 shown]
	s_delay_alu instid0(VALU_DEP_3) | instskip(NEXT) | instid1(VALU_DEP_3)
	v_dual_mul_f32 v4, v8, v4 :: v_dual_fmac_f32 v19, v6, v1
	v_fma_f32 v150, v5, v1, -v2
	s_delay_alu instid0(VALU_DEP_3) | instskip(NEXT) | instid1(VALU_DEP_3)
	v_fmac_f32_e32 v20, v8, v3
	v_fma_f32 v151, v7, v3, -v4
	ds_load_2addr_b64 v[1:4], v21 offset0:83 offset1:84
	ds_load_2addr_b64 v[5:8], v21 offset0:85 offset1:86
	s_wait_loadcnt_dscnt 0x1
	v_mul_f32_e32 v157, v1, v10
	v_mul_f32_e32 v10, v2, v10
	s_delay_alu instid0(VALU_DEP_2) | instskip(NEXT) | instid1(VALU_DEP_2)
	v_dual_mul_f32 v158, v3, v12 :: v_dual_fmac_f32 v157, v2, v9
	v_fma_f32 v159, v1, v9, -v10
	v_mul_f32_e32 v1, v4, v12
	s_delay_alu instid0(VALU_DEP_3) | instskip(NEXT) | instid1(VALU_DEP_2)
	v_fmac_f32_e32 v158, v4, v11
	v_fma_f32 v160, v3, v11, -v1
	s_clause 0x1
	scratch_load_b128 v[1:4], off, off offset:216
	scratch_load_b128 v[9:12], off, off offset:232
	s_wait_loadcnt_dscnt 0x100
	v_mul_f32_e32 v161, v5, v2
	v_dual_mul_f32 v2, v6, v2 :: v_dual_mul_f32 v163, v7, v4
	s_delay_alu instid0(VALU_DEP_2) | instskip(NEXT) | instid1(VALU_DEP_2)
	v_fmac_f32_e32 v161, v6, v1
	v_fma_f32 v162, v5, v1, -v2
	v_mul_f32_e32 v1, v8, v4
	s_delay_alu instid0(VALU_DEP_4) | instskip(NEXT) | instid1(VALU_DEP_2)
	v_fmac_f32_e32 v163, v8, v3
	v_fma_f32 v164, v7, v3, -v1
	ds_load_2addr_b64 v[1:4], v21 offset0:87 offset1:88
	ds_load_2addr_b64 v[5:8], v21 offset0:89 offset1:90
	s_wait_loadcnt_dscnt 0x1
	v_mul_f32_e32 v165, v1, v10
	v_mul_f32_e32 v167, v3, v12
	s_delay_alu instid0(VALU_DEP_2) | instskip(NEXT) | instid1(VALU_DEP_2)
	v_fmac_f32_e32 v165, v2, v9
	v_dual_mul_f32 v2, v2, v10 :: v_dual_fmac_f32 v167, v4, v11
	s_delay_alu instid0(VALU_DEP_1) | instskip(SKIP_1) | instid1(VALU_DEP_1)
	v_fma_f32 v166, v1, v9, -v2
	v_mul_f32_e32 v1, v4, v12
	v_fma_f32 v168, v3, v11, -v1
	s_clause 0x1
	scratch_load_b128 v[1:4], off, off offset:248
	scratch_load_b128 v[9:12], off, off offset:264
	s_wait_loadcnt_dscnt 0x100
	v_mul_f32_e32 v169, v5, v2
	v_dual_mul_f32 v2, v6, v2 :: v_dual_mul_f32 v171, v7, v4
	s_delay_alu instid0(VALU_DEP_2) | instskip(NEXT) | instid1(VALU_DEP_2)
	v_fmac_f32_e32 v169, v6, v1
	v_fma_f32 v170, v5, v1, -v2
	v_mul_f32_e32 v1, v8, v4
	s_delay_alu instid0(VALU_DEP_4) | instskip(NEXT) | instid1(VALU_DEP_2)
	v_fmac_f32_e32 v171, v8, v3
	v_fma_f32 v172, v7, v3, -v1
	ds_load_2addr_b64 v[1:4], v21 offset0:91 offset1:92
	ds_load_2addr_b64 v[5:8], v21 offset0:93 offset1:94
	s_wait_loadcnt_dscnt 0x1
	v_mul_f32_e32 v173, v1, v10
	v_mul_f32_e32 v175, v3, v12
	s_delay_alu instid0(VALU_DEP_2) | instskip(NEXT) | instid1(VALU_DEP_2)
	v_fmac_f32_e32 v173, v2, v9
	v_dual_mul_f32 v2, v2, v10 :: v_dual_fmac_f32 v175, v4, v11
	s_delay_alu instid0(VALU_DEP_1) | instskip(SKIP_1) | instid1(VALU_DEP_1)
	v_fma_f32 v174, v1, v9, -v2
	v_mul_f32_e32 v1, v4, v12
	;; [unrolled: 25-line block ×5, first 2 shown]
	v_fma_f32 v200, v3, v11, -v1
	s_clause 0x1
	scratch_load_b128 v[1:4], off, off offset:376
	scratch_load_b128 v[9:12], off, off offset:392
	s_wait_loadcnt_dscnt 0x100
	v_mul_f32_e32 v201, v5, v2
	v_mul_f32_e32 v2, v6, v2
	s_delay_alu instid0(VALU_DEP_1) | instskip(SKIP_1) | instid1(VALU_DEP_1)
	v_fma_f32 v202, v5, v1, -v2
	v_add_f32_e32 v2, 0, v154
	v_add_f32_e32 v2, v2, v155
	s_delay_alu instid0(VALU_DEP_1) | instskip(NEXT) | instid1(VALU_DEP_1)
	v_add_f32_e32 v2, v2, v24
	v_add_f32_e32 v2, v2, v25
	s_delay_alu instid0(VALU_DEP_1) | instskip(NEXT) | instid1(VALU_DEP_1)
	;; [unrolled: 3-line block ×8, first 2 shown]
	v_add_f32_e32 v2, v2, v165
	v_add_f32_e32 v2, v2, v167
	s_delay_alu instid0(VALU_DEP_1) | instskip(SKIP_2) | instid1(VALU_DEP_3)
	v_add_f32_e32 v2, v2, v169
	v_fmac_f32_e32 v201, v6, v1
	v_mul_f32_e32 v1, v8, v4
	v_dual_mul_f32 v203, v7, v4 :: v_dual_add_f32 v2, v2, v171
	s_delay_alu instid0(VALU_DEP_2) | instskip(SKIP_1) | instid1(VALU_DEP_3)
	v_fma_f32 v204, v7, v3, -v1
	v_add_f32_e32 v1, 0, v22
	v_add_f32_e32 v5, v2, v173
	s_delay_alu instid0(VALU_DEP_2) | instskip(NEXT) | instid1(VALU_DEP_2)
	v_add_f32_e32 v1, v1, v23
	v_add_f32_e32 v5, v5, v175
	s_delay_alu instid0(VALU_DEP_2) | instskip(NEXT) | instid1(VALU_DEP_1)
	v_add_f32_e32 v1, v1, v26
	v_add_f32_e32 v1, v1, v27
	scratch_load_b64 v[26:27], off, off offset:456
	v_add_f32_e32 v1, v1, v28
	s_delay_alu instid0(VALU_DEP_1) | instskip(NEXT) | instid1(VALU_DEP_1)
	v_add_f32_e32 v1, v1, v29
	v_add_f32_e32 v1, v1, v13
	s_delay_alu instid0(VALU_DEP_1) | instskip(NEXT) | instid1(VALU_DEP_1)
	v_add_f32_e32 v1, v1, v14
	;; [unrolled: 3-line block ×8, first 2 shown]
	v_add_f32_e32 v1, v1, v174
	s_delay_alu instid0(VALU_DEP_1) | instskip(SKIP_2) | instid1(VALU_DEP_1)
	v_dual_add_f32 v6, v1, v176 :: v_dual_fmac_f32 v203, v8, v3
	ds_load_2addr_b64 v[1:4], v21 offset0:107 offset1:108
	v_dual_add_f32 v5, v5, v177 :: v_dual_add_f32 v6, v6, v178
	v_dual_add_f32 v14, v5, v179 :: v_dual_add_f32 v13, v6, v180
	ds_load_2addr_b64 v[5:8], v21 offset0:109 offset1:110
	v_add_f32_e32 v14, v14, v181
	s_delay_alu instid0(VALU_DEP_1)
	v_add_f32_e32 v14, v14, v183
	s_wait_loadcnt_dscnt 0x101
	v_mul_f32_e32 v30, v1, v10
	v_mul_f32_e32 v10, v2, v10
	v_mul_f32_e32 v148, v3, v12
	v_mul_f32_e32 v12, v4, v12
	s_delay_alu instid0(VALU_DEP_4) | instskip(NEXT) | instid1(VALU_DEP_4)
	v_fmac_f32_e32 v30, v2, v9
	v_fma_f32 v149, v1, v9, -v10
	s_delay_alu instid0(VALU_DEP_4) | instskip(NEXT) | instid1(VALU_DEP_4)
	v_fmac_f32_e32 v148, v4, v11
	v_fma_f32 v150, v3, v11, -v12
	s_clause 0x1
	scratch_load_b128 v[1:4], off, off offset:408
	scratch_load_b128 v[9:12], off, off offset:424
	s_wait_loadcnt_dscnt 0x100
	v_mul_f32_e32 v155, v5, v2
	v_mul_f32_e32 v2, v6, v2
	;; [unrolled: 1-line block ×3, first 2 shown]
	s_delay_alu instid0(VALU_DEP_3) | instskip(NEXT) | instid1(VALU_DEP_3)
	v_dual_mul_f32 v4, v8, v4 :: v_dual_fmac_f32 v155, v6, v1
	v_fma_f32 v2, v5, v1, -v2
	s_delay_alu instid0(VALU_DEP_3) | instskip(NEXT) | instid1(VALU_DEP_3)
	v_dual_add_f32 v17, v14, v185 :: v_dual_fmac_f32 v156, v8, v3
	v_fma_f32 v1, v7, v3, -v4
	s_delay_alu instid0(VALU_DEP_2) | instskip(NEXT) | instid1(VALU_DEP_1)
	v_add_f32_e32 v17, v17, v187
	v_add_f32_e32 v17, v17, v189
	s_delay_alu instid0(VALU_DEP_1) | instskip(NEXT) | instid1(VALU_DEP_1)
	v_add_f32_e32 v17, v17, v191
	v_add_f32_e32 v17, v17, v193
	s_delay_alu instid0(VALU_DEP_1) | instskip(NEXT) | instid1(VALU_DEP_1)
	v_add_f32_e32 v22, v17, v195
	v_add_f32_e32 v29, v22, v197
	ds_load_2addr_b64 v[22:25], v21 offset0:113 offset1:114
	v_add_f32_e32 v154, v29, v199
	v_add_f32_e32 v13, v13, v182
	s_delay_alu instid0(VALU_DEP_1) | instskip(NEXT) | instid1(VALU_DEP_1)
	v_add_f32_e32 v13, v13, v184
	v_add_f32_e32 v13, v13, v186
	s_delay_alu instid0(VALU_DEP_1) | instskip(SKIP_3) | instid1(VALU_DEP_2)
	v_add_f32_e32 v18, v13, v188
	scratch_load_b128 v[13:16], off, off offset:440
	v_add_f32_e32 v154, v154, v201
	v_add_f32_e32 v18, v18, v190
	;; [unrolled: 1-line block ×3, first 2 shown]
	s_delay_alu instid0(VALU_DEP_2) | instskip(NEXT) | instid1(VALU_DEP_2)
	v_add_f32_e32 v18, v18, v192
	v_add_f32_e32 v30, v154, v30
	s_delay_alu instid0(VALU_DEP_2) | instskip(NEXT) | instid1(VALU_DEP_2)
	v_add_f32_e32 v18, v18, v194
	v_add_f32_e32 v30, v30, v148
	;; [unrolled: 3-line block ×3, first 2 shown]
	s_delay_alu instid0(VALU_DEP_2)
	v_add_f32_e32 v28, v18, v198
	ds_load_2addr_b64 v[17:20], v21 offset0:111 offset1:112
	v_add_f32_e32 v151, v28, v200
	ds_load_b64 v[28:29], v21 offset:920
	s_wait_loadcnt_dscnt 0x101
	v_dual_mul_f32 v3, v18, v10 :: v_dual_mul_f32 v154, v19, v12
	v_mul_f32_e32 v5, v20, v12
	s_delay_alu instid0(VALU_DEP_2) | instskip(NEXT) | instid1(VALU_DEP_3)
	v_fma_f32 v3, v17, v9, -v3
	v_fmac_f32_e32 v154, v20, v11
	s_delay_alu instid0(VALU_DEP_3) | instskip(SKIP_2) | instid1(VALU_DEP_1)
	v_fma_f32 v5, v19, v11, -v5
	s_wait_dscnt 0x0
	v_mul_f32_e32 v148, v28, v27
	v_fmac_f32_e32 v148, v29, v26
	v_add_f32_e32 v151, v151, v202
	s_delay_alu instid0(VALU_DEP_1) | instskip(NEXT) | instid1(VALU_DEP_1)
	v_add_f32_e32 v151, v151, v204
	v_add_f32_e32 v149, v151, v149
	v_mul_f32_e32 v151, v17, v10
	s_delay_alu instid0(VALU_DEP_2) | instskip(NEXT) | instid1(VALU_DEP_1)
	v_add_f32_e32 v149, v149, v150
	v_dual_fmac_f32 v151, v18, v9 :: v_dual_add_f32 v2, v149, v2
	s_delay_alu instid0(VALU_DEP_1) | instskip(NEXT) | instid1(VALU_DEP_1)
	v_dual_add_f32 v1, v2, v1 :: v_dual_add_f32 v2, v4, v156
	v_add_f32_e32 v1, v1, v3
	s_delay_alu instid0(VALU_DEP_1) | instskip(NEXT) | instid1(VALU_DEP_1)
	v_dual_add_f32 v2, v2, v151 :: v_dual_add_f32 v1, v1, v5
	v_dual_add_f32 v2, v2, v154 :: v_dual_mul_f32 v5, v29, v27
	s_wait_loadcnt 0x0
	v_mul_f32_e32 v157, v22, v14
	v_mul_f32_e32 v4, v23, v14
	;; [unrolled: 1-line block ×4, first 2 shown]
	s_delay_alu instid0(VALU_DEP_4) | instskip(NEXT) | instid1(VALU_DEP_4)
	v_fmac_f32_e32 v157, v23, v13
	v_fma_f32 v4, v22, v13, -v4
	s_delay_alu instid0(VALU_DEP_4) | instskip(NEXT) | instid1(VALU_DEP_4)
	v_fmac_f32_e32 v150, v25, v15
	v_fma_f32 v3, v24, v15, -v3
	s_delay_alu instid0(VALU_DEP_3) | instskip(SKIP_1) | instid1(VALU_DEP_2)
	v_dual_add_f32 v2, v2, v157 :: v_dual_add_f32 v1, v1, v4
	v_fma_f32 v4, v28, v26, -v5
	v_dual_add_f32 v2, v2, v150 :: v_dual_add_f32 v1, v1, v3
	s_delay_alu instid0(VALU_DEP_1) | instskip(NEXT) | instid1(VALU_DEP_2)
	v_add_f32_e32 v2, v2, v148
	v_add_f32_e32 v1, v1, v4
	s_delay_alu instid0(VALU_DEP_1)
	v_dual_sub_f32 v2, v153, v2 :: v_dual_sub_f32 v1, v152, v1
	scratch_store_b64 off, v[1:2], off offset:96
	v_cmpx_lt_u32_e32 11, v0
	s_cbranch_execz .LBB57_339
; %bb.338:
	scratch_load_b64 v[1:2], off, off offset:88
	v_mov_b32_e32 v22, v21
	scratch_store_b64 off, v[21:22], off offset:88
	s_wait_loadcnt 0x0
	ds_store_b64 v31, v[1:2]
.LBB57_339:
	s_wait_alu 0xfffe
	s_or_b32 exec_lo, exec_lo, s0
	s_wait_storecnt_dscnt 0x0
	s_barrier_signal -1
	s_barrier_wait -1
	global_inv scope:SCOPE_SE
	s_clause 0x4
	scratch_load_b128 v[5:8], off, off offset:96
	scratch_load_b128 v[1:4], off, off offset:112
	;; [unrolled: 1-line block ×5, first 2 shown]
	ds_load_b128 v[22:25], v21 offset:560
	ds_load_b128 v[26:29], v21 offset:576
	;; [unrolled: 1-line block ×3, first 2 shown]
	scratch_load_b64 v[152:153], off, off offset:88
	s_mov_b32 s0, exec_lo
	s_wait_loadcnt_dscnt 0x502
	v_dual_mul_f32 v30, v23, v6 :: v_dual_mul_f32 v155, v24, v8
	v_mul_f32_e32 v154, v22, v6
	v_mul_f32_e32 v6, v25, v8
	s_wait_loadcnt_dscnt 0x300
	v_mul_f32_e32 v156, v150, v12
	v_fma_f32 v22, v22, v5, -v30
	v_dual_fmac_f32 v155, v25, v7 :: v_dual_fmac_f32 v154, v23, v5
	v_mul_f32_e32 v25, v28, v4
	v_fma_f32 v23, v24, v7, -v6
	ds_load_b128 v[5:8], v21 offset:608
	v_mul_f32_e32 v24, v26, v2
	v_mul_f32_e32 v4, v29, v4
	;; [unrolled: 1-line block ×5, first 2 shown]
	v_dual_mul_f32 v2, v27, v2 :: v_dual_fmac_f32 v25, v29, v3
	v_fmac_f32_e32 v24, v27, v1
	v_fma_f32 v27, v28, v3, -v4
	v_fmac_f32_e32 v30, v149, v9
	v_fma_f32 v28, v148, v9, -v10
	;; [unrolled: 2-line block ×3, first 2 shown]
	ds_load_b128 v[9:12], v21 offset:624
	s_wait_loadcnt_dscnt 0x201
	v_mul_f32_e32 v148, v5, v14
	v_dual_mul_f32 v14, v6, v14 :: v_dual_mul_f32 v149, v7, v16
	v_mul_f32_e32 v16, v8, v16
	s_delay_alu instid0(VALU_DEP_3) | instskip(NEXT) | instid1(VALU_DEP_3)
	v_fmac_f32_e32 v148, v6, v13
	v_fma_f32 v13, v5, v13, -v14
	s_delay_alu instid0(VALU_DEP_4) | instskip(NEXT) | instid1(VALU_DEP_4)
	v_fmac_f32_e32 v149, v8, v15
	v_fma_f32 v14, v7, v15, -v16
	ds_load_b128 v[5:8], v21 offset:640
	s_wait_loadcnt_dscnt 0x101
	v_mul_f32_e32 v15, v9, v18
	v_mul_f32_e32 v16, v10, v18
	;; [unrolled: 1-line block ×3, first 2 shown]
	s_delay_alu instid0(VALU_DEP_3)
	v_dual_mul_f32 v20, v12, v20 :: v_dual_fmac_f32 v15, v10, v17
	v_fma_f32 v26, v26, v1, -v2
	scratch_load_b128 v[1:4], off, off offset:176
	v_fma_f32 v16, v9, v17, -v16
	v_fmac_f32_e32 v18, v12, v19
	v_fma_f32 v17, v11, v19, -v20
	scratch_load_b128 v[9:12], off, off offset:192
	s_wait_loadcnt_dscnt 0x100
	v_mul_f32_e32 v19, v5, v2
	v_mul_f32_e32 v2, v6, v2
	;; [unrolled: 1-line block ×3, first 2 shown]
	s_delay_alu instid0(VALU_DEP_3) | instskip(NEXT) | instid1(VALU_DEP_3)
	v_dual_mul_f32 v4, v8, v4 :: v_dual_fmac_f32 v19, v6, v1
	v_fma_f32 v150, v5, v1, -v2
	s_delay_alu instid0(VALU_DEP_3) | instskip(NEXT) | instid1(VALU_DEP_3)
	v_fmac_f32_e32 v20, v8, v3
	v_fma_f32 v151, v7, v3, -v4
	ds_load_b128 v[1:4], v21 offset:656
	ds_load_b128 v[5:8], v21 offset:672
	s_wait_loadcnt_dscnt 0x1
	v_mul_f32_e32 v157, v1, v10
	v_mul_f32_e32 v10, v2, v10
	s_delay_alu instid0(VALU_DEP_2) | instskip(NEXT) | instid1(VALU_DEP_2)
	v_dual_mul_f32 v158, v3, v12 :: v_dual_fmac_f32 v157, v2, v9
	v_fma_f32 v159, v1, v9, -v10
	v_mul_f32_e32 v1, v4, v12
	s_delay_alu instid0(VALU_DEP_3) | instskip(NEXT) | instid1(VALU_DEP_2)
	v_fmac_f32_e32 v158, v4, v11
	v_fma_f32 v160, v3, v11, -v1
	s_clause 0x1
	scratch_load_b128 v[1:4], off, off offset:208
	scratch_load_b128 v[9:12], off, off offset:224
	s_wait_loadcnt_dscnt 0x100
	v_mul_f32_e32 v161, v5, v2
	v_dual_mul_f32 v2, v6, v2 :: v_dual_mul_f32 v163, v7, v4
	s_delay_alu instid0(VALU_DEP_2) | instskip(NEXT) | instid1(VALU_DEP_2)
	v_fmac_f32_e32 v161, v6, v1
	v_fma_f32 v162, v5, v1, -v2
	v_mul_f32_e32 v1, v8, v4
	s_delay_alu instid0(VALU_DEP_4) | instskip(NEXT) | instid1(VALU_DEP_2)
	v_fmac_f32_e32 v163, v8, v3
	v_fma_f32 v164, v7, v3, -v1
	ds_load_b128 v[1:4], v21 offset:688
	ds_load_b128 v[5:8], v21 offset:704
	s_wait_loadcnt_dscnt 0x1
	v_mul_f32_e32 v165, v1, v10
	v_mul_f32_e32 v167, v3, v12
	s_delay_alu instid0(VALU_DEP_2) | instskip(NEXT) | instid1(VALU_DEP_2)
	v_fmac_f32_e32 v165, v2, v9
	v_dual_mul_f32 v2, v2, v10 :: v_dual_fmac_f32 v167, v4, v11
	s_delay_alu instid0(VALU_DEP_1) | instskip(SKIP_1) | instid1(VALU_DEP_1)
	v_fma_f32 v166, v1, v9, -v2
	v_mul_f32_e32 v1, v4, v12
	v_fma_f32 v168, v3, v11, -v1
	s_clause 0x1
	scratch_load_b128 v[1:4], off, off offset:240
	scratch_load_b128 v[9:12], off, off offset:256
	s_wait_loadcnt_dscnt 0x100
	v_mul_f32_e32 v169, v5, v2
	v_dual_mul_f32 v2, v6, v2 :: v_dual_mul_f32 v171, v7, v4
	s_delay_alu instid0(VALU_DEP_2) | instskip(NEXT) | instid1(VALU_DEP_2)
	v_fmac_f32_e32 v169, v6, v1
	v_fma_f32 v170, v5, v1, -v2
	v_mul_f32_e32 v1, v8, v4
	s_delay_alu instid0(VALU_DEP_4) | instskip(NEXT) | instid1(VALU_DEP_2)
	v_fmac_f32_e32 v171, v8, v3
	v_fma_f32 v172, v7, v3, -v1
	ds_load_b128 v[1:4], v21 offset:720
	ds_load_b128 v[5:8], v21 offset:736
	s_wait_loadcnt_dscnt 0x1
	v_mul_f32_e32 v173, v1, v10
	v_mul_f32_e32 v175, v3, v12
	s_delay_alu instid0(VALU_DEP_2) | instskip(NEXT) | instid1(VALU_DEP_2)
	v_fmac_f32_e32 v173, v2, v9
	v_dual_mul_f32 v2, v2, v10 :: v_dual_fmac_f32 v175, v4, v11
	s_delay_alu instid0(VALU_DEP_1) | instskip(SKIP_1) | instid1(VALU_DEP_1)
	v_fma_f32 v174, v1, v9, -v2
	v_mul_f32_e32 v1, v4, v12
	;; [unrolled: 25-line block ×5, first 2 shown]
	v_fma_f32 v200, v3, v11, -v1
	s_clause 0x1
	scratch_load_b128 v[1:4], off, off offset:368
	scratch_load_b128 v[9:12], off, off offset:384
	s_wait_loadcnt_dscnt 0x100
	v_mul_f32_e32 v201, v5, v2
	v_mul_f32_e32 v2, v6, v2
	s_delay_alu instid0(VALU_DEP_1) | instskip(SKIP_1) | instid1(VALU_DEP_1)
	v_fma_f32 v202, v5, v1, -v2
	v_add_f32_e32 v2, 0, v154
	v_add_f32_e32 v2, v2, v155
	s_delay_alu instid0(VALU_DEP_1) | instskip(NEXT) | instid1(VALU_DEP_1)
	v_add_f32_e32 v2, v2, v24
	v_add_f32_e32 v2, v2, v25
	s_delay_alu instid0(VALU_DEP_1) | instskip(NEXT) | instid1(VALU_DEP_1)
	v_add_f32_e32 v2, v2, v30
	v_add_f32_e32 v2, v2, v156
	s_delay_alu instid0(VALU_DEP_1) | instskip(NEXT) | instid1(VALU_DEP_1)
	v_add_f32_e32 v2, v2, v148
	v_add_f32_e32 v2, v2, v149
	s_delay_alu instid0(VALU_DEP_1) | instskip(NEXT) | instid1(VALU_DEP_1)
	v_add_f32_e32 v2, v2, v15
	v_add_f32_e32 v2, v2, v18
	s_delay_alu instid0(VALU_DEP_1) | instskip(NEXT) | instid1(VALU_DEP_1)
	v_add_f32_e32 v2, v2, v19
	v_add_f32_e32 v2, v2, v20
	s_delay_alu instid0(VALU_DEP_1) | instskip(NEXT) | instid1(VALU_DEP_1)
	v_add_f32_e32 v2, v2, v157
	v_add_f32_e32 v2, v2, v158
	s_delay_alu instid0(VALU_DEP_1) | instskip(NEXT) | instid1(VALU_DEP_1)
	v_add_f32_e32 v2, v2, v161
	v_add_f32_e32 v2, v2, v163
	s_delay_alu instid0(VALU_DEP_1) | instskip(NEXT) | instid1(VALU_DEP_1)
	v_add_f32_e32 v2, v2, v165
	v_add_f32_e32 v2, v2, v167
	s_delay_alu instid0(VALU_DEP_1) | instskip(SKIP_2) | instid1(VALU_DEP_3)
	v_add_f32_e32 v2, v2, v169
	v_fmac_f32_e32 v201, v6, v1
	v_mul_f32_e32 v1, v8, v4
	v_dual_mul_f32 v203, v7, v4 :: v_dual_add_f32 v2, v2, v171
	s_delay_alu instid0(VALU_DEP_2) | instskip(SKIP_1) | instid1(VALU_DEP_3)
	v_fma_f32 v204, v7, v3, -v1
	v_add_f32_e32 v1, 0, v22
	v_dual_fmac_f32 v203, v8, v3 :: v_dual_add_f32 v2, v2, v173
	s_delay_alu instid0(VALU_DEP_2) | instskip(NEXT) | instid1(VALU_DEP_2)
	v_add_f32_e32 v1, v1, v23
	v_add_f32_e32 v5, v2, v175
	s_delay_alu instid0(VALU_DEP_2) | instskip(NEXT) | instid1(VALU_DEP_1)
	v_add_f32_e32 v1, v1, v26
	v_add_f32_e32 v1, v1, v27
	s_delay_alu instid0(VALU_DEP_1) | instskip(NEXT) | instid1(VALU_DEP_1)
	v_add_f32_e32 v1, v1, v28
	v_add_f32_e32 v1, v1, v29
	s_delay_alu instid0(VALU_DEP_1) | instskip(SKIP_1) | instid1(VALU_DEP_2)
	v_add_f32_e32 v1, v1, v13
	v_add_f32_e32 v13, v5, v177
	;; [unrolled: 1-line block ×3, first 2 shown]
	s_delay_alu instid0(VALU_DEP_2) | instskip(NEXT) | instid1(VALU_DEP_2)
	v_add_f32_e32 v13, v13, v179
	v_add_f32_e32 v1, v1, v16
	s_delay_alu instid0(VALU_DEP_1) | instskip(NEXT) | instid1(VALU_DEP_1)
	v_add_f32_e32 v1, v1, v17
	v_add_f32_e32 v1, v1, v150
	s_delay_alu instid0(VALU_DEP_1) | instskip(NEXT) | instid1(VALU_DEP_1)
	;; [unrolled: 3-line block ×7, first 2 shown]
	v_add_f32_e32 v1, v1, v176
	v_add_f32_e32 v6, v1, v178
	ds_load_b128 v[1:4], v21 offset:848
	v_dual_add_f32 v13, v13, v181 :: v_dual_add_f32 v14, v6, v180
	scratch_load_b128 v[5:8], off, off offset:400
	v_add_f32_e32 v18, v13, v183
	v_add_f32_e32 v14, v14, v182
	s_delay_alu instid0(VALU_DEP_2) | instskip(NEXT) | instid1(VALU_DEP_2)
	v_add_f32_e32 v18, v18, v185
	v_add_f32_e32 v17, v14, v184
	ds_load_b128 v[13:16], v21 offset:864
	v_dual_add_f32 v18, v18, v187 :: v_dual_add_f32 v17, v17, v186
	s_wait_loadcnt_dscnt 0x101
	v_mul_f32_e32 v25, v1, v10
	v_mul_f32_e32 v10, v2, v10
	;; [unrolled: 1-line block ×4, first 2 shown]
	v_add_f32_e32 v17, v17, v188
	v_fmac_f32_e32 v25, v2, v9
	v_fma_f32 v27, v1, v9, -v10
	v_fmac_f32_e32 v26, v4, v11
	v_fma_f32 v28, v3, v11, -v12
	s_clause 0x1
	scratch_load_b128 v[1:4], off, off offset:416
	scratch_load_b128 v[9:12], off, off offset:432
	v_dual_add_f32 v17, v17, v190 :: v_dual_add_f32 v22, v18, v189
	s_delay_alu instid0(VALU_DEP_1) | instskip(SKIP_2) | instid1(VALU_DEP_1)
	v_add_f32_e32 v23, v17, v192
	scratch_load_b128 v[17:20], off, off offset:448
	v_dual_add_f32 v22, v22, v191 :: v_dual_add_f32 v23, v23, v194
	v_dual_add_f32 v22, v22, v193 :: v_dual_add_f32 v23, v23, v196
	s_wait_loadcnt_dscnt 0x300
	v_mul_f32_e32 v29, v13, v6
	v_mul_f32_e32 v6, v14, v6
	;; [unrolled: 1-line block ×3, first 2 shown]
	s_delay_alu instid0(VALU_DEP_3) | instskip(NEXT) | instid1(VALU_DEP_3)
	v_dual_mul_f32 v8, v16, v8 :: v_dual_fmac_f32 v29, v14, v5
	v_fma_f32 v148, v13, v5, -v6
	v_dual_add_f32 v13, v22, v195 :: v_dual_add_f32 v22, v23, v198
	s_delay_alu instid0(VALU_DEP_4) | instskip(NEXT) | instid1(VALU_DEP_4)
	v_fmac_f32_e32 v30, v16, v7
	v_fma_f32 v149, v15, v7, -v8
	ds_load_b128 v[5:8], v21 offset:880
	v_dual_add_f32 v23, v13, v197 :: v_dual_add_f32 v150, v22, v200
	ds_load_b128 v[13:16], v21 offset:896
	v_dual_add_f32 v151, v23, v199 :: v_dual_add_f32 v150, v150, v202
	;; [unrolled: 2-line block ×3, first 2 shown]
	s_delay_alu instid0(VALU_DEP_1) | instskip(SKIP_1) | instid1(VALU_DEP_2)
	v_add_f32_e32 v151, v151, v203
	s_wait_loadcnt_dscnt 0x202
	v_dual_add_f32 v27, v150, v27 :: v_dual_mul_f32 v154, v5, v2
	s_delay_alu instid0(VALU_DEP_2) | instskip(NEXT) | instid1(VALU_DEP_2)
	v_add_f32_e32 v25, v151, v25
	v_dual_add_f32 v27, v27, v28 :: v_dual_mul_f32 v2, v6, v2
	v_mul_f32_e32 v150, v7, v4
	s_delay_alu instid0(VALU_DEP_3) | instskip(NEXT) | instid1(VALU_DEP_3)
	v_dual_mul_f32 v4, v8, v4 :: v_dual_add_f32 v25, v25, v26
	v_add_f32_e32 v27, v27, v148
	s_delay_alu instid0(VALU_DEP_4)
	v_fma_f32 v2, v5, v1, -v2
	s_wait_loadcnt_dscnt 0x101
	v_dual_fmac_f32 v154, v6, v1 :: v_dual_mul_f32 v151, v13, v10
	v_add_f32_e32 v25, v25, v29
	v_dual_add_f32 v1, v27, v149 :: v_dual_mul_f32 v6, v14, v10
	v_fmac_f32_e32 v150, v8, v3
	v_fma_f32 v3, v7, v3, -v4
	s_delay_alu instid0(VALU_DEP_4) | instskip(NEXT) | instid1(VALU_DEP_4)
	v_add_f32_e32 v5, v25, v30
	v_add_f32_e32 v1, v1, v2
	v_mul_f32_e32 v155, v15, v12
	v_dual_mul_f32 v4, v16, v12 :: v_dual_fmac_f32 v151, v14, v9
	s_delay_alu instid0(VALU_DEP_4)
	v_add_f32_e32 v2, v5, v154
	v_fma_f32 v5, v13, v9, -v6
	v_add_f32_e32 v1, v1, v3
	s_wait_loadcnt_dscnt 0x0
	v_mul_f32_e32 v26, v21, v18
	v_mul_f32_e32 v3, v22, v18
	v_dual_add_f32 v2, v2, v150 :: v_dual_fmac_f32 v155, v16, v11
	v_fma_f32 v4, v15, v11, -v4
	v_dual_add_f32 v1, v1, v5 :: v_dual_mul_f32 v28, v23, v20
	s_delay_alu instid0(VALU_DEP_3) | instskip(SKIP_2) | instid1(VALU_DEP_3)
	v_dual_add_f32 v2, v2, v151 :: v_dual_mul_f32 v5, v24, v20
	v_fmac_f32_e32 v26, v22, v17
	v_fma_f32 v3, v21, v17, -v3
	v_dual_add_f32 v1, v1, v4 :: v_dual_add_f32 v2, v2, v155
	v_fmac_f32_e32 v28, v24, v19
	v_fma_f32 v4, v23, v19, -v5
	s_delay_alu instid0(VALU_DEP_3) | instskip(NEXT) | instid1(VALU_DEP_1)
	v_dual_add_f32 v1, v1, v3 :: v_dual_add_f32 v2, v2, v26
	v_add_f32_e32 v1, v1, v4
	s_delay_alu instid0(VALU_DEP_1) | instskip(NEXT) | instid1(VALU_DEP_1)
	v_dual_add_f32 v2, v2, v28 :: v_dual_sub_f32 v1, v152, v1
	v_sub_f32_e32 v2, v153, v2
	scratch_store_b64 off, v[1:2], off offset:88
	v_cmpx_lt_u32_e32 10, v0
	s_cbranch_execz .LBB57_341
; %bb.340:
	scratch_load_b64 v[1:2], off, off offset:80
	v_mov_b32_e32 v3, 0
	s_delay_alu instid0(VALU_DEP_1)
	v_mov_b32_e32 v4, v3
	scratch_store_b64 off, v[3:4], off offset:80
	s_wait_loadcnt 0x0
	ds_store_b64 v31, v[1:2]
.LBB57_341:
	s_wait_alu 0xfffe
	s_or_b32 exec_lo, exec_lo, s0
	s_wait_storecnt_dscnt 0x0
	s_barrier_signal -1
	s_barrier_wait -1
	global_inv scope:SCOPE_SE
	s_clause 0x4
	scratch_load_b128 v[5:8], off, off offset:88
	scratch_load_b128 v[1:4], off, off offset:104
	;; [unrolled: 1-line block ×5, first 2 shown]
	v_mov_b32_e32 v21, 0
	ds_load_2addr_b64 v[22:25], v21 offset0:69 offset1:70
	ds_load_2addr_b64 v[26:29], v21 offset0:71 offset1:72
	;; [unrolled: 1-line block ×3, first 2 shown]
	scratch_load_b64 v[152:153], off, off offset:80
	s_mov_b32 s0, exec_lo
	s_wait_loadcnt_dscnt 0x502
	v_mul_f32_e32 v30, v23, v6
	v_dual_mul_f32 v154, v22, v6 :: v_dual_mul_f32 v155, v24, v8
	v_mul_f32_e32 v6, v25, v8
	s_wait_loadcnt_dscnt 0x300
	v_mul_f32_e32 v156, v150, v12
	v_fma_f32 v22, v22, v5, -v30
	v_dual_fmac_f32 v154, v23, v5 :: v_dual_fmac_f32 v155, v25, v7
	v_fma_f32 v23, v24, v7, -v6
	v_dual_mul_f32 v24, v26, v2 :: v_dual_mul_f32 v25, v28, v4
	v_mul_f32_e32 v2, v27, v2
	v_mul_f32_e32 v4, v29, v4
	ds_load_2addr_b64 v[5:8], v21 offset0:75 offset1:76
	v_mul_f32_e32 v30, v148, v10
	v_dual_fmac_f32 v24, v27, v1 :: v_dual_fmac_f32 v25, v29, v3
	v_fma_f32 v26, v26, v1, -v2
	v_fma_f32 v27, v28, v3, -v4
	v_mul_f32_e32 v12, v151, v12
	scratch_load_b128 v[1:4], off, off offset:168
	v_mul_f32_e32 v10, v149, v10
	v_fmac_f32_e32 v30, v149, v9
	v_fmac_f32_e32 v156, v151, v11
	v_fma_f32 v29, v150, v11, -v12
	s_delay_alu instid0(VALU_DEP_4)
	v_fma_f32 v28, v148, v9, -v10
	ds_load_2addr_b64 v[9:12], v21 offset0:77 offset1:78
	s_wait_loadcnt_dscnt 0x301
	v_mul_f32_e32 v148, v5, v14
	v_dual_mul_f32 v14, v6, v14 :: v_dual_mul_f32 v149, v7, v16
	v_mul_f32_e32 v16, v8, v16
	s_delay_alu instid0(VALU_DEP_3) | instskip(NEXT) | instid1(VALU_DEP_3)
	v_fmac_f32_e32 v148, v6, v13
	v_fma_f32 v13, v5, v13, -v14
	s_delay_alu instid0(VALU_DEP_4) | instskip(NEXT) | instid1(VALU_DEP_4)
	v_fmac_f32_e32 v149, v8, v15
	v_fma_f32 v14, v7, v15, -v16
	ds_load_2addr_b64 v[5:8], v21 offset0:79 offset1:80
	s_wait_loadcnt_dscnt 0x201
	v_mul_f32_e32 v15, v9, v18
	v_mul_f32_e32 v16, v10, v18
	;; [unrolled: 1-line block ×3, first 2 shown]
	s_delay_alu instid0(VALU_DEP_3) | instskip(NEXT) | instid1(VALU_DEP_3)
	v_dual_mul_f32 v20, v12, v20 :: v_dual_fmac_f32 v15, v10, v17
	v_fma_f32 v16, v9, v17, -v16
	s_delay_alu instid0(VALU_DEP_3) | instskip(NEXT) | instid1(VALU_DEP_3)
	v_fmac_f32_e32 v18, v12, v19
	v_fma_f32 v17, v11, v19, -v20
	scratch_load_b128 v[9:12], off, off offset:184
	s_wait_loadcnt_dscnt 0x100
	v_mul_f32_e32 v19, v5, v2
	v_mul_f32_e32 v2, v6, v2
	;; [unrolled: 1-line block ×3, first 2 shown]
	s_delay_alu instid0(VALU_DEP_3) | instskip(NEXT) | instid1(VALU_DEP_3)
	v_dual_mul_f32 v4, v8, v4 :: v_dual_fmac_f32 v19, v6, v1
	v_fma_f32 v150, v5, v1, -v2
	s_delay_alu instid0(VALU_DEP_3) | instskip(NEXT) | instid1(VALU_DEP_3)
	v_fmac_f32_e32 v20, v8, v3
	v_fma_f32 v151, v7, v3, -v4
	ds_load_2addr_b64 v[1:4], v21 offset0:81 offset1:82
	ds_load_2addr_b64 v[5:8], v21 offset0:83 offset1:84
	s_wait_loadcnt_dscnt 0x1
	v_mul_f32_e32 v157, v1, v10
	v_mul_f32_e32 v10, v2, v10
	s_delay_alu instid0(VALU_DEP_2) | instskip(NEXT) | instid1(VALU_DEP_2)
	v_dual_mul_f32 v158, v3, v12 :: v_dual_fmac_f32 v157, v2, v9
	v_fma_f32 v159, v1, v9, -v10
	v_mul_f32_e32 v1, v4, v12
	s_delay_alu instid0(VALU_DEP_3) | instskip(NEXT) | instid1(VALU_DEP_2)
	v_fmac_f32_e32 v158, v4, v11
	v_fma_f32 v160, v3, v11, -v1
	s_clause 0x1
	scratch_load_b128 v[1:4], off, off offset:200
	scratch_load_b128 v[9:12], off, off offset:216
	s_wait_loadcnt_dscnt 0x100
	v_mul_f32_e32 v161, v5, v2
	v_dual_mul_f32 v2, v6, v2 :: v_dual_mul_f32 v163, v7, v4
	s_delay_alu instid0(VALU_DEP_2) | instskip(NEXT) | instid1(VALU_DEP_2)
	v_fmac_f32_e32 v161, v6, v1
	v_fma_f32 v162, v5, v1, -v2
	v_mul_f32_e32 v1, v8, v4
	s_delay_alu instid0(VALU_DEP_4) | instskip(NEXT) | instid1(VALU_DEP_2)
	v_fmac_f32_e32 v163, v8, v3
	v_fma_f32 v164, v7, v3, -v1
	ds_load_2addr_b64 v[1:4], v21 offset0:85 offset1:86
	ds_load_2addr_b64 v[5:8], v21 offset0:87 offset1:88
	s_wait_loadcnt_dscnt 0x1
	v_mul_f32_e32 v165, v1, v10
	v_mul_f32_e32 v167, v3, v12
	s_delay_alu instid0(VALU_DEP_2) | instskip(NEXT) | instid1(VALU_DEP_2)
	v_fmac_f32_e32 v165, v2, v9
	v_dual_mul_f32 v2, v2, v10 :: v_dual_fmac_f32 v167, v4, v11
	s_delay_alu instid0(VALU_DEP_1) | instskip(SKIP_1) | instid1(VALU_DEP_1)
	v_fma_f32 v166, v1, v9, -v2
	v_mul_f32_e32 v1, v4, v12
	v_fma_f32 v168, v3, v11, -v1
	s_clause 0x1
	scratch_load_b128 v[1:4], off, off offset:232
	scratch_load_b128 v[9:12], off, off offset:248
	s_wait_loadcnt_dscnt 0x100
	v_mul_f32_e32 v169, v5, v2
	v_dual_mul_f32 v2, v6, v2 :: v_dual_mul_f32 v171, v7, v4
	s_delay_alu instid0(VALU_DEP_2) | instskip(NEXT) | instid1(VALU_DEP_2)
	v_fmac_f32_e32 v169, v6, v1
	v_fma_f32 v170, v5, v1, -v2
	v_mul_f32_e32 v1, v8, v4
	s_delay_alu instid0(VALU_DEP_4) | instskip(NEXT) | instid1(VALU_DEP_2)
	v_fmac_f32_e32 v171, v8, v3
	v_fma_f32 v172, v7, v3, -v1
	ds_load_2addr_b64 v[1:4], v21 offset0:89 offset1:90
	ds_load_2addr_b64 v[5:8], v21 offset0:91 offset1:92
	s_wait_loadcnt_dscnt 0x1
	v_mul_f32_e32 v173, v1, v10
	v_mul_f32_e32 v175, v3, v12
	s_delay_alu instid0(VALU_DEP_2) | instskip(NEXT) | instid1(VALU_DEP_2)
	v_fmac_f32_e32 v173, v2, v9
	v_dual_mul_f32 v2, v2, v10 :: v_dual_fmac_f32 v175, v4, v11
	s_delay_alu instid0(VALU_DEP_1) | instskip(SKIP_1) | instid1(VALU_DEP_1)
	v_fma_f32 v174, v1, v9, -v2
	v_mul_f32_e32 v1, v4, v12
	v_fma_f32 v176, v3, v11, -v1
	s_clause 0x1
	scratch_load_b128 v[1:4], off, off offset:264
	scratch_load_b128 v[9:12], off, off offset:280
	s_wait_loadcnt_dscnt 0x100
	v_mul_f32_e32 v177, v5, v2
	v_dual_mul_f32 v2, v6, v2 :: v_dual_mul_f32 v179, v7, v4
	s_delay_alu instid0(VALU_DEP_1) | instskip(NEXT) | instid1(VALU_DEP_3)
	v_fma_f32 v178, v5, v1, -v2
	v_fmac_f32_e32 v177, v6, v1
	v_mul_f32_e32 v1, v8, v4
	s_delay_alu instid0(VALU_DEP_4) | instskip(NEXT) | instid1(VALU_DEP_2)
	v_fmac_f32_e32 v179, v8, v3
	v_fma_f32 v180, v7, v3, -v1
	ds_load_2addr_b64 v[1:4], v21 offset0:93 offset1:94
	ds_load_2addr_b64 v[5:8], v21 offset0:95 offset1:96
	s_wait_loadcnt_dscnt 0x1
	v_mul_f32_e32 v181, v1, v10
	v_mul_f32_e32 v183, v3, v12
	s_delay_alu instid0(VALU_DEP_1) | instskip(NEXT) | instid1(VALU_DEP_3)
	v_fmac_f32_e32 v183, v4, v11
	v_fmac_f32_e32 v181, v2, v9
	v_mul_f32_e32 v2, v2, v10
	s_delay_alu instid0(VALU_DEP_1) | instskip(SKIP_1) | instid1(VALU_DEP_1)
	v_fma_f32 v182, v1, v9, -v2
	v_mul_f32_e32 v1, v4, v12
	v_fma_f32 v184, v3, v11, -v1
	s_clause 0x1
	scratch_load_b128 v[1:4], off, off offset:296
	scratch_load_b128 v[9:12], off, off offset:312
	s_wait_loadcnt_dscnt 0x100
	v_mul_f32_e32 v185, v5, v2
	v_dual_mul_f32 v2, v6, v2 :: v_dual_mul_f32 v187, v7, v4
	s_delay_alu instid0(VALU_DEP_2) | instskip(NEXT) | instid1(VALU_DEP_2)
	v_fmac_f32_e32 v185, v6, v1
	v_fma_f32 v186, v5, v1, -v2
	v_mul_f32_e32 v1, v8, v4
	s_delay_alu instid0(VALU_DEP_4) | instskip(NEXT) | instid1(VALU_DEP_2)
	v_fmac_f32_e32 v187, v8, v3
	v_fma_f32 v188, v7, v3, -v1
	ds_load_2addr_b64 v[1:4], v21 offset0:97 offset1:98
	ds_load_2addr_b64 v[5:8], v21 offset0:99 offset1:100
	s_wait_loadcnt_dscnt 0x1
	v_mul_f32_e32 v189, v1, v10
	v_mul_f32_e32 v191, v3, v12
	s_delay_alu instid0(VALU_DEP_2) | instskip(NEXT) | instid1(VALU_DEP_2)
	v_fmac_f32_e32 v189, v2, v9
	v_dual_mul_f32 v2, v2, v10 :: v_dual_fmac_f32 v191, v4, v11
	s_delay_alu instid0(VALU_DEP_1) | instskip(SKIP_1) | instid1(VALU_DEP_1)
	v_fma_f32 v190, v1, v9, -v2
	v_mul_f32_e32 v1, v4, v12
	v_fma_f32 v192, v3, v11, -v1
	s_clause 0x1
	scratch_load_b128 v[1:4], off, off offset:328
	scratch_load_b128 v[9:12], off, off offset:344
	s_wait_loadcnt_dscnt 0x100
	v_mul_f32_e32 v193, v5, v2
	v_dual_mul_f32 v2, v6, v2 :: v_dual_mul_f32 v195, v7, v4
	s_delay_alu instid0(VALU_DEP_2) | instskip(NEXT) | instid1(VALU_DEP_2)
	v_fmac_f32_e32 v193, v6, v1
	v_fma_f32 v194, v5, v1, -v2
	v_mul_f32_e32 v1, v8, v4
	s_delay_alu instid0(VALU_DEP_4) | instskip(NEXT) | instid1(VALU_DEP_2)
	v_fmac_f32_e32 v195, v8, v3
	v_fma_f32 v196, v7, v3, -v1
	ds_load_2addr_b64 v[1:4], v21 offset0:101 offset1:102
	ds_load_2addr_b64 v[5:8], v21 offset0:103 offset1:104
	s_wait_loadcnt_dscnt 0x1
	v_mul_f32_e32 v197, v1, v10
	v_mul_f32_e32 v199, v3, v12
	s_delay_alu instid0(VALU_DEP_2) | instskip(NEXT) | instid1(VALU_DEP_2)
	v_fmac_f32_e32 v197, v2, v9
	v_dual_mul_f32 v2, v2, v10 :: v_dual_fmac_f32 v199, v4, v11
	s_delay_alu instid0(VALU_DEP_1) | instskip(SKIP_1) | instid1(VALU_DEP_1)
	v_fma_f32 v198, v1, v9, -v2
	v_mul_f32_e32 v1, v4, v12
	v_fma_f32 v200, v3, v11, -v1
	s_clause 0x1
	scratch_load_b128 v[1:4], off, off offset:360
	scratch_load_b128 v[9:12], off, off offset:376
	s_wait_loadcnt_dscnt 0x100
	v_mul_f32_e32 v201, v5, v2
	v_mul_f32_e32 v2, v6, v2
	s_delay_alu instid0(VALU_DEP_1) | instskip(SKIP_1) | instid1(VALU_DEP_1)
	v_fma_f32 v202, v5, v1, -v2
	v_add_f32_e32 v2, 0, v154
	v_add_f32_e32 v2, v2, v155
	s_delay_alu instid0(VALU_DEP_1) | instskip(NEXT) | instid1(VALU_DEP_1)
	v_add_f32_e32 v2, v2, v24
	v_add_f32_e32 v2, v2, v25
	s_delay_alu instid0(VALU_DEP_1) | instskip(NEXT) | instid1(VALU_DEP_1)
	;; [unrolled: 3-line block ×8, first 2 shown]
	v_add_f32_e32 v2, v2, v165
	v_add_f32_e32 v2, v2, v167
	s_delay_alu instid0(VALU_DEP_1) | instskip(SKIP_2) | instid1(VALU_DEP_3)
	v_add_f32_e32 v2, v2, v169
	v_fmac_f32_e32 v201, v6, v1
	v_mul_f32_e32 v1, v8, v4
	v_dual_mul_f32 v203, v7, v4 :: v_dual_add_f32 v2, v2, v171
	s_delay_alu instid0(VALU_DEP_2) | instskip(SKIP_1) | instid1(VALU_DEP_3)
	v_fma_f32 v204, v7, v3, -v1
	v_add_f32_e32 v1, 0, v22
	v_dual_fmac_f32 v203, v8, v3 :: v_dual_add_f32 v2, v2, v173
	s_delay_alu instid0(VALU_DEP_2) | instskip(NEXT) | instid1(VALU_DEP_2)
	v_add_f32_e32 v1, v1, v23
	v_add_f32_e32 v5, v2, v175
	s_delay_alu instid0(VALU_DEP_2) | instskip(NEXT) | instid1(VALU_DEP_1)
	v_add_f32_e32 v1, v1, v26
	v_add_f32_e32 v1, v1, v27
	scratch_load_b64 v[26:27], off, off offset:456
	v_add_f32_e32 v1, v1, v28
	s_delay_alu instid0(VALU_DEP_1) | instskip(NEXT) | instid1(VALU_DEP_1)
	v_add_f32_e32 v1, v1, v29
	v_add_f32_e32 v1, v1, v13
	s_delay_alu instid0(VALU_DEP_1) | instskip(NEXT) | instid1(VALU_DEP_1)
	v_add_f32_e32 v1, v1, v14
	;; [unrolled: 3-line block ×9, first 2 shown]
	v_add_f32_e32 v6, v1, v178
	scratch_load_b128 v[1:4], off, off offset:392
	v_dual_add_f32 v13, v5, v177 :: v_dual_add_f32 v14, v6, v180
	ds_load_2addr_b64 v[5:8], v21 offset0:105 offset1:106
	v_dual_add_f32 v13, v13, v179 :: v_dual_add_f32 v14, v14, v182
	s_delay_alu instid0(VALU_DEP_1) | instskip(NEXT) | instid1(VALU_DEP_1)
	v_add_f32_e32 v13, v13, v181
	v_dual_add_f32 v17, v14, v184 :: v_dual_add_f32 v18, v13, v183
	ds_load_2addr_b64 v[13:16], v21 offset0:107 offset1:108
	s_wait_loadcnt_dscnt 0x201
	v_mul_f32_e32 v30, v5, v10
	v_add_f32_e32 v18, v18, v185
	v_mul_f32_e32 v148, v7, v12
	v_mul_f32_e32 v10, v6, v10
	;; [unrolled: 1-line block ×3, first 2 shown]
	v_fmac_f32_e32 v30, v6, v9
	v_add_f32_e32 v18, v18, v187
	v_fmac_f32_e32 v148, v8, v11
	v_fma_f32 v149, v5, v9, -v10
	v_fma_f32 v150, v7, v11, -v12
	scratch_load_b128 v[5:8], off, off offset:408
	v_add_f32_e32 v22, v18, v189
	scratch_load_b128 v[9:12], off, off offset:424
	v_add_f32_e32 v22, v22, v191
	s_delay_alu instid0(VALU_DEP_1) | instskip(SKIP_1) | instid1(VALU_DEP_1)
	v_add_f32_e32 v22, v22, v193
	s_wait_loadcnt_dscnt 0x200
	v_dual_add_f32 v22, v22, v195 :: v_dual_mul_f32 v151, v13, v2
	v_mul_f32_e32 v2, v14, v2
	v_mul_f32_e32 v154, v15, v4
	s_delay_alu instid0(VALU_DEP_3) | instskip(NEXT) | instid1(VALU_DEP_3)
	v_dual_mul_f32 v4, v16, v4 :: v_dual_fmac_f32 v151, v14, v1
	v_fma_f32 v155, v13, v1, -v2
	s_delay_alu instid0(VALU_DEP_3) | instskip(NEXT) | instid1(VALU_DEP_3)
	v_dual_add_f32 v13, v22, v197 :: v_dual_fmac_f32 v154, v16, v3
	v_fma_f32 v156, v15, v3, -v4
	ds_load_2addr_b64 v[1:4], v21 offset0:109 offset1:110
	v_add_f32_e32 v22, v13, v199
	v_add_f32_e32 v17, v17, v186
	s_delay_alu instid0(VALU_DEP_2) | instskip(NEXT) | instid1(VALU_DEP_2)
	v_add_f32_e32 v29, v22, v201
	v_add_f32_e32 v17, v17, v188
	s_delay_alu instid0(VALU_DEP_2) | instskip(NEXT) | instid1(VALU_DEP_2)
	v_add_f32_e32 v158, v29, v203
	v_add_f32_e32 v17, v17, v190
	s_delay_alu instid0(VALU_DEP_1) | instskip(SKIP_2) | instid1(VALU_DEP_1)
	v_dual_add_f32 v30, v158, v30 :: v_dual_add_f32 v23, v17, v192
	scratch_load_b128 v[17:20], off, off offset:440
	v_dual_add_f32 v30, v30, v148 :: v_dual_add_f32 v23, v23, v194
	v_dual_add_f32 v30, v30, v151 :: v_dual_add_f32 v23, v23, v196
	s_delay_alu instid0(VALU_DEP_1) | instskip(NEXT) | instid1(VALU_DEP_2)
	v_add_f32_e32 v30, v30, v154
	v_add_f32_e32 v23, v23, v198
	s_delay_alu instid0(VALU_DEP_1)
	v_add_f32_e32 v14, v23, v200
	ds_load_2addr_b64 v[22:25], v21 offset0:113 offset1:114
	v_add_f32_e32 v28, v14, v202
	ds_load_2addr_b64 v[13:16], v21 offset0:111 offset1:112
	s_wait_loadcnt_dscnt 0x202
	v_mul_f32_e32 v148, v3, v8
	v_mul_f32_e32 v8, v4, v8
	v_add_f32_e32 v157, v28, v204
	ds_load_b64 v[28:29], v21 offset:920
	v_dual_fmac_f32 v148, v4, v7 :: v_dual_add_f32 v149, v157, v149
	v_mul_f32_e32 v157, v1, v6
	v_mul_f32_e32 v6, v2, v6
	s_delay_alu instid0(VALU_DEP_3) | instskip(NEXT) | instid1(VALU_DEP_3)
	v_add_f32_e32 v149, v149, v150
	v_fmac_f32_e32 v157, v2, v5
	s_delay_alu instid0(VALU_DEP_3) | instskip(SKIP_1) | instid1(VALU_DEP_4)
	v_fma_f32 v1, v1, v5, -v6
	v_fma_f32 v2, v3, v7, -v8
	v_add_f32_e32 v149, v149, v155
	s_wait_loadcnt_dscnt 0x101
	v_mul_f32_e32 v150, v13, v10
	v_mul_f32_e32 v3, v14, v10
	v_dual_add_f32 v4, v30, v157 :: v_dual_mul_f32 v151, v15, v12
	v_add_f32_e32 v149, v149, v156
	s_delay_alu instid0(VALU_DEP_4) | instskip(NEXT) | instid1(VALU_DEP_4)
	v_dual_mul_f32 v5, v16, v12 :: v_dual_fmac_f32 v150, v14, v9
	v_fma_f32 v3, v13, v9, -v3
	s_delay_alu instid0(VALU_DEP_4) | instskip(NEXT) | instid1(VALU_DEP_4)
	v_fmac_f32_e32 v151, v16, v11
	v_add_f32_e32 v1, v149, v1
	s_delay_alu instid0(VALU_DEP_4) | instskip(SKIP_1) | instid1(VALU_DEP_2)
	v_fma_f32 v5, v15, v11, -v5
	s_wait_dscnt 0x0
	v_dual_mul_f32 v154, v28, v27 :: v_dual_add_f32 v1, v1, v2
	v_add_f32_e32 v2, v4, v148
	s_delay_alu instid0(VALU_DEP_2) | instskip(NEXT) | instid1(VALU_DEP_2)
	v_fmac_f32_e32 v154, v29, v26
	v_dual_add_f32 v1, v1, v3 :: v_dual_add_f32 v2, v2, v150
	s_delay_alu instid0(VALU_DEP_1)
	v_dual_add_f32 v1, v1, v5 :: v_dual_add_f32 v2, v2, v151
	v_mul_f32_e32 v5, v29, v27
	s_wait_loadcnt 0x0
	v_mul_f32_e32 v155, v22, v18
	v_mul_f32_e32 v4, v23, v18
	;; [unrolled: 1-line block ×4, first 2 shown]
	s_delay_alu instid0(VALU_DEP_4) | instskip(NEXT) | instid1(VALU_DEP_4)
	v_fmac_f32_e32 v155, v23, v17
	v_fma_f32 v4, v22, v17, -v4
	s_delay_alu instid0(VALU_DEP_4) | instskip(NEXT) | instid1(VALU_DEP_4)
	v_fmac_f32_e32 v156, v25, v19
	v_fma_f32 v3, v24, v19, -v3
	s_delay_alu instid0(VALU_DEP_3) | instskip(SKIP_1) | instid1(VALU_DEP_2)
	v_dual_add_f32 v2, v2, v155 :: v_dual_add_f32 v1, v1, v4
	v_fma_f32 v4, v28, v26, -v5
	v_dual_add_f32 v2, v2, v156 :: v_dual_add_f32 v1, v1, v3
	s_delay_alu instid0(VALU_DEP_1) | instskip(NEXT) | instid1(VALU_DEP_1)
	v_dual_add_f32 v2, v2, v154 :: v_dual_add_f32 v1, v1, v4
	v_dual_sub_f32 v2, v153, v2 :: v_dual_sub_f32 v1, v152, v1
	scratch_store_b64 off, v[1:2], off offset:80
	v_cmpx_lt_u32_e32 9, v0
	s_cbranch_execz .LBB57_343
; %bb.342:
	scratch_load_b64 v[1:2], off, off offset:72
	v_mov_b32_e32 v22, v21
	scratch_store_b64 off, v[21:22], off offset:72
	s_wait_loadcnt 0x0
	ds_store_b64 v31, v[1:2]
.LBB57_343:
	s_wait_alu 0xfffe
	s_or_b32 exec_lo, exec_lo, s0
	s_wait_storecnt_dscnt 0x0
	s_barrier_signal -1
	s_barrier_wait -1
	global_inv scope:SCOPE_SE
	s_clause 0x4
	scratch_load_b128 v[5:8], off, off offset:80
	scratch_load_b128 v[1:4], off, off offset:96
	;; [unrolled: 1-line block ×5, first 2 shown]
	ds_load_b128 v[22:25], v21 offset:544
	ds_load_b128 v[26:29], v21 offset:560
	;; [unrolled: 1-line block ×3, first 2 shown]
	scratch_load_b64 v[152:153], off, off offset:72
	s_mov_b32 s0, exec_lo
	s_wait_loadcnt_dscnt 0x502
	v_dual_mul_f32 v30, v23, v6 :: v_dual_mul_f32 v155, v24, v8
	v_mul_f32_e32 v154, v22, v6
	v_mul_f32_e32 v6, v25, v8
	s_wait_loadcnt_dscnt 0x300
	v_mul_f32_e32 v156, v150, v12
	v_fma_f32 v22, v22, v5, -v30
	v_dual_fmac_f32 v155, v25, v7 :: v_dual_fmac_f32 v154, v23, v5
	v_mul_f32_e32 v25, v28, v4
	v_fma_f32 v23, v24, v7, -v6
	ds_load_b128 v[5:8], v21 offset:592
	v_mul_f32_e32 v24, v26, v2
	v_mul_f32_e32 v4, v29, v4
	;; [unrolled: 1-line block ×5, first 2 shown]
	v_dual_mul_f32 v2, v27, v2 :: v_dual_fmac_f32 v25, v29, v3
	v_fmac_f32_e32 v24, v27, v1
	v_fma_f32 v27, v28, v3, -v4
	v_fmac_f32_e32 v30, v149, v9
	v_fma_f32 v28, v148, v9, -v10
	;; [unrolled: 2-line block ×3, first 2 shown]
	ds_load_b128 v[9:12], v21 offset:608
	s_wait_loadcnt_dscnt 0x201
	v_mul_f32_e32 v148, v5, v14
	v_dual_mul_f32 v14, v6, v14 :: v_dual_mul_f32 v149, v7, v16
	v_mul_f32_e32 v16, v8, v16
	s_delay_alu instid0(VALU_DEP_3) | instskip(NEXT) | instid1(VALU_DEP_3)
	v_fmac_f32_e32 v148, v6, v13
	v_fma_f32 v13, v5, v13, -v14
	s_delay_alu instid0(VALU_DEP_4) | instskip(NEXT) | instid1(VALU_DEP_4)
	v_fmac_f32_e32 v149, v8, v15
	v_fma_f32 v14, v7, v15, -v16
	ds_load_b128 v[5:8], v21 offset:624
	s_wait_loadcnt_dscnt 0x101
	v_mul_f32_e32 v15, v9, v18
	v_mul_f32_e32 v16, v10, v18
	;; [unrolled: 1-line block ×3, first 2 shown]
	s_delay_alu instid0(VALU_DEP_3)
	v_dual_mul_f32 v20, v12, v20 :: v_dual_fmac_f32 v15, v10, v17
	v_fma_f32 v26, v26, v1, -v2
	scratch_load_b128 v[1:4], off, off offset:160
	v_fma_f32 v16, v9, v17, -v16
	v_fmac_f32_e32 v18, v12, v19
	v_fma_f32 v17, v11, v19, -v20
	scratch_load_b128 v[9:12], off, off offset:176
	s_wait_loadcnt_dscnt 0x100
	v_mul_f32_e32 v19, v5, v2
	v_mul_f32_e32 v2, v6, v2
	;; [unrolled: 1-line block ×3, first 2 shown]
	s_delay_alu instid0(VALU_DEP_3) | instskip(NEXT) | instid1(VALU_DEP_3)
	v_dual_mul_f32 v4, v8, v4 :: v_dual_fmac_f32 v19, v6, v1
	v_fma_f32 v150, v5, v1, -v2
	s_delay_alu instid0(VALU_DEP_3) | instskip(NEXT) | instid1(VALU_DEP_3)
	v_fmac_f32_e32 v20, v8, v3
	v_fma_f32 v151, v7, v3, -v4
	ds_load_b128 v[1:4], v21 offset:640
	ds_load_b128 v[5:8], v21 offset:656
	s_wait_loadcnt_dscnt 0x1
	v_mul_f32_e32 v157, v1, v10
	v_mul_f32_e32 v10, v2, v10
	s_delay_alu instid0(VALU_DEP_2) | instskip(NEXT) | instid1(VALU_DEP_2)
	v_dual_mul_f32 v158, v3, v12 :: v_dual_fmac_f32 v157, v2, v9
	v_fma_f32 v159, v1, v9, -v10
	v_mul_f32_e32 v1, v4, v12
	s_delay_alu instid0(VALU_DEP_3) | instskip(NEXT) | instid1(VALU_DEP_2)
	v_fmac_f32_e32 v158, v4, v11
	v_fma_f32 v160, v3, v11, -v1
	s_clause 0x1
	scratch_load_b128 v[1:4], off, off offset:192
	scratch_load_b128 v[9:12], off, off offset:208
	s_wait_loadcnt_dscnt 0x100
	v_mul_f32_e32 v161, v5, v2
	v_dual_mul_f32 v2, v6, v2 :: v_dual_mul_f32 v163, v7, v4
	s_delay_alu instid0(VALU_DEP_2) | instskip(NEXT) | instid1(VALU_DEP_2)
	v_fmac_f32_e32 v161, v6, v1
	v_fma_f32 v162, v5, v1, -v2
	v_mul_f32_e32 v1, v8, v4
	s_delay_alu instid0(VALU_DEP_4) | instskip(NEXT) | instid1(VALU_DEP_2)
	v_fmac_f32_e32 v163, v8, v3
	v_fma_f32 v164, v7, v3, -v1
	ds_load_b128 v[1:4], v21 offset:672
	ds_load_b128 v[5:8], v21 offset:688
	s_wait_loadcnt_dscnt 0x1
	v_mul_f32_e32 v165, v1, v10
	v_mul_f32_e32 v167, v3, v12
	s_delay_alu instid0(VALU_DEP_2) | instskip(NEXT) | instid1(VALU_DEP_2)
	v_fmac_f32_e32 v165, v2, v9
	v_dual_mul_f32 v2, v2, v10 :: v_dual_fmac_f32 v167, v4, v11
	s_delay_alu instid0(VALU_DEP_1) | instskip(SKIP_1) | instid1(VALU_DEP_1)
	v_fma_f32 v166, v1, v9, -v2
	v_mul_f32_e32 v1, v4, v12
	v_fma_f32 v168, v3, v11, -v1
	s_clause 0x1
	scratch_load_b128 v[1:4], off, off offset:224
	scratch_load_b128 v[9:12], off, off offset:240
	s_wait_loadcnt_dscnt 0x100
	v_mul_f32_e32 v169, v5, v2
	v_dual_mul_f32 v2, v6, v2 :: v_dual_mul_f32 v171, v7, v4
	s_delay_alu instid0(VALU_DEP_2) | instskip(NEXT) | instid1(VALU_DEP_2)
	v_fmac_f32_e32 v169, v6, v1
	v_fma_f32 v170, v5, v1, -v2
	v_mul_f32_e32 v1, v8, v4
	s_delay_alu instid0(VALU_DEP_4) | instskip(NEXT) | instid1(VALU_DEP_2)
	v_fmac_f32_e32 v171, v8, v3
	v_fma_f32 v172, v7, v3, -v1
	ds_load_b128 v[1:4], v21 offset:704
	ds_load_b128 v[5:8], v21 offset:720
	s_wait_loadcnt_dscnt 0x1
	v_mul_f32_e32 v173, v1, v10
	v_mul_f32_e32 v175, v3, v12
	s_delay_alu instid0(VALU_DEP_2) | instskip(NEXT) | instid1(VALU_DEP_2)
	v_fmac_f32_e32 v173, v2, v9
	v_dual_mul_f32 v2, v2, v10 :: v_dual_fmac_f32 v175, v4, v11
	s_delay_alu instid0(VALU_DEP_1) | instskip(SKIP_1) | instid1(VALU_DEP_1)
	v_fma_f32 v174, v1, v9, -v2
	v_mul_f32_e32 v1, v4, v12
	;; [unrolled: 25-line block ×3, first 2 shown]
	v_fma_f32 v184, v3, v11, -v1
	s_clause 0x1
	scratch_load_b128 v[1:4], off, off offset:288
	scratch_load_b128 v[9:12], off, off offset:304
	s_wait_loadcnt_dscnt 0x100
	v_mul_f32_e32 v185, v5, v2
	v_dual_mul_f32 v2, v6, v2 :: v_dual_mul_f32 v187, v7, v4
	s_delay_alu instid0(VALU_DEP_1) | instskip(NEXT) | instid1(VALU_DEP_2)
	v_fma_f32 v186, v5, v1, -v2
	v_fmac_f32_e32 v187, v8, v3
	s_delay_alu instid0(VALU_DEP_4) | instskip(SKIP_1) | instid1(VALU_DEP_1)
	v_fmac_f32_e32 v185, v6, v1
	v_mul_f32_e32 v1, v8, v4
	v_fma_f32 v188, v7, v3, -v1
	ds_load_b128 v[1:4], v21 offset:768
	ds_load_b128 v[5:8], v21 offset:784
	s_wait_loadcnt_dscnt 0x1
	v_mul_f32_e32 v189, v1, v10
	v_mul_f32_e32 v191, v3, v12
	s_delay_alu instid0(VALU_DEP_2) | instskip(NEXT) | instid1(VALU_DEP_2)
	v_fmac_f32_e32 v189, v2, v9
	v_dual_mul_f32 v2, v2, v10 :: v_dual_fmac_f32 v191, v4, v11
	s_delay_alu instid0(VALU_DEP_1) | instskip(SKIP_1) | instid1(VALU_DEP_1)
	v_fma_f32 v190, v1, v9, -v2
	v_mul_f32_e32 v1, v4, v12
	v_fma_f32 v192, v3, v11, -v1
	s_clause 0x1
	scratch_load_b128 v[1:4], off, off offset:320
	scratch_load_b128 v[9:12], off, off offset:336
	s_wait_loadcnt_dscnt 0x100
	v_mul_f32_e32 v193, v5, v2
	v_dual_mul_f32 v2, v6, v2 :: v_dual_mul_f32 v195, v7, v4
	s_delay_alu instid0(VALU_DEP_2) | instskip(NEXT) | instid1(VALU_DEP_2)
	v_fmac_f32_e32 v193, v6, v1
	v_fma_f32 v194, v5, v1, -v2
	v_mul_f32_e32 v1, v8, v4
	s_delay_alu instid0(VALU_DEP_4) | instskip(NEXT) | instid1(VALU_DEP_2)
	v_fmac_f32_e32 v195, v8, v3
	v_fma_f32 v196, v7, v3, -v1
	ds_load_b128 v[1:4], v21 offset:800
	ds_load_b128 v[5:8], v21 offset:816
	s_wait_loadcnt_dscnt 0x1
	v_mul_f32_e32 v197, v1, v10
	v_mul_f32_e32 v199, v3, v12
	s_delay_alu instid0(VALU_DEP_2) | instskip(NEXT) | instid1(VALU_DEP_2)
	v_fmac_f32_e32 v197, v2, v9
	v_dual_mul_f32 v2, v2, v10 :: v_dual_fmac_f32 v199, v4, v11
	s_delay_alu instid0(VALU_DEP_1) | instskip(SKIP_1) | instid1(VALU_DEP_1)
	v_fma_f32 v198, v1, v9, -v2
	v_mul_f32_e32 v1, v4, v12
	v_fma_f32 v200, v3, v11, -v1
	s_clause 0x1
	scratch_load_b128 v[1:4], off, off offset:352
	scratch_load_b128 v[9:12], off, off offset:368
	s_wait_loadcnt_dscnt 0x100
	v_mul_f32_e32 v201, v5, v2
	v_dual_mul_f32 v2, v6, v2 :: v_dual_mul_f32 v203, v7, v4
	s_delay_alu instid0(VALU_DEP_2) | instskip(NEXT) | instid1(VALU_DEP_2)
	v_fmac_f32_e32 v201, v6, v1
	v_fma_f32 v202, v5, v1, -v2
	v_mul_f32_e32 v1, v8, v4
	s_delay_alu instid0(VALU_DEP_4) | instskip(NEXT) | instid1(VALU_DEP_2)
	v_fmac_f32_e32 v203, v8, v3
	v_fma_f32 v204, v7, v3, -v1
	ds_load_b128 v[1:4], v21 offset:832
	ds_load_b128 v[5:8], v21 offset:848
	s_wait_loadcnt_dscnt 0x1
	v_mul_f32_e32 v205, v1, v10
	v_mul_f32_e32 v207, v3, v12
	s_delay_alu instid0(VALU_DEP_2) | instskip(NEXT) | instid1(VALU_DEP_2)
	v_fmac_f32_e32 v205, v2, v9
	v_dual_mul_f32 v2, v2, v10 :: v_dual_fmac_f32 v207, v4, v11
	s_delay_alu instid0(VALU_DEP_1) | instskip(SKIP_1) | instid1(VALU_DEP_1)
	v_fma_f32 v206, v1, v9, -v2
	v_mul_f32_e32 v1, v4, v12
	v_fma_f32 v208, v3, v11, -v1
	s_clause 0x1
	scratch_load_b128 v[1:4], off, off offset:384
	scratch_load_b128 v[9:12], off, off offset:400
	s_wait_loadcnt_dscnt 0x100
	v_mul_f32_e32 v209, v5, v2
	v_mul_f32_e32 v2, v6, v2
	s_delay_alu instid0(VALU_DEP_2) | instskip(NEXT) | instid1(VALU_DEP_2)
	v_fmac_f32_e32 v209, v6, v1
	v_fma_f32 v210, v5, v1, -v2
	v_add_f32_e32 v2, 0, v154
	s_delay_alu instid0(VALU_DEP_1) | instskip(NEXT) | instid1(VALU_DEP_1)
	v_add_f32_e32 v2, v2, v155
	v_add_f32_e32 v2, v2, v24
	s_delay_alu instid0(VALU_DEP_1) | instskip(NEXT) | instid1(VALU_DEP_1)
	v_add_f32_e32 v2, v2, v25
	;; [unrolled: 3-line block ×3, first 2 shown]
	v_add_f32_e32 v2, v2, v148
	s_delay_alu instid0(VALU_DEP_1) | instskip(NEXT) | instid1(VALU_DEP_1)
	v_dual_mul_f32 v1, v8, v4 :: v_dual_add_f32 v2, v2, v149
	v_fma_f32 v212, v7, v3, -v1
	s_delay_alu instid0(VALU_DEP_2) | instskip(NEXT) | instid1(VALU_DEP_1)
	v_dual_add_f32 v1, 0, v22 :: v_dual_add_f32 v2, v2, v15
	v_dual_add_f32 v1, v1, v23 :: v_dual_add_f32 v2, v2, v18
	s_delay_alu instid0(VALU_DEP_1) | instskip(NEXT) | instid1(VALU_DEP_1)
	v_dual_add_f32 v1, v1, v26 :: v_dual_add_f32 v2, v2, v19
	v_dual_add_f32 v1, v1, v27 :: v_dual_add_f32 v2, v2, v20
	s_delay_alu instid0(VALU_DEP_1) | instskip(NEXT) | instid1(VALU_DEP_1)
	v_add_f32_e32 v2, v2, v157
	v_add_f32_e32 v2, v2, v158
	s_delay_alu instid0(VALU_DEP_1) | instskip(NEXT) | instid1(VALU_DEP_1)
	v_add_f32_e32 v2, v2, v161
	v_add_f32_e32 v2, v2, v163
	;; [unrolled: 3-line block ×5, first 2 shown]
	s_delay_alu instid0(VALU_DEP_1) | instskip(NEXT) | instid1(VALU_DEP_1)
	v_dual_add_f32 v2, v2, v177 :: v_dual_add_f32 v1, v1, v28
	v_dual_add_f32 v2, v2, v179 :: v_dual_add_f32 v1, v1, v29
	s_delay_alu instid0(VALU_DEP_1) | instskip(NEXT) | instid1(VALU_DEP_1)
	v_add_f32_e32 v1, v1, v13
	v_add_f32_e32 v1, v1, v14
	s_delay_alu instid0(VALU_DEP_1) | instskip(NEXT) | instid1(VALU_DEP_1)
	v_add_f32_e32 v1, v1, v16
	v_add_f32_e32 v1, v1, v17
	;; [unrolled: 3-line block ×10, first 2 shown]
	v_mul_f32_e32 v211, v7, v4
	v_add_f32_e32 v5, v2, v181
	s_delay_alu instid0(VALU_DEP_2) | instskip(SKIP_3) | instid1(VALU_DEP_2)
	v_dual_add_f32 v6, v6, v186 :: v_dual_fmac_f32 v211, v8, v3
	ds_load_b128 v[1:4], v21 offset:864
	v_add_f32_e32 v5, v5, v183
	v_add_f32_e32 v13, v6, v188
	;; [unrolled: 1-line block ×3, first 2 shown]
	s_delay_alu instid0(VALU_DEP_2) | instskip(NEXT) | instid1(VALU_DEP_2)
	v_add_f32_e32 v13, v13, v190
	v_add_f32_e32 v14, v5, v187
	ds_load_b128 v[5:8], v21 offset:880
	v_add_f32_e32 v13, v13, v192
	s_delay_alu instid0(VALU_DEP_1)
	v_add_f32_e32 v13, v13, v194
	s_wait_loadcnt_dscnt 0x1
	v_dual_mul_f32 v25, v1, v10 :: v_dual_mul_f32 v26, v3, v12
	v_mul_f32_e32 v10, v2, v10
	v_mul_f32_e32 v12, v4, v12
	v_add_f32_e32 v14, v14, v189
	s_delay_alu instid0(VALU_DEP_4) | instskip(NEXT) | instid1(VALU_DEP_4)
	v_dual_fmac_f32 v25, v2, v9 :: v_dual_fmac_f32 v26, v4, v11
	v_fma_f32 v27, v1, v9, -v10
	s_delay_alu instid0(VALU_DEP_4) | instskip(SKIP_4) | instid1(VALU_DEP_1)
	v_fma_f32 v28, v3, v11, -v12
	s_clause 0x1
	scratch_load_b128 v[1:4], off, off offset:416
	scratch_load_b128 v[9:12], off, off offset:432
	v_add_f32_e32 v14, v14, v191
	v_dual_add_f32 v18, v13, v196 :: v_dual_add_f32 v17, v14, v193
	scratch_load_b128 v[13:16], off, off offset:448
	v_dual_add_f32 v18, v18, v198 :: v_dual_add_f32 v17, v17, v195
	s_delay_alu instid0(VALU_DEP_1) | instskip(NEXT) | instid1(VALU_DEP_1)
	v_dual_add_f32 v18, v18, v200 :: v_dual_add_f32 v17, v17, v197
	v_dual_add_f32 v22, v18, v202 :: v_dual_add_f32 v17, v17, v199
	s_delay_alu instid0(VALU_DEP_1) | instskip(NEXT) | instid1(VALU_DEP_2)
	v_add_f32_e32 v29, v22, v204
	v_add_f32_e32 v23, v17, v201
	ds_load_b128 v[17:20], v21 offset:896
	v_dual_add_f32 v29, v29, v206 :: v_dual_add_f32 v30, v23, v203
	ds_load_b128 v[21:24], v21 offset:912
	v_dual_add_f32 v29, v29, v208 :: v_dual_add_f32 v30, v30, v205
	s_delay_alu instid0(VALU_DEP_1) | instskip(NEXT) | instid1(VALU_DEP_1)
	v_dual_add_f32 v29, v29, v210 :: v_dual_add_f32 v30, v30, v207
	v_add_f32_e32 v29, v29, v212
	s_delay_alu instid0(VALU_DEP_1)
	v_add_f32_e32 v27, v29, v27
	s_wait_loadcnt_dscnt 0x202
	v_mul_f32_e32 v148, v5, v2
	v_add_f32_e32 v30, v30, v209
	v_dual_mul_f32 v2, v6, v2 :: v_dual_mul_f32 v149, v7, v4
	v_mul_f32_e32 v4, v8, v4
	s_delay_alu instid0(VALU_DEP_4) | instskip(NEXT) | instid1(VALU_DEP_4)
	v_fmac_f32_e32 v148, v6, v1
	v_add_f32_e32 v30, v30, v211
	s_delay_alu instid0(VALU_DEP_4)
	v_fma_f32 v2, v5, v1, -v2
	s_wait_loadcnt_dscnt 0x101
	v_dual_add_f32 v1, v27, v28 :: v_dual_mul_f32 v150, v17, v10
	v_mul_f32_e32 v6, v18, v10
	v_add_f32_e32 v25, v30, v25
	v_fmac_f32_e32 v149, v8, v3
	v_fma_f32 v3, v7, v3, -v4
	v_add_f32_e32 v1, v1, v2
	v_mul_f32_e32 v151, v19, v12
	v_dual_add_f32 v5, v25, v26 :: v_dual_mul_f32 v4, v20, v12
	s_delay_alu instid0(VALU_DEP_3) | instskip(SKIP_2) | instid1(VALU_DEP_3)
	v_dual_fmac_f32 v150, v18, v9 :: v_dual_add_f32 v1, v1, v3
	s_wait_loadcnt_dscnt 0x0
	v_mul_f32_e32 v154, v21, v14
	v_add_f32_e32 v2, v5, v148
	v_fma_f32 v5, v17, v9, -v6
	v_mul_f32_e32 v3, v22, v14
	v_fmac_f32_e32 v151, v20, v11
	v_fma_f32 v4, v19, v11, -v4
	v_add_f32_e32 v2, v2, v149
	v_add_f32_e32 v1, v1, v5
	v_mul_f32_e32 v29, v23, v16
	v_dual_mul_f32 v5, v24, v16 :: v_dual_fmac_f32 v154, v22, v13
	s_delay_alu instid0(VALU_DEP_4)
	v_add_f32_e32 v2, v2, v150
	v_fma_f32 v3, v21, v13, -v3
	v_add_f32_e32 v1, v1, v4
	v_fmac_f32_e32 v29, v24, v15
	v_fma_f32 v4, v23, v15, -v5
	v_add_f32_e32 v2, v2, v151
	s_delay_alu instid0(VALU_DEP_1) | instskip(NEXT) | instid1(VALU_DEP_1)
	v_dual_add_f32 v1, v1, v3 :: v_dual_add_f32 v2, v2, v154
	v_dual_add_f32 v1, v1, v4 :: v_dual_add_f32 v2, v2, v29
	s_delay_alu instid0(VALU_DEP_1)
	v_dual_sub_f32 v1, v152, v1 :: v_dual_sub_f32 v2, v153, v2
	scratch_store_b64 off, v[1:2], off offset:72
	v_cmpx_lt_u32_e32 8, v0
	s_cbranch_execz .LBB57_345
; %bb.344:
	scratch_load_b64 v[1:2], off, off offset:64
	v_mov_b32_e32 v3, 0
	s_delay_alu instid0(VALU_DEP_1)
	v_mov_b32_e32 v4, v3
	scratch_store_b64 off, v[3:4], off offset:64
	s_wait_loadcnt 0x0
	ds_store_b64 v31, v[1:2]
.LBB57_345:
	s_wait_alu 0xfffe
	s_or_b32 exec_lo, exec_lo, s0
	s_wait_storecnt_dscnt 0x0
	s_barrier_signal -1
	s_barrier_wait -1
	global_inv scope:SCOPE_SE
	s_clause 0x4
	scratch_load_b128 v[5:8], off, off offset:72
	scratch_load_b128 v[1:4], off, off offset:88
	;; [unrolled: 1-line block ×5, first 2 shown]
	v_mov_b32_e32 v25, 0
	ds_load_2addr_b64 v[21:24], v25 offset0:67 offset1:68
	ds_load_2addr_b64 v[26:29], v25 offset0:69 offset1:70
	;; [unrolled: 1-line block ×3, first 2 shown]
	scratch_load_b64 v[152:153], off, off offset:64
	s_mov_b32 s0, exec_lo
	s_wait_loadcnt_dscnt 0x502
	v_mul_f32_e32 v30, v22, v6
	v_dual_mul_f32 v154, v21, v6 :: v_dual_mul_f32 v155, v23, v8
	v_mul_f32_e32 v6, v24, v8
	s_wait_loadcnt_dscnt 0x300
	v_mul_f32_e32 v156, v150, v12
	v_fma_f32 v21, v21, v5, -v30
	v_dual_fmac_f32 v154, v22, v5 :: v_dual_fmac_f32 v155, v24, v7
	v_fma_f32 v22, v23, v7, -v6
	ds_load_2addr_b64 v[5:8], v25 offset0:73 offset1:74
	v_dual_mul_f32 v23, v26, v2 :: v_dual_mul_f32 v24, v28, v4
	v_mul_f32_e32 v4, v29, v4
	v_mul_f32_e32 v30, v148, v10
	;; [unrolled: 1-line block ×5, first 2 shown]
	v_dual_fmac_f32 v23, v27, v1 :: v_dual_fmac_f32 v24, v29, v3
	v_fma_f32 v27, v28, v3, -v4
	v_fmac_f32_e32 v30, v149, v9
	v_fma_f32 v28, v148, v9, -v10
	v_fmac_f32_e32 v156, v151, v11
	v_fma_f32 v29, v150, v11, -v12
	ds_load_2addr_b64 v[9:12], v25 offset0:75 offset1:76
	s_wait_loadcnt_dscnt 0x201
	v_dual_mul_f32 v149, v7, v16 :: v_dual_mul_f32 v148, v5, v14
	v_mul_f32_e32 v14, v6, v14
	v_mul_f32_e32 v16, v8, v16
	s_delay_alu instid0(VALU_DEP_3)
	v_fmac_f32_e32 v149, v8, v15
	v_fma_f32 v26, v26, v1, -v2
	scratch_load_b128 v[1:4], off, off offset:152
	v_fmac_f32_e32 v148, v6, v13
	v_fma_f32 v13, v5, v13, -v14
	v_fma_f32 v14, v7, v15, -v16
	ds_load_2addr_b64 v[5:8], v25 offset0:77 offset1:78
	s_wait_loadcnt_dscnt 0x201
	v_mul_f32_e32 v15, v9, v18
	v_mul_f32_e32 v16, v10, v18
	;; [unrolled: 1-line block ×3, first 2 shown]
	s_delay_alu instid0(VALU_DEP_3) | instskip(NEXT) | instid1(VALU_DEP_3)
	v_dual_mul_f32 v20, v12, v20 :: v_dual_fmac_f32 v15, v10, v17
	v_fma_f32 v16, v9, v17, -v16
	s_delay_alu instid0(VALU_DEP_3) | instskip(NEXT) | instid1(VALU_DEP_3)
	v_fmac_f32_e32 v18, v12, v19
	v_fma_f32 v17, v11, v19, -v20
	scratch_load_b128 v[9:12], off, off offset:168
	s_wait_loadcnt_dscnt 0x100
	v_mul_f32_e32 v19, v5, v2
	v_mul_f32_e32 v2, v6, v2
	;; [unrolled: 1-line block ×3, first 2 shown]
	s_delay_alu instid0(VALU_DEP_3) | instskip(NEXT) | instid1(VALU_DEP_3)
	v_dual_mul_f32 v4, v8, v4 :: v_dual_fmac_f32 v19, v6, v1
	v_fma_f32 v150, v5, v1, -v2
	s_delay_alu instid0(VALU_DEP_3) | instskip(NEXT) | instid1(VALU_DEP_3)
	v_fmac_f32_e32 v20, v8, v3
	v_fma_f32 v151, v7, v3, -v4
	ds_load_2addr_b64 v[1:4], v25 offset0:79 offset1:80
	ds_load_2addr_b64 v[5:8], v25 offset0:81 offset1:82
	s_wait_loadcnt_dscnt 0x1
	v_mul_f32_e32 v157, v1, v10
	v_mul_f32_e32 v10, v2, v10
	s_delay_alu instid0(VALU_DEP_2) | instskip(NEXT) | instid1(VALU_DEP_2)
	v_dual_mul_f32 v158, v3, v12 :: v_dual_fmac_f32 v157, v2, v9
	v_fma_f32 v159, v1, v9, -v10
	v_mul_f32_e32 v1, v4, v12
	s_delay_alu instid0(VALU_DEP_3) | instskip(NEXT) | instid1(VALU_DEP_2)
	v_fmac_f32_e32 v158, v4, v11
	v_fma_f32 v160, v3, v11, -v1
	s_clause 0x1
	scratch_load_b128 v[1:4], off, off offset:184
	scratch_load_b128 v[9:12], off, off offset:200
	s_wait_loadcnt_dscnt 0x100
	v_mul_f32_e32 v161, v5, v2
	v_dual_mul_f32 v2, v6, v2 :: v_dual_mul_f32 v163, v7, v4
	s_delay_alu instid0(VALU_DEP_2) | instskip(NEXT) | instid1(VALU_DEP_2)
	v_fmac_f32_e32 v161, v6, v1
	v_fma_f32 v162, v5, v1, -v2
	v_mul_f32_e32 v1, v8, v4
	s_delay_alu instid0(VALU_DEP_4) | instskip(NEXT) | instid1(VALU_DEP_2)
	v_fmac_f32_e32 v163, v8, v3
	v_fma_f32 v164, v7, v3, -v1
	ds_load_2addr_b64 v[1:4], v25 offset0:83 offset1:84
	ds_load_2addr_b64 v[5:8], v25 offset0:85 offset1:86
	s_wait_loadcnt_dscnt 0x1
	v_mul_f32_e32 v165, v1, v10
	v_mul_f32_e32 v167, v3, v12
	s_delay_alu instid0(VALU_DEP_2) | instskip(NEXT) | instid1(VALU_DEP_2)
	v_fmac_f32_e32 v165, v2, v9
	v_dual_mul_f32 v2, v2, v10 :: v_dual_fmac_f32 v167, v4, v11
	s_delay_alu instid0(VALU_DEP_1) | instskip(SKIP_1) | instid1(VALU_DEP_1)
	v_fma_f32 v166, v1, v9, -v2
	v_mul_f32_e32 v1, v4, v12
	v_fma_f32 v168, v3, v11, -v1
	s_clause 0x1
	scratch_load_b128 v[1:4], off, off offset:216
	scratch_load_b128 v[9:12], off, off offset:232
	s_wait_loadcnt_dscnt 0x100
	v_mul_f32_e32 v169, v5, v2
	v_dual_mul_f32 v2, v6, v2 :: v_dual_mul_f32 v171, v7, v4
	s_delay_alu instid0(VALU_DEP_2) | instskip(NEXT) | instid1(VALU_DEP_2)
	v_fmac_f32_e32 v169, v6, v1
	v_fma_f32 v170, v5, v1, -v2
	v_mul_f32_e32 v1, v8, v4
	s_delay_alu instid0(VALU_DEP_4) | instskip(NEXT) | instid1(VALU_DEP_2)
	v_fmac_f32_e32 v171, v8, v3
	v_fma_f32 v172, v7, v3, -v1
	ds_load_2addr_b64 v[1:4], v25 offset0:87 offset1:88
	ds_load_2addr_b64 v[5:8], v25 offset0:89 offset1:90
	s_wait_loadcnt_dscnt 0x1
	v_mul_f32_e32 v173, v1, v10
	v_mul_f32_e32 v175, v3, v12
	s_delay_alu instid0(VALU_DEP_2) | instskip(NEXT) | instid1(VALU_DEP_2)
	v_fmac_f32_e32 v173, v2, v9
	v_dual_mul_f32 v2, v2, v10 :: v_dual_fmac_f32 v175, v4, v11
	s_delay_alu instid0(VALU_DEP_1) | instskip(SKIP_1) | instid1(VALU_DEP_1)
	v_fma_f32 v174, v1, v9, -v2
	v_mul_f32_e32 v1, v4, v12
	;; [unrolled: 25-line block ×5, first 2 shown]
	v_fma_f32 v200, v3, v11, -v1
	s_clause 0x1
	scratch_load_b128 v[1:4], off, off offset:344
	scratch_load_b128 v[9:12], off, off offset:360
	s_wait_loadcnt_dscnt 0x100
	v_mul_f32_e32 v201, v5, v2
	v_dual_mul_f32 v2, v6, v2 :: v_dual_mul_f32 v203, v7, v4
	s_delay_alu instid0(VALU_DEP_2) | instskip(NEXT) | instid1(VALU_DEP_2)
	v_fmac_f32_e32 v201, v6, v1
	v_fma_f32 v202, v5, v1, -v2
	v_mul_f32_e32 v1, v8, v4
	s_delay_alu instid0(VALU_DEP_4) | instskip(NEXT) | instid1(VALU_DEP_2)
	v_fmac_f32_e32 v203, v8, v3
	v_fma_f32 v204, v7, v3, -v1
	ds_load_2addr_b64 v[1:4], v25 offset0:103 offset1:104
	ds_load_2addr_b64 v[5:8], v25 offset0:105 offset1:106
	s_wait_loadcnt_dscnt 0x1
	v_mul_f32_e32 v205, v1, v10
	v_mul_f32_e32 v207, v3, v12
	s_delay_alu instid0(VALU_DEP_1) | instskip(NEXT) | instid1(VALU_DEP_3)
	v_fmac_f32_e32 v207, v4, v11
	v_fmac_f32_e32 v205, v2, v9
	v_mul_f32_e32 v2, v2, v10
	s_delay_alu instid0(VALU_DEP_1) | instskip(SKIP_1) | instid1(VALU_DEP_1)
	v_fma_f32 v206, v1, v9, -v2
	v_mul_f32_e32 v1, v4, v12
	v_fma_f32 v208, v3, v11, -v1
	s_clause 0x1
	scratch_load_b128 v[1:4], off, off offset:376
	scratch_load_b128 v[9:12], off, off offset:392
	s_wait_loadcnt_dscnt 0x100
	v_mul_f32_e32 v209, v5, v2
	v_mul_f32_e32 v2, v6, v2
	s_delay_alu instid0(VALU_DEP_2) | instskip(NEXT) | instid1(VALU_DEP_2)
	v_fmac_f32_e32 v209, v6, v1
	v_fma_f32 v210, v5, v1, -v2
	v_dual_add_f32 v2, 0, v154 :: v_dual_mul_f32 v1, v8, v4
	s_delay_alu instid0(VALU_DEP_1) | instskip(NEXT) | instid1(VALU_DEP_2)
	v_add_f32_e32 v2, v2, v155
	v_fma_f32 v212, v7, v3, -v1
	s_delay_alu instid0(VALU_DEP_2) | instskip(NEXT) | instid1(VALU_DEP_1)
	v_add_f32_e32 v2, v2, v23
	v_add_f32_e32 v2, v2, v24
	s_delay_alu instid0(VALU_DEP_1) | instskip(NEXT) | instid1(VALU_DEP_1)
	v_add_f32_e32 v2, v2, v30
	v_add_f32_e32 v2, v2, v156
	s_delay_alu instid0(VALU_DEP_1) | instskip(NEXT) | instid1(VALU_DEP_1)
	v_dual_add_f32 v2, v2, v148 :: v_dual_add_f32 v1, 0, v21
	v_dual_add_f32 v2, v2, v149 :: v_dual_add_f32 v1, v1, v22
	s_delay_alu instid0(VALU_DEP_1) | instskip(NEXT) | instid1(VALU_DEP_1)
	v_dual_add_f32 v2, v2, v15 :: v_dual_add_f32 v1, v1, v26
	v_dual_add_f32 v2, v2, v18 :: v_dual_add_f32 v1, v1, v27
	scratch_load_b64 v[26:27], off, off offset:456
	v_dual_add_f32 v2, v2, v19 :: v_dual_add_f32 v1, v1, v28
	s_delay_alu instid0(VALU_DEP_1) | instskip(NEXT) | instid1(VALU_DEP_1)
	v_dual_add_f32 v2, v2, v20 :: v_dual_add_f32 v1, v1, v29
	v_add_f32_e32 v2, v2, v157
	s_delay_alu instid0(VALU_DEP_1) | instskip(NEXT) | instid1(VALU_DEP_1)
	v_dual_add_f32 v1, v1, v13 :: v_dual_add_f32 v2, v2, v158
	v_dual_add_f32 v1, v1, v14 :: v_dual_add_f32 v2, v2, v161
	s_delay_alu instid0(VALU_DEP_1) | instskip(NEXT) | instid1(VALU_DEP_1)
	v_dual_add_f32 v1, v1, v16 :: v_dual_add_f32 v2, v2, v163
	v_add_f32_e32 v1, v1, v17
	s_delay_alu instid0(VALU_DEP_1) | instskip(NEXT) | instid1(VALU_DEP_1)
	v_dual_add_f32 v2, v2, v165 :: v_dual_add_f32 v1, v1, v150
	v_add_f32_e32 v2, v2, v167
	;; [unrolled: 3-line block ×3, first 2 shown]
	s_delay_alu instid0(VALU_DEP_1) | instskip(NEXT) | instid1(VALU_DEP_1)
	v_dual_add_f32 v2, v2, v171 :: v_dual_add_f32 v1, v1, v160
	v_dual_add_f32 v2, v2, v173 :: v_dual_add_f32 v1, v1, v162
	s_delay_alu instid0(VALU_DEP_1) | instskip(NEXT) | instid1(VALU_DEP_1)
	v_dual_add_f32 v2, v2, v175 :: v_dual_add_f32 v1, v1, v164
	v_add_f32_e32 v1, v1, v166
	s_delay_alu instid0(VALU_DEP_1) | instskip(NEXT) | instid1(VALU_DEP_1)
	v_add_f32_e32 v1, v1, v168
	v_add_f32_e32 v1, v1, v170
	s_delay_alu instid0(VALU_DEP_1) | instskip(NEXT) | instid1(VALU_DEP_1)
	v_add_f32_e32 v1, v1, v172
	;; [unrolled: 3-line block ×4, first 2 shown]
	v_add_f32_e32 v1, v1, v182
	s_delay_alu instid0(VALU_DEP_1) | instskip(SKIP_1) | instid1(VALU_DEP_2)
	v_add_f32_e32 v6, v1, v184
	v_dual_add_f32 v2, v2, v177 :: v_dual_mul_f32 v211, v7, v4
	v_add_f32_e32 v6, v6, v186
	s_delay_alu instid0(VALU_DEP_2) | instskip(NEXT) | instid1(VALU_DEP_3)
	v_add_f32_e32 v2, v2, v179
	v_fmac_f32_e32 v211, v8, v3
	s_delay_alu instid0(VALU_DEP_3) | instskip(NEXT) | instid1(VALU_DEP_3)
	v_add_f32_e32 v13, v6, v188
	v_add_f32_e32 v5, v2, v181
	ds_load_2addr_b64 v[1:4], v25 offset0:107 offset1:108
	v_add_f32_e32 v13, v13, v190
	v_add_f32_e32 v5, v5, v183
	s_delay_alu instid0(VALU_DEP_2) | instskip(NEXT) | instid1(VALU_DEP_2)
	v_add_f32_e32 v13, v13, v192
	v_add_f32_e32 v5, v5, v185
	s_delay_alu instid0(VALU_DEP_2) | instskip(NEXT) | instid1(VALU_DEP_2)
	v_add_f32_e32 v13, v13, v194
	v_add_f32_e32 v14, v5, v187
	ds_load_2addr_b64 v[5:8], v25 offset0:109 offset1:110
	v_add_f32_e32 v18, v13, v196
	s_wait_loadcnt_dscnt 0x101
	v_mul_f32_e32 v30, v1, v10
	v_mul_f32_e32 v10, v2, v10
	;; [unrolled: 1-line block ×4, first 2 shown]
	v_add_f32_e32 v14, v14, v189
	v_fmac_f32_e32 v30, v2, v9
	v_fma_f32 v149, v1, v9, -v10
	v_fmac_f32_e32 v148, v4, v11
	v_fma_f32 v150, v3, v11, -v12
	s_clause 0x1
	scratch_load_b128 v[1:4], off, off offset:408
	scratch_load_b128 v[9:12], off, off offset:424
	v_add_f32_e32 v14, v14, v191
	v_add_f32_e32 v18, v18, v198
	s_delay_alu instid0(VALU_DEP_2) | instskip(SKIP_2) | instid1(VALU_DEP_1)
	v_add_f32_e32 v17, v14, v193
	scratch_load_b128 v[13:16], off, off offset:440
	v_dual_add_f32 v18, v18, v200 :: v_dual_add_f32 v17, v17, v195
	v_dual_add_f32 v18, v18, v202 :: v_dual_add_f32 v17, v17, v197
	s_delay_alu instid0(VALU_DEP_1) | instskip(NEXT) | instid1(VALU_DEP_1)
	v_dual_add_f32 v18, v18, v204 :: v_dual_add_f32 v17, v17, v199
	v_dual_add_f32 v28, v18, v206 :: v_dual_add_f32 v17, v17, v201
	s_delay_alu instid0(VALU_DEP_1) | instskip(NEXT) | instid1(VALU_DEP_2)
	v_add_f32_e32 v151, v28, v208
	v_add_f32_e32 v21, v17, v203
	ds_load_2addr_b64 v[17:20], v25 offset0:111 offset1:112
	v_add_f32_e32 v151, v151, v210
	v_add_f32_e32 v29, v21, v205
	ds_load_2addr_b64 v[21:24], v25 offset0:113 offset1:114
	v_dual_add_f32 v151, v151, v212 :: v_dual_add_f32 v154, v29, v207
	ds_load_b64 v[28:29], v25 offset:920
	v_add_f32_e32 v149, v151, v149
	s_wait_loadcnt_dscnt 0x203
	s_delay_alu instid0(VALU_DEP_1) | instskip(SKIP_4) | instid1(VALU_DEP_3)
	v_dual_add_f32 v149, v149, v150 :: v_dual_mul_f32 v156, v7, v4
	v_dual_add_f32 v154, v154, v209 :: v_dual_mul_f32 v155, v5, v2
	v_mul_f32_e32 v2, v6, v2
	s_wait_loadcnt_dscnt 0x102
	v_dual_mul_f32 v4, v8, v4 :: v_dual_mul_f32 v151, v17, v10
	v_add_f32_e32 v154, v154, v211
	v_fmac_f32_e32 v155, v6, v1
	v_fma_f32 v2, v5, v1, -v2
	v_fmac_f32_e32 v156, v8, v3
	v_fma_f32 v1, v7, v3, -v4
	v_add_f32_e32 v30, v154, v30
	v_mul_f32_e32 v3, v18, v10
	v_add_f32_e32 v2, v149, v2
	v_mul_f32_e32 v154, v19, v12
	v_mul_f32_e32 v5, v20, v12
	v_add_f32_e32 v30, v30, v148
	v_fmac_f32_e32 v151, v18, v9
	v_fma_f32 v3, v17, v9, -v3
	v_add_f32_e32 v1, v2, v1
	s_wait_loadcnt_dscnt 0x1
	v_dual_mul_f32 v157, v21, v14 :: v_dual_add_f32 v4, v30, v155
	v_fmac_f32_e32 v154, v20, v11
	v_fma_f32 v5, v19, v11, -v5
	v_dual_add_f32 v1, v1, v3 :: v_dual_mul_f32 v150, v23, v16
	s_delay_alu instid0(VALU_DEP_4) | instskip(SKIP_2) | instid1(VALU_DEP_3)
	v_add_f32_e32 v2, v4, v156
	v_dual_mul_f32 v4, v22, v14 :: v_dual_mul_f32 v3, v24, v16
	v_fmac_f32_e32 v157, v22, v13
	v_dual_add_f32 v1, v1, v5 :: v_dual_add_f32 v2, v2, v151
	s_delay_alu instid0(VALU_DEP_3)
	v_fma_f32 v4, v21, v13, -v4
	s_wait_dscnt 0x0
	v_mul_f32_e32 v148, v28, v27
	v_mul_f32_e32 v5, v29, v27
	v_fmac_f32_e32 v150, v24, v15
	v_add_f32_e32 v2, v2, v154
	v_fma_f32 v3, v23, v15, -v3
	v_add_f32_e32 v1, v1, v4
	v_fmac_f32_e32 v148, v29, v26
	v_fma_f32 v4, v28, v26, -v5
	s_delay_alu instid0(VALU_DEP_3) | instskip(NEXT) | instid1(VALU_DEP_1)
	v_dual_add_f32 v2, v2, v157 :: v_dual_add_f32 v1, v1, v3
	v_dual_add_f32 v2, v2, v150 :: v_dual_add_f32 v1, v1, v4
	s_delay_alu instid0(VALU_DEP_1) | instskip(NEXT) | instid1(VALU_DEP_1)
	v_dual_add_f32 v2, v2, v148 :: v_dual_sub_f32 v1, v152, v1
	v_sub_f32_e32 v2, v153, v2
	scratch_store_b64 off, v[1:2], off offset:64
	v_cmpx_lt_u32_e32 7, v0
	s_cbranch_execz .LBB57_347
; %bb.346:
	scratch_load_b64 v[1:2], off, off offset:56
	v_mov_b32_e32 v26, v25
	scratch_store_b64 off, v[25:26], off offset:56
	s_wait_loadcnt 0x0
	ds_store_b64 v31, v[1:2]
.LBB57_347:
	s_wait_alu 0xfffe
	s_or_b32 exec_lo, exec_lo, s0
	s_wait_storecnt_dscnt 0x0
	s_barrier_signal -1
	s_barrier_wait -1
	global_inv scope:SCOPE_SE
	s_clause 0x4
	scratch_load_b128 v[5:8], off, off offset:64
	scratch_load_b128 v[1:4], off, off offset:80
	;; [unrolled: 1-line block ×5, first 2 shown]
	ds_load_b128 v[21:24], v25 offset:528
	ds_load_b128 v[26:29], v25 offset:544
	;; [unrolled: 1-line block ×3, first 2 shown]
	scratch_load_b64 v[152:153], off, off offset:56
	s_mov_b32 s0, exec_lo
	s_wait_loadcnt_dscnt 0x502
	v_mul_f32_e32 v30, v21, v6
	v_mul_f32_e32 v154, v23, v8
	;; [unrolled: 1-line block ×3, first 2 shown]
	s_wait_loadcnt_dscnt 0x300
	v_mul_f32_e32 v155, v148, v10
	v_mul_f32_e32 v6, v22, v6
	v_fmac_f32_e32 v30, v22, v5
	v_mul_f32_e32 v10, v149, v10
	v_fma_f32 v22, v23, v7, -v8
	v_dual_mul_f32 v23, v26, v2 :: v_dual_fmac_f32 v154, v24, v7
	v_fmac_f32_e32 v155, v149, v9
	v_fma_f32 v21, v21, v5, -v6
	ds_load_b128 v[5:8], v25 offset:576
	v_mul_f32_e32 v24, v28, v4
	v_mul_f32_e32 v4, v29, v4
	;; [unrolled: 1-line block ×5, first 2 shown]
	v_dual_fmac_f32 v23, v27, v1 :: v_dual_fmac_f32 v24, v29, v3
	v_fma_f32 v27, v28, v3, -v4
	v_fma_f32 v28, v148, v9, -v10
	v_fmac_f32_e32 v156, v151, v11
	v_fma_f32 v29, v150, v11, -v12
	ds_load_b128 v[9:12], v25 offset:592
	s_wait_loadcnt_dscnt 0x201
	v_dual_mul_f32 v149, v7, v16 :: v_dual_mul_f32 v148, v5, v14
	v_mul_f32_e32 v14, v6, v14
	v_mul_f32_e32 v16, v8, v16
	s_delay_alu instid0(VALU_DEP_3)
	v_fmac_f32_e32 v149, v8, v15
	v_fma_f32 v26, v26, v1, -v2
	scratch_load_b128 v[1:4], off, off offset:144
	v_fmac_f32_e32 v148, v6, v13
	v_fma_f32 v13, v5, v13, -v14
	v_fma_f32 v14, v7, v15, -v16
	ds_load_b128 v[5:8], v25 offset:608
	s_wait_loadcnt_dscnt 0x201
	v_mul_f32_e32 v15, v9, v18
	v_mul_f32_e32 v16, v10, v18
	;; [unrolled: 1-line block ×3, first 2 shown]
	s_delay_alu instid0(VALU_DEP_3) | instskip(NEXT) | instid1(VALU_DEP_3)
	v_dual_mul_f32 v20, v12, v20 :: v_dual_fmac_f32 v15, v10, v17
	v_fma_f32 v16, v9, v17, -v16
	s_delay_alu instid0(VALU_DEP_3) | instskip(NEXT) | instid1(VALU_DEP_3)
	v_fmac_f32_e32 v18, v12, v19
	v_fma_f32 v17, v11, v19, -v20
	scratch_load_b128 v[9:12], off, off offset:160
	s_wait_loadcnt_dscnt 0x100
	v_mul_f32_e32 v19, v5, v2
	v_mul_f32_e32 v2, v6, v2
	;; [unrolled: 1-line block ×3, first 2 shown]
	s_delay_alu instid0(VALU_DEP_3) | instskip(NEXT) | instid1(VALU_DEP_3)
	v_dual_mul_f32 v4, v8, v4 :: v_dual_fmac_f32 v19, v6, v1
	v_fma_f32 v150, v5, v1, -v2
	s_delay_alu instid0(VALU_DEP_3) | instskip(NEXT) | instid1(VALU_DEP_3)
	v_fmac_f32_e32 v20, v8, v3
	v_fma_f32 v151, v7, v3, -v4
	ds_load_b128 v[1:4], v25 offset:624
	ds_load_b128 v[5:8], v25 offset:640
	s_wait_loadcnt_dscnt 0x1
	v_mul_f32_e32 v157, v1, v10
	v_mul_f32_e32 v10, v2, v10
	s_delay_alu instid0(VALU_DEP_2) | instskip(NEXT) | instid1(VALU_DEP_2)
	v_dual_mul_f32 v158, v3, v12 :: v_dual_fmac_f32 v157, v2, v9
	v_fma_f32 v159, v1, v9, -v10
	v_mul_f32_e32 v1, v4, v12
	s_delay_alu instid0(VALU_DEP_3) | instskip(NEXT) | instid1(VALU_DEP_2)
	v_fmac_f32_e32 v158, v4, v11
	v_fma_f32 v160, v3, v11, -v1
	s_clause 0x1
	scratch_load_b128 v[1:4], off, off offset:176
	scratch_load_b128 v[9:12], off, off offset:192
	s_wait_loadcnt_dscnt 0x100
	v_mul_f32_e32 v161, v5, v2
	v_dual_mul_f32 v2, v6, v2 :: v_dual_mul_f32 v163, v7, v4
	s_delay_alu instid0(VALU_DEP_2) | instskip(NEXT) | instid1(VALU_DEP_2)
	v_fmac_f32_e32 v161, v6, v1
	v_fma_f32 v162, v5, v1, -v2
	v_mul_f32_e32 v1, v8, v4
	s_delay_alu instid0(VALU_DEP_4) | instskip(NEXT) | instid1(VALU_DEP_2)
	v_fmac_f32_e32 v163, v8, v3
	v_fma_f32 v164, v7, v3, -v1
	ds_load_b128 v[1:4], v25 offset:656
	ds_load_b128 v[5:8], v25 offset:672
	s_wait_loadcnt_dscnt 0x1
	v_mul_f32_e32 v165, v1, v10
	v_mul_f32_e32 v167, v3, v12
	s_delay_alu instid0(VALU_DEP_2) | instskip(NEXT) | instid1(VALU_DEP_2)
	v_fmac_f32_e32 v165, v2, v9
	v_dual_mul_f32 v2, v2, v10 :: v_dual_fmac_f32 v167, v4, v11
	s_delay_alu instid0(VALU_DEP_1) | instskip(SKIP_1) | instid1(VALU_DEP_1)
	v_fma_f32 v166, v1, v9, -v2
	v_mul_f32_e32 v1, v4, v12
	v_fma_f32 v168, v3, v11, -v1
	s_clause 0x1
	scratch_load_b128 v[1:4], off, off offset:208
	scratch_load_b128 v[9:12], off, off offset:224
	s_wait_loadcnt_dscnt 0x100
	v_mul_f32_e32 v169, v5, v2
	v_dual_mul_f32 v2, v6, v2 :: v_dual_mul_f32 v171, v7, v4
	s_delay_alu instid0(VALU_DEP_2) | instskip(NEXT) | instid1(VALU_DEP_2)
	v_fmac_f32_e32 v169, v6, v1
	v_fma_f32 v170, v5, v1, -v2
	v_mul_f32_e32 v1, v8, v4
	s_delay_alu instid0(VALU_DEP_4) | instskip(NEXT) | instid1(VALU_DEP_2)
	v_fmac_f32_e32 v171, v8, v3
	v_fma_f32 v172, v7, v3, -v1
	ds_load_b128 v[1:4], v25 offset:688
	ds_load_b128 v[5:8], v25 offset:704
	s_wait_loadcnt_dscnt 0x1
	v_mul_f32_e32 v173, v1, v10
	v_mul_f32_e32 v175, v3, v12
	s_delay_alu instid0(VALU_DEP_2) | instskip(NEXT) | instid1(VALU_DEP_2)
	v_fmac_f32_e32 v173, v2, v9
	v_dual_mul_f32 v2, v2, v10 :: v_dual_fmac_f32 v175, v4, v11
	s_delay_alu instid0(VALU_DEP_1) | instskip(SKIP_1) | instid1(VALU_DEP_1)
	v_fma_f32 v174, v1, v9, -v2
	v_mul_f32_e32 v1, v4, v12
	;; [unrolled: 25-line block ×6, first 2 shown]
	v_fma_f32 v208, v3, v11, -v1
	s_clause 0x1
	scratch_load_b128 v[1:4], off, off offset:368
	scratch_load_b128 v[9:12], off, off offset:384
	s_wait_loadcnt_dscnt 0x100
	v_mul_f32_e32 v209, v5, v2
	v_mul_f32_e32 v2, v6, v2
	s_delay_alu instid0(VALU_DEP_2) | instskip(NEXT) | instid1(VALU_DEP_2)
	v_fmac_f32_e32 v209, v6, v1
	v_fma_f32 v210, v5, v1, -v2
	v_dual_add_f32 v2, 0, v30 :: v_dual_mul_f32 v1, v8, v4
	s_delay_alu instid0(VALU_DEP_1) | instskip(NEXT) | instid1(VALU_DEP_2)
	v_add_f32_e32 v2, v2, v154
	v_fma_f32 v212, v7, v3, -v1
	s_delay_alu instid0(VALU_DEP_2) | instskip(NEXT) | instid1(VALU_DEP_1)
	v_dual_add_f32 v1, 0, v21 :: v_dual_add_f32 v2, v2, v23
	v_dual_add_f32 v1, v1, v22 :: v_dual_add_f32 v2, v2, v24
	s_delay_alu instid0(VALU_DEP_1) | instskip(NEXT) | instid1(VALU_DEP_1)
	v_add_f32_e32 v2, v2, v155
	v_add_f32_e32 v2, v2, v156
	s_delay_alu instid0(VALU_DEP_1) | instskip(NEXT) | instid1(VALU_DEP_1)
	v_add_f32_e32 v2, v2, v148
	v_add_f32_e32 v2, v2, v149
	s_delay_alu instid0(VALU_DEP_1) | instskip(NEXT) | instid1(VALU_DEP_1)
	v_add_f32_e32 v2, v2, v15
	v_add_f32_e32 v2, v2, v18
	s_delay_alu instid0(VALU_DEP_1) | instskip(NEXT) | instid1(VALU_DEP_1)
	v_add_f32_e32 v2, v2, v19
	v_dual_add_f32 v2, v2, v20 :: v_dual_add_f32 v1, v1, v26
	s_delay_alu instid0(VALU_DEP_1) | instskip(NEXT) | instid1(VALU_DEP_1)
	v_dual_add_f32 v2, v2, v157 :: v_dual_add_f32 v1, v1, v27
	v_dual_add_f32 v2, v2, v158 :: v_dual_add_f32 v1, v1, v28
	s_delay_alu instid0(VALU_DEP_1) | instskip(NEXT) | instid1(VALU_DEP_1)
	v_add_f32_e32 v2, v2, v161
	v_dual_add_f32 v1, v1, v29 :: v_dual_add_f32 v2, v2, v163
	s_delay_alu instid0(VALU_DEP_1) | instskip(NEXT) | instid1(VALU_DEP_1)
	v_add_f32_e32 v1, v1, v13
	;; [unrolled: 3-line block ×3, first 2 shown]
	v_add_f32_e32 v2, v2, v169
	s_delay_alu instid0(VALU_DEP_1) | instskip(NEXT) | instid1(VALU_DEP_1)
	v_add_f32_e32 v2, v2, v171
	v_add_f32_e32 v2, v2, v173
	s_delay_alu instid0(VALU_DEP_1) | instskip(NEXT) | instid1(VALU_DEP_1)
	v_add_f32_e32 v2, v2, v175
	v_dual_add_f32 v2, v2, v177 :: v_dual_add_f32 v1, v1, v16
	s_delay_alu instid0(VALU_DEP_1) | instskip(NEXT) | instid1(VALU_DEP_1)
	v_dual_add_f32 v2, v2, v179 :: v_dual_add_f32 v1, v1, v17
	v_add_f32_e32 v1, v1, v150
	s_delay_alu instid0(VALU_DEP_1) | instskip(NEXT) | instid1(VALU_DEP_1)
	v_add_f32_e32 v1, v1, v151
	v_add_f32_e32 v1, v1, v159
	s_delay_alu instid0(VALU_DEP_1) | instskip(NEXT) | instid1(VALU_DEP_1)
	v_add_f32_e32 v1, v1, v160
	v_add_f32_e32 v1, v1, v162
	s_delay_alu instid0(VALU_DEP_1) | instskip(NEXT) | instid1(VALU_DEP_1)
	v_add_f32_e32 v1, v1, v164
	v_add_f32_e32 v1, v1, v166
	s_delay_alu instid0(VALU_DEP_1) | instskip(NEXT) | instid1(VALU_DEP_1)
	v_add_f32_e32 v1, v1, v168
	v_add_f32_e32 v1, v1, v170
	s_delay_alu instid0(VALU_DEP_1) | instskip(NEXT) | instid1(VALU_DEP_1)
	v_add_f32_e32 v1, v1, v172
	v_add_f32_e32 v1, v1, v174
	s_delay_alu instid0(VALU_DEP_1) | instskip(NEXT) | instid1(VALU_DEP_1)
	v_add_f32_e32 v1, v1, v176
	v_add_f32_e32 v1, v1, v178
	s_delay_alu instid0(VALU_DEP_1) | instskip(NEXT) | instid1(VALU_DEP_1)
	v_add_f32_e32 v1, v1, v180
	v_add_f32_e32 v1, v1, v182
	s_delay_alu instid0(VALU_DEP_1) | instskip(NEXT) | instid1(VALU_DEP_1)
	v_add_f32_e32 v1, v1, v184
	v_add_f32_e32 v6, v1, v186
	v_add_f32_e32 v2, v2, v181
	s_delay_alu instid0(VALU_DEP_2) | instskip(SKIP_1) | instid1(VALU_DEP_3)
	v_add_f32_e32 v14, v6, v188
	v_mul_f32_e32 v211, v7, v4
	v_add_f32_e32 v5, v2, v183
	s_delay_alu instid0(VALU_DEP_2) | instskip(NEXT) | instid1(VALU_DEP_2)
	v_dual_add_f32 v14, v14, v190 :: v_dual_fmac_f32 v211, v8, v3
	v_add_f32_e32 v13, v5, v185
	scratch_load_b128 v[5:8], off, off offset:400
	ds_load_b128 v[1:4], v25 offset:848
	v_add_f32_e32 v17, v14, v192
	v_add_f32_e32 v13, v13, v187
	s_delay_alu instid0(VALU_DEP_2) | instskip(NEXT) | instid1(VALU_DEP_2)
	v_add_f32_e32 v17, v17, v194
	v_add_f32_e32 v13, v13, v189
	s_delay_alu instid0(VALU_DEP_2) | instskip(NEXT) | instid1(VALU_DEP_2)
	v_add_f32_e32 v17, v17, v196
	v_add_f32_e32 v18, v13, v191
	ds_load_b128 v[13:16], v25 offset:864
	v_add_f32_e32 v17, v17, v198
	s_wait_loadcnt_dscnt 0x101
	v_mul_f32_e32 v26, v1, v10
	v_dual_mul_f32 v10, v2, v10 :: v_dual_mul_f32 v27, v3, v12
	v_mul_f32_e32 v12, v4, v12
	v_add_f32_e32 v18, v18, v193
	s_delay_alu instid0(VALU_DEP_4) | instskip(NEXT) | instid1(VALU_DEP_4)
	v_fmac_f32_e32 v26, v2, v9
	v_fma_f32 v28, v1, v9, -v10
	v_fmac_f32_e32 v27, v4, v11
	v_fma_f32 v29, v3, v11, -v12
	s_clause 0x1
	scratch_load_b128 v[1:4], off, off offset:416
	scratch_load_b128 v[9:12], off, off offset:432
	v_add_f32_e32 v18, v18, v195
	s_delay_alu instid0(VALU_DEP_1) | instskip(SKIP_2) | instid1(VALU_DEP_1)
	v_dual_add_f32 v22, v17, v200 :: v_dual_add_f32 v21, v18, v197
	scratch_load_b128 v[17:20], off, off offset:448
	v_dual_add_f32 v22, v22, v202 :: v_dual_add_f32 v21, v21, v199
	v_add_f32_e32 v22, v22, v204
	s_wait_loadcnt_dscnt 0x300
	v_mul_f32_e32 v30, v13, v6
	s_delay_alu instid0(VALU_DEP_3) | instskip(SKIP_2) | instid1(VALU_DEP_4)
	v_dual_mul_f32 v6, v14, v6 :: v_dual_add_f32 v21, v21, v201
	v_mul_f32_e32 v148, v15, v8
	v_mul_f32_e32 v8, v16, v8
	v_fmac_f32_e32 v30, v14, v5
	s_delay_alu instid0(VALU_DEP_4)
	v_fma_f32 v149, v13, v5, -v6
	v_add_f32_e32 v13, v21, v203
	v_dual_add_f32 v21, v22, v206 :: v_dual_fmac_f32 v148, v16, v7
	v_fma_f32 v150, v15, v7, -v8
	ds_load_b128 v[5:8], v25 offset:880
	v_add_f32_e32 v22, v13, v205
	v_add_f32_e32 v151, v21, v208
	ds_load_b128 v[13:16], v25 offset:896
	v_add_f32_e32 v154, v22, v207
	ds_load_b128 v[21:24], v25 offset:912
	v_add_f32_e32 v25, v151, v210
	v_add_f32_e32 v151, v154, v209
	s_delay_alu instid0(VALU_DEP_2) | instskip(NEXT) | instid1(VALU_DEP_2)
	v_add_f32_e32 v25, v25, v212
	v_add_f32_e32 v151, v151, v211
	s_delay_alu instid0(VALU_DEP_2) | instskip(SKIP_2) | instid1(VALU_DEP_3)
	v_add_f32_e32 v25, v25, v28
	s_wait_loadcnt_dscnt 0x202
	v_mul_f32_e32 v154, v5, v2
	v_add_f32_e32 v26, v151, v26
	s_delay_alu instid0(VALU_DEP_3) | instskip(SKIP_2) | instid1(VALU_DEP_4)
	v_dual_mul_f32 v2, v6, v2 :: v_dual_add_f32 v25, v25, v29
	v_mul_f32_e32 v28, v7, v4
	v_mul_f32_e32 v4, v8, v4
	v_add_f32_e32 v26, v26, v27
	s_delay_alu instid0(VALU_DEP_4)
	v_fma_f32 v2, v5, v1, -v2
	v_add_f32_e32 v25, v25, v149
	s_wait_loadcnt_dscnt 0x101
	v_dual_fmac_f32 v154, v6, v1 :: v_dual_mul_f32 v151, v13, v10
	v_add_f32_e32 v26, v26, v30
	v_mul_f32_e32 v6, v14, v10
	v_dual_add_f32 v1, v25, v150 :: v_dual_fmac_f32 v28, v8, v3
	v_fma_f32 v3, v7, v3, -v4
	s_delay_alu instid0(VALU_DEP_4) | instskip(SKIP_1) | instid1(VALU_DEP_4)
	v_add_f32_e32 v5, v26, v148
	v_mul_f32_e32 v155, v15, v12
	v_dual_add_f32 v1, v1, v2 :: v_dual_mul_f32 v4, v16, v12
	s_delay_alu instid0(VALU_DEP_3) | instskip(SKIP_1) | instid1(VALU_DEP_3)
	v_dual_fmac_f32 v151, v14, v9 :: v_dual_add_f32 v2, v5, v154
	v_fma_f32 v5, v13, v9, -v6
	v_add_f32_e32 v1, v1, v3
	s_wait_loadcnt_dscnt 0x0
	v_mul_f32_e32 v27, v21, v18
	v_mul_f32_e32 v3, v22, v18
	v_dual_add_f32 v2, v2, v28 :: v_dual_fmac_f32 v155, v16, v11
	v_fma_f32 v4, v15, v11, -v4
	v_add_f32_e32 v1, v1, v5
	s_delay_alu instid0(VALU_DEP_3) | instskip(SKIP_3) | instid1(VALU_DEP_4)
	v_dual_mul_f32 v29, v23, v20 :: v_dual_add_f32 v2, v2, v151
	v_mul_f32_e32 v5, v24, v20
	v_fmac_f32_e32 v27, v22, v17
	v_fma_f32 v3, v21, v17, -v3
	v_dual_add_f32 v1, v1, v4 :: v_dual_add_f32 v2, v2, v155
	v_fmac_f32_e32 v29, v24, v19
	v_fma_f32 v4, v23, v19, -v5
	s_delay_alu instid0(VALU_DEP_3) | instskip(NEXT) | instid1(VALU_DEP_1)
	v_add_f32_e32 v1, v1, v3
	v_dual_add_f32 v2, v2, v27 :: v_dual_add_f32 v1, v1, v4
	s_delay_alu instid0(VALU_DEP_1) | instskip(NEXT) | instid1(VALU_DEP_1)
	v_add_f32_e32 v2, v2, v29
	v_dual_sub_f32 v1, v152, v1 :: v_dual_sub_f32 v2, v153, v2
	scratch_store_b64 off, v[1:2], off offset:56
	v_cmpx_lt_u32_e32 6, v0
	s_cbranch_execz .LBB57_349
; %bb.348:
	scratch_load_b64 v[1:2], off, off offset:48
	v_mov_b32_e32 v3, 0
	s_delay_alu instid0(VALU_DEP_1)
	v_mov_b32_e32 v4, v3
	scratch_store_b64 off, v[3:4], off offset:48
	s_wait_loadcnt 0x0
	ds_store_b64 v31, v[1:2]
.LBB57_349:
	s_wait_alu 0xfffe
	s_or_b32 exec_lo, exec_lo, s0
	s_wait_storecnt_dscnt 0x0
	s_barrier_signal -1
	s_barrier_wait -1
	global_inv scope:SCOPE_SE
	s_clause 0x4
	scratch_load_b128 v[5:8], off, off offset:56
	scratch_load_b128 v[1:4], off, off offset:72
	;; [unrolled: 1-line block ×5, first 2 shown]
	v_mov_b32_e32 v25, 0
	ds_load_2addr_b64 v[21:24], v25 offset0:65 offset1:66
	ds_load_2addr_b64 v[26:29], v25 offset0:67 offset1:68
	;; [unrolled: 1-line block ×3, first 2 shown]
	scratch_load_b64 v[152:153], off, off offset:48
	s_mov_b32 s0, exec_lo
	s_wait_loadcnt_dscnt 0x502
	v_mul_f32_e32 v30, v21, v6
	s_wait_loadcnt_dscnt 0x300
	v_dual_mul_f32 v154, v23, v8 :: v_dual_mul_f32 v155, v148, v10
	v_mul_f32_e32 v8, v24, v8
	v_mul_f32_e32 v6, v22, v6
	v_fmac_f32_e32 v30, v22, v5
	v_mul_f32_e32 v10, v149, v10
	v_fmac_f32_e32 v155, v149, v9
	v_fma_f32 v22, v23, v7, -v8
	v_dual_mul_f32 v23, v26, v2 :: v_dual_fmac_f32 v154, v24, v7
	v_mul_f32_e32 v24, v28, v4
	v_mul_f32_e32 v4, v29, v4
	s_delay_alu instid0(VALU_DEP_3)
	v_dual_mul_f32 v156, v150, v12 :: v_dual_fmac_f32 v23, v27, v1
	v_fma_f32 v21, v21, v5, -v6
	ds_load_2addr_b64 v[5:8], v25 offset0:71 offset1:72
	v_mul_f32_e32 v12, v151, v12
	v_mul_f32_e32 v2, v27, v2
	v_fmac_f32_e32 v24, v29, v3
	v_fma_f32 v27, v28, v3, -v4
	v_fma_f32 v28, v148, v9, -v10
	v_fmac_f32_e32 v156, v151, v11
	v_fma_f32 v29, v150, v11, -v12
	ds_load_2addr_b64 v[9:12], v25 offset0:73 offset1:74
	s_wait_loadcnt_dscnt 0x201
	v_dual_mul_f32 v149, v7, v16 :: v_dual_mul_f32 v148, v5, v14
	v_mul_f32_e32 v14, v6, v14
	v_mul_f32_e32 v16, v8, v16
	s_delay_alu instid0(VALU_DEP_3)
	v_fmac_f32_e32 v149, v8, v15
	v_fma_f32 v26, v26, v1, -v2
	scratch_load_b128 v[1:4], off, off offset:136
	v_fmac_f32_e32 v148, v6, v13
	v_fma_f32 v13, v5, v13, -v14
	v_fma_f32 v14, v7, v15, -v16
	s_wait_loadcnt_dscnt 0x200
	v_mul_f32_e32 v15, v9, v18
	v_mul_f32_e32 v16, v10, v18
	;; [unrolled: 1-line block ×4, first 2 shown]
	ds_load_2addr_b64 v[5:8], v25 offset0:75 offset1:76
	v_fmac_f32_e32 v15, v10, v17
	v_fma_f32 v16, v9, v17, -v16
	v_fmac_f32_e32 v18, v12, v19
	v_fma_f32 v17, v11, v19, -v20
	scratch_load_b128 v[9:12], off, off offset:152
	s_wait_loadcnt_dscnt 0x100
	v_mul_f32_e32 v19, v5, v2
	v_mul_f32_e32 v2, v6, v2
	;; [unrolled: 1-line block ×3, first 2 shown]
	s_delay_alu instid0(VALU_DEP_3) | instskip(NEXT) | instid1(VALU_DEP_3)
	v_dual_mul_f32 v4, v8, v4 :: v_dual_fmac_f32 v19, v6, v1
	v_fma_f32 v150, v5, v1, -v2
	s_delay_alu instid0(VALU_DEP_3) | instskip(NEXT) | instid1(VALU_DEP_3)
	v_fmac_f32_e32 v20, v8, v3
	v_fma_f32 v151, v7, v3, -v4
	ds_load_2addr_b64 v[1:4], v25 offset0:77 offset1:78
	ds_load_2addr_b64 v[5:8], v25 offset0:79 offset1:80
	s_wait_loadcnt_dscnt 0x1
	v_mul_f32_e32 v157, v1, v10
	v_mul_f32_e32 v10, v2, v10
	s_delay_alu instid0(VALU_DEP_2) | instskip(NEXT) | instid1(VALU_DEP_2)
	v_dual_mul_f32 v158, v3, v12 :: v_dual_fmac_f32 v157, v2, v9
	v_fma_f32 v159, v1, v9, -v10
	v_mul_f32_e32 v1, v4, v12
	s_delay_alu instid0(VALU_DEP_3) | instskip(NEXT) | instid1(VALU_DEP_2)
	v_fmac_f32_e32 v158, v4, v11
	v_fma_f32 v160, v3, v11, -v1
	s_clause 0x1
	scratch_load_b128 v[1:4], off, off offset:168
	scratch_load_b128 v[9:12], off, off offset:184
	s_wait_loadcnt_dscnt 0x100
	v_mul_f32_e32 v161, v5, v2
	v_dual_mul_f32 v2, v6, v2 :: v_dual_mul_f32 v163, v7, v4
	s_delay_alu instid0(VALU_DEP_2) | instskip(NEXT) | instid1(VALU_DEP_2)
	v_fmac_f32_e32 v161, v6, v1
	v_fma_f32 v162, v5, v1, -v2
	v_mul_f32_e32 v1, v8, v4
	s_delay_alu instid0(VALU_DEP_4) | instskip(NEXT) | instid1(VALU_DEP_2)
	v_fmac_f32_e32 v163, v8, v3
	v_fma_f32 v164, v7, v3, -v1
	ds_load_2addr_b64 v[1:4], v25 offset0:81 offset1:82
	ds_load_2addr_b64 v[5:8], v25 offset0:83 offset1:84
	s_wait_loadcnt_dscnt 0x1
	v_mul_f32_e32 v165, v1, v10
	v_mul_f32_e32 v167, v3, v12
	s_delay_alu instid0(VALU_DEP_2) | instskip(NEXT) | instid1(VALU_DEP_2)
	v_fmac_f32_e32 v165, v2, v9
	v_dual_mul_f32 v2, v2, v10 :: v_dual_fmac_f32 v167, v4, v11
	s_delay_alu instid0(VALU_DEP_1) | instskip(SKIP_1) | instid1(VALU_DEP_1)
	v_fma_f32 v166, v1, v9, -v2
	v_mul_f32_e32 v1, v4, v12
	v_fma_f32 v168, v3, v11, -v1
	s_clause 0x1
	scratch_load_b128 v[1:4], off, off offset:200
	scratch_load_b128 v[9:12], off, off offset:216
	s_wait_loadcnt_dscnt 0x100
	v_mul_f32_e32 v169, v5, v2
	v_dual_mul_f32 v2, v6, v2 :: v_dual_mul_f32 v171, v7, v4
	s_delay_alu instid0(VALU_DEP_2) | instskip(NEXT) | instid1(VALU_DEP_2)
	v_fmac_f32_e32 v169, v6, v1
	v_fma_f32 v170, v5, v1, -v2
	v_mul_f32_e32 v1, v8, v4
	s_delay_alu instid0(VALU_DEP_4) | instskip(NEXT) | instid1(VALU_DEP_2)
	v_fmac_f32_e32 v171, v8, v3
	v_fma_f32 v172, v7, v3, -v1
	ds_load_2addr_b64 v[1:4], v25 offset0:85 offset1:86
	ds_load_2addr_b64 v[5:8], v25 offset0:87 offset1:88
	s_wait_loadcnt_dscnt 0x1
	v_mul_f32_e32 v173, v1, v10
	v_mul_f32_e32 v175, v3, v12
	s_delay_alu instid0(VALU_DEP_2) | instskip(NEXT) | instid1(VALU_DEP_2)
	v_fmac_f32_e32 v173, v2, v9
	v_dual_mul_f32 v2, v2, v10 :: v_dual_fmac_f32 v175, v4, v11
	s_delay_alu instid0(VALU_DEP_1) | instskip(SKIP_1) | instid1(VALU_DEP_1)
	v_fma_f32 v174, v1, v9, -v2
	v_mul_f32_e32 v1, v4, v12
	;; [unrolled: 25-line block ×6, first 2 shown]
	v_fma_f32 v208, v3, v11, -v1
	s_clause 0x1
	scratch_load_b128 v[1:4], off, off offset:360
	scratch_load_b128 v[9:12], off, off offset:376
	s_wait_loadcnt_dscnt 0x100
	v_mul_f32_e32 v209, v5, v2
	v_mul_f32_e32 v2, v6, v2
	s_delay_alu instid0(VALU_DEP_2) | instskip(NEXT) | instid1(VALU_DEP_2)
	v_fmac_f32_e32 v209, v6, v1
	v_fma_f32 v210, v5, v1, -v2
	v_dual_add_f32 v2, 0, v30 :: v_dual_mul_f32 v1, v8, v4
	s_delay_alu instid0(VALU_DEP_1) | instskip(NEXT) | instid1(VALU_DEP_2)
	v_add_f32_e32 v2, v2, v154
	v_fma_f32 v212, v7, v3, -v1
	s_delay_alu instid0(VALU_DEP_2) | instskip(NEXT) | instid1(VALU_DEP_1)
	v_dual_add_f32 v1, 0, v21 :: v_dual_add_f32 v2, v2, v23
	v_dual_add_f32 v1, v1, v22 :: v_dual_add_f32 v2, v2, v24
	s_delay_alu instid0(VALU_DEP_1) | instskip(NEXT) | instid1(VALU_DEP_1)
	v_add_f32_e32 v2, v2, v155
	v_add_f32_e32 v2, v2, v156
	s_delay_alu instid0(VALU_DEP_1) | instskip(NEXT) | instid1(VALU_DEP_1)
	v_add_f32_e32 v2, v2, v148
	v_add_f32_e32 v2, v2, v149
	;; [unrolled: 3-line block ×3, first 2 shown]
	s_delay_alu instid0(VALU_DEP_1) | instskip(NEXT) | instid1(VALU_DEP_1)
	v_add_f32_e32 v2, v2, v19
	v_dual_add_f32 v2, v2, v20 :: v_dual_add_f32 v1, v1, v26
	s_delay_alu instid0(VALU_DEP_1) | instskip(SKIP_2) | instid1(VALU_DEP_1)
	v_dual_add_f32 v2, v2, v157 :: v_dual_add_f32 v1, v1, v27
	scratch_load_b64 v[26:27], off, off offset:456
	v_dual_add_f32 v2, v2, v158 :: v_dual_add_f32 v1, v1, v28
	v_add_f32_e32 v2, v2, v161
	s_delay_alu instid0(VALU_DEP_1) | instskip(NEXT) | instid1(VALU_DEP_1)
	v_dual_add_f32 v1, v1, v29 :: v_dual_add_f32 v2, v2, v163
	v_add_f32_e32 v1, v1, v13
	s_delay_alu instid0(VALU_DEP_1) | instskip(NEXT) | instid1(VALU_DEP_1)
	v_dual_add_f32 v2, v2, v165 :: v_dual_add_f32 v1, v1, v14
	v_dual_add_f32 v2, v2, v167 :: v_dual_add_f32 v1, v1, v16
	s_delay_alu instid0(VALU_DEP_1) | instskip(NEXT) | instid1(VALU_DEP_1)
	v_add_f32_e32 v2, v2, v169
	v_dual_add_f32 v1, v1, v17 :: v_dual_add_f32 v2, v2, v171
	s_delay_alu instid0(VALU_DEP_1) | instskip(NEXT) | instid1(VALU_DEP_1)
	v_dual_add_f32 v1, v1, v150 :: v_dual_add_f32 v2, v2, v173
	v_add_f32_e32 v1, v1, v151
	s_delay_alu instid0(VALU_DEP_2) | instskip(NEXT) | instid1(VALU_DEP_2)
	v_add_f32_e32 v2, v2, v175
	v_add_f32_e32 v1, v1, v159
	s_delay_alu instid0(VALU_DEP_1) | instskip(NEXT) | instid1(VALU_DEP_1)
	v_add_f32_e32 v1, v1, v160
	v_add_f32_e32 v1, v1, v162
	s_delay_alu instid0(VALU_DEP_1) | instskip(NEXT) | instid1(VALU_DEP_1)
	;; [unrolled: 3-line block ×7, first 2 shown]
	v_add_f32_e32 v1, v1, v184
	v_add_f32_e32 v6, v1, v186
	;; [unrolled: 1-line block ×3, first 2 shown]
	s_delay_alu instid0(VALU_DEP_2) | instskip(NEXT) | instid1(VALU_DEP_2)
	v_add_f32_e32 v14, v6, v188
	v_dual_add_f32 v2, v2, v179 :: v_dual_mul_f32 v211, v7, v4
	s_delay_alu instid0(VALU_DEP_2) | instskip(NEXT) | instid1(VALU_DEP_2)
	v_add_f32_e32 v14, v14, v190
	v_dual_add_f32 v2, v2, v181 :: v_dual_fmac_f32 v211, v8, v3
	s_delay_alu instid0(VALU_DEP_2) | instskip(NEXT) | instid1(VALU_DEP_2)
	v_add_f32_e32 v17, v14, v192
	v_add_f32_e32 v5, v2, v183
	scratch_load_b128 v[1:4], off, off offset:392
	v_add_f32_e32 v17, v17, v194
	v_add_f32_e32 v13, v5, v185
	ds_load_2addr_b64 v[5:8], v25 offset0:105 offset1:106
	v_add_f32_e32 v17, v17, v196
	v_add_f32_e32 v13, v13, v187
	s_delay_alu instid0(VALU_DEP_2) | instskip(NEXT) | instid1(VALU_DEP_2)
	v_add_f32_e32 v17, v17, v198
	v_add_f32_e32 v13, v13, v189
	s_delay_alu instid0(VALU_DEP_2) | instskip(NEXT) | instid1(VALU_DEP_2)
	v_add_f32_e32 v22, v17, v200
	v_add_f32_e32 v18, v13, v191
	ds_load_2addr_b64 v[13:16], v25 offset0:107 offset1:108
	v_add_f32_e32 v22, v22, v202
	s_wait_loadcnt_dscnt 0x201
	v_mul_f32_e32 v30, v5, v10
	v_mul_f32_e32 v10, v6, v10
	;; [unrolled: 1-line block ×4, first 2 shown]
	v_add_f32_e32 v18, v18, v193
	v_fmac_f32_e32 v30, v6, v9
	v_fma_f32 v149, v5, v9, -v10
	v_fmac_f32_e32 v148, v8, v11
	v_fma_f32 v150, v7, v11, -v12
	s_clause 0x1
	scratch_load_b128 v[5:8], off, off offset:408
	scratch_load_b128 v[9:12], off, off offset:424
	v_add_f32_e32 v18, v18, v195
	v_add_f32_e32 v22, v22, v204
	s_delay_alu instid0(VALU_DEP_2) | instskip(SKIP_2) | instid1(VALU_DEP_1)
	v_add_f32_e32 v21, v18, v197
	scratch_load_b128 v[17:20], off, off offset:440
	v_dual_add_f32 v22, v22, v206 :: v_dual_add_f32 v21, v21, v199
	v_add_f32_e32 v21, v21, v201
	s_delay_alu instid0(VALU_DEP_1) | instskip(SKIP_4) | instid1(VALU_DEP_3)
	v_add_f32_e32 v21, v21, v203
	s_wait_loadcnt_dscnt 0x300
	v_mul_f32_e32 v151, v13, v2
	v_mul_f32_e32 v2, v14, v2
	v_mul_f32_e32 v154, v15, v4
	v_dual_mul_f32 v4, v16, v4 :: v_dual_fmac_f32 v151, v14, v1
	s_delay_alu instid0(VALU_DEP_3) | instskip(SKIP_1) | instid1(VALU_DEP_4)
	v_fma_f32 v155, v13, v1, -v2
	v_dual_add_f32 v13, v21, v205 :: v_dual_add_f32 v14, v22, v208
	v_fmac_f32_e32 v154, v16, v3
	s_delay_alu instid0(VALU_DEP_4)
	v_fma_f32 v156, v15, v3, -v4
	ds_load_2addr_b64 v[1:4], v25 offset0:109 offset1:110
	v_dual_add_f32 v21, v13, v207 :: v_dual_add_f32 v28, v14, v210
	ds_load_2addr_b64 v[13:16], v25 offset0:111 offset1:112
	v_add_f32_e32 v29, v21, v209
	v_add_f32_e32 v157, v28, v212
	ds_load_2addr_b64 v[21:24], v25 offset0:113 offset1:114
	v_add_f32_e32 v158, v29, v211
	v_add_f32_e32 v149, v157, v149
	ds_load_b64 v[28:29], v25 offset:920
	v_add_f32_e32 v30, v158, v30
	s_delay_alu instid0(VALU_DEP_1) | instskip(NEXT) | instid1(VALU_DEP_1)
	v_dual_add_f32 v149, v149, v150 :: v_dual_add_f32 v30, v30, v148
	v_add_f32_e32 v149, v149, v155
	s_wait_loadcnt_dscnt 0x203
	v_mul_f32_e32 v157, v1, v6
	v_mul_f32_e32 v6, v2, v6
	;; [unrolled: 1-line block ×3, first 2 shown]
	v_add_f32_e32 v30, v30, v151
	v_mul_f32_e32 v8, v4, v8
	v_add_f32_e32 v149, v149, v156
	v_fma_f32 v1, v1, v5, -v6
	v_fmac_f32_e32 v157, v2, v5
	v_add_f32_e32 v30, v30, v154
	s_wait_loadcnt_dscnt 0x102
	v_mul_f32_e32 v150, v13, v10
	v_fmac_f32_e32 v148, v4, v7
	v_fma_f32 v2, v3, v7, -v8
	v_mul_f32_e32 v3, v14, v10
	v_add_f32_e32 v1, v149, v1
	v_dual_add_f32 v4, v30, v157 :: v_dual_mul_f32 v151, v15, v12
	v_dual_mul_f32 v5, v16, v12 :: v_dual_fmac_f32 v150, v14, v9
	s_delay_alu instid0(VALU_DEP_4) | instskip(NEXT) | instid1(VALU_DEP_3)
	v_fma_f32 v3, v13, v9, -v3
	v_dual_add_f32 v1, v1, v2 :: v_dual_add_f32 v2, v4, v148
	s_wait_loadcnt_dscnt 0x1
	v_mul_f32_e32 v155, v21, v18
	v_dual_mul_f32 v4, v22, v18 :: v_dual_fmac_f32 v151, v16, v11
	v_fma_f32 v5, v15, v11, -v5
	v_dual_add_f32 v1, v1, v3 :: v_dual_add_f32 v2, v2, v150
	v_mul_f32_e32 v156, v23, v20
	v_mul_f32_e32 v3, v24, v20
	v_fmac_f32_e32 v155, v22, v17
	v_fma_f32 v4, v21, v17, -v4
	v_dual_add_f32 v1, v1, v5 :: v_dual_add_f32 v2, v2, v151
	s_wait_dscnt 0x0
	v_mul_f32_e32 v154, v28, v27
	v_mul_f32_e32 v5, v29, v27
	v_fmac_f32_e32 v156, v24, v19
	v_fma_f32 v3, v23, v19, -v3
	v_dual_add_f32 v1, v1, v4 :: v_dual_add_f32 v2, v2, v155
	v_fmac_f32_e32 v154, v29, v26
	v_fma_f32 v4, v28, v26, -v5
	s_delay_alu instid0(VALU_DEP_3) | instskip(NEXT) | instid1(VALU_DEP_1)
	v_dual_add_f32 v1, v1, v3 :: v_dual_add_f32 v2, v2, v156
	v_dual_add_f32 v1, v1, v4 :: v_dual_add_f32 v2, v2, v154
	s_delay_alu instid0(VALU_DEP_1)
	v_dual_sub_f32 v1, v152, v1 :: v_dual_sub_f32 v2, v153, v2
	scratch_store_b64 off, v[1:2], off offset:48
	v_cmpx_lt_u32_e32 5, v0
	s_cbranch_execz .LBB57_351
; %bb.350:
	scratch_load_b64 v[1:2], off, off offset:40
	v_mov_b32_e32 v26, v25
	scratch_store_b64 off, v[25:26], off offset:40
	s_wait_loadcnt 0x0
	ds_store_b64 v31, v[1:2]
.LBB57_351:
	s_wait_alu 0xfffe
	s_or_b32 exec_lo, exec_lo, s0
	s_wait_storecnt_dscnt 0x0
	s_barrier_signal -1
	s_barrier_wait -1
	global_inv scope:SCOPE_SE
	s_clause 0x4
	scratch_load_b128 v[5:8], off, off offset:48
	scratch_load_b128 v[1:4], off, off offset:64
	scratch_load_b128 v[9:12], off, off offset:80
	scratch_load_b128 v[13:16], off, off offset:96
	scratch_load_b128 v[17:20], off, off offset:112
	ds_load_b128 v[21:24], v25 offset:512
	ds_load_b128 v[26:29], v25 offset:528
	;; [unrolled: 1-line block ×3, first 2 shown]
	scratch_load_b64 v[152:153], off, off offset:40
	s_mov_b32 s0, exec_lo
	s_wait_loadcnt_dscnt 0x502
	v_mul_f32_e32 v30, v21, v6
	v_mul_f32_e32 v154, v23, v8
	v_mul_f32_e32 v8, v24, v8
	s_wait_loadcnt_dscnt 0x300
	v_mul_f32_e32 v155, v148, v10
	v_mul_f32_e32 v6, v22, v6
	v_fmac_f32_e32 v30, v22, v5
	v_mul_f32_e32 v10, v149, v10
	v_fma_f32 v22, v23, v7, -v8
	v_dual_mul_f32 v23, v26, v2 :: v_dual_fmac_f32 v154, v24, v7
	v_fmac_f32_e32 v155, v149, v9
	v_fma_f32 v21, v21, v5, -v6
	ds_load_b128 v[5:8], v25 offset:560
	v_mul_f32_e32 v24, v28, v4
	v_mul_f32_e32 v4, v29, v4
	;; [unrolled: 1-line block ×5, first 2 shown]
	v_dual_fmac_f32 v23, v27, v1 :: v_dual_fmac_f32 v24, v29, v3
	v_fma_f32 v27, v28, v3, -v4
	v_fma_f32 v28, v148, v9, -v10
	v_fmac_f32_e32 v156, v151, v11
	v_fma_f32 v29, v150, v11, -v12
	ds_load_b128 v[9:12], v25 offset:576
	s_wait_loadcnt_dscnt 0x201
	v_dual_mul_f32 v149, v7, v16 :: v_dual_mul_f32 v148, v5, v14
	v_mul_f32_e32 v14, v6, v14
	v_mul_f32_e32 v16, v8, v16
	s_delay_alu instid0(VALU_DEP_3)
	v_fmac_f32_e32 v149, v8, v15
	v_fma_f32 v26, v26, v1, -v2
	scratch_load_b128 v[1:4], off, off offset:128
	v_fmac_f32_e32 v148, v6, v13
	v_fma_f32 v13, v5, v13, -v14
	v_fma_f32 v14, v7, v15, -v16
	ds_load_b128 v[5:8], v25 offset:592
	s_wait_loadcnt_dscnt 0x201
	v_mul_f32_e32 v15, v9, v18
	v_mul_f32_e32 v16, v10, v18
	;; [unrolled: 1-line block ×3, first 2 shown]
	s_delay_alu instid0(VALU_DEP_3) | instskip(NEXT) | instid1(VALU_DEP_3)
	v_dual_mul_f32 v20, v12, v20 :: v_dual_fmac_f32 v15, v10, v17
	v_fma_f32 v16, v9, v17, -v16
	s_delay_alu instid0(VALU_DEP_3) | instskip(NEXT) | instid1(VALU_DEP_3)
	v_fmac_f32_e32 v18, v12, v19
	v_fma_f32 v17, v11, v19, -v20
	scratch_load_b128 v[9:12], off, off offset:144
	s_wait_loadcnt_dscnt 0x100
	v_mul_f32_e32 v19, v5, v2
	v_mul_f32_e32 v2, v6, v2
	;; [unrolled: 1-line block ×3, first 2 shown]
	s_delay_alu instid0(VALU_DEP_3) | instskip(NEXT) | instid1(VALU_DEP_3)
	v_dual_mul_f32 v4, v8, v4 :: v_dual_fmac_f32 v19, v6, v1
	v_fma_f32 v150, v5, v1, -v2
	s_delay_alu instid0(VALU_DEP_3) | instskip(NEXT) | instid1(VALU_DEP_3)
	v_fmac_f32_e32 v20, v8, v3
	v_fma_f32 v151, v7, v3, -v4
	ds_load_b128 v[1:4], v25 offset:608
	ds_load_b128 v[5:8], v25 offset:624
	s_wait_loadcnt_dscnt 0x1
	v_mul_f32_e32 v157, v1, v10
	v_mul_f32_e32 v10, v2, v10
	s_delay_alu instid0(VALU_DEP_2) | instskip(NEXT) | instid1(VALU_DEP_2)
	v_dual_mul_f32 v158, v3, v12 :: v_dual_fmac_f32 v157, v2, v9
	v_fma_f32 v159, v1, v9, -v10
	v_mul_f32_e32 v1, v4, v12
	s_delay_alu instid0(VALU_DEP_3) | instskip(NEXT) | instid1(VALU_DEP_2)
	v_fmac_f32_e32 v158, v4, v11
	v_fma_f32 v160, v3, v11, -v1
	s_clause 0x1
	scratch_load_b128 v[1:4], off, off offset:160
	scratch_load_b128 v[9:12], off, off offset:176
	s_wait_loadcnt_dscnt 0x100
	v_mul_f32_e32 v161, v5, v2
	v_dual_mul_f32 v2, v6, v2 :: v_dual_mul_f32 v163, v7, v4
	s_delay_alu instid0(VALU_DEP_2) | instskip(NEXT) | instid1(VALU_DEP_2)
	v_fmac_f32_e32 v161, v6, v1
	v_fma_f32 v162, v5, v1, -v2
	v_mul_f32_e32 v1, v8, v4
	s_delay_alu instid0(VALU_DEP_4) | instskip(NEXT) | instid1(VALU_DEP_2)
	v_fmac_f32_e32 v163, v8, v3
	v_fma_f32 v164, v7, v3, -v1
	ds_load_b128 v[1:4], v25 offset:640
	ds_load_b128 v[5:8], v25 offset:656
	s_wait_loadcnt_dscnt 0x1
	v_mul_f32_e32 v165, v1, v10
	v_mul_f32_e32 v167, v3, v12
	s_delay_alu instid0(VALU_DEP_2) | instskip(NEXT) | instid1(VALU_DEP_2)
	v_fmac_f32_e32 v165, v2, v9
	v_dual_mul_f32 v2, v2, v10 :: v_dual_fmac_f32 v167, v4, v11
	s_delay_alu instid0(VALU_DEP_1) | instskip(SKIP_1) | instid1(VALU_DEP_1)
	v_fma_f32 v166, v1, v9, -v2
	v_mul_f32_e32 v1, v4, v12
	v_fma_f32 v168, v3, v11, -v1
	s_clause 0x1
	scratch_load_b128 v[1:4], off, off offset:192
	scratch_load_b128 v[9:12], off, off offset:208
	s_wait_loadcnt_dscnt 0x100
	v_mul_f32_e32 v169, v5, v2
	v_dual_mul_f32 v2, v6, v2 :: v_dual_mul_f32 v171, v7, v4
	s_delay_alu instid0(VALU_DEP_2) | instskip(NEXT) | instid1(VALU_DEP_2)
	v_fmac_f32_e32 v169, v6, v1
	v_fma_f32 v170, v5, v1, -v2
	v_mul_f32_e32 v1, v8, v4
	s_delay_alu instid0(VALU_DEP_4) | instskip(NEXT) | instid1(VALU_DEP_2)
	v_fmac_f32_e32 v171, v8, v3
	v_fma_f32 v172, v7, v3, -v1
	ds_load_b128 v[1:4], v25 offset:672
	ds_load_b128 v[5:8], v25 offset:688
	s_wait_loadcnt_dscnt 0x1
	v_mul_f32_e32 v173, v1, v10
	v_mul_f32_e32 v175, v3, v12
	s_delay_alu instid0(VALU_DEP_2) | instskip(NEXT) | instid1(VALU_DEP_2)
	v_fmac_f32_e32 v173, v2, v9
	v_dual_mul_f32 v2, v2, v10 :: v_dual_fmac_f32 v175, v4, v11
	s_delay_alu instid0(VALU_DEP_1) | instskip(SKIP_1) | instid1(VALU_DEP_1)
	v_fma_f32 v174, v1, v9, -v2
	v_mul_f32_e32 v1, v4, v12
	;; [unrolled: 25-line block ×7, first 2 shown]
	v_fma_f32 v216, v3, v11, -v1
	s_clause 0x1
	scratch_load_b128 v[1:4], off, off offset:384
	scratch_load_b128 v[9:12], off, off offset:400
	s_wait_loadcnt_dscnt 0x100
	v_mul_f32_e32 v217, v5, v2
	v_dual_mul_f32 v2, v6, v2 :: v_dual_mul_f32 v219, v7, v4
	s_delay_alu instid0(VALU_DEP_2) | instskip(NEXT) | instid1(VALU_DEP_2)
	v_fmac_f32_e32 v217, v6, v1
	v_fma_f32 v218, v5, v1, -v2
	v_add_f32_e32 v2, 0, v30
	s_delay_alu instid0(VALU_DEP_1) | instskip(NEXT) | instid1(VALU_DEP_1)
	v_add_f32_e32 v2, v2, v154
	v_add_f32_e32 v2, v2, v23
	s_delay_alu instid0(VALU_DEP_1) | instskip(NEXT) | instid1(VALU_DEP_1)
	v_add_f32_e32 v2, v2, v24
	;; [unrolled: 3-line block ×6, first 2 shown]
	v_dual_mul_f32 v1, v8, v4 :: v_dual_add_f32 v2, v2, v157
	s_delay_alu instid0(VALU_DEP_1) | instskip(NEXT) | instid1(VALU_DEP_2)
	v_fma_f32 v220, v7, v3, -v1
	v_dual_add_f32 v1, 0, v21 :: v_dual_add_f32 v2, v2, v158
	s_delay_alu instid0(VALU_DEP_1) | instskip(NEXT) | instid1(VALU_DEP_1)
	v_dual_add_f32 v1, v1, v22 :: v_dual_add_f32 v2, v2, v161
	v_dual_add_f32 v1, v1, v26 :: v_dual_add_f32 v2, v2, v163
	s_delay_alu instid0(VALU_DEP_1) | instskip(NEXT) | instid1(VALU_DEP_1)
	v_dual_add_f32 v1, v1, v27 :: v_dual_add_f32 v2, v2, v165
	v_dual_add_f32 v1, v1, v28 :: v_dual_add_f32 v2, v2, v167
	s_delay_alu instid0(VALU_DEP_1) | instskip(NEXT) | instid1(VALU_DEP_2)
	v_add_f32_e32 v1, v1, v29
	v_add_f32_e32 v2, v2, v169
	s_delay_alu instid0(VALU_DEP_1) | instskip(NEXT) | instid1(VALU_DEP_1)
	v_dual_add_f32 v1, v1, v13 :: v_dual_add_f32 v2, v2, v171
	v_dual_add_f32 v1, v1, v14 :: v_dual_add_f32 v2, v2, v173
	s_delay_alu instid0(VALU_DEP_1) | instskip(NEXT) | instid1(VALU_DEP_1)
	v_dual_add_f32 v1, v1, v16 :: v_dual_add_f32 v2, v2, v175
	v_add_f32_e32 v1, v1, v17
	s_delay_alu instid0(VALU_DEP_1) | instskip(NEXT) | instid1(VALU_DEP_1)
	v_dual_add_f32 v2, v2, v177 :: v_dual_add_f32 v1, v1, v150
	v_add_f32_e32 v2, v2, v179
	s_delay_alu instid0(VALU_DEP_2) | instskip(NEXT) | instid1(VALU_DEP_1)
	v_add_f32_e32 v1, v1, v151
	v_add_f32_e32 v1, v1, v159
	s_delay_alu instid0(VALU_DEP_1) | instskip(NEXT) | instid1(VALU_DEP_1)
	v_add_f32_e32 v1, v1, v160
	v_add_f32_e32 v1, v1, v162
	s_delay_alu instid0(VALU_DEP_1) | instskip(NEXT) | instid1(VALU_DEP_1)
	;; [unrolled: 3-line block ×8, first 2 shown]
	v_add_f32_e32 v1, v1, v188
	v_add_f32_e32 v1, v1, v190
	s_delay_alu instid0(VALU_DEP_1) | instskip(SKIP_1) | instid1(VALU_DEP_2)
	v_add_f32_e32 v6, v1, v192
	v_add_f32_e32 v2, v2, v181
	;; [unrolled: 1-line block ×3, first 2 shown]
	s_delay_alu instid0(VALU_DEP_2) | instskip(NEXT) | instid1(VALU_DEP_2)
	v_add_f32_e32 v2, v2, v183
	v_add_f32_e32 v13, v6, v196
	s_delay_alu instid0(VALU_DEP_1) | instskip(NEXT) | instid1(VALU_DEP_1)
	v_dual_add_f32 v2, v2, v185 :: v_dual_add_f32 v13, v13, v198
	v_dual_add_f32 v2, v2, v187 :: v_dual_add_f32 v13, v13, v200
	s_delay_alu instid0(VALU_DEP_1) | instskip(NEXT) | instid1(VALU_DEP_2)
	v_add_f32_e32 v5, v2, v189
	v_add_f32_e32 v13, v13, v202
	s_delay_alu instid0(VALU_DEP_2) | instskip(NEXT) | instid1(VALU_DEP_2)
	v_add_f32_e32 v5, v5, v191
	v_add_f32_e32 v18, v13, v204
	s_delay_alu instid0(VALU_DEP_2)
	v_add_f32_e32 v5, v5, v193
	v_fmac_f32_e32 v219, v8, v3
	ds_load_b128 v[1:4], v25 offset:864
	v_add_f32_e32 v18, v18, v206
	v_add_f32_e32 v14, v5, v195
	ds_load_b128 v[5:8], v25 offset:880
	v_add_f32_e32 v18, v18, v208
	v_add_f32_e32 v14, v14, v197
	s_delay_alu instid0(VALU_DEP_2) | instskip(NEXT) | instid1(VALU_DEP_2)
	v_add_f32_e32 v21, v18, v210
	v_add_f32_e32 v14, v14, v199
	s_delay_alu instid0(VALU_DEP_1)
	v_dual_add_f32 v30, v21, v212 :: v_dual_add_f32 v17, v14, v201
	scratch_load_b128 v[13:16], off, off offset:448
	s_wait_loadcnt_dscnt 0x101
	v_dual_mul_f32 v26, v1, v10 :: v_dual_mul_f32 v27, v3, v12
	v_mul_f32_e32 v10, v2, v10
	v_dual_mul_f32 v12, v4, v12 :: v_dual_add_f32 v17, v17, v203
	s_delay_alu instid0(VALU_DEP_3) | instskip(NEXT) | instid1(VALU_DEP_3)
	v_dual_fmac_f32 v26, v2, v9 :: v_dual_fmac_f32 v27, v4, v11
	v_fma_f32 v28, v1, v9, -v10
	s_delay_alu instid0(VALU_DEP_3) | instskip(SKIP_4) | instid1(VALU_DEP_1)
	v_fma_f32 v29, v3, v11, -v12
	s_clause 0x1
	scratch_load_b128 v[1:4], off, off offset:416
	scratch_load_b128 v[9:12], off, off offset:432
	v_add_f32_e32 v17, v17, v205
	v_add_f32_e32 v17, v17, v207
	s_delay_alu instid0(VALU_DEP_1) | instskip(SKIP_4) | instid1(VALU_DEP_1)
	v_add_f32_e32 v22, v17, v209
	ds_load_b128 v[17:20], v25 offset:896
	v_add_f32_e32 v148, v22, v211
	ds_load_b128 v[21:24], v25 offset:912
	v_add_f32_e32 v25, v30, v214
	v_add_f32_e32 v25, v25, v216
	s_delay_alu instid0(VALU_DEP_1) | instskip(NEXT) | instid1(VALU_DEP_1)
	v_add_f32_e32 v25, v25, v218
	v_add_f32_e32 v25, v25, v220
	s_delay_alu instid0(VALU_DEP_1) | instskip(SKIP_4) | instid1(VALU_DEP_3)
	v_add_f32_e32 v25, v25, v28
	s_wait_loadcnt_dscnt 0x200
	v_mul_f32_e32 v154, v21, v14
	v_add_f32_e32 v30, v148, v213
	v_mul_f32_e32 v28, v23, v16
	v_fmac_f32_e32 v154, v22, v13
	s_delay_alu instid0(VALU_DEP_3) | instskip(SKIP_1) | instid1(VALU_DEP_3)
	v_add_f32_e32 v30, v30, v215
	s_wait_loadcnt 0x1
	v_dual_fmac_f32 v28, v24, v15 :: v_dual_mul_f32 v149, v7, v4
	v_mul_f32_e32 v4, v8, v4
	s_delay_alu instid0(VALU_DEP_3)
	v_add_f32_e32 v30, v30, v217
	v_mul_f32_e32 v148, v5, v2
	v_mul_f32_e32 v2, v6, v2
	s_wait_loadcnt 0x0
	v_dual_mul_f32 v150, v17, v10 :: v_dual_fmac_f32 v149, v8, v3
	v_add_f32_e32 v30, v30, v219
	v_fmac_f32_e32 v148, v6, v1
	v_fma_f32 v2, v5, v1, -v2
	v_dual_add_f32 v1, v25, v29 :: v_dual_mul_f32 v6, v18, v10
	s_delay_alu instid0(VALU_DEP_4) | instskip(SKIP_2) | instid1(VALU_DEP_4)
	v_add_f32_e32 v26, v30, v26
	v_fma_f32 v3, v7, v3, -v4
	v_mul_f32_e32 v151, v19, v12
	v_dual_add_f32 v1, v1, v2 :: v_dual_mul_f32 v4, v20, v12
	s_delay_alu instid0(VALU_DEP_4) | instskip(NEXT) | instid1(VALU_DEP_3)
	v_add_f32_e32 v5, v26, v27
	v_dual_fmac_f32 v150, v18, v9 :: v_dual_fmac_f32 v151, v20, v11
	s_delay_alu instid0(VALU_DEP_3) | instskip(NEXT) | instid1(VALU_DEP_3)
	v_add_f32_e32 v1, v1, v3
	v_dual_mul_f32 v3, v22, v14 :: v_dual_add_f32 v2, v5, v148
	v_fma_f32 v5, v17, v9, -v6
	v_fma_f32 v4, v19, v11, -v4
	s_delay_alu instid0(VALU_DEP_3) | instskip(NEXT) | instid1(VALU_DEP_4)
	v_fma_f32 v3, v21, v13, -v3
	v_add_f32_e32 v2, v2, v149
	s_delay_alu instid0(VALU_DEP_4) | instskip(NEXT) | instid1(VALU_DEP_2)
	v_add_f32_e32 v1, v1, v5
	v_dual_mul_f32 v5, v24, v16 :: v_dual_add_f32 v2, v2, v150
	s_delay_alu instid0(VALU_DEP_2) | instskip(NEXT) | instid1(VALU_DEP_2)
	v_add_f32_e32 v1, v1, v4
	v_fma_f32 v4, v23, v15, -v5
	s_delay_alu instid0(VALU_DEP_3) | instskip(NEXT) | instid1(VALU_DEP_1)
	v_add_f32_e32 v2, v2, v151
	v_dual_add_f32 v1, v1, v3 :: v_dual_add_f32 v2, v2, v154
	s_delay_alu instid0(VALU_DEP_1) | instskip(NEXT) | instid1(VALU_DEP_1)
	v_add_f32_e32 v1, v1, v4
	v_dual_add_f32 v2, v2, v28 :: v_dual_sub_f32 v1, v152, v1
	s_delay_alu instid0(VALU_DEP_1)
	v_sub_f32_e32 v2, v153, v2
	scratch_store_b64 off, v[1:2], off offset:40
	v_cmpx_lt_u32_e32 4, v0
	s_cbranch_execz .LBB57_353
; %bb.352:
	scratch_load_b64 v[1:2], off, off offset:32
	v_mov_b32_e32 v3, 0
	s_delay_alu instid0(VALU_DEP_1)
	v_mov_b32_e32 v4, v3
	scratch_store_b64 off, v[3:4], off offset:32
	s_wait_loadcnt 0x0
	ds_store_b64 v31, v[1:2]
.LBB57_353:
	s_wait_alu 0xfffe
	s_or_b32 exec_lo, exec_lo, s0
	s_wait_storecnt_dscnt 0x0
	s_barrier_signal -1
	s_barrier_wait -1
	global_inv scope:SCOPE_SE
	s_clause 0x4
	scratch_load_b128 v[5:8], off, off offset:40
	scratch_load_b128 v[1:4], off, off offset:56
	;; [unrolled: 1-line block ×5, first 2 shown]
	v_mov_b32_e32 v25, 0
	ds_load_2addr_b64 v[21:24], v25 offset0:63 offset1:64
	ds_load_2addr_b64 v[26:29], v25 offset0:65 offset1:66
	;; [unrolled: 1-line block ×3, first 2 shown]
	scratch_load_b64 v[152:153], off, off offset:32
	s_mov_b32 s0, exec_lo
	s_wait_loadcnt_dscnt 0x502
	v_mul_f32_e32 v30, v21, v6
	s_wait_loadcnt_dscnt 0x300
	v_dual_mul_f32 v154, v23, v8 :: v_dual_mul_f32 v155, v148, v10
	v_mul_f32_e32 v8, v24, v8
	v_mul_f32_e32 v6, v22, v6
	v_fmac_f32_e32 v30, v22, v5
	s_delay_alu instid0(VALU_DEP_4) | instskip(NEXT) | instid1(VALU_DEP_4)
	v_dual_mul_f32 v156, v150, v12 :: v_dual_fmac_f32 v155, v149, v9
	v_fma_f32 v22, v23, v7, -v8
	v_dual_mul_f32 v23, v26, v2 :: v_dual_fmac_f32 v154, v24, v7
	v_mul_f32_e32 v24, v28, v4
	v_mul_f32_e32 v4, v29, v4
	s_delay_alu instid0(VALU_DEP_3)
	v_dual_mul_f32 v10, v149, v10 :: v_dual_fmac_f32 v23, v27, v1
	v_fma_f32 v21, v21, v5, -v6
	ds_load_2addr_b64 v[5:8], v25 offset0:69 offset1:70
	v_mul_f32_e32 v12, v151, v12
	v_mul_f32_e32 v2, v27, v2
	v_fmac_f32_e32 v24, v29, v3
	v_fma_f32 v27, v28, v3, -v4
	v_fmac_f32_e32 v156, v151, v11
	v_fma_f32 v28, v148, v9, -v10
	v_fma_f32 v29, v150, v11, -v12
	ds_load_2addr_b64 v[9:12], v25 offset0:71 offset1:72
	s_wait_loadcnt_dscnt 0x201
	v_dual_mul_f32 v149, v7, v16 :: v_dual_mul_f32 v148, v5, v14
	v_mul_f32_e32 v14, v6, v14
	v_mul_f32_e32 v16, v8, v16
	s_delay_alu instid0(VALU_DEP_3)
	v_fmac_f32_e32 v149, v8, v15
	v_fma_f32 v26, v26, v1, -v2
	scratch_load_b128 v[1:4], off, off offset:120
	v_fmac_f32_e32 v148, v6, v13
	v_fma_f32 v13, v5, v13, -v14
	v_fma_f32 v14, v7, v15, -v16
	s_wait_loadcnt_dscnt 0x200
	v_mul_f32_e32 v15, v9, v18
	v_mul_f32_e32 v16, v10, v18
	;; [unrolled: 1-line block ×4, first 2 shown]
	ds_load_2addr_b64 v[5:8], v25 offset0:73 offset1:74
	v_fmac_f32_e32 v15, v10, v17
	v_fma_f32 v16, v9, v17, -v16
	v_fmac_f32_e32 v18, v12, v19
	v_fma_f32 v17, v11, v19, -v20
	scratch_load_b128 v[9:12], off, off offset:136
	s_wait_loadcnt_dscnt 0x100
	v_mul_f32_e32 v19, v5, v2
	v_mul_f32_e32 v2, v6, v2
	;; [unrolled: 1-line block ×3, first 2 shown]
	s_delay_alu instid0(VALU_DEP_3) | instskip(NEXT) | instid1(VALU_DEP_3)
	v_dual_mul_f32 v4, v8, v4 :: v_dual_fmac_f32 v19, v6, v1
	v_fma_f32 v150, v5, v1, -v2
	s_delay_alu instid0(VALU_DEP_3) | instskip(NEXT) | instid1(VALU_DEP_3)
	v_fmac_f32_e32 v20, v8, v3
	v_fma_f32 v151, v7, v3, -v4
	ds_load_2addr_b64 v[1:4], v25 offset0:75 offset1:76
	ds_load_2addr_b64 v[5:8], v25 offset0:77 offset1:78
	s_wait_loadcnt_dscnt 0x1
	v_mul_f32_e32 v157, v1, v10
	v_mul_f32_e32 v10, v2, v10
	s_delay_alu instid0(VALU_DEP_2) | instskip(NEXT) | instid1(VALU_DEP_2)
	v_dual_mul_f32 v158, v3, v12 :: v_dual_fmac_f32 v157, v2, v9
	v_fma_f32 v159, v1, v9, -v10
	v_mul_f32_e32 v1, v4, v12
	s_delay_alu instid0(VALU_DEP_3) | instskip(NEXT) | instid1(VALU_DEP_2)
	v_fmac_f32_e32 v158, v4, v11
	v_fma_f32 v160, v3, v11, -v1
	s_clause 0x1
	scratch_load_b128 v[1:4], off, off offset:152
	scratch_load_b128 v[9:12], off, off offset:168
	s_wait_loadcnt_dscnt 0x100
	v_mul_f32_e32 v161, v5, v2
	v_dual_mul_f32 v2, v6, v2 :: v_dual_mul_f32 v163, v7, v4
	s_delay_alu instid0(VALU_DEP_2) | instskip(NEXT) | instid1(VALU_DEP_2)
	v_fmac_f32_e32 v161, v6, v1
	v_fma_f32 v162, v5, v1, -v2
	v_mul_f32_e32 v1, v8, v4
	s_delay_alu instid0(VALU_DEP_4) | instskip(NEXT) | instid1(VALU_DEP_2)
	v_fmac_f32_e32 v163, v8, v3
	v_fma_f32 v164, v7, v3, -v1
	ds_load_2addr_b64 v[1:4], v25 offset0:79 offset1:80
	ds_load_2addr_b64 v[5:8], v25 offset0:81 offset1:82
	s_wait_loadcnt_dscnt 0x1
	v_mul_f32_e32 v165, v1, v10
	v_mul_f32_e32 v167, v3, v12
	s_delay_alu instid0(VALU_DEP_2) | instskip(NEXT) | instid1(VALU_DEP_2)
	v_fmac_f32_e32 v165, v2, v9
	v_dual_mul_f32 v2, v2, v10 :: v_dual_fmac_f32 v167, v4, v11
	s_delay_alu instid0(VALU_DEP_1) | instskip(SKIP_1) | instid1(VALU_DEP_1)
	v_fma_f32 v166, v1, v9, -v2
	v_mul_f32_e32 v1, v4, v12
	v_fma_f32 v168, v3, v11, -v1
	s_clause 0x1
	scratch_load_b128 v[1:4], off, off offset:184
	scratch_load_b128 v[9:12], off, off offset:200
	s_wait_loadcnt_dscnt 0x100
	v_mul_f32_e32 v169, v5, v2
	v_dual_mul_f32 v2, v6, v2 :: v_dual_mul_f32 v171, v7, v4
	s_delay_alu instid0(VALU_DEP_2) | instskip(NEXT) | instid1(VALU_DEP_2)
	v_fmac_f32_e32 v169, v6, v1
	v_fma_f32 v170, v5, v1, -v2
	v_mul_f32_e32 v1, v8, v4
	s_delay_alu instid0(VALU_DEP_4) | instskip(NEXT) | instid1(VALU_DEP_2)
	v_fmac_f32_e32 v171, v8, v3
	v_fma_f32 v172, v7, v3, -v1
	ds_load_2addr_b64 v[1:4], v25 offset0:83 offset1:84
	ds_load_2addr_b64 v[5:8], v25 offset0:85 offset1:86
	s_wait_loadcnt_dscnt 0x1
	v_mul_f32_e32 v173, v1, v10
	v_mul_f32_e32 v175, v3, v12
	s_delay_alu instid0(VALU_DEP_2) | instskip(NEXT) | instid1(VALU_DEP_2)
	v_fmac_f32_e32 v173, v2, v9
	v_dual_mul_f32 v2, v2, v10 :: v_dual_fmac_f32 v175, v4, v11
	s_delay_alu instid0(VALU_DEP_1) | instskip(SKIP_1) | instid1(VALU_DEP_1)
	v_fma_f32 v174, v1, v9, -v2
	v_mul_f32_e32 v1, v4, v12
	;; [unrolled: 25-line block ×7, first 2 shown]
	v_fma_f32 v216, v3, v11, -v1
	s_clause 0x1
	scratch_load_b128 v[1:4], off, off offset:376
	scratch_load_b128 v[9:12], off, off offset:392
	s_wait_loadcnt_dscnt 0x100
	v_mul_f32_e32 v217, v5, v2
	v_dual_mul_f32 v2, v6, v2 :: v_dual_mul_f32 v219, v7, v4
	s_delay_alu instid0(VALU_DEP_2) | instskip(NEXT) | instid1(VALU_DEP_2)
	v_fmac_f32_e32 v217, v6, v1
	v_fma_f32 v218, v5, v1, -v2
	v_add_f32_e32 v2, 0, v30
	s_delay_alu instid0(VALU_DEP_1) | instskip(NEXT) | instid1(VALU_DEP_1)
	v_add_f32_e32 v2, v2, v154
	v_add_f32_e32 v2, v2, v23
	s_delay_alu instid0(VALU_DEP_1) | instskip(NEXT) | instid1(VALU_DEP_1)
	v_add_f32_e32 v2, v2, v24
	;; [unrolled: 3-line block ×6, first 2 shown]
	v_dual_mul_f32 v1, v8, v4 :: v_dual_add_f32 v2, v2, v157
	s_delay_alu instid0(VALU_DEP_1) | instskip(NEXT) | instid1(VALU_DEP_2)
	v_fma_f32 v220, v7, v3, -v1
	v_dual_add_f32 v1, 0, v21 :: v_dual_add_f32 v2, v2, v158
	s_delay_alu instid0(VALU_DEP_1) | instskip(NEXT) | instid1(VALU_DEP_1)
	v_dual_add_f32 v1, v1, v22 :: v_dual_add_f32 v2, v2, v161
	v_dual_add_f32 v1, v1, v26 :: v_dual_add_f32 v2, v2, v163
	s_delay_alu instid0(VALU_DEP_1) | instskip(SKIP_2) | instid1(VALU_DEP_1)
	v_add_f32_e32 v1, v1, v27
	scratch_load_b64 v[26:27], off, off offset:456
	v_dual_add_f32 v2, v2, v165 :: v_dual_add_f32 v1, v1, v28
	v_dual_add_f32 v2, v2, v167 :: v_dual_add_f32 v1, v1, v29
	s_delay_alu instid0(VALU_DEP_1) | instskip(NEXT) | instid1(VALU_DEP_1)
	v_add_f32_e32 v2, v2, v169
	v_dual_add_f32 v1, v1, v13 :: v_dual_add_f32 v2, v2, v171
	s_delay_alu instid0(VALU_DEP_1) | instskip(NEXT) | instid1(VALU_DEP_1)
	v_dual_add_f32 v1, v1, v14 :: v_dual_add_f32 v2, v2, v173
	v_dual_add_f32 v1, v1, v16 :: v_dual_add_f32 v2, v2, v175
	s_delay_alu instid0(VALU_DEP_1) | instskip(NEXT) | instid1(VALU_DEP_1)
	v_add_f32_e32 v1, v1, v17
	v_add_f32_e32 v1, v1, v150
	s_delay_alu instid0(VALU_DEP_1) | instskip(NEXT) | instid1(VALU_DEP_1)
	v_add_f32_e32 v1, v1, v151
	v_add_f32_e32 v1, v1, v159
	;; [unrolled: 3-line block ×10, first 2 shown]
	s_delay_alu instid0(VALU_DEP_1) | instskip(SKIP_1) | instid1(VALU_DEP_2)
	v_add_f32_e32 v6, v1, v192
	v_add_f32_e32 v2, v2, v177
	;; [unrolled: 1-line block ×3, first 2 shown]
	s_delay_alu instid0(VALU_DEP_2) | instskip(NEXT) | instid1(VALU_DEP_2)
	v_add_f32_e32 v2, v2, v179
	v_add_f32_e32 v13, v6, v196
	s_delay_alu instid0(VALU_DEP_1) | instskip(NEXT) | instid1(VALU_DEP_1)
	v_dual_add_f32 v2, v2, v181 :: v_dual_add_f32 v13, v13, v198
	v_dual_add_f32 v2, v2, v183 :: v_dual_add_f32 v13, v13, v200
	s_delay_alu instid0(VALU_DEP_1) | instskip(NEXT) | instid1(VALU_DEP_1)
	v_dual_add_f32 v2, v2, v185 :: v_dual_add_f32 v13, v13, v202
	v_add_f32_e32 v2, v2, v187
	s_delay_alu instid0(VALU_DEP_2) | instskip(NEXT) | instid1(VALU_DEP_2)
	v_dual_add_f32 v18, v13, v204 :: v_dual_fmac_f32 v219, v8, v3
	v_add_f32_e32 v5, v2, v189
	ds_load_2addr_b64 v[1:4], v25 offset0:107 offset1:108
	v_dual_add_f32 v18, v18, v206 :: v_dual_add_f32 v5, v5, v191
	s_delay_alu instid0(VALU_DEP_1) | instskip(NEXT) | instid1(VALU_DEP_1)
	v_dual_add_f32 v18, v18, v208 :: v_dual_add_f32 v5, v5, v193
	v_add_f32_e32 v18, v18, v210
	s_delay_alu instid0(VALU_DEP_2)
	v_add_f32_e32 v14, v5, v195
	ds_load_2addr_b64 v[5:8], v25 offset0:109 offset1:110
	v_add_f32_e32 v18, v18, v212
	s_wait_loadcnt_dscnt 0x101
	v_mul_f32_e32 v30, v1, v10
	v_mul_f32_e32 v10, v2, v10
	;; [unrolled: 1-line block ×4, first 2 shown]
	v_add_f32_e32 v28, v18, v214
	v_fmac_f32_e32 v30, v2, v9
	v_fma_f32 v149, v1, v9, -v10
	v_fmac_f32_e32 v148, v4, v11
	v_fma_f32 v150, v3, v11, -v12
	s_clause 0x1
	scratch_load_b128 v[1:4], off, off offset:408
	scratch_load_b128 v[9:12], off, off offset:424
	v_dual_add_f32 v14, v14, v197 :: v_dual_add_f32 v151, v28, v216
	s_delay_alu instid0(VALU_DEP_1) | instskip(NEXT) | instid1(VALU_DEP_1)
	v_dual_add_f32 v14, v14, v199 :: v_dual_add_f32 v151, v151, v218
	v_add_f32_e32 v17, v14, v201
	scratch_load_b128 v[13:16], off, off offset:440
	v_add_f32_e32 v151, v151, v220
	v_add_f32_e32 v17, v17, v203
	s_delay_alu instid0(VALU_DEP_2) | instskip(NEXT) | instid1(VALU_DEP_2)
	v_add_f32_e32 v149, v151, v149
	v_add_f32_e32 v17, v17, v205
	s_delay_alu instid0(VALU_DEP_2) | instskip(SKIP_1) | instid1(VALU_DEP_2)
	v_add_f32_e32 v149, v149, v150
	s_wait_loadcnt_dscnt 0x200
	v_dual_add_f32 v17, v17, v207 :: v_dual_mul_f32 v156, v7, v4
	s_delay_alu instid0(VALU_DEP_1) | instskip(SKIP_2) | instid1(VALU_DEP_4)
	v_dual_add_f32 v17, v17, v209 :: v_dual_mul_f32 v4, v8, v4
	v_mul_f32_e32 v155, v5, v2
	v_mul_f32_e32 v2, v6, v2
	v_fmac_f32_e32 v156, v8, v3
	s_delay_alu instid0(VALU_DEP_4)
	v_add_f32_e32 v21, v17, v211
	ds_load_2addr_b64 v[17:20], v25 offset0:111 offset1:112
	v_fmac_f32_e32 v155, v6, v1
	v_fma_f32 v2, v5, v1, -v2
	v_fma_f32 v1, v7, v3, -v4
	v_add_f32_e32 v29, v21, v213
	ds_load_2addr_b64 v[21:24], v25 offset0:113 offset1:114
	v_add_f32_e32 v2, v149, v2
	v_add_f32_e32 v154, v29, v215
	ds_load_b64 v[28:29], v25 offset:920
	v_add_f32_e32 v1, v2, v1
	v_add_f32_e32 v154, v154, v217
	s_wait_loadcnt_dscnt 0x102
	s_delay_alu instid0(VALU_DEP_1) | instskip(SKIP_1) | instid1(VALU_DEP_2)
	v_dual_add_f32 v154, v154, v219 :: v_dual_mul_f32 v151, v17, v10
	v_mul_f32_e32 v3, v18, v10
	v_dual_mul_f32 v5, v20, v12 :: v_dual_add_f32 v30, v154, v30
	s_delay_alu instid0(VALU_DEP_3) | instskip(NEXT) | instid1(VALU_DEP_3)
	v_dual_mul_f32 v154, v19, v12 :: v_dual_fmac_f32 v151, v18, v9
	v_fma_f32 v3, v17, v9, -v3
	s_wait_loadcnt_dscnt 0x1
	s_delay_alu instid0(VALU_DEP_3) | instskip(NEXT) | instid1(VALU_DEP_3)
	v_dual_mul_f32 v157, v21, v14 :: v_dual_add_f32 v30, v30, v148
	v_fmac_f32_e32 v154, v20, v11
	v_fma_f32 v5, v19, v11, -v5
	v_dual_add_f32 v1, v1, v3 :: v_dual_mul_f32 v150, v23, v16
	s_delay_alu instid0(VALU_DEP_4) | instskip(SKIP_2) | instid1(VALU_DEP_3)
	v_dual_add_f32 v4, v30, v155 :: v_dual_mul_f32 v3, v24, v16
	v_fmac_f32_e32 v157, v22, v13
	s_wait_dscnt 0x0
	v_dual_add_f32 v1, v1, v5 :: v_dual_mul_f32 v148, v28, v27
	s_delay_alu instid0(VALU_DEP_3) | instskip(SKIP_3) | instid1(VALU_DEP_4)
	v_add_f32_e32 v2, v4, v156
	v_dual_mul_f32 v4, v22, v14 :: v_dual_mul_f32 v5, v29, v27
	v_fmac_f32_e32 v150, v24, v15
	v_fma_f32 v3, v23, v15, -v3
	v_add_f32_e32 v2, v2, v151
	s_delay_alu instid0(VALU_DEP_4) | instskip(SKIP_1) | instid1(VALU_DEP_2)
	v_fma_f32 v4, v21, v13, -v4
	v_fmac_f32_e32 v148, v29, v26
	v_dual_add_f32 v2, v2, v154 :: v_dual_add_f32 v1, v1, v4
	v_fma_f32 v4, v28, v26, -v5
	s_delay_alu instid0(VALU_DEP_2) | instskip(NEXT) | instid1(VALU_DEP_1)
	v_dual_add_f32 v2, v2, v157 :: v_dual_add_f32 v1, v1, v3
	v_dual_add_f32 v2, v2, v150 :: v_dual_add_f32 v1, v1, v4
	s_delay_alu instid0(VALU_DEP_1) | instskip(NEXT) | instid1(VALU_DEP_1)
	v_dual_add_f32 v2, v2, v148 :: v_dual_sub_f32 v1, v152, v1
	v_sub_f32_e32 v2, v153, v2
	scratch_store_b64 off, v[1:2], off offset:32
	v_cmpx_lt_u32_e32 3, v0
	s_cbranch_execz .LBB57_355
; %bb.354:
	scratch_load_b64 v[1:2], off, off offset:24
	v_mov_b32_e32 v26, v25
	scratch_store_b64 off, v[25:26], off offset:24
	s_wait_loadcnt 0x0
	ds_store_b64 v31, v[1:2]
.LBB57_355:
	s_wait_alu 0xfffe
	s_or_b32 exec_lo, exec_lo, s0
	s_wait_storecnt_dscnt 0x0
	s_barrier_signal -1
	s_barrier_wait -1
	global_inv scope:SCOPE_SE
	s_clause 0x4
	scratch_load_b128 v[5:8], off, off offset:32
	scratch_load_b128 v[1:4], off, off offset:48
	;; [unrolled: 1-line block ×5, first 2 shown]
	ds_load_b128 v[21:24], v25 offset:496
	ds_load_b128 v[26:29], v25 offset:512
	;; [unrolled: 1-line block ×3, first 2 shown]
	scratch_load_b64 v[152:153], off, off offset:24
	s_mov_b32 s0, exec_lo
	s_wait_loadcnt_dscnt 0x502
	v_mul_f32_e32 v30, v21, v6
	v_mul_f32_e32 v154, v23, v8
	;; [unrolled: 1-line block ×3, first 2 shown]
	s_wait_loadcnt_dscnt 0x300
	v_mul_f32_e32 v155, v148, v10
	v_mul_f32_e32 v6, v22, v6
	v_fmac_f32_e32 v30, v22, v5
	v_mul_f32_e32 v156, v150, v12
	v_fma_f32 v22, v23, v7, -v8
	v_dual_mul_f32 v23, v26, v2 :: v_dual_fmac_f32 v154, v24, v7
	v_fmac_f32_e32 v155, v149, v9
	v_fma_f32 v21, v21, v5, -v6
	ds_load_b128 v[5:8], v25 offset:544
	v_mul_f32_e32 v24, v28, v4
	v_mul_f32_e32 v4, v29, v4
	v_mul_f32_e32 v10, v149, v10
	v_mul_f32_e32 v12, v151, v12
	v_mul_f32_e32 v2, v27, v2
	v_dual_fmac_f32 v23, v27, v1 :: v_dual_fmac_f32 v24, v29, v3
	v_fma_f32 v27, v28, v3, -v4
	v_fmac_f32_e32 v156, v151, v11
	v_fma_f32 v28, v148, v9, -v10
	v_fma_f32 v29, v150, v11, -v12
	ds_load_b128 v[9:12], v25 offset:560
	s_wait_loadcnt_dscnt 0x201
	v_dual_mul_f32 v149, v7, v16 :: v_dual_mul_f32 v148, v5, v14
	v_mul_f32_e32 v14, v6, v14
	v_mul_f32_e32 v16, v8, v16
	s_delay_alu instid0(VALU_DEP_3)
	v_fmac_f32_e32 v149, v8, v15
	v_fma_f32 v26, v26, v1, -v2
	scratch_load_b128 v[1:4], off, off offset:112
	v_fmac_f32_e32 v148, v6, v13
	v_fma_f32 v13, v5, v13, -v14
	v_fma_f32 v14, v7, v15, -v16
	ds_load_b128 v[5:8], v25 offset:576
	s_wait_loadcnt_dscnt 0x201
	v_mul_f32_e32 v15, v9, v18
	v_mul_f32_e32 v16, v10, v18
	v_mul_f32_e32 v18, v11, v20
	s_delay_alu instid0(VALU_DEP_3) | instskip(NEXT) | instid1(VALU_DEP_3)
	v_dual_mul_f32 v20, v12, v20 :: v_dual_fmac_f32 v15, v10, v17
	v_fma_f32 v16, v9, v17, -v16
	s_delay_alu instid0(VALU_DEP_3) | instskip(NEXT) | instid1(VALU_DEP_3)
	v_fmac_f32_e32 v18, v12, v19
	v_fma_f32 v17, v11, v19, -v20
	scratch_load_b128 v[9:12], off, off offset:128
	s_wait_loadcnt_dscnt 0x100
	v_mul_f32_e32 v19, v5, v2
	v_mul_f32_e32 v2, v6, v2
	;; [unrolled: 1-line block ×3, first 2 shown]
	s_delay_alu instid0(VALU_DEP_3) | instskip(NEXT) | instid1(VALU_DEP_3)
	v_dual_mul_f32 v4, v8, v4 :: v_dual_fmac_f32 v19, v6, v1
	v_fma_f32 v150, v5, v1, -v2
	s_delay_alu instid0(VALU_DEP_3) | instskip(NEXT) | instid1(VALU_DEP_3)
	v_fmac_f32_e32 v20, v8, v3
	v_fma_f32 v151, v7, v3, -v4
	ds_load_b128 v[1:4], v25 offset:592
	ds_load_b128 v[5:8], v25 offset:608
	s_wait_loadcnt_dscnt 0x1
	v_mul_f32_e32 v157, v1, v10
	v_mul_f32_e32 v10, v2, v10
	s_delay_alu instid0(VALU_DEP_2) | instskip(NEXT) | instid1(VALU_DEP_2)
	v_dual_mul_f32 v158, v3, v12 :: v_dual_fmac_f32 v157, v2, v9
	v_fma_f32 v159, v1, v9, -v10
	v_mul_f32_e32 v1, v4, v12
	s_delay_alu instid0(VALU_DEP_3) | instskip(NEXT) | instid1(VALU_DEP_2)
	v_fmac_f32_e32 v158, v4, v11
	v_fma_f32 v160, v3, v11, -v1
	s_clause 0x1
	scratch_load_b128 v[1:4], off, off offset:144
	scratch_load_b128 v[9:12], off, off offset:160
	s_wait_loadcnt_dscnt 0x100
	v_mul_f32_e32 v161, v5, v2
	v_dual_mul_f32 v2, v6, v2 :: v_dual_mul_f32 v163, v7, v4
	s_delay_alu instid0(VALU_DEP_2) | instskip(NEXT) | instid1(VALU_DEP_2)
	v_fmac_f32_e32 v161, v6, v1
	v_fma_f32 v162, v5, v1, -v2
	v_mul_f32_e32 v1, v8, v4
	s_delay_alu instid0(VALU_DEP_4) | instskip(NEXT) | instid1(VALU_DEP_2)
	v_fmac_f32_e32 v163, v8, v3
	v_fma_f32 v164, v7, v3, -v1
	ds_load_b128 v[1:4], v25 offset:624
	ds_load_b128 v[5:8], v25 offset:640
	s_wait_loadcnt_dscnt 0x1
	v_mul_f32_e32 v165, v1, v10
	v_mul_f32_e32 v167, v3, v12
	s_delay_alu instid0(VALU_DEP_2) | instskip(NEXT) | instid1(VALU_DEP_2)
	v_fmac_f32_e32 v165, v2, v9
	v_dual_mul_f32 v2, v2, v10 :: v_dual_fmac_f32 v167, v4, v11
	s_delay_alu instid0(VALU_DEP_1) | instskip(SKIP_1) | instid1(VALU_DEP_1)
	v_fma_f32 v166, v1, v9, -v2
	v_mul_f32_e32 v1, v4, v12
	v_fma_f32 v168, v3, v11, -v1
	s_clause 0x1
	scratch_load_b128 v[1:4], off, off offset:176
	scratch_load_b128 v[9:12], off, off offset:192
	s_wait_loadcnt_dscnt 0x100
	v_mul_f32_e32 v169, v5, v2
	v_dual_mul_f32 v2, v6, v2 :: v_dual_mul_f32 v171, v7, v4
	s_delay_alu instid0(VALU_DEP_2) | instskip(NEXT) | instid1(VALU_DEP_2)
	v_fmac_f32_e32 v169, v6, v1
	v_fma_f32 v170, v5, v1, -v2
	v_mul_f32_e32 v1, v8, v4
	s_delay_alu instid0(VALU_DEP_4) | instskip(NEXT) | instid1(VALU_DEP_2)
	v_fmac_f32_e32 v171, v8, v3
	v_fma_f32 v172, v7, v3, -v1
	ds_load_b128 v[1:4], v25 offset:656
	ds_load_b128 v[5:8], v25 offset:672
	s_wait_loadcnt_dscnt 0x1
	v_mul_f32_e32 v173, v1, v10
	v_mul_f32_e32 v175, v3, v12
	s_delay_alu instid0(VALU_DEP_2) | instskip(NEXT) | instid1(VALU_DEP_2)
	v_fmac_f32_e32 v173, v2, v9
	v_dual_mul_f32 v2, v2, v10 :: v_dual_fmac_f32 v175, v4, v11
	s_delay_alu instid0(VALU_DEP_1) | instskip(SKIP_1) | instid1(VALU_DEP_1)
	v_fma_f32 v174, v1, v9, -v2
	v_mul_f32_e32 v1, v4, v12
	;; [unrolled: 25-line block ×7, first 2 shown]
	v_fma_f32 v216, v3, v11, -v1
	s_clause 0x1
	scratch_load_b128 v[1:4], off, off offset:368
	scratch_load_b128 v[9:12], off, off offset:384
	s_wait_loadcnt_dscnt 0x100
	v_mul_f32_e32 v217, v5, v2
	v_dual_mul_f32 v2, v6, v2 :: v_dual_mul_f32 v219, v7, v4
	s_delay_alu instid0(VALU_DEP_2) | instskip(NEXT) | instid1(VALU_DEP_2)
	v_fmac_f32_e32 v217, v6, v1
	v_fma_f32 v218, v5, v1, -v2
	v_dual_add_f32 v2, 0, v30 :: v_dual_mul_f32 v1, v8, v4
	s_delay_alu instid0(VALU_DEP_1) | instskip(NEXT) | instid1(VALU_DEP_2)
	v_add_f32_e32 v2, v2, v154
	v_fma_f32 v220, v7, v3, -v1
	s_delay_alu instid0(VALU_DEP_2) | instskip(NEXT) | instid1(VALU_DEP_1)
	v_add_f32_e32 v2, v2, v23
	v_add_f32_e32 v2, v2, v24
	s_delay_alu instid0(VALU_DEP_1) | instskip(NEXT) | instid1(VALU_DEP_1)
	v_add_f32_e32 v2, v2, v155
	v_add_f32_e32 v2, v2, v156
	s_delay_alu instid0(VALU_DEP_1) | instskip(NEXT) | instid1(VALU_DEP_1)
	;; [unrolled: 3-line block ×7, first 2 shown]
	v_add_f32_e32 v2, v2, v165
	v_dual_add_f32 v1, 0, v21 :: v_dual_add_f32 v2, v2, v167
	s_delay_alu instid0(VALU_DEP_1) | instskip(NEXT) | instid1(VALU_DEP_1)
	v_dual_add_f32 v1, v1, v22 :: v_dual_add_f32 v2, v2, v169
	v_dual_add_f32 v1, v1, v26 :: v_dual_add_f32 v2, v2, v171
	s_delay_alu instid0(VALU_DEP_1) | instskip(NEXT) | instid1(VALU_DEP_1)
	v_dual_add_f32 v1, v1, v27 :: v_dual_add_f32 v2, v2, v173
	v_dual_add_f32 v1, v1, v28 :: v_dual_add_f32 v2, v2, v175
	s_delay_alu instid0(VALU_DEP_1) | instskip(NEXT) | instid1(VALU_DEP_2)
	v_add_f32_e32 v1, v1, v29
	v_add_f32_e32 v2, v2, v177
	s_delay_alu instid0(VALU_DEP_1) | instskip(NEXT) | instid1(VALU_DEP_1)
	v_dual_add_f32 v1, v1, v13 :: v_dual_add_f32 v2, v2, v179
	v_add_f32_e32 v1, v1, v14
	s_delay_alu instid0(VALU_DEP_1) | instskip(NEXT) | instid1(VALU_DEP_1)
	v_add_f32_e32 v1, v1, v16
	v_add_f32_e32 v1, v1, v17
	s_delay_alu instid0(VALU_DEP_1) | instskip(NEXT) | instid1(VALU_DEP_1)
	v_add_f32_e32 v1, v1, v150
	v_add_f32_e32 v1, v1, v151
	s_delay_alu instid0(VALU_DEP_1) | instskip(NEXT) | instid1(VALU_DEP_1)
	v_add_f32_e32 v1, v1, v159
	v_add_f32_e32 v1, v1, v160
	s_delay_alu instid0(VALU_DEP_1) | instskip(NEXT) | instid1(VALU_DEP_1)
	v_add_f32_e32 v1, v1, v162
	v_add_f32_e32 v1, v1, v164
	s_delay_alu instid0(VALU_DEP_1) | instskip(NEXT) | instid1(VALU_DEP_1)
	v_add_f32_e32 v1, v1, v166
	v_add_f32_e32 v1, v1, v168
	s_delay_alu instid0(VALU_DEP_1) | instskip(NEXT) | instid1(VALU_DEP_1)
	v_add_f32_e32 v1, v1, v170
	v_add_f32_e32 v1, v1, v172
	s_delay_alu instid0(VALU_DEP_1) | instskip(NEXT) | instid1(VALU_DEP_1)
	v_add_f32_e32 v1, v1, v174
	v_add_f32_e32 v1, v1, v176
	s_delay_alu instid0(VALU_DEP_1) | instskip(NEXT) | instid1(VALU_DEP_1)
	v_add_f32_e32 v1, v1, v178
	v_add_f32_e32 v1, v1, v180
	s_delay_alu instid0(VALU_DEP_1) | instskip(NEXT) | instid1(VALU_DEP_1)
	v_add_f32_e32 v1, v1, v182
	v_add_f32_e32 v1, v1, v184
	s_delay_alu instid0(VALU_DEP_1) | instskip(NEXT) | instid1(VALU_DEP_1)
	v_add_f32_e32 v1, v1, v186
	v_add_f32_e32 v1, v1, v188
	s_delay_alu instid0(VALU_DEP_1) | instskip(NEXT) | instid1(VALU_DEP_1)
	v_add_f32_e32 v1, v1, v190
	v_add_f32_e32 v1, v1, v192
	s_delay_alu instid0(VALU_DEP_1) | instskip(SKIP_1) | instid1(VALU_DEP_2)
	v_add_f32_e32 v6, v1, v194
	v_add_f32_e32 v2, v2, v181
	;; [unrolled: 1-line block ×3, first 2 shown]
	s_delay_alu instid0(VALU_DEP_2) | instskip(NEXT) | instid1(VALU_DEP_2)
	v_add_f32_e32 v2, v2, v183
	v_add_f32_e32 v14, v14, v198
	s_delay_alu instid0(VALU_DEP_2) | instskip(NEXT) | instid1(VALU_DEP_2)
	v_add_f32_e32 v2, v2, v185
	v_add_f32_e32 v17, v14, v200
	s_delay_alu instid0(VALU_DEP_1) | instskip(NEXT) | instid1(VALU_DEP_1)
	v_dual_add_f32 v2, v2, v187 :: v_dual_add_f32 v17, v17, v202
	v_dual_add_f32 v2, v2, v189 :: v_dual_add_f32 v17, v17, v204
	s_delay_alu instid0(VALU_DEP_1) | instskip(NEXT) | instid1(VALU_DEP_2)
	v_add_f32_e32 v5, v2, v191
	v_add_f32_e32 v17, v17, v206
	s_delay_alu instid0(VALU_DEP_2) | instskip(NEXT) | instid1(VALU_DEP_2)
	v_add_f32_e32 v13, v5, v193
	v_add_f32_e32 v22, v17, v208
	s_delay_alu instid0(VALU_DEP_1) | instskip(NEXT) | instid1(VALU_DEP_1)
	v_dual_add_f32 v13, v13, v195 :: v_dual_add_f32 v22, v22, v210
	v_dual_add_f32 v13, v13, v197 :: v_dual_add_f32 v22, v22, v212
	s_delay_alu instid0(VALU_DEP_1)
	v_add_f32_e32 v18, v13, v199
	v_fmac_f32_e32 v219, v8, v3
	scratch_load_b128 v[5:8], off, off offset:400
	ds_load_b128 v[1:4], v25 offset:848
	ds_load_b128 v[13:16], v25 offset:864
	s_wait_loadcnt_dscnt 0x101
	v_mul_f32_e32 v26, v1, v10
	v_dual_mul_f32 v10, v2, v10 :: v_dual_mul_f32 v27, v3, v12
	v_mul_f32_e32 v12, v4, v12
	s_delay_alu instid0(VALU_DEP_3) | instskip(NEXT) | instid1(VALU_DEP_3)
	v_fmac_f32_e32 v26, v2, v9
	v_fma_f32 v28, v1, v9, -v10
	s_delay_alu instid0(VALU_DEP_4) | instskip(NEXT) | instid1(VALU_DEP_4)
	v_fmac_f32_e32 v27, v4, v11
	v_fma_f32 v29, v3, v11, -v12
	s_clause 0x1
	scratch_load_b128 v[1:4], off, off offset:416
	scratch_load_b128 v[9:12], off, off offset:432
	s_wait_loadcnt_dscnt 0x200
	v_mul_f32_e32 v30, v13, v6
	v_add_f32_e32 v18, v18, v201
	v_mul_f32_e32 v148, v15, v8
	v_mul_f32_e32 v6, v14, v6
	;; [unrolled: 1-line block ×3, first 2 shown]
	v_fmac_f32_e32 v30, v14, v5
	v_add_f32_e32 v18, v18, v203
	v_fmac_f32_e32 v148, v16, v7
	v_fma_f32 v149, v13, v5, -v6
	v_fma_f32 v150, v15, v7, -v8
	ds_load_b128 v[5:8], v25 offset:880
	v_add_f32_e32 v21, v18, v205
	scratch_load_b128 v[17:20], off, off offset:448
	v_add_f32_e32 v21, v21, v207
	s_delay_alu instid0(VALU_DEP_1) | instskip(NEXT) | instid1(VALU_DEP_1)
	v_add_f32_e32 v21, v21, v209
	v_add_f32_e32 v13, v21, v211
	s_delay_alu instid0(VALU_DEP_1) | instskip(NEXT) | instid1(VALU_DEP_1)
	v_dual_add_f32 v21, v22, v214 :: v_dual_add_f32 v22, v13, v213
	v_add_f32_e32 v151, v21, v216
	ds_load_b128 v[13:16], v25 offset:896
	v_add_f32_e32 v154, v22, v215
	ds_load_b128 v[21:24], v25 offset:912
	v_add_f32_e32 v25, v151, v218
	s_wait_loadcnt_dscnt 0x202
	v_dual_add_f32 v151, v154, v217 :: v_dual_mul_f32 v154, v5, v2
	s_delay_alu instid0(VALU_DEP_2) | instskip(NEXT) | instid1(VALU_DEP_2)
	v_dual_add_f32 v25, v25, v220 :: v_dual_mul_f32 v2, v6, v2
	v_dual_add_f32 v151, v151, v219 :: v_dual_fmac_f32 v154, v6, v1
	s_delay_alu instid0(VALU_DEP_2) | instskip(SKIP_2) | instid1(VALU_DEP_4)
	v_add_f32_e32 v25, v25, v28
	v_mul_f32_e32 v28, v7, v4
	v_mul_f32_e32 v4, v8, v4
	v_add_f32_e32 v26, v151, v26
	v_fma_f32 v2, v5, v1, -v2
	v_add_f32_e32 v25, v25, v29
	s_wait_loadcnt_dscnt 0x101
	v_mul_f32_e32 v151, v13, v10
	v_mul_f32_e32 v6, v14, v10
	v_add_f32_e32 v26, v26, v27
	v_dual_fmac_f32 v28, v8, v3 :: v_dual_add_f32 v25, v25, v149
	v_fma_f32 v3, v7, v3, -v4
	s_delay_alu instid0(VALU_DEP_3) | instskip(NEXT) | instid1(VALU_DEP_3)
	v_dual_mul_f32 v155, v15, v12 :: v_dual_add_f32 v26, v26, v30
	v_dual_mul_f32 v4, v16, v12 :: v_dual_add_f32 v1, v25, v150
	v_fmac_f32_e32 v151, v14, v9
	s_delay_alu instid0(VALU_DEP_3) | instskip(NEXT) | instid1(VALU_DEP_4)
	v_fmac_f32_e32 v155, v16, v11
	v_add_f32_e32 v5, v26, v148
	s_delay_alu instid0(VALU_DEP_4) | instskip(SKIP_1) | instid1(VALU_DEP_3)
	v_fma_f32 v4, v15, v11, -v4
	v_add_f32_e32 v1, v1, v2
	v_add_f32_e32 v2, v5, v154
	v_fma_f32 v5, v13, v9, -v6
	s_delay_alu instid0(VALU_DEP_2) | instskip(NEXT) | instid1(VALU_DEP_1)
	v_dual_add_f32 v1, v1, v3 :: v_dual_add_f32 v2, v2, v28
	v_dual_add_f32 v1, v1, v5 :: v_dual_add_f32 v2, v2, v151
	s_delay_alu instid0(VALU_DEP_1)
	v_dual_add_f32 v1, v1, v4 :: v_dual_add_f32 v2, v2, v155
	s_wait_loadcnt_dscnt 0x0
	v_mul_f32_e32 v27, v21, v18
	v_mul_f32_e32 v3, v22, v18
	;; [unrolled: 1-line block ×4, first 2 shown]
	s_delay_alu instid0(VALU_DEP_4) | instskip(NEXT) | instid1(VALU_DEP_4)
	v_fmac_f32_e32 v27, v22, v17
	v_fma_f32 v3, v21, v17, -v3
	s_delay_alu instid0(VALU_DEP_4) | instskip(NEXT) | instid1(VALU_DEP_4)
	v_fmac_f32_e32 v29, v24, v19
	v_fma_f32 v4, v23, v19, -v5
	s_delay_alu instid0(VALU_DEP_4) | instskip(NEXT) | instid1(VALU_DEP_1)
	v_add_f32_e32 v2, v2, v27
	v_dual_add_f32 v1, v1, v3 :: v_dual_add_f32 v2, v2, v29
	s_delay_alu instid0(VALU_DEP_1) | instskip(NEXT) | instid1(VALU_DEP_1)
	v_add_f32_e32 v1, v1, v4
	v_dual_sub_f32 v2, v153, v2 :: v_dual_sub_f32 v1, v152, v1
	scratch_store_b64 off, v[1:2], off offset:24
	v_cmpx_lt_u32_e32 2, v0
	s_cbranch_execz .LBB57_357
; %bb.356:
	scratch_load_b64 v[1:2], off, off offset:16
	v_mov_b32_e32 v3, 0
	s_delay_alu instid0(VALU_DEP_1)
	v_mov_b32_e32 v4, v3
	scratch_store_b64 off, v[3:4], off offset:16
	s_wait_loadcnt 0x0
	ds_store_b64 v31, v[1:2]
.LBB57_357:
	s_wait_alu 0xfffe
	s_or_b32 exec_lo, exec_lo, s0
	s_wait_storecnt_dscnt 0x0
	s_barrier_signal -1
	s_barrier_wait -1
	global_inv scope:SCOPE_SE
	s_clause 0x4
	scratch_load_b128 v[5:8], off, off offset:24
	scratch_load_b128 v[1:4], off, off offset:40
	;; [unrolled: 1-line block ×5, first 2 shown]
	v_mov_b32_e32 v29, 0
	ds_load_2addr_b64 v[21:24], v29 offset0:61 offset1:62
	ds_load_2addr_b64 v[25:28], v29 offset0:63 offset1:64
	;; [unrolled: 1-line block ×3, first 2 shown]
	scratch_load_b64 v[152:153], off, off offset:16
	s_mov_b32 s0, exec_lo
	s_wait_loadcnt_dscnt 0x502
	v_mul_f32_e32 v30, v21, v6
	v_mul_f32_e32 v154, v23, v8
	;; [unrolled: 1-line block ×3, first 2 shown]
	s_wait_loadcnt_dscnt 0x300
	v_mul_f32_e32 v155, v148, v10
	v_mul_f32_e32 v6, v22, v6
	v_fmac_f32_e32 v30, v22, v5
	v_fma_f32 v22, v23, v7, -v8
	v_dual_mul_f32 v23, v25, v2 :: v_dual_fmac_f32 v154, v24, v7
	v_dual_mul_f32 v2, v26, v2 :: v_dual_fmac_f32 v155, v149, v9
	v_fma_f32 v21, v21, v5, -v6
	ds_load_2addr_b64 v[5:8], v29 offset0:67 offset1:68
	v_mul_f32_e32 v24, v27, v4
	v_dual_mul_f32 v4, v28, v4 :: v_dual_fmac_f32 v23, v26, v1
	v_fma_f32 v25, v25, v1, -v2
	s_delay_alu instid0(VALU_DEP_3) | instskip(NEXT) | instid1(VALU_DEP_3)
	v_fmac_f32_e32 v24, v28, v3
	v_fma_f32 v26, v27, v3, -v4
	scratch_load_b128 v[1:4], off, off offset:104
	v_mul_f32_e32 v156, v150, v12
	v_mul_f32_e32 v10, v149, v10
	;; [unrolled: 1-line block ×3, first 2 shown]
	s_delay_alu instid0(VALU_DEP_3) | instskip(NEXT) | instid1(VALU_DEP_3)
	v_fmac_f32_e32 v156, v151, v11
	v_fma_f32 v27, v148, v9, -v10
	s_delay_alu instid0(VALU_DEP_3)
	v_fma_f32 v28, v150, v11, -v12
	ds_load_2addr_b64 v[9:12], v29 offset0:69 offset1:70
	s_wait_loadcnt_dscnt 0x301
	v_dual_mul_f32 v148, v5, v14 :: v_dual_mul_f32 v149, v7, v16
	v_mul_f32_e32 v14, v6, v14
	v_mul_f32_e32 v16, v8, v16
	s_delay_alu instid0(VALU_DEP_3) | instskip(NEXT) | instid1(VALU_DEP_3)
	v_dual_fmac_f32 v148, v6, v13 :: v_dual_fmac_f32 v149, v8, v15
	v_fma_f32 v13, v5, v13, -v14
	s_delay_alu instid0(VALU_DEP_3)
	v_fma_f32 v14, v7, v15, -v16
	ds_load_2addr_b64 v[5:8], v29 offset0:71 offset1:72
	s_wait_loadcnt_dscnt 0x201
	v_mul_f32_e32 v15, v9, v18
	v_mul_f32_e32 v16, v10, v18
	;; [unrolled: 1-line block ×3, first 2 shown]
	s_delay_alu instid0(VALU_DEP_3) | instskip(NEXT) | instid1(VALU_DEP_3)
	v_dual_mul_f32 v20, v12, v20 :: v_dual_fmac_f32 v15, v10, v17
	v_fma_f32 v16, v9, v17, -v16
	s_delay_alu instid0(VALU_DEP_3) | instskip(NEXT) | instid1(VALU_DEP_3)
	v_fmac_f32_e32 v18, v12, v19
	v_fma_f32 v17, v11, v19, -v20
	scratch_load_b128 v[9:12], off, off offset:120
	s_wait_loadcnt_dscnt 0x100
	v_mul_f32_e32 v19, v5, v2
	v_mul_f32_e32 v2, v6, v2
	v_mul_f32_e32 v20, v7, v4
	s_delay_alu instid0(VALU_DEP_3) | instskip(NEXT) | instid1(VALU_DEP_3)
	v_dual_mul_f32 v4, v8, v4 :: v_dual_fmac_f32 v19, v6, v1
	v_fma_f32 v150, v5, v1, -v2
	s_delay_alu instid0(VALU_DEP_3) | instskip(NEXT) | instid1(VALU_DEP_3)
	v_fmac_f32_e32 v20, v8, v3
	v_fma_f32 v151, v7, v3, -v4
	ds_load_2addr_b64 v[1:4], v29 offset0:73 offset1:74
	ds_load_2addr_b64 v[5:8], v29 offset0:75 offset1:76
	s_wait_loadcnt_dscnt 0x1
	v_mul_f32_e32 v157, v1, v10
	v_mul_f32_e32 v10, v2, v10
	s_delay_alu instid0(VALU_DEP_2) | instskip(NEXT) | instid1(VALU_DEP_2)
	v_dual_mul_f32 v158, v3, v12 :: v_dual_fmac_f32 v157, v2, v9
	v_fma_f32 v159, v1, v9, -v10
	v_mul_f32_e32 v1, v4, v12
	s_delay_alu instid0(VALU_DEP_3) | instskip(NEXT) | instid1(VALU_DEP_2)
	v_fmac_f32_e32 v158, v4, v11
	v_fma_f32 v160, v3, v11, -v1
	s_clause 0x1
	scratch_load_b128 v[1:4], off, off offset:136
	scratch_load_b128 v[9:12], off, off offset:152
	s_wait_loadcnt_dscnt 0x100
	v_mul_f32_e32 v161, v5, v2
	v_dual_mul_f32 v2, v6, v2 :: v_dual_mul_f32 v163, v7, v4
	s_delay_alu instid0(VALU_DEP_2) | instskip(NEXT) | instid1(VALU_DEP_2)
	v_fmac_f32_e32 v161, v6, v1
	v_fma_f32 v162, v5, v1, -v2
	v_mul_f32_e32 v1, v8, v4
	s_delay_alu instid0(VALU_DEP_4) | instskip(NEXT) | instid1(VALU_DEP_2)
	v_fmac_f32_e32 v163, v8, v3
	v_fma_f32 v164, v7, v3, -v1
	ds_load_2addr_b64 v[1:4], v29 offset0:77 offset1:78
	ds_load_2addr_b64 v[5:8], v29 offset0:79 offset1:80
	s_wait_loadcnt_dscnt 0x1
	v_mul_f32_e32 v165, v1, v10
	v_mul_f32_e32 v167, v3, v12
	s_delay_alu instid0(VALU_DEP_2) | instskip(NEXT) | instid1(VALU_DEP_2)
	v_fmac_f32_e32 v165, v2, v9
	v_dual_mul_f32 v2, v2, v10 :: v_dual_fmac_f32 v167, v4, v11
	s_delay_alu instid0(VALU_DEP_1) | instskip(SKIP_1) | instid1(VALU_DEP_1)
	v_fma_f32 v166, v1, v9, -v2
	v_mul_f32_e32 v1, v4, v12
	v_fma_f32 v168, v3, v11, -v1
	s_clause 0x1
	scratch_load_b128 v[1:4], off, off offset:168
	scratch_load_b128 v[9:12], off, off offset:184
	s_wait_loadcnt_dscnt 0x100
	v_mul_f32_e32 v169, v5, v2
	v_dual_mul_f32 v2, v6, v2 :: v_dual_mul_f32 v171, v7, v4
	s_delay_alu instid0(VALU_DEP_2) | instskip(NEXT) | instid1(VALU_DEP_2)
	v_fmac_f32_e32 v169, v6, v1
	v_fma_f32 v170, v5, v1, -v2
	v_mul_f32_e32 v1, v8, v4
	s_delay_alu instid0(VALU_DEP_4) | instskip(NEXT) | instid1(VALU_DEP_2)
	v_fmac_f32_e32 v171, v8, v3
	v_fma_f32 v172, v7, v3, -v1
	ds_load_2addr_b64 v[1:4], v29 offset0:81 offset1:82
	ds_load_2addr_b64 v[5:8], v29 offset0:83 offset1:84
	s_wait_loadcnt_dscnt 0x1
	v_mul_f32_e32 v173, v1, v10
	v_mul_f32_e32 v175, v3, v12
	s_delay_alu instid0(VALU_DEP_2) | instskip(NEXT) | instid1(VALU_DEP_2)
	v_fmac_f32_e32 v173, v2, v9
	v_dual_mul_f32 v2, v2, v10 :: v_dual_fmac_f32 v175, v4, v11
	s_delay_alu instid0(VALU_DEP_1) | instskip(SKIP_1) | instid1(VALU_DEP_1)
	v_fma_f32 v174, v1, v9, -v2
	v_mul_f32_e32 v1, v4, v12
	;; [unrolled: 25-line block ×7, first 2 shown]
	v_fma_f32 v216, v3, v11, -v1
	s_clause 0x1
	scratch_load_b128 v[1:4], off, off offset:360
	scratch_load_b128 v[9:12], off, off offset:376
	s_wait_loadcnt_dscnt 0x100
	v_mul_f32_e32 v217, v5, v2
	v_dual_mul_f32 v2, v6, v2 :: v_dual_mul_f32 v219, v7, v4
	s_delay_alu instid0(VALU_DEP_1) | instskip(NEXT) | instid1(VALU_DEP_2)
	v_fma_f32 v218, v5, v1, -v2
	v_dual_add_f32 v2, 0, v30 :: v_dual_fmac_f32 v219, v8, v3
	s_delay_alu instid0(VALU_DEP_4) | instskip(NEXT) | instid1(VALU_DEP_2)
	v_fmac_f32_e32 v217, v6, v1
	v_dual_mul_f32 v1, v8, v4 :: v_dual_add_f32 v2, v2, v154
	s_delay_alu instid0(VALU_DEP_1) | instskip(NEXT) | instid1(VALU_DEP_2)
	v_fma_f32 v220, v7, v3, -v1
	v_add_f32_e32 v2, v2, v23
	s_delay_alu instid0(VALU_DEP_1) | instskip(NEXT) | instid1(VALU_DEP_1)
	v_add_f32_e32 v2, v2, v24
	v_add_f32_e32 v2, v2, v155
	s_delay_alu instid0(VALU_DEP_1) | instskip(NEXT) | instid1(VALU_DEP_1)
	v_add_f32_e32 v2, v2, v156
	;; [unrolled: 3-line block ×7, first 2 shown]
	v_add_f32_e32 v2, v2, v165
	s_delay_alu instid0(VALU_DEP_1) | instskip(NEXT) | instid1(VALU_DEP_1)
	v_dual_add_f32 v1, 0, v21 :: v_dual_add_f32 v2, v2, v167
	v_dual_add_f32 v1, v1, v22 :: v_dual_add_f32 v2, v2, v169
	s_delay_alu instid0(VALU_DEP_1) | instskip(NEXT) | instid1(VALU_DEP_1)
	v_dual_add_f32 v1, v1, v25 :: v_dual_add_f32 v2, v2, v171
	v_add_f32_e32 v1, v1, v26
	scratch_load_b64 v[25:26], off, off offset:456
	v_dual_add_f32 v2, v2, v173 :: v_dual_add_f32 v1, v1, v27
	s_delay_alu instid0(VALU_DEP_1) | instskip(NEXT) | instid1(VALU_DEP_1)
	v_dual_add_f32 v2, v2, v175 :: v_dual_add_f32 v1, v1, v28
	v_add_f32_e32 v1, v1, v13
	s_delay_alu instid0(VALU_DEP_1) | instskip(NEXT) | instid1(VALU_DEP_1)
	v_add_f32_e32 v1, v1, v14
	v_add_f32_e32 v1, v1, v16
	s_delay_alu instid0(VALU_DEP_1) | instskip(NEXT) | instid1(VALU_DEP_1)
	v_add_f32_e32 v1, v1, v17
	;; [unrolled: 3-line block ×12, first 2 shown]
	v_add_f32_e32 v6, v1, v194
	v_add_f32_e32 v2, v2, v177
	s_delay_alu instid0(VALU_DEP_2) | instskip(NEXT) | instid1(VALU_DEP_2)
	v_add_f32_e32 v14, v6, v196
	v_add_f32_e32 v2, v2, v179
	s_delay_alu instid0(VALU_DEP_2) | instskip(NEXT) | instid1(VALU_DEP_2)
	v_add_f32_e32 v14, v14, v198
	v_add_f32_e32 v2, v2, v181
	s_delay_alu instid0(VALU_DEP_2) | instskip(NEXT) | instid1(VALU_DEP_1)
	v_add_f32_e32 v17, v14, v200
	v_dual_add_f32 v2, v2, v183 :: v_dual_add_f32 v17, v17, v202
	s_delay_alu instid0(VALU_DEP_1) | instskip(NEXT) | instid1(VALU_DEP_1)
	v_dual_add_f32 v2, v2, v185 :: v_dual_add_f32 v17, v17, v204
	v_dual_add_f32 v2, v2, v187 :: v_dual_add_f32 v17, v17, v206
	s_delay_alu instid0(VALU_DEP_1) | instskip(NEXT) | instid1(VALU_DEP_1)
	v_add_f32_e32 v2, v2, v189
	v_dual_add_f32 v22, v17, v208 :: v_dual_add_f32 v5, v2, v191
	scratch_load_b128 v[1:4], off, off offset:392
	v_dual_add_f32 v22, v22, v210 :: v_dual_add_f32 v13, v5, v193
	ds_load_2addr_b64 v[5:8], v29 offset0:105 offset1:106
	v_dual_add_f32 v22, v22, v212 :: v_dual_add_f32 v13, v13, v195
	s_delay_alu instid0(VALU_DEP_1) | instskip(NEXT) | instid1(VALU_DEP_1)
	v_dual_add_f32 v22, v22, v214 :: v_dual_add_f32 v13, v13, v197
	v_add_f32_e32 v18, v13, v199
	ds_load_2addr_b64 v[13:16], v29 offset0:107 offset1:108
	v_add_f32_e32 v18, v18, v201
	s_wait_loadcnt_dscnt 0x201
	v_mul_f32_e32 v30, v5, v10
	v_mul_f32_e32 v10, v6, v10
	;; [unrolled: 1-line block ×4, first 2 shown]
	v_add_f32_e32 v18, v18, v203
	v_fmac_f32_e32 v30, v6, v9
	v_fma_f32 v149, v5, v9, -v10
	v_fmac_f32_e32 v148, v8, v11
	v_fma_f32 v150, v7, v11, -v12
	s_clause 0x1
	scratch_load_b128 v[5:8], off, off offset:408
	scratch_load_b128 v[9:12], off, off offset:424
	s_wait_loadcnt_dscnt 0x200
	v_dual_mul_f32 v154, v15, v4 :: v_dual_add_f32 v21, v18, v205
	scratch_load_b128 v[17:20], off, off offset:440
	v_dual_mul_f32 v4, v16, v4 :: v_dual_mul_f32 v151, v13, v2
	v_dual_mul_f32 v2, v14, v2 :: v_dual_add_f32 v21, v21, v207
	v_fmac_f32_e32 v154, v16, v3
	s_delay_alu instid0(VALU_DEP_3) | instskip(NEXT) | instid1(VALU_DEP_4)
	v_fma_f32 v156, v15, v3, -v4
	v_fmac_f32_e32 v151, v14, v1
	s_delay_alu instid0(VALU_DEP_4) | instskip(SKIP_4) | instid1(VALU_DEP_2)
	v_fma_f32 v155, v13, v1, -v2
	v_dual_add_f32 v21, v21, v209 :: v_dual_add_f32 v14, v22, v216
	ds_load_2addr_b64 v[1:4], v29 offset0:109 offset1:110
	v_add_f32_e32 v21, v21, v211
	v_add_f32_e32 v27, v14, v218
	;; [unrolled: 1-line block ×3, first 2 shown]
	s_delay_alu instid0(VALU_DEP_2) | instskip(NEXT) | instid1(VALU_DEP_2)
	v_add_f32_e32 v157, v27, v220
	v_add_f32_e32 v21, v13, v215
	ds_load_2addr_b64 v[13:16], v29 offset0:111 offset1:112
	v_add_f32_e32 v149, v157, v149
	v_add_f32_e32 v28, v21, v217
	ds_load_2addr_b64 v[21:24], v29 offset0:113 offset1:114
	v_add_f32_e32 v149, v149, v150
	s_wait_loadcnt_dscnt 0x202
	v_mul_f32_e32 v157, v1, v6
	v_mul_f32_e32 v6, v2, v6
	v_add_f32_e32 v158, v28, v219
	ds_load_b64 v[27:28], v29 offset:920
	v_add_f32_e32 v149, v149, v155
	v_fmac_f32_e32 v157, v2, v5
	v_fma_f32 v1, v1, v5, -v6
	s_delay_alu instid0(VALU_DEP_3) | instskip(NEXT) | instid1(VALU_DEP_1)
	v_dual_add_f32 v30, v158, v30 :: v_dual_add_f32 v149, v149, v156
	v_add_f32_e32 v30, v30, v148
	v_mul_f32_e32 v148, v3, v8
	v_mul_f32_e32 v8, v4, v8
	s_wait_loadcnt_dscnt 0x102
	v_mul_f32_e32 v150, v13, v10
	v_dual_add_f32 v1, v149, v1 :: v_dual_add_f32 v30, v30, v151
	v_fmac_f32_e32 v148, v4, v7
	v_fma_f32 v2, v3, v7, -v8
	v_mul_f32_e32 v3, v14, v10
	s_delay_alu instid0(VALU_DEP_4) | instskip(SKIP_1) | instid1(VALU_DEP_3)
	v_dual_mul_f32 v151, v15, v12 :: v_dual_add_f32 v30, v30, v154
	v_dual_mul_f32 v5, v16, v12 :: v_dual_fmac_f32 v150, v14, v9
	v_fma_f32 v3, v13, v9, -v3
	s_delay_alu instid0(VALU_DEP_3) | instskip(NEXT) | instid1(VALU_DEP_4)
	v_dual_add_f32 v1, v1, v2 :: v_dual_add_f32 v4, v30, v157
	v_fmac_f32_e32 v151, v16, v11
	s_delay_alu instid0(VALU_DEP_4) | instskip(SKIP_1) | instid1(VALU_DEP_3)
	v_fma_f32 v5, v15, v11, -v5
	s_wait_dscnt 0x0
	v_dual_mul_f32 v154, v27, v26 :: v_dual_add_f32 v1, v1, v3
	v_add_f32_e32 v2, v4, v148
	s_delay_alu instid0(VALU_DEP_2) | instskip(NEXT) | instid1(VALU_DEP_2)
	v_fmac_f32_e32 v154, v28, v25
	v_dual_add_f32 v1, v1, v5 :: v_dual_add_f32 v2, v2, v150
	s_delay_alu instid0(VALU_DEP_1)
	v_dual_mul_f32 v5, v28, v26 :: v_dual_add_f32 v2, v2, v151
	s_wait_loadcnt 0x0
	v_mul_f32_e32 v155, v21, v18
	v_mul_f32_e32 v4, v22, v18
	;; [unrolled: 1-line block ×4, first 2 shown]
	s_delay_alu instid0(VALU_DEP_4) | instskip(NEXT) | instid1(VALU_DEP_4)
	v_fmac_f32_e32 v155, v22, v17
	v_fma_f32 v4, v21, v17, -v4
	s_delay_alu instid0(VALU_DEP_4) | instskip(NEXT) | instid1(VALU_DEP_4)
	v_fmac_f32_e32 v156, v24, v19
	v_fma_f32 v3, v23, v19, -v3
	s_delay_alu instid0(VALU_DEP_3) | instskip(SKIP_1) | instid1(VALU_DEP_2)
	v_dual_add_f32 v2, v2, v155 :: v_dual_add_f32 v1, v1, v4
	v_fma_f32 v4, v27, v25, -v5
	v_dual_add_f32 v2, v2, v156 :: v_dual_add_f32 v1, v1, v3
	s_delay_alu instid0(VALU_DEP_1) | instskip(NEXT) | instid1(VALU_DEP_1)
	v_dual_add_f32 v2, v2, v154 :: v_dual_add_f32 v1, v1, v4
	v_dual_sub_f32 v2, v153, v2 :: v_dual_sub_f32 v1, v152, v1
	scratch_store_b64 off, v[1:2], off offset:16
	v_cmpx_lt_u32_e32 1, v0
	s_cbranch_execz .LBB57_359
; %bb.358:
	scratch_load_b64 v[1:2], off, off offset:8
	v_mov_b32_e32 v30, v29
	scratch_store_b64 off, v[29:30], off offset:8
	s_wait_loadcnt 0x0
	ds_store_b64 v31, v[1:2]
.LBB57_359:
	s_wait_alu 0xfffe
	s_or_b32 exec_lo, exec_lo, s0
	s_wait_storecnt_dscnt 0x0
	s_barrier_signal -1
	s_barrier_wait -1
	global_inv scope:SCOPE_SE
	s_clause 0x4
	scratch_load_b128 v[5:8], off, off offset:16
	scratch_load_b128 v[1:4], off, off offset:32
	;; [unrolled: 1-line block ×5, first 2 shown]
	ds_load_b128 v[21:24], v29 offset:480
	ds_load_b128 v[25:28], v29 offset:496
	;; [unrolled: 1-line block ×3, first 2 shown]
	scratch_load_b64 v[152:153], off, off offset:8
	s_mov_b32 s0, exec_lo
	s_wait_loadcnt_dscnt 0x502
	v_mul_f32_e32 v30, v21, v6
	v_mul_f32_e32 v154, v23, v8
	v_mul_f32_e32 v8, v24, v8
	s_wait_loadcnt_dscnt 0x300
	v_mul_f32_e32 v155, v148, v10
	v_mul_f32_e32 v6, v22, v6
	v_fmac_f32_e32 v30, v22, v5
	v_fma_f32 v22, v23, v7, -v8
	v_dual_mul_f32 v23, v25, v2 :: v_dual_fmac_f32 v154, v24, v7
	v_dual_mul_f32 v2, v26, v2 :: v_dual_fmac_f32 v155, v149, v9
	v_fma_f32 v21, v21, v5, -v6
	ds_load_b128 v[5:8], v29 offset:528
	v_mul_f32_e32 v24, v27, v4
	v_dual_mul_f32 v4, v28, v4 :: v_dual_fmac_f32 v23, v26, v1
	v_fma_f32 v25, v25, v1, -v2
	s_delay_alu instid0(VALU_DEP_3) | instskip(NEXT) | instid1(VALU_DEP_3)
	v_fmac_f32_e32 v24, v28, v3
	v_fma_f32 v26, v27, v3, -v4
	scratch_load_b128 v[1:4], off, off offset:96
	v_mul_f32_e32 v156, v150, v12
	v_mul_f32_e32 v10, v149, v10
	;; [unrolled: 1-line block ×3, first 2 shown]
	s_delay_alu instid0(VALU_DEP_3) | instskip(NEXT) | instid1(VALU_DEP_3)
	v_fmac_f32_e32 v156, v151, v11
	v_fma_f32 v27, v148, v9, -v10
	s_delay_alu instid0(VALU_DEP_3)
	v_fma_f32 v28, v150, v11, -v12
	ds_load_b128 v[9:12], v29 offset:544
	s_wait_loadcnt_dscnt 0x301
	v_dual_mul_f32 v148, v5, v14 :: v_dual_mul_f32 v149, v7, v16
	v_mul_f32_e32 v14, v6, v14
	v_mul_f32_e32 v16, v8, v16
	s_delay_alu instid0(VALU_DEP_3) | instskip(NEXT) | instid1(VALU_DEP_3)
	v_dual_fmac_f32 v148, v6, v13 :: v_dual_fmac_f32 v149, v8, v15
	v_fma_f32 v13, v5, v13, -v14
	s_delay_alu instid0(VALU_DEP_3)
	v_fma_f32 v14, v7, v15, -v16
	ds_load_b128 v[5:8], v29 offset:560
	s_wait_loadcnt_dscnt 0x201
	v_mul_f32_e32 v15, v9, v18
	v_mul_f32_e32 v16, v10, v18
	;; [unrolled: 1-line block ×3, first 2 shown]
	s_delay_alu instid0(VALU_DEP_3) | instskip(NEXT) | instid1(VALU_DEP_3)
	v_dual_mul_f32 v20, v12, v20 :: v_dual_fmac_f32 v15, v10, v17
	v_fma_f32 v16, v9, v17, -v16
	s_delay_alu instid0(VALU_DEP_3) | instskip(NEXT) | instid1(VALU_DEP_3)
	v_fmac_f32_e32 v18, v12, v19
	v_fma_f32 v17, v11, v19, -v20
	scratch_load_b128 v[9:12], off, off offset:112
	s_wait_loadcnt_dscnt 0x100
	v_mul_f32_e32 v19, v5, v2
	v_mul_f32_e32 v2, v6, v2
	;; [unrolled: 1-line block ×3, first 2 shown]
	s_delay_alu instid0(VALU_DEP_3) | instskip(NEXT) | instid1(VALU_DEP_3)
	v_dual_mul_f32 v4, v8, v4 :: v_dual_fmac_f32 v19, v6, v1
	v_fma_f32 v150, v5, v1, -v2
	s_delay_alu instid0(VALU_DEP_3) | instskip(NEXT) | instid1(VALU_DEP_3)
	v_fmac_f32_e32 v20, v8, v3
	v_fma_f32 v151, v7, v3, -v4
	ds_load_b128 v[1:4], v29 offset:576
	ds_load_b128 v[5:8], v29 offset:592
	s_wait_loadcnt_dscnt 0x1
	v_mul_f32_e32 v157, v1, v10
	v_mul_f32_e32 v10, v2, v10
	s_delay_alu instid0(VALU_DEP_2) | instskip(NEXT) | instid1(VALU_DEP_2)
	v_dual_mul_f32 v158, v3, v12 :: v_dual_fmac_f32 v157, v2, v9
	v_fma_f32 v159, v1, v9, -v10
	v_mul_f32_e32 v1, v4, v12
	s_delay_alu instid0(VALU_DEP_3) | instskip(NEXT) | instid1(VALU_DEP_2)
	v_fmac_f32_e32 v158, v4, v11
	v_fma_f32 v160, v3, v11, -v1
	s_clause 0x1
	scratch_load_b128 v[1:4], off, off offset:128
	scratch_load_b128 v[9:12], off, off offset:144
	s_wait_loadcnt_dscnt 0x100
	v_mul_f32_e32 v161, v5, v2
	v_dual_mul_f32 v2, v6, v2 :: v_dual_mul_f32 v163, v7, v4
	s_delay_alu instid0(VALU_DEP_2) | instskip(NEXT) | instid1(VALU_DEP_2)
	v_fmac_f32_e32 v161, v6, v1
	v_fma_f32 v162, v5, v1, -v2
	v_mul_f32_e32 v1, v8, v4
	s_delay_alu instid0(VALU_DEP_4) | instskip(NEXT) | instid1(VALU_DEP_2)
	v_fmac_f32_e32 v163, v8, v3
	v_fma_f32 v164, v7, v3, -v1
	ds_load_b128 v[1:4], v29 offset:608
	ds_load_b128 v[5:8], v29 offset:624
	s_wait_loadcnt_dscnt 0x1
	v_mul_f32_e32 v165, v1, v10
	v_mul_f32_e32 v167, v3, v12
	s_delay_alu instid0(VALU_DEP_2) | instskip(NEXT) | instid1(VALU_DEP_2)
	v_fmac_f32_e32 v165, v2, v9
	v_dual_mul_f32 v2, v2, v10 :: v_dual_fmac_f32 v167, v4, v11
	s_delay_alu instid0(VALU_DEP_1) | instskip(SKIP_1) | instid1(VALU_DEP_1)
	v_fma_f32 v166, v1, v9, -v2
	v_mul_f32_e32 v1, v4, v12
	v_fma_f32 v168, v3, v11, -v1
	s_clause 0x1
	scratch_load_b128 v[1:4], off, off offset:160
	scratch_load_b128 v[9:12], off, off offset:176
	s_wait_loadcnt_dscnt 0x100
	v_mul_f32_e32 v169, v5, v2
	v_dual_mul_f32 v2, v6, v2 :: v_dual_mul_f32 v171, v7, v4
	s_delay_alu instid0(VALU_DEP_2) | instskip(NEXT) | instid1(VALU_DEP_2)
	v_fmac_f32_e32 v169, v6, v1
	v_fma_f32 v170, v5, v1, -v2
	v_mul_f32_e32 v1, v8, v4
	s_delay_alu instid0(VALU_DEP_4) | instskip(NEXT) | instid1(VALU_DEP_2)
	v_fmac_f32_e32 v171, v8, v3
	v_fma_f32 v172, v7, v3, -v1
	ds_load_b128 v[1:4], v29 offset:640
	ds_load_b128 v[5:8], v29 offset:656
	s_wait_loadcnt_dscnt 0x1
	v_mul_f32_e32 v173, v1, v10
	v_mul_f32_e32 v175, v3, v12
	s_delay_alu instid0(VALU_DEP_2) | instskip(NEXT) | instid1(VALU_DEP_2)
	v_fmac_f32_e32 v173, v2, v9
	v_dual_mul_f32 v2, v2, v10 :: v_dual_fmac_f32 v175, v4, v11
	s_delay_alu instid0(VALU_DEP_1) | instskip(SKIP_1) | instid1(VALU_DEP_1)
	v_fma_f32 v174, v1, v9, -v2
	v_mul_f32_e32 v1, v4, v12
	;; [unrolled: 25-line block ×8, first 2 shown]
	v_fma_f32 v224, v3, v11, -v1
	s_clause 0x1
	scratch_load_b128 v[1:4], off, off offset:384
	scratch_load_b128 v[9:12], off, off offset:400
	s_wait_loadcnt_dscnt 0x100
	v_mul_f32_e32 v225, v5, v2
	v_mul_f32_e32 v2, v6, v2
	s_delay_alu instid0(VALU_DEP_2) | instskip(NEXT) | instid1(VALU_DEP_2)
	v_fmac_f32_e32 v225, v6, v1
	v_fma_f32 v226, v5, v1, -v2
	v_dual_mul_f32 v1, v8, v4 :: v_dual_add_f32 v2, 0, v30
	s_delay_alu instid0(VALU_DEP_1) | instskip(NEXT) | instid1(VALU_DEP_2)
	v_fma_f32 v228, v7, v3, -v1
	v_dual_add_f32 v1, 0, v21 :: v_dual_add_f32 v2, v2, v154
	s_delay_alu instid0(VALU_DEP_1) | instskip(NEXT) | instid1(VALU_DEP_1)
	v_dual_add_f32 v1, v1, v22 :: v_dual_add_f32 v2, v2, v23
	v_dual_add_f32 v1, v1, v25 :: v_dual_add_f32 v2, v2, v24
	s_delay_alu instid0(VALU_DEP_1) | instskip(NEXT) | instid1(VALU_DEP_1)
	v_dual_add_f32 v1, v1, v26 :: v_dual_add_f32 v2, v2, v155
	v_dual_add_f32 v1, v1, v27 :: v_dual_add_f32 v2, v2, v156
	s_delay_alu instid0(VALU_DEP_1) | instskip(NEXT) | instid1(VALU_DEP_1)
	v_add_f32_e32 v1, v1, v28
	v_dual_add_f32 v2, v2, v148 :: v_dual_add_f32 v1, v1, v13
	s_delay_alu instid0(VALU_DEP_1) | instskip(NEXT) | instid1(VALU_DEP_1)
	v_dual_add_f32 v2, v2, v149 :: v_dual_add_f32 v1, v1, v14
	v_dual_add_f32 v2, v2, v15 :: v_dual_add_f32 v1, v1, v16
	s_delay_alu instid0(VALU_DEP_1) | instskip(NEXT) | instid1(VALU_DEP_1)
	v_dual_add_f32 v2, v2, v18 :: v_dual_add_f32 v1, v1, v17
	;; [unrolled: 3-line block ×9, first 2 shown]
	v_add_f32_e32 v1, v1, v182
	s_delay_alu instid0(VALU_DEP_1) | instskip(NEXT) | instid1(VALU_DEP_1)
	v_add_f32_e32 v1, v1, v184
	v_add_f32_e32 v1, v1, v186
	s_delay_alu instid0(VALU_DEP_1) | instskip(NEXT) | instid1(VALU_DEP_1)
	v_add_f32_e32 v1, v1, v188
	;; [unrolled: 3-line block ×4, first 2 shown]
	v_add_f32_e32 v1, v1, v198
	s_delay_alu instid0(VALU_DEP_1) | instskip(SKIP_1) | instid1(VALU_DEP_2)
	v_add_f32_e32 v6, v1, v200
	v_add_f32_e32 v2, v2, v181
	;; [unrolled: 1-line block ×3, first 2 shown]
	s_delay_alu instid0(VALU_DEP_2) | instskip(NEXT) | instid1(VALU_DEP_2)
	v_add_f32_e32 v2, v2, v183
	v_add_f32_e32 v13, v6, v204
	s_delay_alu instid0(VALU_DEP_1) | instskip(NEXT) | instid1(VALU_DEP_1)
	v_dual_add_f32 v2, v2, v185 :: v_dual_add_f32 v13, v13, v206
	v_dual_add_f32 v2, v2, v187 :: v_dual_add_f32 v13, v13, v208
	s_delay_alu instid0(VALU_DEP_1) | instskip(NEXT) | instid1(VALU_DEP_1)
	v_dual_add_f32 v2, v2, v189 :: v_dual_add_f32 v13, v13, v210
	v_add_f32_e32 v2, v2, v191
	s_delay_alu instid0(VALU_DEP_2) | instskip(NEXT) | instid1(VALU_DEP_2)
	v_add_f32_e32 v18, v13, v212
	v_dual_add_f32 v2, v2, v193 :: v_dual_mul_f32 v227, v7, v4
	s_delay_alu instid0(VALU_DEP_2) | instskip(NEXT) | instid1(VALU_DEP_2)
	v_add_f32_e32 v18, v18, v214
	v_add_f32_e32 v2, v2, v195
	s_delay_alu instid0(VALU_DEP_2) | instskip(NEXT) | instid1(VALU_DEP_2)
	v_add_f32_e32 v18, v18, v216
	v_add_f32_e32 v5, v2, v197
	;; [unrolled: 3-line block ×4, first 2 shown]
	s_delay_alu instid0(VALU_DEP_1) | instskip(NEXT) | instid1(VALU_DEP_1)
	v_add_f32_e32 v14, v5, v203
	v_add_f32_e32 v14, v14, v205
	s_delay_alu instid0(VALU_DEP_1) | instskip(NEXT) | instid1(VALU_DEP_1)
	v_add_f32_e32 v14, v14, v207
	v_add_f32_e32 v17, v14, v209
	scratch_load_b128 v[13:16], off, off offset:448
	v_add_f32_e32 v17, v17, v211
	s_delay_alu instid0(VALU_DEP_1) | instskip(NEXT) | instid1(VALU_DEP_1)
	v_add_f32_e32 v17, v17, v213
	v_add_f32_e32 v17, v17, v215
	v_fmac_f32_e32 v227, v8, v3
	ds_load_b128 v[1:4], v29 offset:864
	ds_load_b128 v[5:8], v29 offset:880
	v_add_f32_e32 v22, v17, v217
	ds_load_b128 v[17:20], v29 offset:896
	v_add_f32_e32 v148, v22, v219
	;; [unrolled: 2-line block ×3, first 2 shown]
	s_delay_alu instid0(VALU_DEP_1) | instskip(SKIP_3) | instid1(VALU_DEP_3)
	v_add_f32_e32 v29, v29, v224
	s_wait_loadcnt_dscnt 0x103
	v_dual_mul_f32 v25, v1, v10 :: v_dual_mul_f32 v26, v3, v12
	v_mul_f32_e32 v10, v2, v10
	v_dual_mul_f32 v12, v4, v12 :: v_dual_add_f32 v29, v29, v226
	s_delay_alu instid0(VALU_DEP_3) | instskip(NEXT) | instid1(VALU_DEP_3)
	v_dual_fmac_f32 v25, v2, v9 :: v_dual_fmac_f32 v26, v4, v11
	v_fma_f32 v27, v1, v9, -v10
	s_delay_alu instid0(VALU_DEP_3) | instskip(SKIP_4) | instid1(VALU_DEP_1)
	v_fma_f32 v28, v3, v11, -v12
	s_clause 0x1
	scratch_load_b128 v[1:4], off, off offset:416
	scratch_load_b128 v[9:12], off, off offset:432
	v_add_f32_e32 v29, v29, v228
	v_add_f32_e32 v27, v29, v27
	s_wait_loadcnt_dscnt 0x200
	v_dual_mul_f32 v154, v21, v14 :: v_dual_mul_f32 v29, v23, v16
	s_delay_alu instid0(VALU_DEP_1)
	v_dual_fmac_f32 v154, v22, v13 :: v_dual_fmac_f32 v29, v24, v15
	s_wait_loadcnt 0x1
	v_mul_f32_e32 v149, v7, v4
	v_mul_f32_e32 v4, v8, v4
	v_add_f32_e32 v30, v148, v221
	v_mul_f32_e32 v148, v5, v2
	v_mul_f32_e32 v2, v6, v2
	s_wait_loadcnt 0x0
	v_dual_mul_f32 v150, v17, v10 :: v_dual_fmac_f32 v149, v8, v3
	v_add_f32_e32 v30, v30, v223
	v_fmac_f32_e32 v148, v6, v1
	v_fma_f32 v2, v5, v1, -v2
	v_dual_add_f32 v1, v27, v28 :: v_dual_mul_f32 v6, v18, v10
	s_delay_alu instid0(VALU_DEP_4) | instskip(SKIP_2) | instid1(VALU_DEP_4)
	v_add_f32_e32 v30, v30, v225
	v_fma_f32 v3, v7, v3, -v4
	v_mul_f32_e32 v151, v19, v12
	v_dual_add_f32 v1, v1, v2 :: v_dual_mul_f32 v4, v20, v12
	s_delay_alu instid0(VALU_DEP_4) | instskip(NEXT) | instid1(VALU_DEP_3)
	v_add_f32_e32 v30, v30, v227
	v_dual_fmac_f32 v150, v18, v9 :: v_dual_fmac_f32 v151, v20, v11
	s_delay_alu instid0(VALU_DEP_3) | instskip(SKIP_1) | instid1(VALU_DEP_4)
	v_add_f32_e32 v1, v1, v3
	v_mul_f32_e32 v3, v22, v14
	v_add_f32_e32 v25, v30, v25
	v_fma_f32 v4, v19, v11, -v4
	s_delay_alu instid0(VALU_DEP_3) | instskip(NEXT) | instid1(VALU_DEP_3)
	v_fma_f32 v3, v21, v13, -v3
	v_add_f32_e32 v5, v25, v26
	s_delay_alu instid0(VALU_DEP_1) | instskip(SKIP_1) | instid1(VALU_DEP_2)
	v_add_f32_e32 v2, v5, v148
	v_fma_f32 v5, v17, v9, -v6
	v_add_f32_e32 v2, v2, v149
	s_delay_alu instid0(VALU_DEP_2) | instskip(NEXT) | instid1(VALU_DEP_2)
	v_add_f32_e32 v1, v1, v5
	v_dual_mul_f32 v5, v24, v16 :: v_dual_add_f32 v2, v2, v150
	s_delay_alu instid0(VALU_DEP_2) | instskip(NEXT) | instid1(VALU_DEP_2)
	v_add_f32_e32 v1, v1, v4
	v_fma_f32 v4, v23, v15, -v5
	s_delay_alu instid0(VALU_DEP_3) | instskip(NEXT) | instid1(VALU_DEP_1)
	v_add_f32_e32 v2, v2, v151
	v_dual_add_f32 v1, v1, v3 :: v_dual_add_f32 v2, v2, v154
	s_delay_alu instid0(VALU_DEP_1) | instskip(NEXT) | instid1(VALU_DEP_1)
	v_dual_add_f32 v1, v1, v4 :: v_dual_add_f32 v2, v2, v29
	v_dual_sub_f32 v1, v152, v1 :: v_dual_sub_f32 v2, v153, v2
	scratch_store_b64 off, v[1:2], off offset:8
	v_cmpx_ne_u32_e32 0, v0
	s_cbranch_execz .LBB57_361
; %bb.360:
	scratch_load_b64 v[0:1], off, off
	v_mov_b32_e32 v2, 0
	s_delay_alu instid0(VALU_DEP_1)
	v_mov_b32_e32 v3, v2
	scratch_store_b64 off, v[2:3], off
	s_wait_loadcnt 0x0
	ds_store_b64 v31, v[0:1]
.LBB57_361:
	s_wait_alu 0xfffe
	s_or_b32 exec_lo, exec_lo, s0
	s_wait_storecnt_dscnt 0x0
	s_barrier_signal -1
	s_barrier_wait -1
	global_inv scope:SCOPE_SE
	s_clause 0x6
	scratch_load_b128 v[0:3], off, off offset:8
	scratch_load_b128 v[4:7], off, off offset:24
	;; [unrolled: 1-line block ×7, first 2 shown]
	v_mov_b32_e32 v148, 0
	scratch_load_b64 v[153:154], off, off
	s_and_b32 vcc_lo, exec_lo, s18
	ds_load_2addr_b64 v[28:31], v148 offset0:59 offset1:60
	ds_load_2addr_b64 v[149:152], v148 offset0:61 offset1:62
	s_wait_loadcnt_dscnt 0x701
	v_dual_mul_f32 v155, v28, v1 :: v_dual_mul_f32 v156, v30, v3
	v_mul_f32_e32 v1, v29, v1
	v_mul_f32_e32 v3, v31, v3
	s_delay_alu instid0(VALU_DEP_3) | instskip(NEXT) | instid1(VALU_DEP_3)
	v_dual_fmac_f32 v155, v29, v0 :: v_dual_fmac_f32 v156, v31, v2
	v_fma_f32 v28, v28, v0, -v1
	s_delay_alu instid0(VALU_DEP_3) | instskip(SKIP_4) | instid1(VALU_DEP_2)
	v_fma_f32 v29, v30, v2, -v3
	ds_load_2addr_b64 v[0:3], v148 offset0:63 offset1:64
	s_wait_loadcnt_dscnt 0x601
	v_dual_mul_f32 v30, v149, v5 :: v_dual_mul_f32 v31, v151, v7
	v_mul_f32_e32 v5, v150, v5
	v_dual_mul_f32 v7, v152, v7 :: v_dual_fmac_f32 v30, v150, v4
	s_delay_alu instid0(VALU_DEP_3) | instskip(NEXT) | instid1(VALU_DEP_3)
	v_fmac_f32_e32 v31, v152, v6
	v_fma_f32 v149, v149, v4, -v5
	s_delay_alu instid0(VALU_DEP_3) | instskip(SKIP_4) | instid1(VALU_DEP_2)
	v_fma_f32 v150, v151, v6, -v7
	ds_load_2addr_b64 v[4:7], v148 offset0:65 offset1:66
	s_wait_loadcnt_dscnt 0x501
	v_dual_mul_f32 v151, v0, v9 :: v_dual_mul_f32 v152, v2, v11
	v_mul_f32_e32 v11, v3, v11
	v_fmac_f32_e32 v152, v3, v10
	s_delay_alu instid0(VALU_DEP_2) | instskip(SKIP_2) | instid1(VALU_DEP_1)
	v_fma_f32 v158, v2, v10, -v11
	s_wait_loadcnt_dscnt 0x400
	v_dual_mul_f32 v160, v6, v15 :: v_dual_mul_f32 v9, v1, v9
	v_dual_fmac_f32 v151, v1, v8 :: v_dual_fmac_f32 v160, v7, v14
	s_delay_alu instid0(VALU_DEP_2) | instskip(SKIP_3) | instid1(VALU_DEP_2)
	v_fma_f32 v157, v0, v8, -v9
	ds_load_2addr_b64 v[0:3], v148 offset0:67 offset1:68
	v_mul_f32_e32 v159, v4, v13
	v_dual_mul_f32 v8, v5, v13 :: v_dual_mul_f32 v9, v7, v15
	v_fmac_f32_e32 v159, v5, v12
	s_delay_alu instid0(VALU_DEP_2) | instskip(NEXT) | instid1(VALU_DEP_3)
	v_fma_f32 v12, v4, v12, -v8
	v_fma_f32 v13, v6, v14, -v9
	ds_load_2addr_b64 v[4:7], v148 offset0:69 offset1:70
	s_wait_loadcnt_dscnt 0x301
	v_mul_f32_e32 v8, v1, v17
	v_dual_mul_f32 v14, v0, v17 :: v_dual_mul_f32 v15, v2, v19
	v_mul_f32_e32 v9, v3, v19
	s_delay_alu instid0(VALU_DEP_3) | instskip(NEXT) | instid1(VALU_DEP_3)
	v_fma_f32 v17, v0, v16, -v8
	v_fmac_f32_e32 v14, v1, v16
	s_delay_alu instid0(VALU_DEP_3) | instskip(SKIP_4) | instid1(VALU_DEP_1)
	v_fma_f32 v16, v2, v18, -v9
	s_wait_loadcnt_dscnt 0x200
	v_dual_mul_f32 v8, v5, v21 :: v_dual_fmac_f32 v15, v3, v18
	ds_load_2addr_b64 v[0:3], v148 offset0:71 offset1:72
	v_dual_mul_f32 v18, v4, v21 :: v_dual_mul_f32 v19, v6, v23
	v_dual_mul_f32 v9, v7, v23 :: v_dual_fmac_f32 v18, v5, v20
	v_fma_f32 v20, v4, v20, -v8
	s_delay_alu instid0(VALU_DEP_3) | instskip(NEXT) | instid1(VALU_DEP_3)
	v_fmac_f32_e32 v19, v7, v22
	v_fma_f32 v21, v6, v22, -v9
	ds_load_2addr_b64 v[4:7], v148 offset0:73 offset1:74
	s_wait_loadcnt_dscnt 0x101
	v_mul_f32_e32 v22, v0, v25
	v_dual_mul_f32 v8, v1, v25 :: v_dual_mul_f32 v23, v2, v27
	s_delay_alu instid0(VALU_DEP_2) | instskip(NEXT) | instid1(VALU_DEP_2)
	v_dual_mul_f32 v9, v3, v27 :: v_dual_fmac_f32 v22, v1, v24
	v_fma_f32 v24, v0, v24, -v8
	s_delay_alu instid0(VALU_DEP_3) | instskip(NEXT) | instid1(VALU_DEP_3)
	v_fmac_f32_e32 v23, v3, v26
	v_fma_f32 v25, v2, v26, -v9
	s_clause 0x1
	scratch_load_b128 v[0:3], off, off offset:120
	scratch_load_b128 v[8:11], off, off offset:136
	s_wait_loadcnt_dscnt 0x100
	v_mul_f32_e32 v26, v4, v1
	v_mul_f32_e32 v1, v5, v1
	s_delay_alu instid0(VALU_DEP_2) | instskip(NEXT) | instid1(VALU_DEP_2)
	v_dual_mul_f32 v161, v6, v3 :: v_dual_fmac_f32 v26, v5, v0
	v_fma_f32 v27, v4, v0, -v1
	v_mul_f32_e32 v0, v7, v3
	s_delay_alu instid0(VALU_DEP_3) | instskip(NEXT) | instid1(VALU_DEP_2)
	v_fmac_f32_e32 v161, v7, v2
	v_fma_f32 v162, v6, v2, -v0
	ds_load_2addr_b64 v[0:3], v148 offset0:75 offset1:76
	ds_load_2addr_b64 v[4:7], v148 offset0:77 offset1:78
	s_wait_loadcnt_dscnt 0x1
	v_mul_f32_e32 v163, v0, v9
	v_mul_f32_e32 v165, v2, v11
	s_delay_alu instid0(VALU_DEP_2) | instskip(SKIP_1) | instid1(VALU_DEP_3)
	v_fmac_f32_e32 v163, v1, v8
	v_mul_f32_e32 v1, v1, v9
	v_fmac_f32_e32 v165, v3, v10
	s_delay_alu instid0(VALU_DEP_2) | instskip(SKIP_1) | instid1(VALU_DEP_1)
	v_fma_f32 v164, v0, v8, -v1
	v_mul_f32_e32 v0, v3, v11
	v_fma_f32 v166, v2, v10, -v0
	s_clause 0x1
	scratch_load_b128 v[0:3], off, off offset:152
	scratch_load_b128 v[8:11], off, off offset:168
	s_wait_loadcnt_dscnt 0x100
	v_mul_f32_e32 v167, v4, v1
	v_mul_f32_e32 v1, v5, v1
	v_mul_f32_e32 v169, v6, v3
	s_delay_alu instid0(VALU_DEP_3) | instskip(NEXT) | instid1(VALU_DEP_3)
	v_fmac_f32_e32 v167, v5, v0
	v_fma_f32 v168, v4, v0, -v1
	v_mul_f32_e32 v0, v7, v3
	s_delay_alu instid0(VALU_DEP_4) | instskip(NEXT) | instid1(VALU_DEP_2)
	v_fmac_f32_e32 v169, v7, v2
	v_fma_f32 v170, v6, v2, -v0
	ds_load_2addr_b64 v[0:3], v148 offset0:79 offset1:80
	ds_load_2addr_b64 v[4:7], v148 offset0:81 offset1:82
	s_wait_loadcnt_dscnt 0x1
	v_mul_f32_e32 v171, v0, v9
	v_mul_f32_e32 v173, v2, v11
	s_delay_alu instid0(VALU_DEP_2) | instskip(SKIP_1) | instid1(VALU_DEP_3)
	v_fmac_f32_e32 v171, v1, v8
	v_mul_f32_e32 v1, v1, v9
	v_fmac_f32_e32 v173, v3, v10
	s_delay_alu instid0(VALU_DEP_2) | instskip(SKIP_1) | instid1(VALU_DEP_1)
	v_fma_f32 v172, v0, v8, -v1
	v_mul_f32_e32 v0, v3, v11
	v_fma_f32 v174, v2, v10, -v0
	s_clause 0x1
	scratch_load_b128 v[0:3], off, off offset:184
	scratch_load_b128 v[8:11], off, off offset:200
	s_wait_loadcnt_dscnt 0x100
	v_mul_f32_e32 v175, v4, v1
	v_mul_f32_e32 v1, v5, v1
	v_mul_f32_e32 v177, v6, v3
	s_delay_alu instid0(VALU_DEP_3) | instskip(NEXT) | instid1(VALU_DEP_3)
	v_fmac_f32_e32 v175, v5, v0
	v_fma_f32 v176, v4, v0, -v1
	v_mul_f32_e32 v0, v7, v3
	s_delay_alu instid0(VALU_DEP_4) | instskip(NEXT) | instid1(VALU_DEP_2)
	;; [unrolled: 27-line block ×7, first 2 shown]
	v_fmac_f32_e32 v217, v7, v2
	v_fma_f32 v218, v6, v2, -v0
	ds_load_2addr_b64 v[0:3], v148 offset0:103 offset1:104
	ds_load_2addr_b64 v[4:7], v148 offset0:105 offset1:106
	s_wait_loadcnt_dscnt 0x1
	v_mul_f32_e32 v219, v0, v9
	v_mul_f32_e32 v221, v2, v11
	s_delay_alu instid0(VALU_DEP_2) | instskip(SKIP_1) | instid1(VALU_DEP_3)
	v_fmac_f32_e32 v219, v1, v8
	v_mul_f32_e32 v1, v1, v9
	v_fmac_f32_e32 v221, v3, v10
	s_delay_alu instid0(VALU_DEP_2) | instskip(SKIP_1) | instid1(VALU_DEP_1)
	v_fma_f32 v220, v0, v8, -v1
	v_mul_f32_e32 v0, v3, v11
	v_fma_f32 v222, v2, v10, -v0
	s_clause 0x1
	scratch_load_b128 v[0:3], off, off offset:376
	scratch_load_b128 v[8:11], off, off offset:392
	s_wait_loadcnt_dscnt 0x100
	v_mul_f32_e32 v223, v4, v1
	v_mul_f32_e32 v1, v5, v1
	s_delay_alu instid0(VALU_DEP_2) | instskip(NEXT) | instid1(VALU_DEP_2)
	v_fmac_f32_e32 v223, v5, v0
	v_fma_f32 v224, v4, v0, -v1
	v_mul_f32_e32 v0, v7, v3
	v_add_f32_e32 v1, 0, v155
	s_delay_alu instid0(VALU_DEP_2) | instskip(SKIP_1) | instid1(VALU_DEP_1)
	v_fma_f32 v226, v6, v2, -v0
	v_add_f32_e32 v0, 0, v28
	v_dual_add_f32 v1, v1, v156 :: v_dual_add_f32 v0, v0, v29
	s_delay_alu instid0(VALU_DEP_1) | instskip(NEXT) | instid1(VALU_DEP_1)
	v_dual_add_f32 v1, v1, v30 :: v_dual_add_f32 v0, v0, v149
	v_dual_add_f32 v1, v1, v31 :: v_dual_add_f32 v0, v0, v150
	s_delay_alu instid0(VALU_DEP_1) | instskip(NEXT) | instid1(VALU_DEP_1)
	v_dual_add_f32 v1, v1, v151 :: v_dual_add_f32 v0, v0, v157
	;; [unrolled: 3-line block ×6, first 2 shown]
	v_dual_add_f32 v1, v1, v23 :: v_dual_add_f32 v0, v0, v25
	s_delay_alu instid0(VALU_DEP_1) | instskip(SKIP_3) | instid1(VALU_DEP_2)
	v_add_f32_e32 v1, v1, v26
	scratch_load_b64 v[24:25], off, off offset:456
	v_mul_f32_e32 v225, v6, v3
	v_dual_add_f32 v0, v0, v27 :: v_dual_add_f32 v1, v1, v161
	v_fmac_f32_e32 v225, v7, v2
	s_delay_alu instid0(VALU_DEP_2) | instskip(NEXT) | instid1(VALU_DEP_1)
	v_dual_add_f32 v0, v0, v162 :: v_dual_add_f32 v1, v1, v163
	v_dual_add_f32 v0, v0, v164 :: v_dual_add_f32 v1, v1, v165
	s_delay_alu instid0(VALU_DEP_1) | instskip(NEXT) | instid1(VALU_DEP_1)
	v_dual_add_f32 v0, v0, v166 :: v_dual_add_f32 v1, v1, v167
	v_dual_add_f32 v0, v0, v168 :: v_dual_add_f32 v1, v1, v169
	s_delay_alu instid0(VALU_DEP_1) | instskip(NEXT) | instid1(VALU_DEP_1)
	;; [unrolled: 3-line block ×7, first 2 shown]
	v_dual_add_f32 v0, v0, v190 :: v_dual_add_f32 v1, v1, v191
	v_add_f32_e32 v0, v0, v192
	s_delay_alu instid0(VALU_DEP_2) | instskip(NEXT) | instid1(VALU_DEP_2)
	v_add_f32_e32 v4, v1, v193
	v_add_f32_e32 v0, v0, v194
	s_delay_alu instid0(VALU_DEP_2) | instskip(NEXT) | instid1(VALU_DEP_2)
	v_add_f32_e32 v4, v4, v195
	v_add_f32_e32 v5, v0, v196
	s_delay_alu instid0(VALU_DEP_2) | instskip(SKIP_2) | instid1(VALU_DEP_1)
	v_add_f32_e32 v4, v4, v197
	ds_load_2addr_b64 v[0:3], v148 offset0:107 offset1:108
	v_add_f32_e32 v5, v5, v198
	v_dual_add_f32 v13, v4, v199 :: v_dual_add_f32 v12, v5, v200
	s_delay_alu instid0(VALU_DEP_1) | instskip(SKIP_2) | instid1(VALU_DEP_1)
	v_add_f32_e32 v13, v13, v201
	ds_load_2addr_b64 v[4:7], v148 offset0:109 offset1:110
	v_dual_add_f32 v12, v12, v202 :: v_dual_add_f32 v13, v13, v203
	v_add_f32_e32 v12, v12, v204
	s_delay_alu instid0(VALU_DEP_2) | instskip(SKIP_4) | instid1(VALU_DEP_3)
	v_add_f32_e32 v16, v13, v205
	s_wait_loadcnt_dscnt 0x101
	v_mul_f32_e32 v28, v0, v9
	v_mul_f32_e32 v9, v1, v9
	v_dual_mul_f32 v29, v2, v11 :: v_dual_add_f32 v12, v12, v206
	v_dual_mul_f32 v11, v3, v11 :: v_dual_fmac_f32 v28, v1, v8
	s_delay_alu instid0(VALU_DEP_3) | instskip(NEXT) | instid1(VALU_DEP_3)
	v_fma_f32 v30, v0, v8, -v9
	v_fmac_f32_e32 v29, v3, v10
	s_delay_alu instid0(VALU_DEP_4)
	v_add_f32_e32 v17, v12, v208
	scratch_load_b128 v[12:15], off, off offset:440
	v_fma_f32 v31, v2, v10, -v11
	s_clause 0x1
	scratch_load_b128 v[0:3], off, off offset:408
	scratch_load_b128 v[8:11], off, off offset:424
	v_dual_add_f32 v17, v17, v210 :: v_dual_add_f32 v16, v16, v207
	s_delay_alu instid0(VALU_DEP_1) | instskip(NEXT) | instid1(VALU_DEP_1)
	v_dual_add_f32 v17, v17, v212 :: v_dual_add_f32 v16, v16, v209
	v_dual_add_f32 v17, v17, v214 :: v_dual_add_f32 v16, v16, v211
	s_delay_alu instid0(VALU_DEP_1) | instskip(NEXT) | instid1(VALU_DEP_1)
	v_dual_add_f32 v17, v17, v216 :: v_dual_add_f32 v16, v16, v213
	v_add_f32_e32 v26, v17, v218
	s_delay_alu instid0(VALU_DEP_2)
	v_add_f32_e32 v20, v16, v215
	ds_load_2addr_b64 v[16:19], v148 offset0:111 offset1:112
	v_add_f32_e32 v149, v26, v220
	v_add_f32_e32 v27, v20, v217
	ds_load_2addr_b64 v[20:23], v148 offset0:113 offset1:114
	v_add_f32_e32 v149, v149, v222
	s_delay_alu instid0(VALU_DEP_1) | instskip(NEXT) | instid1(VALU_DEP_1)
	v_add_f32_e32 v149, v149, v224
	v_add_f32_e32 v149, v149, v226
	s_wait_loadcnt_dscnt 0x200
	s_delay_alu instid0(VALU_DEP_1)
	v_dual_add_f32 v30, v149, v30 :: v_dual_mul_f32 v157, v20, v13
	v_mul_f32_e32 v149, v22, v15
	s_wait_loadcnt 0x1
	v_mul_f32_e32 v151, v4, v1
	v_dual_mul_f32 v1, v5, v1 :: v_dual_mul_f32 v152, v6, v3
	v_mul_f32_e32 v3, v7, v3
	s_wait_loadcnt 0x0
	v_mul_f32_e32 v155, v16, v9
	v_fmac_f32_e32 v151, v5, v0
	v_fma_f32 v0, v4, v0, -v1
	v_dual_add_f32 v1, v30, v31 :: v_dual_fmac_f32 v152, v7, v2
	v_fma_f32 v2, v6, v2, -v3
	v_dual_mul_f32 v5, v17, v9 :: v_dual_mul_f32 v156, v18, v11
	s_delay_alu instid0(VALU_DEP_3) | instskip(SKIP_1) | instid1(VALU_DEP_3)
	v_dual_add_f32 v0, v1, v0 :: v_dual_mul_f32 v3, v19, v11
	v_fmac_f32_e32 v155, v17, v8
	v_dual_fmac_f32 v157, v21, v12 :: v_dual_fmac_f32 v156, v19, v10
	s_delay_alu instid0(VALU_DEP_3)
	v_add_f32_e32 v0, v0, v2
	v_add_f32_e32 v150, v27, v219
	ds_load_b64 v[26:27], v148 offset:920
	v_mul_f32_e32 v2, v21, v13
	v_fma_f32 v3, v18, v10, -v3
	v_dual_fmac_f32 v149, v23, v14 :: v_dual_add_f32 v150, v150, v221
	s_delay_alu instid0(VALU_DEP_3) | instskip(NEXT) | instid1(VALU_DEP_2)
	v_fma_f32 v2, v20, v12, -v2
	v_add_f32_e32 v150, v150, v223
	s_delay_alu instid0(VALU_DEP_1) | instskip(NEXT) | instid1(VALU_DEP_1)
	v_add_f32_e32 v150, v150, v225
	v_add_f32_e32 v28, v150, v28
	s_wait_dscnt 0x0
	v_mul_f32_e32 v150, v26, v25
	s_delay_alu instid0(VALU_DEP_2) | instskip(NEXT) | instid1(VALU_DEP_1)
	v_add_f32_e32 v4, v28, v29
	v_dual_fmac_f32 v150, v27, v24 :: v_dual_add_f32 v1, v4, v151
	v_fma_f32 v4, v16, v8, -v5
	s_delay_alu instid0(VALU_DEP_2) | instskip(NEXT) | instid1(VALU_DEP_2)
	v_add_f32_e32 v1, v1, v152
	v_add_f32_e32 v0, v0, v4
	v_mul_f32_e32 v4, v23, v15
	s_delay_alu instid0(VALU_DEP_3) | instskip(NEXT) | instid1(VALU_DEP_3)
	v_add_f32_e32 v1, v1, v155
	v_dual_add_f32 v0, v0, v3 :: v_dual_mul_f32 v3, v27, v25
	s_delay_alu instid0(VALU_DEP_3) | instskip(NEXT) | instid1(VALU_DEP_2)
	v_fma_f32 v4, v22, v14, -v4
	v_dual_add_f32 v1, v1, v156 :: v_dual_add_f32 v0, v0, v2
	s_delay_alu instid0(VALU_DEP_3) | instskip(NEXT) | instid1(VALU_DEP_2)
	v_fma_f32 v2, v26, v24, -v3
	v_dual_add_f32 v1, v1, v157 :: v_dual_add_f32 v0, v0, v4
	s_delay_alu instid0(VALU_DEP_1) | instskip(NEXT) | instid1(VALU_DEP_1)
	v_dual_add_f32 v1, v1, v149 :: v_dual_add_f32 v0, v0, v2
	v_add_f32_e32 v1, v1, v150
	s_delay_alu instid0(VALU_DEP_1)
	v_dual_sub_f32 v0, v153, v0 :: v_dual_sub_f32 v1, v154, v1
	scratch_store_b64 off, v[0:1], off
	s_wait_alu 0xfffe
	s_cbranch_vccz .LBB57_476
; %bb.362:
	global_load_b32 v0, v148, s[2:3] offset:224
	s_wait_loadcnt 0x0
	v_cmp_ne_u32_e32 vcc_lo, 57, v0
	s_cbranch_vccz .LBB57_364
; %bb.363:
	v_lshlrev_b32_e32 v0, 3, v0
	s_delay_alu instid0(VALU_DEP_1)
	v_mov_b32_e32 v4, v0
	scratch_load_b64 v[0:1], v4, off offset:-8
	scratch_load_b64 v[2:3], off, off offset:448
	s_wait_loadcnt 0x1
	scratch_store_b64 off, v[0:1], off offset:448
	s_wait_loadcnt 0x0
	scratch_store_b64 v4, v[2:3], off offset:-8
.LBB57_364:
	v_mov_b32_e32 v0, 0
	global_load_b32 v1, v0, s[2:3] offset:220
	s_wait_loadcnt 0x0
	v_cmp_eq_u32_e32 vcc_lo, 56, v1
	s_cbranch_vccnz .LBB57_366
; %bb.365:
	v_lshlrev_b32_e32 v1, 3, v1
	s_delay_alu instid0(VALU_DEP_1)
	v_mov_b32_e32 v5, v1
	scratch_load_b64 v[1:2], v5, off offset:-8
	scratch_load_b64 v[3:4], off, off offset:440
	s_wait_loadcnt 0x1
	scratch_store_b64 off, v[1:2], off offset:440
	s_wait_loadcnt 0x0
	scratch_store_b64 v5, v[3:4], off offset:-8
.LBB57_366:
	global_load_b32 v0, v0, s[2:3] offset:216
	s_wait_loadcnt 0x0
	v_cmp_eq_u32_e32 vcc_lo, 55, v0
	s_cbranch_vccnz .LBB57_368
; %bb.367:
	v_lshlrev_b32_e32 v0, 3, v0
	s_delay_alu instid0(VALU_DEP_1)
	v_mov_b32_e32 v4, v0
	scratch_load_b64 v[0:1], v4, off offset:-8
	scratch_load_b64 v[2:3], off, off offset:432
	s_wait_loadcnt 0x1
	scratch_store_b64 off, v[0:1], off offset:432
	s_wait_loadcnt 0x0
	scratch_store_b64 v4, v[2:3], off offset:-8
.LBB57_368:
	v_mov_b32_e32 v0, 0
	global_load_b32 v1, v0, s[2:3] offset:212
	s_wait_loadcnt 0x0
	v_cmp_eq_u32_e32 vcc_lo, 54, v1
	s_cbranch_vccnz .LBB57_370
; %bb.369:
	v_lshlrev_b32_e32 v1, 3, v1
	s_delay_alu instid0(VALU_DEP_1)
	v_mov_b32_e32 v5, v1
	scratch_load_b64 v[1:2], v5, off offset:-8
	scratch_load_b64 v[3:4], off, off offset:424
	s_wait_loadcnt 0x1
	scratch_store_b64 off, v[1:2], off offset:424
	s_wait_loadcnt 0x0
	scratch_store_b64 v5, v[3:4], off offset:-8
.LBB57_370:
	global_load_b32 v0, v0, s[2:3] offset:208
	s_wait_loadcnt 0x0
	v_cmp_eq_u32_e32 vcc_lo, 53, v0
	s_cbranch_vccnz .LBB57_372
; %bb.371:
	v_lshlrev_b32_e32 v0, 3, v0
	s_delay_alu instid0(VALU_DEP_1)
	v_mov_b32_e32 v4, v0
	scratch_load_b64 v[0:1], v4, off offset:-8
	scratch_load_b64 v[2:3], off, off offset:416
	s_wait_loadcnt 0x1
	scratch_store_b64 off, v[0:1], off offset:416
	s_wait_loadcnt 0x0
	scratch_store_b64 v4, v[2:3], off offset:-8
.LBB57_372:
	;; [unrolled: 31-line block ×27, first 2 shown]
	v_mov_b32_e32 v0, 0
	global_load_b32 v1, v0, s[2:3] offset:4
	s_wait_loadcnt 0x0
	v_cmp_eq_u32_e32 vcc_lo, 2, v1
	s_cbranch_vccnz .LBB57_474
; %bb.473:
	v_lshlrev_b32_e32 v1, 3, v1
	s_delay_alu instid0(VALU_DEP_1)
	v_mov_b32_e32 v5, v1
	scratch_load_b64 v[1:2], v5, off offset:-8
	scratch_load_b64 v[3:4], off, off offset:8
	s_wait_loadcnt 0x1
	scratch_store_b64 off, v[1:2], off offset:8
	s_wait_loadcnt 0x0
	scratch_store_b64 v5, v[3:4], off offset:-8
.LBB57_474:
	global_load_b32 v0, v0, s[2:3]
	s_wait_loadcnt 0x0
	v_cmp_eq_u32_e32 vcc_lo, 1, v0
	s_cbranch_vccnz .LBB57_476
; %bb.475:
	v_lshlrev_b32_e32 v0, 3, v0
	s_delay_alu instid0(VALU_DEP_1)
	v_mov_b32_e32 v4, v0
	scratch_load_b64 v[0:1], v4, off offset:-8
	scratch_load_b64 v[2:3], off, off
	s_wait_loadcnt 0x1
	scratch_store_b64 off, v[0:1], off
	s_wait_loadcnt 0x0
	scratch_store_b64 v4, v[2:3], off offset:-8
.LBB57_476:
	s_clause 0x1c
	scratch_load_b128 v[0:3], off, off
	scratch_load_b128 v[4:7], off, off offset:16
	scratch_load_b128 v[8:11], off, off offset:32
	;; [unrolled: 1-line block ×28, first 2 shown]
	s_wait_loadcnt 0x1c
	s_clause 0x1
	global_store_b64 v[32:33], v[0:1], off
	global_store_b64 v[34:35], v[2:3], off
	s_wait_loadcnt 0x1b
	s_clause 0x1
	global_store_b64 v[36:37], v[4:5], off
	global_store_b64 v[38:39], v[6:7], off
	;; [unrolled: 4-line block ×29, first 2 shown]
	s_nop 0
	s_sendmsg sendmsg(MSG_DEALLOC_VGPRS)
	s_endpgm
	.section	.rodata,"a",@progbits
	.p2align	6, 0x0
	.amdhsa_kernel _ZN9rocsolver6v33100L18getri_kernel_smallILi58E19rocblas_complex_numIfEPS3_EEvT1_iilPiilS6_bb
		.amdhsa_group_segment_fixed_size 932
		.amdhsa_private_segment_fixed_size 480
		.amdhsa_kernarg_size 60
		.amdhsa_user_sgpr_count 2
		.amdhsa_user_sgpr_dispatch_ptr 0
		.amdhsa_user_sgpr_queue_ptr 0
		.amdhsa_user_sgpr_kernarg_segment_ptr 1
		.amdhsa_user_sgpr_dispatch_id 0
		.amdhsa_user_sgpr_private_segment_size 0
		.amdhsa_wavefront_size32 1
		.amdhsa_uses_dynamic_stack 0
		.amdhsa_enable_private_segment 1
		.amdhsa_system_sgpr_workgroup_id_x 1
		.amdhsa_system_sgpr_workgroup_id_y 0
		.amdhsa_system_sgpr_workgroup_id_z 0
		.amdhsa_system_sgpr_workgroup_info 0
		.amdhsa_system_vgpr_workitem_id 0
		.amdhsa_next_free_vgpr 250
		.amdhsa_next_free_sgpr 19
		.amdhsa_reserve_vcc 1
		.amdhsa_float_round_mode_32 0
		.amdhsa_float_round_mode_16_64 0
		.amdhsa_float_denorm_mode_32 3
		.amdhsa_float_denorm_mode_16_64 3
		.amdhsa_fp16_overflow 0
		.amdhsa_workgroup_processor_mode 1
		.amdhsa_memory_ordered 1
		.amdhsa_forward_progress 1
		.amdhsa_inst_pref_size 255
		.amdhsa_round_robin_scheduling 0
		.amdhsa_exception_fp_ieee_invalid_op 0
		.amdhsa_exception_fp_denorm_src 0
		.amdhsa_exception_fp_ieee_div_zero 0
		.amdhsa_exception_fp_ieee_overflow 0
		.amdhsa_exception_fp_ieee_underflow 0
		.amdhsa_exception_fp_ieee_inexact 0
		.amdhsa_exception_int_div_zero 0
	.end_amdhsa_kernel
	.section	.text._ZN9rocsolver6v33100L18getri_kernel_smallILi58E19rocblas_complex_numIfEPS3_EEvT1_iilPiilS6_bb,"axG",@progbits,_ZN9rocsolver6v33100L18getri_kernel_smallILi58E19rocblas_complex_numIfEPS3_EEvT1_iilPiilS6_bb,comdat
.Lfunc_end57:
	.size	_ZN9rocsolver6v33100L18getri_kernel_smallILi58E19rocblas_complex_numIfEPS3_EEvT1_iilPiilS6_bb, .Lfunc_end57-_ZN9rocsolver6v33100L18getri_kernel_smallILi58E19rocblas_complex_numIfEPS3_EEvT1_iilPiilS6_bb
                                        ; -- End function
	.set _ZN9rocsolver6v33100L18getri_kernel_smallILi58E19rocblas_complex_numIfEPS3_EEvT1_iilPiilS6_bb.num_vgpr, 250
	.set _ZN9rocsolver6v33100L18getri_kernel_smallILi58E19rocblas_complex_numIfEPS3_EEvT1_iilPiilS6_bb.num_agpr, 0
	.set _ZN9rocsolver6v33100L18getri_kernel_smallILi58E19rocblas_complex_numIfEPS3_EEvT1_iilPiilS6_bb.numbered_sgpr, 19
	.set _ZN9rocsolver6v33100L18getri_kernel_smallILi58E19rocblas_complex_numIfEPS3_EEvT1_iilPiilS6_bb.num_named_barrier, 0
	.set _ZN9rocsolver6v33100L18getri_kernel_smallILi58E19rocblas_complex_numIfEPS3_EEvT1_iilPiilS6_bb.private_seg_size, 480
	.set _ZN9rocsolver6v33100L18getri_kernel_smallILi58E19rocblas_complex_numIfEPS3_EEvT1_iilPiilS6_bb.uses_vcc, 1
	.set _ZN9rocsolver6v33100L18getri_kernel_smallILi58E19rocblas_complex_numIfEPS3_EEvT1_iilPiilS6_bb.uses_flat_scratch, 1
	.set _ZN9rocsolver6v33100L18getri_kernel_smallILi58E19rocblas_complex_numIfEPS3_EEvT1_iilPiilS6_bb.has_dyn_sized_stack, 0
	.set _ZN9rocsolver6v33100L18getri_kernel_smallILi58E19rocblas_complex_numIfEPS3_EEvT1_iilPiilS6_bb.has_recursion, 0
	.set _ZN9rocsolver6v33100L18getri_kernel_smallILi58E19rocblas_complex_numIfEPS3_EEvT1_iilPiilS6_bb.has_indirect_call, 0
	.section	.AMDGPU.csdata,"",@progbits
; Kernel info:
; codeLenInByte = 109536
; TotalNumSgprs: 21
; NumVgprs: 250
; ScratchSize: 480
; MemoryBound: 0
; FloatMode: 240
; IeeeMode: 1
; LDSByteSize: 932 bytes/workgroup (compile time only)
; SGPRBlocks: 0
; VGPRBlocks: 31
; NumSGPRsForWavesPerEU: 21
; NumVGPRsForWavesPerEU: 250
; Occupancy: 5
; WaveLimiterHint : 1
; COMPUTE_PGM_RSRC2:SCRATCH_EN: 1
; COMPUTE_PGM_RSRC2:USER_SGPR: 2
; COMPUTE_PGM_RSRC2:TRAP_HANDLER: 0
; COMPUTE_PGM_RSRC2:TGID_X_EN: 1
; COMPUTE_PGM_RSRC2:TGID_Y_EN: 0
; COMPUTE_PGM_RSRC2:TGID_Z_EN: 0
; COMPUTE_PGM_RSRC2:TIDIG_COMP_CNT: 0
	.section	.text._ZN9rocsolver6v33100L18getri_kernel_smallILi59E19rocblas_complex_numIfEPS3_EEvT1_iilPiilS6_bb,"axG",@progbits,_ZN9rocsolver6v33100L18getri_kernel_smallILi59E19rocblas_complex_numIfEPS3_EEvT1_iilPiilS6_bb,comdat
	.globl	_ZN9rocsolver6v33100L18getri_kernel_smallILi59E19rocblas_complex_numIfEPS3_EEvT1_iilPiilS6_bb ; -- Begin function _ZN9rocsolver6v33100L18getri_kernel_smallILi59E19rocblas_complex_numIfEPS3_EEvT1_iilPiilS6_bb
	.p2align	8
	.type	_ZN9rocsolver6v33100L18getri_kernel_smallILi59E19rocblas_complex_numIfEPS3_EEvT1_iilPiilS6_bb,@function
_ZN9rocsolver6v33100L18getri_kernel_smallILi59E19rocblas_complex_numIfEPS3_EEvT1_iilPiilS6_bb: ; @_ZN9rocsolver6v33100L18getri_kernel_smallILi59E19rocblas_complex_numIfEPS3_EEvT1_iilPiilS6_bb
; %bb.0:
	s_mov_b32 s2, exec_lo
	v_cmpx_gt_u32_e32 59, v0
	s_cbranch_execz .LBB58_250
; %bb.1:
	s_clause 0x2
	s_load_b32 s2, s[0:1], 0x38
	s_load_b128 s[12:15], s[0:1], 0x10
	s_load_b128 s[4:7], s[0:1], 0x28
	s_mov_b32 s16, ttmp9
	s_wait_kmcnt 0x0
	s_bitcmp1_b32 s2, 8
	s_cselect_b32 s18, -1, 0
	s_bfe_u32 s2, s2, 0x10008
	s_ashr_i32 s17, ttmp9, 31
	s_cmp_eq_u32 s2, 0
                                        ; implicit-def: $sgpr2_sgpr3
	s_cbranch_scc1 .LBB58_3
; %bb.2:
	s_load_b32 s2, s[0:1], 0x20
	s_mul_u64 s[4:5], s[4:5], s[16:17]
	s_delay_alu instid0(SALU_CYCLE_1) | instskip(NEXT) | instid1(SALU_CYCLE_1)
	s_lshl_b64 s[4:5], s[4:5], 2
	s_add_nc_u64 s[4:5], s[14:15], s[4:5]
	s_wait_kmcnt 0x0
	s_ashr_i32 s3, s2, 31
	s_delay_alu instid0(SALU_CYCLE_1) | instskip(NEXT) | instid1(SALU_CYCLE_1)
	s_lshl_b64 s[2:3], s[2:3], 2
	s_add_nc_u64 s[2:3], s[4:5], s[2:3]
.LBB58_3:
	s_clause 0x1
	s_load_b128 s[8:11], s[0:1], 0x0
	s_load_b32 s4, s[0:1], 0x38
	s_mul_u64 s[0:1], s[12:13], s[16:17]
	v_lshlrev_b32_e32 v13, 3, v0
	s_lshl_b64 s[0:1], s[0:1], 3
	s_wait_kmcnt 0x0
	v_add3_u32 v3, s11, s11, v0
	s_ashr_i32 s13, s10, 31
	s_mov_b32 s12, s10
	s_add_nc_u64 s[0:1], s[8:9], s[0:1]
	s_lshl_b64 s[12:13], s[12:13], 3
	v_add_nc_u32_e32 v5, s11, v3
	v_ashrrev_i32_e32 v4, 31, v3
	s_add_nc_u64 s[0:1], s[0:1], s[12:13]
	s_ashr_i32 s9, s11, 31
	v_add_co_u32 v33, s5, s0, v13
	v_add_nc_u32_e32 v7, s11, v5
	s_mov_b32 s8, s11
	v_lshlrev_b64_e32 v[3:4], 3, v[3:4]
	v_add_co_ci_u32_e64 v34, null, s1, 0, s5
	s_delay_alu instid0(VALU_DEP_3) | instskip(SKIP_3) | instid1(VALU_DEP_1)
	v_add_nc_u32_e32 v9, s11, v7
	s_lshl_b64 s[8:9], s[8:9], 3
	v_ashrrev_i32_e32 v6, 31, v5
	v_add_co_u32 v35, vcc_lo, v33, s8
	v_add_co_ci_u32_e64 v36, null, s9, v34, vcc_lo
	v_add_co_u32 v37, vcc_lo, s0, v3
	v_add_nc_u32_e32 v3, s11, v9
	v_lshlrev_b64_e32 v[5:6], 3, v[5:6]
	v_ashrrev_i32_e32 v8, 31, v7
	v_ashrrev_i32_e32 v10, 31, v9
	s_wait_alu 0xfffd
	v_add_co_ci_u32_e64 v38, null, s1, v4, vcc_lo
	v_add_nc_u32_e32 v11, s11, v3
	v_ashrrev_i32_e32 v4, 31, v3
	v_lshlrev_b64_e32 v[7:8], 3, v[7:8]
	v_add_co_u32 v39, vcc_lo, s0, v5
	s_wait_alu 0xfffd
	v_add_co_ci_u32_e64 v40, null, s1, v6, vcc_lo
	v_lshlrev_b64_e32 v[5:6], 3, v[9:10]
	v_add_nc_u32_e32 v16, s11, v11
	v_lshlrev_b64_e32 v[14:15], 3, v[3:4]
	v_ashrrev_i32_e32 v12, 31, v11
	v_add_co_u32 v41, vcc_lo, s0, v7
	s_delay_alu instid0(VALU_DEP_4)
	v_ashrrev_i32_e32 v17, 31, v16
	v_add_nc_u32_e32 v18, s11, v16
	s_wait_alu 0xfffd
	v_add_co_ci_u32_e64 v42, null, s1, v8, vcc_lo
	v_add_co_u32 v43, vcc_lo, s0, v5
	v_lshlrev_b64_e32 v[11:12], 3, v[11:12]
	s_wait_alu 0xfffd
	v_add_co_ci_u32_e64 v44, null, s1, v6, vcc_lo
	v_add_co_u32 v45, vcc_lo, s0, v14
	s_wait_alu 0xfffd
	v_add_co_ci_u32_e64 v46, null, s1, v15, vcc_lo
	v_lshlrev_b64_e32 v[14:15], 3, v[16:17]
	v_ashrrev_i32_e32 v19, 31, v18
	v_add_nc_u32_e32 v16, s11, v18
	v_add_co_u32 v47, vcc_lo, s0, v11
	s_wait_alu 0xfffd
	v_add_co_ci_u32_e64 v48, null, s1, v12, vcc_lo
	v_lshlrev_b64_e32 v[11:12], 3, v[18:19]
	v_ashrrev_i32_e32 v17, 31, v16
	v_add_nc_u32_e32 v18, s11, v16
	;; [unrolled: 6-line block ×24, first 2 shown]
	v_add_co_u32 v93, vcc_lo, s0, v14
	s_wait_alu 0xfffd
	v_add_co_ci_u32_e64 v94, null, s1, v15, vcc_lo
	v_lshlrev_b64_e32 v[14:15], 3, v[16:17]
	v_add_nc_u32_e32 v16, s11, v18
	v_ashrrev_i32_e32 v19, 31, v18
	v_add_co_u32 v95, vcc_lo, s0, v11
	s_wait_alu 0xfffd
	v_add_co_ci_u32_e64 v96, null, s1, v12, vcc_lo
	v_add_nc_u32_e32 v30, s11, v16
	v_lshlrev_b64_e32 v[11:12], 3, v[18:19]
	v_add_co_u32 v97, vcc_lo, s0, v14
	s_wait_alu 0xfffd
	v_add_co_ci_u32_e64 v98, null, s1, v15, vcc_lo
	v_ashrrev_i32_e32 v31, 31, v30
	s_delay_alu instid0(VALU_DEP_4) | instskip(SKIP_2) | instid1(VALU_DEP_3)
	v_add_co_u32 v99, vcc_lo, s0, v11
	s_wait_alu 0xfffd
	v_add_co_ci_u32_e64 v100, null, s1, v12, vcc_lo
	v_lshlrev_b64_e32 v[11:12], 3, v[30:31]
	v_add_nc_u32_e32 v30, s11, v30
	v_ashrrev_i32_e32 v17, 31, v16
	s_clause 0x4
	global_load_b64 v[1:2], v13, s[0:1]
	global_load_b64 v[3:4], v[35:36], off
	global_load_b64 v[5:6], v[37:38], off
	;; [unrolled: 1-line block ×4, first 2 shown]
	s_bitcmp0_b32 s4, 0
	v_add_nc_u32_e32 v107, s11, v30
	v_ashrrev_i32_e32 v31, 31, v30
	v_lshlrev_b64_e32 v[14:15], 3, v[16:17]
	s_delay_alu instid0(VALU_DEP_3) | instskip(NEXT) | instid1(VALU_DEP_3)
	v_add_nc_u32_e32 v109, s11, v107
	v_lshlrev_b64_e32 v[30:31], 3, v[30:31]
	v_ashrrev_i32_e32 v108, 31, v107
	s_delay_alu instid0(VALU_DEP_4)
	v_add_co_u32 v101, vcc_lo, s0, v14
	s_wait_alu 0xfffd
	v_add_co_ci_u32_e64 v102, null, s1, v15, vcc_lo
	v_add_co_u32 v103, vcc_lo, s0, v11
	v_add_nc_u32_e32 v111, s11, v109
	s_wait_alu 0xfffd
	v_add_co_ci_u32_e64 v104, null, s1, v12, vcc_lo
	v_add_co_u32 v105, vcc_lo, s0, v30
	s_wait_alu 0xfffd
	v_add_co_ci_u32_e64 v106, null, s1, v31, vcc_lo
	v_lshlrev_b64_e32 v[30:31], 3, v[107:108]
	v_ashrrev_i32_e32 v110, 31, v109
	v_add_nc_u32_e32 v113, s11, v111
	v_ashrrev_i32_e32 v112, 31, v111
	s_clause 0x13
	global_load_b64 v[11:12], v[43:44], off
	global_load_b64 v[14:15], v[45:46], off
	;; [unrolled: 1-line block ×20, first 2 shown]
	v_lshlrev_b64_e32 v[109:110], 3, v[109:110]
	v_add_co_u32 v107, vcc_lo, s0, v30
	v_ashrrev_i32_e32 v114, 31, v113
	s_wait_alu 0xfffd
	v_add_co_ci_u32_e64 v108, null, s1, v31, vcc_lo
	v_lshlrev_b64_e32 v[30:31], 3, v[111:112]
	v_add_nc_u32_e32 v116, s11, v113
	v_lshlrev_b64_e32 v[114:115], 3, v[113:114]
	v_add_co_u32 v109, vcc_lo, s0, v109
	s_wait_alu 0xfffd
	v_add_co_ci_u32_e64 v110, null, s1, v110, vcc_lo
	v_add_co_u32 v111, vcc_lo, s0, v30
	v_ashrrev_i32_e32 v117, 31, v116
	v_add_nc_u32_e32 v30, s11, v116
	s_wait_alu 0xfffd
	v_add_co_ci_u32_e64 v112, null, s1, v31, vcc_lo
	v_add_co_u32 v113, vcc_lo, s0, v114
	s_wait_alu 0xfffd
	v_add_co_ci_u32_e64 v114, null, s1, v115, vcc_lo
	v_lshlrev_b64_e32 v[115:116], 3, v[116:117]
	v_add_nc_u32_e32 v117, s11, v30
	v_ashrrev_i32_e32 v31, 31, v30
	s_clause 0xb
	global_load_b64 v[173:174], v[83:84], off
	global_load_b64 v[175:176], v[85:86], off
	;; [unrolled: 1-line block ×12, first 2 shown]
	v_add_nc_u32_e32 v119, s11, v117
	v_lshlrev_b64_e32 v[30:31], 3, v[30:31]
	v_ashrrev_i32_e32 v118, 31, v117
	v_add_co_u32 v115, vcc_lo, s0, v115
	s_delay_alu instid0(VALU_DEP_4)
	v_add_nc_u32_e32 v123, s11, v119
	v_ashrrev_i32_e32 v120, 31, v119
	s_wait_alu 0xfffd
	v_add_co_ci_u32_e64 v116, null, s1, v116, vcc_lo
	v_lshlrev_b64_e32 v[121:122], 3, v[117:118]
	v_add_co_u32 v117, vcc_lo, s0, v30
	v_add_nc_u32_e32 v125, s11, v123
	s_wait_alu 0xfffd
	v_add_co_ci_u32_e64 v118, null, s1, v31, vcc_lo
	v_lshlrev_b64_e32 v[30:31], 3, v[119:120]
	v_ashrrev_i32_e32 v124, 31, v123
	v_add_co_u32 v119, vcc_lo, s0, v121
	v_add_nc_u32_e32 v127, s11, v125
	s_wait_alu 0xfffd
	v_add_co_ci_u32_e64 v120, null, s1, v122, vcc_lo
	v_add_co_u32 v121, vcc_lo, s0, v30
	s_wait_alu 0xfffd
	v_add_co_ci_u32_e64 v122, null, s1, v31, vcc_lo
	v_lshlrev_b64_e32 v[30:31], 3, v[123:124]
	v_ashrrev_i32_e32 v126, 31, v125
	v_add_nc_u32_e32 v129, s11, v127
	v_ashrrev_i32_e32 v128, 31, v127
	s_clause 0x7
	global_load_b64 v[197:198], v[107:108], off
	global_load_b64 v[199:200], v[109:110], off
	;; [unrolled: 1-line block ×8, first 2 shown]
	v_lshlrev_b64_e32 v[125:126], 3, v[125:126]
	v_add_co_u32 v123, vcc_lo, s0, v30
	v_ashrrev_i32_e32 v130, 31, v129
	s_wait_alu 0xfffd
	v_add_co_ci_u32_e64 v124, null, s1, v31, vcc_lo
	v_lshlrev_b64_e32 v[30:31], 3, v[127:128]
	v_add_nc_u32_e32 v132, s11, v129
	v_lshlrev_b64_e32 v[130:131], 3, v[129:130]
	v_add_co_u32 v125, vcc_lo, s0, v125
	s_wait_alu 0xfffd
	v_add_co_ci_u32_e64 v126, null, s1, v126, vcc_lo
	v_add_co_u32 v127, vcc_lo, s0, v30
	v_ashrrev_i32_e32 v133, 31, v132
	v_add_nc_u32_e32 v30, s11, v132
	s_wait_alu 0xfffd
	v_add_co_ci_u32_e64 v128, null, s1, v31, vcc_lo
	v_add_co_u32 v129, vcc_lo, s0, v130
	s_wait_alu 0xfffd
	v_add_co_ci_u32_e64 v130, null, s1, v131, vcc_lo
	v_lshlrev_b64_e32 v[131:132], 3, v[132:133]
	v_add_nc_u32_e32 v133, s11, v30
	v_ashrrev_i32_e32 v31, 31, v30
	s_clause 0x3
	global_load_b64 v[213:214], v[123:124], off
	global_load_b64 v[215:216], v[125:126], off
	;; [unrolled: 1-line block ×4, first 2 shown]
	v_add_nc_u32_e32 v135, s11, v133
	v_lshlrev_b64_e32 v[30:31], 3, v[30:31]
	v_ashrrev_i32_e32 v134, 31, v133
	v_add_co_u32 v131, vcc_lo, s0, v131
	s_delay_alu instid0(VALU_DEP_4)
	v_add_nc_u32_e32 v139, s11, v135
	v_ashrrev_i32_e32 v136, 31, v135
	s_wait_alu 0xfffd
	v_add_co_ci_u32_e64 v132, null, s1, v132, vcc_lo
	v_lshlrev_b64_e32 v[137:138], 3, v[133:134]
	v_add_nc_u32_e32 v141, s11, v139
	v_add_co_u32 v133, vcc_lo, s0, v30
	s_wait_alu 0xfffd
	v_add_co_ci_u32_e64 v134, null, s1, v31, vcc_lo
	v_lshlrev_b64_e32 v[30:31], 3, v[135:136]
	v_add_nc_u32_e32 v143, s11, v141
	v_ashrrev_i32_e32 v140, 31, v139
	v_add_co_u32 v135, vcc_lo, s0, v137
	s_wait_alu 0xfffd
	v_add_co_ci_u32_e64 v136, null, s1, v138, vcc_lo
	v_add_co_u32 v137, vcc_lo, s0, v30
	v_add_nc_u32_e32 v145, s11, v143
	s_wait_alu 0xfffd
	v_add_co_ci_u32_e64 v138, null, s1, v31, vcc_lo
	v_lshlrev_b64_e32 v[30:31], 3, v[139:140]
	v_ashrrev_i32_e32 v142, 31, v141
	v_ashrrev_i32_e32 v144, 31, v143
	v_add_nc_u32_e32 v147, s11, v145
	v_ashrrev_i32_e32 v146, 31, v145
	s_clause 0x3
	global_load_b64 v[221:222], v[131:132], off
	global_load_b64 v[223:224], v[133:134], off
	;; [unrolled: 1-line block ×4, first 2 shown]
	v_lshlrev_b64_e32 v[141:142], 3, v[141:142]
	v_add_co_u32 v139, vcc_lo, s0, v30
	s_wait_alu 0xfffd
	v_add_co_ci_u32_e64 v140, null, s1, v31, vcc_lo
	v_lshlrev_b64_e32 v[30:31], 3, v[143:144]
	v_add_nc_u32_e32 v149, s11, v147
	v_ashrrev_i32_e32 v148, 31, v147
	v_add_co_u32 v141, vcc_lo, s0, v141
	s_wait_alu 0xfffd
	v_add_co_ci_u32_e64 v142, null, s1, v142, vcc_lo
	v_ashrrev_i32_e32 v150, 31, v149
	v_lshlrev_b64_e32 v[145:146], 3, v[145:146]
	v_add_co_u32 v143, vcc_lo, s0, v30
	s_wait_alu 0xfffd
	v_add_co_ci_u32_e64 v144, null, s1, v31, vcc_lo
	v_lshlrev_b64_e32 v[30:31], 3, v[147:148]
	v_lshlrev_b64_e32 v[149:150], 3, v[149:150]
	v_add_co_u32 v145, vcc_lo, s0, v145
	s_wait_alu 0xfffd
	v_add_co_ci_u32_e64 v146, null, s1, v146, vcc_lo
	s_delay_alu instid0(VALU_DEP_4)
	v_add_co_u32 v147, vcc_lo, s0, v30
	s_wait_alu 0xfffd
	v_add_co_ci_u32_e64 v148, null, s1, v31, vcc_lo
	v_add_co_u32 v149, vcc_lo, s0, v149
	s_wait_alu 0xfffd
	v_add_co_ci_u32_e64 v150, null, s1, v150, vcc_lo
	s_clause 0x5
	global_load_b64 v[229:230], v[139:140], off
	global_load_b64 v[231:232], v[141:142], off
	;; [unrolled: 1-line block ×6, first 2 shown]
	s_mov_b32 s1, -1
	s_wait_loadcnt 0x39
	scratch_store_b128 off, v[1:4], off
	s_wait_loadcnt 0x37
	scratch_store_b128 off, v[5:8], off offset:16
	s_wait_loadcnt 0x35
	scratch_store_b128 off, v[9:12], off offset:32
	;; [unrolled: 2-line block ×28, first 2 shown]
	s_wait_loadcnt 0x0
	scratch_store_b64 off, v[30:31], off offset:464
	s_cbranch_scc1 .LBB58_248
; %bb.4:
	v_cmp_eq_u32_e64 s0, 0, v0
	s_and_saveexec_b32 s1, s0
; %bb.5:
	v_mov_b32_e32 v1, 0
	ds_store_b32 v1, v1 offset:472
; %bb.6:
	s_wait_alu 0xfffe
	s_or_b32 exec_lo, exec_lo, s1
	s_wait_storecnt_dscnt 0x0
	s_barrier_signal -1
	s_barrier_wait -1
	global_inv scope:SCOPE_SE
	scratch_load_b64 v[1:2], v13, off
	s_wait_loadcnt 0x0
	v_cmp_eq_f32_e32 vcc_lo, 0, v1
	v_cmp_eq_f32_e64 s1, 0, v2
	s_and_b32 s1, vcc_lo, s1
	s_wait_alu 0xfffe
	s_and_saveexec_b32 s4, s1
	s_cbranch_execz .LBB58_10
; %bb.7:
	v_mov_b32_e32 v1, 0
	s_mov_b32 s5, 0
	ds_load_b32 v2, v1 offset:472
	s_wait_dscnt 0x0
	v_readfirstlane_b32 s1, v2
	v_add_nc_u32_e32 v2, 1, v0
	s_cmp_eq_u32 s1, 0
	s_delay_alu instid0(VALU_DEP_1)
	v_cmp_gt_i32_e32 vcc_lo, s1, v2
	s_cselect_b32 s8, -1, 0
	s_wait_alu 0xfffe
	s_or_b32 s8, s8, vcc_lo
	s_wait_alu 0xfffe
	s_and_b32 exec_lo, exec_lo, s8
	s_cbranch_execz .LBB58_10
; %bb.8:
	v_mov_b32_e32 v3, s1
.LBB58_9:                               ; =>This Inner Loop Header: Depth=1
	ds_cmpstore_rtn_b32 v3, v1, v2, v3 offset:472
	s_wait_dscnt 0x0
	v_cmp_ne_u32_e32 vcc_lo, 0, v3
	v_cmp_le_i32_e64 s1, v3, v2
	s_and_b32 s1, vcc_lo, s1
	s_wait_alu 0xfffe
	s_and_b32 s1, exec_lo, s1
	s_wait_alu 0xfffe
	s_or_b32 s5, s1, s5
	s_wait_alu 0xfffe
	s_and_not1_b32 exec_lo, exec_lo, s5
	s_cbranch_execnz .LBB58_9
.LBB58_10:
	s_wait_alu 0xfffe
	s_or_b32 exec_lo, exec_lo, s4
	v_mov_b32_e32 v1, 0
	s_barrier_signal -1
	s_barrier_wait -1
	global_inv scope:SCOPE_SE
	ds_load_b32 v2, v1 offset:472
	s_and_saveexec_b32 s1, s0
	s_cbranch_execz .LBB58_12
; %bb.11:
	s_lshl_b64 s[4:5], s[16:17], 2
	s_wait_alu 0xfffe
	s_add_nc_u64 s[4:5], s[6:7], s[4:5]
	s_wait_dscnt 0x0
	global_store_b32 v1, v2, s[4:5]
.LBB58_12:
	s_wait_alu 0xfffe
	s_or_b32 exec_lo, exec_lo, s1
	s_wait_dscnt 0x0
	v_cmp_ne_u32_e32 vcc_lo, 0, v2
	s_mov_b32 s1, 0
	s_cbranch_vccnz .LBB58_248
; %bb.13:
	v_mov_b32_e32 v7, v13
                                        ; implicit-def: $vgpr3
                                        ; implicit-def: $vgpr5
	scratch_load_b64 v[1:2], v7, off
	s_wait_loadcnt 0x0
	v_cmp_ngt_f32_e64 s1, |v1|, |v2|
	s_wait_alu 0xfffe
	s_and_saveexec_b32 s4, s1
	s_wait_alu 0xfffe
	s_xor_b32 s1, exec_lo, s4
	s_cbranch_execz .LBB58_15
; %bb.14:
	v_div_scale_f32 v3, null, v2, v2, v1
	v_div_scale_f32 v6, vcc_lo, v1, v2, v1
	s_delay_alu instid0(VALU_DEP_2) | instskip(NEXT) | instid1(TRANS32_DEP_1)
	v_rcp_f32_e32 v4, v3
	v_fma_f32 v5, -v3, v4, 1.0
	s_delay_alu instid0(VALU_DEP_1) | instskip(NEXT) | instid1(VALU_DEP_1)
	v_fmac_f32_e32 v4, v5, v4
	v_mul_f32_e32 v5, v6, v4
	s_delay_alu instid0(VALU_DEP_1) | instskip(NEXT) | instid1(VALU_DEP_1)
	v_fma_f32 v8, -v3, v5, v6
	v_fmac_f32_e32 v5, v8, v4
	s_delay_alu instid0(VALU_DEP_1) | instskip(SKIP_1) | instid1(VALU_DEP_1)
	v_fma_f32 v3, -v3, v5, v6
	s_wait_alu 0xfffd
	v_div_fmas_f32 v3, v3, v4, v5
	s_delay_alu instid0(VALU_DEP_1) | instskip(NEXT) | instid1(VALU_DEP_1)
	v_div_fixup_f32 v3, v3, v2, v1
	v_fmac_f32_e32 v2, v1, v3
	s_delay_alu instid0(VALU_DEP_1) | instskip(NEXT) | instid1(VALU_DEP_1)
	v_div_scale_f32 v1, null, v2, v2, 1.0
	v_rcp_f32_e32 v4, v1
	s_delay_alu instid0(TRANS32_DEP_1) | instskip(NEXT) | instid1(VALU_DEP_1)
	v_fma_f32 v5, -v1, v4, 1.0
	v_fmac_f32_e32 v4, v5, v4
	v_div_scale_f32 v5, vcc_lo, 1.0, v2, 1.0
	s_delay_alu instid0(VALU_DEP_1) | instskip(NEXT) | instid1(VALU_DEP_1)
	v_mul_f32_e32 v6, v5, v4
	v_fma_f32 v8, -v1, v6, v5
	s_delay_alu instid0(VALU_DEP_1) | instskip(NEXT) | instid1(VALU_DEP_1)
	v_fmac_f32_e32 v6, v8, v4
	v_fma_f32 v1, -v1, v6, v5
	s_wait_alu 0xfffd
	s_delay_alu instid0(VALU_DEP_1) | instskip(NEXT) | instid1(VALU_DEP_1)
	v_div_fmas_f32 v1, v1, v4, v6
	v_div_fixup_f32 v1, v1, v2, 1.0
	s_delay_alu instid0(VALU_DEP_1) | instskip(SKIP_1) | instid1(VALU_DEP_2)
	v_mul_f32_e32 v3, v3, v1
	v_xor_b32_e32 v4, 0x80000000, v1
                                        ; implicit-def: $vgpr1_vgpr2
	v_xor_b32_e32 v5, 0x80000000, v3
.LBB58_15:
	s_wait_alu 0xfffe
	s_and_not1_saveexec_b32 s1, s1
	s_cbranch_execz .LBB58_17
; %bb.16:
	v_div_scale_f32 v3, null, v1, v1, v2
	v_div_scale_f32 v6, vcc_lo, v2, v1, v2
	s_delay_alu instid0(VALU_DEP_2) | instskip(NEXT) | instid1(TRANS32_DEP_1)
	v_rcp_f32_e32 v4, v3
	v_fma_f32 v5, -v3, v4, 1.0
	s_delay_alu instid0(VALU_DEP_1) | instskip(NEXT) | instid1(VALU_DEP_1)
	v_fmac_f32_e32 v4, v5, v4
	v_mul_f32_e32 v5, v6, v4
	s_delay_alu instid0(VALU_DEP_1) | instskip(NEXT) | instid1(VALU_DEP_1)
	v_fma_f32 v8, -v3, v5, v6
	v_fmac_f32_e32 v5, v8, v4
	s_delay_alu instid0(VALU_DEP_1) | instskip(SKIP_1) | instid1(VALU_DEP_1)
	v_fma_f32 v3, -v3, v5, v6
	s_wait_alu 0xfffd
	v_div_fmas_f32 v3, v3, v4, v5
	s_delay_alu instid0(VALU_DEP_1) | instskip(NEXT) | instid1(VALU_DEP_1)
	v_div_fixup_f32 v4, v3, v1, v2
	v_fmac_f32_e32 v1, v2, v4
	s_delay_alu instid0(VALU_DEP_1) | instskip(SKIP_1) | instid1(VALU_DEP_2)
	v_div_scale_f32 v2, null, v1, v1, 1.0
	v_div_scale_f32 v6, vcc_lo, 1.0, v1, 1.0
	v_rcp_f32_e32 v3, v2
	s_delay_alu instid0(TRANS32_DEP_1) | instskip(NEXT) | instid1(VALU_DEP_1)
	v_fma_f32 v5, -v2, v3, 1.0
	v_fmac_f32_e32 v3, v5, v3
	s_delay_alu instid0(VALU_DEP_1) | instskip(NEXT) | instid1(VALU_DEP_1)
	v_mul_f32_e32 v5, v6, v3
	v_fma_f32 v8, -v2, v5, v6
	s_delay_alu instid0(VALU_DEP_1) | instskip(NEXT) | instid1(VALU_DEP_1)
	v_fmac_f32_e32 v5, v8, v3
	v_fma_f32 v2, -v2, v5, v6
	s_wait_alu 0xfffd
	s_delay_alu instid0(VALU_DEP_1) | instskip(NEXT) | instid1(VALU_DEP_1)
	v_div_fmas_f32 v2, v2, v3, v5
	v_div_fixup_f32 v3, v2, v1, 1.0
	s_delay_alu instid0(VALU_DEP_1)
	v_xor_b32_e32 v5, 0x80000000, v3
	v_mul_f32_e64 v4, v4, -v3
.LBB58_17:
	s_wait_alu 0xfffe
	s_or_b32 exec_lo, exec_lo, s1
	scratch_store_b64 v7, v[3:4], off
	scratch_load_b64 v[2:3], off, off offset:8
	v_xor_b32_e32 v6, 0x80000000, v4
	v_add_nc_u32_e32 v1, 0x1e0, v13
	s_wait_loadcnt 0x0
	ds_store_2addr_b64 v13, v[5:6], v[2:3] offset1:60
	s_wait_storecnt_dscnt 0x0
	s_barrier_signal -1
	s_barrier_wait -1
	global_inv scope:SCOPE_SE
	s_and_saveexec_b32 s1, s0
	s_cbranch_execz .LBB58_19
; %bb.18:
	scratch_load_b64 v[2:3], v7, off
	ds_load_b64 v[4:5], v1
	v_mov_b32_e32 v6, 0
	ds_load_b64 v[8:9], v6 offset:8
	s_wait_loadcnt_dscnt 0x1
	v_mul_f32_e32 v6, v4, v3
	v_mul_f32_e32 v3, v5, v3
	s_delay_alu instid0(VALU_DEP_2) | instskip(NEXT) | instid1(VALU_DEP_2)
	v_fmac_f32_e32 v6, v5, v2
	v_fma_f32 v2, v4, v2, -v3
	s_delay_alu instid0(VALU_DEP_2) | instskip(SKIP_1) | instid1(VALU_DEP_1)
	v_add_f32_e32 v4, 0, v6
	s_wait_dscnt 0x0
	v_dual_add_f32 v2, 0, v2 :: v_dual_mul_f32 v5, v4, v9
	s_delay_alu instid0(VALU_DEP_1) | instskip(NEXT) | instid1(VALU_DEP_1)
	v_mul_f32_e32 v3, v2, v9
	v_fmac_f32_e32 v3, v4, v8
	s_delay_alu instid0(VALU_DEP_3)
	v_fma_f32 v2, v2, v8, -v5
	scratch_store_b64 off, v[2:3], off offset:8
.LBB58_19:
	s_wait_alu 0xfffe
	s_or_b32 exec_lo, exec_lo, s1
	s_wait_loadcnt 0x0
	s_wait_storecnt 0x0
	s_barrier_signal -1
	s_barrier_wait -1
	global_inv scope:SCOPE_SE
	scratch_load_b64 v[2:3], off, off offset:16
	s_mov_b32 s1, exec_lo
	s_wait_loadcnt 0x0
	ds_store_b64 v1, v[2:3]
	s_wait_dscnt 0x0
	s_barrier_signal -1
	s_barrier_wait -1
	global_inv scope:SCOPE_SE
	v_cmpx_gt_u32_e32 2, v0
	s_cbranch_execz .LBB58_23
; %bb.20:
	scratch_load_b64 v[2:3], v7, off
	ds_load_b64 v[4:5], v1
	s_wait_loadcnt_dscnt 0x0
	v_mul_f32_e32 v6, v5, v3
	v_mul_f32_e32 v8, v4, v3
	s_delay_alu instid0(VALU_DEP_2) | instskip(NEXT) | instid1(VALU_DEP_1)
	v_fma_f32 v3, v4, v2, -v6
	v_dual_fmac_f32 v8, v5, v2 :: v_dual_add_f32 v3, 0, v3
	s_delay_alu instid0(VALU_DEP_1)
	v_add_f32_e32 v2, 0, v8
	s_and_saveexec_b32 s4, s0
	s_cbranch_execz .LBB58_22
; %bb.21:
	scratch_load_b64 v[4:5], off, off offset:8
	v_mov_b32_e32 v6, 0
	ds_load_b64 v[8:9], v6 offset:488
	s_wait_loadcnt_dscnt 0x0
	v_mul_f32_e32 v6, v8, v5
	v_mul_f32_e32 v5, v9, v5
	s_delay_alu instid0(VALU_DEP_2) | instskip(NEXT) | instid1(VALU_DEP_2)
	v_fmac_f32_e32 v6, v9, v4
	v_fma_f32 v4, v8, v4, -v5
	s_delay_alu instid0(VALU_DEP_1)
	v_dual_add_f32 v2, v2, v6 :: v_dual_add_f32 v3, v3, v4
.LBB58_22:
	s_wait_alu 0xfffe
	s_or_b32 exec_lo, exec_lo, s4
	v_mov_b32_e32 v4, 0
	ds_load_b64 v[4:5], v4 offset:16
	s_wait_dscnt 0x0
	v_mul_f32_e32 v8, v2, v5
	v_mul_f32_e32 v6, v3, v5
	s_delay_alu instid0(VALU_DEP_2) | instskip(NEXT) | instid1(VALU_DEP_2)
	v_fma_f32 v5, v3, v4, -v8
	v_fmac_f32_e32 v6, v2, v4
	scratch_store_b64 off, v[5:6], off offset:16
.LBB58_23:
	s_wait_alu 0xfffe
	s_or_b32 exec_lo, exec_lo, s1
	s_wait_loadcnt 0x0
	s_wait_storecnt 0x0
	s_barrier_signal -1
	s_barrier_wait -1
	global_inv scope:SCOPE_SE
	scratch_load_b64 v[3:4], off, off offset:24
	v_add_nc_u32_e32 v2, -1, v0
	s_mov_b32 s0, exec_lo
	s_wait_loadcnt 0x0
	ds_store_b64 v1, v[3:4]
	s_wait_dscnt 0x0
	s_barrier_signal -1
	s_barrier_wait -1
	global_inv scope:SCOPE_SE
	v_cmpx_gt_u32_e32 3, v0
	s_cbranch_execz .LBB58_27
; %bb.24:
	v_dual_mov_b32 v3, 0 :: v_dual_add_nc_u32 v4, -1, v0
	v_dual_mov_b32 v6, v13 :: v_dual_add_nc_u32 v5, 0x1e0, v13
	v_mov_b32_e32 v8, 0
	s_mov_b32 s1, 0
.LBB58_25:                              ; =>This Inner Loop Header: Depth=1
	scratch_load_b64 v[9:10], v6, off
	ds_load_b64 v[11:12], v5
	v_add_nc_u32_e32 v6, 8, v6
	s_wait_loadcnt_dscnt 0x0
	v_dual_mul_f32 v14, v12, v10 :: v_dual_add_nc_u32 v5, 8, v5
	v_mul_f32_e32 v10, v11, v10
	s_delay_alu instid0(VALU_DEP_2) | instskip(NEXT) | instid1(VALU_DEP_2)
	v_fma_f32 v11, v11, v9, -v14
	v_fmac_f32_e32 v10, v12, v9
	v_add_nc_u32_e32 v4, 1, v4
	s_delay_alu instid0(VALU_DEP_2) | instskip(NEXT) | instid1(VALU_DEP_2)
	v_dual_add_f32 v8, v8, v11 :: v_dual_add_f32 v3, v3, v10
	v_cmp_lt_u32_e32 vcc_lo, 1, v4
	s_wait_alu 0xfffe
	s_or_b32 s1, vcc_lo, s1
	s_wait_alu 0xfffe
	s_and_not1_b32 exec_lo, exec_lo, s1
	s_cbranch_execnz .LBB58_25
; %bb.26:
	s_or_b32 exec_lo, exec_lo, s1
	v_mov_b32_e32 v4, 0
	ds_load_b64 v[4:5], v4 offset:24
	s_wait_dscnt 0x0
	v_mul_f32_e32 v9, v3, v5
	v_mul_f32_e32 v6, v8, v5
	s_delay_alu instid0(VALU_DEP_2) | instskip(NEXT) | instid1(VALU_DEP_2)
	v_fma_f32 v5, v8, v4, -v9
	v_fmac_f32_e32 v6, v3, v4
	scratch_store_b64 off, v[5:6], off offset:24
.LBB58_27:
	s_wait_alu 0xfffe
	s_or_b32 exec_lo, exec_lo, s0
	s_wait_loadcnt 0x0
	s_wait_storecnt 0x0
	s_barrier_signal -1
	s_barrier_wait -1
	global_inv scope:SCOPE_SE
	scratch_load_b64 v[3:4], off, off offset:32
	s_mov_b32 s0, exec_lo
	s_wait_loadcnt 0x0
	ds_store_b64 v1, v[3:4]
	s_wait_dscnt 0x0
	s_barrier_signal -1
	s_barrier_wait -1
	global_inv scope:SCOPE_SE
	v_cmpx_gt_u32_e32 4, v0
	s_cbranch_execz .LBB58_31
; %bb.28:
	v_dual_mov_b32 v3, 0 :: v_dual_add_nc_u32 v4, -1, v0
	v_dual_mov_b32 v6, v13 :: v_dual_add_nc_u32 v5, 0x1e0, v13
	v_mov_b32_e32 v8, 0
	s_mov_b32 s1, 0
.LBB58_29:                              ; =>This Inner Loop Header: Depth=1
	scratch_load_b64 v[9:10], v6, off
	ds_load_b64 v[11:12], v5
	v_add_nc_u32_e32 v6, 8, v6
	s_wait_loadcnt_dscnt 0x0
	v_dual_mul_f32 v14, v12, v10 :: v_dual_add_nc_u32 v5, 8, v5
	v_mul_f32_e32 v10, v11, v10
	s_delay_alu instid0(VALU_DEP_2) | instskip(NEXT) | instid1(VALU_DEP_2)
	v_fma_f32 v11, v11, v9, -v14
	v_fmac_f32_e32 v10, v12, v9
	v_add_nc_u32_e32 v4, 1, v4
	s_delay_alu instid0(VALU_DEP_2) | instskip(NEXT) | instid1(VALU_DEP_2)
	v_dual_add_f32 v8, v8, v11 :: v_dual_add_f32 v3, v3, v10
	v_cmp_lt_u32_e32 vcc_lo, 2, v4
	s_wait_alu 0xfffe
	s_or_b32 s1, vcc_lo, s1
	s_wait_alu 0xfffe
	s_and_not1_b32 exec_lo, exec_lo, s1
	s_cbranch_execnz .LBB58_29
; %bb.30:
	s_or_b32 exec_lo, exec_lo, s1
	v_mov_b32_e32 v4, 0
	ds_load_b64 v[4:5], v4 offset:32
	s_wait_dscnt 0x0
	v_mul_f32_e32 v9, v3, v5
	v_mul_f32_e32 v6, v8, v5
	s_delay_alu instid0(VALU_DEP_2) | instskip(NEXT) | instid1(VALU_DEP_2)
	v_fma_f32 v5, v8, v4, -v9
	v_fmac_f32_e32 v6, v3, v4
	scratch_store_b64 off, v[5:6], off offset:32
.LBB58_31:
	s_wait_alu 0xfffe
	s_or_b32 exec_lo, exec_lo, s0
	s_wait_loadcnt 0x0
	s_wait_storecnt 0x0
	s_barrier_signal -1
	s_barrier_wait -1
	global_inv scope:SCOPE_SE
	scratch_load_b64 v[3:4], off, off offset:40
	;; [unrolled: 53-line block ×19, first 2 shown]
	s_mov_b32 s0, exec_lo
	s_wait_loadcnt 0x0
	ds_store_b64 v1, v[3:4]
	s_wait_dscnt 0x0
	s_barrier_signal -1
	s_barrier_wait -1
	global_inv scope:SCOPE_SE
	v_cmpx_gt_u32_e32 22, v0
	s_cbranch_execz .LBB58_103
; %bb.100:
	v_dual_mov_b32 v3, 0 :: v_dual_add_nc_u32 v4, -1, v0
	v_dual_mov_b32 v6, v13 :: v_dual_add_nc_u32 v5, 0x1e0, v13
	v_mov_b32_e32 v8, 0
	s_mov_b32 s1, 0
.LBB58_101:                             ; =>This Inner Loop Header: Depth=1
	scratch_load_b64 v[9:10], v6, off
	ds_load_b64 v[11:12], v5
	v_add_nc_u32_e32 v6, 8, v6
	s_wait_loadcnt_dscnt 0x0
	v_dual_mul_f32 v14, v12, v10 :: v_dual_add_nc_u32 v5, 8, v5
	v_mul_f32_e32 v10, v11, v10
	s_delay_alu instid0(VALU_DEP_2) | instskip(NEXT) | instid1(VALU_DEP_2)
	v_fma_f32 v11, v11, v9, -v14
	v_fmac_f32_e32 v10, v12, v9
	v_add_nc_u32_e32 v4, 1, v4
	s_delay_alu instid0(VALU_DEP_2) | instskip(NEXT) | instid1(VALU_DEP_2)
	v_dual_add_f32 v8, v8, v11 :: v_dual_add_f32 v3, v3, v10
	v_cmp_lt_u32_e32 vcc_lo, 20, v4
	s_wait_alu 0xfffe
	s_or_b32 s1, vcc_lo, s1
	s_wait_alu 0xfffe
	s_and_not1_b32 exec_lo, exec_lo, s1
	s_cbranch_execnz .LBB58_101
; %bb.102:
	s_or_b32 exec_lo, exec_lo, s1
	v_mov_b32_e32 v4, 0
	ds_load_b64 v[4:5], v4 offset:176
	s_wait_dscnt 0x0
	v_mul_f32_e32 v9, v3, v5
	v_mul_f32_e32 v6, v8, v5
	s_delay_alu instid0(VALU_DEP_2) | instskip(NEXT) | instid1(VALU_DEP_2)
	v_fma_f32 v5, v8, v4, -v9
	v_fmac_f32_e32 v6, v3, v4
	scratch_store_b64 off, v[5:6], off offset:176
.LBB58_103:
	s_wait_alu 0xfffe
	s_or_b32 exec_lo, exec_lo, s0
	s_wait_loadcnt 0x0
	s_wait_storecnt 0x0
	s_barrier_signal -1
	s_barrier_wait -1
	global_inv scope:SCOPE_SE
	scratch_load_b64 v[3:4], off, off offset:184
	s_mov_b32 s0, exec_lo
	s_wait_loadcnt 0x0
	ds_store_b64 v1, v[3:4]
	s_wait_dscnt 0x0
	s_barrier_signal -1
	s_barrier_wait -1
	global_inv scope:SCOPE_SE
	v_cmpx_gt_u32_e32 23, v0
	s_cbranch_execz .LBB58_107
; %bb.104:
	v_dual_mov_b32 v3, 0 :: v_dual_add_nc_u32 v4, -1, v0
	v_dual_mov_b32 v6, v13 :: v_dual_add_nc_u32 v5, 0x1e0, v13
	v_mov_b32_e32 v8, 0
	s_mov_b32 s1, 0
.LBB58_105:                             ; =>This Inner Loop Header: Depth=1
	scratch_load_b64 v[9:10], v6, off
	ds_load_b64 v[11:12], v5
	v_add_nc_u32_e32 v6, 8, v6
	s_wait_loadcnt_dscnt 0x0
	v_dual_mul_f32 v14, v12, v10 :: v_dual_add_nc_u32 v5, 8, v5
	v_mul_f32_e32 v10, v11, v10
	s_delay_alu instid0(VALU_DEP_2) | instskip(NEXT) | instid1(VALU_DEP_2)
	v_fma_f32 v11, v11, v9, -v14
	v_fmac_f32_e32 v10, v12, v9
	v_add_nc_u32_e32 v4, 1, v4
	s_delay_alu instid0(VALU_DEP_2) | instskip(NEXT) | instid1(VALU_DEP_2)
	v_dual_add_f32 v8, v8, v11 :: v_dual_add_f32 v3, v3, v10
	v_cmp_lt_u32_e32 vcc_lo, 21, v4
	s_wait_alu 0xfffe
	s_or_b32 s1, vcc_lo, s1
	s_wait_alu 0xfffe
	s_and_not1_b32 exec_lo, exec_lo, s1
	s_cbranch_execnz .LBB58_105
; %bb.106:
	s_or_b32 exec_lo, exec_lo, s1
	v_mov_b32_e32 v4, 0
	ds_load_b64 v[4:5], v4 offset:184
	s_wait_dscnt 0x0
	v_mul_f32_e32 v9, v3, v5
	v_mul_f32_e32 v6, v8, v5
	s_delay_alu instid0(VALU_DEP_2) | instskip(NEXT) | instid1(VALU_DEP_2)
	v_fma_f32 v5, v8, v4, -v9
	v_fmac_f32_e32 v6, v3, v4
	scratch_store_b64 off, v[5:6], off offset:184
.LBB58_107:
	s_wait_alu 0xfffe
	s_or_b32 exec_lo, exec_lo, s0
	s_wait_loadcnt 0x0
	s_wait_storecnt 0x0
	s_barrier_signal -1
	s_barrier_wait -1
	global_inv scope:SCOPE_SE
	scratch_load_b64 v[3:4], off, off offset:192
	;; [unrolled: 53-line block ×35, first 2 shown]
	s_mov_b32 s0, exec_lo
	s_wait_loadcnt 0x0
	ds_store_b64 v1, v[3:4]
	s_wait_dscnt 0x0
	s_barrier_signal -1
	s_barrier_wait -1
	global_inv scope:SCOPE_SE
	v_cmpx_gt_u32_e32 57, v0
	s_cbranch_execz .LBB58_243
; %bb.240:
	v_dual_mov_b32 v3, 0 :: v_dual_add_nc_u32 v4, -1, v0
	v_dual_mov_b32 v6, v13 :: v_dual_add_nc_u32 v5, 0x1e0, v13
	v_mov_b32_e32 v8, 0
	s_mov_b32 s1, 0
.LBB58_241:                             ; =>This Inner Loop Header: Depth=1
	scratch_load_b64 v[9:10], v6, off
	ds_load_b64 v[11:12], v5
	v_add_nc_u32_e32 v6, 8, v6
	v_add_nc_u32_e32 v4, 1, v4
	;; [unrolled: 1-line block ×3, first 2 shown]
	s_delay_alu instid0(VALU_DEP_2)
	v_cmp_lt_u32_e32 vcc_lo, 55, v4
	s_wait_alu 0xfffe
	s_or_b32 s1, vcc_lo, s1
	s_wait_loadcnt_dscnt 0x0
	v_mul_f32_e32 v13, v12, v10
	v_mul_f32_e32 v10, v11, v10
	s_delay_alu instid0(VALU_DEP_2) | instskip(NEXT) | instid1(VALU_DEP_2)
	v_fma_f32 v11, v11, v9, -v13
	v_fmac_f32_e32 v10, v12, v9
	s_delay_alu instid0(VALU_DEP_1)
	v_dual_add_f32 v8, v8, v11 :: v_dual_add_f32 v3, v3, v10
	s_wait_alu 0xfffe
	s_and_not1_b32 exec_lo, exec_lo, s1
	s_cbranch_execnz .LBB58_241
; %bb.242:
	s_or_b32 exec_lo, exec_lo, s1
	v_mov_b32_e32 v4, 0
	ds_load_b64 v[4:5], v4 offset:456
	s_wait_dscnt 0x0
	v_mul_f32_e32 v9, v3, v5
	v_mul_f32_e32 v6, v8, v5
	s_delay_alu instid0(VALU_DEP_2) | instskip(NEXT) | instid1(VALU_DEP_2)
	v_fma_f32 v5, v8, v4, -v9
	v_fmac_f32_e32 v6, v3, v4
	scratch_store_b64 off, v[5:6], off offset:456
.LBB58_243:
	s_wait_alu 0xfffe
	s_or_b32 exec_lo, exec_lo, s0
	s_wait_loadcnt 0x0
	s_wait_storecnt 0x0
	s_barrier_signal -1
	s_barrier_wait -1
	global_inv scope:SCOPE_SE
	scratch_load_b64 v[3:4], off, off offset:464
	s_mov_b32 s0, exec_lo
	s_wait_loadcnt 0x0
	ds_store_b64 v1, v[3:4]
	s_wait_dscnt 0x0
	s_barrier_signal -1
	s_barrier_wait -1
	global_inv scope:SCOPE_SE
	v_cmpx_ne_u32_e32 58, v0
	s_cbranch_execz .LBB58_247
; %bb.244:
	v_dual_mov_b32 v3, 0 :: v_dual_mov_b32 v4, 0
	s_mov_b32 s1, 0
.LBB58_245:                             ; =>This Inner Loop Header: Depth=1
	scratch_load_b64 v[5:6], v7, off
	ds_load_b64 v[8:9], v1
	v_add_nc_u32_e32 v2, 1, v2
	v_add_nc_u32_e32 v1, 8, v1
	;; [unrolled: 1-line block ×3, first 2 shown]
	s_delay_alu instid0(VALU_DEP_3)
	v_cmp_lt_u32_e32 vcc_lo, 56, v2
	s_wait_alu 0xfffe
	s_or_b32 s1, vcc_lo, s1
	s_wait_loadcnt_dscnt 0x0
	v_mul_f32_e32 v10, v9, v6
	v_mul_f32_e32 v6, v8, v6
	s_delay_alu instid0(VALU_DEP_2) | instskip(NEXT) | instid1(VALU_DEP_2)
	v_fma_f32 v8, v8, v5, -v10
	v_fmac_f32_e32 v6, v9, v5
	s_delay_alu instid0(VALU_DEP_1)
	v_dual_add_f32 v4, v4, v8 :: v_dual_add_f32 v3, v3, v6
	s_wait_alu 0xfffe
	s_and_not1_b32 exec_lo, exec_lo, s1
	s_cbranch_execnz .LBB58_245
; %bb.246:
	s_or_b32 exec_lo, exec_lo, s1
	v_mov_b32_e32 v1, 0
	ds_load_b64 v[1:2], v1 offset:464
	s_wait_dscnt 0x0
	v_mul_f32_e32 v6, v3, v2
	v_mul_f32_e32 v5, v4, v2
	s_delay_alu instid0(VALU_DEP_2) | instskip(NEXT) | instid1(VALU_DEP_2)
	v_fma_f32 v4, v4, v1, -v6
	v_fmac_f32_e32 v5, v3, v1
	scratch_store_b64 off, v[4:5], off offset:464
.LBB58_247:
	s_wait_alu 0xfffe
	s_or_b32 exec_lo, exec_lo, s0
	s_mov_b32 s1, -1
	s_wait_loadcnt 0x0
	s_wait_storecnt 0x0
	s_barrier_signal -1
	s_barrier_wait -1
	global_inv scope:SCOPE_SE
.LBB58_248:
	s_wait_alu 0xfffe
	s_and_b32 vcc_lo, exec_lo, s1
	s_wait_alu 0xfffe
	s_cbranch_vccz .LBB58_250
; %bb.249:
	v_mov_b32_e32 v1, 0
	s_lshl_b64 s[0:1], s[16:17], 2
	s_wait_alu 0xfffe
	s_add_nc_u64 s[0:1], s[6:7], s[0:1]
	global_load_b32 v1, v1, s[0:1]
	s_wait_loadcnt 0x0
	v_cmp_ne_u32_e32 vcc_lo, 0, v1
	s_cbranch_vccz .LBB58_251
.LBB58_250:
	s_nop 0
	s_sendmsg sendmsg(MSG_DEALLOC_VGPRS)
	s_endpgm
.LBB58_251:
	v_lshl_add_u32 v153, v0, 3, 0x1e0
	s_mov_b32 s0, exec_lo
	v_cmpx_eq_u32_e32 58, v0
	s_cbranch_execz .LBB58_253
; %bb.252:
	scratch_load_b64 v[1:2], off, off offset:456
	v_mov_b32_e32 v3, 0
	s_delay_alu instid0(VALU_DEP_1)
	v_mov_b32_e32 v4, v3
	scratch_store_b64 off, v[3:4], off offset:456
	s_wait_loadcnt 0x0
	ds_store_b64 v153, v[1:2]
.LBB58_253:
	s_wait_alu 0xfffe
	s_or_b32 exec_lo, exec_lo, s0
	s_wait_storecnt_dscnt 0x0
	s_barrier_signal -1
	s_barrier_wait -1
	global_inv scope:SCOPE_SE
	s_clause 0x1
	scratch_load_b64 v[2:3], off, off offset:464
	scratch_load_b64 v[4:5], off, off offset:456
	v_mov_b32_e32 v1, 0
	s_mov_b32 s0, exec_lo
	ds_load_b64 v[6:7], v1 offset:944
	s_wait_loadcnt_dscnt 0x100
	v_mul_f32_e32 v8, v7, v3
	v_mul_f32_e32 v3, v6, v3
	s_delay_alu instid0(VALU_DEP_2) | instskip(NEXT) | instid1(VALU_DEP_2)
	v_fma_f32 v6, v6, v2, -v8
	v_fmac_f32_e32 v3, v7, v2
	s_delay_alu instid0(VALU_DEP_1) | instskip(SKIP_1) | instid1(VALU_DEP_1)
	v_dual_add_f32 v2, 0, v6 :: v_dual_add_f32 v3, 0, v3
	s_wait_loadcnt 0x0
	v_dual_sub_f32 v2, v4, v2 :: v_dual_sub_f32 v3, v5, v3
	scratch_store_b64 off, v[2:3], off offset:456
	v_cmpx_lt_u32_e32 56, v0
	s_cbranch_execz .LBB58_255
; %bb.254:
	scratch_load_b64 v[3:4], off, off offset:448
	v_mov_b32_e32 v2, v1
	scratch_store_b64 off, v[1:2], off offset:448
	s_wait_loadcnt 0x0
	ds_store_b64 v153, v[3:4]
.LBB58_255:
	s_wait_alu 0xfffe
	s_or_b32 exec_lo, exec_lo, s0
	s_wait_storecnt_dscnt 0x0
	s_barrier_signal -1
	s_barrier_wait -1
	global_inv scope:SCOPE_SE
	s_clause 0x1
	scratch_load_b128 v[2:5], off, off offset:456
	scratch_load_b64 v[10:11], off, off offset:448
	ds_load_2addr_b64 v[6:9], v1 offset0:117 offset1:118
	s_mov_b32 s0, exec_lo
	s_wait_loadcnt_dscnt 0x100
	v_dual_mul_f32 v1, v7, v3 :: v_dual_mul_f32 v12, v8, v5
	v_mul_f32_e32 v3, v6, v3
	s_delay_alu instid0(VALU_DEP_2) | instskip(NEXT) | instid1(VALU_DEP_2)
	v_fma_f32 v1, v6, v2, -v1
	v_dual_fmac_f32 v12, v9, v4 :: v_dual_fmac_f32 v3, v7, v2
	s_delay_alu instid0(VALU_DEP_2) | instskip(NEXT) | instid1(VALU_DEP_2)
	v_add_f32_e32 v1, 0, v1
	v_add_f32_e32 v3, 0, v3
	v_mul_f32_e32 v5, v9, v5
	s_delay_alu instid0(VALU_DEP_1) | instskip(NEXT) | instid1(VALU_DEP_1)
	v_fma_f32 v2, v8, v4, -v5
	v_dual_add_f32 v1, v1, v2 :: v_dual_add_f32 v2, v3, v12
	s_wait_loadcnt 0x0
	s_delay_alu instid0(VALU_DEP_1)
	v_dual_sub_f32 v1, v10, v1 :: v_dual_sub_f32 v2, v11, v2
	scratch_store_b64 off, v[1:2], off offset:448
	v_cmpx_lt_u32_e32 55, v0
	s_cbranch_execz .LBB58_257
; %bb.256:
	scratch_load_b64 v[1:2], off, off offset:440
	v_mov_b32_e32 v3, 0
	s_delay_alu instid0(VALU_DEP_1)
	v_mov_b32_e32 v4, v3
	scratch_store_b64 off, v[3:4], off offset:440
	s_wait_loadcnt 0x0
	ds_store_b64 v153, v[1:2]
.LBB58_257:
	s_wait_alu 0xfffe
	s_or_b32 exec_lo, exec_lo, s0
	s_wait_storecnt_dscnt 0x0
	s_barrier_signal -1
	s_barrier_wait -1
	global_inv scope:SCOPE_SE
	s_clause 0x2
	scratch_load_b128 v[2:5], off, off offset:448
	scratch_load_b64 v[10:11], off, off offset:464
	scratch_load_b64 v[12:13], off, off offset:440
	v_mov_b32_e32 v1, 0
	ds_load_b128 v[6:9], v1 offset:928
	ds_load_b64 v[14:15], v1 offset:944
	s_mov_b32 s0, exec_lo
	s_wait_loadcnt_dscnt 0x201
	v_dual_mul_f32 v16, v7, v3 :: v_dual_mul_f32 v17, v8, v5
	s_wait_loadcnt_dscnt 0x100
	v_mul_f32_e32 v18, v14, v11
	v_mul_f32_e32 v3, v6, v3
	;; [unrolled: 1-line block ×3, first 2 shown]
	v_fma_f32 v6, v6, v2, -v16
	s_delay_alu instid0(VALU_DEP_4) | instskip(NEXT) | instid1(VALU_DEP_4)
	v_fmac_f32_e32 v18, v15, v10
	v_fmac_f32_e32 v3, v7, v2
	v_mul_f32_e32 v2, v15, v11
	s_delay_alu instid0(VALU_DEP_1) | instskip(SKIP_3) | instid1(VALU_DEP_1)
	v_fma_f32 v2, v14, v10, -v2
	v_fmac_f32_e32 v17, v9, v4
	v_fma_f32 v4, v8, v4, -v5
	v_add_f32_e32 v5, 0, v6
	v_add_f32_e32 v4, v5, v4
	s_delay_alu instid0(VALU_DEP_1) | instskip(SKIP_1) | instid1(VALU_DEP_1)
	v_dual_add_f32 v2, v4, v2 :: v_dual_add_f32 v3, 0, v3
	s_wait_loadcnt 0x0
	v_dual_sub_f32 v2, v12, v2 :: v_dual_add_f32 v3, v3, v17
	s_delay_alu instid0(VALU_DEP_1) | instskip(NEXT) | instid1(VALU_DEP_1)
	v_add_f32_e32 v3, v3, v18
	v_sub_f32_e32 v3, v13, v3
	scratch_store_b64 off, v[2:3], off offset:440
	v_cmpx_lt_u32_e32 54, v0
	s_cbranch_execz .LBB58_259
; %bb.258:
	scratch_load_b64 v[3:4], off, off offset:432
	v_mov_b32_e32 v2, v1
	scratch_store_b64 off, v[1:2], off offset:432
	s_wait_loadcnt 0x0
	ds_store_b64 v153, v[3:4]
.LBB58_259:
	s_wait_alu 0xfffe
	s_or_b32 exec_lo, exec_lo, s0
	s_wait_storecnt_dscnt 0x0
	s_barrier_signal -1
	s_barrier_wait -1
	global_inv scope:SCOPE_SE
	s_clause 0x2
	scratch_load_b128 v[2:5], off, off offset:440
	scratch_load_b128 v[6:9], off, off offset:456
	scratch_load_b64 v[18:19], off, off offset:432
	ds_load_2addr_b64 v[10:13], v1 offset0:115 offset1:116
	ds_load_2addr_b64 v[14:17], v1 offset0:117 offset1:118
	s_mov_b32 s0, exec_lo
	s_wait_loadcnt_dscnt 0x201
	v_dual_mul_f32 v1, v10, v3 :: v_dual_mul_f32 v20, v12, v5
	s_wait_loadcnt_dscnt 0x100
	v_dual_mul_f32 v3, v11, v3 :: v_dual_mul_f32 v22, v16, v9
	v_mul_f32_e32 v5, v13, v5
	s_delay_alu instid0(VALU_DEP_3) | instskip(NEXT) | instid1(VALU_DEP_3)
	v_dual_mul_f32 v21, v14, v7 :: v_dual_fmac_f32 v20, v13, v4
	v_fma_f32 v3, v10, v2, -v3
	s_delay_alu instid0(VALU_DEP_4) | instskip(SKIP_2) | instid1(VALU_DEP_4)
	v_dual_fmac_f32 v1, v11, v2 :: v_dual_fmac_f32 v22, v17, v8
	v_mul_f32_e32 v2, v15, v7
	v_fma_f32 v4, v12, v4, -v5
	v_add_f32_e32 v3, 0, v3
	v_fmac_f32_e32 v21, v15, v6
	s_delay_alu instid0(VALU_DEP_4) | instskip(NEXT) | instid1(VALU_DEP_3)
	v_fma_f32 v2, v14, v6, -v2
	v_add_f32_e32 v3, v3, v4
	s_delay_alu instid0(VALU_DEP_1) | instskip(NEXT) | instid1(VALU_DEP_1)
	v_dual_add_f32 v1, 0, v1 :: v_dual_add_f32 v2, v3, v2
	v_add_f32_e32 v1, v1, v20
	s_delay_alu instid0(VALU_DEP_1) | instskip(NEXT) | instid1(VALU_DEP_1)
	v_add_f32_e32 v1, v1, v21
	v_add_f32_e32 v3, v1, v22
	v_mul_f32_e32 v5, v17, v9
	s_delay_alu instid0(VALU_DEP_1) | instskip(NEXT) | instid1(VALU_DEP_1)
	v_fma_f32 v4, v16, v8, -v5
	v_add_f32_e32 v2, v2, v4
	s_wait_loadcnt 0x0
	s_delay_alu instid0(VALU_DEP_1)
	v_dual_sub_f32 v1, v18, v2 :: v_dual_sub_f32 v2, v19, v3
	scratch_store_b64 off, v[1:2], off offset:432
	v_cmpx_lt_u32_e32 53, v0
	s_cbranch_execz .LBB58_261
; %bb.260:
	scratch_load_b64 v[1:2], off, off offset:424
	v_mov_b32_e32 v3, 0
	s_delay_alu instid0(VALU_DEP_1)
	v_mov_b32_e32 v4, v3
	scratch_store_b64 off, v[3:4], off offset:424
	s_wait_loadcnt 0x0
	ds_store_b64 v153, v[1:2]
.LBB58_261:
	s_wait_alu 0xfffe
	s_or_b32 exec_lo, exec_lo, s0
	s_wait_storecnt_dscnt 0x0
	s_barrier_signal -1
	s_barrier_wait -1
	global_inv scope:SCOPE_SE
	s_clause 0x3
	scratch_load_b128 v[2:5], off, off offset:432
	scratch_load_b128 v[6:9], off, off offset:448
	scratch_load_b64 v[18:19], off, off offset:464
	scratch_load_b64 v[20:21], off, off offset:424
	v_mov_b32_e32 v1, 0
	ds_load_b128 v[10:13], v1 offset:912
	ds_load_b128 v[14:17], v1 offset:928
	ds_load_b64 v[22:23], v1 offset:944
	s_mov_b32 s0, exec_lo
	s_wait_loadcnt_dscnt 0x302
	v_dual_mul_f32 v24, v10, v3 :: v_dual_mul_f32 v25, v12, v5
	s_wait_loadcnt_dscnt 0x201
	v_dual_mul_f32 v26, v14, v7 :: v_dual_mul_f32 v5, v13, v5
	s_wait_loadcnt_dscnt 0x100
	v_dual_mul_f32 v27, v16, v9 :: v_dual_mul_f32 v28, v22, v19
	v_dual_fmac_f32 v24, v11, v2 :: v_dual_fmac_f32 v25, v13, v4
	s_delay_alu instid0(VALU_DEP_3) | instskip(SKIP_1) | instid1(VALU_DEP_3)
	v_fmac_f32_e32 v26, v15, v6
	v_fma_f32 v4, v12, v4, -v5
	v_dual_fmac_f32 v28, v23, v18 :: v_dual_add_f32 v5, 0, v24
	v_mul_f32_e32 v3, v11, v3
	s_delay_alu instid0(VALU_DEP_1) | instskip(SKIP_1) | instid1(VALU_DEP_2)
	v_fma_f32 v3, v10, v2, -v3
	v_dual_mul_f32 v2, v15, v7 :: v_dual_mul_f32 v7, v17, v9
	v_add_f32_e32 v3, 0, v3
	s_delay_alu instid0(VALU_DEP_2) | instskip(NEXT) | instid1(VALU_DEP_3)
	v_fma_f32 v2, v14, v6, -v2
	v_fma_f32 v6, v16, v8, -v7
	s_delay_alu instid0(VALU_DEP_3) | instskip(NEXT) | instid1(VALU_DEP_1)
	v_add_f32_e32 v3, v3, v4
	v_add_f32_e32 v2, v3, v2
	;; [unrolled: 1-line block ×3, first 2 shown]
	s_delay_alu instid0(VALU_DEP_2) | instskip(NEXT) | instid1(VALU_DEP_2)
	v_dual_add_f32 v2, v2, v6 :: v_dual_mul_f32 v5, v23, v19
	v_add_f32_e32 v3, v4, v26
	s_delay_alu instid0(VALU_DEP_2) | instskip(NEXT) | instid1(VALU_DEP_1)
	v_fma_f32 v4, v22, v18, -v5
	v_add_f32_e32 v2, v2, v4
	s_wait_loadcnt 0x0
	s_delay_alu instid0(VALU_DEP_1) | instskip(NEXT) | instid1(VALU_DEP_1)
	v_dual_fmac_f32 v27, v17, v8 :: v_dual_sub_f32 v2, v20, v2
	v_add_f32_e32 v3, v3, v27
	s_delay_alu instid0(VALU_DEP_1) | instskip(NEXT) | instid1(VALU_DEP_1)
	v_add_f32_e32 v3, v3, v28
	v_sub_f32_e32 v3, v21, v3
	scratch_store_b64 off, v[2:3], off offset:424
	v_cmpx_lt_u32_e32 52, v0
	s_cbranch_execz .LBB58_263
; %bb.262:
	scratch_load_b64 v[3:4], off, off offset:416
	v_mov_b32_e32 v2, v1
	scratch_store_b64 off, v[1:2], off offset:416
	s_wait_loadcnt 0x0
	ds_store_b64 v153, v[3:4]
.LBB58_263:
	s_wait_alu 0xfffe
	s_or_b32 exec_lo, exec_lo, s0
	s_wait_storecnt_dscnt 0x0
	s_barrier_signal -1
	s_barrier_wait -1
	global_inv scope:SCOPE_SE
	s_clause 0x3
	scratch_load_b128 v[2:5], off, off offset:424
	scratch_load_b128 v[6:9], off, off offset:440
	;; [unrolled: 1-line block ×3, first 2 shown]
	scratch_load_b64 v[26:27], off, off offset:416
	ds_load_2addr_b64 v[14:17], v1 offset0:113 offset1:114
	ds_load_2addr_b64 v[18:21], v1 offset0:115 offset1:116
	;; [unrolled: 1-line block ×3, first 2 shown]
	s_mov_b32 s0, exec_lo
	s_wait_loadcnt_dscnt 0x302
	v_dual_mul_f32 v1, v14, v3 :: v_dual_mul_f32 v28, v16, v5
	s_wait_loadcnt_dscnt 0x100
	v_dual_mul_f32 v3, v15, v3 :: v_dual_mul_f32 v32, v24, v13
	v_dual_mul_f32 v29, v18, v7 :: v_dual_mul_f32 v30, v20, v9
	v_mul_f32_e32 v5, v17, v5
	s_delay_alu instid0(VALU_DEP_3)
	v_fma_f32 v3, v14, v2, -v3
	v_fmac_f32_e32 v1, v15, v2
	v_mul_f32_e32 v2, v19, v7
	v_dual_mul_f32 v31, v22, v11 :: v_dual_fmac_f32 v28, v17, v4
	v_fma_f32 v4, v16, v4, -v5
	v_fmac_f32_e32 v30, v21, v8
	s_delay_alu instid0(VALU_DEP_4) | instskip(SKIP_4) | instid1(VALU_DEP_4)
	v_fma_f32 v2, v18, v6, -v2
	v_mul_f32_e32 v5, v21, v9
	v_add_f32_e32 v1, 0, v1
	v_dual_fmac_f32 v29, v19, v6 :: v_dual_fmac_f32 v32, v25, v12
	v_fmac_f32_e32 v31, v23, v10
	v_fma_f32 v5, v20, v8, -v5
	v_add_f32_e32 v3, 0, v3
	s_delay_alu instid0(VALU_DEP_1) | instskip(SKIP_1) | instid1(VALU_DEP_2)
	v_add_f32_e32 v3, v3, v4
	v_mul_f32_e32 v4, v23, v11
	v_add_f32_e32 v2, v3, v2
	s_delay_alu instid0(VALU_DEP_2) | instskip(NEXT) | instid1(VALU_DEP_2)
	v_fma_f32 v4, v22, v10, -v4
	v_add_f32_e32 v2, v2, v5
	s_delay_alu instid0(VALU_DEP_1) | instskip(NEXT) | instid1(VALU_DEP_1)
	v_dual_mul_f32 v3, v25, v13 :: v_dual_add_f32 v2, v2, v4
	v_fma_f32 v3, v24, v12, -v3
	s_delay_alu instid0(VALU_DEP_1) | instskip(NEXT) | instid1(VALU_DEP_1)
	v_dual_add_f32 v1, v1, v28 :: v_dual_add_f32 v2, v2, v3
	v_add_f32_e32 v1, v1, v29
	s_delay_alu instid0(VALU_DEP_1) | instskip(NEXT) | instid1(VALU_DEP_1)
	v_add_f32_e32 v1, v1, v30
	v_add_f32_e32 v1, v1, v31
	s_delay_alu instid0(VALU_DEP_1) | instskip(SKIP_1) | instid1(VALU_DEP_1)
	v_add_f32_e32 v3, v1, v32
	s_wait_loadcnt 0x0
	v_dual_sub_f32 v1, v26, v2 :: v_dual_sub_f32 v2, v27, v3
	scratch_store_b64 off, v[1:2], off offset:416
	v_cmpx_lt_u32_e32 51, v0
	s_cbranch_execz .LBB58_265
; %bb.264:
	scratch_load_b64 v[1:2], off, off offset:408
	v_mov_b32_e32 v3, 0
	s_delay_alu instid0(VALU_DEP_1)
	v_mov_b32_e32 v4, v3
	scratch_store_b64 off, v[3:4], off offset:408
	s_wait_loadcnt 0x0
	ds_store_b64 v153, v[1:2]
.LBB58_265:
	s_wait_alu 0xfffe
	s_or_b32 exec_lo, exec_lo, s0
	s_wait_storecnt_dscnt 0x0
	s_barrier_signal -1
	s_barrier_wait -1
	global_inv scope:SCOPE_SE
	s_clause 0x4
	scratch_load_b128 v[2:5], off, off offset:416
	scratch_load_b128 v[6:9], off, off offset:432
	;; [unrolled: 1-line block ×3, first 2 shown]
	scratch_load_b64 v[26:27], off, off offset:464
	scratch_load_b64 v[28:29], off, off offset:408
	v_mov_b32_e32 v1, 0
	ds_load_b128 v[14:17], v1 offset:896
	ds_load_b128 v[18:21], v1 offset:912
	;; [unrolled: 1-line block ×3, first 2 shown]
	ds_load_b64 v[30:31], v1 offset:944
	s_mov_b32 s0, exec_lo
	s_wait_loadcnt_dscnt 0x403
	v_mul_f32_e32 v32, v14, v3
	s_wait_loadcnt_dscnt 0x302
	v_dual_mul_f32 v154, v20, v9 :: v_dual_mul_f32 v3, v15, v3
	v_dual_mul_f32 v151, v16, v5 :: v_dual_mul_f32 v152, v18, v7
	v_mul_f32_e32 v5, v17, v5
	s_wait_loadcnt_dscnt 0x100
	v_dual_mul_f32 v157, v30, v27 :: v_dual_fmac_f32 v32, v15, v2
	v_fma_f32 v3, v14, v2, -v3
	v_dual_mul_f32 v2, v19, v7 :: v_dual_fmac_f32 v151, v17, v4
	v_fmac_f32_e32 v152, v19, v6
	v_fma_f32 v4, v16, v4, -v5
	s_delay_alu instid0(VALU_DEP_4) | instskip(NEXT) | instid1(VALU_DEP_4)
	v_dual_add_f32 v3, 0, v3 :: v_dual_fmac_f32 v154, v21, v8
	v_fma_f32 v2, v18, v6, -v2
	v_dual_mul_f32 v155, v22, v11 :: v_dual_mul_f32 v156, v24, v13
	s_delay_alu instid0(VALU_DEP_3) | instskip(SKIP_1) | instid1(VALU_DEP_3)
	v_add_f32_e32 v3, v3, v4
	v_add_f32_e32 v5, 0, v32
	v_dual_fmac_f32 v155, v23, v10 :: v_dual_fmac_f32 v156, v25, v12
	s_delay_alu instid0(VALU_DEP_3) | instskip(NEXT) | instid1(VALU_DEP_3)
	v_dual_add_f32 v2, v3, v2 :: v_dual_mul_f32 v7, v21, v9
	v_add_f32_e32 v4, v5, v151
	v_mul_f32_e32 v5, v23, v11
	s_delay_alu instid0(VALU_DEP_3) | instskip(NEXT) | instid1(VALU_DEP_3)
	v_fma_f32 v6, v20, v8, -v7
	v_dual_add_f32 v3, v4, v152 :: v_dual_mul_f32 v4, v25, v13
	s_delay_alu instid0(VALU_DEP_3) | instskip(NEXT) | instid1(VALU_DEP_3)
	v_fma_f32 v5, v22, v10, -v5
	v_add_f32_e32 v2, v2, v6
	v_mul_f32_e32 v6, v31, v27
	s_delay_alu instid0(VALU_DEP_4) | instskip(SKIP_1) | instid1(VALU_DEP_4)
	v_add_f32_e32 v3, v3, v154
	v_fma_f32 v4, v24, v12, -v4
	v_add_f32_e32 v2, v2, v5
	s_delay_alu instid0(VALU_DEP_4) | instskip(NEXT) | instid1(VALU_DEP_2)
	v_fma_f32 v5, v30, v26, -v6
	v_dual_add_f32 v3, v3, v155 :: v_dual_add_f32 v2, v2, v4
	s_delay_alu instid0(VALU_DEP_1) | instskip(SKIP_1) | instid1(VALU_DEP_1)
	v_dual_fmac_f32 v157, v31, v26 :: v_dual_add_f32 v2, v2, v5
	s_wait_loadcnt 0x0
	v_dual_add_f32 v3, v3, v156 :: v_dual_sub_f32 v2, v28, v2
	s_delay_alu instid0(VALU_DEP_1) | instskip(NEXT) | instid1(VALU_DEP_1)
	v_add_f32_e32 v3, v3, v157
	v_sub_f32_e32 v3, v29, v3
	scratch_store_b64 off, v[2:3], off offset:408
	v_cmpx_lt_u32_e32 50, v0
	s_cbranch_execz .LBB58_267
; %bb.266:
	scratch_load_b64 v[3:4], off, off offset:400
	v_mov_b32_e32 v2, v1
	scratch_store_b64 off, v[1:2], off offset:400
	s_wait_loadcnt 0x0
	ds_store_b64 v153, v[3:4]
.LBB58_267:
	s_wait_alu 0xfffe
	s_or_b32 exec_lo, exec_lo, s0
	s_wait_storecnt_dscnt 0x0
	s_barrier_signal -1
	s_barrier_wait -1
	global_inv scope:SCOPE_SE
	s_clause 0x4
	scratch_load_b128 v[2:5], off, off offset:408
	scratch_load_b128 v[6:9], off, off offset:424
	;; [unrolled: 1-line block ×4, first 2 shown]
	scratch_load_b64 v[30:31], off, off offset:400
	ds_load_2addr_b64 v[18:21], v1 offset0:111 offset1:112
	ds_load_2addr_b64 v[22:25], v1 offset0:113 offset1:114
	;; [unrolled: 1-line block ×4, first 2 shown]
	s_mov_b32 s0, exec_lo
	s_wait_loadcnt_dscnt 0x403
	v_dual_mul_f32 v1, v18, v3 :: v_dual_mul_f32 v32, v20, v5
	v_mul_f32_e32 v3, v19, v3
	v_mul_f32_e32 v5, v21, v5
	s_wait_loadcnt_dscnt 0x302
	v_dual_mul_f32 v151, v22, v7 :: v_dual_mul_f32 v152, v24, v9
	v_fmac_f32_e32 v32, v21, v4
	v_fma_f32 v3, v18, v2, -v3
	s_wait_loadcnt_dscnt 0x201
	v_dual_mul_f32 v158, v26, v11 :: v_dual_mul_f32 v159, v28, v13
	v_dual_fmac_f32 v1, v19, v2 :: v_dual_fmac_f32 v152, v25, v8
	v_mul_f32_e32 v2, v23, v7
	v_fma_f32 v4, v20, v4, -v5
	s_delay_alu instid0(VALU_DEP_4) | instskip(NEXT) | instid1(VALU_DEP_4)
	v_dual_add_f32 v3, 0, v3 :: v_dual_fmac_f32 v158, v27, v10
	v_add_f32_e32 v1, 0, v1
	s_delay_alu instid0(VALU_DEP_4) | instskip(SKIP_4) | instid1(VALU_DEP_3)
	v_fma_f32 v2, v22, v6, -v2
	s_wait_loadcnt_dscnt 0x100
	v_dual_mul_f32 v160, v154, v15 :: v_dual_mul_f32 v161, v156, v17
	v_add_f32_e32 v3, v3, v4
	v_dual_mul_f32 v5, v25, v9 :: v_dual_mul_f32 v4, v27, v11
	v_dual_add_f32 v1, v1, v32 :: v_dual_fmac_f32 v160, v155, v14
	s_delay_alu instid0(VALU_DEP_3) | instskip(NEXT) | instid1(VALU_DEP_3)
	v_add_f32_e32 v2, v3, v2
	v_fma_f32 v5, v24, v8, -v5
	v_fmac_f32_e32 v151, v23, v6
	v_mul_f32_e32 v3, v29, v13
	v_fma_f32 v4, v26, v10, -v4
	s_delay_alu instid0(VALU_DEP_4) | instskip(NEXT) | instid1(VALU_DEP_4)
	v_dual_fmac_f32 v161, v157, v16 :: v_dual_add_f32 v2, v2, v5
	v_add_f32_e32 v1, v1, v151
	v_mul_f32_e32 v5, v155, v15
	v_fma_f32 v3, v28, v12, -v3
	s_delay_alu instid0(VALU_DEP_4) | instskip(NEXT) | instid1(VALU_DEP_4)
	v_add_f32_e32 v2, v2, v4
	v_add_f32_e32 v1, v1, v152
	v_mul_f32_e32 v4, v157, v17
	v_fma_f32 v5, v154, v14, -v5
	s_delay_alu instid0(VALU_DEP_4) | instskip(NEXT) | instid1(VALU_DEP_3)
	v_dual_add_f32 v2, v2, v3 :: v_dual_fmac_f32 v159, v29, v12
	v_fma_f32 v3, v156, v16, -v4
	s_delay_alu instid0(VALU_DEP_2) | instskip(NEXT) | instid1(VALU_DEP_1)
	v_dual_add_f32 v2, v2, v5 :: v_dual_add_f32 v1, v1, v158
	v_add_f32_e32 v2, v2, v3
	s_delay_alu instid0(VALU_DEP_2) | instskip(NEXT) | instid1(VALU_DEP_1)
	v_add_f32_e32 v1, v1, v159
	v_add_f32_e32 v1, v1, v160
	s_delay_alu instid0(VALU_DEP_1) | instskip(SKIP_1) | instid1(VALU_DEP_1)
	v_add_f32_e32 v3, v1, v161
	s_wait_loadcnt 0x0
	v_dual_sub_f32 v1, v30, v2 :: v_dual_sub_f32 v2, v31, v3
	scratch_store_b64 off, v[1:2], off offset:400
	v_cmpx_lt_u32_e32 49, v0
	s_cbranch_execz .LBB58_269
; %bb.268:
	scratch_load_b64 v[1:2], off, off offset:392
	v_mov_b32_e32 v3, 0
	s_delay_alu instid0(VALU_DEP_1)
	v_mov_b32_e32 v4, v3
	scratch_store_b64 off, v[3:4], off offset:392
	s_wait_loadcnt 0x0
	ds_store_b64 v153, v[1:2]
.LBB58_269:
	s_wait_alu 0xfffe
	s_or_b32 exec_lo, exec_lo, s0
	s_wait_storecnt_dscnt 0x0
	s_barrier_signal -1
	s_barrier_wait -1
	global_inv scope:SCOPE_SE
	s_clause 0x5
	scratch_load_b128 v[2:5], off, off offset:400
	scratch_load_b128 v[6:9], off, off offset:416
	;; [unrolled: 1-line block ×4, first 2 shown]
	scratch_load_b64 v[30:31], off, off offset:464
	scratch_load_b64 v[151:152], off, off offset:392
	v_mov_b32_e32 v1, 0
	ds_load_b128 v[18:21], v1 offset:880
	ds_load_b128 v[22:25], v1 offset:896
	;; [unrolled: 1-line block ×4, first 2 shown]
	ds_load_b64 v[158:159], v1 offset:944
	s_mov_b32 s0, exec_lo
	s_wait_loadcnt_dscnt 0x504
	v_mul_f32_e32 v32, v18, v3
	s_wait_loadcnt_dscnt 0x302
	v_dual_mul_f32 v3, v19, v3 :: v_dual_mul_f32 v164, v28, v13
	v_dual_mul_f32 v160, v20, v5 :: v_dual_mul_f32 v161, v22, v7
	v_mul_f32_e32 v5, v21, v5
	s_delay_alu instid0(VALU_DEP_3) | instskip(SKIP_3) | instid1(VALU_DEP_3)
	v_fma_f32 v3, v18, v2, -v3
	s_wait_loadcnt_dscnt 0x100
	v_dual_mul_f32 v167, v158, v31 :: v_dual_fmac_f32 v32, v19, v2
	v_mul_f32_e32 v2, v23, v7
	v_dual_fmac_f32 v160, v21, v4 :: v_dual_add_f32 v3, 0, v3
	v_fma_f32 v4, v20, v4, -v5
	v_dual_mul_f32 v162, v24, v9 :: v_dual_mul_f32 v163, v26, v11
	s_delay_alu instid0(VALU_DEP_4) | instskip(SKIP_1) | instid1(VALU_DEP_4)
	v_fma_f32 v2, v22, v6, -v2
	v_dual_mul_f32 v165, v154, v15 :: v_dual_mul_f32 v166, v156, v17
	v_add_f32_e32 v3, v3, v4
	v_add_f32_e32 v5, 0, v32
	v_dual_fmac_f32 v162, v25, v8 :: v_dual_fmac_f32 v163, v27, v10
	v_fmac_f32_e32 v164, v29, v12
	s_delay_alu instid0(VALU_DEP_4) | instskip(NEXT) | instid1(VALU_DEP_4)
	v_dual_add_f32 v2, v3, v2 :: v_dual_mul_f32 v7, v25, v9
	v_dual_fmac_f32 v161, v23, v6 :: v_dual_add_f32 v4, v5, v160
	v_mul_f32_e32 v5, v27, v11
	v_dual_fmac_f32 v165, v155, v14 :: v_dual_fmac_f32 v166, v157, v16
	s_delay_alu instid0(VALU_DEP_4) | instskip(NEXT) | instid1(VALU_DEP_4)
	v_fma_f32 v6, v24, v8, -v7
	v_add_f32_e32 v3, v4, v161
	v_mul_f32_e32 v4, v29, v13
	v_fma_f32 v5, v26, v10, -v5
	s_delay_alu instid0(VALU_DEP_4) | instskip(SKIP_3) | instid1(VALU_DEP_4)
	v_add_f32_e32 v2, v2, v6
	v_mul_f32_e32 v6, v155, v15
	v_add_f32_e32 v3, v3, v162
	v_fma_f32 v4, v28, v12, -v4
	v_add_f32_e32 v2, v2, v5
	v_mul_f32_e32 v5, v157, v17
	s_delay_alu instid0(VALU_DEP_4) | instskip(SKIP_1) | instid1(VALU_DEP_4)
	v_add_f32_e32 v3, v3, v163
	v_fma_f32 v6, v154, v14, -v6
	v_add_f32_e32 v2, v2, v4
	v_mul_f32_e32 v4, v159, v31
	s_delay_alu instid0(VALU_DEP_4) | instskip(SKIP_1) | instid1(VALU_DEP_4)
	v_add_f32_e32 v3, v3, v164
	v_fma_f32 v5, v156, v16, -v5
	v_add_f32_e32 v2, v2, v6
	v_fmac_f32_e32 v167, v159, v30
	v_fma_f32 v4, v158, v30, -v4
	s_delay_alu instid0(VALU_DEP_3) | instskip(NEXT) | instid1(VALU_DEP_1)
	v_add_f32_e32 v2, v2, v5
	v_dual_add_f32 v3, v3, v165 :: v_dual_add_f32 v2, v2, v4
	s_delay_alu instid0(VALU_DEP_1) | instskip(NEXT) | instid1(VALU_DEP_1)
	v_add_f32_e32 v3, v3, v166
	v_add_f32_e32 v3, v3, v167
	s_wait_loadcnt 0x0
	s_delay_alu instid0(VALU_DEP_1)
	v_dual_sub_f32 v2, v151, v2 :: v_dual_sub_f32 v3, v152, v3
	scratch_store_b64 off, v[2:3], off offset:392
	v_cmpx_lt_u32_e32 48, v0
	s_cbranch_execz .LBB58_271
; %bb.270:
	scratch_load_b64 v[3:4], off, off offset:384
	v_mov_b32_e32 v2, v1
	scratch_store_b64 off, v[1:2], off offset:384
	s_wait_loadcnt 0x0
	ds_store_b64 v153, v[3:4]
.LBB58_271:
	s_wait_alu 0xfffe
	s_or_b32 exec_lo, exec_lo, s0
	s_wait_storecnt_dscnt 0x0
	s_barrier_signal -1
	s_barrier_wait -1
	global_inv scope:SCOPE_SE
	s_clause 0x5
	scratch_load_b128 v[2:5], off, off offset:392
	scratch_load_b128 v[6:9], off, off offset:408
	;; [unrolled: 1-line block ×5, first 2 shown]
	scratch_load_b64 v[30:31], off, off offset:384
	ds_load_2addr_b64 v[22:25], v1 offset0:109 offset1:110
	ds_load_2addr_b64 v[26:29], v1 offset0:111 offset1:112
	;; [unrolled: 1-line block ×5, first 2 shown]
	s_mov_b32 s0, exec_lo
	s_wait_loadcnt_dscnt 0x504
	v_dual_mul_f32 v1, v22, v3 :: v_dual_mul_f32 v32, v24, v5
	v_mul_f32_e32 v3, v23, v3
	v_mul_f32_e32 v5, v25, v5
	s_wait_loadcnt_dscnt 0x403
	v_dual_mul_f32 v151, v26, v7 :: v_dual_mul_f32 v152, v28, v9
	v_fmac_f32_e32 v32, v25, v4
	v_fma_f32 v3, v22, v2, -v3
	s_wait_loadcnt_dscnt 0x302
	v_dual_mul_f32 v166, v154, v11 :: v_dual_mul_f32 v167, v156, v13
	v_dual_fmac_f32 v1, v23, v2 :: v_dual_fmac_f32 v152, v29, v8
	v_mul_f32_e32 v2, v27, v7
	v_fma_f32 v4, v24, v4, -v5
	s_delay_alu instid0(VALU_DEP_4) | instskip(NEXT) | instid1(VALU_DEP_4)
	v_dual_add_f32 v3, 0, v3 :: v_dual_fmac_f32 v166, v155, v10
	v_add_f32_e32 v1, 0, v1
	s_delay_alu instid0(VALU_DEP_4) | instskip(SKIP_4) | instid1(VALU_DEP_3)
	v_fma_f32 v2, v26, v6, -v2
	s_wait_loadcnt_dscnt 0x201
	v_dual_mul_f32 v168, v158, v15 :: v_dual_mul_f32 v169, v160, v17
	v_add_f32_e32 v3, v3, v4
	v_dual_mul_f32 v5, v29, v9 :: v_dual_mul_f32 v4, v155, v11
	v_dual_add_f32 v1, v1, v32 :: v_dual_fmac_f32 v168, v159, v14
	s_delay_alu instid0(VALU_DEP_3) | instskip(NEXT) | instid1(VALU_DEP_3)
	v_add_f32_e32 v2, v3, v2
	v_fma_f32 v5, v28, v8, -v5
	v_fmac_f32_e32 v151, v27, v6
	v_fma_f32 v4, v154, v10, -v4
	s_wait_loadcnt_dscnt 0x100
	v_dual_mul_f32 v170, v162, v19 :: v_dual_mul_f32 v171, v164, v21
	s_delay_alu instid0(VALU_DEP_3) | instskip(NEXT) | instid1(VALU_DEP_2)
	v_dual_add_f32 v2, v2, v5 :: v_dual_add_f32 v1, v1, v151
	v_dual_mul_f32 v3, v157, v13 :: v_dual_fmac_f32 v170, v163, v18
	v_fmac_f32_e32 v169, v161, v16
	s_delay_alu instid0(VALU_DEP_3) | instskip(SKIP_1) | instid1(VALU_DEP_4)
	v_add_f32_e32 v2, v2, v4
	v_mul_f32_e32 v4, v161, v17
	v_fma_f32 v3, v156, v12, -v3
	v_add_f32_e32 v1, v1, v152
	v_fmac_f32_e32 v171, v165, v20
	s_delay_alu instid0(VALU_DEP_4) | instskip(SKIP_3) | instid1(VALU_DEP_3)
	v_fma_f32 v4, v160, v16, -v4
	v_mul_f32_e32 v5, v159, v15
	v_add_f32_e32 v2, v2, v3
	v_mul_f32_e32 v3, v163, v19
	v_fma_f32 v5, v158, v14, -v5
	v_fmac_f32_e32 v167, v157, v12
	s_delay_alu instid0(VALU_DEP_3) | instskip(NEXT) | instid1(VALU_DEP_3)
	v_fma_f32 v3, v162, v18, -v3
	v_add_f32_e32 v2, v2, v5
	s_delay_alu instid0(VALU_DEP_1) | instskip(SKIP_1) | instid1(VALU_DEP_2)
	v_dual_mul_f32 v5, v165, v21 :: v_dual_add_f32 v2, v2, v4
	v_add_f32_e32 v1, v1, v166
	v_fma_f32 v4, v164, v20, -v5
	s_delay_alu instid0(VALU_DEP_3) | instskip(NEXT) | instid1(VALU_DEP_1)
	v_add_f32_e32 v2, v2, v3
	v_dual_add_f32 v1, v1, v167 :: v_dual_add_f32 v2, v2, v4
	s_delay_alu instid0(VALU_DEP_1) | instskip(NEXT) | instid1(VALU_DEP_1)
	v_add_f32_e32 v1, v1, v168
	v_add_f32_e32 v1, v1, v169
	s_delay_alu instid0(VALU_DEP_1) | instskip(NEXT) | instid1(VALU_DEP_1)
	v_add_f32_e32 v1, v1, v170
	v_add_f32_e32 v3, v1, v171
	s_wait_loadcnt 0x0
	s_delay_alu instid0(VALU_DEP_1)
	v_dual_sub_f32 v1, v30, v2 :: v_dual_sub_f32 v2, v31, v3
	scratch_store_b64 off, v[1:2], off offset:384
	v_cmpx_lt_u32_e32 47, v0
	s_cbranch_execz .LBB58_273
; %bb.272:
	scratch_load_b64 v[1:2], off, off offset:376
	v_mov_b32_e32 v3, 0
	s_delay_alu instid0(VALU_DEP_1)
	v_mov_b32_e32 v4, v3
	scratch_store_b64 off, v[3:4], off offset:376
	s_wait_loadcnt 0x0
	ds_store_b64 v153, v[1:2]
.LBB58_273:
	s_wait_alu 0xfffe
	s_or_b32 exec_lo, exec_lo, s0
	s_wait_storecnt_dscnt 0x0
	s_barrier_signal -1
	s_barrier_wait -1
	global_inv scope:SCOPE_SE
	s_clause 0x6
	scratch_load_b128 v[2:5], off, off offset:384
	scratch_load_b128 v[6:9], off, off offset:400
	scratch_load_b128 v[10:13], off, off offset:416
	scratch_load_b128 v[14:17], off, off offset:432
	scratch_load_b128 v[18:21], off, off offset:448
	scratch_load_b64 v[30:31], off, off offset:464
	scratch_load_b64 v[151:152], off, off offset:376
	v_mov_b32_e32 v1, 0
	ds_load_b128 v[22:25], v1 offset:864
	ds_load_b128 v[26:29], v1 offset:880
	;; [unrolled: 1-line block ×5, first 2 shown]
	ds_load_b64 v[166:167], v1 offset:944
	s_mov_b32 s0, exec_lo
	s_wait_loadcnt_dscnt 0x605
	v_mul_f32_e32 v32, v22, v3
	v_dual_mul_f32 v3, v23, v3 :: v_dual_mul_f32 v168, v24, v5
	s_wait_loadcnt_dscnt 0x302
	v_dual_mul_f32 v169, v26, v7 :: v_dual_mul_f32 v174, v160, v17
	v_mul_f32_e32 v5, v25, v5
	s_delay_alu instid0(VALU_DEP_3) | instskip(SKIP_3) | instid1(VALU_DEP_3)
	v_fma_f32 v3, v22, v2, -v3
	s_wait_loadcnt_dscnt 0x100
	v_dual_mul_f32 v177, v166, v31 :: v_dual_fmac_f32 v32, v23, v2
	v_mul_f32_e32 v2, v27, v7
	v_dual_fmac_f32 v168, v25, v4 :: v_dual_add_f32 v3, 0, v3
	v_fma_f32 v4, v24, v4, -v5
	v_dual_mul_f32 v170, v28, v9 :: v_dual_mul_f32 v171, v154, v11
	s_delay_alu instid0(VALU_DEP_4) | instskip(SKIP_1) | instid1(VALU_DEP_4)
	v_fma_f32 v2, v26, v6, -v2
	v_dual_mul_f32 v172, v156, v13 :: v_dual_mul_f32 v173, v158, v15
	v_add_f32_e32 v3, v3, v4
	v_add_f32_e32 v5, 0, v32
	v_dual_fmac_f32 v170, v29, v8 :: v_dual_fmac_f32 v171, v155, v10
	s_delay_alu instid0(VALU_DEP_4) | instskip(NEXT) | instid1(VALU_DEP_4)
	v_fmac_f32_e32 v172, v157, v12
	v_dual_add_f32 v2, v3, v2 :: v_dual_mul_f32 v7, v29, v9
	s_delay_alu instid0(VALU_DEP_4) | instskip(SKIP_2) | instid1(VALU_DEP_4)
	v_dual_fmac_f32 v169, v27, v6 :: v_dual_add_f32 v4, v5, v168
	v_mul_f32_e32 v5, v155, v11
	v_dual_fmac_f32 v173, v159, v14 :: v_dual_fmac_f32 v174, v161, v16
	v_fma_f32 v6, v28, v8, -v7
	s_delay_alu instid0(VALU_DEP_4)
	v_add_f32_e32 v3, v4, v169
	v_mul_f32_e32 v4, v157, v13
	v_fma_f32 v5, v154, v10, -v5
	v_dual_mul_f32 v175, v162, v19 :: v_dual_mul_f32 v176, v164, v21
	v_add_f32_e32 v2, v2, v6
	v_mul_f32_e32 v6, v159, v15
	v_add_f32_e32 v3, v3, v170
	v_fma_f32 v4, v156, v12, -v4
	s_delay_alu instid0(VALU_DEP_4) | instskip(SKIP_1) | instid1(VALU_DEP_4)
	v_dual_fmac_f32 v175, v163, v18 :: v_dual_add_f32 v2, v2, v5
	v_mul_f32_e32 v5, v161, v17
	v_add_f32_e32 v3, v3, v171
	v_fma_f32 v6, v158, v14, -v6
	v_fmac_f32_e32 v176, v165, v20
	v_add_f32_e32 v2, v2, v4
	v_mul_f32_e32 v4, v163, v19
	v_add_f32_e32 v3, v3, v172
	v_fma_f32 v5, v160, v16, -v5
	s_delay_alu instid0(VALU_DEP_4) | instskip(SKIP_1) | instid1(VALU_DEP_4)
	v_add_f32_e32 v2, v2, v6
	v_mul_f32_e32 v6, v165, v21
	v_add_f32_e32 v3, v3, v173
	v_fma_f32 v4, v162, v18, -v4
	s_delay_alu instid0(VALU_DEP_4) | instskip(NEXT) | instid1(VALU_DEP_4)
	v_add_f32_e32 v2, v2, v5
	v_fma_f32 v6, v164, v20, -v6
	s_delay_alu instid0(VALU_DEP_4) | instskip(NEXT) | instid1(VALU_DEP_3)
	v_add_f32_e32 v3, v3, v174
	v_dual_mul_f32 v5, v167, v31 :: v_dual_add_f32 v2, v2, v4
	s_delay_alu instid0(VALU_DEP_2) | instskip(NEXT) | instid1(VALU_DEP_2)
	v_add_f32_e32 v3, v3, v175
	v_fma_f32 v4, v166, v30, -v5
	s_delay_alu instid0(VALU_DEP_3) | instskip(SKIP_1) | instid1(VALU_DEP_4)
	v_add_f32_e32 v2, v2, v6
	v_fmac_f32_e32 v177, v167, v30
	v_add_f32_e32 v3, v3, v176
	s_delay_alu instid0(VALU_DEP_1) | instskip(SKIP_1) | instid1(VALU_DEP_1)
	v_dual_add_f32 v2, v2, v4 :: v_dual_add_f32 v3, v3, v177
	s_wait_loadcnt 0x0
	v_dual_sub_f32 v2, v151, v2 :: v_dual_sub_f32 v3, v152, v3
	scratch_store_b64 off, v[2:3], off offset:376
	v_cmpx_lt_u32_e32 46, v0
	s_cbranch_execz .LBB58_275
; %bb.274:
	scratch_load_b64 v[3:4], off, off offset:368
	v_mov_b32_e32 v2, v1
	scratch_store_b64 off, v[1:2], off offset:368
	s_wait_loadcnt 0x0
	ds_store_b64 v153, v[3:4]
.LBB58_275:
	s_wait_alu 0xfffe
	s_or_b32 exec_lo, exec_lo, s0
	s_wait_storecnt_dscnt 0x0
	s_barrier_signal -1
	s_barrier_wait -1
	global_inv scope:SCOPE_SE
	s_clause 0x6
	scratch_load_b128 v[2:5], off, off offset:376
	scratch_load_b128 v[6:9], off, off offset:392
	;; [unrolled: 1-line block ×6, first 2 shown]
	scratch_load_b64 v[30:31], off, off offset:368
	ds_load_2addr_b64 v[26:29], v1 offset0:107 offset1:108
	ds_load_2addr_b64 v[154:157], v1 offset0:109 offset1:110
	;; [unrolled: 1-line block ×6, first 2 shown]
	s_mov_b32 s0, exec_lo
	s_wait_loadcnt_dscnt 0x605
	v_dual_mul_f32 v1, v26, v3 :: v_dual_mul_f32 v32, v28, v5
	v_mul_f32_e32 v3, v27, v3
	v_mul_f32_e32 v5, v29, v5
	s_wait_loadcnt_dscnt 0x504
	v_dual_mul_f32 v151, v154, v7 :: v_dual_mul_f32 v152, v156, v9
	v_fmac_f32_e32 v32, v29, v4
	v_fma_f32 v3, v26, v2, -v3
	s_wait_loadcnt_dscnt 0x403
	v_dual_mul_f32 v174, v158, v11 :: v_dual_mul_f32 v175, v160, v13
	v_dual_fmac_f32 v1, v27, v2 :: v_dual_fmac_f32 v152, v157, v8
	v_mul_f32_e32 v2, v155, v7
	v_fma_f32 v4, v28, v4, -v5
	s_delay_alu instid0(VALU_DEP_4) | instskip(NEXT) | instid1(VALU_DEP_4)
	v_dual_add_f32 v3, 0, v3 :: v_dual_fmac_f32 v174, v159, v10
	v_add_f32_e32 v1, 0, v1
	s_delay_alu instid0(VALU_DEP_4) | instskip(SKIP_4) | instid1(VALU_DEP_3)
	v_fma_f32 v2, v154, v6, -v2
	s_wait_loadcnt_dscnt 0x302
	v_dual_mul_f32 v176, v162, v15 :: v_dual_mul_f32 v177, v164, v17
	v_add_f32_e32 v3, v3, v4
	v_dual_mul_f32 v5, v157, v9 :: v_dual_mul_f32 v4, v159, v11
	v_dual_add_f32 v1, v1, v32 :: v_dual_fmac_f32 v176, v163, v14
	s_delay_alu instid0(VALU_DEP_3) | instskip(NEXT) | instid1(VALU_DEP_3)
	v_add_f32_e32 v2, v3, v2
	v_fma_f32 v5, v156, v8, -v5
	v_fmac_f32_e32 v151, v155, v6
	v_fma_f32 v4, v158, v10, -v4
	s_wait_loadcnt_dscnt 0x201
	v_dual_mul_f32 v178, v166, v19 :: v_dual_mul_f32 v179, v168, v21
	s_delay_alu instid0(VALU_DEP_3) | instskip(NEXT) | instid1(VALU_DEP_2)
	v_dual_add_f32 v2, v2, v5 :: v_dual_add_f32 v1, v1, v151
	v_dual_mul_f32 v3, v161, v13 :: v_dual_fmac_f32 v178, v167, v18
	s_wait_loadcnt_dscnt 0x100
	v_dual_mul_f32 v180, v170, v23 :: v_dual_mul_f32 v181, v172, v25
	s_delay_alu instid0(VALU_DEP_3)
	v_add_f32_e32 v2, v2, v4
	v_mul_f32_e32 v4, v165, v17
	v_fma_f32 v3, v160, v12, -v3
	v_add_f32_e32 v1, v1, v152
	v_fmac_f32_e32 v179, v169, v20
	v_fmac_f32_e32 v181, v173, v24
	v_fma_f32 v4, v164, v16, -v4
	v_mul_f32_e32 v5, v163, v15
	v_dual_add_f32 v2, v2, v3 :: v_dual_add_f32 v1, v1, v174
	v_fmac_f32_e32 v180, v171, v22
	s_delay_alu instid0(VALU_DEP_3) | instskip(NEXT) | instid1(VALU_DEP_1)
	v_fma_f32 v5, v162, v14, -v5
	v_dual_fmac_f32 v175, v161, v12 :: v_dual_add_f32 v2, v2, v5
	s_delay_alu instid0(VALU_DEP_1) | instskip(SKIP_1) | instid1(VALU_DEP_3)
	v_add_f32_e32 v2, v2, v4
	v_mul_f32_e32 v4, v171, v23
	v_add_f32_e32 v1, v1, v175
	s_delay_alu instid0(VALU_DEP_2) | instskip(SKIP_1) | instid1(VALU_DEP_1)
	v_fma_f32 v4, v170, v22, -v4
	v_mul_f32_e32 v5, v169, v21
	v_fma_f32 v5, v168, v20, -v5
	v_mul_f32_e32 v3, v167, v19
	s_delay_alu instid0(VALU_DEP_1) | instskip(NEXT) | instid1(VALU_DEP_1)
	v_fma_f32 v3, v166, v18, -v3
	v_dual_fmac_f32 v177, v165, v16 :: v_dual_add_f32 v2, v2, v3
	v_mul_f32_e32 v3, v173, v25
	s_delay_alu instid0(VALU_DEP_2) | instskip(NEXT) | instid1(VALU_DEP_2)
	v_add_f32_e32 v2, v2, v5
	v_fma_f32 v3, v172, v24, -v3
	s_delay_alu instid0(VALU_DEP_2) | instskip(NEXT) | instid1(VALU_DEP_1)
	v_add_f32_e32 v2, v2, v4
	v_dual_add_f32 v1, v1, v176 :: v_dual_add_f32 v2, v2, v3
	s_delay_alu instid0(VALU_DEP_1) | instskip(NEXT) | instid1(VALU_DEP_1)
	v_add_f32_e32 v1, v1, v177
	v_add_f32_e32 v1, v1, v178
	s_delay_alu instid0(VALU_DEP_1) | instskip(NEXT) | instid1(VALU_DEP_1)
	v_add_f32_e32 v1, v1, v179
	v_add_f32_e32 v1, v1, v180
	s_delay_alu instid0(VALU_DEP_1) | instskip(SKIP_1) | instid1(VALU_DEP_1)
	v_add_f32_e32 v3, v1, v181
	s_wait_loadcnt 0x0
	v_dual_sub_f32 v1, v30, v2 :: v_dual_sub_f32 v2, v31, v3
	scratch_store_b64 off, v[1:2], off offset:368
	v_cmpx_lt_u32_e32 45, v0
	s_cbranch_execz .LBB58_277
; %bb.276:
	scratch_load_b64 v[1:2], off, off offset:360
	v_mov_b32_e32 v3, 0
	s_delay_alu instid0(VALU_DEP_1)
	v_mov_b32_e32 v4, v3
	scratch_store_b64 off, v[3:4], off offset:360
	s_wait_loadcnt 0x0
	ds_store_b64 v153, v[1:2]
.LBB58_277:
	s_wait_alu 0xfffe
	s_or_b32 exec_lo, exec_lo, s0
	s_wait_storecnt_dscnt 0x0
	s_barrier_signal -1
	s_barrier_wait -1
	global_inv scope:SCOPE_SE
	s_clause 0x7
	scratch_load_b128 v[2:5], off, off offset:368
	scratch_load_b128 v[6:9], off, off offset:384
	;; [unrolled: 1-line block ×6, first 2 shown]
	scratch_load_b64 v[30:31], off, off offset:464
	scratch_load_b64 v[151:152], off, off offset:360
	v_mov_b32_e32 v1, 0
	ds_load_b128 v[26:29], v1 offset:848
	ds_load_b128 v[154:157], v1 offset:864
	;; [unrolled: 1-line block ×6, first 2 shown]
	ds_load_b64 v[174:175], v1 offset:944
	s_mov_b32 s0, exec_lo
	s_wait_loadcnt_dscnt 0x706
	v_mul_f32_e32 v32, v26, v3
	v_dual_mul_f32 v3, v27, v3 :: v_dual_mul_f32 v176, v28, v5
	s_wait_loadcnt_dscnt 0x302
	v_dual_mul_f32 v177, v154, v7 :: v_dual_mul_f32 v184, v168, v21
	v_mul_f32_e32 v5, v29, v5
	s_delay_alu instid0(VALU_DEP_3) | instskip(SKIP_3) | instid1(VALU_DEP_3)
	v_fma_f32 v3, v26, v2, -v3
	s_wait_loadcnt_dscnt 0x100
	v_dual_mul_f32 v187, v174, v31 :: v_dual_fmac_f32 v32, v27, v2
	v_mul_f32_e32 v2, v155, v7
	v_dual_fmac_f32 v176, v29, v4 :: v_dual_add_f32 v3, 0, v3
	v_fma_f32 v4, v28, v4, -v5
	v_dual_mul_f32 v178, v156, v9 :: v_dual_mul_f32 v179, v158, v11
	s_delay_alu instid0(VALU_DEP_4) | instskip(SKIP_1) | instid1(VALU_DEP_4)
	v_fma_f32 v2, v154, v6, -v2
	v_dual_mul_f32 v180, v160, v13 :: v_dual_mul_f32 v181, v162, v15
	v_add_f32_e32 v3, v3, v4
	v_add_f32_e32 v5, 0, v32
	v_dual_fmac_f32 v178, v157, v8 :: v_dual_fmac_f32 v179, v159, v10
	s_delay_alu instid0(VALU_DEP_4) | instskip(NEXT) | instid1(VALU_DEP_4)
	v_fmac_f32_e32 v180, v161, v12
	v_dual_add_f32 v2, v3, v2 :: v_dual_mul_f32 v7, v157, v9
	s_delay_alu instid0(VALU_DEP_4) | instskip(SKIP_2) | instid1(VALU_DEP_4)
	v_dual_fmac_f32 v177, v155, v6 :: v_dual_add_f32 v4, v5, v176
	v_dual_mul_f32 v5, v159, v11 :: v_dual_mul_f32 v182, v164, v17
	v_mul_f32_e32 v183, v166, v19
	v_fma_f32 v6, v156, v8, -v7
	s_delay_alu instid0(VALU_DEP_4)
	v_add_f32_e32 v3, v4, v177
	v_mul_f32_e32 v4, v161, v13
	v_fma_f32 v5, v158, v10, -v5
	v_dual_fmac_f32 v181, v163, v14 :: v_dual_fmac_f32 v182, v165, v16
	v_add_f32_e32 v2, v2, v6
	v_mul_f32_e32 v6, v163, v15
	v_add_f32_e32 v3, v3, v178
	v_fma_f32 v4, v160, v12, -v4
	v_dual_mul_f32 v185, v170, v23 :: v_dual_mul_f32 v186, v172, v25
	s_delay_alu instid0(VALU_DEP_3) | instskip(SKIP_2) | instid1(VALU_DEP_3)
	v_dual_add_f32 v2, v2, v5 :: v_dual_add_f32 v3, v3, v179
	v_mul_f32_e32 v5, v165, v17
	v_fma_f32 v6, v162, v14, -v6
	v_dual_fmac_f32 v183, v167, v18 :: v_dual_add_f32 v2, v2, v4
	s_delay_alu instid0(VALU_DEP_4) | instskip(SKIP_3) | instid1(VALU_DEP_4)
	v_add_f32_e32 v3, v3, v180
	v_mul_f32_e32 v4, v167, v19
	v_fma_f32 v5, v164, v16, -v5
	v_fmac_f32_e32 v184, v169, v20
	v_dual_add_f32 v2, v2, v6 :: v_dual_add_f32 v3, v3, v181
	v_mul_f32_e32 v6, v169, v21
	v_fma_f32 v4, v166, v18, -v4
	v_dual_fmac_f32 v185, v171, v22 :: v_dual_fmac_f32 v186, v173, v24
	s_delay_alu instid0(VALU_DEP_4) | instskip(SKIP_2) | instid1(VALU_DEP_3)
	v_dual_add_f32 v2, v2, v5 :: v_dual_add_f32 v3, v3, v182
	v_mul_f32_e32 v5, v171, v23
	v_fma_f32 v6, v168, v20, -v6
	v_dual_fmac_f32 v187, v175, v30 :: v_dual_add_f32 v2, v2, v4
	s_delay_alu instid0(VALU_DEP_4) | instskip(NEXT) | instid1(VALU_DEP_4)
	v_dual_add_f32 v3, v3, v183 :: v_dual_mul_f32 v4, v173, v25
	v_fma_f32 v5, v170, v22, -v5
	s_delay_alu instid0(VALU_DEP_2) | instskip(SKIP_1) | instid1(VALU_DEP_4)
	v_dual_add_f32 v2, v2, v6 :: v_dual_add_f32 v3, v3, v184
	v_mul_f32_e32 v6, v175, v31
	v_fma_f32 v4, v172, v24, -v4
	s_delay_alu instid0(VALU_DEP_3) | instskip(NEXT) | instid1(VALU_DEP_4)
	v_add_f32_e32 v2, v2, v5
	v_add_f32_e32 v3, v3, v185
	s_delay_alu instid0(VALU_DEP_4) | instskip(NEXT) | instid1(VALU_DEP_2)
	v_fma_f32 v5, v174, v30, -v6
	v_dual_add_f32 v2, v2, v4 :: v_dual_add_f32 v3, v3, v186
	s_delay_alu instid0(VALU_DEP_1) | instskip(SKIP_1) | instid1(VALU_DEP_1)
	v_dual_add_f32 v2, v2, v5 :: v_dual_add_f32 v3, v3, v187
	s_wait_loadcnt 0x0
	v_dual_sub_f32 v2, v151, v2 :: v_dual_sub_f32 v3, v152, v3
	scratch_store_b64 off, v[2:3], off offset:360
	v_cmpx_lt_u32_e32 44, v0
	s_cbranch_execz .LBB58_279
; %bb.278:
	scratch_load_b64 v[3:4], off, off offset:352
	v_mov_b32_e32 v2, v1
	scratch_store_b64 off, v[1:2], off offset:352
	s_wait_loadcnt 0x0
	ds_store_b64 v153, v[3:4]
.LBB58_279:
	s_wait_alu 0xfffe
	s_or_b32 exec_lo, exec_lo, s0
	s_wait_storecnt_dscnt 0x0
	s_barrier_signal -1
	s_barrier_wait -1
	global_inv scope:SCOPE_SE
	s_clause 0x7
	scratch_load_b128 v[2:5], off, off offset:360
	scratch_load_b128 v[6:9], off, off offset:376
	;; [unrolled: 1-line block ×7, first 2 shown]
	scratch_load_b64 v[30:31], off, off offset:352
	ds_load_2addr_b64 v[154:157], v1 offset0:105 offset1:106
	ds_load_2addr_b64 v[158:161], v1 offset0:107 offset1:108
	;; [unrolled: 1-line block ×7, first 2 shown]
	s_mov_b32 s0, exec_lo
	s_wait_loadcnt_dscnt 0x706
	v_dual_mul_f32 v1, v154, v3 :: v_dual_mul_f32 v32, v156, v5
	v_mul_f32_e32 v3, v155, v3
	v_mul_f32_e32 v5, v157, v5
	s_wait_loadcnt_dscnt 0x605
	v_dual_mul_f32 v151, v158, v7 :: v_dual_mul_f32 v152, v160, v9
	v_fmac_f32_e32 v32, v157, v4
	v_fma_f32 v3, v154, v2, -v3
	s_wait_loadcnt_dscnt 0x504
	v_dual_mul_f32 v182, v162, v11 :: v_dual_mul_f32 v183, v164, v13
	v_dual_fmac_f32 v1, v155, v2 :: v_dual_fmac_f32 v152, v161, v8
	v_mul_f32_e32 v2, v159, v7
	v_fma_f32 v4, v156, v4, -v5
	s_delay_alu instid0(VALU_DEP_4) | instskip(NEXT) | instid1(VALU_DEP_4)
	v_dual_add_f32 v3, 0, v3 :: v_dual_fmac_f32 v182, v163, v10
	v_add_f32_e32 v1, 0, v1
	s_delay_alu instid0(VALU_DEP_4) | instskip(SKIP_4) | instid1(VALU_DEP_3)
	v_fma_f32 v2, v158, v6, -v2
	s_wait_loadcnt_dscnt 0x403
	v_dual_mul_f32 v184, v166, v15 :: v_dual_mul_f32 v185, v168, v17
	v_add_f32_e32 v3, v3, v4
	v_dual_mul_f32 v5, v161, v9 :: v_dual_mul_f32 v4, v163, v11
	v_dual_add_f32 v1, v1, v32 :: v_dual_fmac_f32 v184, v167, v14
	s_delay_alu instid0(VALU_DEP_3) | instskip(NEXT) | instid1(VALU_DEP_3)
	v_add_f32_e32 v2, v3, v2
	v_fma_f32 v5, v160, v8, -v5
	v_fmac_f32_e32 v151, v159, v6
	v_fma_f32 v4, v162, v10, -v4
	s_wait_loadcnt_dscnt 0x302
	v_dual_mul_f32 v186, v170, v19 :: v_dual_mul_f32 v187, v172, v21
	s_delay_alu instid0(VALU_DEP_3) | instskip(NEXT) | instid1(VALU_DEP_2)
	v_dual_add_f32 v2, v2, v5 :: v_dual_add_f32 v1, v1, v151
	v_dual_mul_f32 v3, v165, v13 :: v_dual_fmac_f32 v186, v171, v18
	s_wait_loadcnt_dscnt 0x201
	v_dual_mul_f32 v188, v174, v23 :: v_dual_mul_f32 v189, v176, v25
	s_delay_alu instid0(VALU_DEP_3)
	v_add_f32_e32 v2, v2, v4
	v_mul_f32_e32 v4, v169, v17
	v_fma_f32 v3, v164, v12, -v3
	s_wait_loadcnt_dscnt 0x100
	v_dual_add_f32 v1, v1, v152 :: v_dual_mul_f32 v190, v178, v27
	v_mul_f32_e32 v191, v180, v29
	v_fma_f32 v4, v168, v16, -v4
	v_mul_f32_e32 v5, v167, v15
	s_delay_alu instid0(VALU_DEP_4) | instskip(SKIP_1) | instid1(VALU_DEP_3)
	v_dual_add_f32 v2, v2, v3 :: v_dual_add_f32 v1, v1, v182
	v_dual_fmac_f32 v188, v175, v22 :: v_dual_fmac_f32 v189, v177, v24
	v_fma_f32 v5, v166, v14, -v5
	v_dual_fmac_f32 v183, v165, v12 :: v_dual_fmac_f32 v190, v179, v26
	s_delay_alu instid0(VALU_DEP_2) | instskip(NEXT) | instid1(VALU_DEP_1)
	v_dual_fmac_f32 v191, v181, v28 :: v_dual_add_f32 v2, v2, v5
	v_add_f32_e32 v2, v2, v4
	v_mul_f32_e32 v4, v175, v23
	s_delay_alu instid0(VALU_DEP_4) | instskip(NEXT) | instid1(VALU_DEP_2)
	v_add_f32_e32 v1, v1, v183
	v_fma_f32 v4, v174, v22, -v4
	v_mul_f32_e32 v5, v173, v21
	s_delay_alu instid0(VALU_DEP_3) | instskip(NEXT) | instid1(VALU_DEP_2)
	v_add_f32_e32 v1, v1, v184
	v_fma_f32 v5, v172, v20, -v5
	v_mul_f32_e32 v3, v171, v19
	s_delay_alu instid0(VALU_DEP_1) | instskip(NEXT) | instid1(VALU_DEP_1)
	v_fma_f32 v3, v170, v18, -v3
	v_dual_fmac_f32 v185, v169, v16 :: v_dual_add_f32 v2, v2, v3
	v_mul_f32_e32 v3, v177, v25
	s_delay_alu instid0(VALU_DEP_2) | instskip(NEXT) | instid1(VALU_DEP_2)
	v_dual_add_f32 v2, v2, v5 :: v_dual_mul_f32 v5, v179, v27
	v_fma_f32 v3, v176, v24, -v3
	s_delay_alu instid0(VALU_DEP_2) | instskip(SKIP_1) | instid1(VALU_DEP_4)
	v_dual_add_f32 v2, v2, v4 :: v_dual_add_f32 v1, v1, v185
	v_mul_f32_e32 v4, v181, v29
	v_fma_f32 v5, v178, v26, -v5
	s_delay_alu instid0(VALU_DEP_3) | instskip(NEXT) | instid1(VALU_DEP_3)
	v_dual_add_f32 v2, v2, v3 :: v_dual_fmac_f32 v187, v173, v20
	v_fma_f32 v3, v180, v28, -v4
	s_delay_alu instid0(VALU_DEP_2) | instskip(NEXT) | instid1(VALU_DEP_1)
	v_dual_add_f32 v2, v2, v5 :: v_dual_add_f32 v1, v1, v186
	v_add_f32_e32 v2, v2, v3
	s_delay_alu instid0(VALU_DEP_2) | instskip(NEXT) | instid1(VALU_DEP_1)
	v_add_f32_e32 v1, v1, v187
	v_add_f32_e32 v1, v1, v188
	s_delay_alu instid0(VALU_DEP_1) | instskip(NEXT) | instid1(VALU_DEP_1)
	v_add_f32_e32 v1, v1, v189
	v_add_f32_e32 v1, v1, v190
	s_delay_alu instid0(VALU_DEP_1) | instskip(SKIP_1) | instid1(VALU_DEP_1)
	v_add_f32_e32 v3, v1, v191
	s_wait_loadcnt 0x0
	v_dual_sub_f32 v1, v30, v2 :: v_dual_sub_f32 v2, v31, v3
	scratch_store_b64 off, v[1:2], off offset:352
	v_cmpx_lt_u32_e32 43, v0
	s_cbranch_execz .LBB58_281
; %bb.280:
	scratch_load_b64 v[1:2], off, off offset:344
	v_mov_b32_e32 v3, 0
	s_delay_alu instid0(VALU_DEP_1)
	v_mov_b32_e32 v4, v3
	scratch_store_b64 off, v[3:4], off offset:344
	s_wait_loadcnt 0x0
	ds_store_b64 v153, v[1:2]
.LBB58_281:
	s_wait_alu 0xfffe
	s_or_b32 exec_lo, exec_lo, s0
	s_wait_storecnt_dscnt 0x0
	s_barrier_signal -1
	s_barrier_wait -1
	global_inv scope:SCOPE_SE
	s_clause 0x8
	scratch_load_b128 v[2:5], off, off offset:352
	scratch_load_b128 v[6:9], off, off offset:368
	;; [unrolled: 1-line block ×7, first 2 shown]
	scratch_load_b64 v[30:31], off, off offset:464
	scratch_load_b64 v[151:152], off, off offset:344
	v_mov_b32_e32 v1, 0
	ds_load_b128 v[154:157], v1 offset:832
	ds_load_b128 v[158:161], v1 offset:848
	;; [unrolled: 1-line block ×7, first 2 shown]
	ds_load_b64 v[182:183], v1 offset:944
	s_mov_b32 s0, exec_lo
	s_wait_loadcnt_dscnt 0x807
	v_mul_f32_e32 v32, v154, v3
	v_dual_mul_f32 v3, v155, v3 :: v_dual_mul_f32 v184, v156, v5
	s_wait_loadcnt_dscnt 0x706
	v_mul_f32_e32 v185, v158, v7
	v_mul_f32_e32 v5, v157, v5
	s_wait_loadcnt_dscnt 0x302
	v_mul_f32_e32 v194, v176, v25
	v_fma_f32 v3, v154, v2, -v3
	s_wait_loadcnt_dscnt 0x100
	v_dual_mul_f32 v197, v182, v31 :: v_dual_fmac_f32 v32, v155, v2
	v_mul_f32_e32 v2, v159, v7
	s_delay_alu instid0(VALU_DEP_3) | instskip(SKIP_2) | instid1(VALU_DEP_4)
	v_dual_fmac_f32 v184, v157, v4 :: v_dual_add_f32 v3, 0, v3
	v_fma_f32 v4, v156, v4, -v5
	v_dual_mul_f32 v186, v160, v9 :: v_dual_mul_f32 v187, v162, v11
	v_fma_f32 v2, v158, v6, -v2
	v_dual_mul_f32 v188, v164, v13 :: v_dual_mul_f32 v189, v166, v15
	s_delay_alu instid0(VALU_DEP_4) | instskip(SKIP_1) | instid1(VALU_DEP_3)
	v_add_f32_e32 v3, v3, v4
	v_add_f32_e32 v5, 0, v32
	v_dual_fmac_f32 v187, v163, v10 :: v_dual_fmac_f32 v188, v165, v12
	v_fmac_f32_e32 v186, v161, v8
	s_delay_alu instid0(VALU_DEP_4) | instskip(NEXT) | instid1(VALU_DEP_4)
	v_dual_add_f32 v2, v3, v2 :: v_dual_mul_f32 v7, v161, v9
	v_dual_fmac_f32 v185, v159, v6 :: v_dual_add_f32 v4, v5, v184
	v_dual_mul_f32 v5, v163, v11 :: v_dual_mul_f32 v190, v168, v17
	v_mul_f32_e32 v191, v170, v19
	s_delay_alu instid0(VALU_DEP_4) | instskip(NEXT) | instid1(VALU_DEP_4)
	v_fma_f32 v6, v160, v8, -v7
	v_add_f32_e32 v3, v4, v185
	v_mul_f32_e32 v4, v165, v13
	v_fma_f32 v5, v162, v10, -v5
	v_dual_fmac_f32 v189, v167, v14 :: v_dual_fmac_f32 v190, v169, v16
	v_add_f32_e32 v2, v2, v6
	v_mul_f32_e32 v6, v167, v15
	v_add_f32_e32 v3, v3, v186
	v_fma_f32 v4, v164, v12, -v4
	v_dual_mul_f32 v192, v172, v21 :: v_dual_mul_f32 v193, v174, v23
	s_delay_alu instid0(VALU_DEP_3) | instskip(SKIP_2) | instid1(VALU_DEP_3)
	v_dual_add_f32 v2, v2, v5 :: v_dual_add_f32 v3, v3, v187
	v_mul_f32_e32 v5, v169, v17
	v_fma_f32 v6, v166, v14, -v6
	v_dual_fmac_f32 v191, v171, v18 :: v_dual_add_f32 v2, v2, v4
	s_delay_alu instid0(VALU_DEP_4) | instskip(SKIP_3) | instid1(VALU_DEP_4)
	v_add_f32_e32 v3, v3, v188
	v_mul_f32_e32 v4, v171, v19
	v_fma_f32 v5, v168, v16, -v5
	v_fmac_f32_e32 v192, v173, v20
	v_dual_add_f32 v2, v2, v6 :: v_dual_add_f32 v3, v3, v189
	v_mul_f32_e32 v6, v173, v21
	v_fma_f32 v4, v170, v18, -v4
	v_dual_mul_f32 v195, v178, v27 :: v_dual_mul_f32 v196, v180, v29
	s_delay_alu instid0(VALU_DEP_4) | instskip(SKIP_3) | instid1(VALU_DEP_4)
	v_dual_add_f32 v2, v2, v5 :: v_dual_add_f32 v3, v3, v190
	v_mul_f32_e32 v5, v175, v23
	v_fma_f32 v6, v172, v20, -v6
	v_dual_fmac_f32 v193, v175, v22 :: v_dual_fmac_f32 v194, v177, v24
	v_dual_add_f32 v2, v2, v4 :: v_dual_add_f32 v3, v3, v191
	v_mul_f32_e32 v4, v177, v25
	v_fma_f32 v5, v174, v22, -v5
	v_fmac_f32_e32 v195, v179, v26
	s_delay_alu instid0(VALU_DEP_4) | instskip(SKIP_3) | instid1(VALU_DEP_4)
	v_dual_add_f32 v2, v2, v6 :: v_dual_add_f32 v3, v3, v192
	v_mul_f32_e32 v6, v179, v27
	v_fma_f32 v4, v176, v24, -v4
	v_fmac_f32_e32 v196, v181, v28
	v_add_f32_e32 v2, v2, v5
	v_add_f32_e32 v3, v3, v193
	v_mul_f32_e32 v5, v181, v29
	v_fma_f32 v6, v178, v26, -v6
	s_delay_alu instid0(VALU_DEP_3) | instskip(SKIP_1) | instid1(VALU_DEP_4)
	v_dual_add_f32 v2, v2, v4 :: v_dual_add_f32 v3, v3, v194
	v_mul_f32_e32 v4, v183, v31
	v_fma_f32 v5, v180, v28, -v5
	s_delay_alu instid0(VALU_DEP_3) | instskip(SKIP_1) | instid1(VALU_DEP_4)
	v_dual_add_f32 v2, v2, v6 :: v_dual_add_f32 v3, v3, v195
	v_fmac_f32_e32 v197, v183, v30
	v_fma_f32 v4, v182, v30, -v4
	s_delay_alu instid0(VALU_DEP_3) | instskip(NEXT) | instid1(VALU_DEP_1)
	v_dual_add_f32 v2, v2, v5 :: v_dual_add_f32 v3, v3, v196
	v_dual_add_f32 v2, v2, v4 :: v_dual_add_f32 v3, v3, v197
	s_wait_loadcnt 0x0
	s_delay_alu instid0(VALU_DEP_1)
	v_dual_sub_f32 v2, v151, v2 :: v_dual_sub_f32 v3, v152, v3
	scratch_store_b64 off, v[2:3], off offset:344
	v_cmpx_lt_u32_e32 42, v0
	s_cbranch_execz .LBB58_283
; %bb.282:
	scratch_load_b64 v[3:4], off, off offset:336
	v_mov_b32_e32 v2, v1
	scratch_store_b64 off, v[1:2], off offset:336
	s_wait_loadcnt 0x0
	ds_store_b64 v153, v[3:4]
.LBB58_283:
	s_wait_alu 0xfffe
	s_or_b32 exec_lo, exec_lo, s0
	s_wait_storecnt_dscnt 0x0
	s_barrier_signal -1
	s_barrier_wait -1
	global_inv scope:SCOPE_SE
	s_clause 0x8
	scratch_load_b128 v[2:5], off, off offset:344
	scratch_load_b128 v[6:9], off, off offset:360
	;; [unrolled: 1-line block ×8, first 2 shown]
	scratch_load_b64 v[30:31], off, off offset:336
	ds_load_2addr_b64 v[158:161], v1 offset0:103 offset1:104
	ds_load_2addr_b64 v[162:165], v1 offset0:105 offset1:106
	;; [unrolled: 1-line block ×8, first 2 shown]
	s_mov_b32 s0, exec_lo
	s_wait_loadcnt_dscnt 0x807
	v_dual_mul_f32 v1, v158, v3 :: v_dual_mul_f32 v32, v160, v5
	v_mul_f32_e32 v3, v159, v3
	v_mul_f32_e32 v5, v161, v5
	s_wait_loadcnt_dscnt 0x706
	v_dual_mul_f32 v151, v162, v7 :: v_dual_mul_f32 v152, v164, v9
	v_fmac_f32_e32 v32, v161, v4
	v_fma_f32 v3, v158, v2, -v3
	s_wait_loadcnt_dscnt 0x605
	v_dual_mul_f32 v190, v166, v11 :: v_dual_mul_f32 v191, v168, v13
	v_dual_fmac_f32 v1, v159, v2 :: v_dual_fmac_f32 v152, v165, v8
	v_mul_f32_e32 v2, v163, v7
	v_fma_f32 v4, v160, v4, -v5
	s_delay_alu instid0(VALU_DEP_4) | instskip(NEXT) | instid1(VALU_DEP_4)
	v_dual_add_f32 v3, 0, v3 :: v_dual_fmac_f32 v190, v167, v10
	v_add_f32_e32 v1, 0, v1
	s_delay_alu instid0(VALU_DEP_4) | instskip(SKIP_4) | instid1(VALU_DEP_3)
	v_fma_f32 v2, v162, v6, -v2
	s_wait_loadcnt_dscnt 0x504
	v_dual_mul_f32 v192, v170, v15 :: v_dual_mul_f32 v193, v172, v17
	v_add_f32_e32 v3, v3, v4
	v_dual_mul_f32 v5, v165, v9 :: v_dual_mul_f32 v4, v167, v11
	v_dual_add_f32 v1, v1, v32 :: v_dual_fmac_f32 v192, v171, v14
	s_delay_alu instid0(VALU_DEP_3) | instskip(NEXT) | instid1(VALU_DEP_3)
	v_add_f32_e32 v2, v3, v2
	v_fma_f32 v5, v164, v8, -v5
	v_fmac_f32_e32 v151, v163, v6
	v_fma_f32 v4, v166, v10, -v4
	s_wait_loadcnt_dscnt 0x403
	v_dual_mul_f32 v194, v174, v19 :: v_dual_mul_f32 v195, v176, v21
	s_delay_alu instid0(VALU_DEP_3) | instskip(NEXT) | instid1(VALU_DEP_2)
	v_dual_add_f32 v2, v2, v5 :: v_dual_add_f32 v1, v1, v151
	v_dual_mul_f32 v3, v169, v13 :: v_dual_fmac_f32 v194, v175, v18
	s_wait_loadcnt_dscnt 0x302
	v_dual_mul_f32 v196, v178, v23 :: v_dual_mul_f32 v197, v180, v25
	s_delay_alu instid0(VALU_DEP_3)
	v_add_f32_e32 v2, v2, v4
	v_mul_f32_e32 v4, v173, v17
	v_fma_f32 v3, v168, v12, -v3
	s_wait_loadcnt_dscnt 0x100
	v_dual_add_f32 v1, v1, v152 :: v_dual_mul_f32 v200, v186, v155
	v_mul_f32_e32 v201, v188, v157
	v_fma_f32 v4, v172, v16, -v4
	v_mul_f32_e32 v5, v171, v15
	s_delay_alu instid0(VALU_DEP_4) | instskip(SKIP_1) | instid1(VALU_DEP_3)
	v_dual_add_f32 v2, v2, v3 :: v_dual_add_f32 v1, v1, v190
	v_dual_mul_f32 v198, v182, v27 :: v_dual_mul_f32 v199, v184, v29
	v_fma_f32 v5, v170, v14, -v5
	v_dual_fmac_f32 v191, v169, v12 :: v_dual_fmac_f32 v196, v179, v22
	s_delay_alu instid0(VALU_DEP_3) | instskip(NEXT) | instid1(VALU_DEP_3)
	v_dual_fmac_f32 v198, v183, v26 :: v_dual_fmac_f32 v199, v185, v28
	v_dual_add_f32 v2, v2, v5 :: v_dual_fmac_f32 v201, v189, v156
	v_fmac_f32_e32 v200, v187, v154
	s_delay_alu instid0(VALU_DEP_2) | instskip(SKIP_2) | instid1(VALU_DEP_2)
	v_add_f32_e32 v2, v2, v4
	v_mul_f32_e32 v4, v179, v23
	v_add_f32_e32 v1, v1, v191
	v_fma_f32 v4, v178, v22, -v4
	v_mul_f32_e32 v5, v177, v21
	s_delay_alu instid0(VALU_DEP_3) | instskip(NEXT) | instid1(VALU_DEP_2)
	v_add_f32_e32 v1, v1, v192
	v_fma_f32 v5, v176, v20, -v5
	v_mul_f32_e32 v3, v175, v19
	s_delay_alu instid0(VALU_DEP_1) | instskip(NEXT) | instid1(VALU_DEP_1)
	v_fma_f32 v3, v174, v18, -v3
	v_dual_fmac_f32 v193, v173, v16 :: v_dual_add_f32 v2, v2, v3
	v_mul_f32_e32 v3, v181, v25
	s_delay_alu instid0(VALU_DEP_2) | instskip(NEXT) | instid1(VALU_DEP_2)
	v_dual_add_f32 v2, v2, v5 :: v_dual_mul_f32 v5, v183, v27
	v_fma_f32 v3, v180, v24, -v3
	s_delay_alu instid0(VALU_DEP_2) | instskip(SKIP_1) | instid1(VALU_DEP_4)
	v_dual_add_f32 v2, v2, v4 :: v_dual_add_f32 v1, v1, v193
	v_mul_f32_e32 v4, v185, v29
	v_fma_f32 v5, v182, v26, -v5
	s_delay_alu instid0(VALU_DEP_3) | instskip(SKIP_1) | instid1(VALU_DEP_4)
	v_dual_add_f32 v2, v2, v3 :: v_dual_fmac_f32 v195, v177, v20
	v_mul_f32_e32 v3, v187, v155
	v_fma_f32 v4, v184, v28, -v4
	s_delay_alu instid0(VALU_DEP_3) | instskip(SKIP_1) | instid1(VALU_DEP_4)
	v_dual_add_f32 v2, v2, v5 :: v_dual_add_f32 v1, v1, v194
	v_mul_f32_e32 v5, v189, v157
	v_fma_f32 v3, v186, v154, -v3
	s_delay_alu instid0(VALU_DEP_3) | instskip(SKIP_1) | instid1(VALU_DEP_4)
	v_add_f32_e32 v2, v2, v4
	v_fmac_f32_e32 v197, v181, v24
	v_fma_f32 v4, v188, v156, -v5
	s_delay_alu instid0(VALU_DEP_3) | instskip(NEXT) | instid1(VALU_DEP_1)
	v_add_f32_e32 v2, v2, v3
	v_dual_add_f32 v1, v1, v195 :: v_dual_add_f32 v2, v2, v4
	s_delay_alu instid0(VALU_DEP_1) | instskip(NEXT) | instid1(VALU_DEP_1)
	v_add_f32_e32 v1, v1, v196
	v_add_f32_e32 v1, v1, v197
	s_delay_alu instid0(VALU_DEP_1) | instskip(NEXT) | instid1(VALU_DEP_1)
	v_add_f32_e32 v1, v1, v198
	v_add_f32_e32 v1, v1, v199
	;; [unrolled: 3-line block ×3, first 2 shown]
	s_wait_loadcnt 0x0
	s_delay_alu instid0(VALU_DEP_1)
	v_dual_sub_f32 v1, v30, v2 :: v_dual_sub_f32 v2, v31, v3
	scratch_store_b64 off, v[1:2], off offset:336
	v_cmpx_lt_u32_e32 41, v0
	s_cbranch_execz .LBB58_285
; %bb.284:
	scratch_load_b64 v[1:2], off, off offset:328
	v_mov_b32_e32 v3, 0
	s_delay_alu instid0(VALU_DEP_1)
	v_mov_b32_e32 v4, v3
	scratch_store_b64 off, v[3:4], off offset:328
	s_wait_loadcnt 0x0
	ds_store_b64 v153, v[1:2]
.LBB58_285:
	s_wait_alu 0xfffe
	s_or_b32 exec_lo, exec_lo, s0
	s_wait_storecnt_dscnt 0x0
	s_barrier_signal -1
	s_barrier_wait -1
	global_inv scope:SCOPE_SE
	s_clause 0x9
	scratch_load_b128 v[2:5], off, off offset:336
	scratch_load_b128 v[6:9], off, off offset:352
	;; [unrolled: 1-line block ×8, first 2 shown]
	scratch_load_b64 v[30:31], off, off offset:464
	scratch_load_b64 v[151:152], off, off offset:328
	v_mov_b32_e32 v1, 0
	ds_load_b128 v[158:161], v1 offset:816
	ds_load_b128 v[162:165], v1 offset:832
	;; [unrolled: 1-line block ×8, first 2 shown]
	ds_load_b64 v[190:191], v1 offset:944
	s_mov_b32 s0, exec_lo
	s_wait_loadcnt_dscnt 0x908
	v_mul_f32_e32 v32, v158, v3
	s_wait_loadcnt_dscnt 0x807
	v_dual_mul_f32 v192, v160, v5 :: v_dual_mul_f32 v193, v162, v7
	v_mul_f32_e32 v3, v159, v3
	s_delay_alu instid0(VALU_DEP_3)
	v_dual_mul_f32 v5, v161, v5 :: v_dual_fmac_f32 v32, v159, v2
	s_wait_loadcnt_dscnt 0x302
	v_mul_f32_e32 v204, v184, v29
	v_dual_mul_f32 v194, v164, v9 :: v_dual_mul_f32 v195, v166, v11
	v_fma_f32 v3, v158, v2, -v3
	s_wait_loadcnt_dscnt 0x100
	v_mul_f32_e32 v207, v190, v31
	v_mul_f32_e32 v2, v163, v7
	v_fmac_f32_e32 v192, v161, v4
	v_fma_f32 v4, v160, v4, -v5
	v_dual_add_f32 v3, 0, v3 :: v_dual_mul_f32 v196, v168, v13
	v_mul_f32_e32 v197, v170, v15
	v_fma_f32 v2, v162, v6, -v2
	v_fmac_f32_e32 v195, v167, v10
	s_delay_alu instid0(VALU_DEP_4)
	v_add_f32_e32 v3, v3, v4
	v_add_f32_e32 v5, 0, v32
	v_fmac_f32_e32 v196, v169, v12
	v_fmac_f32_e32 v194, v165, v8
	v_dual_mul_f32 v198, v172, v17 :: v_dual_mul_f32 v199, v174, v19
	v_dual_add_f32 v2, v3, v2 :: v_dual_mul_f32 v7, v165, v9
	v_dual_fmac_f32 v193, v163, v6 :: v_dual_add_f32 v4, v5, v192
	v_mul_f32_e32 v5, v167, v11
	s_delay_alu instid0(VALU_DEP_4) | instskip(NEXT) | instid1(VALU_DEP_4)
	v_dual_fmac_f32 v197, v171, v14 :: v_dual_fmac_f32 v198, v173, v16
	v_fma_f32 v6, v164, v8, -v7
	s_delay_alu instid0(VALU_DEP_4)
	v_add_f32_e32 v3, v4, v193
	v_mul_f32_e32 v4, v169, v13
	v_fma_f32 v5, v166, v10, -v5
	v_dual_mul_f32 v200, v176, v21 :: v_dual_mul_f32 v201, v178, v23
	v_add_f32_e32 v2, v2, v6
	v_mul_f32_e32 v6, v171, v15
	v_add_f32_e32 v3, v3, v194
	v_fma_f32 v4, v168, v12, -v4
	v_dual_mul_f32 v202, v180, v25 :: v_dual_mul_f32 v203, v182, v27
	s_delay_alu instid0(VALU_DEP_3) | instskip(SKIP_2) | instid1(VALU_DEP_3)
	v_dual_add_f32 v2, v2, v5 :: v_dual_add_f32 v3, v3, v195
	v_mul_f32_e32 v5, v173, v17
	v_fma_f32 v6, v170, v14, -v6
	v_dual_fmac_f32 v199, v175, v18 :: v_dual_add_f32 v2, v2, v4
	s_delay_alu instid0(VALU_DEP_4) | instskip(SKIP_3) | instid1(VALU_DEP_4)
	v_add_f32_e32 v3, v3, v196
	v_mul_f32_e32 v4, v175, v19
	v_fma_f32 v5, v172, v16, -v5
	v_fmac_f32_e32 v200, v177, v20
	v_dual_add_f32 v2, v2, v6 :: v_dual_add_f32 v3, v3, v197
	v_mul_f32_e32 v6, v177, v21
	v_fma_f32 v4, v174, v18, -v4
	v_dual_fmac_f32 v201, v179, v22 :: v_dual_fmac_f32 v202, v181, v24
	s_delay_alu instid0(VALU_DEP_4) | instskip(SKIP_3) | instid1(VALU_DEP_4)
	v_dual_add_f32 v2, v2, v5 :: v_dual_add_f32 v3, v3, v198
	v_mul_f32_e32 v5, v179, v23
	v_fma_f32 v6, v176, v20, -v6
	v_dual_mul_f32 v205, v186, v155 :: v_dual_mul_f32 v206, v188, v157
	v_dual_add_f32 v2, v2, v4 :: v_dual_add_f32 v3, v3, v199
	v_mul_f32_e32 v4, v181, v25
	v_fma_f32 v5, v178, v22, -v5
	v_fmac_f32_e32 v203, v183, v26
	s_delay_alu instid0(VALU_DEP_4) | instskip(SKIP_3) | instid1(VALU_DEP_4)
	v_dual_add_f32 v2, v2, v6 :: v_dual_add_f32 v3, v3, v200
	v_mul_f32_e32 v6, v183, v27
	v_fma_f32 v4, v180, v24, -v4
	v_fmac_f32_e32 v204, v185, v28
	v_add_f32_e32 v2, v2, v5
	v_add_f32_e32 v3, v3, v201
	v_mul_f32_e32 v5, v185, v29
	v_fma_f32 v6, v182, v26, -v6
	s_delay_alu instid0(VALU_DEP_4) | instskip(NEXT) | instid1(VALU_DEP_4)
	v_dual_fmac_f32 v205, v187, v154 :: v_dual_add_f32 v2, v2, v4
	v_add_f32_e32 v3, v3, v202
	v_mul_f32_e32 v4, v187, v155
	v_fma_f32 v5, v184, v28, -v5
	v_fmac_f32_e32 v206, v189, v156
	s_delay_alu instid0(VALU_DEP_4) | instskip(SKIP_2) | instid1(VALU_DEP_3)
	v_dual_add_f32 v2, v2, v6 :: v_dual_add_f32 v3, v3, v203
	v_mul_f32_e32 v6, v189, v157
	v_fma_f32 v4, v186, v154, -v4
	v_dual_add_f32 v2, v2, v5 :: v_dual_add_f32 v3, v3, v204
	v_mul_f32_e32 v5, v191, v31
	s_delay_alu instid0(VALU_DEP_4) | instskip(NEXT) | instid1(VALU_DEP_3)
	v_fma_f32 v6, v188, v156, -v6
	v_dual_add_f32 v2, v2, v4 :: v_dual_add_f32 v3, v3, v205
	s_delay_alu instid0(VALU_DEP_3) | instskip(NEXT) | instid1(VALU_DEP_2)
	v_fma_f32 v4, v190, v30, -v5
	v_add_f32_e32 v3, v3, v206
	s_delay_alu instid0(VALU_DEP_3) | instskip(NEXT) | instid1(VALU_DEP_1)
	v_add_f32_e32 v2, v2, v6
	v_dual_fmac_f32 v207, v191, v30 :: v_dual_add_f32 v2, v2, v4
	s_delay_alu instid0(VALU_DEP_1) | instskip(SKIP_1) | instid1(VALU_DEP_1)
	v_add_f32_e32 v3, v3, v207
	s_wait_loadcnt 0x0
	v_dual_sub_f32 v2, v151, v2 :: v_dual_sub_f32 v3, v152, v3
	scratch_store_b64 off, v[2:3], off offset:328
	v_cmpx_lt_u32_e32 40, v0
	s_cbranch_execz .LBB58_287
; %bb.286:
	scratch_load_b64 v[3:4], off, off offset:320
	v_mov_b32_e32 v2, v1
	scratch_store_b64 off, v[1:2], off offset:320
	s_wait_loadcnt 0x0
	ds_store_b64 v153, v[3:4]
.LBB58_287:
	s_wait_alu 0xfffe
	s_or_b32 exec_lo, exec_lo, s0
	s_wait_storecnt_dscnt 0x0
	s_barrier_signal -1
	s_barrier_wait -1
	global_inv scope:SCOPE_SE
	s_clause 0x9
	scratch_load_b128 v[2:5], off, off offset:328
	scratch_load_b128 v[6:9], off, off offset:344
	scratch_load_b128 v[10:13], off, off offset:360
	scratch_load_b128 v[14:17], off, off offset:376
	scratch_load_b128 v[18:21], off, off offset:392
	scratch_load_b128 v[22:25], off, off offset:408
	scratch_load_b128 v[26:29], off, off offset:424
	scratch_load_b128 v[154:157], off, off offset:440
	scratch_load_b128 v[158:161], off, off offset:456
	scratch_load_b64 v[30:31], off, off offset:320
	ds_load_2addr_b64 v[162:165], v1 offset0:101 offset1:102
	ds_load_2addr_b64 v[166:169], v1 offset0:103 offset1:104
	;; [unrolled: 1-line block ×9, first 2 shown]
	s_mov_b32 s0, exec_lo
	s_wait_loadcnt_dscnt 0x908
	v_dual_mul_f32 v1, v162, v3 :: v_dual_mul_f32 v32, v164, v5
	v_mul_f32_e32 v3, v163, v3
	v_mul_f32_e32 v5, v165, v5
	s_wait_loadcnt_dscnt 0x807
	v_dual_mul_f32 v151, v166, v7 :: v_dual_mul_f32 v152, v168, v9
	v_fmac_f32_e32 v32, v165, v4
	v_fma_f32 v3, v162, v2, -v3
	s_wait_loadcnt_dscnt 0x706
	v_dual_mul_f32 v198, v170, v11 :: v_dual_mul_f32 v199, v172, v13
	v_dual_fmac_f32 v1, v163, v2 :: v_dual_fmac_f32 v152, v169, v8
	v_mul_f32_e32 v2, v167, v7
	v_fma_f32 v4, v164, v4, -v5
	s_delay_alu instid0(VALU_DEP_4) | instskip(NEXT) | instid1(VALU_DEP_4)
	v_dual_add_f32 v3, 0, v3 :: v_dual_fmac_f32 v198, v171, v10
	v_add_f32_e32 v1, 0, v1
	s_delay_alu instid0(VALU_DEP_4) | instskip(SKIP_4) | instid1(VALU_DEP_3)
	v_fma_f32 v2, v166, v6, -v2
	s_wait_loadcnt_dscnt 0x605
	v_dual_mul_f32 v200, v174, v15 :: v_dual_mul_f32 v201, v176, v17
	v_add_f32_e32 v3, v3, v4
	v_dual_mul_f32 v5, v169, v9 :: v_dual_mul_f32 v4, v171, v11
	v_dual_add_f32 v1, v1, v32 :: v_dual_fmac_f32 v200, v175, v14
	s_delay_alu instid0(VALU_DEP_3) | instskip(NEXT) | instid1(VALU_DEP_3)
	v_add_f32_e32 v2, v3, v2
	v_fma_f32 v5, v168, v8, -v5
	v_fmac_f32_e32 v151, v167, v6
	v_fma_f32 v4, v170, v10, -v4
	s_wait_loadcnt_dscnt 0x504
	v_dual_mul_f32 v202, v178, v19 :: v_dual_mul_f32 v203, v180, v21
	s_delay_alu instid0(VALU_DEP_3) | instskip(NEXT) | instid1(VALU_DEP_2)
	v_dual_add_f32 v2, v2, v5 :: v_dual_add_f32 v1, v1, v151
	v_dual_mul_f32 v3, v173, v13 :: v_dual_fmac_f32 v202, v179, v18
	s_wait_loadcnt_dscnt 0x403
	v_dual_mul_f32 v204, v182, v23 :: v_dual_mul_f32 v205, v184, v25
	s_delay_alu instid0(VALU_DEP_3)
	v_add_f32_e32 v2, v2, v4
	v_mul_f32_e32 v4, v177, v17
	v_fma_f32 v3, v172, v12, -v3
	s_wait_loadcnt_dscnt 0x201
	v_dual_add_f32 v1, v1, v152 :: v_dual_mul_f32 v208, v190, v155
	v_mul_f32_e32 v209, v192, v157
	v_fma_f32 v4, v176, v16, -v4
	v_mul_f32_e32 v5, v175, v15
	s_delay_alu instid0(VALU_DEP_4) | instskip(SKIP_1) | instid1(VALU_DEP_3)
	v_dual_add_f32 v2, v2, v3 :: v_dual_add_f32 v1, v1, v198
	v_dual_mul_f32 v206, v186, v27 :: v_dual_mul_f32 v207, v188, v29
	v_fma_f32 v5, v174, v14, -v5
	v_dual_fmac_f32 v199, v173, v12 :: v_dual_fmac_f32 v204, v183, v22
	s_delay_alu instid0(VALU_DEP_3) | instskip(SKIP_4) | instid1(VALU_DEP_3)
	v_fmac_f32_e32 v206, v187, v26
	s_wait_loadcnt_dscnt 0x100
	v_dual_mul_f32 v210, v194, v159 :: v_dual_mul_f32 v211, v196, v161
	v_dual_add_f32 v2, v2, v5 :: v_dual_fmac_f32 v205, v185, v24
	v_dual_fmac_f32 v209, v193, v156 :: v_dual_fmac_f32 v208, v191, v154
	v_fmac_f32_e32 v211, v197, v160
	s_delay_alu instid0(VALU_DEP_3) | instskip(SKIP_2) | instid1(VALU_DEP_2)
	v_add_f32_e32 v2, v2, v4
	v_mul_f32_e32 v4, v183, v23
	v_dual_add_f32 v1, v1, v199 :: v_dual_fmac_f32 v210, v195, v158
	v_fma_f32 v4, v182, v22, -v4
	v_mul_f32_e32 v5, v181, v21
	s_delay_alu instid0(VALU_DEP_3) | instskip(NEXT) | instid1(VALU_DEP_2)
	v_add_f32_e32 v1, v1, v200
	v_fma_f32 v5, v180, v20, -v5
	v_mul_f32_e32 v3, v179, v19
	s_delay_alu instid0(VALU_DEP_1) | instskip(NEXT) | instid1(VALU_DEP_1)
	v_fma_f32 v3, v178, v18, -v3
	v_dual_fmac_f32 v201, v177, v16 :: v_dual_add_f32 v2, v2, v3
	v_mul_f32_e32 v3, v185, v25
	s_delay_alu instid0(VALU_DEP_2) | instskip(NEXT) | instid1(VALU_DEP_2)
	v_dual_add_f32 v2, v2, v5 :: v_dual_mul_f32 v5, v187, v27
	v_fma_f32 v3, v184, v24, -v3
	s_delay_alu instid0(VALU_DEP_2) | instskip(SKIP_1) | instid1(VALU_DEP_4)
	v_dual_add_f32 v2, v2, v4 :: v_dual_add_f32 v1, v1, v201
	v_mul_f32_e32 v4, v189, v29
	v_fma_f32 v5, v186, v26, -v5
	s_delay_alu instid0(VALU_DEP_3) | instskip(NEXT) | instid1(VALU_DEP_3)
	v_dual_add_f32 v2, v2, v3 :: v_dual_fmac_f32 v203, v181, v20
	v_fma_f32 v4, v188, v28, -v4
	s_delay_alu instid0(VALU_DEP_2) | instskip(SKIP_1) | instid1(VALU_DEP_2)
	v_add_f32_e32 v2, v2, v5
	v_mul_f32_e32 v5, v193, v157
	v_dual_add_f32 v1, v1, v202 :: v_dual_add_f32 v2, v2, v4
	s_delay_alu instid0(VALU_DEP_2) | instskip(SKIP_1) | instid1(VALU_DEP_3)
	v_fma_f32 v5, v192, v156, -v5
	v_mul_f32_e32 v3, v191, v155
	v_add_f32_e32 v1, v1, v203
	v_mul_f32_e32 v4, v195, v159
	s_delay_alu instid0(VALU_DEP_3) | instskip(NEXT) | instid1(VALU_DEP_3)
	v_fma_f32 v3, v190, v154, -v3
	v_add_f32_e32 v1, v1, v204
	s_delay_alu instid0(VALU_DEP_3) | instskip(NEXT) | instid1(VALU_DEP_3)
	v_fma_f32 v4, v194, v158, -v4
	v_dual_add_f32 v2, v2, v3 :: v_dual_mul_f32 v3, v197, v161
	s_delay_alu instid0(VALU_DEP_1) | instskip(NEXT) | instid1(VALU_DEP_4)
	v_add_f32_e32 v2, v2, v5
	v_add_f32_e32 v1, v1, v205
	s_delay_alu instid0(VALU_DEP_3) | instskip(NEXT) | instid1(VALU_DEP_3)
	v_fma_f32 v3, v196, v160, -v3
	v_add_f32_e32 v2, v2, v4
	v_fmac_f32_e32 v207, v189, v28
	s_delay_alu instid0(VALU_DEP_2) | instskip(NEXT) | instid1(VALU_DEP_1)
	v_dual_add_f32 v1, v1, v206 :: v_dual_add_f32 v2, v2, v3
	v_add_f32_e32 v1, v1, v207
	s_delay_alu instid0(VALU_DEP_1) | instskip(NEXT) | instid1(VALU_DEP_1)
	v_add_f32_e32 v1, v1, v208
	v_add_f32_e32 v1, v1, v209
	s_delay_alu instid0(VALU_DEP_1) | instskip(NEXT) | instid1(VALU_DEP_1)
	v_add_f32_e32 v1, v1, v210
	v_add_f32_e32 v3, v1, v211
	s_wait_loadcnt 0x0
	s_delay_alu instid0(VALU_DEP_1)
	v_dual_sub_f32 v1, v30, v2 :: v_dual_sub_f32 v2, v31, v3
	scratch_store_b64 off, v[1:2], off offset:320
	v_cmpx_lt_u32_e32 39, v0
	s_cbranch_execz .LBB58_289
; %bb.288:
	scratch_load_b64 v[1:2], off, off offset:312
	v_mov_b32_e32 v3, 0
	s_delay_alu instid0(VALU_DEP_1)
	v_mov_b32_e32 v4, v3
	scratch_store_b64 off, v[3:4], off offset:312
	s_wait_loadcnt 0x0
	ds_store_b64 v153, v[1:2]
.LBB58_289:
	s_wait_alu 0xfffe
	s_or_b32 exec_lo, exec_lo, s0
	s_wait_storecnt_dscnt 0x0
	s_barrier_signal -1
	s_barrier_wait -1
	global_inv scope:SCOPE_SE
	s_clause 0xa
	scratch_load_b128 v[2:5], off, off offset:320
	scratch_load_b128 v[6:9], off, off offset:336
	;; [unrolled: 1-line block ×9, first 2 shown]
	scratch_load_b64 v[30:31], off, off offset:464
	scratch_load_b64 v[151:152], off, off offset:312
	v_mov_b32_e32 v1, 0
	ds_load_b128 v[162:165], v1 offset:800
	ds_load_b128 v[166:169], v1 offset:816
	;; [unrolled: 1-line block ×9, first 2 shown]
	ds_load_b64 v[198:199], v1 offset:944
	s_mov_b32 s0, exec_lo
	s_wait_loadcnt_dscnt 0xa09
	v_mul_f32_e32 v32, v162, v3
	s_wait_loadcnt_dscnt 0x908
	v_dual_mul_f32 v200, v164, v5 :: v_dual_mul_f32 v201, v166, v7
	v_mul_f32_e32 v3, v163, v3
	s_delay_alu instid0(VALU_DEP_3)
	v_dual_mul_f32 v5, v165, v5 :: v_dual_fmac_f32 v32, v163, v2
	s_wait_loadcnt_dscnt 0x807
	v_dual_mul_f32 v202, v168, v9 :: v_dual_mul_f32 v203, v170, v11
	s_wait_loadcnt_dscnt 0x302
	v_mul_f32_e32 v214, v192, v157
	v_fma_f32 v3, v162, v2, -v3
	s_wait_loadcnt_dscnt 0x100
	v_mul_f32_e32 v217, v198, v31
	v_mul_f32_e32 v2, v167, v7
	v_fmac_f32_e32 v200, v165, v4
	v_fma_f32 v4, v164, v4, -v5
	v_dual_add_f32 v3, 0, v3 :: v_dual_mul_f32 v204, v172, v13
	v_mul_f32_e32 v205, v174, v15
	v_fma_f32 v2, v166, v6, -v2
	v_fmac_f32_e32 v203, v171, v10
	s_delay_alu instid0(VALU_DEP_4) | instskip(SKIP_3) | instid1(VALU_DEP_4)
	v_add_f32_e32 v3, v3, v4
	v_add_f32_e32 v5, 0, v32
	v_fmac_f32_e32 v204, v173, v12
	v_dual_mul_f32 v206, v176, v17 :: v_dual_mul_f32 v207, v178, v19
	v_dual_add_f32 v2, v3, v2 :: v_dual_mul_f32 v7, v169, v9
	s_delay_alu instid0(VALU_DEP_4) | instskip(SKIP_1) | instid1(VALU_DEP_3)
	v_dual_fmac_f32 v201, v167, v6 :: v_dual_add_f32 v4, v5, v200
	v_dual_mul_f32 v5, v171, v11 :: v_dual_fmac_f32 v202, v169, v8
	v_fma_f32 v6, v168, v8, -v7
	v_dual_fmac_f32 v205, v175, v14 :: v_dual_fmac_f32 v206, v177, v16
	s_delay_alu instid0(VALU_DEP_4)
	v_add_f32_e32 v3, v4, v201
	v_mul_f32_e32 v4, v173, v13
	v_fma_f32 v5, v170, v10, -v5
	v_add_f32_e32 v2, v2, v6
	v_mul_f32_e32 v6, v175, v15
	v_add_f32_e32 v3, v3, v202
	v_fma_f32 v4, v172, v12, -v4
	v_dual_mul_f32 v208, v180, v21 :: v_dual_mul_f32 v209, v182, v23
	s_delay_alu instid0(VALU_DEP_3) | instskip(SKIP_3) | instid1(VALU_DEP_4)
	v_dual_add_f32 v2, v2, v5 :: v_dual_add_f32 v3, v3, v203
	v_mul_f32_e32 v5, v177, v17
	v_fma_f32 v6, v174, v14, -v6
	v_dual_mul_f32 v210, v184, v25 :: v_dual_mul_f32 v211, v186, v27
	v_add_f32_e32 v2, v2, v4
	v_add_f32_e32 v3, v3, v204
	v_mul_f32_e32 v4, v179, v19
	v_fma_f32 v5, v176, v16, -v5
	v_fmac_f32_e32 v207, v179, v18
	s_delay_alu instid0(VALU_DEP_4) | instskip(SKIP_3) | instid1(VALU_DEP_4)
	v_dual_add_f32 v2, v2, v6 :: v_dual_add_f32 v3, v3, v205
	v_fmac_f32_e32 v208, v181, v20
	v_mul_f32_e32 v6, v181, v21
	v_fma_f32 v4, v178, v18, -v4
	v_dual_add_f32 v2, v2, v5 :: v_dual_add_f32 v3, v3, v206
	v_mul_f32_e32 v5, v183, v23
	s_delay_alu instid0(VALU_DEP_4) | instskip(SKIP_1) | instid1(VALU_DEP_4)
	v_fma_f32 v6, v180, v20, -v6
	v_dual_fmac_f32 v209, v183, v22 :: v_dual_fmac_f32 v210, v185, v24
	v_dual_add_f32 v2, v2, v4 :: v_dual_add_f32 v3, v3, v207
	v_mul_f32_e32 v4, v185, v25
	v_fma_f32 v5, v182, v22, -v5
	v_fmac_f32_e32 v211, v187, v26
	s_delay_alu instid0(VALU_DEP_4) | instskip(SKIP_3) | instid1(VALU_DEP_4)
	v_dual_add_f32 v2, v2, v6 :: v_dual_add_f32 v3, v3, v208
	v_mul_f32_e32 v6, v187, v27
	v_fma_f32 v4, v184, v24, -v4
	v_dual_mul_f32 v212, v188, v29 :: v_dual_mul_f32 v213, v190, v155
	v_add_f32_e32 v2, v2, v5
	v_add_f32_e32 v3, v3, v209
	v_mul_f32_e32 v5, v189, v29
	v_fma_f32 v6, v186, v26, -v6
	v_fmac_f32_e32 v212, v189, v28
	s_delay_alu instid0(VALU_DEP_4) | instskip(SKIP_3) | instid1(VALU_DEP_4)
	v_dual_add_f32 v2, v2, v4 :: v_dual_add_f32 v3, v3, v210
	v_mul_f32_e32 v4, v191, v155
	v_fma_f32 v5, v188, v28, -v5
	v_fmac_f32_e32 v213, v191, v154
	v_dual_add_f32 v2, v2, v6 :: v_dual_add_f32 v3, v3, v211
	v_mul_f32_e32 v6, v193, v157
	v_fma_f32 v4, v190, v154, -v4
	v_dual_mul_f32 v215, v194, v159 :: v_dual_mul_f32 v216, v196, v161
	s_delay_alu instid0(VALU_DEP_4) | instskip(SKIP_2) | instid1(VALU_DEP_3)
	v_dual_add_f32 v2, v2, v5 :: v_dual_add_f32 v3, v3, v212
	v_dual_mul_f32 v5, v195, v159 :: v_dual_fmac_f32 v214, v193, v156
	v_fma_f32 v6, v192, v156, -v6
	v_dual_add_f32 v2, v2, v4 :: v_dual_add_f32 v3, v3, v213
	v_dual_mul_f32 v4, v197, v161 :: v_dual_fmac_f32 v215, v195, v158
	s_delay_alu instid0(VALU_DEP_4) | instskip(NEXT) | instid1(VALU_DEP_3)
	v_fma_f32 v5, v194, v158, -v5
	v_dual_fmac_f32 v216, v197, v160 :: v_dual_add_f32 v3, v3, v214
	s_delay_alu instid0(VALU_DEP_4) | instskip(SKIP_3) | instid1(VALU_DEP_4)
	v_add_f32_e32 v2, v2, v6
	v_mul_f32_e32 v6, v199, v31
	v_fma_f32 v4, v196, v160, -v4
	v_fmac_f32_e32 v217, v199, v30
	v_dual_add_f32 v3, v3, v215 :: v_dual_add_f32 v2, v2, v5
	s_delay_alu instid0(VALU_DEP_4) | instskip(NEXT) | instid1(VALU_DEP_2)
	v_fma_f32 v5, v198, v30, -v6
	v_add_f32_e32 v3, v3, v216
	s_delay_alu instid0(VALU_DEP_1) | instskip(SKIP_1) | instid1(VALU_DEP_1)
	v_dual_add_f32 v2, v2, v4 :: v_dual_add_f32 v3, v3, v217
	s_wait_loadcnt 0x0
	v_dual_add_f32 v2, v2, v5 :: v_dual_sub_f32 v3, v152, v3
	s_delay_alu instid0(VALU_DEP_1)
	v_sub_f32_e32 v2, v151, v2
	scratch_store_b64 off, v[2:3], off offset:312
	v_cmpx_lt_u32_e32 38, v0
	s_cbranch_execz .LBB58_291
; %bb.290:
	scratch_load_b64 v[3:4], off, off offset:304
	v_mov_b32_e32 v2, v1
	scratch_store_b64 off, v[1:2], off offset:304
	s_wait_loadcnt 0x0
	ds_store_b64 v153, v[3:4]
.LBB58_291:
	s_wait_alu 0xfffe
	s_or_b32 exec_lo, exec_lo, s0
	s_wait_storecnt_dscnt 0x0
	s_barrier_signal -1
	s_barrier_wait -1
	global_inv scope:SCOPE_SE
	s_clause 0xa
	scratch_load_b128 v[2:5], off, off offset:312
	scratch_load_b128 v[6:9], off, off offset:328
	;; [unrolled: 1-line block ×10, first 2 shown]
	scratch_load_b64 v[30:31], off, off offset:304
	ds_load_2addr_b64 v[166:169], v1 offset0:99 offset1:100
	ds_load_2addr_b64 v[170:173], v1 offset0:101 offset1:102
	;; [unrolled: 1-line block ×10, first 2 shown]
	s_mov_b32 s0, exec_lo
	s_wait_loadcnt_dscnt 0xa09
	v_dual_mul_f32 v1, v166, v3 :: v_dual_mul_f32 v32, v168, v5
	v_mul_f32_e32 v3, v167, v3
	v_mul_f32_e32 v5, v169, v5
	s_wait_loadcnt_dscnt 0x908
	v_dual_mul_f32 v151, v170, v7 :: v_dual_mul_f32 v152, v172, v9
	v_fmac_f32_e32 v32, v169, v4
	v_fma_f32 v3, v166, v2, -v3
	s_wait_loadcnt_dscnt 0x807
	v_dual_mul_f32 v206, v174, v11 :: v_dual_mul_f32 v207, v176, v13
	v_dual_fmac_f32 v1, v167, v2 :: v_dual_fmac_f32 v152, v173, v8
	v_mul_f32_e32 v2, v171, v7
	v_fma_f32 v4, v168, v4, -v5
	s_delay_alu instid0(VALU_DEP_4) | instskip(NEXT) | instid1(VALU_DEP_4)
	v_dual_add_f32 v3, 0, v3 :: v_dual_fmac_f32 v206, v175, v10
	v_add_f32_e32 v1, 0, v1
	s_delay_alu instid0(VALU_DEP_4) | instskip(SKIP_4) | instid1(VALU_DEP_3)
	v_fma_f32 v2, v170, v6, -v2
	s_wait_loadcnt_dscnt 0x706
	v_dual_mul_f32 v208, v178, v15 :: v_dual_mul_f32 v209, v180, v17
	v_add_f32_e32 v3, v3, v4
	v_dual_mul_f32 v5, v173, v9 :: v_dual_mul_f32 v4, v175, v11
	v_dual_add_f32 v1, v1, v32 :: v_dual_fmac_f32 v208, v179, v14
	s_delay_alu instid0(VALU_DEP_3) | instskip(NEXT) | instid1(VALU_DEP_3)
	v_add_f32_e32 v2, v3, v2
	v_fma_f32 v5, v172, v8, -v5
	v_fmac_f32_e32 v151, v171, v6
	v_fma_f32 v4, v174, v10, -v4
	s_wait_loadcnt_dscnt 0x605
	v_dual_mul_f32 v210, v182, v19 :: v_dual_mul_f32 v211, v184, v21
	s_delay_alu instid0(VALU_DEP_3) | instskip(NEXT) | instid1(VALU_DEP_2)
	v_dual_add_f32 v2, v2, v5 :: v_dual_add_f32 v1, v1, v151
	v_dual_mul_f32 v3, v177, v13 :: v_dual_fmac_f32 v210, v183, v18
	s_wait_loadcnt_dscnt 0x504
	v_dual_mul_f32 v212, v186, v23 :: v_dual_mul_f32 v213, v188, v25
	s_delay_alu instid0(VALU_DEP_3)
	v_add_f32_e32 v2, v2, v4
	v_mul_f32_e32 v4, v181, v17
	v_fma_f32 v3, v176, v12, -v3
	s_wait_loadcnt_dscnt 0x302
	v_dual_add_f32 v1, v1, v152 :: v_dual_mul_f32 v216, v194, v155
	v_mul_f32_e32 v217, v196, v157
	v_fma_f32 v4, v180, v16, -v4
	v_mul_f32_e32 v5, v179, v15
	s_delay_alu instid0(VALU_DEP_4) | instskip(SKIP_1) | instid1(VALU_DEP_3)
	v_dual_add_f32 v2, v2, v3 :: v_dual_add_f32 v1, v1, v206
	v_dual_mul_f32 v214, v190, v27 :: v_dual_mul_f32 v215, v192, v29
	v_fma_f32 v5, v178, v14, -v5
	v_dual_fmac_f32 v207, v177, v12 :: v_dual_fmac_f32 v212, v187, v22
	s_delay_alu instid0(VALU_DEP_3)
	v_fmac_f32_e32 v214, v191, v26
	s_wait_loadcnt_dscnt 0x201
	v_dual_mul_f32 v218, v198, v159 :: v_dual_mul_f32 v219, v200, v161
	v_dual_add_f32 v2, v2, v5 :: v_dual_fmac_f32 v213, v189, v24
	s_wait_loadcnt_dscnt 0x100
	v_dual_mul_f32 v220, v202, v163 :: v_dual_mul_f32 v221, v204, v165
	v_fmac_f32_e32 v215, v193, v28
	s_delay_alu instid0(VALU_DEP_3) | instskip(SKIP_1) | instid1(VALU_DEP_4)
	v_add_f32_e32 v2, v2, v4
	v_mul_f32_e32 v4, v187, v23
	v_dual_add_f32 v1, v1, v207 :: v_dual_fmac_f32 v220, v203, v162
	v_fmac_f32_e32 v217, v197, v156
	v_fmac_f32_e32 v219, v201, v160
	s_delay_alu instid0(VALU_DEP_4) | instskip(SKIP_3) | instid1(VALU_DEP_3)
	v_fma_f32 v4, v186, v22, -v4
	v_mul_f32_e32 v5, v185, v21
	v_dual_add_f32 v1, v1, v208 :: v_dual_fmac_f32 v216, v195, v154
	v_dual_fmac_f32 v221, v205, v164 :: v_dual_fmac_f32 v218, v199, v158
	v_fma_f32 v5, v184, v20, -v5
	v_mul_f32_e32 v3, v183, v19
	s_delay_alu instid0(VALU_DEP_1) | instskip(NEXT) | instid1(VALU_DEP_1)
	v_fma_f32 v3, v182, v18, -v3
	v_dual_fmac_f32 v209, v181, v16 :: v_dual_add_f32 v2, v2, v3
	v_mul_f32_e32 v3, v189, v25
	s_delay_alu instid0(VALU_DEP_2) | instskip(NEXT) | instid1(VALU_DEP_2)
	v_dual_add_f32 v2, v2, v5 :: v_dual_mul_f32 v5, v191, v27
	v_fma_f32 v3, v188, v24, -v3
	s_delay_alu instid0(VALU_DEP_2) | instskip(SKIP_1) | instid1(VALU_DEP_4)
	v_dual_add_f32 v2, v2, v4 :: v_dual_add_f32 v1, v1, v209
	v_mul_f32_e32 v4, v193, v29
	v_fma_f32 v5, v190, v26, -v5
	s_delay_alu instid0(VALU_DEP_3) | instskip(NEXT) | instid1(VALU_DEP_3)
	v_dual_add_f32 v2, v2, v3 :: v_dual_fmac_f32 v211, v185, v20
	v_fma_f32 v4, v192, v28, -v4
	s_delay_alu instid0(VALU_DEP_2) | instskip(SKIP_1) | instid1(VALU_DEP_2)
	v_add_f32_e32 v2, v2, v5
	v_mul_f32_e32 v5, v197, v157
	v_dual_add_f32 v1, v1, v210 :: v_dual_add_f32 v2, v2, v4
	s_delay_alu instid0(VALU_DEP_2) | instskip(SKIP_1) | instid1(VALU_DEP_3)
	v_fma_f32 v5, v196, v156, -v5
	v_mul_f32_e32 v3, v195, v155
	v_add_f32_e32 v1, v1, v211
	v_mul_f32_e32 v4, v199, v159
	s_delay_alu instid0(VALU_DEP_3) | instskip(NEXT) | instid1(VALU_DEP_3)
	v_fma_f32 v3, v194, v154, -v3
	v_add_f32_e32 v1, v1, v212
	s_delay_alu instid0(VALU_DEP_3) | instskip(NEXT) | instid1(VALU_DEP_3)
	v_fma_f32 v4, v198, v158, -v4
	v_dual_add_f32 v2, v2, v3 :: v_dual_mul_f32 v3, v201, v161
	s_delay_alu instid0(VALU_DEP_1) | instskip(NEXT) | instid1(VALU_DEP_4)
	v_add_f32_e32 v2, v2, v5
	v_add_f32_e32 v1, v1, v213
	v_mul_f32_e32 v5, v203, v163
	s_delay_alu instid0(VALU_DEP_4) | instskip(NEXT) | instid1(VALU_DEP_3)
	v_fma_f32 v3, v200, v160, -v3
	v_dual_add_f32 v2, v2, v4 :: v_dual_add_f32 v1, v1, v214
	v_mul_f32_e32 v4, v205, v165
	s_delay_alu instid0(VALU_DEP_4) | instskip(NEXT) | instid1(VALU_DEP_3)
	v_fma_f32 v5, v202, v162, -v5
	v_add_f32_e32 v2, v2, v3
	s_delay_alu instid0(VALU_DEP_4) | instskip(NEXT) | instid1(VALU_DEP_4)
	v_add_f32_e32 v1, v1, v215
	v_fma_f32 v3, v204, v164, -v4
	s_delay_alu instid0(VALU_DEP_2) | instskip(NEXT) | instid1(VALU_DEP_1)
	v_dual_add_f32 v2, v2, v5 :: v_dual_add_f32 v1, v1, v216
	v_dual_add_f32 v2, v2, v3 :: v_dual_add_f32 v1, v1, v217
	s_delay_alu instid0(VALU_DEP_1) | instskip(NEXT) | instid1(VALU_DEP_1)
	v_add_f32_e32 v1, v1, v218
	v_add_f32_e32 v1, v1, v219
	s_delay_alu instid0(VALU_DEP_1) | instskip(NEXT) | instid1(VALU_DEP_1)
	v_add_f32_e32 v1, v1, v220
	v_add_f32_e32 v3, v1, v221
	s_wait_loadcnt 0x0
	s_delay_alu instid0(VALU_DEP_1)
	v_dual_sub_f32 v1, v30, v2 :: v_dual_sub_f32 v2, v31, v3
	scratch_store_b64 off, v[1:2], off offset:304
	v_cmpx_lt_u32_e32 37, v0
	s_cbranch_execz .LBB58_293
; %bb.292:
	scratch_load_b64 v[1:2], off, off offset:296
	v_mov_b32_e32 v3, 0
	s_delay_alu instid0(VALU_DEP_1)
	v_mov_b32_e32 v4, v3
	scratch_store_b64 off, v[3:4], off offset:296
	s_wait_loadcnt 0x0
	ds_store_b64 v153, v[1:2]
.LBB58_293:
	s_wait_alu 0xfffe
	s_or_b32 exec_lo, exec_lo, s0
	s_wait_storecnt_dscnt 0x0
	s_barrier_signal -1
	s_barrier_wait -1
	global_inv scope:SCOPE_SE
	s_clause 0xb
	scratch_load_b128 v[2:5], off, off offset:304
	scratch_load_b128 v[6:9], off, off offset:320
	;; [unrolled: 1-line block ×10, first 2 shown]
	scratch_load_b64 v[30:31], off, off offset:464
	scratch_load_b64 v[151:152], off, off offset:296
	v_mov_b32_e32 v1, 0
	ds_load_b128 v[166:169], v1 offset:784
	ds_load_b128 v[170:173], v1 offset:800
	ds_load_b128 v[174:177], v1 offset:816
	ds_load_b128 v[178:181], v1 offset:832
	ds_load_b128 v[182:185], v1 offset:848
	ds_load_b128 v[186:189], v1 offset:864
	ds_load_b128 v[190:193], v1 offset:880
	ds_load_b128 v[194:197], v1 offset:896
	ds_load_b128 v[198:201], v1 offset:912
	ds_load_b128 v[202:205], v1 offset:928
	ds_load_b64 v[206:207], v1 offset:944
	s_mov_b32 s0, exec_lo
	s_wait_loadcnt_dscnt 0xb0a
	v_mul_f32_e32 v32, v166, v3
	s_wait_loadcnt_dscnt 0xa09
	v_dual_mul_f32 v208, v168, v5 :: v_dual_mul_f32 v209, v170, v7
	v_mul_f32_e32 v5, v169, v5
	v_dual_mul_f32 v3, v167, v3 :: v_dual_mul_f32 v210, v172, v9
	s_wait_loadcnt_dscnt 0x908
	v_dual_mul_f32 v211, v174, v11 :: v_dual_fmac_f32 v32, v167, v2
	s_wait_loadcnt_dscnt 0x302
	v_mul_f32_e32 v224, v200, v161
	v_fma_f32 v3, v166, v2, -v3
	s_wait_loadcnt_dscnt 0x100
	v_mul_f32_e32 v227, v206, v31
	v_mul_f32_e32 v2, v171, v7
	v_fmac_f32_e32 v208, v169, v4
	v_fma_f32 v4, v168, v4, -v5
	v_dual_add_f32 v3, 0, v3 :: v_dual_mul_f32 v212, v176, v13
	v_mul_f32_e32 v213, v178, v15
	v_fma_f32 v2, v170, v6, -v2
	v_fmac_f32_e32 v211, v175, v10
	s_delay_alu instid0(VALU_DEP_4) | instskip(SKIP_3) | instid1(VALU_DEP_4)
	v_add_f32_e32 v3, v3, v4
	v_add_f32_e32 v5, 0, v32
	v_fmac_f32_e32 v212, v177, v12
	v_dual_mul_f32 v214, v180, v17 :: v_dual_mul_f32 v215, v182, v19
	v_dual_add_f32 v2, v3, v2 :: v_dual_mul_f32 v7, v173, v9
	s_delay_alu instid0(VALU_DEP_4) | instskip(SKIP_1) | instid1(VALU_DEP_3)
	v_dual_fmac_f32 v209, v171, v6 :: v_dual_add_f32 v4, v5, v208
	v_dual_mul_f32 v5, v175, v11 :: v_dual_fmac_f32 v210, v173, v8
	v_fma_f32 v6, v172, v8, -v7
	v_dual_fmac_f32 v213, v179, v14 :: v_dual_fmac_f32 v214, v181, v16
	s_delay_alu instid0(VALU_DEP_4)
	v_add_f32_e32 v3, v4, v209
	v_mul_f32_e32 v4, v177, v13
	v_fma_f32 v5, v174, v10, -v5
	v_add_f32_e32 v2, v2, v6
	v_mul_f32_e32 v6, v179, v15
	v_add_f32_e32 v3, v3, v210
	v_fma_f32 v4, v176, v12, -v4
	v_dual_mul_f32 v216, v184, v21 :: v_dual_mul_f32 v217, v186, v23
	s_delay_alu instid0(VALU_DEP_3) | instskip(SKIP_3) | instid1(VALU_DEP_4)
	v_dual_add_f32 v2, v2, v5 :: v_dual_add_f32 v3, v3, v211
	v_mul_f32_e32 v5, v181, v17
	v_fma_f32 v6, v178, v14, -v6
	v_dual_mul_f32 v218, v188, v25 :: v_dual_mul_f32 v219, v190, v27
	v_add_f32_e32 v2, v2, v4
	v_add_f32_e32 v3, v3, v212
	v_mul_f32_e32 v4, v183, v19
	v_fma_f32 v5, v180, v16, -v5
	v_fmac_f32_e32 v215, v183, v18
	s_delay_alu instid0(VALU_DEP_4) | instskip(SKIP_3) | instid1(VALU_DEP_4)
	v_dual_add_f32 v2, v2, v6 :: v_dual_add_f32 v3, v3, v213
	v_fmac_f32_e32 v216, v185, v20
	v_mul_f32_e32 v6, v185, v21
	v_fma_f32 v4, v182, v18, -v4
	v_dual_add_f32 v2, v2, v5 :: v_dual_add_f32 v3, v3, v214
	v_mul_f32_e32 v5, v187, v23
	s_delay_alu instid0(VALU_DEP_4) | instskip(SKIP_1) | instid1(VALU_DEP_4)
	v_fma_f32 v6, v184, v20, -v6
	v_dual_fmac_f32 v217, v187, v22 :: v_dual_fmac_f32 v218, v189, v24
	v_dual_add_f32 v2, v2, v4 :: v_dual_add_f32 v3, v3, v215
	v_mul_f32_e32 v4, v189, v25
	v_fma_f32 v5, v186, v22, -v5
	v_dual_mul_f32 v220, v192, v29 :: v_dual_mul_f32 v221, v194, v155
	s_delay_alu instid0(VALU_DEP_4) | instskip(SKIP_2) | instid1(VALU_DEP_3)
	v_dual_add_f32 v2, v2, v6 :: v_dual_add_f32 v3, v3, v216
	v_mul_f32_e32 v6, v191, v27
	v_fma_f32 v4, v188, v24, -v4
	v_dual_fmac_f32 v219, v191, v26 :: v_dual_add_f32 v2, v2, v5
	s_delay_alu instid0(VALU_DEP_4) | instskip(SKIP_3) | instid1(VALU_DEP_4)
	v_add_f32_e32 v3, v3, v217
	v_mul_f32_e32 v5, v193, v29
	v_fma_f32 v6, v190, v26, -v6
	v_fmac_f32_e32 v220, v193, v28
	v_dual_add_f32 v2, v2, v4 :: v_dual_add_f32 v3, v3, v218
	v_mul_f32_e32 v4, v195, v155
	v_fma_f32 v5, v192, v28, -v5
	v_dual_mul_f32 v222, v196, v157 :: v_dual_mul_f32 v223, v198, v159
	s_delay_alu instid0(VALU_DEP_4) | instskip(SKIP_2) | instid1(VALU_DEP_3)
	v_dual_add_f32 v2, v2, v6 :: v_dual_add_f32 v3, v3, v219
	v_dual_mul_f32 v6, v197, v157 :: v_dual_fmac_f32 v221, v195, v154
	v_fma_f32 v4, v194, v154, -v4
	v_dual_add_f32 v2, v2, v5 :: v_dual_add_f32 v3, v3, v220
	v_dual_mul_f32 v5, v199, v159 :: v_dual_fmac_f32 v222, v197, v156
	s_delay_alu instid0(VALU_DEP_4) | instskip(NEXT) | instid1(VALU_DEP_3)
	v_fma_f32 v6, v196, v156, -v6
	v_dual_add_f32 v2, v2, v4 :: v_dual_add_f32 v3, v3, v221
	v_dual_mul_f32 v4, v201, v161 :: v_dual_fmac_f32 v223, v199, v158
	s_delay_alu instid0(VALU_DEP_4) | instskip(NEXT) | instid1(VALU_DEP_3)
	v_fma_f32 v5, v198, v158, -v5
	v_dual_fmac_f32 v224, v201, v160 :: v_dual_add_f32 v3, v3, v222
	s_delay_alu instid0(VALU_DEP_4) | instskip(SKIP_3) | instid1(VALU_DEP_4)
	v_add_f32_e32 v2, v2, v6
	v_dual_mul_f32 v225, v202, v163 :: v_dual_mul_f32 v226, v204, v165
	v_mul_f32_e32 v6, v203, v163
	v_fma_f32 v4, v200, v160, -v4
	v_dual_add_f32 v3, v3, v223 :: v_dual_add_f32 v2, v2, v5
	s_delay_alu instid0(VALU_DEP_4) | instskip(SKIP_2) | instid1(VALU_DEP_4)
	v_fmac_f32_e32 v225, v203, v162
	v_mul_f32_e32 v5, v205, v165
	v_fma_f32 v6, v202, v162, -v6
	v_add_f32_e32 v3, v3, v224
	v_add_f32_e32 v2, v2, v4
	v_mul_f32_e32 v4, v207, v31
	v_dual_fmac_f32 v226, v205, v164 :: v_dual_fmac_f32 v227, v207, v30
	v_fma_f32 v5, v204, v164, -v5
	s_delay_alu instid0(VALU_DEP_4) | instskip(NEXT) | instid1(VALU_DEP_4)
	v_dual_add_f32 v3, v3, v225 :: v_dual_add_f32 v2, v2, v6
	v_fma_f32 v4, v206, v30, -v4
	s_delay_alu instid0(VALU_DEP_2) | instskip(NEXT) | instid1(VALU_DEP_1)
	v_dual_add_f32 v3, v3, v226 :: v_dual_add_f32 v2, v2, v5
	v_dual_add_f32 v3, v3, v227 :: v_dual_add_f32 v2, v2, v4
	s_wait_loadcnt 0x0
	s_delay_alu instid0(VALU_DEP_1)
	v_dual_sub_f32 v3, v152, v3 :: v_dual_sub_f32 v2, v151, v2
	scratch_store_b64 off, v[2:3], off offset:296
	v_cmpx_lt_u32_e32 36, v0
	s_cbranch_execz .LBB58_295
; %bb.294:
	scratch_load_b64 v[3:4], off, off offset:288
	v_mov_b32_e32 v2, v1
	scratch_store_b64 off, v[1:2], off offset:288
	s_wait_loadcnt 0x0
	ds_store_b64 v153, v[3:4]
.LBB58_295:
	s_wait_alu 0xfffe
	s_or_b32 exec_lo, exec_lo, s0
	s_wait_storecnt_dscnt 0x0
	s_barrier_signal -1
	s_barrier_wait -1
	global_inv scope:SCOPE_SE
	s_clause 0xb
	scratch_load_b128 v[2:5], off, off offset:296
	scratch_load_b128 v[6:9], off, off offset:312
	;; [unrolled: 1-line block ×11, first 2 shown]
	scratch_load_b64 v[30:31], off, off offset:288
	ds_load_2addr_b64 v[170:173], v1 offset0:97 offset1:98
	ds_load_2addr_b64 v[174:177], v1 offset0:99 offset1:100
	;; [unrolled: 1-line block ×11, first 2 shown]
	s_mov_b32 s0, exec_lo
	s_wait_loadcnt_dscnt 0xb0a
	v_dual_mul_f32 v1, v170, v3 :: v_dual_mul_f32 v32, v172, v5
	v_mul_f32_e32 v3, v171, v3
	v_mul_f32_e32 v5, v173, v5
	s_wait_loadcnt_dscnt 0xa09
	v_dual_mul_f32 v151, v174, v7 :: v_dual_mul_f32 v152, v176, v9
	v_fmac_f32_e32 v32, v173, v4
	v_fma_f32 v3, v170, v2, -v3
	s_wait_loadcnt_dscnt 0x908
	v_dual_mul_f32 v214, v178, v11 :: v_dual_mul_f32 v215, v180, v13
	v_dual_fmac_f32 v1, v171, v2 :: v_dual_fmac_f32 v152, v177, v8
	v_mul_f32_e32 v2, v175, v7
	v_fma_f32 v4, v172, v4, -v5
	s_delay_alu instid0(VALU_DEP_4) | instskip(NEXT) | instid1(VALU_DEP_4)
	v_dual_add_f32 v3, 0, v3 :: v_dual_fmac_f32 v214, v179, v10
	v_add_f32_e32 v1, 0, v1
	s_delay_alu instid0(VALU_DEP_4) | instskip(SKIP_4) | instid1(VALU_DEP_3)
	v_fma_f32 v2, v174, v6, -v2
	s_wait_loadcnt_dscnt 0x807
	v_dual_mul_f32 v216, v182, v15 :: v_dual_mul_f32 v217, v184, v17
	v_add_f32_e32 v3, v3, v4
	v_dual_mul_f32 v5, v177, v9 :: v_dual_mul_f32 v4, v179, v11
	v_dual_add_f32 v1, v1, v32 :: v_dual_fmac_f32 v216, v183, v14
	s_delay_alu instid0(VALU_DEP_3) | instskip(NEXT) | instid1(VALU_DEP_3)
	v_add_f32_e32 v2, v3, v2
	v_fma_f32 v5, v176, v8, -v5
	v_fmac_f32_e32 v151, v175, v6
	v_fma_f32 v4, v178, v10, -v4
	s_wait_loadcnt_dscnt 0x706
	v_dual_mul_f32 v218, v186, v19 :: v_dual_mul_f32 v219, v188, v21
	s_delay_alu instid0(VALU_DEP_3) | instskip(NEXT) | instid1(VALU_DEP_2)
	v_dual_add_f32 v2, v2, v5 :: v_dual_add_f32 v1, v1, v151
	v_dual_mul_f32 v3, v181, v13 :: v_dual_fmac_f32 v218, v187, v18
	s_wait_loadcnt_dscnt 0x605
	v_dual_mul_f32 v220, v190, v23 :: v_dual_mul_f32 v221, v192, v25
	s_delay_alu instid0(VALU_DEP_3)
	v_add_f32_e32 v2, v2, v4
	v_mul_f32_e32 v4, v185, v17
	v_fma_f32 v3, v180, v12, -v3
	s_wait_loadcnt_dscnt 0x403
	v_dual_add_f32 v1, v1, v152 :: v_dual_mul_f32 v224, v198, v155
	v_mul_f32_e32 v225, v200, v157
	v_fma_f32 v4, v184, v16, -v4
	v_mul_f32_e32 v5, v183, v15
	s_delay_alu instid0(VALU_DEP_4) | instskip(SKIP_1) | instid1(VALU_DEP_3)
	v_dual_add_f32 v2, v2, v3 :: v_dual_add_f32 v1, v1, v214
	v_dual_mul_f32 v222, v194, v27 :: v_dual_mul_f32 v223, v196, v29
	v_fma_f32 v5, v182, v14, -v5
	v_dual_fmac_f32 v215, v181, v12 :: v_dual_fmac_f32 v220, v191, v22
	s_delay_alu instid0(VALU_DEP_3)
	v_fmac_f32_e32 v222, v195, v26
	s_wait_loadcnt_dscnt 0x100
	v_dual_mul_f32 v230, v210, v167 :: v_dual_mul_f32 v231, v212, v169
	v_add_f32_e32 v2, v2, v5
	v_dual_mul_f32 v226, v202, v159 :: v_dual_mul_f32 v227, v204, v161
	v_dual_fmac_f32 v221, v193, v24 :: v_dual_mul_f32 v228, v206, v163
	s_delay_alu instid0(VALU_DEP_3) | instskip(SKIP_2) | instid1(VALU_DEP_4)
	v_dual_mul_f32 v229, v208, v165 :: v_dual_add_f32 v2, v2, v4
	v_mul_f32_e32 v4, v191, v23
	v_add_f32_e32 v1, v1, v215
	v_dual_fmac_f32 v223, v197, v28 :: v_dual_fmac_f32 v228, v207, v162
	v_fmac_f32_e32 v224, v199, v154
	s_delay_alu instid0(VALU_DEP_4)
	v_fma_f32 v4, v190, v22, -v4
	v_mul_f32_e32 v5, v189, v21
	v_add_f32_e32 v1, v1, v216
	v_fmac_f32_e32 v227, v205, v160
	v_fmac_f32_e32 v229, v209, v164
	;; [unrolled: 1-line block ×3, first 2 shown]
	v_fma_f32 v5, v188, v20, -v5
	v_mul_f32_e32 v3, v187, v19
	v_fmac_f32_e32 v230, v211, v166
	v_fmac_f32_e32 v226, v203, v158
	s_delay_alu instid0(VALU_DEP_3) | instskip(NEXT) | instid1(VALU_DEP_1)
	v_fma_f32 v3, v186, v18, -v3
	v_dual_fmac_f32 v217, v185, v16 :: v_dual_add_f32 v2, v2, v3
	v_mul_f32_e32 v3, v193, v25
	s_delay_alu instid0(VALU_DEP_2) | instskip(NEXT) | instid1(VALU_DEP_2)
	v_dual_add_f32 v2, v2, v5 :: v_dual_mul_f32 v5, v195, v27
	v_fma_f32 v3, v192, v24, -v3
	s_delay_alu instid0(VALU_DEP_2) | instskip(SKIP_1) | instid1(VALU_DEP_4)
	v_dual_add_f32 v2, v2, v4 :: v_dual_add_f32 v1, v1, v217
	v_mul_f32_e32 v4, v197, v29
	v_fma_f32 v5, v194, v26, -v5
	s_delay_alu instid0(VALU_DEP_3) | instskip(NEXT) | instid1(VALU_DEP_3)
	v_dual_add_f32 v2, v2, v3 :: v_dual_fmac_f32 v219, v189, v20
	v_fma_f32 v4, v196, v28, -v4
	s_delay_alu instid0(VALU_DEP_2) | instskip(SKIP_1) | instid1(VALU_DEP_2)
	v_add_f32_e32 v2, v2, v5
	v_mul_f32_e32 v5, v201, v157
	v_dual_add_f32 v1, v1, v218 :: v_dual_add_f32 v2, v2, v4
	s_delay_alu instid0(VALU_DEP_2) | instskip(SKIP_1) | instid1(VALU_DEP_3)
	v_fma_f32 v5, v200, v156, -v5
	v_mul_f32_e32 v3, v199, v155
	v_add_f32_e32 v1, v1, v219
	v_mul_f32_e32 v4, v203, v159
	s_delay_alu instid0(VALU_DEP_3) | instskip(NEXT) | instid1(VALU_DEP_3)
	v_fma_f32 v3, v198, v154, -v3
	v_add_f32_e32 v1, v1, v220
	s_delay_alu instid0(VALU_DEP_3) | instskip(NEXT) | instid1(VALU_DEP_3)
	v_fma_f32 v4, v202, v158, -v4
	v_add_f32_e32 v2, v2, v3
	s_delay_alu instid0(VALU_DEP_1) | instskip(NEXT) | instid1(VALU_DEP_4)
	v_add_f32_e32 v2, v2, v5
	v_add_f32_e32 v1, v1, v221
	s_delay_alu instid0(VALU_DEP_2) | instskip(SKIP_1) | instid1(VALU_DEP_2)
	v_dual_mul_f32 v5, v207, v163 :: v_dual_add_f32 v2, v2, v4
	v_mul_f32_e32 v4, v209, v165
	v_fma_f32 v5, v206, v162, -v5
	s_delay_alu instid0(VALU_DEP_2) | instskip(SKIP_1) | instid1(VALU_DEP_1)
	v_fma_f32 v4, v208, v164, -v4
	v_mul_f32_e32 v3, v205, v161
	v_fma_f32 v3, v204, v160, -v3
	s_delay_alu instid0(VALU_DEP_1) | instskip(NEXT) | instid1(VALU_DEP_1)
	v_dual_add_f32 v1, v1, v222 :: v_dual_add_f32 v2, v2, v3
	v_add_f32_e32 v1, v1, v223
	s_delay_alu instid0(VALU_DEP_2) | instskip(NEXT) | instid1(VALU_DEP_2)
	v_dual_mul_f32 v3, v211, v167 :: v_dual_add_f32 v2, v2, v5
	v_add_f32_e32 v1, v1, v224
	v_mul_f32_e32 v5, v213, v169
	s_delay_alu instid0(VALU_DEP_3) | instskip(NEXT) | instid1(VALU_DEP_4)
	v_fma_f32 v3, v210, v166, -v3
	v_add_f32_e32 v2, v2, v4
	v_fmac_f32_e32 v225, v201, v156
	s_delay_alu instid0(VALU_DEP_4) | instskip(NEXT) | instid1(VALU_DEP_2)
	v_fma_f32 v4, v212, v168, -v5
	v_dual_add_f32 v2, v2, v3 :: v_dual_add_f32 v1, v1, v225
	s_delay_alu instid0(VALU_DEP_1) | instskip(NEXT) | instid1(VALU_DEP_1)
	v_dual_add_f32 v2, v2, v4 :: v_dual_add_f32 v1, v1, v226
	v_add_f32_e32 v1, v1, v227
	s_delay_alu instid0(VALU_DEP_1) | instskip(NEXT) | instid1(VALU_DEP_1)
	v_add_f32_e32 v1, v1, v228
	v_add_f32_e32 v1, v1, v229
	s_delay_alu instid0(VALU_DEP_1) | instskip(NEXT) | instid1(VALU_DEP_1)
	v_add_f32_e32 v1, v1, v230
	v_add_f32_e32 v3, v1, v231
	s_wait_loadcnt 0x0
	s_delay_alu instid0(VALU_DEP_1)
	v_dual_sub_f32 v1, v30, v2 :: v_dual_sub_f32 v2, v31, v3
	scratch_store_b64 off, v[1:2], off offset:288
	v_cmpx_lt_u32_e32 35, v0
	s_cbranch_execz .LBB58_297
; %bb.296:
	scratch_load_b64 v[1:2], off, off offset:280
	v_mov_b32_e32 v3, 0
	s_delay_alu instid0(VALU_DEP_1)
	v_mov_b32_e32 v4, v3
	scratch_store_b64 off, v[3:4], off offset:280
	s_wait_loadcnt 0x0
	ds_store_b64 v153, v[1:2]
.LBB58_297:
	s_wait_alu 0xfffe
	s_or_b32 exec_lo, exec_lo, s0
	s_wait_storecnt_dscnt 0x0
	s_barrier_signal -1
	s_barrier_wait -1
	global_inv scope:SCOPE_SE
	s_clause 0xc
	scratch_load_b128 v[2:5], off, off offset:288
	scratch_load_b128 v[6:9], off, off offset:304
	scratch_load_b128 v[10:13], off, off offset:320
	scratch_load_b128 v[14:17], off, off offset:336
	scratch_load_b128 v[18:21], off, off offset:352
	scratch_load_b128 v[22:25], off, off offset:368
	scratch_load_b128 v[26:29], off, off offset:384
	scratch_load_b128 v[154:157], off, off offset:400
	scratch_load_b128 v[158:161], off, off offset:416
	scratch_load_b128 v[162:165], off, off offset:432
	scratch_load_b128 v[166:169], off, off offset:448
	scratch_load_b64 v[30:31], off, off offset:464
	scratch_load_b64 v[151:152], off, off offset:280
	v_mov_b32_e32 v1, 0
	ds_load_b128 v[170:173], v1 offset:768
	ds_load_b128 v[174:177], v1 offset:784
	;; [unrolled: 1-line block ×11, first 2 shown]
	ds_load_b64 v[214:215], v1 offset:944
	s_mov_b32 s0, exec_lo
	s_wait_loadcnt_dscnt 0xc0b
	v_mul_f32_e32 v32, v170, v3
	s_wait_loadcnt_dscnt 0xb0a
	v_dual_mul_f32 v216, v172, v5 :: v_dual_mul_f32 v217, v174, v7
	v_mul_f32_e32 v5, v173, v5
	s_wait_loadcnt_dscnt 0xa09
	v_dual_mul_f32 v218, v176, v9 :: v_dual_mul_f32 v219, v178, v11
	v_mul_f32_e32 v3, v171, v3
	v_fmac_f32_e32 v32, v171, v2
	s_wait_loadcnt_dscnt 0x908
	v_dual_mul_f32 v220, v180, v13 :: v_dual_mul_f32 v221, v182, v15
	s_wait_loadcnt_dscnt 0x302
	v_mul_f32_e32 v234, v208, v165
	v_fma_f32 v3, v170, v2, -v3
	s_wait_loadcnt_dscnt 0x100
	v_mul_f32_e32 v237, v214, v31
	v_mul_f32_e32 v2, v175, v7
	v_fmac_f32_e32 v216, v173, v4
	v_fma_f32 v4, v172, v4, -v5
	v_add_f32_e32 v3, 0, v3
	v_dual_fmac_f32 v219, v179, v10 :: v_dual_fmac_f32 v220, v181, v12
	v_fma_f32 v2, v174, v6, -v2
	v_dual_mul_f32 v222, v184, v17 :: v_dual_mul_f32 v223, v186, v19
	s_delay_alu instid0(VALU_DEP_4) | instskip(SKIP_1) | instid1(VALU_DEP_3)
	v_add_f32_e32 v3, v3, v4
	v_add_f32_e32 v5, 0, v32
	v_dual_fmac_f32 v221, v183, v14 :: v_dual_fmac_f32 v222, v185, v16
	v_fmac_f32_e32 v218, v177, v8
	s_delay_alu instid0(VALU_DEP_4) | instskip(NEXT) | instid1(VALU_DEP_4)
	v_dual_add_f32 v2, v3, v2 :: v_dual_mul_f32 v7, v177, v9
	v_dual_fmac_f32 v217, v175, v6 :: v_dual_add_f32 v4, v5, v216
	v_dual_mul_f32 v5, v179, v11 :: v_dual_mul_f32 v224, v188, v21
	v_mul_f32_e32 v225, v190, v23
	s_delay_alu instid0(VALU_DEP_4) | instskip(NEXT) | instid1(VALU_DEP_4)
	v_fma_f32 v6, v176, v8, -v7
	v_add_f32_e32 v3, v4, v217
	v_mul_f32_e32 v4, v181, v13
	v_fma_f32 v5, v178, v10, -v5
	v_dual_mul_f32 v226, v192, v25 :: v_dual_mul_f32 v227, v194, v27
	v_add_f32_e32 v2, v2, v6
	v_mul_f32_e32 v6, v183, v15
	v_add_f32_e32 v3, v3, v218
	v_fma_f32 v4, v180, v12, -v4
	v_dual_fmac_f32 v225, v191, v22 :: v_dual_fmac_f32 v226, v193, v24
	s_delay_alu instid0(VALU_DEP_3) | instskip(SKIP_2) | instid1(VALU_DEP_3)
	v_dual_add_f32 v2, v2, v5 :: v_dual_add_f32 v3, v3, v219
	v_mul_f32_e32 v5, v185, v17
	v_fma_f32 v6, v182, v14, -v6
	v_dual_fmac_f32 v223, v187, v18 :: v_dual_add_f32 v2, v2, v4
	s_delay_alu instid0(VALU_DEP_4) | instskip(SKIP_3) | instid1(VALU_DEP_4)
	v_add_f32_e32 v3, v3, v220
	v_mul_f32_e32 v4, v187, v19
	v_fma_f32 v5, v184, v16, -v5
	v_fmac_f32_e32 v224, v189, v20
	v_dual_add_f32 v2, v2, v6 :: v_dual_add_f32 v3, v3, v221
	v_mul_f32_e32 v6, v189, v21
	v_fma_f32 v4, v186, v18, -v4
	v_dual_mul_f32 v228, v196, v29 :: v_dual_mul_f32 v229, v198, v155
	s_delay_alu instid0(VALU_DEP_4) | instskip(SKIP_3) | instid1(VALU_DEP_4)
	v_dual_add_f32 v2, v2, v5 :: v_dual_add_f32 v3, v3, v222
	v_mul_f32_e32 v5, v191, v23
	v_fma_f32 v6, v188, v20, -v6
	v_dual_mul_f32 v230, v200, v157 :: v_dual_mul_f32 v231, v202, v159
	v_dual_add_f32 v2, v2, v4 :: v_dual_add_f32 v3, v3, v223
	v_mul_f32_e32 v4, v193, v25
	v_fma_f32 v5, v190, v22, -v5
	v_fmac_f32_e32 v227, v195, v26
	s_delay_alu instid0(VALU_DEP_4) | instskip(SKIP_3) | instid1(VALU_DEP_4)
	v_dual_add_f32 v2, v2, v6 :: v_dual_add_f32 v3, v3, v224
	v_mul_f32_e32 v6, v195, v27
	v_fma_f32 v4, v192, v24, -v4
	v_fmac_f32_e32 v228, v197, v28
	v_add_f32_e32 v2, v2, v5
	v_add_f32_e32 v3, v3, v225
	v_mul_f32_e32 v5, v197, v29
	v_fma_f32 v6, v194, v26, -v6
	s_delay_alu instid0(VALU_DEP_4) | instskip(NEXT) | instid1(VALU_DEP_4)
	v_dual_fmac_f32 v229, v199, v154 :: v_dual_add_f32 v2, v2, v4
	v_add_f32_e32 v3, v3, v226
	v_mul_f32_e32 v4, v199, v155
	v_fma_f32 v5, v196, v28, -v5
	v_dual_mul_f32 v232, v204, v161 :: v_dual_mul_f32 v233, v206, v163
	s_delay_alu instid0(VALU_DEP_4) | instskip(SKIP_3) | instid1(VALU_DEP_4)
	v_dual_add_f32 v2, v2, v6 :: v_dual_add_f32 v3, v3, v227
	v_mul_f32_e32 v6, v201, v157
	v_fma_f32 v4, v198, v154, -v4
	v_fmac_f32_e32 v230, v201, v156
	v_dual_add_f32 v2, v2, v5 :: v_dual_add_f32 v3, v3, v228
	v_mul_f32_e32 v5, v203, v159
	v_fma_f32 v6, v200, v156, -v6
	s_delay_alu instid0(VALU_DEP_3) | instskip(NEXT) | instid1(VALU_DEP_4)
	v_dual_fmac_f32 v231, v203, v158 :: v_dual_add_f32 v2, v2, v4
	v_add_f32_e32 v3, v3, v229
	v_mul_f32_e32 v4, v205, v161
	v_fma_f32 v5, v202, v158, -v5
	v_dual_fmac_f32 v232, v205, v160 :: v_dual_fmac_f32 v233, v207, v162
	s_delay_alu instid0(VALU_DEP_4) | instskip(SKIP_4) | instid1(VALU_DEP_4)
	v_add_f32_e32 v3, v3, v230
	v_add_f32_e32 v2, v2, v6
	v_mul_f32_e32 v6, v207, v163
	v_fma_f32 v4, v204, v160, -v4
	v_dual_mul_f32 v235, v210, v167 :: v_dual_mul_f32 v236, v212, v169
	v_dual_add_f32 v3, v3, v231 :: v_dual_add_f32 v2, v2, v5
	v_mul_f32_e32 v5, v209, v165
	v_fma_f32 v6, v206, v162, -v6
	s_delay_alu instid0(VALU_DEP_4) | instskip(NEXT) | instid1(VALU_DEP_4)
	v_dual_fmac_f32 v234, v209, v164 :: v_dual_fmac_f32 v235, v211, v166
	v_add_f32_e32 v3, v3, v232
	v_add_f32_e32 v2, v2, v4
	v_mul_f32_e32 v4, v211, v167
	v_fma_f32 v5, v208, v164, -v5
	v_fmac_f32_e32 v237, v215, v30
	s_delay_alu instid0(VALU_DEP_4) | instskip(SKIP_2) | instid1(VALU_DEP_3)
	v_dual_add_f32 v3, v3, v233 :: v_dual_add_f32 v2, v2, v6
	v_mul_f32_e32 v6, v213, v169
	v_fma_f32 v4, v210, v166, -v4
	v_dual_add_f32 v3, v3, v234 :: v_dual_add_f32 v2, v2, v5
	v_dual_mul_f32 v5, v215, v31 :: v_dual_fmac_f32 v236, v213, v168
	s_delay_alu instid0(VALU_DEP_4) | instskip(NEXT) | instid1(VALU_DEP_3)
	v_fma_f32 v6, v212, v168, -v6
	v_dual_add_f32 v3, v3, v235 :: v_dual_add_f32 v2, v2, v4
	s_delay_alu instid0(VALU_DEP_3) | instskip(NEXT) | instid1(VALU_DEP_2)
	v_fma_f32 v4, v214, v30, -v5
	v_dual_add_f32 v3, v3, v236 :: v_dual_add_f32 v2, v2, v6
	s_delay_alu instid0(VALU_DEP_1) | instskip(SKIP_1) | instid1(VALU_DEP_1)
	v_dual_add_f32 v3, v3, v237 :: v_dual_add_f32 v2, v2, v4
	s_wait_loadcnt 0x0
	v_dual_sub_f32 v3, v152, v3 :: v_dual_sub_f32 v2, v151, v2
	scratch_store_b64 off, v[2:3], off offset:280
	v_cmpx_lt_u32_e32 34, v0
	s_cbranch_execz .LBB58_299
; %bb.298:
	scratch_load_b64 v[3:4], off, off offset:272
	v_mov_b32_e32 v2, v1
	scratch_store_b64 off, v[1:2], off offset:272
	s_wait_loadcnt 0x0
	ds_store_b64 v153, v[3:4]
.LBB58_299:
	s_wait_alu 0xfffe
	s_or_b32 exec_lo, exec_lo, s0
	s_wait_storecnt_dscnt 0x0
	s_barrier_signal -1
	s_barrier_wait -1
	global_inv scope:SCOPE_SE
	s_clause 0xc
	scratch_load_b128 v[2:5], off, off offset:280
	scratch_load_b128 v[6:9], off, off offset:296
	;; [unrolled: 1-line block ×12, first 2 shown]
	scratch_load_b64 v[30:31], off, off offset:272
	ds_load_2addr_b64 v[174:177], v1 offset0:95 offset1:96
	ds_load_2addr_b64 v[178:181], v1 offset0:97 offset1:98
	;; [unrolled: 1-line block ×12, first 2 shown]
	s_mov_b32 s0, exec_lo
	s_wait_loadcnt_dscnt 0xc0b
	v_dual_mul_f32 v1, v174, v3 :: v_dual_mul_f32 v32, v176, v5
	v_mul_f32_e32 v3, v175, v3
	v_mul_f32_e32 v5, v177, v5
	s_wait_loadcnt_dscnt 0xb0a
	v_dual_mul_f32 v151, v178, v7 :: v_dual_mul_f32 v152, v180, v9
	v_fmac_f32_e32 v32, v177, v4
	v_fma_f32 v3, v174, v2, -v3
	s_wait_loadcnt_dscnt 0xa09
	v_dual_mul_f32 v222, v182, v11 :: v_dual_mul_f32 v223, v184, v13
	v_dual_fmac_f32 v1, v175, v2 :: v_dual_fmac_f32 v152, v181, v8
	v_mul_f32_e32 v2, v179, v7
	v_fma_f32 v4, v176, v4, -v5
	s_delay_alu instid0(VALU_DEP_4) | instskip(NEXT) | instid1(VALU_DEP_4)
	v_dual_add_f32 v3, 0, v3 :: v_dual_fmac_f32 v222, v183, v10
	v_add_f32_e32 v1, 0, v1
	s_delay_alu instid0(VALU_DEP_4) | instskip(SKIP_4) | instid1(VALU_DEP_3)
	v_fma_f32 v2, v178, v6, -v2
	s_wait_loadcnt_dscnt 0x908
	v_dual_mul_f32 v224, v186, v15 :: v_dual_mul_f32 v225, v188, v17
	v_add_f32_e32 v3, v3, v4
	v_dual_mul_f32 v5, v181, v9 :: v_dual_mul_f32 v4, v183, v11
	v_dual_add_f32 v1, v1, v32 :: v_dual_fmac_f32 v224, v187, v14
	s_delay_alu instid0(VALU_DEP_3) | instskip(NEXT) | instid1(VALU_DEP_3)
	v_add_f32_e32 v2, v3, v2
	v_fma_f32 v5, v180, v8, -v5
	v_fmac_f32_e32 v151, v179, v6
	v_fma_f32 v4, v182, v10, -v4
	s_wait_loadcnt_dscnt 0x807
	v_dual_mul_f32 v226, v190, v19 :: v_dual_mul_f32 v227, v192, v21
	s_delay_alu instid0(VALU_DEP_3) | instskip(NEXT) | instid1(VALU_DEP_2)
	v_dual_add_f32 v2, v2, v5 :: v_dual_add_f32 v1, v1, v151
	v_dual_mul_f32 v3, v185, v13 :: v_dual_fmac_f32 v226, v191, v18
	s_wait_loadcnt_dscnt 0x706
	v_dual_mul_f32 v228, v194, v23 :: v_dual_mul_f32 v229, v196, v25
	s_delay_alu instid0(VALU_DEP_3)
	v_add_f32_e32 v2, v2, v4
	v_mul_f32_e32 v4, v189, v17
	v_fma_f32 v3, v184, v12, -v3
	s_wait_loadcnt_dscnt 0x504
	v_dual_add_f32 v1, v1, v152 :: v_dual_mul_f32 v232, v202, v155
	v_mul_f32_e32 v233, v204, v157
	v_fma_f32 v4, v188, v16, -v4
	v_mul_f32_e32 v5, v187, v15
	s_delay_alu instid0(VALU_DEP_4) | instskip(SKIP_1) | instid1(VALU_DEP_3)
	v_dual_add_f32 v2, v2, v3 :: v_dual_add_f32 v1, v1, v222
	v_dual_mul_f32 v230, v198, v27 :: v_dual_mul_f32 v231, v200, v29
	v_fma_f32 v5, v186, v14, -v5
	v_dual_fmac_f32 v223, v185, v12 :: v_dual_fmac_f32 v228, v195, v22
	s_delay_alu instid0(VALU_DEP_3)
	v_fmac_f32_e32 v230, v199, v26
	s_wait_loadcnt_dscnt 0x201
	v_dual_mul_f32 v238, v214, v167 :: v_dual_mul_f32 v239, v216, v169
	v_add_f32_e32 v2, v2, v5
	v_dual_mul_f32 v234, v206, v159 :: v_dual_mul_f32 v235, v208, v161
	v_dual_fmac_f32 v229, v197, v24 :: v_dual_mul_f32 v236, v210, v163
	s_delay_alu instid0(VALU_DEP_3) | instskip(SKIP_2) | instid1(VALU_DEP_4)
	v_dual_mul_f32 v237, v212, v165 :: v_dual_add_f32 v2, v2, v4
	v_mul_f32_e32 v4, v195, v23
	v_add_f32_e32 v1, v1, v223
	v_dual_fmac_f32 v231, v201, v28 :: v_dual_fmac_f32 v236, v211, v162
	v_fmac_f32_e32 v232, v203, v154
	s_delay_alu instid0(VALU_DEP_4)
	v_fma_f32 v4, v194, v22, -v4
	v_mul_f32_e32 v5, v193, v21
	v_add_f32_e32 v1, v1, v224
	s_wait_loadcnt_dscnt 0x100
	v_dual_fmac_f32 v233, v205, v156 :: v_dual_mul_f32 v240, v218, v171
	v_mul_f32_e32 v241, v220, v173
	v_fma_f32 v5, v192, v20, -v5
	v_mul_f32_e32 v3, v191, v19
	v_dual_fmac_f32 v239, v217, v168 :: v_dual_fmac_f32 v238, v215, v166
	s_delay_alu instid0(VALU_DEP_4) | instskip(NEXT) | instid1(VALU_DEP_3)
	v_dual_fmac_f32 v241, v221, v172 :: v_dual_fmac_f32 v234, v207, v158
	v_fma_f32 v3, v190, v18, -v3
	v_dual_fmac_f32 v225, v189, v16 :: v_dual_fmac_f32 v240, v219, v170
	s_delay_alu instid0(VALU_DEP_2) | instskip(NEXT) | instid1(VALU_DEP_1)
	v_dual_add_f32 v2, v2, v3 :: v_dual_mul_f32 v3, v197, v25
	v_dual_add_f32 v2, v2, v5 :: v_dual_mul_f32 v5, v199, v27
	s_delay_alu instid0(VALU_DEP_2) | instskip(NEXT) | instid1(VALU_DEP_2)
	v_fma_f32 v3, v196, v24, -v3
	v_dual_add_f32 v2, v2, v4 :: v_dual_add_f32 v1, v1, v225
	v_mul_f32_e32 v4, v201, v29
	s_delay_alu instid0(VALU_DEP_4) | instskip(NEXT) | instid1(VALU_DEP_3)
	v_fma_f32 v5, v198, v26, -v5
	v_dual_add_f32 v2, v2, v3 :: v_dual_fmac_f32 v227, v193, v20
	s_delay_alu instid0(VALU_DEP_3) | instskip(NEXT) | instid1(VALU_DEP_2)
	v_fma_f32 v4, v200, v28, -v4
	v_add_f32_e32 v2, v2, v5
	v_mul_f32_e32 v5, v205, v157
	s_delay_alu instid0(VALU_DEP_2) | instskip(NEXT) | instid1(VALU_DEP_2)
	v_dual_add_f32 v1, v1, v226 :: v_dual_add_f32 v2, v2, v4
	v_fma_f32 v5, v204, v156, -v5
	v_mul_f32_e32 v3, v203, v155
	s_delay_alu instid0(VALU_DEP_3) | instskip(SKIP_1) | instid1(VALU_DEP_3)
	v_add_f32_e32 v1, v1, v227
	v_mul_f32_e32 v4, v207, v159
	v_fma_f32 v3, v202, v154, -v3
	s_delay_alu instid0(VALU_DEP_3) | instskip(NEXT) | instid1(VALU_DEP_3)
	v_add_f32_e32 v1, v1, v228
	v_fma_f32 v4, v206, v158, -v4
	s_delay_alu instid0(VALU_DEP_3) | instskip(NEXT) | instid1(VALU_DEP_1)
	v_add_f32_e32 v2, v2, v3
	v_add_f32_e32 v2, v2, v5
	s_delay_alu instid0(VALU_DEP_4) | instskip(NEXT) | instid1(VALU_DEP_2)
	v_add_f32_e32 v1, v1, v229
	v_dual_mul_f32 v5, v211, v163 :: v_dual_add_f32 v2, v2, v4
	v_mul_f32_e32 v4, v213, v165
	s_delay_alu instid0(VALU_DEP_2) | instskip(NEXT) | instid1(VALU_DEP_2)
	v_fma_f32 v5, v210, v162, -v5
	v_fma_f32 v4, v212, v164, -v4
	v_mul_f32_e32 v3, v209, v161
	s_delay_alu instid0(VALU_DEP_1) | instskip(NEXT) | instid1(VALU_DEP_1)
	v_fma_f32 v3, v208, v160, -v3
	v_dual_add_f32 v1, v1, v230 :: v_dual_add_f32 v2, v2, v3
	s_delay_alu instid0(VALU_DEP_1) | instskip(NEXT) | instid1(VALU_DEP_2)
	v_add_f32_e32 v1, v1, v231
	v_dual_mul_f32 v3, v215, v167 :: v_dual_add_f32 v2, v2, v5
	v_mul_f32_e32 v5, v217, v169
	s_delay_alu instid0(VALU_DEP_2) | instskip(NEXT) | instid1(VALU_DEP_3)
	v_fma_f32 v3, v214, v166, -v3
	v_add_f32_e32 v2, v2, v4
	v_dual_add_f32 v1, v1, v232 :: v_dual_mul_f32 v4, v219, v171
	s_delay_alu instid0(VALU_DEP_4) | instskip(NEXT) | instid1(VALU_DEP_2)
	v_fma_f32 v5, v216, v168, -v5
	v_dual_add_f32 v2, v2, v3 :: v_dual_add_f32 v1, v1, v233
	v_fmac_f32_e32 v235, v209, v160
	s_delay_alu instid0(VALU_DEP_4) | instskip(SKIP_1) | instid1(VALU_DEP_4)
	v_fma_f32 v4, v218, v170, -v4
	v_mul_f32_e32 v3, v221, v173
	v_dual_add_f32 v2, v2, v5 :: v_dual_add_f32 v1, v1, v234
	s_delay_alu instid0(VALU_DEP_2) | instskip(NEXT) | instid1(VALU_DEP_2)
	v_fma_f32 v3, v220, v172, -v3
	v_dual_add_f32 v2, v2, v4 :: v_dual_add_f32 v1, v1, v235
	s_delay_alu instid0(VALU_DEP_1) | instskip(NEXT) | instid1(VALU_DEP_2)
	v_dual_fmac_f32 v237, v213, v164 :: v_dual_add_f32 v2, v2, v3
	v_add_f32_e32 v1, v1, v236
	s_delay_alu instid0(VALU_DEP_1) | instskip(NEXT) | instid1(VALU_DEP_1)
	v_add_f32_e32 v1, v1, v237
	v_add_f32_e32 v1, v1, v238
	s_delay_alu instid0(VALU_DEP_1) | instskip(NEXT) | instid1(VALU_DEP_1)
	v_add_f32_e32 v1, v1, v239
	v_add_f32_e32 v1, v1, v240
	s_delay_alu instid0(VALU_DEP_1) | instskip(SKIP_1) | instid1(VALU_DEP_1)
	v_add_f32_e32 v3, v1, v241
	s_wait_loadcnt 0x0
	v_dual_sub_f32 v1, v30, v2 :: v_dual_sub_f32 v2, v31, v3
	scratch_store_b64 off, v[1:2], off offset:272
	v_cmpx_lt_u32_e32 33, v0
	s_cbranch_execz .LBB58_301
; %bb.300:
	scratch_load_b64 v[1:2], off, off offset:264
	v_mov_b32_e32 v3, 0
	s_delay_alu instid0(VALU_DEP_1)
	v_mov_b32_e32 v4, v3
	scratch_store_b64 off, v[3:4], off offset:264
	s_wait_loadcnt 0x0
	ds_store_b64 v153, v[1:2]
.LBB58_301:
	s_wait_alu 0xfffe
	s_or_b32 exec_lo, exec_lo, s0
	s_wait_storecnt_dscnt 0x0
	s_barrier_signal -1
	s_barrier_wait -1
	global_inv scope:SCOPE_SE
	s_clause 0xd
	scratch_load_b128 v[2:5], off, off offset:272
	scratch_load_b128 v[6:9], off, off offset:288
	scratch_load_b128 v[10:13], off, off offset:304
	scratch_load_b128 v[14:17], off, off offset:320
	scratch_load_b128 v[18:21], off, off offset:336
	scratch_load_b128 v[22:25], off, off offset:352
	scratch_load_b128 v[26:29], off, off offset:368
	scratch_load_b128 v[154:157], off, off offset:384
	scratch_load_b128 v[158:161], off, off offset:400
	scratch_load_b128 v[162:165], off, off offset:416
	scratch_load_b128 v[166:169], off, off offset:432
	scratch_load_b128 v[170:173], off, off offset:448
	scratch_load_b64 v[30:31], off, off offset:464
	scratch_load_b64 v[151:152], off, off offset:264
	v_mov_b32_e32 v1, 0
	ds_load_b128 v[174:177], v1 offset:752
	ds_load_b128 v[178:181], v1 offset:768
	;; [unrolled: 1-line block ×12, first 2 shown]
	ds_load_b64 v[222:223], v1 offset:944
	s_mov_b32 s0, exec_lo
	s_wait_loadcnt_dscnt 0xd0c
	v_mul_f32_e32 v32, v174, v3
	s_wait_loadcnt_dscnt 0xc0b
	v_dual_mul_f32 v224, v176, v5 :: v_dual_mul_f32 v225, v178, v7
	v_mul_f32_e32 v5, v177, v5
	s_wait_loadcnt_dscnt 0xb0a
	v_dual_mul_f32 v226, v180, v9 :: v_dual_mul_f32 v227, v182, v11
	v_dual_mul_f32 v3, v175, v3 :: v_dual_mul_f32 v228, v184, v13
	s_wait_loadcnt_dscnt 0xa09
	v_dual_mul_f32 v229, v186, v15 :: v_dual_fmac_f32 v32, v175, v2
	s_wait_loadcnt_dscnt 0x302
	v_mul_f32_e32 v244, v216, v169
	v_fma_f32 v3, v174, v2, -v3
	s_wait_loadcnt_dscnt 0x100
	v_mul_f32_e32 v247, v222, v31
	v_mul_f32_e32 v2, v179, v7
	v_fmac_f32_e32 v224, v177, v4
	v_fma_f32 v4, v176, v4, -v5
	v_add_f32_e32 v3, 0, v3
	v_dual_fmac_f32 v227, v183, v10 :: v_dual_fmac_f32 v228, v185, v12
	v_fma_f32 v2, v178, v6, -v2
	v_dual_mul_f32 v230, v188, v17 :: v_dual_mul_f32 v231, v190, v19
	s_delay_alu instid0(VALU_DEP_4) | instskip(SKIP_1) | instid1(VALU_DEP_3)
	v_add_f32_e32 v3, v3, v4
	v_add_f32_e32 v5, 0, v32
	v_dual_fmac_f32 v229, v187, v14 :: v_dual_fmac_f32 v230, v189, v16
	v_fmac_f32_e32 v226, v181, v8
	s_delay_alu instid0(VALU_DEP_4) | instskip(NEXT) | instid1(VALU_DEP_4)
	v_dual_add_f32 v2, v3, v2 :: v_dual_mul_f32 v7, v181, v9
	v_dual_fmac_f32 v225, v179, v6 :: v_dual_add_f32 v4, v5, v224
	v_dual_mul_f32 v5, v183, v11 :: v_dual_mul_f32 v232, v192, v21
	v_mul_f32_e32 v233, v194, v23
	s_delay_alu instid0(VALU_DEP_4) | instskip(NEXT) | instid1(VALU_DEP_4)
	v_fma_f32 v6, v180, v8, -v7
	v_add_f32_e32 v3, v4, v225
	v_mul_f32_e32 v4, v185, v13
	v_fma_f32 v5, v182, v10, -v5
	v_dual_mul_f32 v234, v196, v25 :: v_dual_mul_f32 v235, v198, v27
	v_add_f32_e32 v2, v2, v6
	v_mul_f32_e32 v6, v187, v15
	v_add_f32_e32 v3, v3, v226
	v_fma_f32 v4, v184, v12, -v4
	v_dual_fmac_f32 v233, v195, v22 :: v_dual_fmac_f32 v234, v197, v24
	s_delay_alu instid0(VALU_DEP_3) | instskip(SKIP_3) | instid1(VALU_DEP_4)
	v_dual_add_f32 v2, v2, v5 :: v_dual_add_f32 v3, v3, v227
	v_mul_f32_e32 v5, v189, v17
	v_fma_f32 v6, v186, v14, -v6
	v_dual_mul_f32 v236, v200, v29 :: v_dual_mul_f32 v237, v202, v155
	v_add_f32_e32 v2, v2, v4
	v_add_f32_e32 v3, v3, v228
	v_mul_f32_e32 v4, v191, v19
	v_fma_f32 v5, v188, v16, -v5
	v_fmac_f32_e32 v231, v191, v18
	s_delay_alu instid0(VALU_DEP_4) | instskip(SKIP_3) | instid1(VALU_DEP_4)
	v_dual_add_f32 v2, v2, v6 :: v_dual_add_f32 v3, v3, v229
	v_fmac_f32_e32 v232, v193, v20
	v_mul_f32_e32 v6, v193, v21
	v_fma_f32 v4, v190, v18, -v4
	v_dual_add_f32 v2, v2, v5 :: v_dual_add_f32 v3, v3, v230
	v_mul_f32_e32 v5, v195, v23
	s_delay_alu instid0(VALU_DEP_4) | instskip(SKIP_1) | instid1(VALU_DEP_4)
	v_fma_f32 v6, v192, v20, -v6
	v_dual_mul_f32 v238, v204, v157 :: v_dual_mul_f32 v239, v206, v159
	v_dual_add_f32 v2, v2, v4 :: v_dual_add_f32 v3, v3, v231
	v_mul_f32_e32 v4, v197, v25
	v_fma_f32 v5, v194, v22, -v5
	v_fmac_f32_e32 v235, v199, v26
	s_delay_alu instid0(VALU_DEP_4) | instskip(SKIP_3) | instid1(VALU_DEP_4)
	v_dual_add_f32 v2, v2, v6 :: v_dual_add_f32 v3, v3, v232
	v_mul_f32_e32 v6, v199, v27
	v_fma_f32 v4, v196, v24, -v4
	v_fmac_f32_e32 v236, v201, v28
	v_add_f32_e32 v2, v2, v5
	v_add_f32_e32 v3, v3, v233
	v_mul_f32_e32 v5, v201, v29
	v_fma_f32 v6, v198, v26, -v6
	s_delay_alu instid0(VALU_DEP_4) | instskip(NEXT) | instid1(VALU_DEP_4)
	v_dual_fmac_f32 v237, v203, v154 :: v_dual_add_f32 v2, v2, v4
	v_add_f32_e32 v3, v3, v234
	v_mul_f32_e32 v4, v203, v155
	v_fma_f32 v5, v200, v28, -v5
	v_dual_mul_f32 v240, v208, v161 :: v_dual_mul_f32 v241, v210, v163
	s_delay_alu instid0(VALU_DEP_4) | instskip(SKIP_3) | instid1(VALU_DEP_4)
	v_dual_add_f32 v2, v2, v6 :: v_dual_add_f32 v3, v3, v235
	v_mul_f32_e32 v6, v205, v157
	v_fma_f32 v4, v202, v154, -v4
	v_fmac_f32_e32 v238, v205, v156
	v_dual_add_f32 v2, v2, v5 :: v_dual_add_f32 v3, v3, v236
	v_mul_f32_e32 v5, v207, v159
	v_fma_f32 v6, v204, v156, -v6
	s_delay_alu instid0(VALU_DEP_3) | instskip(NEXT) | instid1(VALU_DEP_4)
	v_dual_fmac_f32 v239, v207, v158 :: v_dual_add_f32 v2, v2, v4
	v_add_f32_e32 v3, v3, v237
	v_mul_f32_e32 v4, v209, v161
	v_fma_f32 v5, v206, v158, -v5
	v_fmac_f32_e32 v240, v209, v160
	v_dual_mul_f32 v242, v212, v165 :: v_dual_mul_f32 v243, v214, v167
	v_add_f32_e32 v3, v3, v238
	v_add_f32_e32 v2, v2, v6
	v_mul_f32_e32 v6, v211, v163
	v_fma_f32 v4, v208, v160, -v4
	v_fmac_f32_e32 v241, v211, v162
	s_delay_alu instid0(VALU_DEP_4) | instskip(SKIP_3) | instid1(VALU_DEP_4)
	v_dual_add_f32 v3, v3, v239 :: v_dual_add_f32 v2, v2, v5
	v_mul_f32_e32 v5, v213, v165
	v_fma_f32 v6, v210, v162, -v6
	v_dual_fmac_f32 v242, v213, v164 :: v_dual_fmac_f32 v243, v215, v166
	v_add_f32_e32 v3, v3, v240
	v_add_f32_e32 v2, v2, v4
	v_mul_f32_e32 v4, v215, v167
	v_fma_f32 v5, v212, v164, -v5
	v_dual_mul_f32 v245, v218, v171 :: v_dual_mul_f32 v246, v220, v173
	s_delay_alu instid0(VALU_DEP_4) | instskip(SKIP_2) | instid1(VALU_DEP_4)
	v_dual_add_f32 v3, v3, v241 :: v_dual_add_f32 v2, v2, v6
	v_mul_f32_e32 v6, v217, v169
	v_fma_f32 v4, v214, v166, -v4
	v_fmac_f32_e32 v245, v219, v170
	s_delay_alu instid0(VALU_DEP_4) | instskip(SKIP_2) | instid1(VALU_DEP_3)
	v_dual_add_f32 v3, v3, v242 :: v_dual_add_f32 v2, v2, v5
	v_dual_mul_f32 v5, v219, v171 :: v_dual_fmac_f32 v244, v217, v168
	v_fma_f32 v6, v216, v168, -v6
	v_dual_add_f32 v3, v3, v243 :: v_dual_add_f32 v2, v2, v4
	v_mul_f32_e32 v4, v221, v173
	s_delay_alu instid0(VALU_DEP_4) | instskip(SKIP_1) | instid1(VALU_DEP_4)
	v_fma_f32 v5, v218, v170, -v5
	v_dual_fmac_f32 v246, v221, v172 :: v_dual_fmac_f32 v247, v223, v30
	v_dual_add_f32 v3, v3, v244 :: v_dual_add_f32 v2, v2, v6
	v_mul_f32_e32 v6, v223, v31
	v_fma_f32 v4, v220, v172, -v4
	s_delay_alu instid0(VALU_DEP_3) | instskip(NEXT) | instid1(VALU_DEP_4)
	v_add_f32_e32 v3, v3, v245
	v_add_f32_e32 v2, v2, v5
	s_delay_alu instid0(VALU_DEP_4) | instskip(NEXT) | instid1(VALU_DEP_2)
	v_fma_f32 v5, v222, v30, -v6
	v_dual_add_f32 v3, v3, v246 :: v_dual_add_f32 v2, v2, v4
	s_delay_alu instid0(VALU_DEP_1) | instskip(SKIP_1) | instid1(VALU_DEP_1)
	v_dual_add_f32 v3, v3, v247 :: v_dual_add_f32 v2, v2, v5
	s_wait_loadcnt 0x0
	v_dual_sub_f32 v3, v152, v3 :: v_dual_sub_f32 v2, v151, v2
	scratch_store_b64 off, v[2:3], off offset:264
	v_cmpx_lt_u32_e32 32, v0
	s_cbranch_execz .LBB58_303
; %bb.302:
	scratch_load_b64 v[3:4], off, off offset:256
	v_mov_b32_e32 v2, v1
	scratch_store_b64 off, v[1:2], off offset:256
	s_wait_loadcnt 0x0
	ds_store_b64 v153, v[3:4]
.LBB58_303:
	s_wait_alu 0xfffe
	s_or_b32 exec_lo, exec_lo, s0
	s_wait_storecnt_dscnt 0x0
	s_barrier_signal -1
	s_barrier_wait -1
	global_inv scope:SCOPE_SE
	s_clause 0xd
	scratch_load_b128 v[2:5], off, off offset:264
	scratch_load_b128 v[6:9], off, off offset:280
	;; [unrolled: 1-line block ×13, first 2 shown]
	scratch_load_b64 v[30:31], off, off offset:256
	ds_load_2addr_b64 v[178:181], v1 offset0:93 offset1:94
	ds_load_2addr_b64 v[182:185], v1 offset0:95 offset1:96
	;; [unrolled: 1-line block ×13, first 2 shown]
	s_mov_b32 s0, exec_lo
	s_wait_loadcnt_dscnt 0xd0c
	v_dual_mul_f32 v1, v178, v3 :: v_dual_mul_f32 v32, v180, v5
	v_mul_f32_e32 v3, v179, v3
	v_mul_f32_e32 v5, v181, v5
	s_wait_loadcnt_dscnt 0xc0b
	v_dual_mul_f32 v151, v182, v7 :: v_dual_mul_f32 v152, v184, v9
	v_fmac_f32_e32 v32, v181, v4
	v_fma_f32 v3, v178, v2, -v3
	s_wait_loadcnt_dscnt 0xb0a
	v_dual_mul_f32 v230, v186, v11 :: v_dual_mul_f32 v231, v188, v13
	v_dual_fmac_f32 v1, v179, v2 :: v_dual_fmac_f32 v152, v185, v8
	v_mul_f32_e32 v2, v183, v7
	v_fma_f32 v4, v180, v4, -v5
	s_delay_alu instid0(VALU_DEP_4) | instskip(NEXT) | instid1(VALU_DEP_4)
	v_dual_add_f32 v3, 0, v3 :: v_dual_fmac_f32 v230, v187, v10
	v_add_f32_e32 v1, 0, v1
	s_delay_alu instid0(VALU_DEP_4) | instskip(SKIP_4) | instid1(VALU_DEP_3)
	v_fma_f32 v2, v182, v6, -v2
	s_wait_loadcnt_dscnt 0xa09
	v_dual_mul_f32 v232, v190, v15 :: v_dual_mul_f32 v233, v192, v17
	v_add_f32_e32 v3, v3, v4
	v_dual_mul_f32 v5, v185, v9 :: v_dual_mul_f32 v4, v187, v11
	v_dual_add_f32 v1, v1, v32 :: v_dual_fmac_f32 v232, v191, v14
	s_delay_alu instid0(VALU_DEP_3) | instskip(NEXT) | instid1(VALU_DEP_3)
	v_add_f32_e32 v2, v3, v2
	v_fma_f32 v5, v184, v8, -v5
	v_fmac_f32_e32 v151, v183, v6
	v_fma_f32 v4, v186, v10, -v4
	s_wait_loadcnt_dscnt 0x908
	v_dual_mul_f32 v234, v194, v19 :: v_dual_mul_f32 v235, v196, v21
	s_delay_alu instid0(VALU_DEP_3) | instskip(NEXT) | instid1(VALU_DEP_2)
	v_dual_add_f32 v2, v2, v5 :: v_dual_add_f32 v1, v1, v151
	v_dual_mul_f32 v3, v189, v13 :: v_dual_fmac_f32 v234, v195, v18
	s_wait_loadcnt_dscnt 0x807
	v_dual_mul_f32 v236, v198, v23 :: v_dual_mul_f32 v237, v200, v25
	s_delay_alu instid0(VALU_DEP_3)
	v_add_f32_e32 v2, v2, v4
	v_mul_f32_e32 v4, v193, v17
	v_fma_f32 v3, v188, v12, -v3
	s_wait_loadcnt_dscnt 0x605
	v_dual_add_f32 v1, v1, v152 :: v_dual_mul_f32 v240, v206, v155
	v_mul_f32_e32 v241, v208, v157
	v_fma_f32 v4, v192, v16, -v4
	v_mul_f32_e32 v5, v191, v15
	s_delay_alu instid0(VALU_DEP_4) | instskip(SKIP_1) | instid1(VALU_DEP_3)
	v_dual_add_f32 v2, v2, v3 :: v_dual_add_f32 v1, v1, v230
	v_dual_mul_f32 v238, v202, v27 :: v_dual_mul_f32 v239, v204, v29
	v_fma_f32 v5, v190, v14, -v5
	v_dual_fmac_f32 v231, v189, v12 :: v_dual_fmac_f32 v236, v199, v22
	s_delay_alu instid0(VALU_DEP_3)
	v_fmac_f32_e32 v238, v203, v26
	s_wait_loadcnt_dscnt 0x302
	v_dual_mul_f32 v246, v218, v167 :: v_dual_mul_f32 v247, v220, v169
	v_add_f32_e32 v2, v2, v5
	v_dual_mul_f32 v242, v210, v159 :: v_dual_mul_f32 v243, v212, v161
	v_dual_fmac_f32 v237, v201, v24 :: v_dual_mul_f32 v244, v214, v163
	s_delay_alu instid0(VALU_DEP_3) | instskip(SKIP_2) | instid1(VALU_DEP_4)
	v_dual_mul_f32 v245, v216, v165 :: v_dual_add_f32 v2, v2, v4
	v_mul_f32_e32 v4, v199, v23
	v_add_f32_e32 v1, v1, v231
	v_dual_fmac_f32 v239, v205, v28 :: v_dual_fmac_f32 v244, v215, v162
	v_fmac_f32_e32 v240, v207, v154
	s_delay_alu instid0(VALU_DEP_4)
	v_fma_f32 v4, v198, v22, -v4
	v_mul_f32_e32 v5, v197, v21
	v_add_f32_e32 v1, v1, v232
	s_wait_loadcnt_dscnt 0x201
	v_dual_fmac_f32 v241, v209, v156 :: v_dual_mul_f32 v248, v222, v171
	v_mul_f32_e32 v249, v224, v173
	v_fma_f32 v5, v196, v20, -v5
	v_mul_f32_e32 v3, v195, v19
	s_wait_loadcnt_dscnt 0x100
	v_dual_mul_f32 v250, v226, v175 :: v_dual_mul_f32 v251, v228, v177
	v_fmac_f32_e32 v247, v221, v168
	v_fmac_f32_e32 v249, v225, v172
	v_fma_f32 v3, v194, v18, -v3
	v_fmac_f32_e32 v233, v193, v16
	v_dual_fmac_f32 v251, v229, v176 :: v_dual_fmac_f32 v246, v219, v166
	v_fmac_f32_e32 v242, v211, v158
	s_delay_alu instid0(VALU_DEP_4) | instskip(SKIP_2) | instid1(VALU_DEP_3)
	v_dual_add_f32 v2, v2, v3 :: v_dual_mul_f32 v3, v201, v25
	v_fmac_f32_e32 v248, v223, v170
	v_fmac_f32_e32 v250, v227, v174
	v_dual_add_f32 v2, v2, v5 :: v_dual_mul_f32 v5, v203, v27
	s_delay_alu instid0(VALU_DEP_4) | instskip(NEXT) | instid1(VALU_DEP_2)
	v_fma_f32 v3, v200, v24, -v3
	v_dual_add_f32 v2, v2, v4 :: v_dual_add_f32 v1, v1, v233
	v_mul_f32_e32 v4, v205, v29
	s_delay_alu instid0(VALU_DEP_4) | instskip(NEXT) | instid1(VALU_DEP_3)
	v_fma_f32 v5, v202, v26, -v5
	v_dual_add_f32 v2, v2, v3 :: v_dual_fmac_f32 v235, v197, v20
	s_delay_alu instid0(VALU_DEP_3) | instskip(NEXT) | instid1(VALU_DEP_2)
	v_fma_f32 v4, v204, v28, -v4
	v_add_f32_e32 v2, v2, v5
	v_mul_f32_e32 v5, v209, v157
	s_delay_alu instid0(VALU_DEP_2) | instskip(NEXT) | instid1(VALU_DEP_2)
	v_dual_add_f32 v1, v1, v234 :: v_dual_add_f32 v2, v2, v4
	v_fma_f32 v5, v208, v156, -v5
	v_mul_f32_e32 v3, v207, v155
	s_delay_alu instid0(VALU_DEP_3) | instskip(SKIP_1) | instid1(VALU_DEP_3)
	v_add_f32_e32 v1, v1, v235
	v_mul_f32_e32 v4, v211, v159
	v_fma_f32 v3, v206, v154, -v3
	s_delay_alu instid0(VALU_DEP_3) | instskip(NEXT) | instid1(VALU_DEP_3)
	v_add_f32_e32 v1, v1, v236
	v_fma_f32 v4, v210, v158, -v4
	s_delay_alu instid0(VALU_DEP_3) | instskip(NEXT) | instid1(VALU_DEP_1)
	v_add_f32_e32 v2, v2, v3
	v_add_f32_e32 v2, v2, v5
	s_delay_alu instid0(VALU_DEP_4) | instskip(NEXT) | instid1(VALU_DEP_2)
	v_add_f32_e32 v1, v1, v237
	v_dual_mul_f32 v5, v215, v163 :: v_dual_add_f32 v2, v2, v4
	v_mul_f32_e32 v4, v217, v165
	s_delay_alu instid0(VALU_DEP_2) | instskip(NEXT) | instid1(VALU_DEP_2)
	v_fma_f32 v5, v214, v162, -v5
	v_fma_f32 v4, v216, v164, -v4
	v_mul_f32_e32 v3, v213, v161
	s_delay_alu instid0(VALU_DEP_1) | instskip(NEXT) | instid1(VALU_DEP_1)
	v_fma_f32 v3, v212, v160, -v3
	v_dual_add_f32 v1, v1, v238 :: v_dual_add_f32 v2, v2, v3
	s_delay_alu instid0(VALU_DEP_1) | instskip(NEXT) | instid1(VALU_DEP_2)
	v_add_f32_e32 v1, v1, v239
	v_dual_mul_f32 v3, v219, v167 :: v_dual_add_f32 v2, v2, v5
	v_mul_f32_e32 v5, v221, v169
	s_delay_alu instid0(VALU_DEP_2) | instskip(NEXT) | instid1(VALU_DEP_3)
	v_fma_f32 v3, v218, v166, -v3
	v_add_f32_e32 v2, v2, v4
	v_dual_add_f32 v1, v1, v240 :: v_dual_mul_f32 v4, v223, v171
	s_delay_alu instid0(VALU_DEP_4) | instskip(NEXT) | instid1(VALU_DEP_2)
	v_fma_f32 v5, v220, v168, -v5
	v_dual_add_f32 v2, v2, v3 :: v_dual_add_f32 v1, v1, v241
	v_fmac_f32_e32 v243, v213, v160
	v_mul_f32_e32 v3, v225, v173
	v_fma_f32 v4, v222, v170, -v4
	s_delay_alu instid0(VALU_DEP_4) | instskip(SKIP_1) | instid1(VALU_DEP_4)
	v_dual_add_f32 v2, v2, v5 :: v_dual_add_f32 v1, v1, v242
	v_mul_f32_e32 v5, v227, v175
	v_fma_f32 v3, v224, v172, -v3
	s_delay_alu instid0(VALU_DEP_3) | instskip(SKIP_1) | instid1(VALU_DEP_4)
	v_dual_add_f32 v2, v2, v4 :: v_dual_add_f32 v1, v1, v243
	v_fmac_f32_e32 v245, v217, v164
	v_fma_f32 v5, v226, v174, -v5
	v_mul_f32_e32 v4, v229, v177
	s_delay_alu instid0(VALU_DEP_4) | instskip(NEXT) | instid1(VALU_DEP_2)
	v_dual_add_f32 v2, v2, v3 :: v_dual_add_f32 v1, v1, v244
	v_fma_f32 v3, v228, v176, -v4
	s_delay_alu instid0(VALU_DEP_2) | instskip(NEXT) | instid1(VALU_DEP_1)
	v_add_f32_e32 v2, v2, v5
	v_dual_add_f32 v1, v1, v245 :: v_dual_add_f32 v2, v2, v3
	s_delay_alu instid0(VALU_DEP_1) | instskip(NEXT) | instid1(VALU_DEP_1)
	v_add_f32_e32 v1, v1, v246
	v_add_f32_e32 v1, v1, v247
	s_delay_alu instid0(VALU_DEP_1) | instskip(NEXT) | instid1(VALU_DEP_1)
	v_add_f32_e32 v1, v1, v248
	v_add_f32_e32 v1, v1, v249
	;; [unrolled: 3-line block ×3, first 2 shown]
	s_wait_loadcnt 0x0
	s_delay_alu instid0(VALU_DEP_1)
	v_dual_sub_f32 v1, v30, v2 :: v_dual_sub_f32 v2, v31, v3
	scratch_store_b64 off, v[1:2], off offset:256
	v_cmpx_lt_u32_e32 31, v0
	s_cbranch_execz .LBB58_305
; %bb.304:
	scratch_load_b64 v[1:2], off, off offset:248
	v_mov_b32_e32 v3, 0
	s_delay_alu instid0(VALU_DEP_1)
	v_mov_b32_e32 v4, v3
	scratch_store_b64 off, v[3:4], off offset:248
	s_wait_loadcnt 0x0
	ds_store_b64 v153, v[1:2]
.LBB58_305:
	s_wait_alu 0xfffe
	s_or_b32 exec_lo, exec_lo, s0
	s_wait_storecnt_dscnt 0x0
	s_barrier_signal -1
	s_barrier_wait -1
	global_inv scope:SCOPE_SE
	s_clause 0x4
	scratch_load_b128 v[2:5], off, off offset:256
	scratch_load_b128 v[6:9], off, off offset:272
	;; [unrolled: 1-line block ×5, first 2 shown]
	v_mov_b32_e32 v1, 0
	ds_load_b128 v[22:25], v1 offset:736
	ds_load_b128 v[26:29], v1 offset:752
	;; [unrolled: 1-line block ×3, first 2 shown]
	scratch_load_b64 v[30:31], off, off offset:248
	s_mov_b32 s0, exec_lo
	s_wait_loadcnt_dscnt 0x502
	v_mul_f32_e32 v32, v23, v3
	v_dual_mul_f32 v151, v22, v3 :: v_dual_mul_f32 v152, v24, v5
	v_mul_f32_e32 v3, v25, v5
	s_wait_loadcnt_dscnt 0x300
	v_mul_f32_e32 v158, v156, v13
	v_fma_f32 v22, v22, v2, -v32
	v_dual_fmac_f32 v151, v23, v2 :: v_dual_fmac_f32 v152, v25, v4
	v_fma_f32 v23, v24, v4, -v3
	v_mul_f32_e32 v24, v26, v7
	v_mul_f32_e32 v7, v27, v7
	v_dual_mul_f32 v25, v28, v9 :: v_dual_mul_f32 v32, v154, v11
	s_delay_alu instid0(VALU_DEP_3) | instskip(NEXT) | instid1(VALU_DEP_3)
	v_dual_mul_f32 v9, v29, v9 :: v_dual_fmac_f32 v24, v27, v6
	v_fma_f32 v26, v26, v6, -v7
	s_delay_alu instid0(VALU_DEP_3) | instskip(NEXT) | instid1(VALU_DEP_3)
	v_dual_fmac_f32 v25, v29, v8 :: v_dual_fmac_f32 v32, v155, v10
	v_fma_f32 v27, v28, v8, -v9
	scratch_load_b128 v[6:9], off, off offset:336
	ds_load_b128 v[2:5], v1 offset:784
	v_dual_mul_f32 v11, v155, v11 :: v_dual_fmac_f32 v158, v157, v12
	v_mul_f32_e32 v13, v157, v13
	s_delay_alu instid0(VALU_DEP_2) | instskip(NEXT) | instid1(VALU_DEP_2)
	v_fma_f32 v28, v154, v10, -v11
	v_fma_f32 v29, v156, v12, -v13
	ds_load_b128 v[10:13], v1 offset:800
	s_wait_loadcnt_dscnt 0x301
	v_mul_f32_e32 v154, v2, v15
	v_mul_f32_e32 v15, v3, v15
	;; [unrolled: 1-line block ×3, first 2 shown]
	s_delay_alu instid0(VALU_DEP_3) | instskip(SKIP_1) | instid1(VALU_DEP_2)
	v_dual_mul_f32 v17, v5, v17 :: v_dual_fmac_f32 v154, v3, v14
	s_wait_loadcnt_dscnt 0x200
	v_dual_fmac_f32 v155, v5, v16 :: v_dual_mul_f32 v160, v12, v21
	v_fma_f32 v156, v2, v14, -v15
	v_mul_f32_e32 v14, v11, v19
	v_fma_f32 v157, v4, v16, -v17
	ds_load_b128 v[2:5], v1 offset:816
	v_dual_mul_f32 v159, v10, v19 :: v_dual_fmac_f32 v160, v13, v20
	v_mul_f32_e32 v15, v13, v21
	s_delay_alu instid0(VALU_DEP_1) | instskip(SKIP_1) | instid1(VALU_DEP_3)
	v_fma_f32 v19, v12, v20, -v15
	s_wait_loadcnt_dscnt 0x0
	v_dual_mul_f32 v162, v4, v9 :: v_dual_fmac_f32 v159, v11, v18
	v_fma_f32 v18, v10, v18, -v14
	scratch_load_b128 v[10:13], off, off offset:352
	v_mul_f32_e32 v161, v2, v7
	v_mul_f32_e32 v7, v3, v7
	;; [unrolled: 1-line block ×3, first 2 shown]
	s_delay_alu instid0(VALU_DEP_3) | instskip(NEXT) | instid1(VALU_DEP_3)
	v_dual_fmac_f32 v162, v5, v8 :: v_dual_fmac_f32 v161, v3, v6
	v_fma_f32 v163, v2, v6, -v7
	s_delay_alu instid0(VALU_DEP_3)
	v_fma_f32 v164, v4, v8, -v9
	ds_load_b128 v[2:5], v1 offset:832
	ds_load_b128 v[6:9], v1 offset:848
	s_wait_loadcnt_dscnt 0x1
	v_mul_f32_e32 v165, v2, v11
	v_dual_mul_f32 v11, v3, v11 :: v_dual_mul_f32 v166, v4, v13
	s_delay_alu instid0(VALU_DEP_2) | instskip(NEXT) | instid1(VALU_DEP_2)
	v_fmac_f32_e32 v165, v3, v10
	v_fma_f32 v167, v2, v10, -v11
	v_mul_f32_e32 v2, v5, v13
	s_delay_alu instid0(VALU_DEP_4) | instskip(NEXT) | instid1(VALU_DEP_2)
	v_fmac_f32_e32 v166, v5, v12
	v_fma_f32 v168, v4, v12, -v2
	s_clause 0x1
	scratch_load_b128 v[2:5], off, off offset:368
	scratch_load_b128 v[10:13], off, off offset:384
	s_wait_loadcnt_dscnt 0x100
	v_mul_f32_e32 v169, v6, v3
	v_mul_f32_e32 v3, v7, v3
	;; [unrolled: 1-line block ×3, first 2 shown]
	s_delay_alu instid0(VALU_DEP_2) | instskip(SKIP_1) | instid1(VALU_DEP_1)
	v_fma_f32 v170, v6, v2, -v3
	v_add_f32_e32 v3, 0, v151
	v_add_f32_e32 v6, v3, v152
	s_delay_alu instid0(VALU_DEP_1) | instskip(NEXT) | instid1(VALU_DEP_1)
	v_add_f32_e32 v14, v6, v24
	v_dual_add_f32 v14, v14, v25 :: v_dual_fmac_f32 v169, v7, v2
	v_mul_f32_e32 v2, v9, v5
	s_delay_alu instid0(VALU_DEP_2) | instskip(NEXT) | instid1(VALU_DEP_2)
	v_add_f32_e32 v14, v14, v32
	v_fma_f32 v172, v8, v4, -v2
	v_add_f32_e32 v2, 0, v22
	s_delay_alu instid0(VALU_DEP_3) | instskip(NEXT) | instid1(VALU_DEP_1)
	v_add_f32_e32 v21, v14, v158
	v_dual_add_f32 v2, v2, v23 :: v_dual_add_f32 v21, v21, v154
	s_delay_alu instid0(VALU_DEP_1) | instskip(NEXT) | instid1(VALU_DEP_1)
	v_add_f32_e32 v21, v21, v155
	v_dual_add_f32 v7, v2, v26 :: v_dual_add_f32 v22, v21, v159
	s_delay_alu instid0(VALU_DEP_1) | instskip(SKIP_2) | instid1(VALU_DEP_1)
	v_add_f32_e32 v15, v7, v27
	scratch_load_b64 v[26:27], off, off offset:464
	v_add_f32_e32 v22, v22, v160
	v_dual_add_f32 v15, v15, v28 :: v_dual_add_f32 v22, v22, v161
	s_delay_alu instid0(VALU_DEP_1)
	v_dual_fmac_f32 v171, v9, v4 :: v_dual_add_f32 v20, v15, v29
	scratch_load_b128 v[2:5], off, off offset:400
	ds_load_b128 v[6:9], v1 offset:864
	ds_load_b128 v[14:17], v1 offset:880
	v_add_f32_e32 v22, v22, v162
	v_add_f32_e32 v20, v20, v156
	s_delay_alu instid0(VALU_DEP_1) | instskip(NEXT) | instid1(VALU_DEP_1)
	v_add_f32_e32 v20, v20, v157
	v_add_f32_e32 v18, v20, v18
	s_wait_loadcnt_dscnt 0x201
	v_mul_f32_e32 v32, v6, v11
	v_mul_f32_e32 v11, v7, v11
	;; [unrolled: 1-line block ×3, first 2 shown]
	s_delay_alu instid0(VALU_DEP_3) | instskip(NEXT) | instid1(VALU_DEP_3)
	v_dual_mul_f32 v13, v9, v13 :: v_dual_fmac_f32 v32, v7, v10
	v_fma_f32 v152, v6, v10, -v11
	s_delay_alu instid0(VALU_DEP_3) | instskip(NEXT) | instid1(VALU_DEP_3)
	v_fmac_f32_e32 v151, v9, v12
	v_fma_f32 v154, v8, v12, -v13
	s_clause 0x1
	scratch_load_b128 v[6:9], off, off offset:416
	scratch_load_b128 v[10:13], off, off offset:432
	s_wait_loadcnt_dscnt 0x200
	v_dual_mul_f32 v156, v16, v5 :: v_dual_add_f32 v23, v18, v19
	scratch_load_b128 v[18:21], off, off offset:448
	v_mul_f32_e32 v155, v14, v3
	v_dual_mul_f32 v3, v15, v3 :: v_dual_fmac_f32 v156, v17, v4
	s_delay_alu instid0(VALU_DEP_1) | instskip(SKIP_1) | instid1(VALU_DEP_1)
	v_fma_f32 v157, v14, v2, -v3
	v_add_f32_e32 v14, v22, v165
	v_add_f32_e32 v22, v14, v166
	s_delay_alu instid0(VALU_DEP_1) | instskip(NEXT) | instid1(VALU_DEP_1)
	v_add_f32_e32 v29, v22, v169
	v_dual_fmac_f32 v155, v15, v2 :: v_dual_add_f32 v160, v29, v171
	s_delay_alu instid0(VALU_DEP_1) | instskip(NEXT) | instid1(VALU_DEP_1)
	v_dual_add_f32 v23, v23, v163 :: v_dual_add_f32 v32, v160, v32
	v_add_f32_e32 v23, v23, v164
	s_delay_alu instid0(VALU_DEP_2) | instskip(NEXT) | instid1(VALU_DEP_1)
	v_dual_mul_f32 v5, v17, v5 :: v_dual_add_f32 v32, v32, v151
	v_fma_f32 v158, v16, v4, -v5
	s_delay_alu instid0(VALU_DEP_3)
	v_add_f32_e32 v23, v23, v167
	ds_load_b128 v[2:5], v1 offset:896
	v_dual_add_f32 v32, v32, v155 :: v_dual_add_f32 v15, v23, v168
	ds_load_b128 v[22:25], v1 offset:928
	v_add_f32_e32 v32, v32, v156
	v_add_f32_e32 v28, v15, v170
	ds_load_b128 v[14:17], v1 offset:912
	v_add_f32_e32 v159, v28, v172
	ds_load_b64 v[28:29], v1 offset:944
	s_wait_loadcnt_dscnt 0x203
	v_dual_add_f32 v152, v159, v152 :: v_dual_mul_f32 v159, v2, v7
	s_delay_alu instid0(VALU_DEP_1) | instskip(NEXT) | instid1(VALU_DEP_1)
	v_dual_mul_f32 v7, v3, v7 :: v_dual_add_f32 v152, v152, v154
	v_fma_f32 v2, v2, v6, -v7
	s_delay_alu instid0(VALU_DEP_2) | instskip(SKIP_2) | instid1(VALU_DEP_2)
	v_add_f32_e32 v152, v152, v157
	s_wait_loadcnt_dscnt 0x101
	v_dual_mul_f32 v154, v14, v11 :: v_dual_mul_f32 v151, v4, v9
	v_dual_mul_f32 v9, v5, v9 :: v_dual_add_f32 v152, v152, v158
	s_wait_dscnt 0x0
	v_mul_f32_e32 v156, v28, v27
	s_delay_alu instid0(VALU_DEP_3) | instskip(NEXT) | instid1(VALU_DEP_3)
	v_fmac_f32_e32 v154, v15, v10
	v_add_f32_e32 v2, v152, v2
	s_wait_loadcnt 0x0
	s_delay_alu instid0(VALU_DEP_3) | instskip(SKIP_4) | instid1(VALU_DEP_4)
	v_dual_fmac_f32 v156, v29, v26 :: v_dual_mul_f32 v157, v22, v19
	v_dual_mul_f32 v158, v24, v21 :: v_dual_fmac_f32 v159, v3, v6
	v_mul_f32_e32 v6, v17, v13
	v_fma_f32 v3, v4, v8, -v9
	v_dual_mul_f32 v4, v15, v11 :: v_dual_mul_f32 v155, v16, v13
	v_fmac_f32_e32 v158, v25, v20
	s_delay_alu instid0(VALU_DEP_4) | instskip(NEXT) | instid1(VALU_DEP_4)
	v_fma_f32 v6, v16, v12, -v6
	v_add_f32_e32 v2, v2, v3
	s_delay_alu instid0(VALU_DEP_4) | instskip(NEXT) | instid1(VALU_DEP_1)
	v_fma_f32 v4, v14, v10, -v4
	v_dual_fmac_f32 v157, v23, v18 :: v_dual_add_f32 v2, v2, v4
	v_fmac_f32_e32 v151, v5, v8
	v_dual_add_f32 v5, v32, v159 :: v_dual_mul_f32 v4, v25, v21
	s_delay_alu instid0(VALU_DEP_3) | instskip(SKIP_1) | instid1(VALU_DEP_3)
	v_add_f32_e32 v2, v2, v6
	v_mul_f32_e32 v6, v29, v27
	v_add_f32_e32 v3, v5, v151
	v_mul_f32_e32 v5, v23, v19
	v_fma_f32 v4, v24, v20, -v4
	s_delay_alu instid0(VALU_DEP_2) | instskip(NEXT) | instid1(VALU_DEP_1)
	v_fma_f32 v5, v22, v18, -v5
	v_dual_add_f32 v2, v2, v5 :: v_dual_add_f32 v3, v3, v154
	v_fma_f32 v5, v28, v26, -v6
	s_delay_alu instid0(VALU_DEP_2) | instskip(NEXT) | instid1(VALU_DEP_1)
	v_add_f32_e32 v2, v2, v4
	v_dual_fmac_f32 v155, v17, v12 :: v_dual_add_f32 v2, v2, v5
	s_delay_alu instid0(VALU_DEP_1) | instskip(NEXT) | instid1(VALU_DEP_1)
	v_dual_add_f32 v3, v3, v155 :: v_dual_sub_f32 v2, v30, v2
	v_add_f32_e32 v3, v3, v157
	s_delay_alu instid0(VALU_DEP_1) | instskip(NEXT) | instid1(VALU_DEP_1)
	v_add_f32_e32 v3, v3, v158
	v_add_f32_e32 v3, v3, v156
	s_delay_alu instid0(VALU_DEP_1)
	v_sub_f32_e32 v3, v31, v3
	scratch_store_b64 off, v[2:3], off offset:248
	v_cmpx_lt_u32_e32 30, v0
	s_cbranch_execz .LBB58_307
; %bb.306:
	scratch_load_b64 v[3:4], off, off offset:240
	v_mov_b32_e32 v2, v1
	scratch_store_b64 off, v[1:2], off offset:240
	s_wait_loadcnt 0x0
	ds_store_b64 v153, v[3:4]
.LBB58_307:
	s_wait_alu 0xfffe
	s_or_b32 exec_lo, exec_lo, s0
	s_wait_storecnt_dscnt 0x0
	s_barrier_signal -1
	s_barrier_wait -1
	global_inv scope:SCOPE_SE
	s_clause 0x4
	scratch_load_b128 v[2:5], off, off offset:248
	scratch_load_b128 v[6:9], off, off offset:264
	;; [unrolled: 1-line block ×5, first 2 shown]
	ds_load_2addr_b64 v[22:25], v1 offset0:91 offset1:92
	ds_load_2addr_b64 v[26:29], v1 offset0:93 offset1:94
	;; [unrolled: 1-line block ×3, first 2 shown]
	scratch_load_b64 v[30:31], off, off offset:240
	s_mov_b32 s0, exec_lo
	s_wait_loadcnt_dscnt 0x502
	v_mul_f32_e32 v32, v23, v3
	v_dual_mul_f32 v151, v22, v3 :: v_dual_mul_f32 v152, v24, v5
	v_mul_f32_e32 v3, v25, v5
	s_wait_loadcnt_dscnt 0x300
	v_mul_f32_e32 v158, v156, v13
	v_fma_f32 v22, v22, v2, -v32
	v_dual_fmac_f32 v151, v23, v2 :: v_dual_fmac_f32 v152, v25, v4
	v_fma_f32 v23, v24, v4, -v3
	ds_load_2addr_b64 v[2:5], v1 offset0:97 offset1:98
	v_dual_mul_f32 v24, v26, v7 :: v_dual_mul_f32 v25, v28, v9
	v_mul_f32_e32 v7, v27, v7
	v_dual_mul_f32 v9, v29, v9 :: v_dual_mul_f32 v32, v154, v11
	v_dual_mul_f32 v11, v155, v11 :: v_dual_fmac_f32 v158, v157, v12
	s_delay_alu instid0(VALU_DEP_4) | instskip(SKIP_1) | instid1(VALU_DEP_4)
	v_dual_mul_f32 v13, v157, v13 :: v_dual_fmac_f32 v24, v27, v6
	v_fmac_f32_e32 v25, v29, v8
	v_fma_f32 v27, v28, v8, -v9
	v_fmac_f32_e32 v32, v155, v10
	v_fma_f32 v28, v154, v10, -v11
	v_fma_f32 v29, v156, v12, -v13
	ds_load_2addr_b64 v[10:13], v1 offset0:99 offset1:100
	v_fma_f32 v26, v26, v6, -v7
	scratch_load_b128 v[6:9], off, off offset:328
	s_wait_loadcnt_dscnt 0x301
	v_dual_mul_f32 v154, v2, v15 :: v_dual_mul_f32 v155, v4, v17
	v_mul_f32_e32 v15, v3, v15
	s_delay_alu instid0(VALU_DEP_2) | instskip(NEXT) | instid1(VALU_DEP_3)
	v_dual_mul_f32 v17, v5, v17 :: v_dual_fmac_f32 v154, v3, v14
	v_fmac_f32_e32 v155, v5, v16
	s_delay_alu instid0(VALU_DEP_3) | instskip(NEXT) | instid1(VALU_DEP_3)
	v_fma_f32 v14, v2, v14, -v15
	v_fma_f32 v15, v4, v16, -v17
	ds_load_2addr_b64 v[2:5], v1 offset0:101 offset1:102
	s_wait_loadcnt_dscnt 0x201
	v_mul_f32_e32 v16, v10, v19
	v_mul_f32_e32 v17, v11, v19
	;; [unrolled: 1-line block ×3, first 2 shown]
	s_delay_alu instid0(VALU_DEP_3) | instskip(NEXT) | instid1(VALU_DEP_3)
	v_dual_mul_f32 v21, v13, v21 :: v_dual_fmac_f32 v16, v11, v18
	v_fma_f32 v17, v10, v18, -v17
	s_delay_alu instid0(VALU_DEP_3) | instskip(NEXT) | instid1(VALU_DEP_3)
	v_fmac_f32_e32 v19, v13, v20
	v_fma_f32 v18, v12, v20, -v21
	scratch_load_b128 v[10:13], off, off offset:344
	s_wait_loadcnt_dscnt 0x100
	v_mul_f32_e32 v20, v2, v7
	v_mul_f32_e32 v7, v3, v7
	v_mul_f32_e32 v21, v4, v9
	s_delay_alu instid0(VALU_DEP_3) | instskip(NEXT) | instid1(VALU_DEP_3)
	v_dual_mul_f32 v9, v5, v9 :: v_dual_fmac_f32 v20, v3, v6
	v_fma_f32 v156, v2, v6, -v7
	s_delay_alu instid0(VALU_DEP_3) | instskip(NEXT) | instid1(VALU_DEP_3)
	v_fmac_f32_e32 v21, v5, v8
	v_fma_f32 v157, v4, v8, -v9
	ds_load_2addr_b64 v[2:5], v1 offset0:103 offset1:104
	ds_load_2addr_b64 v[6:9], v1 offset0:105 offset1:106
	s_wait_loadcnt_dscnt 0x1
	v_mul_f32_e32 v159, v2, v11
	v_dual_mul_f32 v11, v3, v11 :: v_dual_mul_f32 v160, v4, v13
	s_delay_alu instid0(VALU_DEP_2) | instskip(NEXT) | instid1(VALU_DEP_2)
	v_fmac_f32_e32 v159, v3, v10
	v_fma_f32 v161, v2, v10, -v11
	v_mul_f32_e32 v2, v5, v13
	s_delay_alu instid0(VALU_DEP_4) | instskip(NEXT) | instid1(VALU_DEP_2)
	v_fmac_f32_e32 v160, v5, v12
	v_fma_f32 v162, v4, v12, -v2
	s_clause 0x1
	scratch_load_b128 v[2:5], off, off offset:360
	scratch_load_b128 v[10:13], off, off offset:376
	s_wait_loadcnt_dscnt 0x100
	v_mul_f32_e32 v163, v6, v3
	v_mul_f32_e32 v3, v7, v3
	;; [unrolled: 1-line block ×3, first 2 shown]
	s_delay_alu instid0(VALU_DEP_3) | instskip(NEXT) | instid1(VALU_DEP_3)
	v_fmac_f32_e32 v163, v7, v2
	v_fma_f32 v164, v6, v2, -v3
	v_mul_f32_e32 v2, v9, v5
	s_delay_alu instid0(VALU_DEP_4) | instskip(NEXT) | instid1(VALU_DEP_2)
	v_fmac_f32_e32 v165, v9, v4
	v_fma_f32 v166, v8, v4, -v2
	ds_load_2addr_b64 v[2:5], v1 offset0:107 offset1:108
	ds_load_2addr_b64 v[6:9], v1 offset0:109 offset1:110
	s_wait_loadcnt_dscnt 0x1
	v_mul_f32_e32 v167, v2, v11
	v_mul_f32_e32 v169, v4, v13
	s_delay_alu instid0(VALU_DEP_2) | instskip(SKIP_1) | instid1(VALU_DEP_3)
	v_fmac_f32_e32 v167, v3, v10
	v_mul_f32_e32 v3, v3, v11
	v_fmac_f32_e32 v169, v5, v12
	s_delay_alu instid0(VALU_DEP_2) | instskip(SKIP_1) | instid1(VALU_DEP_1)
	v_fma_f32 v168, v2, v10, -v3
	v_mul_f32_e32 v2, v5, v13
	v_fma_f32 v170, v4, v12, -v2
	s_clause 0x1
	scratch_load_b128 v[2:5], off, off offset:392
	scratch_load_b128 v[10:13], off, off offset:408
	s_wait_loadcnt_dscnt 0x100
	v_mul_f32_e32 v171, v6, v3
	v_mul_f32_e32 v3, v7, v3
	s_delay_alu instid0(VALU_DEP_2) | instskip(NEXT) | instid1(VALU_DEP_2)
	v_fmac_f32_e32 v171, v7, v2
	v_fma_f32 v172, v6, v2, -v3
	v_dual_mul_f32 v2, v9, v5 :: v_dual_add_f32 v3, 0, v151
	s_delay_alu instid0(VALU_DEP_1) | instskip(NEXT) | instid1(VALU_DEP_2)
	v_fma_f32 v174, v8, v4, -v2
	v_dual_add_f32 v2, 0, v22 :: v_dual_add_f32 v3, v3, v152
	s_delay_alu instid0(VALU_DEP_1) | instskip(NEXT) | instid1(VALU_DEP_1)
	v_add_f32_e32 v2, v2, v23
	v_add_f32_e32 v2, v2, v26
	s_delay_alu instid0(VALU_DEP_1) | instskip(NEXT) | instid1(VALU_DEP_1)
	v_add_f32_e32 v2, v2, v27
	v_add_f32_e32 v2, v2, v28
	;; [unrolled: 3-line block ×5, first 2 shown]
	v_add_f32_e32 v3, v3, v24
	s_delay_alu instid0(VALU_DEP_1) | instskip(NEXT) | instid1(VALU_DEP_1)
	v_add_f32_e32 v3, v3, v25
	v_add_f32_e32 v6, v3, v32
	s_delay_alu instid0(VALU_DEP_1) | instskip(NEXT) | instid1(VALU_DEP_1)
	v_add_f32_e32 v6, v6, v158
	;; [unrolled: 3-line block ×4, first 2 shown]
	v_dual_add_f32 v19, v14, v157 :: v_dual_add_f32 v18, v15, v20
	scratch_load_b128 v[14:17], off, off offset:456
	v_add_f32_e32 v19, v19, v161
	v_add_f32_e32 v18, v18, v21
	v_mul_f32_e32 v173, v8, v5
	s_delay_alu instid0(VALU_DEP_2) | instskip(NEXT) | instid1(VALU_DEP_1)
	v_dual_add_f32 v19, v19, v162 :: v_dual_add_f32 v18, v18, v159
	v_add_f32_e32 v22, v19, v164
	s_delay_alu instid0(VALU_DEP_3) | instskip(SKIP_4) | instid1(VALU_DEP_2)
	v_fmac_f32_e32 v173, v9, v4
	ds_load_2addr_b64 v[2:5], v1 offset0:111 offset1:112
	ds_load_2addr_b64 v[6:9], v1 offset0:113 offset1:114
	v_add_f32_e32 v18, v18, v160
	v_add_f32_e32 v32, v22, v166
	v_add_f32_e32 v23, v18, v163
	ds_load_2addr_b64 v[18:21], v1 offset0:115 offset1:116
	v_add_f32_e32 v151, v23, v165
	ds_load_2addr_b64 v[22:25], v1 offset0:117 offset1:118
	v_dual_add_f32 v1, v32, v168 :: v_dual_add_f32 v32, v151, v167
	s_wait_loadcnt_dscnt 0x103
	v_dual_mul_f32 v27, v4, v13 :: v_dual_mul_f32 v26, v2, v11
	v_mul_f32_e32 v11, v3, v11
	v_mul_f32_e32 v13, v5, v13
	s_delay_alu instid0(VALU_DEP_3) | instskip(NEXT) | instid1(VALU_DEP_4)
	v_dual_add_f32 v32, v32, v169 :: v_dual_fmac_f32 v27, v5, v12
	v_fmac_f32_e32 v26, v3, v10
	s_delay_alu instid0(VALU_DEP_4) | instskip(NEXT) | instid1(VALU_DEP_3)
	v_fma_f32 v28, v2, v10, -v11
	v_add_f32_e32 v32, v32, v171
	s_delay_alu instid0(VALU_DEP_1) | instskip(NEXT) | instid1(VALU_DEP_1)
	v_add_f32_e32 v32, v32, v173
	v_add_f32_e32 v26, v32, v26
	s_wait_loadcnt_dscnt 0x0
	v_mul_f32_e32 v156, v22, v15
	v_fma_f32 v29, v4, v12, -v13
	s_clause 0x1
	scratch_load_b128 v[2:5], off, off offset:424
	scratch_load_b128 v[10:13], off, off offset:440
	s_wait_loadcnt 0x1
	v_dual_fmac_f32 v156, v23, v14 :: v_dual_mul_f32 v151, v6, v3
	v_dual_mul_f32 v3, v7, v3 :: v_dual_mul_f32 v152, v8, v5
	s_wait_loadcnt 0x0
	v_dual_mul_f32 v154, v18, v11 :: v_dual_mul_f32 v155, v20, v13
	s_delay_alu instid0(VALU_DEP_3) | instskip(NEXT) | instid1(VALU_DEP_3)
	v_fmac_f32_e32 v151, v7, v2
	v_fma_f32 v3, v6, v2, -v3
	v_mul_f32_e32 v6, v19, v11
	v_add_f32_e32 v2, v26, v27
	v_fmac_f32_e32 v152, v9, v4
	v_dual_fmac_f32 v154, v19, v10 :: v_dual_fmac_f32 v155, v21, v12
	s_delay_alu instid0(VALU_DEP_3) | instskip(NEXT) | instid1(VALU_DEP_1)
	v_dual_mul_f32 v5, v9, v5 :: v_dual_add_f32 v2, v2, v151
	v_fma_f32 v4, v8, v4, -v5
	s_delay_alu instid0(VALU_DEP_2) | instskip(SKIP_1) | instid1(VALU_DEP_2)
	v_add_f32_e32 v2, v2, v152
	v_fma_f32 v5, v18, v10, -v6
	v_add_f32_e32 v2, v2, v154
	s_delay_alu instid0(VALU_DEP_1) | instskip(NEXT) | instid1(VALU_DEP_1)
	v_dual_add_f32 v1, v1, v170 :: v_dual_add_f32 v2, v2, v155
	v_add_f32_e32 v1, v1, v172
	s_delay_alu instid0(VALU_DEP_1) | instskip(NEXT) | instid1(VALU_DEP_1)
	v_dual_add_f32 v2, v2, v156 :: v_dual_add_f32 v1, v1, v174
	v_dual_add_f32 v1, v1, v28 :: v_dual_mul_f32 v28, v24, v17
	s_delay_alu instid0(VALU_DEP_1) | instskip(NEXT) | instid1(VALU_DEP_2)
	v_add_f32_e32 v1, v1, v29
	v_fmac_f32_e32 v28, v25, v16
	s_delay_alu instid0(VALU_DEP_2) | instskip(NEXT) | instid1(VALU_DEP_2)
	v_add_f32_e32 v1, v1, v3
	v_dual_mul_f32 v3, v21, v13 :: v_dual_add_f32 v2, v2, v28
	s_delay_alu instid0(VALU_DEP_2) | instskip(NEXT) | instid1(VALU_DEP_2)
	v_dual_add_f32 v1, v1, v4 :: v_dual_mul_f32 v4, v23, v15
	v_fma_f32 v3, v20, v12, -v3
	s_delay_alu instid0(VALU_DEP_2) | instskip(SKIP_1) | instid1(VALU_DEP_4)
	v_dual_sub_f32 v2, v31, v2 :: v_dual_add_f32 v1, v1, v5
	v_mul_f32_e32 v5, v25, v17
	v_fma_f32 v4, v22, v14, -v4
	s_delay_alu instid0(VALU_DEP_3) | instskip(NEXT) | instid1(VALU_DEP_3)
	v_add_f32_e32 v1, v1, v3
	v_fma_f32 v3, v24, v16, -v5
	s_delay_alu instid0(VALU_DEP_2) | instskip(NEXT) | instid1(VALU_DEP_1)
	v_add_f32_e32 v1, v1, v4
	v_add_f32_e32 v1, v1, v3
	s_delay_alu instid0(VALU_DEP_1)
	v_sub_f32_e32 v1, v30, v1
	scratch_store_b64 off, v[1:2], off offset:240
	v_cmpx_lt_u32_e32 29, v0
	s_cbranch_execz .LBB58_309
; %bb.308:
	scratch_load_b64 v[1:2], off, off offset:232
	v_mov_b32_e32 v3, 0
	s_delay_alu instid0(VALU_DEP_1)
	v_mov_b32_e32 v4, v3
	scratch_store_b64 off, v[3:4], off offset:232
	s_wait_loadcnt 0x0
	ds_store_b64 v153, v[1:2]
.LBB58_309:
	s_wait_alu 0xfffe
	s_or_b32 exec_lo, exec_lo, s0
	s_wait_storecnt_dscnt 0x0
	s_barrier_signal -1
	s_barrier_wait -1
	global_inv scope:SCOPE_SE
	s_clause 0x4
	scratch_load_b128 v[2:5], off, off offset:240
	scratch_load_b128 v[6:9], off, off offset:256
	;; [unrolled: 1-line block ×5, first 2 shown]
	v_mov_b32_e32 v1, 0
	ds_load_b128 v[22:25], v1 offset:720
	ds_load_b128 v[26:29], v1 offset:736
	;; [unrolled: 1-line block ×3, first 2 shown]
	scratch_load_b64 v[30:31], off, off offset:232
	s_mov_b32 s0, exec_lo
	s_wait_loadcnt_dscnt 0x502
	v_mul_f32_e32 v32, v23, v3
	v_dual_mul_f32 v151, v22, v3 :: v_dual_mul_f32 v152, v24, v5
	v_mul_f32_e32 v3, v25, v5
	s_wait_loadcnt_dscnt 0x300
	v_mul_f32_e32 v158, v156, v13
	v_fma_f32 v22, v22, v2, -v32
	v_dual_fmac_f32 v151, v23, v2 :: v_dual_fmac_f32 v152, v25, v4
	v_fma_f32 v23, v24, v4, -v3
	ds_load_b128 v[2:5], v1 offset:768
	v_mul_f32_e32 v24, v26, v7
	v_mul_f32_e32 v7, v27, v7
	v_dual_mul_f32 v25, v28, v9 :: v_dual_mul_f32 v32, v154, v11
	s_delay_alu instid0(VALU_DEP_3) | instskip(SKIP_2) | instid1(VALU_DEP_4)
	v_dual_mul_f32 v9, v29, v9 :: v_dual_fmac_f32 v24, v27, v6
	v_dual_mul_f32 v11, v155, v11 :: v_dual_fmac_f32 v158, v157, v12
	v_mul_f32_e32 v13, v157, v13
	v_dual_fmac_f32 v25, v29, v8 :: v_dual_fmac_f32 v32, v155, v10
	s_delay_alu instid0(VALU_DEP_4) | instskip(NEXT) | instid1(VALU_DEP_4)
	v_fma_f32 v27, v28, v8, -v9
	v_fma_f32 v28, v154, v10, -v11
	s_delay_alu instid0(VALU_DEP_4)
	v_fma_f32 v29, v156, v12, -v13
	ds_load_b128 v[10:13], v1 offset:784
	v_fma_f32 v26, v26, v6, -v7
	scratch_load_b128 v[6:9], off, off offset:320
	s_wait_loadcnt_dscnt 0x301
	v_mul_f32_e32 v154, v2, v15
	v_mul_f32_e32 v15, v3, v15
	;; [unrolled: 1-line block ×3, first 2 shown]
	s_delay_alu instid0(VALU_DEP_3) | instskip(NEXT) | instid1(VALU_DEP_3)
	v_dual_mul_f32 v17, v5, v17 :: v_dual_fmac_f32 v154, v3, v14
	v_fma_f32 v14, v2, v14, -v15
	s_delay_alu instid0(VALU_DEP_3) | instskip(NEXT) | instid1(VALU_DEP_3)
	v_fmac_f32_e32 v155, v5, v16
	v_fma_f32 v15, v4, v16, -v17
	ds_load_b128 v[2:5], v1 offset:800
	s_wait_loadcnt_dscnt 0x201
	v_mul_f32_e32 v16, v10, v19
	v_mul_f32_e32 v17, v11, v19
	;; [unrolled: 1-line block ×3, first 2 shown]
	s_delay_alu instid0(VALU_DEP_3) | instskip(NEXT) | instid1(VALU_DEP_3)
	v_dual_mul_f32 v21, v13, v21 :: v_dual_fmac_f32 v16, v11, v18
	v_fma_f32 v17, v10, v18, -v17
	s_delay_alu instid0(VALU_DEP_3) | instskip(NEXT) | instid1(VALU_DEP_3)
	v_fmac_f32_e32 v19, v13, v20
	v_fma_f32 v18, v12, v20, -v21
	scratch_load_b128 v[10:13], off, off offset:336
	s_wait_loadcnt_dscnt 0x100
	v_mul_f32_e32 v20, v2, v7
	v_mul_f32_e32 v7, v3, v7
	;; [unrolled: 1-line block ×3, first 2 shown]
	s_delay_alu instid0(VALU_DEP_3) | instskip(NEXT) | instid1(VALU_DEP_3)
	v_dual_mul_f32 v9, v5, v9 :: v_dual_fmac_f32 v20, v3, v6
	v_fma_f32 v156, v2, v6, -v7
	s_delay_alu instid0(VALU_DEP_3) | instskip(NEXT) | instid1(VALU_DEP_3)
	v_fmac_f32_e32 v21, v5, v8
	v_fma_f32 v157, v4, v8, -v9
	ds_load_b128 v[2:5], v1 offset:816
	ds_load_b128 v[6:9], v1 offset:832
	s_wait_loadcnt_dscnt 0x1
	v_mul_f32_e32 v159, v2, v11
	v_dual_mul_f32 v11, v3, v11 :: v_dual_mul_f32 v160, v4, v13
	s_delay_alu instid0(VALU_DEP_2) | instskip(NEXT) | instid1(VALU_DEP_2)
	v_fmac_f32_e32 v159, v3, v10
	v_fma_f32 v161, v2, v10, -v11
	v_mul_f32_e32 v2, v5, v13
	s_delay_alu instid0(VALU_DEP_4) | instskip(NEXT) | instid1(VALU_DEP_2)
	v_fmac_f32_e32 v160, v5, v12
	v_fma_f32 v162, v4, v12, -v2
	s_clause 0x1
	scratch_load_b128 v[2:5], off, off offset:352
	scratch_load_b128 v[10:13], off, off offset:368
	s_wait_loadcnt_dscnt 0x100
	v_mul_f32_e32 v163, v6, v3
	v_mul_f32_e32 v3, v7, v3
	v_mul_f32_e32 v165, v8, v5
	s_delay_alu instid0(VALU_DEP_3) | instskip(NEXT) | instid1(VALU_DEP_3)
	v_fmac_f32_e32 v163, v7, v2
	v_fma_f32 v164, v6, v2, -v3
	v_mul_f32_e32 v2, v9, v5
	s_delay_alu instid0(VALU_DEP_4) | instskip(NEXT) | instid1(VALU_DEP_2)
	v_fmac_f32_e32 v165, v9, v4
	v_fma_f32 v166, v8, v4, -v2
	ds_load_b128 v[2:5], v1 offset:848
	ds_load_b128 v[6:9], v1 offset:864
	s_wait_loadcnt_dscnt 0x1
	v_mul_f32_e32 v167, v2, v11
	v_mul_f32_e32 v169, v4, v13
	s_delay_alu instid0(VALU_DEP_2) | instskip(SKIP_1) | instid1(VALU_DEP_3)
	v_fmac_f32_e32 v167, v3, v10
	v_mul_f32_e32 v3, v3, v11
	v_fmac_f32_e32 v169, v5, v12
	s_delay_alu instid0(VALU_DEP_2) | instskip(SKIP_1) | instid1(VALU_DEP_1)
	v_fma_f32 v168, v2, v10, -v3
	v_mul_f32_e32 v2, v5, v13
	v_fma_f32 v170, v4, v12, -v2
	s_clause 0x1
	scratch_load_b128 v[2:5], off, off offset:384
	scratch_load_b128 v[10:13], off, off offset:400
	s_wait_loadcnt_dscnt 0x100
	v_mul_f32_e32 v171, v6, v3
	v_mul_f32_e32 v3, v7, v3
	s_delay_alu instid0(VALU_DEP_2) | instskip(NEXT) | instid1(VALU_DEP_2)
	v_fmac_f32_e32 v171, v7, v2
	v_fma_f32 v172, v6, v2, -v3
	v_mul_f32_e32 v2, v9, v5
	s_delay_alu instid0(VALU_DEP_1) | instskip(SKIP_1) | instid1(VALU_DEP_1)
	v_fma_f32 v174, v8, v4, -v2
	v_add_f32_e32 v2, 0, v22
	v_add_f32_e32 v2, v2, v23
	s_delay_alu instid0(VALU_DEP_1) | instskip(NEXT) | instid1(VALU_DEP_1)
	v_add_f32_e32 v2, v2, v26
	v_add_f32_e32 v2, v2, v27
	scratch_load_b64 v[26:27], off, off offset:464
	v_add_f32_e32 v2, v2, v28
	s_delay_alu instid0(VALU_DEP_1) | instskip(NEXT) | instid1(VALU_DEP_1)
	v_add_f32_e32 v7, v2, v29
	v_add_f32_e32 v7, v7, v14
	s_delay_alu instid0(VALU_DEP_1) | instskip(NEXT) | instid1(VALU_DEP_1)
	v_add_f32_e32 v14, v7, v15
	v_dual_add_f32 v3, 0, v151 :: v_dual_add_f32 v14, v14, v17
	s_delay_alu instid0(VALU_DEP_1) | instskip(NEXT) | instid1(VALU_DEP_1)
	v_dual_add_f32 v3, v3, v152 :: v_dual_add_f32 v14, v14, v18
	v_add_f32_e32 v14, v14, v156
	s_delay_alu instid0(VALU_DEP_2) | instskip(NEXT) | instid1(VALU_DEP_1)
	v_add_f32_e32 v3, v3, v24
	v_add_f32_e32 v3, v3, v25
	s_delay_alu instid0(VALU_DEP_1) | instskip(NEXT) | instid1(VALU_DEP_1)
	v_add_f32_e32 v6, v3, v32
	v_add_f32_e32 v6, v6, v158
	s_delay_alu instid0(VALU_DEP_1) | instskip(NEXT) | instid1(VALU_DEP_1)
	;; [unrolled: 3-line block ×4, first 2 shown]
	v_dual_add_f32 v19, v14, v157 :: v_dual_add_f32 v18, v15, v20
	v_add_f32_e32 v19, v19, v161
	scratch_load_b128 v[14:17], off, off offset:448
	v_add_f32_e32 v18, v18, v21
	v_mul_f32_e32 v173, v8, v5
	s_delay_alu instid0(VALU_DEP_2) | instskip(NEXT) | instid1(VALU_DEP_1)
	v_dual_add_f32 v19, v19, v162 :: v_dual_add_f32 v18, v18, v159
	v_add_f32_e32 v19, v19, v164
	s_delay_alu instid0(VALU_DEP_2) | instskip(NEXT) | instid1(VALU_DEP_4)
	v_add_f32_e32 v18, v18, v160
	v_fmac_f32_e32 v173, v9, v4
	ds_load_b128 v[2:5], v1 offset:880
	ds_load_b128 v[6:9], v1 offset:896
	v_dual_add_f32 v19, v19, v166 :: v_dual_add_f32 v18, v18, v163
	s_delay_alu instid0(VALU_DEP_1) | instskip(NEXT) | instid1(VALU_DEP_2)
	v_add_f32_e32 v28, v19, v168
	v_add_f32_e32 v22, v18, v165
	ds_load_b128 v[18:21], v1 offset:912
	v_add_f32_e32 v29, v22, v167
	ds_load_b128 v[22:25], v1 offset:928
	v_dual_add_f32 v155, v28, v170 :: v_dual_add_f32 v156, v29, v169
	ds_load_b64 v[28:29], v1 offset:944
	s_wait_loadcnt_dscnt 0x204
	v_mul_f32_e32 v32, v2, v11
	v_mul_f32_e32 v11, v3, v11
	v_dual_add_f32 v155, v155, v172 :: v_dual_add_f32 v156, v156, v171
	s_delay_alu instid0(VALU_DEP_3) | instskip(NEXT) | instid1(VALU_DEP_3)
	v_fmac_f32_e32 v32, v3, v10
	v_fma_f32 v152, v2, v10, -v11
	s_delay_alu instid0(VALU_DEP_3) | instskip(SKIP_2) | instid1(VALU_DEP_3)
	v_add_f32_e32 v155, v155, v174
	v_mul_f32_e32 v151, v4, v13
	v_add_f32_e32 v156, v156, v173
	v_add_f32_e32 v152, v155, v152
	s_delay_alu instid0(VALU_DEP_3) | instskip(NEXT) | instid1(VALU_DEP_3)
	v_fmac_f32_e32 v151, v5, v12
	v_dual_add_f32 v32, v156, v32 :: v_dual_mul_f32 v13, v5, v13
	s_delay_alu instid0(VALU_DEP_1) | instskip(NEXT) | instid1(VALU_DEP_2)
	v_add_f32_e32 v32, v32, v151
	v_fma_f32 v154, v4, v12, -v13
	s_clause 0x1
	scratch_load_b128 v[2:5], off, off offset:416
	scratch_load_b128 v[10:13], off, off offset:432
	s_wait_loadcnt_dscnt 0x201
	v_dual_add_f32 v152, v152, v154 :: v_dual_mul_f32 v159, v22, v15
	s_delay_alu instid0(VALU_DEP_1) | instskip(SKIP_1) | instid1(VALU_DEP_1)
	v_dual_mul_f32 v154, v24, v17 :: v_dual_fmac_f32 v159, v23, v14
	s_wait_loadcnt 0x1
	v_dual_fmac_f32 v154, v25, v16 :: v_dual_mul_f32 v157, v6, v3
	v_dual_mul_f32 v3, v7, v3 :: v_dual_mul_f32 v158, v8, v5
	v_mul_f32_e32 v5, v9, v5
	s_wait_loadcnt 0x0
	v_mul_f32_e32 v155, v18, v11
	v_fmac_f32_e32 v157, v7, v2
	v_fma_f32 v3, v6, v2, -v3
	v_fmac_f32_e32 v158, v9, v4
	v_fma_f32 v2, v8, v4, -v5
	s_delay_alu instid0(VALU_DEP_4) | instskip(NEXT) | instid1(VALU_DEP_4)
	v_dual_mul_f32 v4, v19, v11 :: v_dual_add_f32 v5, v32, v157
	v_dual_add_f32 v3, v152, v3 :: v_dual_mul_f32 v6, v21, v13
	v_mul_f32_e32 v156, v20, v13
	s_delay_alu instid0(VALU_DEP_3) | instskip(SKIP_1) | instid1(VALU_DEP_4)
	v_fma_f32 v4, v18, v10, -v4
	v_fmac_f32_e32 v155, v19, v10
	v_add_f32_e32 v2, v3, v2
	v_add_f32_e32 v3, v5, v158
	v_mul_f32_e32 v5, v23, v15
	v_fma_f32 v6, v20, v12, -v6
	v_fmac_f32_e32 v156, v21, v12
	s_delay_alu instid0(VALU_DEP_4) | instskip(SKIP_2) | instid1(VALU_DEP_3)
	v_dual_add_f32 v2, v2, v4 :: v_dual_add_f32 v3, v3, v155
	v_mul_f32_e32 v4, v25, v17
	v_fma_f32 v5, v22, v14, -v5
	v_dual_add_f32 v2, v2, v6 :: v_dual_add_f32 v3, v3, v156
	s_wait_dscnt 0x0
	v_mul_f32_e32 v6, v29, v27
	v_fma_f32 v4, v24, v16, -v4
	s_delay_alu instid0(VALU_DEP_3) | instskip(NEXT) | instid1(VALU_DEP_3)
	v_dual_add_f32 v2, v2, v5 :: v_dual_add_f32 v3, v3, v159
	v_fma_f32 v5, v28, v26, -v6
	s_delay_alu instid0(VALU_DEP_2) | instskip(NEXT) | instid1(VALU_DEP_1)
	v_dual_add_f32 v2, v2, v4 :: v_dual_mul_f32 v151, v28, v27
	v_dual_add_f32 v3, v3, v154 :: v_dual_add_f32 v2, v2, v5
	s_delay_alu instid0(VALU_DEP_2) | instskip(NEXT) | instid1(VALU_DEP_1)
	v_fmac_f32_e32 v151, v29, v26
	v_dual_sub_f32 v2, v30, v2 :: v_dual_add_f32 v3, v3, v151
	s_delay_alu instid0(VALU_DEP_1)
	v_sub_f32_e32 v3, v31, v3
	scratch_store_b64 off, v[2:3], off offset:232
	v_cmpx_lt_u32_e32 28, v0
	s_cbranch_execz .LBB58_311
; %bb.310:
	scratch_load_b64 v[3:4], off, off offset:224
	v_mov_b32_e32 v2, v1
	scratch_store_b64 off, v[1:2], off offset:224
	s_wait_loadcnt 0x0
	ds_store_b64 v153, v[3:4]
.LBB58_311:
	s_wait_alu 0xfffe
	s_or_b32 exec_lo, exec_lo, s0
	s_wait_storecnt_dscnt 0x0
	s_barrier_signal -1
	s_barrier_wait -1
	global_inv scope:SCOPE_SE
	s_clause 0x4
	scratch_load_b128 v[2:5], off, off offset:232
	scratch_load_b128 v[6:9], off, off offset:248
	;; [unrolled: 1-line block ×5, first 2 shown]
	ds_load_2addr_b64 v[22:25], v1 offset0:89 offset1:90
	ds_load_2addr_b64 v[26:29], v1 offset0:91 offset1:92
	;; [unrolled: 1-line block ×3, first 2 shown]
	scratch_load_b64 v[30:31], off, off offset:224
	s_mov_b32 s0, exec_lo
	s_wait_loadcnt_dscnt 0x502
	v_mul_f32_e32 v32, v23, v3
	v_dual_mul_f32 v151, v22, v3 :: v_dual_mul_f32 v152, v24, v5
	v_mul_f32_e32 v3, v25, v5
	s_wait_loadcnt_dscnt 0x300
	v_mul_f32_e32 v158, v156, v13
	v_fma_f32 v22, v22, v2, -v32
	v_dual_fmac_f32 v151, v23, v2 :: v_dual_fmac_f32 v152, v25, v4
	v_fma_f32 v23, v24, v4, -v3
	ds_load_2addr_b64 v[2:5], v1 offset0:95 offset1:96
	v_dual_mul_f32 v24, v26, v7 :: v_dual_mul_f32 v25, v28, v9
	v_mul_f32_e32 v7, v27, v7
	v_dual_mul_f32 v9, v29, v9 :: v_dual_mul_f32 v32, v154, v11
	v_dual_mul_f32 v11, v155, v11 :: v_dual_fmac_f32 v158, v157, v12
	s_delay_alu instid0(VALU_DEP_4) | instskip(SKIP_1) | instid1(VALU_DEP_4)
	v_dual_mul_f32 v13, v157, v13 :: v_dual_fmac_f32 v24, v27, v6
	v_fmac_f32_e32 v25, v29, v8
	v_fma_f32 v27, v28, v8, -v9
	v_fmac_f32_e32 v32, v155, v10
	v_fma_f32 v28, v154, v10, -v11
	v_fma_f32 v29, v156, v12, -v13
	ds_load_2addr_b64 v[10:13], v1 offset0:97 offset1:98
	v_fma_f32 v26, v26, v6, -v7
	scratch_load_b128 v[6:9], off, off offset:312
	s_wait_loadcnt_dscnt 0x301
	v_dual_mul_f32 v154, v2, v15 :: v_dual_mul_f32 v155, v4, v17
	v_mul_f32_e32 v15, v3, v15
	s_delay_alu instid0(VALU_DEP_2) | instskip(NEXT) | instid1(VALU_DEP_3)
	v_dual_mul_f32 v17, v5, v17 :: v_dual_fmac_f32 v154, v3, v14
	v_fmac_f32_e32 v155, v5, v16
	s_delay_alu instid0(VALU_DEP_3) | instskip(NEXT) | instid1(VALU_DEP_3)
	v_fma_f32 v14, v2, v14, -v15
	v_fma_f32 v15, v4, v16, -v17
	ds_load_2addr_b64 v[2:5], v1 offset0:99 offset1:100
	s_wait_loadcnt_dscnt 0x201
	v_mul_f32_e32 v16, v10, v19
	v_mul_f32_e32 v17, v11, v19
	;; [unrolled: 1-line block ×3, first 2 shown]
	s_delay_alu instid0(VALU_DEP_3) | instskip(NEXT) | instid1(VALU_DEP_3)
	v_dual_mul_f32 v21, v13, v21 :: v_dual_fmac_f32 v16, v11, v18
	v_fma_f32 v17, v10, v18, -v17
	s_delay_alu instid0(VALU_DEP_3) | instskip(NEXT) | instid1(VALU_DEP_3)
	v_fmac_f32_e32 v19, v13, v20
	v_fma_f32 v18, v12, v20, -v21
	scratch_load_b128 v[10:13], off, off offset:328
	s_wait_loadcnt_dscnt 0x100
	v_mul_f32_e32 v20, v2, v7
	v_mul_f32_e32 v7, v3, v7
	;; [unrolled: 1-line block ×3, first 2 shown]
	s_delay_alu instid0(VALU_DEP_3) | instskip(NEXT) | instid1(VALU_DEP_3)
	v_dual_mul_f32 v9, v5, v9 :: v_dual_fmac_f32 v20, v3, v6
	v_fma_f32 v156, v2, v6, -v7
	s_delay_alu instid0(VALU_DEP_3) | instskip(NEXT) | instid1(VALU_DEP_3)
	v_fmac_f32_e32 v21, v5, v8
	v_fma_f32 v157, v4, v8, -v9
	ds_load_2addr_b64 v[2:5], v1 offset0:101 offset1:102
	ds_load_2addr_b64 v[6:9], v1 offset0:103 offset1:104
	s_wait_loadcnt_dscnt 0x1
	v_mul_f32_e32 v159, v2, v11
	v_dual_mul_f32 v11, v3, v11 :: v_dual_mul_f32 v160, v4, v13
	s_delay_alu instid0(VALU_DEP_2) | instskip(NEXT) | instid1(VALU_DEP_2)
	v_fmac_f32_e32 v159, v3, v10
	v_fma_f32 v161, v2, v10, -v11
	v_mul_f32_e32 v2, v5, v13
	s_delay_alu instid0(VALU_DEP_4) | instskip(NEXT) | instid1(VALU_DEP_2)
	v_fmac_f32_e32 v160, v5, v12
	v_fma_f32 v162, v4, v12, -v2
	s_clause 0x1
	scratch_load_b128 v[2:5], off, off offset:344
	scratch_load_b128 v[10:13], off, off offset:360
	s_wait_loadcnt_dscnt 0x100
	v_mul_f32_e32 v163, v6, v3
	v_mul_f32_e32 v3, v7, v3
	;; [unrolled: 1-line block ×3, first 2 shown]
	s_delay_alu instid0(VALU_DEP_3) | instskip(NEXT) | instid1(VALU_DEP_3)
	v_fmac_f32_e32 v163, v7, v2
	v_fma_f32 v164, v6, v2, -v3
	v_mul_f32_e32 v2, v9, v5
	s_delay_alu instid0(VALU_DEP_4) | instskip(NEXT) | instid1(VALU_DEP_2)
	v_fmac_f32_e32 v165, v9, v4
	v_fma_f32 v166, v8, v4, -v2
	ds_load_2addr_b64 v[2:5], v1 offset0:105 offset1:106
	ds_load_2addr_b64 v[6:9], v1 offset0:107 offset1:108
	s_wait_loadcnt_dscnt 0x1
	v_mul_f32_e32 v167, v2, v11
	v_mul_f32_e32 v169, v4, v13
	s_delay_alu instid0(VALU_DEP_2) | instskip(SKIP_1) | instid1(VALU_DEP_3)
	v_fmac_f32_e32 v167, v3, v10
	v_mul_f32_e32 v3, v3, v11
	v_fmac_f32_e32 v169, v5, v12
	s_delay_alu instid0(VALU_DEP_2) | instskip(SKIP_1) | instid1(VALU_DEP_1)
	v_fma_f32 v168, v2, v10, -v3
	v_mul_f32_e32 v2, v5, v13
	v_fma_f32 v170, v4, v12, -v2
	s_clause 0x1
	scratch_load_b128 v[2:5], off, off offset:376
	scratch_load_b128 v[10:13], off, off offset:392
	s_wait_loadcnt_dscnt 0x100
	v_mul_f32_e32 v171, v6, v3
	v_mul_f32_e32 v3, v7, v3
	s_delay_alu instid0(VALU_DEP_2) | instskip(NEXT) | instid1(VALU_DEP_2)
	v_fmac_f32_e32 v171, v7, v2
	v_fma_f32 v172, v6, v2, -v3
	v_dual_mul_f32 v2, v9, v5 :: v_dual_add_f32 v3, 0, v151
	s_delay_alu instid0(VALU_DEP_1) | instskip(SKIP_1) | instid1(VALU_DEP_1)
	v_fma_f32 v174, v8, v4, -v2
	v_add_f32_e32 v2, 0, v22
	v_add_f32_e32 v2, v2, v23
	s_delay_alu instid0(VALU_DEP_1) | instskip(NEXT) | instid1(VALU_DEP_1)
	v_add_f32_e32 v2, v2, v26
	v_dual_add_f32 v2, v2, v27 :: v_dual_add_f32 v3, v3, v152
	s_delay_alu instid0(VALU_DEP_1) | instskip(NEXT) | instid1(VALU_DEP_1)
	v_add_f32_e32 v2, v2, v28
	v_dual_add_f32 v2, v2, v29 :: v_dual_add_f32 v3, v3, v24
	s_delay_alu instid0(VALU_DEP_1) | instskip(NEXT) | instid1(VALU_DEP_2)
	v_add_f32_e32 v7, v2, v14
	v_add_f32_e32 v3, v3, v25
	s_delay_alu instid0(VALU_DEP_2) | instskip(NEXT) | instid1(VALU_DEP_2)
	v_add_f32_e32 v15, v7, v15
	v_add_f32_e32 v3, v3, v32
	s_delay_alu instid0(VALU_DEP_2) | instskip(NEXT) | instid1(VALU_DEP_2)
	;; [unrolled: 3-line block ×6, first 2 shown]
	v_add_f32_e32 v18, v18, v161
	v_add_f32_e32 v19, v14, v19
	ds_load_2addr_b64 v[14:17], v1 offset0:111 offset1:112
	v_add_f32_e32 v19, v19, v20
	s_delay_alu instid0(VALU_DEP_1) | instskip(NEXT) | instid1(VALU_DEP_1)
	v_add_f32_e32 v19, v19, v21
	v_dual_mul_f32 v173, v8, v5 :: v_dual_add_f32 v22, v19, v159
	s_delay_alu instid0(VALU_DEP_1) | instskip(SKIP_3) | instid1(VALU_DEP_1)
	v_fmac_f32_e32 v173, v9, v4
	scratch_load_b128 v[6:9], off, off offset:408
	ds_load_2addr_b64 v[2:5], v1 offset0:109 offset1:110
	v_add_f32_e32 v22, v22, v160
	v_add_f32_e32 v22, v22, v163
	s_wait_loadcnt_dscnt 0x100
	v_mul_f32_e32 v26, v2, v11
	v_mul_f32_e32 v11, v3, v11
	s_delay_alu instid0(VALU_DEP_2) | instskip(SKIP_1) | instid1(VALU_DEP_3)
	v_dual_fmac_f32 v26, v3, v10 :: v_dual_mul_f32 v27, v4, v13
	v_mul_f32_e32 v13, v5, v13
	v_fma_f32 v28, v2, v10, -v11
	s_delay_alu instid0(VALU_DEP_3) | instskip(NEXT) | instid1(VALU_DEP_3)
	v_fmac_f32_e32 v27, v5, v12
	v_fma_f32 v29, v4, v12, -v13
	s_clause 0x1
	scratch_load_b128 v[2:5], off, off offset:424
	scratch_load_b128 v[10:13], off, off offset:440
	v_add_f32_e32 v23, v18, v162
	scratch_load_b128 v[18:21], off, off offset:456
	v_add_f32_e32 v23, v23, v164
	s_wait_loadcnt 0x3
	s_delay_alu instid0(VALU_DEP_1) | instskip(SKIP_1) | instid1(VALU_DEP_2)
	v_dual_add_f32 v23, v23, v166 :: v_dual_mul_f32 v32, v14, v7
	v_mul_f32_e32 v7, v15, v7
	v_fmac_f32_e32 v32, v15, v6
	s_delay_alu instid0(VALU_DEP_2) | instskip(SKIP_1) | instid1(VALU_DEP_1)
	v_fma_f32 v152, v14, v6, -v7
	v_add_f32_e32 v14, v22, v165
	v_dual_add_f32 v22, v23, v168 :: v_dual_add_f32 v23, v14, v167
	s_delay_alu instid0(VALU_DEP_1) | instskip(SKIP_3) | instid1(VALU_DEP_2)
	v_dual_add_f32 v155, v22, v170 :: v_dual_add_f32 v156, v23, v169
	ds_load_2addr_b64 v[22:25], v1 offset0:117 offset1:118
	v_mul_f32_e32 v151, v16, v9
	v_mul_f32_e32 v9, v17, v9
	v_fmac_f32_e32 v151, v17, v8
	s_delay_alu instid0(VALU_DEP_2) | instskip(SKIP_4) | instid1(VALU_DEP_2)
	v_fma_f32 v154, v16, v8, -v9
	ds_load_2addr_b64 v[6:9], v1 offset0:113 offset1:114
	ds_load_2addr_b64 v[14:17], v1 offset0:115 offset1:116
	v_add_f32_e32 v1, v155, v172
	v_add_f32_e32 v155, v156, v171
	;; [unrolled: 1-line block ×3, first 2 shown]
	s_delay_alu instid0(VALU_DEP_2) | instskip(NEXT) | instid1(VALU_DEP_1)
	v_add_f32_e32 v155, v155, v173
	v_dual_add_f32 v1, v1, v28 :: v_dual_add_f32 v26, v155, v26
	s_delay_alu instid0(VALU_DEP_1)
	v_dual_add_f32 v1, v1, v29 :: v_dual_add_f32 v26, v26, v27
	s_wait_loadcnt_dscnt 0x2
	v_mul_f32_e32 v27, v22, v19
	s_wait_dscnt 0x1
	v_mul_f32_e32 v156, v6, v3
	v_mul_f32_e32 v3, v7, v3
	v_add_f32_e32 v1, v1, v152
	v_add_f32_e32 v26, v26, v32
	v_mul_f32_e32 v28, v8, v5
	v_mul_f32_e32 v5, v9, v5
	v_fma_f32 v3, v6, v2, -v3
	v_fmac_f32_e32 v156, v7, v2
	v_dual_add_f32 v1, v1, v154 :: v_dual_add_f32 v2, v26, v151
	s_wait_dscnt 0x0
	v_mul_f32_e32 v155, v14, v11
	v_mul_f32_e32 v6, v15, v11
	v_fmac_f32_e32 v28, v9, v4
	v_fma_f32 v4, v8, v4, -v5
	v_dual_add_f32 v1, v1, v3 :: v_dual_add_f32 v2, v2, v156
	v_mul_f32_e32 v157, v16, v13
	v_mul_f32_e32 v3, v17, v13
	v_fmac_f32_e32 v155, v15, v10
	v_fma_f32 v5, v14, v10, -v6
	v_add_f32_e32 v1, v1, v4
	v_add_f32_e32 v2, v2, v28
	v_dual_mul_f32 v4, v23, v19 :: v_dual_fmac_f32 v157, v17, v12
	v_fma_f32 v3, v16, v12, -v3
	s_delay_alu instid0(VALU_DEP_3)
	v_dual_add_f32 v1, v1, v5 :: v_dual_add_f32 v2, v2, v155
	v_mul_f32_e32 v29, v24, v21
	v_mul_f32_e32 v5, v25, v21
	v_fmac_f32_e32 v27, v23, v18
	v_fma_f32 v4, v22, v18, -v4
	v_dual_add_f32 v1, v1, v3 :: v_dual_add_f32 v2, v2, v157
	v_fmac_f32_e32 v29, v25, v20
	v_fma_f32 v3, v24, v20, -v5
	s_delay_alu instid0(VALU_DEP_3) | instskip(NEXT) | instid1(VALU_DEP_1)
	v_dual_add_f32 v1, v1, v4 :: v_dual_add_f32 v2, v2, v27
	v_dual_add_f32 v1, v1, v3 :: v_dual_add_f32 v2, v2, v29
	s_delay_alu instid0(VALU_DEP_1)
	v_dual_sub_f32 v1, v30, v1 :: v_dual_sub_f32 v2, v31, v2
	scratch_store_b64 off, v[1:2], off offset:224
	v_cmpx_lt_u32_e32 27, v0
	s_cbranch_execz .LBB58_313
; %bb.312:
	scratch_load_b64 v[1:2], off, off offset:216
	v_mov_b32_e32 v3, 0
	s_delay_alu instid0(VALU_DEP_1)
	v_mov_b32_e32 v4, v3
	scratch_store_b64 off, v[3:4], off offset:216
	s_wait_loadcnt 0x0
	ds_store_b64 v153, v[1:2]
.LBB58_313:
	s_wait_alu 0xfffe
	s_or_b32 exec_lo, exec_lo, s0
	s_wait_storecnt_dscnt 0x0
	s_barrier_signal -1
	s_barrier_wait -1
	global_inv scope:SCOPE_SE
	s_clause 0x4
	scratch_load_b128 v[5:8], off, off offset:224
	scratch_load_b128 v[1:4], off, off offset:240
	scratch_load_b128 v[9:12], off, off offset:256
	scratch_load_b128 v[13:16], off, off offset:272
	scratch_load_b128 v[17:20], off, off offset:288
	v_mov_b32_e32 v21, 0
	ds_load_b128 v[22:25], v21 offset:704
	ds_load_b128 v[26:29], v21 offset:720
	;; [unrolled: 1-line block ×3, first 2 shown]
	scratch_load_b64 v[30:31], off, off offset:216
	s_mov_b32 s0, exec_lo
	s_wait_loadcnt_dscnt 0x502
	v_mul_f32_e32 v32, v23, v6
	v_dual_mul_f32 v151, v22, v6 :: v_dual_mul_f32 v152, v24, v8
	v_mul_f32_e32 v6, v25, v8
	s_wait_loadcnt_dscnt 0x300
	v_mul_f32_e32 v158, v156, v12
	v_fma_f32 v22, v22, v5, -v32
	v_dual_fmac_f32 v151, v23, v5 :: v_dual_fmac_f32 v152, v25, v7
	v_mul_f32_e32 v25, v28, v4
	v_fma_f32 v23, v24, v7, -v6
	ds_load_b128 v[5:8], v21 offset:752
	v_mul_f32_e32 v24, v26, v2
	v_mul_f32_e32 v4, v29, v4
	;; [unrolled: 1-line block ×5, first 2 shown]
	v_dual_mul_f32 v2, v27, v2 :: v_dual_fmac_f32 v25, v29, v3
	v_fmac_f32_e32 v24, v27, v1
	v_fma_f32 v27, v28, v3, -v4
	v_fmac_f32_e32 v32, v155, v9
	v_fma_f32 v28, v154, v9, -v10
	v_fmac_f32_e32 v158, v157, v11
	v_fma_f32 v29, v156, v11, -v12
	ds_load_b128 v[9:12], v21 offset:768
	s_wait_loadcnt_dscnt 0x201
	v_dual_mul_f32 v155, v7, v16 :: v_dual_mul_f32 v154, v5, v14
	v_mul_f32_e32 v14, v6, v14
	v_mul_f32_e32 v16, v8, v16
	s_delay_alu instid0(VALU_DEP_3)
	v_fmac_f32_e32 v155, v8, v15
	v_fma_f32 v26, v26, v1, -v2
	scratch_load_b128 v[1:4], off, off offset:304
	v_fmac_f32_e32 v154, v6, v13
	v_fma_f32 v13, v5, v13, -v14
	v_fma_f32 v14, v7, v15, -v16
	ds_load_b128 v[5:8], v21 offset:784
	s_wait_loadcnt_dscnt 0x201
	v_mul_f32_e32 v15, v9, v18
	v_mul_f32_e32 v16, v10, v18
	v_mul_f32_e32 v18, v11, v20
	s_delay_alu instid0(VALU_DEP_3) | instskip(NEXT) | instid1(VALU_DEP_3)
	v_dual_mul_f32 v20, v12, v20 :: v_dual_fmac_f32 v15, v10, v17
	v_fma_f32 v16, v9, v17, -v16
	s_delay_alu instid0(VALU_DEP_3) | instskip(NEXT) | instid1(VALU_DEP_3)
	v_fmac_f32_e32 v18, v12, v19
	v_fma_f32 v17, v11, v19, -v20
	scratch_load_b128 v[9:12], off, off offset:320
	s_wait_loadcnt_dscnt 0x100
	v_mul_f32_e32 v19, v5, v2
	v_mul_f32_e32 v2, v6, v2
	v_mul_f32_e32 v20, v7, v4
	s_delay_alu instid0(VALU_DEP_3) | instskip(NEXT) | instid1(VALU_DEP_3)
	v_dual_mul_f32 v4, v8, v4 :: v_dual_fmac_f32 v19, v6, v1
	v_fma_f32 v156, v5, v1, -v2
	s_delay_alu instid0(VALU_DEP_3) | instskip(NEXT) | instid1(VALU_DEP_3)
	v_fmac_f32_e32 v20, v8, v3
	v_fma_f32 v157, v7, v3, -v4
	ds_load_b128 v[1:4], v21 offset:800
	ds_load_b128 v[5:8], v21 offset:816
	s_wait_loadcnt_dscnt 0x1
	v_mul_f32_e32 v159, v1, v10
	v_mul_f32_e32 v10, v2, v10
	s_delay_alu instid0(VALU_DEP_2) | instskip(NEXT) | instid1(VALU_DEP_2)
	v_dual_mul_f32 v160, v3, v12 :: v_dual_fmac_f32 v159, v2, v9
	v_fma_f32 v161, v1, v9, -v10
	v_mul_f32_e32 v1, v4, v12
	s_delay_alu instid0(VALU_DEP_3) | instskip(NEXT) | instid1(VALU_DEP_2)
	v_fmac_f32_e32 v160, v4, v11
	v_fma_f32 v162, v3, v11, -v1
	s_clause 0x1
	scratch_load_b128 v[1:4], off, off offset:336
	scratch_load_b128 v[9:12], off, off offset:352
	s_wait_loadcnt_dscnt 0x100
	v_mul_f32_e32 v163, v5, v2
	v_dual_mul_f32 v2, v6, v2 :: v_dual_mul_f32 v165, v7, v4
	s_delay_alu instid0(VALU_DEP_2) | instskip(NEXT) | instid1(VALU_DEP_2)
	v_fmac_f32_e32 v163, v6, v1
	v_fma_f32 v164, v5, v1, -v2
	v_mul_f32_e32 v1, v8, v4
	s_delay_alu instid0(VALU_DEP_4) | instskip(NEXT) | instid1(VALU_DEP_2)
	v_fmac_f32_e32 v165, v8, v3
	v_fma_f32 v166, v7, v3, -v1
	ds_load_b128 v[1:4], v21 offset:832
	ds_load_b128 v[5:8], v21 offset:848
	s_wait_loadcnt_dscnt 0x1
	v_mul_f32_e32 v167, v1, v10
	v_mul_f32_e32 v169, v3, v12
	s_delay_alu instid0(VALU_DEP_2) | instskip(NEXT) | instid1(VALU_DEP_2)
	v_fmac_f32_e32 v167, v2, v9
	v_dual_mul_f32 v2, v2, v10 :: v_dual_fmac_f32 v169, v4, v11
	s_delay_alu instid0(VALU_DEP_1) | instskip(SKIP_1) | instid1(VALU_DEP_1)
	v_fma_f32 v168, v1, v9, -v2
	v_mul_f32_e32 v1, v4, v12
	v_fma_f32 v170, v3, v11, -v1
	s_clause 0x1
	scratch_load_b128 v[1:4], off, off offset:368
	scratch_load_b128 v[9:12], off, off offset:384
	s_wait_loadcnt_dscnt 0x100
	v_mul_f32_e32 v171, v5, v2
	v_dual_mul_f32 v2, v6, v2 :: v_dual_mul_f32 v173, v7, v4
	s_delay_alu instid0(VALU_DEP_2) | instskip(NEXT) | instid1(VALU_DEP_2)
	v_fmac_f32_e32 v171, v6, v1
	v_fma_f32 v172, v5, v1, -v2
	v_mul_f32_e32 v1, v8, v4
	s_delay_alu instid0(VALU_DEP_4) | instskip(NEXT) | instid1(VALU_DEP_2)
	v_fmac_f32_e32 v173, v8, v3
	v_fma_f32 v174, v7, v3, -v1
	v_add_f32_e32 v1, 0, v22
	s_delay_alu instid0(VALU_DEP_1) | instskip(NEXT) | instid1(VALU_DEP_1)
	v_add_f32_e32 v1, v1, v23
	v_dual_add_f32 v2, 0, v151 :: v_dual_add_f32 v1, v1, v26
	s_delay_alu instid0(VALU_DEP_1) | instskip(SKIP_2) | instid1(VALU_DEP_1)
	v_add_f32_e32 v1, v1, v27
	scratch_load_b64 v[26:27], off, off offset:464
	v_add_f32_e32 v1, v1, v28
	v_dual_add_f32 v2, v2, v152 :: v_dual_add_f32 v1, v1, v29
	s_delay_alu instid0(VALU_DEP_1) | instskip(NEXT) | instid1(VALU_DEP_2)
	v_add_f32_e32 v2, v2, v24
	v_add_f32_e32 v6, v1, v13
	s_delay_alu instid0(VALU_DEP_2) | instskip(NEXT) | instid1(VALU_DEP_2)
	v_add_f32_e32 v2, v2, v25
	v_add_f32_e32 v14, v6, v14
	s_delay_alu instid0(VALU_DEP_2) | instskip(NEXT) | instid1(VALU_DEP_2)
	v_add_f32_e32 v2, v2, v32
	v_add_f32_e32 v14, v14, v16
	s_delay_alu instid0(VALU_DEP_2) | instskip(SKIP_4) | instid1(VALU_DEP_1)
	v_add_f32_e32 v5, v2, v158
	scratch_load_b128 v[1:4], off, off offset:400
	v_add_f32_e32 v13, v5, v154
	ds_load_b128 v[5:8], v21 offset:864
	v_add_f32_e32 v13, v13, v155
	v_add_f32_e32 v13, v13, v15
	s_delay_alu instid0(VALU_DEP_1) | instskip(SKIP_4) | instid1(VALU_DEP_2)
	v_dual_add_f32 v17, v14, v17 :: v_dual_add_f32 v18, v13, v18
	ds_load_b128 v[13:16], v21 offset:880
	v_add_f32_e32 v17, v17, v156
	s_wait_loadcnt_dscnt 0x201
	v_dual_mul_f32 v32, v5, v10 :: v_dual_mul_f32 v151, v7, v12
	v_dual_mul_f32 v10, v6, v10 :: v_dual_add_f32 v17, v17, v157
	v_add_f32_e32 v18, v18, v19
	s_delay_alu instid0(VALU_DEP_3) | instskip(NEXT) | instid1(VALU_DEP_3)
	v_dual_fmac_f32 v32, v6, v9 :: v_dual_fmac_f32 v151, v8, v11
	v_fma_f32 v152, v5, v9, -v10
	s_delay_alu instid0(VALU_DEP_4) | instskip(NEXT) | instid1(VALU_DEP_1)
	v_dual_add_f32 v17, v17, v161 :: v_dual_mul_f32 v12, v8, v12
	v_add_f32_e32 v23, v17, v162
	s_delay_alu instid0(VALU_DEP_2) | instskip(SKIP_4) | instid1(VALU_DEP_1)
	v_fma_f32 v154, v7, v11, -v12
	s_clause 0x1
	scratch_load_b128 v[5:8], off, off offset:416
	scratch_load_b128 v[9:12], off, off offset:432
	v_add_f32_e32 v23, v23, v164
	v_dual_add_f32 v18, v18, v20 :: v_dual_add_f32 v23, v23, v166
	s_delay_alu instid0(VALU_DEP_1)
	v_add_f32_e32 v22, v18, v159
	scratch_load_b128 v[17:20], off, off offset:448
	v_add_f32_e32 v23, v23, v168
	s_wait_loadcnt_dscnt 0x300
	v_mul_f32_e32 v155, v13, v2
	v_mul_f32_e32 v2, v14, v2
	;; [unrolled: 1-line block ×3, first 2 shown]
	s_delay_alu instid0(VALU_DEP_3) | instskip(SKIP_1) | instid1(VALU_DEP_4)
	v_dual_mul_f32 v4, v16, v4 :: v_dual_fmac_f32 v155, v14, v1
	v_add_f32_e32 v14, v23, v170
	v_fma_f32 v157, v13, v1, -v2
	s_delay_alu instid0(VALU_DEP_4) | instskip(NEXT) | instid1(VALU_DEP_4)
	v_fmac_f32_e32 v156, v16, v3
	v_fma_f32 v158, v15, v3, -v4
	ds_load_b128 v[1:4], v21 offset:896
	v_add_f32_e32 v28, v14, v172
	s_delay_alu instid0(VALU_DEP_1) | instskip(NEXT) | instid1(VALU_DEP_1)
	v_dual_add_f32 v22, v22, v160 :: v_dual_add_f32 v159, v28, v174
	v_add_f32_e32 v22, v22, v163
	s_delay_alu instid0(VALU_DEP_1) | instskip(NEXT) | instid1(VALU_DEP_1)
	v_add_f32_e32 v22, v22, v165
	v_add_f32_e32 v13, v22, v167
	s_delay_alu instid0(VALU_DEP_1)
	v_add_f32_e32 v22, v13, v169
	ds_load_b128 v[13:16], v21 offset:912
	v_dual_add_f32 v152, v159, v152 :: v_dual_add_f32 v29, v22, v171
	ds_load_b128 v[22:25], v21 offset:928
	s_wait_loadcnt_dscnt 0x202
	v_mul_f32_e32 v159, v1, v6
	v_add_f32_e32 v160, v29, v173
	ds_load_b64 v[28:29], v21 offset:944
	v_dual_fmac_f32 v159, v2, v5 :: v_dual_add_f32 v152, v152, v154
	s_delay_alu instid0(VALU_DEP_1) | instskip(SKIP_2) | instid1(VALU_DEP_2)
	v_add_f32_e32 v152, v152, v157
	s_wait_loadcnt_dscnt 0x102
	v_mul_f32_e32 v154, v13, v10
	v_add_f32_e32 v152, v152, v158
	v_mul_f32_e32 v6, v2, v6
	s_wait_loadcnt_dscnt 0x1
	v_dual_mul_f32 v157, v22, v18 :: v_dual_add_f32 v32, v160, v32
	s_delay_alu instid0(VALU_DEP_2) | instskip(NEXT) | instid1(VALU_DEP_2)
	v_fma_f32 v1, v1, v5, -v6
	v_fmac_f32_e32 v157, v23, v17
	v_mul_f32_e32 v5, v16, v12
	s_delay_alu instid0(VALU_DEP_3) | instskip(SKIP_2) | instid1(VALU_DEP_4)
	v_add_f32_e32 v1, v152, v1
	v_dual_add_f32 v32, v32, v151 :: v_dual_mul_f32 v151, v3, v8
	v_mul_f32_e32 v8, v4, v8
	v_fma_f32 v5, v15, v11, -v5
	s_delay_alu instid0(VALU_DEP_3) | instskip(NEXT) | instid1(VALU_DEP_3)
	v_fmac_f32_e32 v151, v4, v7
	v_fma_f32 v2, v3, v7, -v8
	v_mul_f32_e32 v3, v14, v10
	s_delay_alu instid0(VALU_DEP_2) | instskip(NEXT) | instid1(VALU_DEP_2)
	v_add_f32_e32 v1, v1, v2
	v_fma_f32 v3, v13, v9, -v3
	s_delay_alu instid0(VALU_DEP_1) | instskip(SKIP_2) | instid1(VALU_DEP_2)
	v_add_f32_e32 v1, v1, v3
	v_dual_add_f32 v32, v32, v155 :: v_dual_mul_f32 v3, v25, v20
	v_dual_mul_f32 v155, v15, v12 :: v_dual_fmac_f32 v154, v14, v9
	v_dual_add_f32 v1, v1, v5 :: v_dual_add_f32 v32, v32, v156
	s_wait_dscnt 0x0
	v_mul_f32_e32 v5, v29, v27
	v_fma_f32 v3, v24, v19, -v3
	v_fmac_f32_e32 v155, v16, v11
	v_add_f32_e32 v4, v32, v159
	s_delay_alu instid0(VALU_DEP_1) | instskip(SKIP_1) | instid1(VALU_DEP_1)
	v_add_f32_e32 v2, v4, v151
	v_mul_f32_e32 v4, v23, v18
	v_fma_f32 v4, v22, v17, -v4
	s_delay_alu instid0(VALU_DEP_1) | instskip(SKIP_2) | instid1(VALU_DEP_3)
	v_dual_mul_f32 v156, v28, v27 :: v_dual_add_f32 v1, v1, v4
	v_mul_f32_e32 v158, v24, v20
	v_fma_f32 v4, v28, v26, -v5
	v_fmac_f32_e32 v156, v29, v26
	s_delay_alu instid0(VALU_DEP_4) | instskip(NEXT) | instid1(VALU_DEP_4)
	v_add_f32_e32 v1, v1, v3
	v_fmac_f32_e32 v158, v25, v19
	s_delay_alu instid0(VALU_DEP_2) | instskip(NEXT) | instid1(VALU_DEP_1)
	v_dual_add_f32 v1, v1, v4 :: v_dual_add_f32 v2, v2, v154
	v_sub_f32_e32 v1, v30, v1
	s_delay_alu instid0(VALU_DEP_2) | instskip(NEXT) | instid1(VALU_DEP_1)
	v_add_f32_e32 v2, v2, v155
	v_add_f32_e32 v2, v2, v157
	s_delay_alu instid0(VALU_DEP_1) | instskip(NEXT) | instid1(VALU_DEP_1)
	v_add_f32_e32 v2, v2, v158
	v_add_f32_e32 v2, v2, v156
	s_delay_alu instid0(VALU_DEP_1)
	v_sub_f32_e32 v2, v31, v2
	scratch_store_b64 off, v[1:2], off offset:216
	v_cmpx_lt_u32_e32 26, v0
	s_cbranch_execz .LBB58_315
; %bb.314:
	scratch_load_b64 v[1:2], off, off offset:208
	v_mov_b32_e32 v22, v21
	scratch_store_b64 off, v[21:22], off offset:208
	s_wait_loadcnt 0x0
	ds_store_b64 v153, v[1:2]
.LBB58_315:
	s_wait_alu 0xfffe
	s_or_b32 exec_lo, exec_lo, s0
	s_wait_storecnt_dscnt 0x0
	s_barrier_signal -1
	s_barrier_wait -1
	global_inv scope:SCOPE_SE
	s_clause 0x4
	scratch_load_b128 v[5:8], off, off offset:216
	scratch_load_b128 v[1:4], off, off offset:232
	;; [unrolled: 1-line block ×5, first 2 shown]
	ds_load_2addr_b64 v[22:25], v21 offset0:87 offset1:88
	ds_load_2addr_b64 v[26:29], v21 offset0:89 offset1:90
	;; [unrolled: 1-line block ×3, first 2 shown]
	scratch_load_b64 v[30:31], off, off offset:208
	s_mov_b32 s0, exec_lo
	s_wait_loadcnt_dscnt 0x502
	v_mul_f32_e32 v32, v23, v6
	v_dual_mul_f32 v151, v22, v6 :: v_dual_mul_f32 v152, v24, v8
	v_mul_f32_e32 v6, v25, v8
	s_wait_loadcnt_dscnt 0x300
	v_mul_f32_e32 v158, v156, v12
	s_delay_alu instid0(VALU_DEP_3)
	v_dual_mul_f32 v12, v157, v12 :: v_dual_fmac_f32 v151, v23, v5
	v_fmac_f32_e32 v152, v25, v7
	v_fma_f32 v23, v24, v7, -v6
	v_mul_f32_e32 v25, v28, v4
	v_fma_f32 v22, v22, v5, -v32
	ds_load_2addr_b64 v[5:8], v21 offset0:93 offset1:94
	v_mul_f32_e32 v24, v26, v2
	v_mul_f32_e32 v4, v29, v4
	;; [unrolled: 1-line block ×4, first 2 shown]
	v_dual_mul_f32 v2, v27, v2 :: v_dual_fmac_f32 v25, v29, v3
	v_fmac_f32_e32 v24, v27, v1
	v_fma_f32 v27, v28, v3, -v4
	v_fmac_f32_e32 v32, v155, v9
	v_fma_f32 v28, v154, v9, -v10
	;; [unrolled: 2-line block ×3, first 2 shown]
	ds_load_2addr_b64 v[9:12], v21 offset0:95 offset1:96
	s_wait_loadcnt_dscnt 0x201
	v_dual_mul_f32 v155, v7, v16 :: v_dual_mul_f32 v154, v5, v14
	v_mul_f32_e32 v14, v6, v14
	v_mul_f32_e32 v16, v8, v16
	s_delay_alu instid0(VALU_DEP_3)
	v_fmac_f32_e32 v155, v8, v15
	v_fma_f32 v26, v26, v1, -v2
	scratch_load_b128 v[1:4], off, off offset:296
	v_fmac_f32_e32 v154, v6, v13
	v_fma_f32 v13, v5, v13, -v14
	v_fma_f32 v14, v7, v15, -v16
	ds_load_2addr_b64 v[5:8], v21 offset0:97 offset1:98
	s_wait_loadcnt_dscnt 0x201
	v_mul_f32_e32 v15, v9, v18
	v_mul_f32_e32 v16, v10, v18
	;; [unrolled: 1-line block ×3, first 2 shown]
	s_delay_alu instid0(VALU_DEP_3) | instskip(NEXT) | instid1(VALU_DEP_3)
	v_dual_mul_f32 v20, v12, v20 :: v_dual_fmac_f32 v15, v10, v17
	v_fma_f32 v16, v9, v17, -v16
	s_delay_alu instid0(VALU_DEP_3) | instskip(NEXT) | instid1(VALU_DEP_3)
	v_fmac_f32_e32 v18, v12, v19
	v_fma_f32 v17, v11, v19, -v20
	scratch_load_b128 v[9:12], off, off offset:312
	s_wait_loadcnt_dscnt 0x100
	v_mul_f32_e32 v19, v5, v2
	v_mul_f32_e32 v2, v6, v2
	;; [unrolled: 1-line block ×3, first 2 shown]
	s_delay_alu instid0(VALU_DEP_3) | instskip(NEXT) | instid1(VALU_DEP_3)
	v_dual_mul_f32 v4, v8, v4 :: v_dual_fmac_f32 v19, v6, v1
	v_fma_f32 v156, v5, v1, -v2
	s_delay_alu instid0(VALU_DEP_3) | instskip(NEXT) | instid1(VALU_DEP_3)
	v_fmac_f32_e32 v20, v8, v3
	v_fma_f32 v157, v7, v3, -v4
	ds_load_2addr_b64 v[1:4], v21 offset0:99 offset1:100
	ds_load_2addr_b64 v[5:8], v21 offset0:101 offset1:102
	s_wait_loadcnt_dscnt 0x1
	v_mul_f32_e32 v159, v1, v10
	v_mul_f32_e32 v10, v2, v10
	s_delay_alu instid0(VALU_DEP_2) | instskip(NEXT) | instid1(VALU_DEP_2)
	v_dual_mul_f32 v160, v3, v12 :: v_dual_fmac_f32 v159, v2, v9
	v_fma_f32 v161, v1, v9, -v10
	v_mul_f32_e32 v1, v4, v12
	s_delay_alu instid0(VALU_DEP_3) | instskip(NEXT) | instid1(VALU_DEP_2)
	v_fmac_f32_e32 v160, v4, v11
	v_fma_f32 v162, v3, v11, -v1
	s_clause 0x1
	scratch_load_b128 v[1:4], off, off offset:328
	scratch_load_b128 v[9:12], off, off offset:344
	s_wait_loadcnt_dscnt 0x100
	v_mul_f32_e32 v163, v5, v2
	v_dual_mul_f32 v2, v6, v2 :: v_dual_mul_f32 v165, v7, v4
	s_delay_alu instid0(VALU_DEP_2) | instskip(NEXT) | instid1(VALU_DEP_2)
	v_fmac_f32_e32 v163, v6, v1
	v_fma_f32 v164, v5, v1, -v2
	v_mul_f32_e32 v1, v8, v4
	s_delay_alu instid0(VALU_DEP_4) | instskip(NEXT) | instid1(VALU_DEP_2)
	v_fmac_f32_e32 v165, v8, v3
	v_fma_f32 v166, v7, v3, -v1
	ds_load_2addr_b64 v[1:4], v21 offset0:103 offset1:104
	ds_load_2addr_b64 v[5:8], v21 offset0:105 offset1:106
	s_wait_loadcnt_dscnt 0x1
	v_mul_f32_e32 v167, v1, v10
	v_mul_f32_e32 v169, v3, v12
	s_delay_alu instid0(VALU_DEP_2) | instskip(NEXT) | instid1(VALU_DEP_2)
	v_fmac_f32_e32 v167, v2, v9
	v_dual_mul_f32 v2, v2, v10 :: v_dual_fmac_f32 v169, v4, v11
	s_delay_alu instid0(VALU_DEP_1) | instskip(SKIP_1) | instid1(VALU_DEP_1)
	v_fma_f32 v168, v1, v9, -v2
	v_mul_f32_e32 v1, v4, v12
	v_fma_f32 v170, v3, v11, -v1
	s_clause 0x1
	scratch_load_b128 v[1:4], off, off offset:360
	scratch_load_b128 v[9:12], off, off offset:376
	s_wait_loadcnt_dscnt 0x100
	v_mul_f32_e32 v171, v5, v2
	v_dual_mul_f32 v2, v6, v2 :: v_dual_mul_f32 v173, v7, v4
	s_delay_alu instid0(VALU_DEP_2) | instskip(NEXT) | instid1(VALU_DEP_2)
	v_fmac_f32_e32 v171, v6, v1
	v_fma_f32 v172, v5, v1, -v2
	v_mul_f32_e32 v1, v8, v4
	s_delay_alu instid0(VALU_DEP_4) | instskip(NEXT) | instid1(VALU_DEP_2)
	v_fmac_f32_e32 v173, v8, v3
	v_fma_f32 v174, v7, v3, -v1
	ds_load_2addr_b64 v[1:4], v21 offset0:107 offset1:108
	ds_load_2addr_b64 v[5:8], v21 offset0:109 offset1:110
	s_wait_loadcnt_dscnt 0x1
	v_mul_f32_e32 v175, v1, v10
	v_mul_f32_e32 v177, v3, v12
	s_delay_alu instid0(VALU_DEP_2) | instskip(NEXT) | instid1(VALU_DEP_2)
	v_fmac_f32_e32 v175, v2, v9
	v_dual_mul_f32 v2, v2, v10 :: v_dual_fmac_f32 v177, v4, v11
	s_delay_alu instid0(VALU_DEP_1) | instskip(SKIP_1) | instid1(VALU_DEP_1)
	v_fma_f32 v176, v1, v9, -v2
	v_mul_f32_e32 v1, v4, v12
	v_fma_f32 v178, v3, v11, -v1
	s_clause 0x1
	scratch_load_b128 v[1:4], off, off offset:392
	scratch_load_b128 v[9:12], off, off offset:408
	s_wait_loadcnt_dscnt 0x100
	v_mul_f32_e32 v179, v5, v2
	v_dual_mul_f32 v2, v6, v2 :: v_dual_mul_f32 v181, v7, v4
	s_delay_alu instid0(VALU_DEP_1) | instskip(SKIP_1) | instid1(VALU_DEP_1)
	v_fma_f32 v180, v5, v1, -v2
	v_add_f32_e32 v2, 0, v151
	v_dual_fmac_f32 v181, v8, v3 :: v_dual_add_f32 v2, v2, v152
	s_delay_alu instid0(VALU_DEP_1) | instskip(NEXT) | instid1(VALU_DEP_1)
	v_add_f32_e32 v2, v2, v24
	v_add_f32_e32 v2, v2, v25
	s_delay_alu instid0(VALU_DEP_1) | instskip(NEXT) | instid1(VALU_DEP_1)
	v_add_f32_e32 v2, v2, v32
	v_add_f32_e32 v2, v2, v158
	;; [unrolled: 3-line block ×4, first 2 shown]
	s_delay_alu instid0(VALU_DEP_1) | instskip(SKIP_2) | instid1(VALU_DEP_1)
	v_add_f32_e32 v5, v5, v19
	v_fmac_f32_e32 v179, v6, v1
	v_mul_f32_e32 v1, v8, v4
	v_fma_f32 v182, v7, v3, -v1
	v_add_f32_e32 v1, 0, v22
	s_delay_alu instid0(VALU_DEP_1) | instskip(NEXT) | instid1(VALU_DEP_1)
	v_add_f32_e32 v1, v1, v23
	v_add_f32_e32 v1, v1, v26
	s_delay_alu instid0(VALU_DEP_1) | instskip(NEXT) | instid1(VALU_DEP_1)
	v_add_f32_e32 v1, v1, v27
	v_add_f32_e32 v1, v1, v28
	s_delay_alu instid0(VALU_DEP_1) | instskip(NEXT) | instid1(VALU_DEP_1)
	v_add_f32_e32 v1, v1, v29
	v_add_f32_e32 v1, v1, v13
	s_delay_alu instid0(VALU_DEP_1) | instskip(SKIP_1) | instid1(VALU_DEP_1)
	v_add_f32_e32 v1, v1, v14
	v_add_f32_e32 v14, v5, v20
	v_dual_add_f32 v1, v1, v16 :: v_dual_add_f32 v14, v14, v159
	s_delay_alu instid0(VALU_DEP_1) | instskip(NEXT) | instid1(VALU_DEP_2)
	v_add_f32_e32 v6, v1, v17
	v_add_f32_e32 v14, v14, v160
	ds_load_2addr_b64 v[1:4], v21 offset0:111 offset1:112
	v_add_f32_e32 v6, v6, v156
	v_add_f32_e32 v17, v14, v163
	s_delay_alu instid0(VALU_DEP_1) | instskip(NEXT) | instid1(VALU_DEP_1)
	v_add_f32_e32 v17, v17, v165
	v_add_f32_e32 v17, v17, v167
	s_delay_alu instid0(VALU_DEP_1) | instskip(NEXT) | instid1(VALU_DEP_1)
	v_add_f32_e32 v17, v17, v169
	v_add_f32_e32 v23, v17, v171
	s_delay_alu instid0(VALU_DEP_1)
	v_add_f32_e32 v32, v23, v173
	v_add_f32_e32 v13, v6, v157
	ds_load_2addr_b64 v[5:8], v21 offset0:113 offset1:114
	s_wait_loadcnt_dscnt 0x1
	v_mul_f32_e32 v26, v3, v12
	v_mul_f32_e32 v12, v4, v12
	v_dual_add_f32 v32, v32, v175 :: v_dual_add_f32 v13, v13, v161
	s_delay_alu instid0(VALU_DEP_3) | instskip(NEXT) | instid1(VALU_DEP_3)
	v_fmac_f32_e32 v26, v4, v11
	v_fma_f32 v28, v3, v11, -v12
	s_delay_alu instid0(VALU_DEP_3) | instskip(NEXT) | instid1(VALU_DEP_1)
	v_dual_add_f32 v32, v32, v177 :: v_dual_add_f32 v13, v13, v162
	v_dual_add_f32 v32, v32, v179 :: v_dual_add_f32 v13, v13, v164
	s_delay_alu instid0(VALU_DEP_1) | instskip(NEXT) | instid1(VALU_DEP_2)
	v_add_f32_e32 v32, v32, v181
	v_add_f32_e32 v18, v13, v166
	scratch_load_b128 v[13:16], off, off offset:456
	v_add_f32_e32 v18, v18, v168
	s_delay_alu instid0(VALU_DEP_1) | instskip(SKIP_2) | instid1(VALU_DEP_3)
	v_add_f32_e32 v18, v18, v170
	v_mul_f32_e32 v25, v1, v10
	v_mul_f32_e32 v10, v2, v10
	v_add_f32_e32 v22, v18, v172
	s_delay_alu instid0(VALU_DEP_3) | instskip(NEXT) | instid1(VALU_DEP_3)
	v_fmac_f32_e32 v25, v2, v9
	v_fma_f32 v27, v1, v9, -v10
	s_clause 0x1
	scratch_load_b128 v[1:4], off, off offset:424
	scratch_load_b128 v[9:12], off, off offset:440
	ds_load_2addr_b64 v[17:20], v21 offset0:115 offset1:116
	v_add_f32_e32 v29, v22, v174
	ds_load_2addr_b64 v[21:24], v21 offset0:117 offset1:118
	s_wait_loadcnt_dscnt 0x200
	v_dual_add_f32 v25, v32, v25 :: v_dual_mul_f32 v156, v21, v14
	s_delay_alu instid0(VALU_DEP_1)
	v_fmac_f32_e32 v156, v22, v13
	s_wait_loadcnt 0x1
	v_mul_f32_e32 v152, v7, v4
	v_mul_f32_e32 v4, v8, v4
	v_add_f32_e32 v29, v29, v176
	v_mul_f32_e32 v151, v5, v2
	v_mul_f32_e32 v2, v6, v2
	v_fmac_f32_e32 v152, v8, v3
	s_wait_loadcnt 0x0
	v_dual_mul_f32 v154, v17, v10 :: v_dual_mul_f32 v155, v19, v12
	v_add_f32_e32 v29, v29, v178
	v_fma_f32 v3, v7, v3, -v4
	v_dual_mul_f32 v4, v20, v12 :: v_dual_fmac_f32 v151, v6, v1
	s_delay_alu instid0(VALU_DEP_3)
	v_dual_mul_f32 v6, v18, v10 :: v_dual_add_f32 v29, v29, v180
	v_fmac_f32_e32 v154, v18, v9
	v_fma_f32 v2, v5, v1, -v2
	v_add_f32_e32 v5, v25, v26
	v_fmac_f32_e32 v155, v20, v11
	v_add_f32_e32 v29, v29, v182
	v_fma_f32 v4, v19, v11, -v4
	s_delay_alu instid0(VALU_DEP_2) | instskip(SKIP_1) | instid1(VALU_DEP_2)
	v_add_f32_e32 v27, v29, v27
	v_mul_f32_e32 v29, v23, v16
	v_add_f32_e32 v1, v27, v28
	s_delay_alu instid0(VALU_DEP_1) | instskip(SKIP_2) | instid1(VALU_DEP_2)
	v_add_f32_e32 v1, v1, v2
	v_add_f32_e32 v2, v5, v151
	v_fma_f32 v5, v17, v9, -v6
	v_dual_fmac_f32 v29, v24, v15 :: v_dual_add_f32 v2, v2, v152
	s_delay_alu instid0(VALU_DEP_1) | instskip(NEXT) | instid1(VALU_DEP_1)
	v_add_f32_e32 v2, v2, v154
	v_add_f32_e32 v2, v2, v155
	;; [unrolled: 1-line block ×3, first 2 shown]
	v_mul_f32_e32 v3, v22, v14
	s_delay_alu instid0(VALU_DEP_2) | instskip(SKIP_1) | instid1(VALU_DEP_3)
	v_dual_add_f32 v2, v2, v156 :: v_dual_add_f32 v1, v1, v5
	v_mul_f32_e32 v5, v24, v16
	v_fma_f32 v3, v21, v13, -v3
	s_delay_alu instid0(VALU_DEP_3) | instskip(NEXT) | instid1(VALU_DEP_3)
	v_dual_add_f32 v2, v2, v29 :: v_dual_add_f32 v1, v1, v4
	v_fma_f32 v4, v23, v15, -v5
	s_delay_alu instid0(VALU_DEP_2) | instskip(NEXT) | instid1(VALU_DEP_1)
	v_dual_sub_f32 v2, v31, v2 :: v_dual_add_f32 v1, v1, v3
	v_add_f32_e32 v1, v1, v4
	s_delay_alu instid0(VALU_DEP_1)
	v_sub_f32_e32 v1, v30, v1
	scratch_store_b64 off, v[1:2], off offset:208
	v_cmpx_lt_u32_e32 25, v0
	s_cbranch_execz .LBB58_317
; %bb.316:
	scratch_load_b64 v[1:2], off, off offset:200
	v_mov_b32_e32 v3, 0
	s_delay_alu instid0(VALU_DEP_1)
	v_mov_b32_e32 v4, v3
	scratch_store_b64 off, v[3:4], off offset:200
	s_wait_loadcnt 0x0
	ds_store_b64 v153, v[1:2]
.LBB58_317:
	s_wait_alu 0xfffe
	s_or_b32 exec_lo, exec_lo, s0
	s_wait_storecnt_dscnt 0x0
	s_barrier_signal -1
	s_barrier_wait -1
	global_inv scope:SCOPE_SE
	s_clause 0x4
	scratch_load_b128 v[5:8], off, off offset:208
	scratch_load_b128 v[1:4], off, off offset:224
	;; [unrolled: 1-line block ×5, first 2 shown]
	v_mov_b32_e32 v21, 0
	ds_load_b128 v[22:25], v21 offset:688
	ds_load_b128 v[26:29], v21 offset:704
	;; [unrolled: 1-line block ×3, first 2 shown]
	scratch_load_b64 v[30:31], off, off offset:200
	s_mov_b32 s0, exec_lo
	s_wait_loadcnt_dscnt 0x502
	v_mul_f32_e32 v32, v23, v6
	v_dual_mul_f32 v151, v22, v6 :: v_dual_mul_f32 v152, v24, v8
	v_mul_f32_e32 v6, v25, v8
	s_wait_loadcnt_dscnt 0x300
	v_mul_f32_e32 v158, v156, v12
	v_fma_f32 v22, v22, v5, -v32
	v_dual_fmac_f32 v151, v23, v5 :: v_dual_fmac_f32 v152, v25, v7
	v_mul_f32_e32 v25, v28, v4
	v_fma_f32 v23, v24, v7, -v6
	ds_load_b128 v[5:8], v21 offset:736
	v_mul_f32_e32 v24, v26, v2
	v_mul_f32_e32 v4, v29, v4
	;; [unrolled: 1-line block ×5, first 2 shown]
	v_dual_mul_f32 v2, v27, v2 :: v_dual_fmac_f32 v25, v29, v3
	v_fmac_f32_e32 v24, v27, v1
	v_fma_f32 v27, v28, v3, -v4
	v_fmac_f32_e32 v32, v155, v9
	v_fma_f32 v28, v154, v9, -v10
	;; [unrolled: 2-line block ×3, first 2 shown]
	ds_load_b128 v[9:12], v21 offset:752
	s_wait_loadcnt_dscnt 0x201
	v_dual_mul_f32 v155, v7, v16 :: v_dual_mul_f32 v154, v5, v14
	v_mul_f32_e32 v14, v6, v14
	v_mul_f32_e32 v16, v8, v16
	s_delay_alu instid0(VALU_DEP_3)
	v_fmac_f32_e32 v155, v8, v15
	v_fma_f32 v26, v26, v1, -v2
	scratch_load_b128 v[1:4], off, off offset:288
	v_fmac_f32_e32 v154, v6, v13
	v_fma_f32 v13, v5, v13, -v14
	v_fma_f32 v14, v7, v15, -v16
	ds_load_b128 v[5:8], v21 offset:768
	s_wait_loadcnt_dscnt 0x201
	v_mul_f32_e32 v15, v9, v18
	v_mul_f32_e32 v16, v10, v18
	;; [unrolled: 1-line block ×3, first 2 shown]
	s_delay_alu instid0(VALU_DEP_3) | instskip(NEXT) | instid1(VALU_DEP_3)
	v_dual_mul_f32 v20, v12, v20 :: v_dual_fmac_f32 v15, v10, v17
	v_fma_f32 v16, v9, v17, -v16
	s_delay_alu instid0(VALU_DEP_3) | instskip(NEXT) | instid1(VALU_DEP_3)
	v_fmac_f32_e32 v18, v12, v19
	v_fma_f32 v17, v11, v19, -v20
	scratch_load_b128 v[9:12], off, off offset:304
	s_wait_loadcnt_dscnt 0x100
	v_mul_f32_e32 v19, v5, v2
	v_mul_f32_e32 v2, v6, v2
	;; [unrolled: 1-line block ×3, first 2 shown]
	s_delay_alu instid0(VALU_DEP_3) | instskip(NEXT) | instid1(VALU_DEP_3)
	v_dual_mul_f32 v4, v8, v4 :: v_dual_fmac_f32 v19, v6, v1
	v_fma_f32 v156, v5, v1, -v2
	s_delay_alu instid0(VALU_DEP_3) | instskip(NEXT) | instid1(VALU_DEP_3)
	v_fmac_f32_e32 v20, v8, v3
	v_fma_f32 v157, v7, v3, -v4
	ds_load_b128 v[1:4], v21 offset:784
	ds_load_b128 v[5:8], v21 offset:800
	s_wait_loadcnt_dscnt 0x1
	v_mul_f32_e32 v159, v1, v10
	v_mul_f32_e32 v10, v2, v10
	s_delay_alu instid0(VALU_DEP_2) | instskip(NEXT) | instid1(VALU_DEP_2)
	v_dual_mul_f32 v160, v3, v12 :: v_dual_fmac_f32 v159, v2, v9
	v_fma_f32 v161, v1, v9, -v10
	v_mul_f32_e32 v1, v4, v12
	s_delay_alu instid0(VALU_DEP_3) | instskip(NEXT) | instid1(VALU_DEP_2)
	v_fmac_f32_e32 v160, v4, v11
	v_fma_f32 v162, v3, v11, -v1
	s_clause 0x1
	scratch_load_b128 v[1:4], off, off offset:320
	scratch_load_b128 v[9:12], off, off offset:336
	s_wait_loadcnt_dscnt 0x100
	v_mul_f32_e32 v163, v5, v2
	v_dual_mul_f32 v2, v6, v2 :: v_dual_mul_f32 v165, v7, v4
	s_delay_alu instid0(VALU_DEP_2) | instskip(NEXT) | instid1(VALU_DEP_2)
	v_fmac_f32_e32 v163, v6, v1
	v_fma_f32 v164, v5, v1, -v2
	v_mul_f32_e32 v1, v8, v4
	s_delay_alu instid0(VALU_DEP_4) | instskip(NEXT) | instid1(VALU_DEP_2)
	v_fmac_f32_e32 v165, v8, v3
	v_fma_f32 v166, v7, v3, -v1
	ds_load_b128 v[1:4], v21 offset:816
	ds_load_b128 v[5:8], v21 offset:832
	s_wait_loadcnt_dscnt 0x1
	v_mul_f32_e32 v167, v1, v10
	v_mul_f32_e32 v169, v3, v12
	s_delay_alu instid0(VALU_DEP_2) | instskip(NEXT) | instid1(VALU_DEP_2)
	v_fmac_f32_e32 v167, v2, v9
	v_dual_mul_f32 v2, v2, v10 :: v_dual_fmac_f32 v169, v4, v11
	s_delay_alu instid0(VALU_DEP_1) | instskip(SKIP_1) | instid1(VALU_DEP_1)
	v_fma_f32 v168, v1, v9, -v2
	v_mul_f32_e32 v1, v4, v12
	v_fma_f32 v170, v3, v11, -v1
	s_clause 0x1
	scratch_load_b128 v[1:4], off, off offset:352
	scratch_load_b128 v[9:12], off, off offset:368
	s_wait_loadcnt_dscnt 0x100
	v_mul_f32_e32 v171, v5, v2
	v_dual_mul_f32 v2, v6, v2 :: v_dual_mul_f32 v173, v7, v4
	s_delay_alu instid0(VALU_DEP_2) | instskip(NEXT) | instid1(VALU_DEP_2)
	v_fmac_f32_e32 v171, v6, v1
	v_fma_f32 v172, v5, v1, -v2
	v_mul_f32_e32 v1, v8, v4
	s_delay_alu instid0(VALU_DEP_4) | instskip(NEXT) | instid1(VALU_DEP_2)
	v_fmac_f32_e32 v173, v8, v3
	v_fma_f32 v174, v7, v3, -v1
	ds_load_b128 v[1:4], v21 offset:848
	ds_load_b128 v[5:8], v21 offset:864
	s_wait_loadcnt_dscnt 0x1
	v_mul_f32_e32 v175, v1, v10
	v_mul_f32_e32 v177, v3, v12
	s_delay_alu instid0(VALU_DEP_2) | instskip(NEXT) | instid1(VALU_DEP_2)
	v_fmac_f32_e32 v175, v2, v9
	v_dual_mul_f32 v2, v2, v10 :: v_dual_fmac_f32 v177, v4, v11
	s_delay_alu instid0(VALU_DEP_1) | instskip(SKIP_1) | instid1(VALU_DEP_1)
	v_fma_f32 v176, v1, v9, -v2
	v_mul_f32_e32 v1, v4, v12
	v_fma_f32 v178, v3, v11, -v1
	s_clause 0x1
	scratch_load_b128 v[1:4], off, off offset:384
	scratch_load_b128 v[9:12], off, off offset:400
	s_wait_loadcnt_dscnt 0x100
	v_mul_f32_e32 v179, v5, v2
	v_dual_mul_f32 v2, v6, v2 :: v_dual_mul_f32 v181, v7, v4
	s_delay_alu instid0(VALU_DEP_1) | instskip(SKIP_1) | instid1(VALU_DEP_1)
	v_fma_f32 v180, v5, v1, -v2
	v_add_f32_e32 v2, 0, v151
	v_dual_add_f32 v2, v2, v152 :: v_dual_fmac_f32 v181, v8, v3
	s_delay_alu instid0(VALU_DEP_1) | instskip(NEXT) | instid1(VALU_DEP_1)
	v_add_f32_e32 v2, v2, v24
	v_add_f32_e32 v2, v2, v25
	s_delay_alu instid0(VALU_DEP_1) | instskip(NEXT) | instid1(VALU_DEP_1)
	v_add_f32_e32 v2, v2, v32
	v_add_f32_e32 v2, v2, v158
	;; [unrolled: 3-line block ×4, first 2 shown]
	s_delay_alu instid0(VALU_DEP_1) | instskip(SKIP_2) | instid1(VALU_DEP_1)
	v_add_f32_e32 v5, v5, v19
	v_fmac_f32_e32 v179, v6, v1
	v_mul_f32_e32 v1, v8, v4
	v_fma_f32 v182, v7, v3, -v1
	v_add_f32_e32 v1, 0, v22
	s_delay_alu instid0(VALU_DEP_1) | instskip(NEXT) | instid1(VALU_DEP_1)
	v_add_f32_e32 v1, v1, v23
	v_add_f32_e32 v1, v1, v26
	s_delay_alu instid0(VALU_DEP_1) | instskip(SKIP_2) | instid1(VALU_DEP_1)
	v_add_f32_e32 v1, v1, v27
	scratch_load_b64 v[26:27], off, off offset:464
	v_add_f32_e32 v1, v1, v28
	v_add_f32_e32 v1, v1, v29
	s_delay_alu instid0(VALU_DEP_1) | instskip(NEXT) | instid1(VALU_DEP_1)
	v_add_f32_e32 v1, v1, v13
	v_add_f32_e32 v1, v1, v14
	;; [unrolled: 1-line block ×3, first 2 shown]
	s_delay_alu instid0(VALU_DEP_1) | instskip(NEXT) | instid1(VALU_DEP_1)
	v_add_f32_e32 v14, v14, v159
	v_add_f32_e32 v14, v14, v160
	s_delay_alu instid0(VALU_DEP_4) | instskip(NEXT) | instid1(VALU_DEP_1)
	v_add_f32_e32 v1, v1, v16
	v_dual_add_f32 v6, v1, v17 :: v_dual_add_f32 v17, v14, v163
	ds_load_b128 v[1:4], v21 offset:880
	v_dual_add_f32 v6, v6, v156 :: v_dual_add_f32 v17, v17, v165
	s_delay_alu instid0(VALU_DEP_1) | instskip(SKIP_2) | instid1(VALU_DEP_1)
	v_add_f32_e32 v13, v6, v157
	ds_load_b128 v[5:8], v21 offset:896
	v_add_f32_e32 v17, v17, v167
	v_add_f32_e32 v17, v17, v169
	s_delay_alu instid0(VALU_DEP_1) | instskip(SKIP_3) | instid1(VALU_DEP_3)
	v_add_f32_e32 v17, v17, v171
	s_wait_loadcnt_dscnt 0x101
	v_mul_f32_e32 v32, v1, v10
	v_dual_add_f32 v13, v13, v161 :: v_dual_mul_f32 v10, v2, v10
	v_add_f32_e32 v22, v17, v173
	s_delay_alu instid0(VALU_DEP_2) | instskip(NEXT) | instid1(VALU_DEP_3)
	v_dual_fmac_f32 v32, v2, v9 :: v_dual_add_f32 v13, v13, v162
	v_fma_f32 v152, v1, v9, -v10
	s_delay_alu instid0(VALU_DEP_3) | instskip(SKIP_2) | instid1(VALU_DEP_1)
	v_add_f32_e32 v29, v22, v175
	ds_load_b128 v[22:25], v21 offset:928
	v_add_f32_e32 v156, v29, v177
	v_dual_add_f32 v13, v13, v164 :: v_dual_add_f32 v156, v156, v179
	s_delay_alu instid0(VALU_DEP_1)
	v_dual_mul_f32 v151, v3, v12 :: v_dual_add_f32 v18, v13, v166
	v_mul_f32_e32 v12, v4, v12
	scratch_load_b128 v[13:16], off, off offset:448
	v_add_f32_e32 v156, v156, v181
	v_add_f32_e32 v18, v18, v168
	v_fma_f32 v154, v3, v11, -v12
	s_delay_alu instid0(VALU_DEP_3) | instskip(NEXT) | instid1(VALU_DEP_3)
	v_add_f32_e32 v32, v156, v32
	v_add_f32_e32 v18, v18, v170
	s_delay_alu instid0(VALU_DEP_1) | instskip(SKIP_4) | instid1(VALU_DEP_1)
	v_dual_add_f32 v18, v18, v172 :: v_dual_fmac_f32 v151, v4, v11
	s_clause 0x1
	scratch_load_b128 v[1:4], off, off offset:416
	scratch_load_b128 v[9:12], off, off offset:432
	v_add_f32_e32 v18, v18, v174
	v_add_f32_e32 v28, v18, v176
	ds_load_b128 v[17:20], v21 offset:912
	v_add_f32_e32 v155, v28, v178
	ds_load_b64 v[28:29], v21 offset:944
	v_add_f32_e32 v155, v155, v180
	s_delay_alu instid0(VALU_DEP_1) | instskip(NEXT) | instid1(VALU_DEP_1)
	v_add_f32_e32 v155, v155, v182
	v_add_f32_e32 v152, v155, v152
	s_delay_alu instid0(VALU_DEP_1) | instskip(SKIP_2) | instid1(VALU_DEP_1)
	v_add_f32_e32 v152, v152, v154
	s_wait_loadcnt_dscnt 0x202
	v_dual_mul_f32 v159, v22, v14 :: v_dual_mul_f32 v154, v24, v16
	v_fmac_f32_e32 v154, v25, v15
	s_wait_loadcnt 0x1
	v_mul_f32_e32 v157, v5, v2
	v_mul_f32_e32 v2, v6, v2
	;; [unrolled: 1-line block ×3, first 2 shown]
	s_wait_loadcnt_dscnt 0x1
	v_dual_mul_f32 v4, v8, v4 :: v_dual_mul_f32 v155, v17, v10
	v_mul_f32_e32 v156, v19, v12
	v_fma_f32 v2, v5, v1, -v2
	v_dual_add_f32 v32, v32, v151 :: v_dual_fmac_f32 v157, v6, v1
	v_fmac_f32_e32 v158, v8, v3
	v_fma_f32 v1, v7, v3, -v4
	v_mul_f32_e32 v3, v18, v10
	v_dual_add_f32 v2, v152, v2 :: v_dual_fmac_f32 v155, v18, v9
	v_fmac_f32_e32 v156, v20, v11
	s_wait_dscnt 0x0
	v_mul_f32_e32 v151, v28, v27
	v_fma_f32 v3, v17, v9, -v3
	v_add_f32_e32 v1, v2, v1
	s_delay_alu instid0(VALU_DEP_1) | instskip(NEXT) | instid1(VALU_DEP_1)
	v_dual_add_f32 v4, v32, v157 :: v_dual_add_f32 v1, v1, v3
	v_add_f32_e32 v2, v4, v158
	v_dual_mul_f32 v5, v20, v12 :: v_dual_mul_f32 v4, v23, v14
	v_mul_f32_e32 v3, v25, v16
	s_delay_alu instid0(VALU_DEP_3) | instskip(NEXT) | instid1(VALU_DEP_3)
	v_dual_fmac_f32 v151, v29, v26 :: v_dual_add_f32 v2, v2, v155
	v_fma_f32 v5, v19, v11, -v5
	v_fmac_f32_e32 v159, v23, v13
	v_fma_f32 v4, v22, v13, -v4
	v_fma_f32 v3, v24, v15, -v3
	s_delay_alu instid0(VALU_DEP_4) | instskip(NEXT) | instid1(VALU_DEP_1)
	v_dual_add_f32 v2, v2, v156 :: v_dual_add_f32 v1, v1, v5
	v_add_f32_e32 v2, v2, v159
	s_delay_alu instid0(VALU_DEP_1) | instskip(NEXT) | instid1(VALU_DEP_3)
	v_dual_mul_f32 v5, v29, v27 :: v_dual_add_f32 v2, v2, v154
	v_add_f32_e32 v1, v1, v4
	s_delay_alu instid0(VALU_DEP_2) | instskip(NEXT) | instid1(VALU_DEP_3)
	v_fma_f32 v4, v28, v26, -v5
	v_add_f32_e32 v2, v2, v151
	s_delay_alu instid0(VALU_DEP_1) | instskip(NEXT) | instid1(VALU_DEP_1)
	v_dual_add_f32 v1, v1, v3 :: v_dual_sub_f32 v2, v31, v2
	v_add_f32_e32 v1, v1, v4
	s_delay_alu instid0(VALU_DEP_1)
	v_sub_f32_e32 v1, v30, v1
	scratch_store_b64 off, v[1:2], off offset:200
	v_cmpx_lt_u32_e32 24, v0
	s_cbranch_execz .LBB58_319
; %bb.318:
	scratch_load_b64 v[1:2], off, off offset:192
	v_mov_b32_e32 v22, v21
	scratch_store_b64 off, v[21:22], off offset:192
	s_wait_loadcnt 0x0
	ds_store_b64 v153, v[1:2]
.LBB58_319:
	s_wait_alu 0xfffe
	s_or_b32 exec_lo, exec_lo, s0
	s_wait_storecnt_dscnt 0x0
	s_barrier_signal -1
	s_barrier_wait -1
	global_inv scope:SCOPE_SE
	s_clause 0x4
	scratch_load_b128 v[5:8], off, off offset:200
	scratch_load_b128 v[1:4], off, off offset:216
	;; [unrolled: 1-line block ×5, first 2 shown]
	ds_load_2addr_b64 v[22:25], v21 offset0:85 offset1:86
	ds_load_2addr_b64 v[26:29], v21 offset0:87 offset1:88
	;; [unrolled: 1-line block ×3, first 2 shown]
	scratch_load_b64 v[30:31], off, off offset:192
	s_mov_b32 s0, exec_lo
	s_wait_loadcnt_dscnt 0x502
	v_mul_f32_e32 v32, v23, v6
	v_dual_mul_f32 v151, v22, v6 :: v_dual_mul_f32 v152, v24, v8
	v_mul_f32_e32 v6, v25, v8
	s_wait_loadcnt_dscnt 0x300
	v_mul_f32_e32 v158, v156, v12
	s_delay_alu instid0(VALU_DEP_3)
	v_dual_mul_f32 v12, v157, v12 :: v_dual_fmac_f32 v151, v23, v5
	v_fmac_f32_e32 v152, v25, v7
	v_fma_f32 v23, v24, v7, -v6
	v_mul_f32_e32 v25, v28, v4
	v_fma_f32 v22, v22, v5, -v32
	ds_load_2addr_b64 v[5:8], v21 offset0:91 offset1:92
	v_mul_f32_e32 v24, v26, v2
	v_mul_f32_e32 v4, v29, v4
	;; [unrolled: 1-line block ×4, first 2 shown]
	v_dual_mul_f32 v2, v27, v2 :: v_dual_fmac_f32 v25, v29, v3
	v_fmac_f32_e32 v24, v27, v1
	v_fma_f32 v27, v28, v3, -v4
	v_fmac_f32_e32 v32, v155, v9
	v_fma_f32 v28, v154, v9, -v10
	;; [unrolled: 2-line block ×3, first 2 shown]
	ds_load_2addr_b64 v[9:12], v21 offset0:93 offset1:94
	s_wait_loadcnt_dscnt 0x201
	v_dual_mul_f32 v155, v7, v16 :: v_dual_mul_f32 v154, v5, v14
	v_mul_f32_e32 v14, v6, v14
	v_mul_f32_e32 v16, v8, v16
	s_delay_alu instid0(VALU_DEP_3)
	v_fmac_f32_e32 v155, v8, v15
	v_fma_f32 v26, v26, v1, -v2
	scratch_load_b128 v[1:4], off, off offset:280
	v_fmac_f32_e32 v154, v6, v13
	v_fma_f32 v13, v5, v13, -v14
	v_fma_f32 v14, v7, v15, -v16
	ds_load_2addr_b64 v[5:8], v21 offset0:95 offset1:96
	s_wait_loadcnt_dscnt 0x201
	v_mul_f32_e32 v15, v9, v18
	v_mul_f32_e32 v16, v10, v18
	;; [unrolled: 1-line block ×3, first 2 shown]
	s_delay_alu instid0(VALU_DEP_3) | instskip(NEXT) | instid1(VALU_DEP_3)
	v_dual_mul_f32 v20, v12, v20 :: v_dual_fmac_f32 v15, v10, v17
	v_fma_f32 v16, v9, v17, -v16
	s_delay_alu instid0(VALU_DEP_3) | instskip(NEXT) | instid1(VALU_DEP_3)
	v_fmac_f32_e32 v18, v12, v19
	v_fma_f32 v17, v11, v19, -v20
	scratch_load_b128 v[9:12], off, off offset:296
	s_wait_loadcnt_dscnt 0x100
	v_mul_f32_e32 v19, v5, v2
	v_mul_f32_e32 v2, v6, v2
	;; [unrolled: 1-line block ×3, first 2 shown]
	s_delay_alu instid0(VALU_DEP_3) | instskip(NEXT) | instid1(VALU_DEP_3)
	v_dual_mul_f32 v4, v8, v4 :: v_dual_fmac_f32 v19, v6, v1
	v_fma_f32 v156, v5, v1, -v2
	s_delay_alu instid0(VALU_DEP_3) | instskip(NEXT) | instid1(VALU_DEP_3)
	v_fmac_f32_e32 v20, v8, v3
	v_fma_f32 v157, v7, v3, -v4
	ds_load_2addr_b64 v[1:4], v21 offset0:97 offset1:98
	ds_load_2addr_b64 v[5:8], v21 offset0:99 offset1:100
	s_wait_loadcnt_dscnt 0x1
	v_mul_f32_e32 v159, v1, v10
	v_mul_f32_e32 v10, v2, v10
	s_delay_alu instid0(VALU_DEP_2) | instskip(NEXT) | instid1(VALU_DEP_2)
	v_dual_mul_f32 v160, v3, v12 :: v_dual_fmac_f32 v159, v2, v9
	v_fma_f32 v161, v1, v9, -v10
	v_mul_f32_e32 v1, v4, v12
	s_delay_alu instid0(VALU_DEP_3) | instskip(NEXT) | instid1(VALU_DEP_2)
	v_fmac_f32_e32 v160, v4, v11
	v_fma_f32 v162, v3, v11, -v1
	s_clause 0x1
	scratch_load_b128 v[1:4], off, off offset:312
	scratch_load_b128 v[9:12], off, off offset:328
	s_wait_loadcnt_dscnt 0x100
	v_mul_f32_e32 v163, v5, v2
	v_dual_mul_f32 v2, v6, v2 :: v_dual_mul_f32 v165, v7, v4
	s_delay_alu instid0(VALU_DEP_2) | instskip(NEXT) | instid1(VALU_DEP_2)
	v_fmac_f32_e32 v163, v6, v1
	v_fma_f32 v164, v5, v1, -v2
	v_mul_f32_e32 v1, v8, v4
	s_delay_alu instid0(VALU_DEP_4) | instskip(NEXT) | instid1(VALU_DEP_2)
	v_fmac_f32_e32 v165, v8, v3
	v_fma_f32 v166, v7, v3, -v1
	ds_load_2addr_b64 v[1:4], v21 offset0:101 offset1:102
	ds_load_2addr_b64 v[5:8], v21 offset0:103 offset1:104
	s_wait_loadcnt_dscnt 0x1
	v_mul_f32_e32 v167, v1, v10
	v_mul_f32_e32 v169, v3, v12
	s_delay_alu instid0(VALU_DEP_2) | instskip(NEXT) | instid1(VALU_DEP_2)
	v_fmac_f32_e32 v167, v2, v9
	v_dual_mul_f32 v2, v2, v10 :: v_dual_fmac_f32 v169, v4, v11
	s_delay_alu instid0(VALU_DEP_1) | instskip(SKIP_1) | instid1(VALU_DEP_1)
	v_fma_f32 v168, v1, v9, -v2
	v_mul_f32_e32 v1, v4, v12
	v_fma_f32 v170, v3, v11, -v1
	s_clause 0x1
	scratch_load_b128 v[1:4], off, off offset:344
	scratch_load_b128 v[9:12], off, off offset:360
	s_wait_loadcnt_dscnt 0x100
	v_mul_f32_e32 v171, v5, v2
	v_dual_mul_f32 v2, v6, v2 :: v_dual_mul_f32 v173, v7, v4
	s_delay_alu instid0(VALU_DEP_2) | instskip(NEXT) | instid1(VALU_DEP_2)
	v_fmac_f32_e32 v171, v6, v1
	v_fma_f32 v172, v5, v1, -v2
	v_mul_f32_e32 v1, v8, v4
	s_delay_alu instid0(VALU_DEP_4) | instskip(NEXT) | instid1(VALU_DEP_2)
	v_fmac_f32_e32 v173, v8, v3
	v_fma_f32 v174, v7, v3, -v1
	ds_load_2addr_b64 v[1:4], v21 offset0:105 offset1:106
	ds_load_2addr_b64 v[5:8], v21 offset0:107 offset1:108
	s_wait_loadcnt_dscnt 0x1
	v_mul_f32_e32 v175, v1, v10
	v_mul_f32_e32 v177, v3, v12
	s_delay_alu instid0(VALU_DEP_2) | instskip(NEXT) | instid1(VALU_DEP_2)
	v_fmac_f32_e32 v175, v2, v9
	v_dual_mul_f32 v2, v2, v10 :: v_dual_fmac_f32 v177, v4, v11
	s_delay_alu instid0(VALU_DEP_1) | instskip(SKIP_1) | instid1(VALU_DEP_1)
	v_fma_f32 v176, v1, v9, -v2
	v_mul_f32_e32 v1, v4, v12
	v_fma_f32 v178, v3, v11, -v1
	s_clause 0x1
	scratch_load_b128 v[1:4], off, off offset:376
	scratch_load_b128 v[9:12], off, off offset:392
	s_wait_loadcnt_dscnt 0x100
	v_mul_f32_e32 v179, v5, v2
	v_dual_mul_f32 v2, v6, v2 :: v_dual_mul_f32 v181, v7, v4
	s_delay_alu instid0(VALU_DEP_1) | instskip(SKIP_1) | instid1(VALU_DEP_3)
	v_fma_f32 v180, v5, v1, -v2
	v_add_f32_e32 v2, 0, v151
	v_fmac_f32_e32 v181, v8, v3
	v_fmac_f32_e32 v179, v6, v1
	s_delay_alu instid0(VALU_DEP_3) | instskip(NEXT) | instid1(VALU_DEP_1)
	v_add_f32_e32 v2, v2, v152
	v_add_f32_e32 v2, v2, v24
	s_delay_alu instid0(VALU_DEP_1) | instskip(NEXT) | instid1(VALU_DEP_1)
	v_dual_mul_f32 v1, v8, v4 :: v_dual_add_f32 v2, v2, v25
	v_fma_f32 v182, v7, v3, -v1
	s_delay_alu instid0(VALU_DEP_2) | instskip(NEXT) | instid1(VALU_DEP_1)
	v_dual_add_f32 v1, 0, v22 :: v_dual_add_f32 v2, v2, v32
	v_dual_add_f32 v1, v1, v23 :: v_dual_add_f32 v2, v2, v158
	s_delay_alu instid0(VALU_DEP_1) | instskip(NEXT) | instid1(VALU_DEP_1)
	v_add_f32_e32 v2, v2, v154
	v_dual_add_f32 v1, v1, v26 :: v_dual_add_f32 v2, v2, v155
	s_delay_alu instid0(VALU_DEP_1) | instskip(NEXT) | instid1(VALU_DEP_1)
	v_add_f32_e32 v1, v1, v27
	v_dual_add_f32 v2, v2, v15 :: v_dual_add_f32 v1, v1, v28
	s_delay_alu instid0(VALU_DEP_1) | instskip(NEXT) | instid1(VALU_DEP_2)
	v_add_f32_e32 v5, v2, v18
	v_add_f32_e32 v1, v1, v29
	s_delay_alu instid0(VALU_DEP_1) | instskip(NEXT) | instid1(VALU_DEP_3)
	v_add_f32_e32 v1, v1, v13
	v_add_f32_e32 v13, v5, v19
	s_delay_alu instid0(VALU_DEP_1) | instskip(NEXT) | instid1(VALU_DEP_1)
	v_add_f32_e32 v13, v13, v20
	v_add_f32_e32 v13, v13, v159
	s_delay_alu instid0(VALU_DEP_1) | instskip(NEXT) | instid1(VALU_DEP_1)
	v_add_f32_e32 v18, v13, v160
	v_dual_add_f32 v18, v18, v163 :: v_dual_add_f32 v1, v1, v14
	s_delay_alu instid0(VALU_DEP_1) | instskip(NEXT) | instid1(VALU_DEP_1)
	v_dual_add_f32 v18, v18, v165 :: v_dual_add_f32 v1, v1, v16
	v_dual_add_f32 v22, v18, v167 :: v_dual_add_f32 v1, v1, v17
	s_delay_alu instid0(VALU_DEP_1) | instskip(NEXT) | instid1(VALU_DEP_2)
	v_add_f32_e32 v22, v22, v169
	v_add_f32_e32 v6, v1, v156
	ds_load_2addr_b64 v[1:4], v21 offset0:109 offset1:110
	v_add_f32_e32 v22, v22, v171
	v_add_f32_e32 v14, v6, v157
	scratch_load_b128 v[5:8], off, off offset:408
	v_add_f32_e32 v14, v14, v161
	s_delay_alu instid0(VALU_DEP_1)
	v_add_f32_e32 v17, v14, v162
	ds_load_2addr_b64 v[13:16], v21 offset0:111 offset1:112
	s_wait_loadcnt_dscnt 0x101
	v_mul_f32_e32 v25, v1, v10
	v_mul_f32_e32 v10, v2, v10
	;; [unrolled: 1-line block ×3, first 2 shown]
	s_delay_alu instid0(VALU_DEP_3) | instskip(NEXT) | instid1(VALU_DEP_3)
	v_dual_mul_f32 v12, v4, v12 :: v_dual_fmac_f32 v25, v2, v9
	v_fma_f32 v27, v1, v9, -v10
	s_delay_alu instid0(VALU_DEP_3) | instskip(NEXT) | instid1(VALU_DEP_3)
	v_fmac_f32_e32 v26, v4, v11
	v_fma_f32 v28, v3, v11, -v12
	s_clause 0x1
	scratch_load_b128 v[1:4], off, off offset:424
	scratch_load_b128 v[9:12], off, off offset:440
	s_wait_loadcnt_dscnt 0x200
	v_mul_f32_e32 v32, v15, v8
	v_add_f32_e32 v17, v17, v164
	v_mul_f32_e32 v29, v13, v6
	v_mul_f32_e32 v6, v14, v6
	;; [unrolled: 1-line block ×3, first 2 shown]
	s_delay_alu instid0(VALU_DEP_4) | instskip(NEXT) | instid1(VALU_DEP_3)
	v_dual_fmac_f32 v32, v16, v7 :: v_dual_add_f32 v17, v17, v166
	v_fma_f32 v151, v13, v5, -v6
	v_add_f32_e32 v13, v22, v173
	s_delay_alu instid0(VALU_DEP_4) | instskip(NEXT) | instid1(VALU_DEP_4)
	v_fma_f32 v152, v15, v7, -v8
	v_add_f32_e32 v17, v17, v168
	s_delay_alu instid0(VALU_DEP_1) | instskip(SKIP_2) | instid1(VALU_DEP_1)
	v_add_f32_e32 v23, v17, v170
	scratch_load_b128 v[17:20], off, off offset:456
	v_add_f32_e32 v23, v23, v172
	v_add_f32_e32 v23, v23, v174
	s_delay_alu instid0(VALU_DEP_1) | instskip(SKIP_4) | instid1(VALU_DEP_1)
	v_dual_add_f32 v22, v23, v176 :: v_dual_fmac_f32 v29, v14, v5
	ds_load_2addr_b64 v[5:8], v21 offset0:113 offset1:114
	v_add_f32_e32 v23, v13, v175
	ds_load_2addr_b64 v[13:16], v21 offset0:115 offset1:116
	v_add_f32_e32 v154, v22, v178
	v_dual_add_f32 v154, v154, v180 :: v_dual_add_f32 v155, v23, v177
	ds_load_2addr_b64 v[21:24], v21 offset0:117 offset1:118
	v_dual_add_f32 v154, v154, v182 :: v_dual_add_f32 v155, v155, v179
	s_delay_alu instid0(VALU_DEP_1) | instskip(SKIP_1) | instid1(VALU_DEP_2)
	v_add_f32_e32 v27, v154, v27
	s_wait_loadcnt_dscnt 0x202
	v_dual_add_f32 v155, v155, v181 :: v_dual_mul_f32 v156, v5, v2
	v_mul_f32_e32 v2, v6, v2
	v_mul_f32_e32 v154, v7, v4
	s_wait_loadcnt_dscnt 0x101
	v_mul_f32_e32 v157, v15, v12
	v_dual_add_f32 v25, v155, v25 :: v_dual_mul_f32 v4, v8, v4
	v_fmac_f32_e32 v156, v6, v1
	v_dual_mul_f32 v6, v14, v10 :: v_dual_add_f32 v27, v27, v28
	s_delay_alu instid0(VALU_DEP_3) | instskip(NEXT) | instid1(VALU_DEP_4)
	v_dual_fmac_f32 v154, v8, v3 :: v_dual_add_f32 v25, v25, v26
	v_fma_f32 v3, v7, v3, -v4
	v_dual_mul_f32 v4, v16, v12 :: v_dual_mul_f32 v155, v13, v10
	v_fma_f32 v2, v5, v1, -v2
	s_delay_alu instid0(VALU_DEP_4) | instskip(NEXT) | instid1(VALU_DEP_3)
	v_add_f32_e32 v25, v25, v29
	v_fma_f32 v4, v15, v11, -v4
	s_wait_loadcnt_dscnt 0x0
	v_mul_f32_e32 v26, v21, v18
	v_mul_f32_e32 v28, v23, v20
	v_add_f32_e32 v5, v25, v32
	v_fmac_f32_e32 v155, v14, v9
	s_delay_alu instid0(VALU_DEP_4) | instskip(NEXT) | instid1(VALU_DEP_4)
	v_dual_fmac_f32 v26, v22, v17 :: v_dual_add_f32 v27, v27, v151
	v_fmac_f32_e32 v28, v24, v19
	v_fmac_f32_e32 v157, v16, v11
	s_delay_alu instid0(VALU_DEP_3) | instskip(NEXT) | instid1(VALU_DEP_1)
	v_add_f32_e32 v1, v27, v152
	v_add_f32_e32 v1, v1, v2
	;; [unrolled: 1-line block ×3, first 2 shown]
	v_fma_f32 v5, v13, v9, -v6
	s_delay_alu instid0(VALU_DEP_2) | instskip(NEXT) | instid1(VALU_DEP_1)
	v_add_f32_e32 v2, v2, v154
	v_add_f32_e32 v2, v2, v155
	s_delay_alu instid0(VALU_DEP_1) | instskip(SKIP_1) | instid1(VALU_DEP_2)
	v_dual_add_f32 v2, v2, v157 :: v_dual_add_f32 v1, v1, v3
	v_mul_f32_e32 v3, v22, v18
	v_add_f32_e32 v2, v2, v26
	s_delay_alu instid0(VALU_DEP_2) | instskip(NEXT) | instid1(VALU_DEP_2)
	v_fma_f32 v3, v21, v17, -v3
	v_dual_add_f32 v2, v2, v28 :: v_dual_add_f32 v1, v1, v5
	s_delay_alu instid0(VALU_DEP_1) | instskip(NEXT) | instid1(VALU_DEP_2)
	v_dual_mul_f32 v5, v24, v20 :: v_dual_sub_f32 v2, v31, v2
	v_add_f32_e32 v1, v1, v4
	s_delay_alu instid0(VALU_DEP_2) | instskip(NEXT) | instid1(VALU_DEP_2)
	v_fma_f32 v4, v23, v19, -v5
	v_add_f32_e32 v1, v1, v3
	s_delay_alu instid0(VALU_DEP_1) | instskip(NEXT) | instid1(VALU_DEP_1)
	v_add_f32_e32 v1, v1, v4
	v_sub_f32_e32 v1, v30, v1
	scratch_store_b64 off, v[1:2], off offset:192
	v_cmpx_lt_u32_e32 23, v0
	s_cbranch_execz .LBB58_321
; %bb.320:
	scratch_load_b64 v[1:2], off, off offset:184
	v_mov_b32_e32 v3, 0
	s_delay_alu instid0(VALU_DEP_1)
	v_mov_b32_e32 v4, v3
	scratch_store_b64 off, v[3:4], off offset:184
	s_wait_loadcnt 0x0
	ds_store_b64 v153, v[1:2]
.LBB58_321:
	s_wait_alu 0xfffe
	s_or_b32 exec_lo, exec_lo, s0
	s_wait_storecnt_dscnt 0x0
	s_barrier_signal -1
	s_barrier_wait -1
	global_inv scope:SCOPE_SE
	s_clause 0x4
	scratch_load_b128 v[5:8], off, off offset:192
	scratch_load_b128 v[1:4], off, off offset:208
	;; [unrolled: 1-line block ×5, first 2 shown]
	v_mov_b32_e32 v21, 0
	ds_load_b128 v[22:25], v21 offset:672
	ds_load_b128 v[26:29], v21 offset:688
	;; [unrolled: 1-line block ×3, first 2 shown]
	scratch_load_b64 v[30:31], off, off offset:184
	s_mov_b32 s0, exec_lo
	s_wait_loadcnt_dscnt 0x502
	v_mul_f32_e32 v32, v23, v6
	v_dual_mul_f32 v151, v22, v6 :: v_dual_mul_f32 v152, v24, v8
	v_mul_f32_e32 v6, v25, v8
	s_wait_loadcnt_dscnt 0x300
	v_mul_f32_e32 v158, v156, v12
	v_fma_f32 v22, v22, v5, -v32
	v_dual_fmac_f32 v151, v23, v5 :: v_dual_fmac_f32 v152, v25, v7
	v_mul_f32_e32 v25, v28, v4
	v_fma_f32 v23, v24, v7, -v6
	ds_load_b128 v[5:8], v21 offset:720
	v_mul_f32_e32 v24, v26, v2
	v_mul_f32_e32 v4, v29, v4
	;; [unrolled: 1-line block ×5, first 2 shown]
	v_dual_mul_f32 v2, v27, v2 :: v_dual_fmac_f32 v25, v29, v3
	v_fmac_f32_e32 v24, v27, v1
	v_fma_f32 v27, v28, v3, -v4
	v_fmac_f32_e32 v32, v155, v9
	v_fma_f32 v28, v154, v9, -v10
	;; [unrolled: 2-line block ×3, first 2 shown]
	ds_load_b128 v[9:12], v21 offset:736
	s_wait_loadcnt_dscnt 0x201
	v_dual_mul_f32 v155, v7, v16 :: v_dual_mul_f32 v154, v5, v14
	v_mul_f32_e32 v14, v6, v14
	v_mul_f32_e32 v16, v8, v16
	s_delay_alu instid0(VALU_DEP_3)
	v_fmac_f32_e32 v155, v8, v15
	v_fma_f32 v26, v26, v1, -v2
	scratch_load_b128 v[1:4], off, off offset:272
	v_fmac_f32_e32 v154, v6, v13
	v_fma_f32 v13, v5, v13, -v14
	v_fma_f32 v14, v7, v15, -v16
	ds_load_b128 v[5:8], v21 offset:752
	s_wait_loadcnt_dscnt 0x201
	v_mul_f32_e32 v15, v9, v18
	v_mul_f32_e32 v16, v10, v18
	;; [unrolled: 1-line block ×3, first 2 shown]
	s_delay_alu instid0(VALU_DEP_3) | instskip(NEXT) | instid1(VALU_DEP_3)
	v_dual_mul_f32 v20, v12, v20 :: v_dual_fmac_f32 v15, v10, v17
	v_fma_f32 v16, v9, v17, -v16
	s_delay_alu instid0(VALU_DEP_3) | instskip(NEXT) | instid1(VALU_DEP_3)
	v_fmac_f32_e32 v18, v12, v19
	v_fma_f32 v17, v11, v19, -v20
	scratch_load_b128 v[9:12], off, off offset:288
	s_wait_loadcnt_dscnt 0x100
	v_mul_f32_e32 v19, v5, v2
	v_mul_f32_e32 v2, v6, v2
	;; [unrolled: 1-line block ×3, first 2 shown]
	s_delay_alu instid0(VALU_DEP_3) | instskip(NEXT) | instid1(VALU_DEP_3)
	v_dual_mul_f32 v4, v8, v4 :: v_dual_fmac_f32 v19, v6, v1
	v_fma_f32 v156, v5, v1, -v2
	s_delay_alu instid0(VALU_DEP_3) | instskip(NEXT) | instid1(VALU_DEP_3)
	v_fmac_f32_e32 v20, v8, v3
	v_fma_f32 v157, v7, v3, -v4
	ds_load_b128 v[1:4], v21 offset:768
	ds_load_b128 v[5:8], v21 offset:784
	s_wait_loadcnt_dscnt 0x1
	v_mul_f32_e32 v159, v1, v10
	v_mul_f32_e32 v10, v2, v10
	s_delay_alu instid0(VALU_DEP_2) | instskip(NEXT) | instid1(VALU_DEP_2)
	v_dual_mul_f32 v160, v3, v12 :: v_dual_fmac_f32 v159, v2, v9
	v_fma_f32 v161, v1, v9, -v10
	v_mul_f32_e32 v1, v4, v12
	s_delay_alu instid0(VALU_DEP_3) | instskip(NEXT) | instid1(VALU_DEP_2)
	v_fmac_f32_e32 v160, v4, v11
	v_fma_f32 v162, v3, v11, -v1
	s_clause 0x1
	scratch_load_b128 v[1:4], off, off offset:304
	scratch_load_b128 v[9:12], off, off offset:320
	s_wait_loadcnt_dscnt 0x100
	v_mul_f32_e32 v163, v5, v2
	v_dual_mul_f32 v2, v6, v2 :: v_dual_mul_f32 v165, v7, v4
	s_delay_alu instid0(VALU_DEP_2) | instskip(NEXT) | instid1(VALU_DEP_2)
	v_fmac_f32_e32 v163, v6, v1
	v_fma_f32 v164, v5, v1, -v2
	v_mul_f32_e32 v1, v8, v4
	s_delay_alu instid0(VALU_DEP_4) | instskip(NEXT) | instid1(VALU_DEP_2)
	v_fmac_f32_e32 v165, v8, v3
	v_fma_f32 v166, v7, v3, -v1
	ds_load_b128 v[1:4], v21 offset:800
	ds_load_b128 v[5:8], v21 offset:816
	s_wait_loadcnt_dscnt 0x1
	v_mul_f32_e32 v167, v1, v10
	v_mul_f32_e32 v169, v3, v12
	s_delay_alu instid0(VALU_DEP_2) | instskip(NEXT) | instid1(VALU_DEP_2)
	v_fmac_f32_e32 v167, v2, v9
	v_dual_mul_f32 v2, v2, v10 :: v_dual_fmac_f32 v169, v4, v11
	s_delay_alu instid0(VALU_DEP_1) | instskip(SKIP_1) | instid1(VALU_DEP_1)
	v_fma_f32 v168, v1, v9, -v2
	v_mul_f32_e32 v1, v4, v12
	v_fma_f32 v170, v3, v11, -v1
	s_clause 0x1
	scratch_load_b128 v[1:4], off, off offset:336
	scratch_load_b128 v[9:12], off, off offset:352
	s_wait_loadcnt_dscnt 0x100
	v_mul_f32_e32 v171, v5, v2
	v_dual_mul_f32 v2, v6, v2 :: v_dual_mul_f32 v173, v7, v4
	s_delay_alu instid0(VALU_DEP_2) | instskip(NEXT) | instid1(VALU_DEP_2)
	v_fmac_f32_e32 v171, v6, v1
	v_fma_f32 v172, v5, v1, -v2
	v_mul_f32_e32 v1, v8, v4
	s_delay_alu instid0(VALU_DEP_4) | instskip(NEXT) | instid1(VALU_DEP_2)
	v_fmac_f32_e32 v173, v8, v3
	v_fma_f32 v174, v7, v3, -v1
	ds_load_b128 v[1:4], v21 offset:832
	ds_load_b128 v[5:8], v21 offset:848
	s_wait_loadcnt_dscnt 0x1
	v_mul_f32_e32 v175, v1, v10
	v_mul_f32_e32 v177, v3, v12
	s_delay_alu instid0(VALU_DEP_2) | instskip(NEXT) | instid1(VALU_DEP_2)
	v_fmac_f32_e32 v175, v2, v9
	v_dual_mul_f32 v2, v2, v10 :: v_dual_fmac_f32 v177, v4, v11
	s_delay_alu instid0(VALU_DEP_1) | instskip(SKIP_1) | instid1(VALU_DEP_1)
	v_fma_f32 v176, v1, v9, -v2
	v_mul_f32_e32 v1, v4, v12
	v_fma_f32 v178, v3, v11, -v1
	s_clause 0x1
	scratch_load_b128 v[1:4], off, off offset:368
	scratch_load_b128 v[9:12], off, off offset:384
	s_wait_loadcnt_dscnt 0x100
	v_mul_f32_e32 v179, v5, v2
	v_dual_mul_f32 v2, v6, v2 :: v_dual_mul_f32 v181, v7, v4
	s_delay_alu instid0(VALU_DEP_1) | instskip(SKIP_1) | instid1(VALU_DEP_1)
	v_fma_f32 v180, v5, v1, -v2
	v_add_f32_e32 v2, 0, v151
	v_dual_add_f32 v2, v2, v152 :: v_dual_fmac_f32 v181, v8, v3
	v_fmac_f32_e32 v179, v6, v1
	s_delay_alu instid0(VALU_DEP_2) | instskip(NEXT) | instid1(VALU_DEP_1)
	v_add_f32_e32 v2, v2, v24
	v_dual_mul_f32 v1, v8, v4 :: v_dual_add_f32 v2, v2, v25
	s_delay_alu instid0(VALU_DEP_1) | instskip(NEXT) | instid1(VALU_DEP_2)
	v_fma_f32 v182, v7, v3, -v1
	v_dual_add_f32 v1, 0, v22 :: v_dual_add_f32 v2, v2, v32
	s_delay_alu instid0(VALU_DEP_1) | instskip(NEXT) | instid1(VALU_DEP_1)
	v_dual_add_f32 v1, v1, v23 :: v_dual_add_f32 v2, v2, v158
	v_add_f32_e32 v2, v2, v154
	s_delay_alu instid0(VALU_DEP_1) | instskip(NEXT) | instid1(VALU_DEP_1)
	v_dual_add_f32 v1, v1, v26 :: v_dual_add_f32 v2, v2, v155
	v_add_f32_e32 v1, v1, v27
	scratch_load_b64 v[26:27], off, off offset:464
	v_dual_add_f32 v2, v2, v15 :: v_dual_add_f32 v1, v1, v28
	s_delay_alu instid0(VALU_DEP_1) | instskip(NEXT) | instid1(VALU_DEP_2)
	v_add_f32_e32 v5, v2, v18
	v_add_f32_e32 v1, v1, v29
	s_delay_alu instid0(VALU_DEP_1) | instskip(NEXT) | instid1(VALU_DEP_3)
	v_add_f32_e32 v1, v1, v13
	v_add_f32_e32 v13, v5, v19
	s_delay_alu instid0(VALU_DEP_1) | instskip(NEXT) | instid1(VALU_DEP_1)
	v_add_f32_e32 v13, v13, v20
	v_add_f32_e32 v13, v13, v159
	s_delay_alu instid0(VALU_DEP_1) | instskip(NEXT) | instid1(VALU_DEP_1)
	v_add_f32_e32 v18, v13, v160
	v_dual_add_f32 v18, v18, v163 :: v_dual_add_f32 v1, v1, v14
	s_delay_alu instid0(VALU_DEP_1) | instskip(NEXT) | instid1(VALU_DEP_1)
	v_dual_add_f32 v18, v18, v165 :: v_dual_add_f32 v1, v1, v16
	v_dual_add_f32 v22, v18, v167 :: v_dual_add_f32 v1, v1, v17
	s_delay_alu instid0(VALU_DEP_1) | instskip(NEXT) | instid1(VALU_DEP_2)
	v_add_f32_e32 v22, v22, v169
	v_add_f32_e32 v6, v1, v156
	scratch_load_b128 v[1:4], off, off offset:400
	v_add_f32_e32 v22, v22, v171
	v_add_f32_e32 v14, v6, v157
	ds_load_b128 v[5:8], v21 offset:864
	v_add_f32_e32 v22, v22, v173
	v_add_f32_e32 v14, v14, v161
	s_delay_alu instid0(VALU_DEP_1)
	v_add_f32_e32 v17, v14, v162
	ds_load_b128 v[13:16], v21 offset:880
	s_wait_loadcnt_dscnt 0x201
	v_dual_mul_f32 v32, v5, v10 :: v_dual_mul_f32 v151, v7, v12
	v_mul_f32_e32 v10, v6, v10
	v_mul_f32_e32 v12, v8, v12
	s_delay_alu instid0(VALU_DEP_3) | instskip(NEXT) | instid1(VALU_DEP_3)
	v_dual_fmac_f32 v32, v6, v9 :: v_dual_fmac_f32 v151, v8, v11
	v_fma_f32 v152, v5, v9, -v10
	s_delay_alu instid0(VALU_DEP_3)
	v_fma_f32 v154, v7, v11, -v12
	s_clause 0x1
	scratch_load_b128 v[5:8], off, off offset:416
	scratch_load_b128 v[9:12], off, off offset:432
	s_wait_loadcnt_dscnt 0x200
	v_mul_f32_e32 v156, v15, v4
	v_add_f32_e32 v17, v17, v164
	v_mul_f32_e32 v155, v13, v2
	v_mul_f32_e32 v2, v14, v2
	;; [unrolled: 1-line block ×3, first 2 shown]
	s_delay_alu instid0(VALU_DEP_4) | instskip(NEXT) | instid1(VALU_DEP_3)
	v_dual_fmac_f32 v156, v16, v3 :: v_dual_add_f32 v17, v17, v166
	v_fma_f32 v157, v13, v1, -v2
	v_add_f32_e32 v13, v22, v175
	s_delay_alu instid0(VALU_DEP_4) | instskip(NEXT) | instid1(VALU_DEP_4)
	v_fma_f32 v158, v15, v3, -v4
	v_add_f32_e32 v17, v17, v168
	s_delay_alu instid0(VALU_DEP_3) | instskip(NEXT) | instid1(VALU_DEP_2)
	v_add_f32_e32 v22, v13, v177
	v_add_f32_e32 v23, v17, v170
	scratch_load_b128 v[17:20], off, off offset:448
	v_add_f32_e32 v29, v22, v179
	s_delay_alu instid0(VALU_DEP_1) | instskip(NEXT) | instid1(VALU_DEP_1)
	v_dual_add_f32 v23, v23, v172 :: v_dual_add_f32 v160, v29, v181
	v_dual_add_f32 v23, v23, v174 :: v_dual_add_f32 v32, v160, v32
	s_delay_alu instid0(VALU_DEP_1)
	v_add_f32_e32 v23, v23, v176
	v_fmac_f32_e32 v155, v14, v1
	ds_load_b128 v[1:4], v21 offset:896
	v_add_f32_e32 v32, v32, v151
	v_add_f32_e32 v14, v23, v178
	ds_load_b128 v[22:25], v21 offset:928
	v_add_f32_e32 v28, v14, v180
	ds_load_b128 v[13:16], v21 offset:912
	v_add_f32_e32 v159, v28, v182
	ds_load_b64 v[28:29], v21 offset:944
	s_wait_loadcnt_dscnt 0x203
	v_dual_add_f32 v152, v159, v152 :: v_dual_mul_f32 v159, v1, v6
	v_mul_f32_e32 v151, v3, v8
	v_mul_f32_e32 v8, v4, v8
	s_delay_alu instid0(VALU_DEP_3) | instskip(SKIP_3) | instid1(VALU_DEP_4)
	v_add_f32_e32 v152, v152, v154
	v_mul_f32_e32 v6, v2, v6
	v_fmac_f32_e32 v159, v2, v5
	v_fmac_f32_e32 v151, v4, v7
	v_add_f32_e32 v152, v152, v157
	s_wait_loadcnt_dscnt 0x101
	v_mul_f32_e32 v154, v13, v10
	s_delay_alu instid0(VALU_DEP_1)
	v_fmac_f32_e32 v154, v14, v9
	s_wait_loadcnt 0x0
	v_mul_f32_e32 v157, v22, v18
	v_fma_f32 v2, v3, v7, -v8
	v_dual_mul_f32 v3, v14, v10 :: v_dual_add_f32 v32, v32, v155
	v_mul_f32_e32 v155, v15, v12
	v_fma_f32 v1, v1, v5, -v6
	v_fmac_f32_e32 v157, v23, v17
	s_delay_alu instid0(VALU_DEP_4) | instskip(SKIP_4) | instid1(VALU_DEP_3)
	v_fma_f32 v3, v13, v9, -v3
	v_add_f32_e32 v152, v152, v158
	v_mul_f32_e32 v158, v24, v20
	v_fmac_f32_e32 v155, v16, v11
	v_mul_f32_e32 v5, v16, v12
	v_dual_add_f32 v1, v152, v1 :: v_dual_fmac_f32 v158, v25, v19
	s_delay_alu instid0(VALU_DEP_2) | instskip(NEXT) | instid1(VALU_DEP_2)
	v_fma_f32 v5, v15, v11, -v5
	v_add_f32_e32 v1, v1, v2
	s_delay_alu instid0(VALU_DEP_1) | instskip(SKIP_2) | instid1(VALU_DEP_2)
	v_dual_add_f32 v1, v1, v3 :: v_dual_add_f32 v32, v32, v156
	s_wait_dscnt 0x0
	v_dual_mul_f32 v156, v28, v27 :: v_dual_mul_f32 v3, v25, v20
	v_dual_add_f32 v1, v1, v5 :: v_dual_add_f32 v4, v32, v159
	s_delay_alu instid0(VALU_DEP_2) | instskip(NEXT) | instid1(VALU_DEP_3)
	v_fmac_f32_e32 v156, v29, v26
	v_fma_f32 v3, v24, v19, -v3
	s_delay_alu instid0(VALU_DEP_3) | instskip(SKIP_1) | instid1(VALU_DEP_1)
	v_add_f32_e32 v2, v4, v151
	v_mul_f32_e32 v4, v23, v18
	v_fma_f32 v4, v22, v17, -v4
	s_delay_alu instid0(VALU_DEP_1) | instskip(NEXT) | instid1(VALU_DEP_1)
	v_dual_add_f32 v1, v1, v4 :: v_dual_add_f32 v2, v2, v154
	v_add_f32_e32 v2, v2, v155
	s_delay_alu instid0(VALU_DEP_1) | instskip(NEXT) | instid1(VALU_DEP_1)
	v_dual_add_f32 v2, v2, v157 :: v_dual_mul_f32 v5, v29, v27
	v_add_f32_e32 v2, v2, v158
	s_delay_alu instid0(VALU_DEP_2) | instskip(NEXT) | instid1(VALU_DEP_2)
	v_fma_f32 v4, v28, v26, -v5
	v_dual_add_f32 v1, v1, v3 :: v_dual_add_f32 v2, v2, v156
	s_delay_alu instid0(VALU_DEP_1) | instskip(NEXT) | instid1(VALU_DEP_1)
	v_dual_add_f32 v1, v1, v4 :: v_dual_sub_f32 v2, v31, v2
	v_sub_f32_e32 v1, v30, v1
	scratch_store_b64 off, v[1:2], off offset:184
	v_cmpx_lt_u32_e32 22, v0
	s_cbranch_execz .LBB58_323
; %bb.322:
	scratch_load_b64 v[1:2], off, off offset:176
	v_mov_b32_e32 v22, v21
	scratch_store_b64 off, v[21:22], off offset:176
	s_wait_loadcnt 0x0
	ds_store_b64 v153, v[1:2]
.LBB58_323:
	s_wait_alu 0xfffe
	s_or_b32 exec_lo, exec_lo, s0
	s_wait_storecnt_dscnt 0x0
	s_barrier_signal -1
	s_barrier_wait -1
	global_inv scope:SCOPE_SE
	s_clause 0x4
	scratch_load_b128 v[5:8], off, off offset:184
	scratch_load_b128 v[1:4], off, off offset:200
	;; [unrolled: 1-line block ×5, first 2 shown]
	ds_load_2addr_b64 v[22:25], v21 offset0:83 offset1:84
	ds_load_2addr_b64 v[26:29], v21 offset0:85 offset1:86
	;; [unrolled: 1-line block ×3, first 2 shown]
	scratch_load_b64 v[30:31], off, off offset:176
	s_mov_b32 s0, exec_lo
	s_wait_loadcnt_dscnt 0x502
	v_mul_f32_e32 v32, v23, v6
	v_dual_mul_f32 v151, v22, v6 :: v_dual_mul_f32 v152, v24, v8
	v_mul_f32_e32 v6, v25, v8
	s_wait_loadcnt_dscnt 0x300
	v_mul_f32_e32 v158, v156, v12
	s_delay_alu instid0(VALU_DEP_3)
	v_dual_mul_f32 v12, v157, v12 :: v_dual_fmac_f32 v151, v23, v5
	v_fmac_f32_e32 v152, v25, v7
	v_fma_f32 v23, v24, v7, -v6
	v_mul_f32_e32 v25, v28, v4
	v_fma_f32 v22, v22, v5, -v32
	ds_load_2addr_b64 v[5:8], v21 offset0:89 offset1:90
	v_mul_f32_e32 v24, v26, v2
	v_mul_f32_e32 v4, v29, v4
	;; [unrolled: 1-line block ×4, first 2 shown]
	v_dual_mul_f32 v2, v27, v2 :: v_dual_fmac_f32 v25, v29, v3
	v_fmac_f32_e32 v24, v27, v1
	v_fma_f32 v27, v28, v3, -v4
	v_fmac_f32_e32 v32, v155, v9
	v_fma_f32 v28, v154, v9, -v10
	;; [unrolled: 2-line block ×3, first 2 shown]
	ds_load_2addr_b64 v[9:12], v21 offset0:91 offset1:92
	s_wait_loadcnt_dscnt 0x201
	v_dual_mul_f32 v155, v7, v16 :: v_dual_mul_f32 v154, v5, v14
	v_mul_f32_e32 v14, v6, v14
	v_mul_f32_e32 v16, v8, v16
	s_delay_alu instid0(VALU_DEP_3)
	v_fmac_f32_e32 v155, v8, v15
	v_fma_f32 v26, v26, v1, -v2
	scratch_load_b128 v[1:4], off, off offset:264
	v_fmac_f32_e32 v154, v6, v13
	v_fma_f32 v13, v5, v13, -v14
	v_fma_f32 v14, v7, v15, -v16
	ds_load_2addr_b64 v[5:8], v21 offset0:93 offset1:94
	s_wait_loadcnt_dscnt 0x201
	v_mul_f32_e32 v15, v9, v18
	v_mul_f32_e32 v16, v10, v18
	;; [unrolled: 1-line block ×3, first 2 shown]
	s_delay_alu instid0(VALU_DEP_3) | instskip(NEXT) | instid1(VALU_DEP_3)
	v_dual_mul_f32 v20, v12, v20 :: v_dual_fmac_f32 v15, v10, v17
	v_fma_f32 v16, v9, v17, -v16
	s_delay_alu instid0(VALU_DEP_3) | instskip(NEXT) | instid1(VALU_DEP_3)
	v_fmac_f32_e32 v18, v12, v19
	v_fma_f32 v17, v11, v19, -v20
	scratch_load_b128 v[9:12], off, off offset:280
	s_wait_loadcnt_dscnt 0x100
	v_mul_f32_e32 v19, v5, v2
	v_mul_f32_e32 v2, v6, v2
	v_mul_f32_e32 v20, v7, v4
	s_delay_alu instid0(VALU_DEP_3) | instskip(NEXT) | instid1(VALU_DEP_3)
	v_dual_mul_f32 v4, v8, v4 :: v_dual_fmac_f32 v19, v6, v1
	v_fma_f32 v156, v5, v1, -v2
	s_delay_alu instid0(VALU_DEP_3) | instskip(NEXT) | instid1(VALU_DEP_3)
	v_fmac_f32_e32 v20, v8, v3
	v_fma_f32 v157, v7, v3, -v4
	ds_load_2addr_b64 v[1:4], v21 offset0:95 offset1:96
	ds_load_2addr_b64 v[5:8], v21 offset0:97 offset1:98
	s_wait_loadcnt_dscnt 0x1
	v_mul_f32_e32 v159, v1, v10
	v_mul_f32_e32 v10, v2, v10
	s_delay_alu instid0(VALU_DEP_2) | instskip(NEXT) | instid1(VALU_DEP_2)
	v_dual_mul_f32 v160, v3, v12 :: v_dual_fmac_f32 v159, v2, v9
	v_fma_f32 v161, v1, v9, -v10
	v_mul_f32_e32 v1, v4, v12
	s_delay_alu instid0(VALU_DEP_3) | instskip(NEXT) | instid1(VALU_DEP_2)
	v_fmac_f32_e32 v160, v4, v11
	v_fma_f32 v162, v3, v11, -v1
	s_clause 0x1
	scratch_load_b128 v[1:4], off, off offset:296
	scratch_load_b128 v[9:12], off, off offset:312
	s_wait_loadcnt_dscnt 0x100
	v_mul_f32_e32 v163, v5, v2
	v_dual_mul_f32 v2, v6, v2 :: v_dual_mul_f32 v165, v7, v4
	s_delay_alu instid0(VALU_DEP_2) | instskip(NEXT) | instid1(VALU_DEP_2)
	v_fmac_f32_e32 v163, v6, v1
	v_fma_f32 v164, v5, v1, -v2
	v_mul_f32_e32 v1, v8, v4
	s_delay_alu instid0(VALU_DEP_4) | instskip(NEXT) | instid1(VALU_DEP_2)
	v_fmac_f32_e32 v165, v8, v3
	v_fma_f32 v166, v7, v3, -v1
	ds_load_2addr_b64 v[1:4], v21 offset0:99 offset1:100
	ds_load_2addr_b64 v[5:8], v21 offset0:101 offset1:102
	s_wait_loadcnt_dscnt 0x1
	v_mul_f32_e32 v167, v1, v10
	v_mul_f32_e32 v169, v3, v12
	s_delay_alu instid0(VALU_DEP_2) | instskip(NEXT) | instid1(VALU_DEP_2)
	v_fmac_f32_e32 v167, v2, v9
	v_dual_mul_f32 v2, v2, v10 :: v_dual_fmac_f32 v169, v4, v11
	s_delay_alu instid0(VALU_DEP_1) | instskip(SKIP_1) | instid1(VALU_DEP_1)
	v_fma_f32 v168, v1, v9, -v2
	v_mul_f32_e32 v1, v4, v12
	v_fma_f32 v170, v3, v11, -v1
	s_clause 0x1
	scratch_load_b128 v[1:4], off, off offset:328
	scratch_load_b128 v[9:12], off, off offset:344
	s_wait_loadcnt_dscnt 0x100
	v_mul_f32_e32 v171, v5, v2
	v_dual_mul_f32 v2, v6, v2 :: v_dual_mul_f32 v173, v7, v4
	s_delay_alu instid0(VALU_DEP_2) | instskip(NEXT) | instid1(VALU_DEP_2)
	v_fmac_f32_e32 v171, v6, v1
	v_fma_f32 v172, v5, v1, -v2
	v_mul_f32_e32 v1, v8, v4
	s_delay_alu instid0(VALU_DEP_4) | instskip(NEXT) | instid1(VALU_DEP_2)
	v_fmac_f32_e32 v173, v8, v3
	v_fma_f32 v174, v7, v3, -v1
	ds_load_2addr_b64 v[1:4], v21 offset0:103 offset1:104
	ds_load_2addr_b64 v[5:8], v21 offset0:105 offset1:106
	s_wait_loadcnt_dscnt 0x1
	v_mul_f32_e32 v175, v1, v10
	v_mul_f32_e32 v177, v3, v12
	s_delay_alu instid0(VALU_DEP_2) | instskip(NEXT) | instid1(VALU_DEP_2)
	v_fmac_f32_e32 v175, v2, v9
	v_dual_mul_f32 v2, v2, v10 :: v_dual_fmac_f32 v177, v4, v11
	s_delay_alu instid0(VALU_DEP_1) | instskip(SKIP_1) | instid1(VALU_DEP_1)
	v_fma_f32 v176, v1, v9, -v2
	v_mul_f32_e32 v1, v4, v12
	;; [unrolled: 25-line block ×3, first 2 shown]
	v_fma_f32 v186, v3, v11, -v1
	s_clause 0x1
	scratch_load_b128 v[1:4], off, off offset:392
	scratch_load_b128 v[9:12], off, off offset:408
	s_wait_loadcnt_dscnt 0x100
	v_mul_f32_e32 v187, v5, v2
	v_mul_f32_e32 v2, v6, v2
	s_delay_alu instid0(VALU_DEP_1) | instskip(SKIP_1) | instid1(VALU_DEP_1)
	v_fma_f32 v188, v5, v1, -v2
	v_add_f32_e32 v2, 0, v151
	v_add_f32_e32 v2, v2, v152
	s_delay_alu instid0(VALU_DEP_1) | instskip(NEXT) | instid1(VALU_DEP_1)
	v_add_f32_e32 v2, v2, v24
	v_add_f32_e32 v2, v2, v25
	s_delay_alu instid0(VALU_DEP_1) | instskip(SKIP_1) | instid1(VALU_DEP_2)
	v_add_f32_e32 v2, v2, v32
	v_fmac_f32_e32 v187, v6, v1
	v_dual_add_f32 v2, v2, v158 :: v_dual_mul_f32 v189, v7, v4
	s_delay_alu instid0(VALU_DEP_1) | instskip(NEXT) | instid1(VALU_DEP_1)
	v_dual_add_f32 v2, v2, v154 :: v_dual_mul_f32 v1, v8, v4
	v_add_f32_e32 v2, v2, v155
	s_delay_alu instid0(VALU_DEP_2) | instskip(NEXT) | instid1(VALU_DEP_2)
	v_fma_f32 v190, v7, v3, -v1
	v_dual_add_f32 v1, 0, v22 :: v_dual_add_f32 v2, v2, v15
	s_delay_alu instid0(VALU_DEP_1) | instskip(NEXT) | instid1(VALU_DEP_1)
	v_dual_fmac_f32 v189, v8, v3 :: v_dual_add_f32 v2, v2, v18
	v_add_f32_e32 v2, v2, v19
	s_delay_alu instid0(VALU_DEP_1) | instskip(NEXT) | instid1(VALU_DEP_1)
	v_dual_add_f32 v1, v1, v23 :: v_dual_add_f32 v2, v2, v20
	v_add_f32_e32 v1, v1, v26
	s_delay_alu instid0(VALU_DEP_2) | instskip(NEXT) | instid1(VALU_DEP_2)
	v_add_f32_e32 v5, v2, v159
	v_add_f32_e32 v1, v1, v27
	s_delay_alu instid0(VALU_DEP_2) | instskip(NEXT) | instid1(VALU_DEP_2)
	v_add_f32_e32 v5, v5, v160
	;; [unrolled: 3-line block ×3, first 2 shown]
	v_add_f32_e32 v1, v1, v29
	s_delay_alu instid0(VALU_DEP_1) | instskip(NEXT) | instid1(VALU_DEP_1)
	v_add_f32_e32 v1, v1, v13
	v_add_f32_e32 v1, v1, v14
	s_delay_alu instid0(VALU_DEP_4) | instskip(NEXT) | instid1(VALU_DEP_1)
	v_add_f32_e32 v14, v5, v165
	v_add_f32_e32 v14, v14, v167
	s_delay_alu instid0(VALU_DEP_1) | instskip(NEXT) | instid1(VALU_DEP_1)
	v_dual_add_f32 v14, v14, v169 :: v_dual_add_f32 v1, v1, v16
	v_add_f32_e32 v1, v1, v17
	s_delay_alu instid0(VALU_DEP_2) | instskip(NEXT) | instid1(VALU_DEP_2)
	v_add_f32_e32 v17, v14, v171
	v_add_f32_e32 v1, v1, v156
	s_delay_alu instid0(VALU_DEP_1) | instskip(NEXT) | instid1(VALU_DEP_1)
	v_add_f32_e32 v1, v1, v157
	v_add_f32_e32 v1, v1, v161
	s_delay_alu instid0(VALU_DEP_1) | instskip(SKIP_2) | instid1(VALU_DEP_1)
	v_add_f32_e32 v6, v1, v162
	ds_load_2addr_b64 v[1:4], v21 offset0:111 offset1:112
	v_add_f32_e32 v6, v6, v164
	v_add_f32_e32 v13, v6, v166
	ds_load_2addr_b64 v[5:8], v21 offset0:113 offset1:114
	s_wait_loadcnt_dscnt 0x1
	v_dual_mul_f32 v25, v1, v10 :: v_dual_mul_f32 v26, v3, v12
	v_mul_f32_e32 v10, v2, v10
	s_delay_alu instid0(VALU_DEP_2) | instskip(NEXT) | instid1(VALU_DEP_3)
	v_dual_mul_f32 v12, v4, v12 :: v_dual_fmac_f32 v25, v2, v9
	v_fmac_f32_e32 v26, v4, v11
	s_delay_alu instid0(VALU_DEP_3) | instskip(NEXT) | instid1(VALU_DEP_3)
	v_fma_f32 v27, v1, v9, -v10
	v_fma_f32 v28, v3, v11, -v12
	s_clause 0x1
	scratch_load_b128 v[1:4], off, off offset:424
	scratch_load_b128 v[9:12], off, off offset:440
	v_add_f32_e32 v17, v17, v173
	s_delay_alu instid0(VALU_DEP_1) | instskip(NEXT) | instid1(VALU_DEP_1)
	v_add_f32_e32 v17, v17, v175
	v_add_f32_e32 v17, v17, v177
	s_delay_alu instid0(VALU_DEP_1) | instskip(NEXT) | instid1(VALU_DEP_1)
	v_add_f32_e32 v23, v17, v179
	;; [unrolled: 3-line block ×3, first 2 shown]
	v_add_f32_e32 v32, v32, v185
	s_delay_alu instid0(VALU_DEP_1) | instskip(NEXT) | instid1(VALU_DEP_1)
	v_dual_add_f32 v32, v32, v187 :: v_dual_add_f32 v13, v13, v168
	v_add_f32_e32 v32, v32, v189
	s_wait_loadcnt_dscnt 0x100
	s_delay_alu instid0(VALU_DEP_2) | instskip(SKIP_3) | instid1(VALU_DEP_4)
	v_dual_mul_f32 v152, v7, v4 :: v_dual_add_f32 v13, v13, v170
	v_mul_f32_e32 v151, v5, v2
	v_mul_f32_e32 v2, v6, v2
	;; [unrolled: 1-line block ×3, first 2 shown]
	v_dual_fmac_f32 v152, v8, v3 :: v_dual_add_f32 v13, v13, v172
	s_delay_alu instid0(VALU_DEP_4) | instskip(NEXT) | instid1(VALU_DEP_4)
	v_fmac_f32_e32 v151, v6, v1
	v_fma_f32 v2, v5, v1, -v2
	s_delay_alu instid0(VALU_DEP_4) | instskip(NEXT) | instid1(VALU_DEP_4)
	v_fma_f32 v3, v7, v3, -v4
	v_add_f32_e32 v18, v13, v174
	scratch_load_b128 v[13:16], off, off offset:456
	v_add_f32_e32 v18, v18, v176
	s_delay_alu instid0(VALU_DEP_1) | instskip(NEXT) | instid1(VALU_DEP_1)
	v_add_f32_e32 v18, v18, v178
	v_add_f32_e32 v22, v18, v180
	ds_load_2addr_b64 v[17:20], v21 offset0:115 offset1:116
	v_add_f32_e32 v29, v22, v182
	ds_load_2addr_b64 v[21:24], v21 offset0:117 offset1:118
	s_wait_loadcnt_dscnt 0x101
	v_dual_mul_f32 v154, v17, v10 :: v_dual_add_f32 v25, v32, v25
	v_mul_f32_e32 v6, v18, v10
	v_mul_f32_e32 v4, v20, v12
	s_delay_alu instid0(VALU_DEP_3) | instskip(NEXT) | instid1(VALU_DEP_4)
	v_dual_fmac_f32 v154, v18, v9 :: v_dual_add_f32 v29, v29, v184
	v_add_f32_e32 v5, v25, v26
	v_mul_f32_e32 v155, v19, v12
	s_delay_alu instid0(VALU_DEP_4) | instskip(SKIP_2) | instid1(VALU_DEP_1)
	v_fma_f32 v4, v19, v11, -v4
	s_wait_loadcnt_dscnt 0x0
	v_mul_f32_e32 v156, v21, v14
	v_dual_add_f32 v29, v29, v186 :: v_dual_fmac_f32 v156, v22, v13
	s_delay_alu instid0(VALU_DEP_1) | instskip(NEXT) | instid1(VALU_DEP_1)
	v_add_f32_e32 v29, v29, v188
	v_add_f32_e32 v29, v29, v190
	s_delay_alu instid0(VALU_DEP_1) | instskip(SKIP_1) | instid1(VALU_DEP_2)
	v_add_f32_e32 v27, v29, v27
	v_mul_f32_e32 v29, v23, v16
	v_add_f32_e32 v1, v27, v28
	s_delay_alu instid0(VALU_DEP_2) | instskip(NEXT) | instid1(VALU_DEP_2)
	v_fmac_f32_e32 v29, v24, v15
	v_add_f32_e32 v1, v1, v2
	v_add_f32_e32 v2, v5, v151
	v_fma_f32 v5, v17, v9, -v6
	v_fmac_f32_e32 v155, v20, v11
	s_delay_alu instid0(VALU_DEP_3) | instskip(SKIP_1) | instid1(VALU_DEP_2)
	v_dual_add_f32 v1, v1, v3 :: v_dual_add_f32 v2, v2, v152
	v_mul_f32_e32 v3, v22, v14
	v_dual_add_f32 v1, v1, v5 :: v_dual_add_f32 v2, v2, v154
	v_mul_f32_e32 v5, v24, v16
	s_delay_alu instid0(VALU_DEP_3) | instskip(NEXT) | instid1(VALU_DEP_3)
	v_fma_f32 v3, v21, v13, -v3
	v_dual_add_f32 v1, v1, v4 :: v_dual_add_f32 v2, v2, v155
	s_delay_alu instid0(VALU_DEP_3) | instskip(NEXT) | instid1(VALU_DEP_2)
	v_fma_f32 v4, v23, v15, -v5
	v_dual_add_f32 v1, v1, v3 :: v_dual_add_f32 v2, v2, v156
	s_delay_alu instid0(VALU_DEP_1) | instskip(NEXT) | instid1(VALU_DEP_1)
	v_dual_add_f32 v1, v1, v4 :: v_dual_add_f32 v2, v2, v29
	v_dual_sub_f32 v1, v30, v1 :: v_dual_sub_f32 v2, v31, v2
	scratch_store_b64 off, v[1:2], off offset:176
	v_cmpx_lt_u32_e32 21, v0
	s_cbranch_execz .LBB58_325
; %bb.324:
	scratch_load_b64 v[1:2], off, off offset:168
	v_mov_b32_e32 v3, 0
	s_delay_alu instid0(VALU_DEP_1)
	v_mov_b32_e32 v4, v3
	scratch_store_b64 off, v[3:4], off offset:168
	s_wait_loadcnt 0x0
	ds_store_b64 v153, v[1:2]
.LBB58_325:
	s_wait_alu 0xfffe
	s_or_b32 exec_lo, exec_lo, s0
	s_wait_storecnt_dscnt 0x0
	s_barrier_signal -1
	s_barrier_wait -1
	global_inv scope:SCOPE_SE
	s_clause 0x4
	scratch_load_b128 v[5:8], off, off offset:176
	scratch_load_b128 v[1:4], off, off offset:192
	;; [unrolled: 1-line block ×5, first 2 shown]
	v_mov_b32_e32 v21, 0
	ds_load_b128 v[22:25], v21 offset:656
	ds_load_b128 v[26:29], v21 offset:672
	;; [unrolled: 1-line block ×3, first 2 shown]
	scratch_load_b64 v[30:31], off, off offset:168
	s_mov_b32 s0, exec_lo
	s_wait_loadcnt_dscnt 0x502
	v_mul_f32_e32 v32, v23, v6
	v_dual_mul_f32 v151, v22, v6 :: v_dual_mul_f32 v152, v24, v8
	v_mul_f32_e32 v6, v25, v8
	s_wait_loadcnt_dscnt 0x300
	v_mul_f32_e32 v158, v156, v12
	v_fma_f32 v22, v22, v5, -v32
	v_dual_fmac_f32 v151, v23, v5 :: v_dual_fmac_f32 v152, v25, v7
	v_mul_f32_e32 v25, v28, v4
	v_fma_f32 v23, v24, v7, -v6
	ds_load_b128 v[5:8], v21 offset:704
	v_mul_f32_e32 v24, v26, v2
	v_mul_f32_e32 v4, v29, v4
	;; [unrolled: 1-line block ×5, first 2 shown]
	v_dual_mul_f32 v2, v27, v2 :: v_dual_fmac_f32 v25, v29, v3
	v_fmac_f32_e32 v24, v27, v1
	v_fma_f32 v27, v28, v3, -v4
	v_fmac_f32_e32 v32, v155, v9
	v_fma_f32 v28, v154, v9, -v10
	;; [unrolled: 2-line block ×3, first 2 shown]
	ds_load_b128 v[9:12], v21 offset:720
	s_wait_loadcnt_dscnt 0x201
	v_dual_mul_f32 v155, v7, v16 :: v_dual_mul_f32 v154, v5, v14
	v_mul_f32_e32 v14, v6, v14
	v_mul_f32_e32 v16, v8, v16
	s_delay_alu instid0(VALU_DEP_3)
	v_fmac_f32_e32 v155, v8, v15
	v_fma_f32 v26, v26, v1, -v2
	scratch_load_b128 v[1:4], off, off offset:256
	v_fmac_f32_e32 v154, v6, v13
	v_fma_f32 v13, v5, v13, -v14
	v_fma_f32 v14, v7, v15, -v16
	ds_load_b128 v[5:8], v21 offset:736
	s_wait_loadcnt_dscnt 0x201
	v_mul_f32_e32 v15, v9, v18
	v_mul_f32_e32 v16, v10, v18
	;; [unrolled: 1-line block ×3, first 2 shown]
	s_delay_alu instid0(VALU_DEP_3) | instskip(NEXT) | instid1(VALU_DEP_3)
	v_dual_mul_f32 v20, v12, v20 :: v_dual_fmac_f32 v15, v10, v17
	v_fma_f32 v16, v9, v17, -v16
	s_delay_alu instid0(VALU_DEP_3) | instskip(NEXT) | instid1(VALU_DEP_3)
	v_fmac_f32_e32 v18, v12, v19
	v_fma_f32 v17, v11, v19, -v20
	scratch_load_b128 v[9:12], off, off offset:272
	s_wait_loadcnt_dscnt 0x100
	v_mul_f32_e32 v19, v5, v2
	v_mul_f32_e32 v2, v6, v2
	;; [unrolled: 1-line block ×3, first 2 shown]
	s_delay_alu instid0(VALU_DEP_3) | instskip(NEXT) | instid1(VALU_DEP_3)
	v_dual_mul_f32 v4, v8, v4 :: v_dual_fmac_f32 v19, v6, v1
	v_fma_f32 v156, v5, v1, -v2
	s_delay_alu instid0(VALU_DEP_3) | instskip(NEXT) | instid1(VALU_DEP_3)
	v_fmac_f32_e32 v20, v8, v3
	v_fma_f32 v157, v7, v3, -v4
	ds_load_b128 v[1:4], v21 offset:752
	ds_load_b128 v[5:8], v21 offset:768
	s_wait_loadcnt_dscnt 0x1
	v_mul_f32_e32 v159, v1, v10
	v_mul_f32_e32 v10, v2, v10
	s_delay_alu instid0(VALU_DEP_2) | instskip(NEXT) | instid1(VALU_DEP_2)
	v_dual_mul_f32 v160, v3, v12 :: v_dual_fmac_f32 v159, v2, v9
	v_fma_f32 v161, v1, v9, -v10
	v_mul_f32_e32 v1, v4, v12
	s_delay_alu instid0(VALU_DEP_3) | instskip(NEXT) | instid1(VALU_DEP_2)
	v_fmac_f32_e32 v160, v4, v11
	v_fma_f32 v162, v3, v11, -v1
	s_clause 0x1
	scratch_load_b128 v[1:4], off, off offset:288
	scratch_load_b128 v[9:12], off, off offset:304
	s_wait_loadcnt_dscnt 0x100
	v_mul_f32_e32 v163, v5, v2
	v_dual_mul_f32 v2, v6, v2 :: v_dual_mul_f32 v165, v7, v4
	s_delay_alu instid0(VALU_DEP_2) | instskip(NEXT) | instid1(VALU_DEP_2)
	v_fmac_f32_e32 v163, v6, v1
	v_fma_f32 v164, v5, v1, -v2
	v_mul_f32_e32 v1, v8, v4
	s_delay_alu instid0(VALU_DEP_4) | instskip(NEXT) | instid1(VALU_DEP_2)
	v_fmac_f32_e32 v165, v8, v3
	v_fma_f32 v166, v7, v3, -v1
	ds_load_b128 v[1:4], v21 offset:784
	ds_load_b128 v[5:8], v21 offset:800
	s_wait_loadcnt_dscnt 0x1
	v_mul_f32_e32 v167, v1, v10
	v_mul_f32_e32 v169, v3, v12
	s_delay_alu instid0(VALU_DEP_2) | instskip(NEXT) | instid1(VALU_DEP_2)
	v_fmac_f32_e32 v167, v2, v9
	v_dual_mul_f32 v2, v2, v10 :: v_dual_fmac_f32 v169, v4, v11
	s_delay_alu instid0(VALU_DEP_1) | instskip(SKIP_1) | instid1(VALU_DEP_1)
	v_fma_f32 v168, v1, v9, -v2
	v_mul_f32_e32 v1, v4, v12
	v_fma_f32 v170, v3, v11, -v1
	s_clause 0x1
	scratch_load_b128 v[1:4], off, off offset:320
	scratch_load_b128 v[9:12], off, off offset:336
	s_wait_loadcnt_dscnt 0x100
	v_mul_f32_e32 v171, v5, v2
	v_dual_mul_f32 v2, v6, v2 :: v_dual_mul_f32 v173, v7, v4
	s_delay_alu instid0(VALU_DEP_2) | instskip(NEXT) | instid1(VALU_DEP_2)
	v_fmac_f32_e32 v171, v6, v1
	v_fma_f32 v172, v5, v1, -v2
	v_mul_f32_e32 v1, v8, v4
	s_delay_alu instid0(VALU_DEP_4) | instskip(NEXT) | instid1(VALU_DEP_2)
	v_fmac_f32_e32 v173, v8, v3
	v_fma_f32 v174, v7, v3, -v1
	ds_load_b128 v[1:4], v21 offset:816
	ds_load_b128 v[5:8], v21 offset:832
	s_wait_loadcnt_dscnt 0x1
	v_mul_f32_e32 v175, v1, v10
	v_mul_f32_e32 v177, v3, v12
	s_delay_alu instid0(VALU_DEP_2) | instskip(NEXT) | instid1(VALU_DEP_2)
	v_fmac_f32_e32 v175, v2, v9
	v_dual_mul_f32 v2, v2, v10 :: v_dual_fmac_f32 v177, v4, v11
	s_delay_alu instid0(VALU_DEP_1) | instskip(SKIP_1) | instid1(VALU_DEP_1)
	v_fma_f32 v176, v1, v9, -v2
	v_mul_f32_e32 v1, v4, v12
	;; [unrolled: 25-line block ×3, first 2 shown]
	v_fma_f32 v186, v3, v11, -v1
	s_clause 0x1
	scratch_load_b128 v[1:4], off, off offset:384
	scratch_load_b128 v[9:12], off, off offset:400
	s_wait_loadcnt_dscnt 0x100
	v_mul_f32_e32 v187, v5, v2
	v_mul_f32_e32 v2, v6, v2
	s_delay_alu instid0(VALU_DEP_1) | instskip(SKIP_1) | instid1(VALU_DEP_1)
	v_fma_f32 v188, v5, v1, -v2
	v_add_f32_e32 v2, 0, v151
	v_add_f32_e32 v2, v2, v152
	s_delay_alu instid0(VALU_DEP_1) | instskip(NEXT) | instid1(VALU_DEP_1)
	v_add_f32_e32 v2, v2, v24
	v_add_f32_e32 v2, v2, v25
	s_delay_alu instid0(VALU_DEP_1) | instskip(NEXT) | instid1(VALU_DEP_1)
	v_add_f32_e32 v2, v2, v32
	v_dual_add_f32 v2, v2, v158 :: v_dual_mul_f32 v189, v7, v4
	s_delay_alu instid0(VALU_DEP_1) | instskip(NEXT) | instid1(VALU_DEP_1)
	v_add_f32_e32 v2, v2, v154
	v_add_f32_e32 v2, v2, v155
	v_fmac_f32_e32 v187, v6, v1
	s_delay_alu instid0(VALU_DEP_2) | instskip(SKIP_1) | instid1(VALU_DEP_2)
	v_dual_mul_f32 v1, v8, v4 :: v_dual_add_f32 v2, v2, v15
	v_fmac_f32_e32 v189, v8, v3
	v_fma_f32 v190, v7, v3, -v1
	s_delay_alu instid0(VALU_DEP_3) | instskip(NEXT) | instid1(VALU_DEP_1)
	v_add_f32_e32 v2, v2, v18
	v_dual_add_f32 v1, 0, v22 :: v_dual_add_f32 v2, v2, v19
	s_delay_alu instid0(VALU_DEP_1) | instskip(NEXT) | instid1(VALU_DEP_1)
	v_dual_add_f32 v1, v1, v23 :: v_dual_add_f32 v2, v2, v20
	v_add_f32_e32 v1, v1, v26
	s_delay_alu instid0(VALU_DEP_2) | instskip(NEXT) | instid1(VALU_DEP_2)
	v_add_f32_e32 v5, v2, v159
	v_add_f32_e32 v1, v1, v27
	scratch_load_b64 v[26:27], off, off offset:464
	v_add_f32_e32 v5, v5, v160
	v_add_f32_e32 v1, v1, v28
	s_delay_alu instid0(VALU_DEP_2) | instskip(NEXT) | instid1(VALU_DEP_2)
	v_add_f32_e32 v5, v5, v163
	v_add_f32_e32 v1, v1, v29
	s_delay_alu instid0(VALU_DEP_1) | instskip(NEXT) | instid1(VALU_DEP_1)
	v_add_f32_e32 v1, v1, v13
	v_add_f32_e32 v1, v1, v14
	s_delay_alu instid0(VALU_DEP_4) | instskip(NEXT) | instid1(VALU_DEP_1)
	v_add_f32_e32 v14, v5, v165
	v_dual_add_f32 v14, v14, v167 :: v_dual_add_f32 v1, v1, v16
	s_delay_alu instid0(VALU_DEP_1) | instskip(NEXT) | instid1(VALU_DEP_2)
	v_add_f32_e32 v14, v14, v169
	v_add_f32_e32 v1, v1, v17
	s_delay_alu instid0(VALU_DEP_2) | instskip(NEXT) | instid1(VALU_DEP_2)
	v_add_f32_e32 v17, v14, v171
	v_add_f32_e32 v1, v1, v156
	s_delay_alu instid0(VALU_DEP_2) | instskip(NEXT) | instid1(VALU_DEP_2)
	v_add_f32_e32 v17, v17, v173
	v_add_f32_e32 v1, v1, v157
	s_delay_alu instid0(VALU_DEP_2) | instskip(NEXT) | instid1(VALU_DEP_2)
	v_add_f32_e32 v17, v17, v175
	v_add_f32_e32 v1, v1, v161
	s_delay_alu instid0(VALU_DEP_2) | instskip(NEXT) | instid1(VALU_DEP_2)
	v_add_f32_e32 v17, v17, v177
	v_add_f32_e32 v6, v1, v162
	ds_load_b128 v[1:4], v21 offset:880
	v_dual_add_f32 v17, v17, v179 :: v_dual_add_f32 v6, v6, v164
	s_delay_alu instid0(VALU_DEP_1)
	v_dual_add_f32 v22, v17, v181 :: v_dual_add_f32 v13, v6, v166
	ds_load_b128 v[5:8], v21 offset:896
	s_wait_loadcnt_dscnt 0x101
	v_mul_f32_e32 v32, v1, v10
	v_dual_mul_f32 v10, v2, v10 :: v_dual_mul_f32 v151, v3, v12
	v_dual_mul_f32 v12, v4, v12 :: v_dual_add_f32 v29, v22, v183
	s_delay_alu instid0(VALU_DEP_3) | instskip(NEXT) | instid1(VALU_DEP_3)
	v_fmac_f32_e32 v32, v2, v9
	v_fma_f32 v152, v1, v9, -v10
	s_delay_alu instid0(VALU_DEP_4) | instskip(NEXT) | instid1(VALU_DEP_4)
	v_fmac_f32_e32 v151, v4, v11
	v_fma_f32 v154, v3, v11, -v12
	s_clause 0x1
	scratch_load_b128 v[1:4], off, off offset:416
	scratch_load_b128 v[9:12], off, off offset:432
	v_add_f32_e32 v156, v29, v185
	v_add_f32_e32 v13, v13, v168
	ds_load_b128 v[22:25], v21 offset:928
	v_dual_add_f32 v156, v156, v187 :: v_dual_add_f32 v13, v13, v170
	s_delay_alu instid0(VALU_DEP_1) | instskip(NEXT) | instid1(VALU_DEP_1)
	v_add_f32_e32 v156, v156, v189
	v_add_f32_e32 v32, v156, v32
	s_delay_alu instid0(VALU_DEP_1) | instskip(SKIP_4) | instid1(VALU_DEP_3)
	v_add_f32_e32 v32, v32, v151
	s_wait_loadcnt_dscnt 0x101
	v_mul_f32_e32 v158, v7, v4
	v_add_f32_e32 v13, v13, v172
	v_mul_f32_e32 v4, v8, v4
	v_fmac_f32_e32 v158, v8, v3
	s_delay_alu instid0(VALU_DEP_3) | instskip(SKIP_2) | instid1(VALU_DEP_1)
	v_add_f32_e32 v18, v13, v174
	scratch_load_b128 v[13:16], off, off offset:448
	v_add_f32_e32 v18, v18, v176
	v_add_f32_e32 v18, v18, v178
	s_delay_alu instid0(VALU_DEP_1) | instskip(NEXT) | instid1(VALU_DEP_1)
	v_add_f32_e32 v18, v18, v180
	v_add_f32_e32 v18, v18, v182
	s_delay_alu instid0(VALU_DEP_1) | instskip(SKIP_4) | instid1(VALU_DEP_2)
	v_add_f32_e32 v28, v18, v184
	ds_load_b128 v[17:20], v21 offset:912
	s_wait_loadcnt_dscnt 0x100
	v_dual_mul_f32 v156, v19, v12 :: v_dual_mul_f32 v157, v5, v2
	v_mul_f32_e32 v2, v6, v2
	v_fmac_f32_e32 v156, v20, v11
	v_add_f32_e32 v155, v28, v186
	s_delay_alu instid0(VALU_DEP_4) | instskip(NEXT) | instid1(VALU_DEP_4)
	v_fmac_f32_e32 v157, v6, v1
	v_fma_f32 v2, v5, v1, -v2
	v_fma_f32 v1, v7, v3, -v4
	ds_load_b64 v[28:29], v21 offset:944
	v_dual_add_f32 v155, v155, v188 :: v_dual_add_f32 v4, v32, v157
	v_mul_f32_e32 v3, v18, v10
	s_delay_alu instid0(VALU_DEP_2) | instskip(NEXT) | instid1(VALU_DEP_2)
	v_add_f32_e32 v155, v155, v190
	v_fma_f32 v3, v17, v9, -v3
	s_delay_alu instid0(VALU_DEP_2) | instskip(NEXT) | instid1(VALU_DEP_1)
	v_add_f32_e32 v152, v155, v152
	v_add_f32_e32 v152, v152, v154
	s_wait_dscnt 0x0
	v_mul_f32_e32 v151, v28, v27
	s_delay_alu instid0(VALU_DEP_2) | instskip(NEXT) | instid1(VALU_DEP_1)
	v_add_f32_e32 v2, v152, v2
	v_dual_add_f32 v1, v2, v1 :: v_dual_add_f32 v2, v4, v158
	s_wait_loadcnt 0x0
	v_dual_mul_f32 v154, v24, v16 :: v_dual_mul_f32 v159, v22, v14
	v_mul_f32_e32 v4, v23, v14
	v_fmac_f32_e32 v151, v29, v26
	s_delay_alu instid0(VALU_DEP_3) | instskip(SKIP_1) | instid1(VALU_DEP_4)
	v_dual_fmac_f32 v154, v25, v15 :: v_dual_fmac_f32 v159, v23, v13
	v_mul_f32_e32 v155, v17, v10
	v_fma_f32 v4, v22, v13, -v4
	s_delay_alu instid0(VALU_DEP_2) | instskip(NEXT) | instid1(VALU_DEP_1)
	v_fmac_f32_e32 v155, v18, v9
	v_dual_mul_f32 v5, v20, v12 :: v_dual_add_f32 v2, v2, v155
	s_delay_alu instid0(VALU_DEP_1) | instskip(NEXT) | instid1(VALU_DEP_2)
	v_fma_f32 v5, v19, v11, -v5
	v_add_f32_e32 v2, v2, v156
	s_delay_alu instid0(VALU_DEP_1) | instskip(NEXT) | instid1(VALU_DEP_1)
	v_add_f32_e32 v2, v2, v159
	v_dual_add_f32 v1, v1, v3 :: v_dual_add_f32 v2, v2, v154
	v_mul_f32_e32 v3, v25, v16
	s_delay_alu instid0(VALU_DEP_2) | instskip(SKIP_1) | instid1(VALU_DEP_4)
	v_add_f32_e32 v1, v1, v5
	v_mul_f32_e32 v5, v29, v27
	v_add_f32_e32 v2, v2, v151
	s_delay_alu instid0(VALU_DEP_4) | instskip(NEXT) | instid1(VALU_DEP_4)
	v_fma_f32 v3, v24, v15, -v3
	v_add_f32_e32 v1, v1, v4
	s_delay_alu instid0(VALU_DEP_4) | instskip(NEXT) | instid1(VALU_DEP_2)
	v_fma_f32 v4, v28, v26, -v5
	v_dual_sub_f32 v2, v31, v2 :: v_dual_add_f32 v1, v1, v3
	s_delay_alu instid0(VALU_DEP_1) | instskip(NEXT) | instid1(VALU_DEP_1)
	v_add_f32_e32 v1, v1, v4
	v_sub_f32_e32 v1, v30, v1
	scratch_store_b64 off, v[1:2], off offset:168
	v_cmpx_lt_u32_e32 20, v0
	s_cbranch_execz .LBB58_327
; %bb.326:
	scratch_load_b64 v[1:2], off, off offset:160
	v_mov_b32_e32 v22, v21
	scratch_store_b64 off, v[21:22], off offset:160
	s_wait_loadcnt 0x0
	ds_store_b64 v153, v[1:2]
.LBB58_327:
	s_wait_alu 0xfffe
	s_or_b32 exec_lo, exec_lo, s0
	s_wait_storecnt_dscnt 0x0
	s_barrier_signal -1
	s_barrier_wait -1
	global_inv scope:SCOPE_SE
	s_clause 0x4
	scratch_load_b128 v[5:8], off, off offset:168
	scratch_load_b128 v[1:4], off, off offset:184
	;; [unrolled: 1-line block ×5, first 2 shown]
	ds_load_2addr_b64 v[22:25], v21 offset0:81 offset1:82
	ds_load_2addr_b64 v[26:29], v21 offset0:83 offset1:84
	ds_load_2addr_b64 v[154:157], v21 offset0:85 offset1:86
	scratch_load_b64 v[30:31], off, off offset:160
	s_mov_b32 s0, exec_lo
	s_wait_loadcnt_dscnt 0x502
	v_mul_f32_e32 v32, v23, v6
	v_dual_mul_f32 v151, v22, v6 :: v_dual_mul_f32 v152, v24, v8
	v_mul_f32_e32 v6, v25, v8
	s_wait_loadcnt_dscnt 0x300
	v_mul_f32_e32 v158, v156, v12
	s_delay_alu instid0(VALU_DEP_3)
	v_dual_mul_f32 v12, v157, v12 :: v_dual_fmac_f32 v151, v23, v5
	v_fmac_f32_e32 v152, v25, v7
	v_fma_f32 v23, v24, v7, -v6
	v_mul_f32_e32 v25, v28, v4
	v_fma_f32 v22, v22, v5, -v32
	ds_load_2addr_b64 v[5:8], v21 offset0:87 offset1:88
	v_mul_f32_e32 v24, v26, v2
	v_mul_f32_e32 v4, v29, v4
	v_mul_f32_e32 v32, v154, v10
	v_mul_f32_e32 v10, v155, v10
	v_dual_mul_f32 v2, v27, v2 :: v_dual_fmac_f32 v25, v29, v3
	v_fmac_f32_e32 v24, v27, v1
	v_fma_f32 v27, v28, v3, -v4
	v_fmac_f32_e32 v32, v155, v9
	v_fma_f32 v28, v154, v9, -v10
	;; [unrolled: 2-line block ×3, first 2 shown]
	ds_load_2addr_b64 v[9:12], v21 offset0:89 offset1:90
	s_wait_loadcnt_dscnt 0x201
	v_dual_mul_f32 v155, v7, v16 :: v_dual_mul_f32 v154, v5, v14
	v_mul_f32_e32 v14, v6, v14
	v_mul_f32_e32 v16, v8, v16
	s_delay_alu instid0(VALU_DEP_3)
	v_fmac_f32_e32 v155, v8, v15
	v_fma_f32 v26, v26, v1, -v2
	scratch_load_b128 v[1:4], off, off offset:248
	v_fmac_f32_e32 v154, v6, v13
	v_fma_f32 v13, v5, v13, -v14
	v_fma_f32 v14, v7, v15, -v16
	ds_load_2addr_b64 v[5:8], v21 offset0:91 offset1:92
	s_wait_loadcnt_dscnt 0x201
	v_mul_f32_e32 v15, v9, v18
	v_mul_f32_e32 v16, v10, v18
	;; [unrolled: 1-line block ×3, first 2 shown]
	s_delay_alu instid0(VALU_DEP_3) | instskip(NEXT) | instid1(VALU_DEP_3)
	v_dual_mul_f32 v20, v12, v20 :: v_dual_fmac_f32 v15, v10, v17
	v_fma_f32 v16, v9, v17, -v16
	s_delay_alu instid0(VALU_DEP_3) | instskip(NEXT) | instid1(VALU_DEP_3)
	v_fmac_f32_e32 v18, v12, v19
	v_fma_f32 v17, v11, v19, -v20
	scratch_load_b128 v[9:12], off, off offset:264
	s_wait_loadcnt_dscnt 0x100
	v_mul_f32_e32 v19, v5, v2
	v_mul_f32_e32 v2, v6, v2
	;; [unrolled: 1-line block ×3, first 2 shown]
	s_delay_alu instid0(VALU_DEP_3) | instskip(NEXT) | instid1(VALU_DEP_3)
	v_dual_mul_f32 v4, v8, v4 :: v_dual_fmac_f32 v19, v6, v1
	v_fma_f32 v156, v5, v1, -v2
	s_delay_alu instid0(VALU_DEP_3) | instskip(NEXT) | instid1(VALU_DEP_3)
	v_fmac_f32_e32 v20, v8, v3
	v_fma_f32 v157, v7, v3, -v4
	ds_load_2addr_b64 v[1:4], v21 offset0:93 offset1:94
	ds_load_2addr_b64 v[5:8], v21 offset0:95 offset1:96
	s_wait_loadcnt_dscnt 0x1
	v_mul_f32_e32 v159, v1, v10
	v_mul_f32_e32 v10, v2, v10
	s_delay_alu instid0(VALU_DEP_2) | instskip(NEXT) | instid1(VALU_DEP_2)
	v_dual_mul_f32 v160, v3, v12 :: v_dual_fmac_f32 v159, v2, v9
	v_fma_f32 v161, v1, v9, -v10
	v_mul_f32_e32 v1, v4, v12
	s_delay_alu instid0(VALU_DEP_3) | instskip(NEXT) | instid1(VALU_DEP_2)
	v_fmac_f32_e32 v160, v4, v11
	v_fma_f32 v162, v3, v11, -v1
	s_clause 0x1
	scratch_load_b128 v[1:4], off, off offset:280
	scratch_load_b128 v[9:12], off, off offset:296
	s_wait_loadcnt_dscnt 0x100
	v_mul_f32_e32 v163, v5, v2
	v_dual_mul_f32 v2, v6, v2 :: v_dual_mul_f32 v165, v7, v4
	s_delay_alu instid0(VALU_DEP_2) | instskip(NEXT) | instid1(VALU_DEP_2)
	v_fmac_f32_e32 v163, v6, v1
	v_fma_f32 v164, v5, v1, -v2
	v_mul_f32_e32 v1, v8, v4
	s_delay_alu instid0(VALU_DEP_4) | instskip(NEXT) | instid1(VALU_DEP_2)
	v_fmac_f32_e32 v165, v8, v3
	v_fma_f32 v166, v7, v3, -v1
	ds_load_2addr_b64 v[1:4], v21 offset0:97 offset1:98
	ds_load_2addr_b64 v[5:8], v21 offset0:99 offset1:100
	s_wait_loadcnt_dscnt 0x1
	v_mul_f32_e32 v167, v1, v10
	v_mul_f32_e32 v169, v3, v12
	s_delay_alu instid0(VALU_DEP_2) | instskip(NEXT) | instid1(VALU_DEP_2)
	v_fmac_f32_e32 v167, v2, v9
	v_dual_mul_f32 v2, v2, v10 :: v_dual_fmac_f32 v169, v4, v11
	s_delay_alu instid0(VALU_DEP_1) | instskip(SKIP_1) | instid1(VALU_DEP_1)
	v_fma_f32 v168, v1, v9, -v2
	v_mul_f32_e32 v1, v4, v12
	v_fma_f32 v170, v3, v11, -v1
	s_clause 0x1
	scratch_load_b128 v[1:4], off, off offset:312
	scratch_load_b128 v[9:12], off, off offset:328
	s_wait_loadcnt_dscnt 0x100
	v_mul_f32_e32 v171, v5, v2
	v_dual_mul_f32 v2, v6, v2 :: v_dual_mul_f32 v173, v7, v4
	s_delay_alu instid0(VALU_DEP_2) | instskip(NEXT) | instid1(VALU_DEP_2)
	v_fmac_f32_e32 v171, v6, v1
	v_fma_f32 v172, v5, v1, -v2
	v_mul_f32_e32 v1, v8, v4
	s_delay_alu instid0(VALU_DEP_4) | instskip(NEXT) | instid1(VALU_DEP_2)
	v_fmac_f32_e32 v173, v8, v3
	v_fma_f32 v174, v7, v3, -v1
	ds_load_2addr_b64 v[1:4], v21 offset0:101 offset1:102
	ds_load_2addr_b64 v[5:8], v21 offset0:103 offset1:104
	s_wait_loadcnt_dscnt 0x1
	v_mul_f32_e32 v175, v1, v10
	v_mul_f32_e32 v177, v3, v12
	s_delay_alu instid0(VALU_DEP_2) | instskip(NEXT) | instid1(VALU_DEP_2)
	v_fmac_f32_e32 v175, v2, v9
	v_dual_mul_f32 v2, v2, v10 :: v_dual_fmac_f32 v177, v4, v11
	s_delay_alu instid0(VALU_DEP_1) | instskip(SKIP_1) | instid1(VALU_DEP_1)
	v_fma_f32 v176, v1, v9, -v2
	v_mul_f32_e32 v1, v4, v12
	;; [unrolled: 25-line block ×3, first 2 shown]
	v_fma_f32 v186, v3, v11, -v1
	s_clause 0x1
	scratch_load_b128 v[1:4], off, off offset:376
	scratch_load_b128 v[9:12], off, off offset:392
	s_wait_loadcnt_dscnt 0x100
	v_mul_f32_e32 v187, v5, v2
	v_mul_f32_e32 v2, v6, v2
	s_delay_alu instid0(VALU_DEP_1) | instskip(SKIP_1) | instid1(VALU_DEP_1)
	v_fma_f32 v188, v5, v1, -v2
	v_add_f32_e32 v2, 0, v151
	v_add_f32_e32 v2, v2, v152
	s_delay_alu instid0(VALU_DEP_1) | instskip(NEXT) | instid1(VALU_DEP_1)
	v_add_f32_e32 v2, v2, v24
	v_add_f32_e32 v2, v2, v25
	s_delay_alu instid0(VALU_DEP_1) | instskip(SKIP_1) | instid1(VALU_DEP_2)
	v_add_f32_e32 v2, v2, v32
	v_fmac_f32_e32 v187, v6, v1
	v_dual_add_f32 v2, v2, v158 :: v_dual_mul_f32 v189, v7, v4
	s_delay_alu instid0(VALU_DEP_1) | instskip(NEXT) | instid1(VALU_DEP_1)
	v_dual_add_f32 v2, v2, v154 :: v_dual_mul_f32 v1, v8, v4
	v_add_f32_e32 v2, v2, v155
	s_delay_alu instid0(VALU_DEP_2) | instskip(NEXT) | instid1(VALU_DEP_2)
	v_fma_f32 v190, v7, v3, -v1
	v_dual_add_f32 v1, 0, v22 :: v_dual_add_f32 v2, v2, v15
	s_delay_alu instid0(VALU_DEP_1) | instskip(NEXT) | instid1(VALU_DEP_1)
	v_dual_fmac_f32 v189, v8, v3 :: v_dual_add_f32 v2, v2, v18
	v_add_f32_e32 v2, v2, v19
	s_delay_alu instid0(VALU_DEP_1) | instskip(NEXT) | instid1(VALU_DEP_1)
	v_dual_add_f32 v1, v1, v23 :: v_dual_add_f32 v2, v2, v20
	v_dual_add_f32 v1, v1, v26 :: v_dual_add_f32 v2, v2, v159
	s_delay_alu instid0(VALU_DEP_1) | instskip(NEXT) | instid1(VALU_DEP_2)
	v_add_f32_e32 v1, v1, v27
	v_add_f32_e32 v5, v2, v160
	s_delay_alu instid0(VALU_DEP_2) | instskip(NEXT) | instid1(VALU_DEP_1)
	v_add_f32_e32 v1, v1, v28
	v_add_f32_e32 v1, v1, v29
	s_delay_alu instid0(VALU_DEP_1) | instskip(NEXT) | instid1(VALU_DEP_4)
	v_add_f32_e32 v1, v1, v13
	v_add_f32_e32 v13, v5, v163
	s_delay_alu instid0(VALU_DEP_1) | instskip(NEXT) | instid1(VALU_DEP_1)
	v_add_f32_e32 v13, v13, v165
	v_add_f32_e32 v13, v13, v167
	s_delay_alu instid0(VALU_DEP_1) | instskip(NEXT) | instid1(VALU_DEP_1)
	v_add_f32_e32 v18, v13, v169
	v_dual_add_f32 v18, v18, v171 :: v_dual_add_f32 v1, v1, v14
	s_delay_alu instid0(VALU_DEP_1) | instskip(NEXT) | instid1(VALU_DEP_1)
	v_dual_add_f32 v18, v18, v173 :: v_dual_add_f32 v1, v1, v16
	v_dual_add_f32 v22, v18, v175 :: v_dual_add_f32 v1, v1, v17
	s_delay_alu instid0(VALU_DEP_1) | instskip(NEXT) | instid1(VALU_DEP_1)
	v_dual_add_f32 v22, v22, v177 :: v_dual_add_f32 v1, v1, v156
	v_add_f32_e32 v1, v1, v157
	s_delay_alu instid0(VALU_DEP_1) | instskip(NEXT) | instid1(VALU_DEP_1)
	v_add_f32_e32 v1, v1, v161
	v_add_f32_e32 v1, v1, v162
	s_delay_alu instid0(VALU_DEP_1)
	v_add_f32_e32 v6, v1, v164
	ds_load_2addr_b64 v[1:4], v21 offset0:109 offset1:110
	v_add_f32_e32 v22, v22, v179
	v_add_f32_e32 v14, v6, v166
	scratch_load_b128 v[5:8], off, off offset:408
	v_add_f32_e32 v14, v14, v168
	s_delay_alu instid0(VALU_DEP_1)
	v_add_f32_e32 v17, v14, v170
	ds_load_2addr_b64 v[13:16], v21 offset0:111 offset1:112
	s_wait_loadcnt_dscnt 0x101
	v_mul_f32_e32 v25, v1, v10
	v_mul_f32_e32 v10, v2, v10
	v_mul_f32_e32 v26, v3, v12
	s_delay_alu instid0(VALU_DEP_3) | instskip(NEXT) | instid1(VALU_DEP_3)
	v_dual_mul_f32 v12, v4, v12 :: v_dual_fmac_f32 v25, v2, v9
	v_fma_f32 v27, v1, v9, -v10
	s_delay_alu instid0(VALU_DEP_3) | instskip(NEXT) | instid1(VALU_DEP_3)
	v_fmac_f32_e32 v26, v4, v11
	v_fma_f32 v28, v3, v11, -v12
	s_clause 0x1
	scratch_load_b128 v[1:4], off, off offset:424
	scratch_load_b128 v[9:12], off, off offset:440
	s_wait_loadcnt_dscnt 0x200
	v_dual_mul_f32 v32, v15, v8 :: v_dual_mul_f32 v29, v13, v6
	v_mul_f32_e32 v6, v14, v6
	v_mul_f32_e32 v8, v16, v8
	s_delay_alu instid0(VALU_DEP_3) | instskip(NEXT) | instid1(VALU_DEP_4)
	v_dual_fmac_f32 v32, v16, v7 :: v_dual_add_f32 v17, v17, v172
	v_fmac_f32_e32 v29, v14, v5
	s_delay_alu instid0(VALU_DEP_4) | instskip(NEXT) | instid1(VALU_DEP_4)
	v_fma_f32 v151, v13, v5, -v6
	v_fma_f32 v152, v15, v7, -v8
	ds_load_2addr_b64 v[5:8], v21 offset0:113 offset1:114
	v_add_f32_e32 v17, v17, v174
	v_add_f32_e32 v13, v22, v181
	s_delay_alu instid0(VALU_DEP_2) | instskip(NEXT) | instid1(VALU_DEP_1)
	v_add_f32_e32 v17, v17, v176
	v_add_f32_e32 v23, v17, v178
	scratch_load_b128 v[17:20], off, off offset:456
	v_add_f32_e32 v23, v23, v180
	s_delay_alu instid0(VALU_DEP_1) | instskip(NEXT) | instid1(VALU_DEP_1)
	v_add_f32_e32 v23, v23, v182
	v_dual_add_f32 v22, v23, v184 :: v_dual_add_f32 v23, v13, v183
	ds_load_2addr_b64 v[13:16], v21 offset0:115 offset1:116
	s_wait_loadcnt_dscnt 0x201
	v_mul_f32_e32 v156, v5, v2
	v_mul_f32_e32 v2, v6, v2
	v_dual_add_f32 v154, v22, v186 :: v_dual_add_f32 v155, v23, v185
	ds_load_2addr_b64 v[21:24], v21 offset0:117 offset1:118
	v_fmac_f32_e32 v156, v6, v1
	v_fma_f32 v2, v5, v1, -v2
	v_add_f32_e32 v154, v154, v188
	s_delay_alu instid0(VALU_DEP_1) | instskip(NEXT) | instid1(VALU_DEP_1)
	v_add_f32_e32 v154, v154, v190
	v_dual_add_f32 v27, v154, v27 :: v_dual_mul_f32 v154, v7, v4
	v_mul_f32_e32 v4, v8, v4
	s_wait_loadcnt_dscnt 0x101
	v_dual_mul_f32 v6, v14, v10 :: v_dual_add_f32 v155, v155, v187
	s_delay_alu instid0(VALU_DEP_3) | instskip(NEXT) | instid1(VALU_DEP_3)
	v_dual_add_f32 v27, v27, v28 :: v_dual_fmac_f32 v154, v8, v3
	v_fma_f32 v3, v7, v3, -v4
	s_delay_alu instid0(VALU_DEP_3) | instskip(NEXT) | instid1(VALU_DEP_1)
	v_dual_mul_f32 v4, v16, v12 :: v_dual_add_f32 v155, v155, v189
	v_fma_f32 v4, v15, v11, -v4
	s_delay_alu instid0(VALU_DEP_2) | instskip(SKIP_2) | instid1(VALU_DEP_1)
	v_add_f32_e32 v25, v155, v25
	s_wait_loadcnt_dscnt 0x0
	v_mul_f32_e32 v28, v23, v20
	v_dual_mul_f32 v157, v15, v12 :: v_dual_fmac_f32 v28, v24, v19
	s_delay_alu instid0(VALU_DEP_3) | instskip(SKIP_2) | instid1(VALU_DEP_4)
	v_add_f32_e32 v25, v25, v26
	v_mul_f32_e32 v26, v21, v18
	v_mul_f32_e32 v155, v13, v10
	v_fmac_f32_e32 v157, v16, v11
	s_delay_alu instid0(VALU_DEP_4) | instskip(NEXT) | instid1(VALU_DEP_4)
	v_add_f32_e32 v25, v25, v29
	v_dual_fmac_f32 v26, v22, v17 :: v_dual_add_f32 v27, v27, v151
	s_delay_alu instid0(VALU_DEP_4) | instskip(NEXT) | instid1(VALU_DEP_3)
	v_fmac_f32_e32 v155, v14, v9
	v_add_f32_e32 v5, v25, v32
	s_delay_alu instid0(VALU_DEP_3) | instskip(NEXT) | instid1(VALU_DEP_1)
	v_add_f32_e32 v1, v27, v152
	v_add_f32_e32 v1, v1, v2
	s_delay_alu instid0(VALU_DEP_3) | instskip(SKIP_1) | instid1(VALU_DEP_2)
	v_add_f32_e32 v2, v5, v156
	v_fma_f32 v5, v13, v9, -v6
	v_dual_add_f32 v1, v1, v3 :: v_dual_add_f32 v2, v2, v154
	v_mul_f32_e32 v3, v22, v18
	s_delay_alu instid0(VALU_DEP_2) | instskip(SKIP_1) | instid1(VALU_DEP_3)
	v_dual_add_f32 v1, v1, v5 :: v_dual_add_f32 v2, v2, v155
	v_mul_f32_e32 v5, v24, v20
	v_fma_f32 v3, v21, v17, -v3
	s_delay_alu instid0(VALU_DEP_3) | instskip(NEXT) | instid1(VALU_DEP_3)
	v_dual_add_f32 v1, v1, v4 :: v_dual_add_f32 v2, v2, v157
	v_fma_f32 v4, v23, v19, -v5
	s_delay_alu instid0(VALU_DEP_2) | instskip(NEXT) | instid1(VALU_DEP_1)
	v_dual_add_f32 v1, v1, v3 :: v_dual_add_f32 v2, v2, v26
	v_add_f32_e32 v1, v1, v4
	s_delay_alu instid0(VALU_DEP_2) | instskip(NEXT) | instid1(VALU_DEP_1)
	v_add_f32_e32 v2, v2, v28
	v_dual_sub_f32 v1, v30, v1 :: v_dual_sub_f32 v2, v31, v2
	scratch_store_b64 off, v[1:2], off offset:160
	v_cmpx_lt_u32_e32 19, v0
	s_cbranch_execz .LBB58_329
; %bb.328:
	scratch_load_b64 v[1:2], off, off offset:152
	v_mov_b32_e32 v3, 0
	s_delay_alu instid0(VALU_DEP_1)
	v_mov_b32_e32 v4, v3
	scratch_store_b64 off, v[3:4], off offset:152
	s_wait_loadcnt 0x0
	ds_store_b64 v153, v[1:2]
.LBB58_329:
	s_wait_alu 0xfffe
	s_or_b32 exec_lo, exec_lo, s0
	s_wait_storecnt_dscnt 0x0
	s_barrier_signal -1
	s_barrier_wait -1
	global_inv scope:SCOPE_SE
	s_clause 0x4
	scratch_load_b128 v[5:8], off, off offset:160
	scratch_load_b128 v[1:4], off, off offset:176
	;; [unrolled: 1-line block ×5, first 2 shown]
	v_mov_b32_e32 v21, 0
	ds_load_b128 v[22:25], v21 offset:640
	ds_load_b128 v[26:29], v21 offset:656
	;; [unrolled: 1-line block ×3, first 2 shown]
	scratch_load_b64 v[30:31], off, off offset:152
	s_mov_b32 s0, exec_lo
	s_wait_loadcnt_dscnt 0x502
	v_mul_f32_e32 v32, v23, v6
	v_dual_mul_f32 v151, v22, v6 :: v_dual_mul_f32 v152, v24, v8
	v_mul_f32_e32 v6, v25, v8
	s_wait_loadcnt_dscnt 0x300
	v_mul_f32_e32 v158, v156, v12
	v_fma_f32 v22, v22, v5, -v32
	v_dual_fmac_f32 v151, v23, v5 :: v_dual_fmac_f32 v152, v25, v7
	v_mul_f32_e32 v25, v28, v4
	v_fma_f32 v23, v24, v7, -v6
	ds_load_b128 v[5:8], v21 offset:688
	v_mul_f32_e32 v24, v26, v2
	v_mul_f32_e32 v4, v29, v4
	;; [unrolled: 1-line block ×5, first 2 shown]
	v_dual_mul_f32 v2, v27, v2 :: v_dual_fmac_f32 v25, v29, v3
	v_fmac_f32_e32 v24, v27, v1
	v_fma_f32 v27, v28, v3, -v4
	v_fmac_f32_e32 v32, v155, v9
	v_fma_f32 v28, v154, v9, -v10
	v_fmac_f32_e32 v158, v157, v11
	v_fma_f32 v29, v156, v11, -v12
	ds_load_b128 v[9:12], v21 offset:704
	s_wait_loadcnt_dscnt 0x201
	v_dual_mul_f32 v155, v7, v16 :: v_dual_mul_f32 v154, v5, v14
	v_mul_f32_e32 v14, v6, v14
	v_mul_f32_e32 v16, v8, v16
	s_delay_alu instid0(VALU_DEP_3)
	v_fmac_f32_e32 v155, v8, v15
	v_fma_f32 v26, v26, v1, -v2
	scratch_load_b128 v[1:4], off, off offset:240
	v_fmac_f32_e32 v154, v6, v13
	v_fma_f32 v13, v5, v13, -v14
	v_fma_f32 v14, v7, v15, -v16
	ds_load_b128 v[5:8], v21 offset:720
	s_wait_loadcnt_dscnt 0x201
	v_mul_f32_e32 v15, v9, v18
	v_mul_f32_e32 v16, v10, v18
	;; [unrolled: 1-line block ×3, first 2 shown]
	s_delay_alu instid0(VALU_DEP_3) | instskip(NEXT) | instid1(VALU_DEP_3)
	v_dual_mul_f32 v20, v12, v20 :: v_dual_fmac_f32 v15, v10, v17
	v_fma_f32 v16, v9, v17, -v16
	s_delay_alu instid0(VALU_DEP_3) | instskip(NEXT) | instid1(VALU_DEP_3)
	v_fmac_f32_e32 v18, v12, v19
	v_fma_f32 v17, v11, v19, -v20
	scratch_load_b128 v[9:12], off, off offset:256
	s_wait_loadcnt_dscnt 0x100
	v_mul_f32_e32 v19, v5, v2
	v_mul_f32_e32 v2, v6, v2
	;; [unrolled: 1-line block ×3, first 2 shown]
	s_delay_alu instid0(VALU_DEP_3) | instskip(NEXT) | instid1(VALU_DEP_3)
	v_dual_mul_f32 v4, v8, v4 :: v_dual_fmac_f32 v19, v6, v1
	v_fma_f32 v156, v5, v1, -v2
	s_delay_alu instid0(VALU_DEP_3) | instskip(NEXT) | instid1(VALU_DEP_3)
	v_fmac_f32_e32 v20, v8, v3
	v_fma_f32 v157, v7, v3, -v4
	ds_load_b128 v[1:4], v21 offset:736
	ds_load_b128 v[5:8], v21 offset:752
	s_wait_loadcnt_dscnt 0x1
	v_mul_f32_e32 v159, v1, v10
	v_mul_f32_e32 v10, v2, v10
	s_delay_alu instid0(VALU_DEP_2) | instskip(NEXT) | instid1(VALU_DEP_2)
	v_dual_mul_f32 v160, v3, v12 :: v_dual_fmac_f32 v159, v2, v9
	v_fma_f32 v161, v1, v9, -v10
	v_mul_f32_e32 v1, v4, v12
	s_delay_alu instid0(VALU_DEP_3) | instskip(NEXT) | instid1(VALU_DEP_2)
	v_fmac_f32_e32 v160, v4, v11
	v_fma_f32 v162, v3, v11, -v1
	s_clause 0x1
	scratch_load_b128 v[1:4], off, off offset:272
	scratch_load_b128 v[9:12], off, off offset:288
	s_wait_loadcnt_dscnt 0x100
	v_mul_f32_e32 v163, v5, v2
	v_dual_mul_f32 v2, v6, v2 :: v_dual_mul_f32 v165, v7, v4
	s_delay_alu instid0(VALU_DEP_2) | instskip(NEXT) | instid1(VALU_DEP_2)
	v_fmac_f32_e32 v163, v6, v1
	v_fma_f32 v164, v5, v1, -v2
	v_mul_f32_e32 v1, v8, v4
	s_delay_alu instid0(VALU_DEP_4) | instskip(NEXT) | instid1(VALU_DEP_2)
	v_fmac_f32_e32 v165, v8, v3
	v_fma_f32 v166, v7, v3, -v1
	ds_load_b128 v[1:4], v21 offset:768
	ds_load_b128 v[5:8], v21 offset:784
	s_wait_loadcnt_dscnt 0x1
	v_mul_f32_e32 v167, v1, v10
	v_mul_f32_e32 v169, v3, v12
	s_delay_alu instid0(VALU_DEP_2) | instskip(NEXT) | instid1(VALU_DEP_2)
	v_fmac_f32_e32 v167, v2, v9
	v_dual_mul_f32 v2, v2, v10 :: v_dual_fmac_f32 v169, v4, v11
	s_delay_alu instid0(VALU_DEP_1) | instskip(SKIP_1) | instid1(VALU_DEP_1)
	v_fma_f32 v168, v1, v9, -v2
	v_mul_f32_e32 v1, v4, v12
	v_fma_f32 v170, v3, v11, -v1
	s_clause 0x1
	scratch_load_b128 v[1:4], off, off offset:304
	scratch_load_b128 v[9:12], off, off offset:320
	s_wait_loadcnt_dscnt 0x100
	v_mul_f32_e32 v171, v5, v2
	v_dual_mul_f32 v2, v6, v2 :: v_dual_mul_f32 v173, v7, v4
	s_delay_alu instid0(VALU_DEP_2) | instskip(NEXT) | instid1(VALU_DEP_2)
	v_fmac_f32_e32 v171, v6, v1
	v_fma_f32 v172, v5, v1, -v2
	v_mul_f32_e32 v1, v8, v4
	s_delay_alu instid0(VALU_DEP_4) | instskip(NEXT) | instid1(VALU_DEP_2)
	v_fmac_f32_e32 v173, v8, v3
	v_fma_f32 v174, v7, v3, -v1
	ds_load_b128 v[1:4], v21 offset:800
	ds_load_b128 v[5:8], v21 offset:816
	s_wait_loadcnt_dscnt 0x1
	v_mul_f32_e32 v175, v1, v10
	v_mul_f32_e32 v177, v3, v12
	s_delay_alu instid0(VALU_DEP_2) | instskip(NEXT) | instid1(VALU_DEP_2)
	v_fmac_f32_e32 v175, v2, v9
	v_dual_mul_f32 v2, v2, v10 :: v_dual_fmac_f32 v177, v4, v11
	s_delay_alu instid0(VALU_DEP_1) | instskip(SKIP_1) | instid1(VALU_DEP_1)
	v_fma_f32 v176, v1, v9, -v2
	v_mul_f32_e32 v1, v4, v12
	;; [unrolled: 25-line block ×3, first 2 shown]
	v_fma_f32 v186, v3, v11, -v1
	s_clause 0x1
	scratch_load_b128 v[1:4], off, off offset:368
	scratch_load_b128 v[9:12], off, off offset:384
	s_wait_loadcnt_dscnt 0x100
	v_mul_f32_e32 v187, v5, v2
	v_mul_f32_e32 v2, v6, v2
	s_delay_alu instid0(VALU_DEP_1) | instskip(SKIP_1) | instid1(VALU_DEP_1)
	v_fma_f32 v188, v5, v1, -v2
	v_add_f32_e32 v2, 0, v151
	v_add_f32_e32 v2, v2, v152
	s_delay_alu instid0(VALU_DEP_1) | instskip(NEXT) | instid1(VALU_DEP_1)
	v_add_f32_e32 v2, v2, v24
	v_add_f32_e32 v2, v2, v25
	s_delay_alu instid0(VALU_DEP_1) | instskip(NEXT) | instid1(VALU_DEP_1)
	v_add_f32_e32 v2, v2, v32
	v_dual_add_f32 v2, v2, v158 :: v_dual_mul_f32 v189, v7, v4
	s_delay_alu instid0(VALU_DEP_1) | instskip(NEXT) | instid1(VALU_DEP_1)
	v_add_f32_e32 v2, v2, v154
	v_add_f32_e32 v2, v2, v155
	v_fmac_f32_e32 v187, v6, v1
	s_delay_alu instid0(VALU_DEP_2) | instskip(SKIP_1) | instid1(VALU_DEP_2)
	v_dual_mul_f32 v1, v8, v4 :: v_dual_add_f32 v2, v2, v15
	v_fmac_f32_e32 v189, v8, v3
	v_fma_f32 v190, v7, v3, -v1
	s_delay_alu instid0(VALU_DEP_3) | instskip(NEXT) | instid1(VALU_DEP_1)
	v_add_f32_e32 v2, v2, v18
	v_dual_add_f32 v1, 0, v22 :: v_dual_add_f32 v2, v2, v19
	s_delay_alu instid0(VALU_DEP_1) | instskip(NEXT) | instid1(VALU_DEP_1)
	v_dual_add_f32 v1, v1, v23 :: v_dual_add_f32 v2, v2, v20
	v_dual_add_f32 v1, v1, v26 :: v_dual_add_f32 v2, v2, v159
	s_delay_alu instid0(VALU_DEP_1) | instskip(SKIP_3) | instid1(VALU_DEP_1)
	v_add_f32_e32 v1, v1, v27
	scratch_load_b64 v[26:27], off, off offset:464
	v_add_f32_e32 v5, v2, v160
	v_add_f32_e32 v1, v1, v28
	;; [unrolled: 1-line block ×3, first 2 shown]
	s_delay_alu instid0(VALU_DEP_1) | instskip(NEXT) | instid1(VALU_DEP_4)
	v_add_f32_e32 v1, v1, v13
	v_add_f32_e32 v13, v5, v163
	s_delay_alu instid0(VALU_DEP_1) | instskip(NEXT) | instid1(VALU_DEP_1)
	v_add_f32_e32 v13, v13, v165
	v_add_f32_e32 v13, v13, v167
	s_delay_alu instid0(VALU_DEP_1) | instskip(NEXT) | instid1(VALU_DEP_1)
	v_add_f32_e32 v18, v13, v169
	v_dual_add_f32 v18, v18, v171 :: v_dual_add_f32 v1, v1, v14
	s_delay_alu instid0(VALU_DEP_1) | instskip(NEXT) | instid1(VALU_DEP_1)
	v_dual_add_f32 v18, v18, v173 :: v_dual_add_f32 v1, v1, v16
	v_dual_add_f32 v22, v18, v175 :: v_dual_add_f32 v1, v1, v17
	s_delay_alu instid0(VALU_DEP_1) | instskip(NEXT) | instid1(VALU_DEP_1)
	v_dual_add_f32 v22, v22, v177 :: v_dual_add_f32 v1, v1, v156
	v_add_f32_e32 v1, v1, v157
	s_delay_alu instid0(VALU_DEP_1) | instskip(NEXT) | instid1(VALU_DEP_1)
	v_add_f32_e32 v1, v1, v161
	v_add_f32_e32 v1, v1, v162
	s_delay_alu instid0(VALU_DEP_1)
	v_add_f32_e32 v6, v1, v164
	scratch_load_b128 v[1:4], off, off offset:400
	v_add_f32_e32 v22, v22, v179
	v_add_f32_e32 v14, v6, v166
	ds_load_b128 v[5:8], v21 offset:864
	v_add_f32_e32 v22, v22, v181
	v_add_f32_e32 v14, v14, v168
	s_delay_alu instid0(VALU_DEP_1)
	v_add_f32_e32 v17, v14, v170
	ds_load_b128 v[13:16], v21 offset:880
	s_wait_loadcnt_dscnt 0x201
	v_mul_f32_e32 v32, v5, v10
	v_dual_mul_f32 v10, v6, v10 :: v_dual_mul_f32 v151, v7, v12
	v_mul_f32_e32 v12, v8, v12
	s_delay_alu instid0(VALU_DEP_3) | instskip(NEXT) | instid1(VALU_DEP_3)
	v_fmac_f32_e32 v32, v6, v9
	v_fma_f32 v152, v5, v9, -v10
	s_delay_alu instid0(VALU_DEP_4) | instskip(NEXT) | instid1(VALU_DEP_4)
	v_fmac_f32_e32 v151, v8, v11
	v_fma_f32 v154, v7, v11, -v12
	s_clause 0x1
	scratch_load_b128 v[5:8], off, off offset:416
	scratch_load_b128 v[9:12], off, off offset:432
	s_wait_loadcnt_dscnt 0x200
	v_mul_f32_e32 v155, v13, v2
	v_mul_f32_e32 v2, v14, v2
	;; [unrolled: 1-line block ×4, first 2 shown]
	s_delay_alu instid0(VALU_DEP_3) | instskip(NEXT) | instid1(VALU_DEP_3)
	v_fma_f32 v157, v13, v1, -v2
	v_fmac_f32_e32 v156, v16, v3
	s_delay_alu instid0(VALU_DEP_3) | instskip(SKIP_2) | instid1(VALU_DEP_2)
	v_fma_f32 v158, v15, v3, -v4
	v_add_f32_e32 v13, v22, v183
	v_add_f32_e32 v17, v17, v172
	v_add_f32_e32 v22, v13, v185
	s_delay_alu instid0(VALU_DEP_2) | instskip(NEXT) | instid1(VALU_DEP_2)
	v_add_f32_e32 v17, v17, v174
	v_add_f32_e32 v29, v22, v187
	s_delay_alu instid0(VALU_DEP_1) | instskip(NEXT) | instid1(VALU_DEP_1)
	v_add_f32_e32 v160, v29, v189
	v_dual_add_f32 v32, v160, v32 :: v_dual_fmac_f32 v155, v14, v1
	ds_load_b128 v[1:4], v21 offset:896
	v_dual_add_f32 v17, v17, v176 :: v_dual_add_f32 v32, v32, v151
	s_delay_alu instid0(VALU_DEP_1) | instskip(SKIP_2) | instid1(VALU_DEP_1)
	v_add_f32_e32 v23, v17, v178
	scratch_load_b128 v[17:20], off, off offset:448
	v_add_f32_e32 v23, v23, v180
	v_add_f32_e32 v23, v23, v182
	s_delay_alu instid0(VALU_DEP_1) | instskip(NEXT) | instid1(VALU_DEP_1)
	v_add_f32_e32 v23, v23, v184
	v_add_f32_e32 v14, v23, v186
	ds_load_b128 v[22:25], v21 offset:928
	v_add_f32_e32 v28, v14, v188
	ds_load_b128 v[13:16], v21 offset:912
	v_add_f32_e32 v159, v28, v190
	ds_load_b64 v[28:29], v21 offset:944
	s_wait_loadcnt_dscnt 0x203
	v_mul_f32_e32 v151, v3, v8
	v_mul_f32_e32 v8, v4, v8
	v_add_f32_e32 v152, v159, v152
	s_delay_alu instid0(VALU_DEP_1) | instskip(NEXT) | instid1(VALU_DEP_1)
	v_add_f32_e32 v152, v152, v154
	v_add_f32_e32 v152, v152, v157
	s_wait_loadcnt_dscnt 0x101
	v_mul_f32_e32 v154, v13, v10
	v_dual_mul_f32 v159, v1, v6 :: v_dual_add_f32 v32, v32, v155
	v_mul_f32_e32 v6, v2, v6
	v_add_f32_e32 v152, v152, v158
	s_delay_alu instid0(VALU_DEP_4) | instskip(NEXT) | instid1(VALU_DEP_4)
	v_fmac_f32_e32 v154, v14, v9
	v_add_f32_e32 v32, v32, v156
	s_wait_dscnt 0x0
	v_mul_f32_e32 v156, v28, v27
	v_fma_f32 v1, v1, v5, -v6
	v_fmac_f32_e32 v151, v4, v7
	v_fmac_f32_e32 v159, v2, v5
	v_mul_f32_e32 v155, v15, v12
	v_fma_f32 v2, v3, v7, -v8
	v_dual_add_f32 v1, v152, v1 :: v_dual_fmac_f32 v156, v29, v26
	s_delay_alu instid0(VALU_DEP_4) | instskip(NEXT) | instid1(VALU_DEP_4)
	v_add_f32_e32 v4, v32, v159
	v_fmac_f32_e32 v155, v16, v11
	s_wait_loadcnt 0x0
	v_dual_mul_f32 v157, v22, v18 :: v_dual_mul_f32 v158, v24, v20
	v_mul_f32_e32 v3, v14, v10
	s_delay_alu instid0(VALU_DEP_2) | instskip(SKIP_1) | instid1(VALU_DEP_4)
	v_fmac_f32_e32 v157, v23, v17
	v_dual_add_f32 v1, v1, v2 :: v_dual_add_f32 v2, v4, v151
	v_fmac_f32_e32 v158, v25, v19
	s_delay_alu instid0(VALU_DEP_4) | instskip(SKIP_1) | instid1(VALU_DEP_4)
	v_fma_f32 v3, v13, v9, -v3
	v_mul_f32_e32 v4, v23, v18
	v_dual_add_f32 v2, v2, v154 :: v_dual_mul_f32 v5, v16, v12
	s_delay_alu instid0(VALU_DEP_2) | instskip(NEXT) | instid1(VALU_DEP_2)
	v_fma_f32 v4, v22, v17, -v4
	v_add_f32_e32 v2, v2, v155
	s_delay_alu instid0(VALU_DEP_3) | instskip(NEXT) | instid1(VALU_DEP_2)
	v_fma_f32 v5, v15, v11, -v5
	v_dual_add_f32 v2, v2, v157 :: v_dual_add_f32 v1, v1, v3
	s_delay_alu instid0(VALU_DEP_1) | instskip(NEXT) | instid1(VALU_DEP_1)
	v_dual_add_f32 v2, v2, v158 :: v_dual_add_f32 v1, v1, v5
	v_dual_mul_f32 v5, v29, v27 :: v_dual_add_f32 v2, v2, v156
	v_mul_f32_e32 v3, v25, v20
	s_delay_alu instid0(VALU_DEP_3) | instskip(NEXT) | instid1(VALU_DEP_3)
	v_add_f32_e32 v1, v1, v4
	v_fma_f32 v4, v28, v26, -v5
	s_delay_alu instid0(VALU_DEP_4) | instskip(NEXT) | instid1(VALU_DEP_4)
	v_sub_f32_e32 v2, v31, v2
	v_fma_f32 v3, v24, v19, -v3
	s_delay_alu instid0(VALU_DEP_1) | instskip(NEXT) | instid1(VALU_DEP_1)
	v_add_f32_e32 v1, v1, v3
	v_add_f32_e32 v1, v1, v4
	s_delay_alu instid0(VALU_DEP_1)
	v_sub_f32_e32 v1, v30, v1
	scratch_store_b64 off, v[1:2], off offset:152
	v_cmpx_lt_u32_e32 18, v0
	s_cbranch_execz .LBB58_331
; %bb.330:
	scratch_load_b64 v[1:2], off, off offset:144
	v_mov_b32_e32 v22, v21
	scratch_store_b64 off, v[21:22], off offset:144
	s_wait_loadcnt 0x0
	ds_store_b64 v153, v[1:2]
.LBB58_331:
	s_wait_alu 0xfffe
	s_or_b32 exec_lo, exec_lo, s0
	s_wait_storecnt_dscnt 0x0
	s_barrier_signal -1
	s_barrier_wait -1
	global_inv scope:SCOPE_SE
	s_clause 0x4
	scratch_load_b128 v[5:8], off, off offset:152
	scratch_load_b128 v[1:4], off, off offset:168
	;; [unrolled: 1-line block ×5, first 2 shown]
	ds_load_2addr_b64 v[22:25], v21 offset0:79 offset1:80
	ds_load_2addr_b64 v[26:29], v21 offset0:81 offset1:82
	;; [unrolled: 1-line block ×3, first 2 shown]
	scratch_load_b64 v[30:31], off, off offset:144
	s_mov_b32 s0, exec_lo
	s_wait_loadcnt_dscnt 0x502
	v_mul_f32_e32 v32, v23, v6
	v_dual_mul_f32 v151, v22, v6 :: v_dual_mul_f32 v152, v24, v8
	v_mul_f32_e32 v6, v25, v8
	s_wait_loadcnt_dscnt 0x300
	v_mul_f32_e32 v158, v156, v12
	s_delay_alu instid0(VALU_DEP_3)
	v_dual_mul_f32 v12, v157, v12 :: v_dual_fmac_f32 v151, v23, v5
	v_fmac_f32_e32 v152, v25, v7
	v_fma_f32 v23, v24, v7, -v6
	v_mul_f32_e32 v25, v28, v4
	v_fma_f32 v22, v22, v5, -v32
	ds_load_2addr_b64 v[5:8], v21 offset0:85 offset1:86
	v_mul_f32_e32 v24, v26, v2
	v_mul_f32_e32 v4, v29, v4
	;; [unrolled: 1-line block ×4, first 2 shown]
	v_dual_mul_f32 v2, v27, v2 :: v_dual_fmac_f32 v25, v29, v3
	v_fmac_f32_e32 v24, v27, v1
	v_fma_f32 v27, v28, v3, -v4
	v_fmac_f32_e32 v32, v155, v9
	v_fma_f32 v28, v154, v9, -v10
	;; [unrolled: 2-line block ×3, first 2 shown]
	ds_load_2addr_b64 v[9:12], v21 offset0:87 offset1:88
	s_wait_loadcnt_dscnt 0x201
	v_dual_mul_f32 v155, v7, v16 :: v_dual_mul_f32 v154, v5, v14
	v_mul_f32_e32 v14, v6, v14
	v_mul_f32_e32 v16, v8, v16
	s_delay_alu instid0(VALU_DEP_3)
	v_fmac_f32_e32 v155, v8, v15
	v_fma_f32 v26, v26, v1, -v2
	scratch_load_b128 v[1:4], off, off offset:232
	v_fmac_f32_e32 v154, v6, v13
	v_fma_f32 v13, v5, v13, -v14
	v_fma_f32 v14, v7, v15, -v16
	ds_load_2addr_b64 v[5:8], v21 offset0:89 offset1:90
	s_wait_loadcnt_dscnt 0x201
	v_mul_f32_e32 v15, v9, v18
	v_mul_f32_e32 v16, v10, v18
	;; [unrolled: 1-line block ×3, first 2 shown]
	s_delay_alu instid0(VALU_DEP_3) | instskip(NEXT) | instid1(VALU_DEP_3)
	v_dual_mul_f32 v20, v12, v20 :: v_dual_fmac_f32 v15, v10, v17
	v_fma_f32 v16, v9, v17, -v16
	s_delay_alu instid0(VALU_DEP_3) | instskip(NEXT) | instid1(VALU_DEP_3)
	v_fmac_f32_e32 v18, v12, v19
	v_fma_f32 v17, v11, v19, -v20
	scratch_load_b128 v[9:12], off, off offset:248
	s_wait_loadcnt_dscnt 0x100
	v_mul_f32_e32 v19, v5, v2
	v_mul_f32_e32 v2, v6, v2
	;; [unrolled: 1-line block ×3, first 2 shown]
	s_delay_alu instid0(VALU_DEP_3) | instskip(NEXT) | instid1(VALU_DEP_3)
	v_dual_mul_f32 v4, v8, v4 :: v_dual_fmac_f32 v19, v6, v1
	v_fma_f32 v156, v5, v1, -v2
	s_delay_alu instid0(VALU_DEP_3) | instskip(NEXT) | instid1(VALU_DEP_3)
	v_fmac_f32_e32 v20, v8, v3
	v_fma_f32 v157, v7, v3, -v4
	ds_load_2addr_b64 v[1:4], v21 offset0:91 offset1:92
	ds_load_2addr_b64 v[5:8], v21 offset0:93 offset1:94
	s_wait_loadcnt_dscnt 0x1
	v_mul_f32_e32 v159, v1, v10
	v_mul_f32_e32 v10, v2, v10
	s_delay_alu instid0(VALU_DEP_2) | instskip(NEXT) | instid1(VALU_DEP_2)
	v_dual_mul_f32 v160, v3, v12 :: v_dual_fmac_f32 v159, v2, v9
	v_fma_f32 v161, v1, v9, -v10
	v_mul_f32_e32 v1, v4, v12
	s_delay_alu instid0(VALU_DEP_3) | instskip(NEXT) | instid1(VALU_DEP_2)
	v_fmac_f32_e32 v160, v4, v11
	v_fma_f32 v162, v3, v11, -v1
	s_clause 0x1
	scratch_load_b128 v[1:4], off, off offset:264
	scratch_load_b128 v[9:12], off, off offset:280
	s_wait_loadcnt_dscnt 0x100
	v_mul_f32_e32 v163, v5, v2
	v_dual_mul_f32 v2, v6, v2 :: v_dual_mul_f32 v165, v7, v4
	s_delay_alu instid0(VALU_DEP_2) | instskip(NEXT) | instid1(VALU_DEP_2)
	v_fmac_f32_e32 v163, v6, v1
	v_fma_f32 v164, v5, v1, -v2
	v_mul_f32_e32 v1, v8, v4
	s_delay_alu instid0(VALU_DEP_4) | instskip(NEXT) | instid1(VALU_DEP_2)
	v_fmac_f32_e32 v165, v8, v3
	v_fma_f32 v166, v7, v3, -v1
	ds_load_2addr_b64 v[1:4], v21 offset0:95 offset1:96
	ds_load_2addr_b64 v[5:8], v21 offset0:97 offset1:98
	s_wait_loadcnt_dscnt 0x1
	v_mul_f32_e32 v167, v1, v10
	v_mul_f32_e32 v169, v3, v12
	s_delay_alu instid0(VALU_DEP_2) | instskip(NEXT) | instid1(VALU_DEP_2)
	v_fmac_f32_e32 v167, v2, v9
	v_dual_mul_f32 v2, v2, v10 :: v_dual_fmac_f32 v169, v4, v11
	s_delay_alu instid0(VALU_DEP_1) | instskip(SKIP_1) | instid1(VALU_DEP_1)
	v_fma_f32 v168, v1, v9, -v2
	v_mul_f32_e32 v1, v4, v12
	v_fma_f32 v170, v3, v11, -v1
	s_clause 0x1
	scratch_load_b128 v[1:4], off, off offset:296
	scratch_load_b128 v[9:12], off, off offset:312
	s_wait_loadcnt_dscnt 0x100
	v_mul_f32_e32 v171, v5, v2
	v_dual_mul_f32 v2, v6, v2 :: v_dual_mul_f32 v173, v7, v4
	s_delay_alu instid0(VALU_DEP_2) | instskip(NEXT) | instid1(VALU_DEP_2)
	v_fmac_f32_e32 v171, v6, v1
	v_fma_f32 v172, v5, v1, -v2
	v_mul_f32_e32 v1, v8, v4
	s_delay_alu instid0(VALU_DEP_4) | instskip(NEXT) | instid1(VALU_DEP_2)
	v_fmac_f32_e32 v173, v8, v3
	v_fma_f32 v174, v7, v3, -v1
	ds_load_2addr_b64 v[1:4], v21 offset0:99 offset1:100
	ds_load_2addr_b64 v[5:8], v21 offset0:101 offset1:102
	s_wait_loadcnt_dscnt 0x1
	v_mul_f32_e32 v175, v1, v10
	v_mul_f32_e32 v177, v3, v12
	s_delay_alu instid0(VALU_DEP_2) | instskip(NEXT) | instid1(VALU_DEP_2)
	v_fmac_f32_e32 v175, v2, v9
	v_dual_mul_f32 v2, v2, v10 :: v_dual_fmac_f32 v177, v4, v11
	s_delay_alu instid0(VALU_DEP_1) | instskip(SKIP_1) | instid1(VALU_DEP_1)
	v_fma_f32 v176, v1, v9, -v2
	v_mul_f32_e32 v1, v4, v12
	;; [unrolled: 25-line block ×4, first 2 shown]
	v_fma_f32 v194, v3, v11, -v1
	s_clause 0x1
	scratch_load_b128 v[1:4], off, off offset:392
	scratch_load_b128 v[9:12], off, off offset:408
	s_wait_loadcnt_dscnt 0x100
	v_mul_f32_e32 v195, v5, v2
	v_mul_f32_e32 v2, v6, v2
	s_delay_alu instid0(VALU_DEP_1) | instskip(SKIP_1) | instid1(VALU_DEP_1)
	v_fma_f32 v196, v5, v1, -v2
	v_add_f32_e32 v2, 0, v151
	v_add_f32_e32 v2, v2, v152
	s_delay_alu instid0(VALU_DEP_1) | instskip(NEXT) | instid1(VALU_DEP_1)
	v_add_f32_e32 v2, v2, v24
	v_add_f32_e32 v2, v2, v25
	s_delay_alu instid0(VALU_DEP_1) | instskip(NEXT) | instid1(VALU_DEP_1)
	;; [unrolled: 3-line block ×5, first 2 shown]
	v_add_f32_e32 v2, v2, v19
	v_add_f32_e32 v2, v2, v20
	v_mul_f32_e32 v197, v7, v4
	v_fmac_f32_e32 v195, v6, v1
	s_delay_alu instid0(VALU_DEP_3) | instskip(NEXT) | instid1(VALU_DEP_1)
	v_add_f32_e32 v2, v2, v159
	v_dual_fmac_f32 v197, v8, v3 :: v_dual_add_f32 v2, v2, v160
	s_delay_alu instid0(VALU_DEP_1) | instskip(NEXT) | instid1(VALU_DEP_1)
	v_dual_mul_f32 v1, v8, v4 :: v_dual_add_f32 v2, v2, v163
	v_fma_f32 v198, v7, v3, -v1
	s_delay_alu instid0(VALU_DEP_2) | instskip(NEXT) | instid1(VALU_DEP_1)
	v_dual_add_f32 v1, 0, v22 :: v_dual_add_f32 v2, v2, v165
	v_add_f32_e32 v1, v1, v23
	s_delay_alu instid0(VALU_DEP_2) | instskip(NEXT) | instid1(VALU_DEP_2)
	v_add_f32_e32 v5, v2, v167
	v_add_f32_e32 v1, v1, v26
	s_delay_alu instid0(VALU_DEP_2) | instskip(NEXT) | instid1(VALU_DEP_2)
	v_add_f32_e32 v5, v5, v169
	;; [unrolled: 3-line block ×3, first 2 shown]
	v_add_f32_e32 v1, v1, v28
	s_delay_alu instid0(VALU_DEP_1) | instskip(NEXT) | instid1(VALU_DEP_1)
	v_add_f32_e32 v1, v1, v29
	v_add_f32_e32 v1, v1, v13
	s_delay_alu instid0(VALU_DEP_1) | instskip(SKIP_1) | instid1(VALU_DEP_1)
	v_add_f32_e32 v1, v1, v14
	v_add_f32_e32 v14, v5, v173
	v_dual_add_f32 v1, v1, v16 :: v_dual_add_f32 v14, v14, v175
	s_delay_alu instid0(VALU_DEP_1) | instskip(NEXT) | instid1(VALU_DEP_1)
	v_add_f32_e32 v1, v1, v17
	v_dual_add_f32 v14, v14, v177 :: v_dual_add_f32 v1, v1, v156
	s_delay_alu instid0(VALU_DEP_1) | instskip(NEXT) | instid1(VALU_DEP_1)
	v_add_f32_e32 v1, v1, v157
	v_add_f32_e32 v1, v1, v161
	s_delay_alu instid0(VALU_DEP_1) | instskip(NEXT) | instid1(VALU_DEP_1)
	v_add_f32_e32 v1, v1, v162
	v_add_f32_e32 v1, v1, v164
	;; [unrolled: 3-line block ×3, first 2 shown]
	s_delay_alu instid0(VALU_DEP_1) | instskip(SKIP_2) | instid1(VALU_DEP_1)
	v_add_f32_e32 v6, v1, v170
	ds_load_2addr_b64 v[1:4], v21 offset0:111 offset1:112
	v_add_f32_e32 v17, v14, v179
	v_dual_add_f32 v6, v6, v172 :: v_dual_add_f32 v17, v17, v181
	s_delay_alu instid0(VALU_DEP_1) | instskip(SKIP_4) | instid1(VALU_DEP_2)
	v_add_f32_e32 v13, v6, v174
	ds_load_2addr_b64 v[5:8], v21 offset0:113 offset1:114
	s_wait_loadcnt_dscnt 0x1
	v_dual_mul_f32 v25, v1, v10 :: v_dual_mul_f32 v26, v3, v12
	v_mul_f32_e32 v10, v2, v10
	v_dual_mul_f32 v12, v4, v12 :: v_dual_fmac_f32 v25, v2, v9
	s_delay_alu instid0(VALU_DEP_3) | instskip(NEXT) | instid1(VALU_DEP_3)
	v_fmac_f32_e32 v26, v4, v11
	v_fma_f32 v27, v1, v9, -v10
	s_delay_alu instid0(VALU_DEP_3) | instskip(SKIP_4) | instid1(VALU_DEP_1)
	v_fma_f32 v28, v3, v11, -v12
	s_clause 0x1
	scratch_load_b128 v[1:4], off, off offset:424
	scratch_load_b128 v[9:12], off, off offset:440
	v_add_f32_e32 v13, v13, v176
	v_add_f32_e32 v13, v13, v178
	s_delay_alu instid0(VALU_DEP_1) | instskip(NEXT) | instid1(VALU_DEP_1)
	v_add_f32_e32 v13, v13, v180
	v_add_f32_e32 v18, v13, v182
	scratch_load_b128 v[13:16], off, off offset:456
	v_dual_add_f32 v17, v17, v183 :: v_dual_add_f32 v18, v18, v184
	s_delay_alu instid0(VALU_DEP_1) | instskip(NEXT) | instid1(VALU_DEP_1)
	v_dual_add_f32 v17, v17, v185 :: v_dual_add_f32 v18, v18, v186
	v_dual_add_f32 v23, v17, v187 :: v_dual_add_f32 v22, v18, v188
	ds_load_2addr_b64 v[17:20], v21 offset0:115 offset1:116
	v_add_f32_e32 v32, v23, v189
	s_delay_alu instid0(VALU_DEP_1) | instskip(NEXT) | instid1(VALU_DEP_1)
	v_add_f32_e32 v32, v32, v191
	v_add_f32_e32 v32, v32, v193
	s_delay_alu instid0(VALU_DEP_1) | instskip(SKIP_1) | instid1(VALU_DEP_1)
	v_add_f32_e32 v32, v32, v195
	s_wait_loadcnt_dscnt 0x201
	v_dual_add_f32 v32, v32, v197 :: v_dual_mul_f32 v151, v5, v2
	v_mul_f32_e32 v2, v6, v2
	v_mul_f32_e32 v152, v7, v4
	;; [unrolled: 1-line block ×3, first 2 shown]
	s_wait_loadcnt_dscnt 0x100
	v_dual_mul_f32 v154, v17, v10 :: v_dual_fmac_f32 v151, v6, v1
	v_add_f32_e32 v29, v22, v190
	ds_load_2addr_b64 v[21:24], v21 offset0:117 offset1:118
	v_fma_f32 v2, v5, v1, -v2
	v_mul_f32_e32 v6, v18, v10
	v_dual_fmac_f32 v152, v8, v3 :: v_dual_add_f32 v29, v29, v192
	v_fma_f32 v3, v7, v3, -v4
	v_mul_f32_e32 v155, v19, v12
	v_mul_f32_e32 v4, v20, v12
	s_delay_alu instid0(VALU_DEP_4) | instskip(NEXT) | instid1(VALU_DEP_3)
	v_dual_fmac_f32 v154, v18, v9 :: v_dual_add_f32 v29, v29, v194
	v_fmac_f32_e32 v155, v20, v11
	s_delay_alu instid0(VALU_DEP_3) | instskip(NEXT) | instid1(VALU_DEP_3)
	v_fma_f32 v4, v19, v11, -v4
	v_add_f32_e32 v29, v29, v196
	s_delay_alu instid0(VALU_DEP_1) | instskip(SKIP_2) | instid1(VALU_DEP_2)
	v_add_f32_e32 v29, v29, v198
	s_wait_loadcnt_dscnt 0x0
	v_dual_mul_f32 v156, v21, v14 :: v_dual_add_f32 v25, v32, v25
	v_add_f32_e32 v27, v29, v27
	v_mul_f32_e32 v29, v23, v16
	s_delay_alu instid0(VALU_DEP_3) | instskip(NEXT) | instid1(VALU_DEP_3)
	v_dual_add_f32 v5, v25, v26 :: v_dual_fmac_f32 v156, v22, v13
	v_add_f32_e32 v1, v27, v28
	s_delay_alu instid0(VALU_DEP_3) | instskip(NEXT) | instid1(VALU_DEP_2)
	v_fmac_f32_e32 v29, v24, v15
	v_add_f32_e32 v1, v1, v2
	s_delay_alu instid0(VALU_DEP_4) | instskip(SKIP_1) | instid1(VALU_DEP_2)
	v_add_f32_e32 v2, v5, v151
	v_fma_f32 v5, v17, v9, -v6
	v_dual_add_f32 v1, v1, v3 :: v_dual_add_f32 v2, v2, v152
	v_mul_f32_e32 v3, v22, v14
	s_delay_alu instid0(VALU_DEP_2) | instskip(SKIP_1) | instid1(VALU_DEP_3)
	v_dual_add_f32 v1, v1, v5 :: v_dual_add_f32 v2, v2, v154
	v_mul_f32_e32 v5, v24, v16
	v_fma_f32 v3, v21, v13, -v3
	s_delay_alu instid0(VALU_DEP_3) | instskip(NEXT) | instid1(VALU_DEP_3)
	v_dual_add_f32 v1, v1, v4 :: v_dual_add_f32 v2, v2, v155
	v_fma_f32 v4, v23, v15, -v5
	s_delay_alu instid0(VALU_DEP_2) | instskip(NEXT) | instid1(VALU_DEP_1)
	v_dual_add_f32 v1, v1, v3 :: v_dual_add_f32 v2, v2, v156
	v_dual_add_f32 v1, v1, v4 :: v_dual_add_f32 v2, v2, v29
	s_delay_alu instid0(VALU_DEP_1)
	v_dual_sub_f32 v1, v30, v1 :: v_dual_sub_f32 v2, v31, v2
	scratch_store_b64 off, v[1:2], off offset:144
	v_cmpx_lt_u32_e32 17, v0
	s_cbranch_execz .LBB58_333
; %bb.332:
	scratch_load_b64 v[1:2], off, off offset:136
	v_mov_b32_e32 v3, 0
	s_delay_alu instid0(VALU_DEP_1)
	v_mov_b32_e32 v4, v3
	scratch_store_b64 off, v[3:4], off offset:136
	s_wait_loadcnt 0x0
	ds_store_b64 v153, v[1:2]
.LBB58_333:
	s_wait_alu 0xfffe
	s_or_b32 exec_lo, exec_lo, s0
	s_wait_storecnt_dscnt 0x0
	s_barrier_signal -1
	s_barrier_wait -1
	global_inv scope:SCOPE_SE
	s_clause 0x4
	scratch_load_b128 v[5:8], off, off offset:144
	scratch_load_b128 v[1:4], off, off offset:160
	;; [unrolled: 1-line block ×5, first 2 shown]
	v_mov_b32_e32 v21, 0
	ds_load_b128 v[22:25], v21 offset:624
	ds_load_b128 v[26:29], v21 offset:640
	;; [unrolled: 1-line block ×3, first 2 shown]
	scratch_load_b64 v[30:31], off, off offset:136
	s_mov_b32 s0, exec_lo
	s_wait_loadcnt_dscnt 0x502
	v_mul_f32_e32 v32, v23, v6
	v_dual_mul_f32 v151, v22, v6 :: v_dual_mul_f32 v152, v24, v8
	v_mul_f32_e32 v6, v25, v8
	s_wait_loadcnt_dscnt 0x300
	v_mul_f32_e32 v158, v156, v12
	v_fma_f32 v22, v22, v5, -v32
	v_dual_fmac_f32 v151, v23, v5 :: v_dual_fmac_f32 v152, v25, v7
	v_mul_f32_e32 v25, v28, v4
	v_fma_f32 v23, v24, v7, -v6
	ds_load_b128 v[5:8], v21 offset:672
	v_mul_f32_e32 v24, v26, v2
	v_mul_f32_e32 v4, v29, v4
	;; [unrolled: 1-line block ×5, first 2 shown]
	v_dual_mul_f32 v2, v27, v2 :: v_dual_fmac_f32 v25, v29, v3
	v_fmac_f32_e32 v24, v27, v1
	v_fma_f32 v27, v28, v3, -v4
	v_fmac_f32_e32 v32, v155, v9
	v_fma_f32 v28, v154, v9, -v10
	;; [unrolled: 2-line block ×3, first 2 shown]
	ds_load_b128 v[9:12], v21 offset:688
	s_wait_loadcnt_dscnt 0x201
	v_dual_mul_f32 v155, v7, v16 :: v_dual_mul_f32 v154, v5, v14
	v_mul_f32_e32 v14, v6, v14
	v_mul_f32_e32 v16, v8, v16
	s_delay_alu instid0(VALU_DEP_3)
	v_fmac_f32_e32 v155, v8, v15
	v_fma_f32 v26, v26, v1, -v2
	scratch_load_b128 v[1:4], off, off offset:224
	v_fmac_f32_e32 v154, v6, v13
	v_fma_f32 v13, v5, v13, -v14
	v_fma_f32 v14, v7, v15, -v16
	ds_load_b128 v[5:8], v21 offset:704
	s_wait_loadcnt_dscnt 0x201
	v_mul_f32_e32 v15, v9, v18
	v_mul_f32_e32 v16, v10, v18
	;; [unrolled: 1-line block ×3, first 2 shown]
	s_delay_alu instid0(VALU_DEP_3) | instskip(NEXT) | instid1(VALU_DEP_3)
	v_dual_mul_f32 v20, v12, v20 :: v_dual_fmac_f32 v15, v10, v17
	v_fma_f32 v16, v9, v17, -v16
	s_delay_alu instid0(VALU_DEP_3) | instskip(NEXT) | instid1(VALU_DEP_3)
	v_fmac_f32_e32 v18, v12, v19
	v_fma_f32 v17, v11, v19, -v20
	scratch_load_b128 v[9:12], off, off offset:240
	s_wait_loadcnt_dscnt 0x100
	v_mul_f32_e32 v19, v5, v2
	v_mul_f32_e32 v2, v6, v2
	;; [unrolled: 1-line block ×3, first 2 shown]
	s_delay_alu instid0(VALU_DEP_3) | instskip(NEXT) | instid1(VALU_DEP_3)
	v_dual_mul_f32 v4, v8, v4 :: v_dual_fmac_f32 v19, v6, v1
	v_fma_f32 v156, v5, v1, -v2
	s_delay_alu instid0(VALU_DEP_3) | instskip(NEXT) | instid1(VALU_DEP_3)
	v_fmac_f32_e32 v20, v8, v3
	v_fma_f32 v157, v7, v3, -v4
	ds_load_b128 v[1:4], v21 offset:720
	ds_load_b128 v[5:8], v21 offset:736
	s_wait_loadcnt_dscnt 0x1
	v_mul_f32_e32 v159, v1, v10
	v_mul_f32_e32 v10, v2, v10
	s_delay_alu instid0(VALU_DEP_2) | instskip(NEXT) | instid1(VALU_DEP_2)
	v_dual_mul_f32 v160, v3, v12 :: v_dual_fmac_f32 v159, v2, v9
	v_fma_f32 v161, v1, v9, -v10
	v_mul_f32_e32 v1, v4, v12
	s_delay_alu instid0(VALU_DEP_3) | instskip(NEXT) | instid1(VALU_DEP_2)
	v_fmac_f32_e32 v160, v4, v11
	v_fma_f32 v162, v3, v11, -v1
	s_clause 0x1
	scratch_load_b128 v[1:4], off, off offset:256
	scratch_load_b128 v[9:12], off, off offset:272
	s_wait_loadcnt_dscnt 0x100
	v_mul_f32_e32 v163, v5, v2
	v_dual_mul_f32 v2, v6, v2 :: v_dual_mul_f32 v165, v7, v4
	s_delay_alu instid0(VALU_DEP_2) | instskip(NEXT) | instid1(VALU_DEP_2)
	v_fmac_f32_e32 v163, v6, v1
	v_fma_f32 v164, v5, v1, -v2
	v_mul_f32_e32 v1, v8, v4
	s_delay_alu instid0(VALU_DEP_4) | instskip(NEXT) | instid1(VALU_DEP_2)
	v_fmac_f32_e32 v165, v8, v3
	v_fma_f32 v166, v7, v3, -v1
	ds_load_b128 v[1:4], v21 offset:752
	ds_load_b128 v[5:8], v21 offset:768
	s_wait_loadcnt_dscnt 0x1
	v_mul_f32_e32 v167, v1, v10
	v_mul_f32_e32 v169, v3, v12
	s_delay_alu instid0(VALU_DEP_2) | instskip(NEXT) | instid1(VALU_DEP_2)
	v_fmac_f32_e32 v167, v2, v9
	v_dual_mul_f32 v2, v2, v10 :: v_dual_fmac_f32 v169, v4, v11
	s_delay_alu instid0(VALU_DEP_1) | instskip(SKIP_1) | instid1(VALU_DEP_1)
	v_fma_f32 v168, v1, v9, -v2
	v_mul_f32_e32 v1, v4, v12
	v_fma_f32 v170, v3, v11, -v1
	s_clause 0x1
	scratch_load_b128 v[1:4], off, off offset:288
	scratch_load_b128 v[9:12], off, off offset:304
	s_wait_loadcnt_dscnt 0x100
	v_mul_f32_e32 v171, v5, v2
	v_dual_mul_f32 v2, v6, v2 :: v_dual_mul_f32 v173, v7, v4
	s_delay_alu instid0(VALU_DEP_2) | instskip(NEXT) | instid1(VALU_DEP_2)
	v_fmac_f32_e32 v171, v6, v1
	v_fma_f32 v172, v5, v1, -v2
	v_mul_f32_e32 v1, v8, v4
	s_delay_alu instid0(VALU_DEP_4) | instskip(NEXT) | instid1(VALU_DEP_2)
	v_fmac_f32_e32 v173, v8, v3
	v_fma_f32 v174, v7, v3, -v1
	ds_load_b128 v[1:4], v21 offset:784
	ds_load_b128 v[5:8], v21 offset:800
	s_wait_loadcnt_dscnt 0x1
	v_mul_f32_e32 v175, v1, v10
	v_mul_f32_e32 v177, v3, v12
	s_delay_alu instid0(VALU_DEP_2) | instskip(NEXT) | instid1(VALU_DEP_2)
	v_fmac_f32_e32 v175, v2, v9
	v_dual_mul_f32 v2, v2, v10 :: v_dual_fmac_f32 v177, v4, v11
	s_delay_alu instid0(VALU_DEP_1) | instskip(SKIP_1) | instid1(VALU_DEP_1)
	v_fma_f32 v176, v1, v9, -v2
	v_mul_f32_e32 v1, v4, v12
	;; [unrolled: 25-line block ×4, first 2 shown]
	v_fma_f32 v194, v3, v11, -v1
	s_clause 0x1
	scratch_load_b128 v[1:4], off, off offset:384
	scratch_load_b128 v[9:12], off, off offset:400
	s_wait_loadcnt_dscnt 0x100
	v_mul_f32_e32 v195, v5, v2
	v_mul_f32_e32 v2, v6, v2
	s_delay_alu instid0(VALU_DEP_1) | instskip(SKIP_1) | instid1(VALU_DEP_1)
	v_fma_f32 v196, v5, v1, -v2
	v_add_f32_e32 v2, 0, v151
	v_add_f32_e32 v2, v2, v152
	s_delay_alu instid0(VALU_DEP_1) | instskip(NEXT) | instid1(VALU_DEP_1)
	v_add_f32_e32 v2, v2, v24
	v_add_f32_e32 v2, v2, v25
	s_delay_alu instid0(VALU_DEP_1) | instskip(NEXT) | instid1(VALU_DEP_1)
	;; [unrolled: 3-line block ×5, first 2 shown]
	v_add_f32_e32 v2, v2, v19
	v_add_f32_e32 v2, v2, v20
	s_delay_alu instid0(VALU_DEP_1) | instskip(SKIP_1) | instid1(VALU_DEP_2)
	v_add_f32_e32 v2, v2, v159
	v_fmac_f32_e32 v195, v6, v1
	v_add_f32_e32 v2, v2, v160
	s_delay_alu instid0(VALU_DEP_1) | instskip(NEXT) | instid1(VALU_DEP_1)
	v_dual_mul_f32 v197, v7, v4 :: v_dual_add_f32 v2, v2, v163
	v_dual_fmac_f32 v197, v8, v3 :: v_dual_add_f32 v2, v2, v165
	s_delay_alu instid0(VALU_DEP_1) | instskip(NEXT) | instid1(VALU_DEP_1)
	v_add_f32_e32 v5, v2, v167
	v_add_f32_e32 v5, v5, v169
	s_delay_alu instid0(VALU_DEP_1) | instskip(SKIP_1) | instid1(VALU_DEP_1)
	v_add_f32_e32 v5, v5, v171
	v_mul_f32_e32 v1, v8, v4
	v_fma_f32 v198, v7, v3, -v1
	v_add_f32_e32 v1, 0, v22
	s_delay_alu instid0(VALU_DEP_1) | instskip(NEXT) | instid1(VALU_DEP_1)
	v_add_f32_e32 v1, v1, v23
	v_add_f32_e32 v1, v1, v26
	s_delay_alu instid0(VALU_DEP_1) | instskip(SKIP_2) | instid1(VALU_DEP_1)
	v_add_f32_e32 v1, v1, v27
	scratch_load_b64 v[26:27], off, off offset:464
	v_add_f32_e32 v1, v1, v28
	v_add_f32_e32 v1, v1, v29
	s_delay_alu instid0(VALU_DEP_1) | instskip(NEXT) | instid1(VALU_DEP_1)
	v_add_f32_e32 v1, v1, v13
	v_add_f32_e32 v1, v1, v14
	;; [unrolled: 1-line block ×3, first 2 shown]
	s_delay_alu instid0(VALU_DEP_1) | instskip(NEXT) | instid1(VALU_DEP_1)
	v_dual_add_f32 v1, v1, v16 :: v_dual_add_f32 v14, v14, v175
	v_add_f32_e32 v1, v1, v17
	s_delay_alu instid0(VALU_DEP_1) | instskip(NEXT) | instid1(VALU_DEP_1)
	v_dual_add_f32 v14, v14, v177 :: v_dual_add_f32 v1, v1, v156
	v_add_f32_e32 v1, v1, v157
	s_delay_alu instid0(VALU_DEP_1) | instskip(NEXT) | instid1(VALU_DEP_1)
	v_add_f32_e32 v1, v1, v161
	v_add_f32_e32 v1, v1, v162
	s_delay_alu instid0(VALU_DEP_1) | instskip(NEXT) | instid1(VALU_DEP_1)
	v_add_f32_e32 v1, v1, v164
	;; [unrolled: 3-line block ×3, first 2 shown]
	v_add_f32_e32 v6, v1, v170
	ds_load_b128 v[1:4], v21 offset:880
	v_add_f32_e32 v17, v14, v179
	v_add_f32_e32 v6, v6, v172
	s_delay_alu instid0(VALU_DEP_1)
	v_add_f32_e32 v13, v6, v174
	ds_load_b128 v[5:8], v21 offset:896
	s_wait_loadcnt_dscnt 0x101
	v_mul_f32_e32 v32, v1, v10
	v_dual_mul_f32 v10, v2, v10 :: v_dual_mul_f32 v151, v3, v12
	v_mul_f32_e32 v12, v4, v12
	s_delay_alu instid0(VALU_DEP_3) | instskip(NEXT) | instid1(VALU_DEP_3)
	v_fmac_f32_e32 v32, v2, v9
	v_fma_f32 v152, v1, v9, -v10
	s_delay_alu instid0(VALU_DEP_4) | instskip(NEXT) | instid1(VALU_DEP_4)
	v_fmac_f32_e32 v151, v4, v11
	v_fma_f32 v154, v3, v11, -v12
	s_clause 0x1
	scratch_load_b128 v[1:4], off, off offset:416
	scratch_load_b128 v[9:12], off, off offset:432
	s_wait_loadcnt_dscnt 0x100
	v_mul_f32_e32 v158, v7, v4
	v_add_f32_e32 v13, v13, v176
	v_mul_f32_e32 v157, v5, v2
	v_mul_f32_e32 v2, v6, v2
	;; [unrolled: 1-line block ×3, first 2 shown]
	s_delay_alu instid0(VALU_DEP_4) | instskip(NEXT) | instid1(VALU_DEP_4)
	v_dual_fmac_f32 v158, v8, v3 :: v_dual_add_f32 v13, v13, v178
	v_fmac_f32_e32 v157, v6, v1
	v_add_f32_e32 v17, v17, v181
	v_fma_f32 v2, v5, v1, -v2
	v_fma_f32 v1, v7, v3, -v4
	v_add_f32_e32 v13, v13, v180
	s_delay_alu instid0(VALU_DEP_4) | instskip(NEXT) | instid1(VALU_DEP_2)
	v_add_f32_e32 v17, v17, v183
	v_add_f32_e32 v18, v13, v182
	scratch_load_b128 v[13:16], off, off offset:448
	v_dual_add_f32 v17, v17, v185 :: v_dual_add_f32 v18, v18, v184
	s_delay_alu instid0(VALU_DEP_1) | instskip(NEXT) | instid1(VALU_DEP_1)
	v_dual_add_f32 v17, v17, v187 :: v_dual_add_f32 v18, v18, v186
	v_add_f32_e32 v22, v17, v189
	s_delay_alu instid0(VALU_DEP_2) | instskip(NEXT) | instid1(VALU_DEP_2)
	v_add_f32_e32 v18, v18, v188
	v_add_f32_e32 v29, v22, v191
	ds_load_b128 v[22:25], v21 offset:928
	v_add_f32_e32 v18, v18, v190
	v_add_f32_e32 v156, v29, v193
	s_delay_alu instid0(VALU_DEP_2)
	v_add_f32_e32 v28, v18, v192
	ds_load_b128 v[17:20], v21 offset:912
	v_add_f32_e32 v156, v156, v195
	v_add_f32_e32 v155, v28, v194
	ds_load_b64 v[28:29], v21 offset:944
	v_add_f32_e32 v156, v156, v197
	s_delay_alu instid0(VALU_DEP_1) | instskip(SKIP_1) | instid1(VALU_DEP_1)
	v_add_f32_e32 v32, v156, v32
	s_wait_loadcnt_dscnt 0x101
	v_dual_add_f32 v32, v32, v151 :: v_dual_mul_f32 v3, v18, v10
	s_delay_alu instid0(VALU_DEP_1) | instskip(SKIP_2) | instid1(VALU_DEP_4)
	v_add_f32_e32 v4, v32, v157
	v_mul_f32_e32 v156, v19, v12
	v_mul_f32_e32 v5, v20, v12
	v_fma_f32 v3, v17, v9, -v3
	s_wait_dscnt 0x0
	v_mul_f32_e32 v151, v28, v27
	v_fmac_f32_e32 v156, v20, v11
	v_fma_f32 v5, v19, v11, -v5
	s_delay_alu instid0(VALU_DEP_3) | instskip(SKIP_2) | instid1(VALU_DEP_1)
	v_fmac_f32_e32 v151, v29, v26
	s_wait_loadcnt 0x0
	v_mul_f32_e32 v159, v22, v14
	v_fmac_f32_e32 v159, v23, v13
	v_add_f32_e32 v155, v155, v196
	s_delay_alu instid0(VALU_DEP_1) | instskip(NEXT) | instid1(VALU_DEP_1)
	v_add_f32_e32 v155, v155, v198
	v_dual_add_f32 v152, v155, v152 :: v_dual_mul_f32 v155, v17, v10
	s_delay_alu instid0(VALU_DEP_1) | instskip(SKIP_1) | instid1(VALU_DEP_2)
	v_dual_add_f32 v152, v152, v154 :: v_dual_fmac_f32 v155, v18, v9
	v_mul_f32_e32 v154, v24, v16
	v_add_f32_e32 v2, v152, v2
	s_delay_alu instid0(VALU_DEP_1) | instskip(SKIP_1) | instid1(VALU_DEP_2)
	v_dual_fmac_f32 v154, v25, v15 :: v_dual_add_f32 v1, v2, v1
	v_add_f32_e32 v2, v4, v158
	v_dual_mul_f32 v4, v23, v14 :: v_dual_add_f32 v1, v1, v3
	s_delay_alu instid0(VALU_DEP_2) | instskip(NEXT) | instid1(VALU_DEP_2)
	v_dual_add_f32 v2, v2, v155 :: v_dual_mul_f32 v3, v25, v16
	v_fma_f32 v4, v22, v13, -v4
	s_delay_alu instid0(VALU_DEP_2) | instskip(SKIP_1) | instid1(VALU_DEP_4)
	v_dual_add_f32 v1, v1, v5 :: v_dual_add_f32 v2, v2, v156
	v_mul_f32_e32 v5, v29, v27
	v_fma_f32 v3, v24, v15, -v3
	s_delay_alu instid0(VALU_DEP_3) | instskip(NEXT) | instid1(VALU_DEP_3)
	v_dual_add_f32 v1, v1, v4 :: v_dual_add_f32 v2, v2, v159
	v_fma_f32 v4, v28, v26, -v5
	s_delay_alu instid0(VALU_DEP_2) | instskip(NEXT) | instid1(VALU_DEP_1)
	v_dual_add_f32 v1, v1, v3 :: v_dual_add_f32 v2, v2, v154
	v_dual_add_f32 v1, v1, v4 :: v_dual_add_f32 v2, v2, v151
	s_delay_alu instid0(VALU_DEP_1)
	v_dual_sub_f32 v1, v30, v1 :: v_dual_sub_f32 v2, v31, v2
	scratch_store_b64 off, v[1:2], off offset:136
	v_cmpx_lt_u32_e32 16, v0
	s_cbranch_execz .LBB58_335
; %bb.334:
	scratch_load_b64 v[1:2], off, off offset:128
	v_mov_b32_e32 v22, v21
	scratch_store_b64 off, v[21:22], off offset:128
	s_wait_loadcnt 0x0
	ds_store_b64 v153, v[1:2]
.LBB58_335:
	s_wait_alu 0xfffe
	s_or_b32 exec_lo, exec_lo, s0
	s_wait_storecnt_dscnt 0x0
	s_barrier_signal -1
	s_barrier_wait -1
	global_inv scope:SCOPE_SE
	s_clause 0x4
	scratch_load_b128 v[5:8], off, off offset:136
	scratch_load_b128 v[1:4], off, off offset:152
	;; [unrolled: 1-line block ×5, first 2 shown]
	ds_load_2addr_b64 v[22:25], v21 offset0:77 offset1:78
	ds_load_2addr_b64 v[26:29], v21 offset0:79 offset1:80
	ds_load_2addr_b64 v[154:157], v21 offset0:81 offset1:82
	scratch_load_b64 v[30:31], off, off offset:128
	s_mov_b32 s0, exec_lo
	s_wait_loadcnt_dscnt 0x502
	v_mul_f32_e32 v32, v23, v6
	v_dual_mul_f32 v151, v22, v6 :: v_dual_mul_f32 v152, v24, v8
	v_mul_f32_e32 v6, v25, v8
	s_wait_loadcnt_dscnt 0x300
	v_mul_f32_e32 v158, v156, v12
	s_delay_alu instid0(VALU_DEP_3)
	v_dual_mul_f32 v12, v157, v12 :: v_dual_fmac_f32 v151, v23, v5
	v_fmac_f32_e32 v152, v25, v7
	v_fma_f32 v23, v24, v7, -v6
	v_mul_f32_e32 v25, v28, v4
	v_fma_f32 v22, v22, v5, -v32
	ds_load_2addr_b64 v[5:8], v21 offset0:83 offset1:84
	v_mul_f32_e32 v24, v26, v2
	v_mul_f32_e32 v4, v29, v4
	;; [unrolled: 1-line block ×4, first 2 shown]
	v_dual_mul_f32 v2, v27, v2 :: v_dual_fmac_f32 v25, v29, v3
	v_fmac_f32_e32 v24, v27, v1
	v_fma_f32 v27, v28, v3, -v4
	v_fmac_f32_e32 v32, v155, v9
	v_fma_f32 v28, v154, v9, -v10
	;; [unrolled: 2-line block ×3, first 2 shown]
	ds_load_2addr_b64 v[9:12], v21 offset0:85 offset1:86
	s_wait_loadcnt_dscnt 0x201
	v_dual_mul_f32 v155, v7, v16 :: v_dual_mul_f32 v154, v5, v14
	v_mul_f32_e32 v14, v6, v14
	v_mul_f32_e32 v16, v8, v16
	s_delay_alu instid0(VALU_DEP_3)
	v_fmac_f32_e32 v155, v8, v15
	v_fma_f32 v26, v26, v1, -v2
	scratch_load_b128 v[1:4], off, off offset:216
	v_fmac_f32_e32 v154, v6, v13
	v_fma_f32 v13, v5, v13, -v14
	v_fma_f32 v14, v7, v15, -v16
	ds_load_2addr_b64 v[5:8], v21 offset0:87 offset1:88
	s_wait_loadcnt_dscnt 0x201
	v_mul_f32_e32 v15, v9, v18
	v_mul_f32_e32 v16, v10, v18
	;; [unrolled: 1-line block ×3, first 2 shown]
	s_delay_alu instid0(VALU_DEP_3) | instskip(NEXT) | instid1(VALU_DEP_3)
	v_dual_mul_f32 v20, v12, v20 :: v_dual_fmac_f32 v15, v10, v17
	v_fma_f32 v16, v9, v17, -v16
	s_delay_alu instid0(VALU_DEP_3) | instskip(NEXT) | instid1(VALU_DEP_3)
	v_fmac_f32_e32 v18, v12, v19
	v_fma_f32 v17, v11, v19, -v20
	scratch_load_b128 v[9:12], off, off offset:232
	s_wait_loadcnt_dscnt 0x100
	v_mul_f32_e32 v19, v5, v2
	v_mul_f32_e32 v2, v6, v2
	;; [unrolled: 1-line block ×3, first 2 shown]
	s_delay_alu instid0(VALU_DEP_3) | instskip(NEXT) | instid1(VALU_DEP_3)
	v_dual_mul_f32 v4, v8, v4 :: v_dual_fmac_f32 v19, v6, v1
	v_fma_f32 v156, v5, v1, -v2
	s_delay_alu instid0(VALU_DEP_3) | instskip(NEXT) | instid1(VALU_DEP_3)
	v_fmac_f32_e32 v20, v8, v3
	v_fma_f32 v157, v7, v3, -v4
	ds_load_2addr_b64 v[1:4], v21 offset0:89 offset1:90
	ds_load_2addr_b64 v[5:8], v21 offset0:91 offset1:92
	s_wait_loadcnt_dscnt 0x1
	v_mul_f32_e32 v159, v1, v10
	v_mul_f32_e32 v10, v2, v10
	s_delay_alu instid0(VALU_DEP_2) | instskip(NEXT) | instid1(VALU_DEP_2)
	v_dual_mul_f32 v160, v3, v12 :: v_dual_fmac_f32 v159, v2, v9
	v_fma_f32 v161, v1, v9, -v10
	v_mul_f32_e32 v1, v4, v12
	s_delay_alu instid0(VALU_DEP_3) | instskip(NEXT) | instid1(VALU_DEP_2)
	v_fmac_f32_e32 v160, v4, v11
	v_fma_f32 v162, v3, v11, -v1
	s_clause 0x1
	scratch_load_b128 v[1:4], off, off offset:248
	scratch_load_b128 v[9:12], off, off offset:264
	s_wait_loadcnt_dscnt 0x100
	v_mul_f32_e32 v163, v5, v2
	v_dual_mul_f32 v2, v6, v2 :: v_dual_mul_f32 v165, v7, v4
	s_delay_alu instid0(VALU_DEP_2) | instskip(NEXT) | instid1(VALU_DEP_2)
	v_fmac_f32_e32 v163, v6, v1
	v_fma_f32 v164, v5, v1, -v2
	v_mul_f32_e32 v1, v8, v4
	s_delay_alu instid0(VALU_DEP_4) | instskip(NEXT) | instid1(VALU_DEP_2)
	v_fmac_f32_e32 v165, v8, v3
	v_fma_f32 v166, v7, v3, -v1
	ds_load_2addr_b64 v[1:4], v21 offset0:93 offset1:94
	ds_load_2addr_b64 v[5:8], v21 offset0:95 offset1:96
	s_wait_loadcnt_dscnt 0x1
	v_mul_f32_e32 v167, v1, v10
	v_mul_f32_e32 v169, v3, v12
	s_delay_alu instid0(VALU_DEP_2) | instskip(NEXT) | instid1(VALU_DEP_2)
	v_fmac_f32_e32 v167, v2, v9
	v_dual_mul_f32 v2, v2, v10 :: v_dual_fmac_f32 v169, v4, v11
	s_delay_alu instid0(VALU_DEP_1) | instskip(SKIP_1) | instid1(VALU_DEP_1)
	v_fma_f32 v168, v1, v9, -v2
	v_mul_f32_e32 v1, v4, v12
	v_fma_f32 v170, v3, v11, -v1
	s_clause 0x1
	scratch_load_b128 v[1:4], off, off offset:280
	scratch_load_b128 v[9:12], off, off offset:296
	s_wait_loadcnt_dscnt 0x100
	v_mul_f32_e32 v171, v5, v2
	v_dual_mul_f32 v2, v6, v2 :: v_dual_mul_f32 v173, v7, v4
	s_delay_alu instid0(VALU_DEP_2) | instskip(NEXT) | instid1(VALU_DEP_2)
	v_fmac_f32_e32 v171, v6, v1
	v_fma_f32 v172, v5, v1, -v2
	v_mul_f32_e32 v1, v8, v4
	s_delay_alu instid0(VALU_DEP_4) | instskip(NEXT) | instid1(VALU_DEP_2)
	v_fmac_f32_e32 v173, v8, v3
	v_fma_f32 v174, v7, v3, -v1
	ds_load_2addr_b64 v[1:4], v21 offset0:97 offset1:98
	ds_load_2addr_b64 v[5:8], v21 offset0:99 offset1:100
	s_wait_loadcnt_dscnt 0x1
	v_mul_f32_e32 v175, v1, v10
	v_mul_f32_e32 v177, v3, v12
	s_delay_alu instid0(VALU_DEP_2) | instskip(NEXT) | instid1(VALU_DEP_2)
	v_fmac_f32_e32 v175, v2, v9
	v_dual_mul_f32 v2, v2, v10 :: v_dual_fmac_f32 v177, v4, v11
	s_delay_alu instid0(VALU_DEP_1) | instskip(SKIP_1) | instid1(VALU_DEP_1)
	v_fma_f32 v176, v1, v9, -v2
	v_mul_f32_e32 v1, v4, v12
	;; [unrolled: 25-line block ×4, first 2 shown]
	v_fma_f32 v194, v3, v11, -v1
	s_clause 0x1
	scratch_load_b128 v[1:4], off, off offset:376
	scratch_load_b128 v[9:12], off, off offset:392
	s_wait_loadcnt_dscnt 0x100
	v_mul_f32_e32 v195, v5, v2
	v_mul_f32_e32 v2, v6, v2
	s_delay_alu instid0(VALU_DEP_1) | instskip(SKIP_1) | instid1(VALU_DEP_1)
	v_fma_f32 v196, v5, v1, -v2
	v_add_f32_e32 v2, 0, v151
	v_add_f32_e32 v2, v2, v152
	s_delay_alu instid0(VALU_DEP_1) | instskip(NEXT) | instid1(VALU_DEP_1)
	v_add_f32_e32 v2, v2, v24
	v_add_f32_e32 v2, v2, v25
	s_delay_alu instid0(VALU_DEP_1) | instskip(NEXT) | instid1(VALU_DEP_1)
	;; [unrolled: 3-line block ×5, first 2 shown]
	v_add_f32_e32 v2, v2, v19
	v_add_f32_e32 v2, v2, v20
	v_mul_f32_e32 v197, v7, v4
	v_fmac_f32_e32 v195, v6, v1
	s_delay_alu instid0(VALU_DEP_3) | instskip(NEXT) | instid1(VALU_DEP_1)
	v_add_f32_e32 v2, v2, v159
	v_dual_fmac_f32 v197, v8, v3 :: v_dual_add_f32 v2, v2, v160
	s_delay_alu instid0(VALU_DEP_1) | instskip(NEXT) | instid1(VALU_DEP_1)
	v_dual_mul_f32 v1, v8, v4 :: v_dual_add_f32 v2, v2, v163
	v_fma_f32 v198, v7, v3, -v1
	s_delay_alu instid0(VALU_DEP_2) | instskip(NEXT) | instid1(VALU_DEP_1)
	v_dual_add_f32 v1, 0, v22 :: v_dual_add_f32 v2, v2, v165
	v_add_f32_e32 v1, v1, v23
	s_delay_alu instid0(VALU_DEP_1) | instskip(NEXT) | instid1(VALU_DEP_1)
	v_dual_add_f32 v2, v2, v167 :: v_dual_add_f32 v1, v1, v26
	v_add_f32_e32 v5, v2, v169
	s_delay_alu instid0(VALU_DEP_2) | instskip(NEXT) | instid1(VALU_DEP_1)
	v_add_f32_e32 v1, v1, v27
	v_add_f32_e32 v1, v1, v28
	s_delay_alu instid0(VALU_DEP_1) | instskip(NEXT) | instid1(VALU_DEP_1)
	v_add_f32_e32 v1, v1, v29
	v_add_f32_e32 v1, v1, v13
	;; [unrolled: 1-line block ×3, first 2 shown]
	s_delay_alu instid0(VALU_DEP_2) | instskip(NEXT) | instid1(VALU_DEP_2)
	v_add_f32_e32 v1, v1, v14
	v_add_f32_e32 v13, v13, v173
	s_delay_alu instid0(VALU_DEP_2) | instskip(NEXT) | instid1(VALU_DEP_2)
	v_add_f32_e32 v1, v1, v16
	v_add_f32_e32 v13, v13, v175
	;; [unrolled: 3-line block ×3, first 2 shown]
	s_delay_alu instid0(VALU_DEP_2) | instskip(NEXT) | instid1(VALU_DEP_1)
	v_add_f32_e32 v1, v1, v156
	v_add_f32_e32 v1, v1, v157
	s_delay_alu instid0(VALU_DEP_1) | instskip(NEXT) | instid1(VALU_DEP_1)
	v_add_f32_e32 v1, v1, v161
	v_add_f32_e32 v1, v1, v162
	s_delay_alu instid0(VALU_DEP_1) | instskip(NEXT) | instid1(VALU_DEP_1)
	;; [unrolled: 3-line block ×3, first 2 shown]
	v_add_f32_e32 v1, v1, v168
	v_add_f32_e32 v1, v1, v170
	s_delay_alu instid0(VALU_DEP_1)
	v_add_f32_e32 v6, v1, v172
	ds_load_2addr_b64 v[1:4], v21 offset0:109 offset1:110
	v_add_f32_e32 v18, v18, v179
	v_add_f32_e32 v14, v6, v174
	scratch_load_b128 v[5:8], off, off offset:408
	v_add_f32_e32 v18, v18, v181
	v_add_f32_e32 v14, v14, v176
	s_delay_alu instid0(VALU_DEP_1)
	v_add_f32_e32 v17, v14, v178
	ds_load_2addr_b64 v[13:16], v21 offset0:111 offset1:112
	s_wait_loadcnt_dscnt 0x101
	v_mul_f32_e32 v25, v1, v10
	v_mul_f32_e32 v10, v2, v10
	;; [unrolled: 1-line block ×4, first 2 shown]
	v_add_f32_e32 v22, v18, v183
	v_fmac_f32_e32 v25, v2, v9
	v_fma_f32 v27, v1, v9, -v10
	v_fmac_f32_e32 v26, v4, v11
	v_fma_f32 v28, v3, v11, -v12
	s_clause 0x1
	scratch_load_b128 v[1:4], off, off offset:424
	scratch_load_b128 v[9:12], off, off offset:440
	v_add_f32_e32 v22, v22, v185
	s_wait_loadcnt_dscnt 0x200
	s_delay_alu instid0(VALU_DEP_1) | instskip(SKIP_2) | instid1(VALU_DEP_3)
	v_dual_add_f32 v22, v22, v187 :: v_dual_mul_f32 v29, v13, v6
	v_mul_f32_e32 v6, v14, v6
	v_mul_f32_e32 v32, v15, v8
	v_dual_mul_f32 v8, v16, v8 :: v_dual_fmac_f32 v29, v14, v5
	s_delay_alu instid0(VALU_DEP_3) | instskip(NEXT) | instid1(VALU_DEP_3)
	v_fma_f32 v151, v13, v5, -v6
	v_fmac_f32_e32 v32, v16, v7
	s_delay_alu instid0(VALU_DEP_3) | instskip(SKIP_3) | instid1(VALU_DEP_2)
	v_fma_f32 v152, v15, v7, -v8
	ds_load_2addr_b64 v[5:8], v21 offset0:113 offset1:114
	v_add_f32_e32 v17, v17, v180
	v_add_f32_e32 v13, v22, v189
	;; [unrolled: 1-line block ×3, first 2 shown]
	s_delay_alu instid0(VALU_DEP_1) | instskip(NEXT) | instid1(VALU_DEP_1)
	v_add_f32_e32 v17, v17, v184
	v_add_f32_e32 v23, v17, v186
	scratch_load_b128 v[17:20], off, off offset:456
	v_add_f32_e32 v23, v23, v188
	s_delay_alu instid0(VALU_DEP_1) | instskip(NEXT) | instid1(VALU_DEP_1)
	v_add_f32_e32 v23, v23, v190
	v_dual_add_f32 v22, v23, v192 :: v_dual_add_f32 v23, v13, v191
	ds_load_2addr_b64 v[13:16], v21 offset0:115 offset1:116
	s_wait_loadcnt_dscnt 0x201
	v_mul_f32_e32 v156, v5, v2
	v_mul_f32_e32 v2, v6, v2
	v_dual_add_f32 v154, v22, v194 :: v_dual_add_f32 v155, v23, v193
	ds_load_2addr_b64 v[21:24], v21 offset0:117 offset1:118
	v_fmac_f32_e32 v156, v6, v1
	v_fma_f32 v2, v5, v1, -v2
	v_add_f32_e32 v154, v154, v196
	s_delay_alu instid0(VALU_DEP_1) | instskip(NEXT) | instid1(VALU_DEP_1)
	v_add_f32_e32 v154, v154, v198
	v_dual_add_f32 v27, v154, v27 :: v_dual_mul_f32 v154, v7, v4
	v_mul_f32_e32 v4, v8, v4
	s_wait_loadcnt_dscnt 0x101
	v_dual_mul_f32 v6, v14, v10 :: v_dual_mul_f32 v157, v15, v12
	s_delay_alu instid0(VALU_DEP_3) | instskip(NEXT) | instid1(VALU_DEP_3)
	v_dual_add_f32 v27, v27, v28 :: v_dual_fmac_f32 v154, v8, v3
	v_fma_f32 v3, v7, v3, -v4
	v_mul_f32_e32 v4, v16, v12
	s_delay_alu instid0(VALU_DEP_4) | instskip(NEXT) | instid1(VALU_DEP_4)
	v_fmac_f32_e32 v157, v16, v11
	v_add_f32_e32 v27, v27, v151
	s_delay_alu instid0(VALU_DEP_3) | instskip(NEXT) | instid1(VALU_DEP_2)
	v_fma_f32 v4, v15, v11, -v4
	v_add_f32_e32 v1, v27, v152
	s_delay_alu instid0(VALU_DEP_1) | instskip(SKIP_1) | instid1(VALU_DEP_1)
	v_add_f32_e32 v1, v1, v2
	s_wait_loadcnt_dscnt 0x0
	v_dual_add_f32 v1, v1, v3 :: v_dual_mul_f32 v28, v23, v20
	s_delay_alu instid0(VALU_DEP_1) | instskip(SKIP_1) | instid1(VALU_DEP_2)
	v_dual_mul_f32 v3, v22, v18 :: v_dual_fmac_f32 v28, v24, v19
	v_add_f32_e32 v155, v155, v195
	v_fma_f32 v3, v21, v17, -v3
	s_delay_alu instid0(VALU_DEP_2) | instskip(NEXT) | instid1(VALU_DEP_1)
	v_add_f32_e32 v155, v155, v197
	v_add_f32_e32 v25, v155, v25
	v_mul_f32_e32 v155, v13, v10
	s_delay_alu instid0(VALU_DEP_2) | instskip(NEXT) | instid1(VALU_DEP_2)
	v_add_f32_e32 v25, v25, v26
	v_dual_fmac_f32 v155, v14, v9 :: v_dual_mul_f32 v26, v21, v18
	s_delay_alu instid0(VALU_DEP_2) | instskip(NEXT) | instid1(VALU_DEP_1)
	v_add_f32_e32 v25, v25, v29
	v_dual_fmac_f32 v26, v22, v17 :: v_dual_add_f32 v5, v25, v32
	s_delay_alu instid0(VALU_DEP_1) | instskip(SKIP_1) | instid1(VALU_DEP_1)
	v_add_f32_e32 v2, v5, v156
	v_fma_f32 v5, v13, v9, -v6
	v_dual_add_f32 v2, v2, v154 :: v_dual_add_f32 v1, v1, v5
	s_delay_alu instid0(VALU_DEP_1) | instskip(NEXT) | instid1(VALU_DEP_2)
	v_dual_mul_f32 v5, v24, v20 :: v_dual_add_f32 v2, v2, v155
	v_add_f32_e32 v1, v1, v4
	s_delay_alu instid0(VALU_DEP_2) | instskip(NEXT) | instid1(VALU_DEP_2)
	v_fma_f32 v4, v23, v19, -v5
	v_dual_add_f32 v2, v2, v157 :: v_dual_add_f32 v1, v1, v3
	s_delay_alu instid0(VALU_DEP_1) | instskip(NEXT) | instid1(VALU_DEP_1)
	v_dual_add_f32 v2, v2, v26 :: v_dual_add_f32 v1, v1, v4
	v_add_f32_e32 v2, v2, v28
	s_delay_alu instid0(VALU_DEP_1)
	v_dual_sub_f32 v1, v30, v1 :: v_dual_sub_f32 v2, v31, v2
	scratch_store_b64 off, v[1:2], off offset:128
	v_cmpx_lt_u32_e32 15, v0
	s_cbranch_execz .LBB58_337
; %bb.336:
	scratch_load_b64 v[1:2], off, off offset:120
	v_mov_b32_e32 v3, 0
	s_delay_alu instid0(VALU_DEP_1)
	v_mov_b32_e32 v4, v3
	scratch_store_b64 off, v[3:4], off offset:120
	s_wait_loadcnt 0x0
	ds_store_b64 v153, v[1:2]
.LBB58_337:
	s_wait_alu 0xfffe
	s_or_b32 exec_lo, exec_lo, s0
	s_wait_storecnt_dscnt 0x0
	s_barrier_signal -1
	s_barrier_wait -1
	global_inv scope:SCOPE_SE
	s_clause 0x4
	scratch_load_b128 v[5:8], off, off offset:128
	scratch_load_b128 v[1:4], off, off offset:144
	;; [unrolled: 1-line block ×5, first 2 shown]
	v_mov_b32_e32 v21, 0
	ds_load_b128 v[22:25], v21 offset:608
	ds_load_b128 v[26:29], v21 offset:624
	;; [unrolled: 1-line block ×3, first 2 shown]
	scratch_load_b64 v[30:31], off, off offset:120
	s_mov_b32 s0, exec_lo
	s_wait_loadcnt_dscnt 0x502
	v_mul_f32_e32 v32, v23, v6
	v_dual_mul_f32 v151, v22, v6 :: v_dual_mul_f32 v152, v24, v8
	v_mul_f32_e32 v6, v25, v8
	s_wait_loadcnt_dscnt 0x300
	v_mul_f32_e32 v158, v156, v12
	v_fma_f32 v22, v22, v5, -v32
	v_dual_fmac_f32 v151, v23, v5 :: v_dual_fmac_f32 v152, v25, v7
	v_mul_f32_e32 v25, v28, v4
	v_fma_f32 v23, v24, v7, -v6
	ds_load_b128 v[5:8], v21 offset:656
	v_mul_f32_e32 v24, v26, v2
	v_mul_f32_e32 v4, v29, v4
	;; [unrolled: 1-line block ×5, first 2 shown]
	v_dual_mul_f32 v2, v27, v2 :: v_dual_fmac_f32 v25, v29, v3
	v_fmac_f32_e32 v24, v27, v1
	v_fma_f32 v27, v28, v3, -v4
	v_fmac_f32_e32 v32, v155, v9
	v_fma_f32 v28, v154, v9, -v10
	;; [unrolled: 2-line block ×3, first 2 shown]
	ds_load_b128 v[9:12], v21 offset:672
	s_wait_loadcnt_dscnt 0x201
	v_dual_mul_f32 v155, v7, v16 :: v_dual_mul_f32 v154, v5, v14
	v_mul_f32_e32 v14, v6, v14
	v_mul_f32_e32 v16, v8, v16
	s_delay_alu instid0(VALU_DEP_3)
	v_fmac_f32_e32 v155, v8, v15
	v_fma_f32 v26, v26, v1, -v2
	scratch_load_b128 v[1:4], off, off offset:208
	v_fmac_f32_e32 v154, v6, v13
	v_fma_f32 v13, v5, v13, -v14
	v_fma_f32 v14, v7, v15, -v16
	ds_load_b128 v[5:8], v21 offset:688
	s_wait_loadcnt_dscnt 0x201
	v_mul_f32_e32 v15, v9, v18
	v_mul_f32_e32 v16, v10, v18
	;; [unrolled: 1-line block ×3, first 2 shown]
	s_delay_alu instid0(VALU_DEP_3) | instskip(NEXT) | instid1(VALU_DEP_3)
	v_dual_mul_f32 v20, v12, v20 :: v_dual_fmac_f32 v15, v10, v17
	v_fma_f32 v16, v9, v17, -v16
	s_delay_alu instid0(VALU_DEP_3) | instskip(NEXT) | instid1(VALU_DEP_3)
	v_fmac_f32_e32 v18, v12, v19
	v_fma_f32 v17, v11, v19, -v20
	scratch_load_b128 v[9:12], off, off offset:224
	s_wait_loadcnt_dscnt 0x100
	v_mul_f32_e32 v19, v5, v2
	v_mul_f32_e32 v2, v6, v2
	;; [unrolled: 1-line block ×3, first 2 shown]
	s_delay_alu instid0(VALU_DEP_3) | instskip(NEXT) | instid1(VALU_DEP_3)
	v_dual_mul_f32 v4, v8, v4 :: v_dual_fmac_f32 v19, v6, v1
	v_fma_f32 v156, v5, v1, -v2
	s_delay_alu instid0(VALU_DEP_3) | instskip(NEXT) | instid1(VALU_DEP_3)
	v_fmac_f32_e32 v20, v8, v3
	v_fma_f32 v157, v7, v3, -v4
	ds_load_b128 v[1:4], v21 offset:704
	ds_load_b128 v[5:8], v21 offset:720
	s_wait_loadcnt_dscnt 0x1
	v_mul_f32_e32 v159, v1, v10
	v_mul_f32_e32 v10, v2, v10
	s_delay_alu instid0(VALU_DEP_2) | instskip(NEXT) | instid1(VALU_DEP_2)
	v_dual_mul_f32 v160, v3, v12 :: v_dual_fmac_f32 v159, v2, v9
	v_fma_f32 v161, v1, v9, -v10
	v_mul_f32_e32 v1, v4, v12
	s_delay_alu instid0(VALU_DEP_3) | instskip(NEXT) | instid1(VALU_DEP_2)
	v_fmac_f32_e32 v160, v4, v11
	v_fma_f32 v162, v3, v11, -v1
	s_clause 0x1
	scratch_load_b128 v[1:4], off, off offset:240
	scratch_load_b128 v[9:12], off, off offset:256
	s_wait_loadcnt_dscnt 0x100
	v_mul_f32_e32 v163, v5, v2
	v_dual_mul_f32 v2, v6, v2 :: v_dual_mul_f32 v165, v7, v4
	s_delay_alu instid0(VALU_DEP_2) | instskip(NEXT) | instid1(VALU_DEP_2)
	v_fmac_f32_e32 v163, v6, v1
	v_fma_f32 v164, v5, v1, -v2
	v_mul_f32_e32 v1, v8, v4
	s_delay_alu instid0(VALU_DEP_4) | instskip(NEXT) | instid1(VALU_DEP_2)
	v_fmac_f32_e32 v165, v8, v3
	v_fma_f32 v166, v7, v3, -v1
	ds_load_b128 v[1:4], v21 offset:736
	ds_load_b128 v[5:8], v21 offset:752
	s_wait_loadcnt_dscnt 0x1
	v_mul_f32_e32 v167, v1, v10
	v_mul_f32_e32 v169, v3, v12
	s_delay_alu instid0(VALU_DEP_2) | instskip(NEXT) | instid1(VALU_DEP_2)
	v_fmac_f32_e32 v167, v2, v9
	v_dual_mul_f32 v2, v2, v10 :: v_dual_fmac_f32 v169, v4, v11
	s_delay_alu instid0(VALU_DEP_1) | instskip(SKIP_1) | instid1(VALU_DEP_1)
	v_fma_f32 v168, v1, v9, -v2
	v_mul_f32_e32 v1, v4, v12
	v_fma_f32 v170, v3, v11, -v1
	s_clause 0x1
	scratch_load_b128 v[1:4], off, off offset:272
	scratch_load_b128 v[9:12], off, off offset:288
	s_wait_loadcnt_dscnt 0x100
	v_mul_f32_e32 v171, v5, v2
	v_dual_mul_f32 v2, v6, v2 :: v_dual_mul_f32 v173, v7, v4
	s_delay_alu instid0(VALU_DEP_2) | instskip(NEXT) | instid1(VALU_DEP_2)
	v_fmac_f32_e32 v171, v6, v1
	v_fma_f32 v172, v5, v1, -v2
	v_mul_f32_e32 v1, v8, v4
	s_delay_alu instid0(VALU_DEP_4) | instskip(NEXT) | instid1(VALU_DEP_2)
	v_fmac_f32_e32 v173, v8, v3
	v_fma_f32 v174, v7, v3, -v1
	ds_load_b128 v[1:4], v21 offset:768
	ds_load_b128 v[5:8], v21 offset:784
	s_wait_loadcnt_dscnt 0x1
	v_mul_f32_e32 v175, v1, v10
	v_mul_f32_e32 v177, v3, v12
	s_delay_alu instid0(VALU_DEP_2) | instskip(NEXT) | instid1(VALU_DEP_2)
	v_fmac_f32_e32 v175, v2, v9
	v_dual_mul_f32 v2, v2, v10 :: v_dual_fmac_f32 v177, v4, v11
	s_delay_alu instid0(VALU_DEP_1) | instskip(SKIP_1) | instid1(VALU_DEP_1)
	v_fma_f32 v176, v1, v9, -v2
	v_mul_f32_e32 v1, v4, v12
	;; [unrolled: 25-line block ×4, first 2 shown]
	v_fma_f32 v194, v3, v11, -v1
	s_clause 0x1
	scratch_load_b128 v[1:4], off, off offset:368
	scratch_load_b128 v[9:12], off, off offset:384
	s_wait_loadcnt_dscnt 0x100
	v_mul_f32_e32 v195, v5, v2
	v_mul_f32_e32 v2, v6, v2
	s_delay_alu instid0(VALU_DEP_1) | instskip(SKIP_1) | instid1(VALU_DEP_1)
	v_fma_f32 v196, v5, v1, -v2
	v_add_f32_e32 v2, 0, v151
	v_add_f32_e32 v2, v2, v152
	s_delay_alu instid0(VALU_DEP_1) | instskip(NEXT) | instid1(VALU_DEP_1)
	v_add_f32_e32 v2, v2, v24
	v_add_f32_e32 v2, v2, v25
	s_delay_alu instid0(VALU_DEP_1) | instskip(NEXT) | instid1(VALU_DEP_1)
	;; [unrolled: 3-line block ×5, first 2 shown]
	v_add_f32_e32 v2, v2, v19
	v_add_f32_e32 v2, v2, v20
	s_delay_alu instid0(VALU_DEP_1) | instskip(SKIP_1) | instid1(VALU_DEP_2)
	v_add_f32_e32 v2, v2, v159
	v_fmac_f32_e32 v195, v6, v1
	v_add_f32_e32 v2, v2, v160
	s_delay_alu instid0(VALU_DEP_1) | instskip(NEXT) | instid1(VALU_DEP_1)
	v_dual_mul_f32 v197, v7, v4 :: v_dual_add_f32 v2, v2, v163
	v_dual_fmac_f32 v197, v8, v3 :: v_dual_add_f32 v2, v2, v165
	s_delay_alu instid0(VALU_DEP_1) | instskip(NEXT) | instid1(VALU_DEP_1)
	v_dual_mul_f32 v1, v8, v4 :: v_dual_add_f32 v2, v2, v167
	v_fma_f32 v198, v7, v3, -v1
	v_add_f32_e32 v1, 0, v22
	s_delay_alu instid0(VALU_DEP_3) | instskip(NEXT) | instid1(VALU_DEP_2)
	v_add_f32_e32 v5, v2, v169
	v_add_f32_e32 v1, v1, v23
	s_delay_alu instid0(VALU_DEP_1) | instskip(NEXT) | instid1(VALU_DEP_1)
	v_add_f32_e32 v1, v1, v26
	v_add_f32_e32 v1, v1, v27
	scratch_load_b64 v[26:27], off, off offset:464
	v_add_f32_e32 v1, v1, v28
	s_delay_alu instid0(VALU_DEP_1) | instskip(NEXT) | instid1(VALU_DEP_1)
	v_add_f32_e32 v1, v1, v29
	v_add_f32_e32 v1, v1, v13
	;; [unrolled: 1-line block ×3, first 2 shown]
	s_delay_alu instid0(VALU_DEP_2) | instskip(NEXT) | instid1(VALU_DEP_2)
	v_add_f32_e32 v1, v1, v14
	v_add_f32_e32 v13, v13, v173
	s_delay_alu instid0(VALU_DEP_2) | instskip(NEXT) | instid1(VALU_DEP_2)
	v_add_f32_e32 v1, v1, v16
	v_add_f32_e32 v13, v13, v175
	;; [unrolled: 3-line block ×3, first 2 shown]
	s_delay_alu instid0(VALU_DEP_2) | instskip(NEXT) | instid1(VALU_DEP_1)
	v_add_f32_e32 v1, v1, v156
	v_add_f32_e32 v1, v1, v157
	s_delay_alu instid0(VALU_DEP_1) | instskip(NEXT) | instid1(VALU_DEP_1)
	v_add_f32_e32 v1, v1, v161
	v_add_f32_e32 v1, v1, v162
	s_delay_alu instid0(VALU_DEP_1) | instskip(NEXT) | instid1(VALU_DEP_1)
	;; [unrolled: 3-line block ×3, first 2 shown]
	v_add_f32_e32 v1, v1, v168
	v_add_f32_e32 v1, v1, v170
	s_delay_alu instid0(VALU_DEP_1)
	v_add_f32_e32 v6, v1, v172
	scratch_load_b128 v[1:4], off, off offset:400
	v_add_f32_e32 v18, v18, v179
	v_add_f32_e32 v14, v6, v174
	ds_load_b128 v[5:8], v21 offset:864
	v_add_f32_e32 v18, v18, v181
	v_add_f32_e32 v14, v14, v176
	s_delay_alu instid0(VALU_DEP_1)
	v_add_f32_e32 v17, v14, v178
	ds_load_b128 v[13:16], v21 offset:880
	s_wait_loadcnt_dscnt 0x201
	v_mul_f32_e32 v32, v5, v10
	v_add_f32_e32 v22, v18, v183
	v_dual_mul_f32 v10, v6, v10 :: v_dual_mul_f32 v151, v7, v12
	v_mul_f32_e32 v12, v8, v12
	s_delay_alu instid0(VALU_DEP_4) | instskip(NEXT) | instid1(VALU_DEP_4)
	v_fmac_f32_e32 v32, v6, v9
	v_add_f32_e32 v22, v22, v185
	s_delay_alu instid0(VALU_DEP_4)
	v_fma_f32 v152, v5, v9, -v10
	v_fmac_f32_e32 v151, v8, v11
	v_fma_f32 v154, v7, v11, -v12
	scratch_load_b128 v[5:8], off, off offset:416
	v_add_f32_e32 v22, v22, v187
	scratch_load_b128 v[9:12], off, off offset:432
	s_wait_loadcnt_dscnt 0x200
	v_dual_add_f32 v22, v22, v189 :: v_dual_mul_f32 v155, v13, v2
	v_mul_f32_e32 v2, v14, v2
	v_mul_f32_e32 v156, v15, v4
	s_delay_alu instid0(VALU_DEP_3) | instskip(NEXT) | instid1(VALU_DEP_3)
	v_dual_mul_f32 v4, v16, v4 :: v_dual_fmac_f32 v155, v14, v1
	v_fma_f32 v157, v13, v1, -v2
	v_add_f32_e32 v13, v22, v191
	s_delay_alu instid0(VALU_DEP_3) | instskip(SKIP_3) | instid1(VALU_DEP_1)
	v_fma_f32 v158, v15, v3, -v4
	v_fmac_f32_e32 v156, v16, v3
	ds_load_b128 v[1:4], v21 offset:896
	v_add_f32_e32 v22, v13, v193
	v_add_f32_e32 v29, v22, v195
	s_delay_alu instid0(VALU_DEP_1) | instskip(NEXT) | instid1(VALU_DEP_1)
	v_add_f32_e32 v160, v29, v197
	v_add_f32_e32 v32, v160, v32
	s_delay_alu instid0(VALU_DEP_1) | instskip(NEXT) | instid1(VALU_DEP_1)
	v_dual_add_f32 v32, v32, v151 :: v_dual_add_f32 v17, v17, v180
	v_dual_add_f32 v32, v32, v155 :: v_dual_add_f32 v17, v17, v182
	s_delay_alu instid0(VALU_DEP_1) | instskip(NEXT) | instid1(VALU_DEP_2)
	v_add_f32_e32 v32, v32, v156
	v_add_f32_e32 v17, v17, v184
	s_delay_alu instid0(VALU_DEP_1) | instskip(SKIP_2) | instid1(VALU_DEP_1)
	v_add_f32_e32 v23, v17, v186
	scratch_load_b128 v[17:20], off, off offset:448
	v_add_f32_e32 v23, v23, v188
	v_add_f32_e32 v23, v23, v190
	s_delay_alu instid0(VALU_DEP_1) | instskip(NEXT) | instid1(VALU_DEP_1)
	v_add_f32_e32 v23, v23, v192
	v_add_f32_e32 v14, v23, v194
	ds_load_b128 v[22:25], v21 offset:928
	v_add_f32_e32 v28, v14, v196
	ds_load_b128 v[13:16], v21 offset:912
	s_wait_loadcnt_dscnt 0x100
	v_mul_f32_e32 v155, v15, v12
	s_delay_alu instid0(VALU_DEP_1) | instskip(SKIP_3) | instid1(VALU_DEP_1)
	v_fmac_f32_e32 v155, v16, v11
	v_add_f32_e32 v159, v28, v198
	ds_load_b64 v[28:29], v21 offset:944
	v_add_f32_e32 v152, v159, v152
	v_add_f32_e32 v152, v152, v154
	v_mul_f32_e32 v154, v13, v10
	s_delay_alu instid0(VALU_DEP_2) | instskip(NEXT) | instid1(VALU_DEP_2)
	v_add_f32_e32 v152, v152, v157
	v_dual_fmac_f32 v154, v14, v9 :: v_dual_mul_f32 v151, v3, v8
	v_mul_f32_e32 v8, v4, v8
	s_delay_alu instid0(VALU_DEP_3) | instskip(SKIP_2) | instid1(VALU_DEP_1)
	v_add_f32_e32 v152, v152, v158
	s_wait_dscnt 0x0
	v_mul_f32_e32 v156, v28, v27
	v_fmac_f32_e32 v156, v29, v26
	s_wait_loadcnt 0x0
	v_dual_mul_f32 v157, v22, v18 :: v_dual_mul_f32 v158, v24, v20
	s_delay_alu instid0(VALU_DEP_1) | instskip(SKIP_2) | instid1(VALU_DEP_4)
	v_fmac_f32_e32 v157, v23, v17
	v_mul_f32_e32 v159, v1, v6
	v_mul_f32_e32 v6, v2, v6
	v_fmac_f32_e32 v158, v25, v19
	v_fmac_f32_e32 v151, v4, v7
	s_delay_alu instid0(VALU_DEP_4) | instskip(NEXT) | instid1(VALU_DEP_4)
	v_fmac_f32_e32 v159, v2, v5
	v_fma_f32 v1, v1, v5, -v6
	v_fma_f32 v2, v3, v7, -v8
	v_mul_f32_e32 v3, v14, v10
	v_mul_f32_e32 v5, v16, v12
	v_add_f32_e32 v4, v32, v159
	v_add_f32_e32 v1, v152, v1
	s_delay_alu instid0(VALU_DEP_4) | instskip(NEXT) | instid1(VALU_DEP_4)
	v_fma_f32 v3, v13, v9, -v3
	v_fma_f32 v5, v15, v11, -v5
	s_delay_alu instid0(VALU_DEP_3) | instskip(NEXT) | instid1(VALU_DEP_1)
	v_dual_add_f32 v1, v1, v2 :: v_dual_add_f32 v2, v4, v151
	v_dual_mul_f32 v4, v23, v18 :: v_dual_add_f32 v1, v1, v3
	s_delay_alu instid0(VALU_DEP_2) | instskip(NEXT) | instid1(VALU_DEP_2)
	v_dual_add_f32 v2, v2, v154 :: v_dual_mul_f32 v3, v25, v20
	v_fma_f32 v4, v22, v17, -v4
	s_delay_alu instid0(VALU_DEP_2) | instskip(SKIP_1) | instid1(VALU_DEP_4)
	v_dual_add_f32 v1, v1, v5 :: v_dual_add_f32 v2, v2, v155
	v_mul_f32_e32 v5, v29, v27
	v_fma_f32 v3, v24, v19, -v3
	s_delay_alu instid0(VALU_DEP_3) | instskip(NEXT) | instid1(VALU_DEP_3)
	v_dual_add_f32 v1, v1, v4 :: v_dual_add_f32 v2, v2, v157
	v_fma_f32 v4, v28, v26, -v5
	s_delay_alu instid0(VALU_DEP_2) | instskip(NEXT) | instid1(VALU_DEP_1)
	v_dual_add_f32 v1, v1, v3 :: v_dual_add_f32 v2, v2, v158
	v_add_f32_e32 v1, v1, v4
	s_delay_alu instid0(VALU_DEP_2) | instskip(NEXT) | instid1(VALU_DEP_1)
	v_add_f32_e32 v2, v2, v156
	v_dual_sub_f32 v1, v30, v1 :: v_dual_sub_f32 v2, v31, v2
	scratch_store_b64 off, v[1:2], off offset:120
	v_cmpx_lt_u32_e32 14, v0
	s_cbranch_execz .LBB58_339
; %bb.338:
	scratch_load_b64 v[1:2], off, off offset:112
	v_mov_b32_e32 v22, v21
	scratch_store_b64 off, v[21:22], off offset:112
	s_wait_loadcnt 0x0
	ds_store_b64 v153, v[1:2]
.LBB58_339:
	s_wait_alu 0xfffe
	s_or_b32 exec_lo, exec_lo, s0
	s_wait_storecnt_dscnt 0x0
	s_barrier_signal -1
	s_barrier_wait -1
	global_inv scope:SCOPE_SE
	s_clause 0x4
	scratch_load_b128 v[5:8], off, off offset:120
	scratch_load_b128 v[1:4], off, off offset:136
	;; [unrolled: 1-line block ×5, first 2 shown]
	ds_load_2addr_b64 v[22:25], v21 offset0:75 offset1:76
	ds_load_2addr_b64 v[26:29], v21 offset0:77 offset1:78
	;; [unrolled: 1-line block ×3, first 2 shown]
	scratch_load_b64 v[30:31], off, off offset:112
	s_mov_b32 s0, exec_lo
	s_wait_loadcnt_dscnt 0x502
	v_mul_f32_e32 v32, v23, v6
	v_dual_mul_f32 v151, v22, v6 :: v_dual_mul_f32 v152, v24, v8
	v_mul_f32_e32 v6, v25, v8
	s_wait_loadcnt_dscnt 0x300
	v_mul_f32_e32 v158, v156, v12
	s_delay_alu instid0(VALU_DEP_3)
	v_dual_mul_f32 v12, v157, v12 :: v_dual_fmac_f32 v151, v23, v5
	v_fmac_f32_e32 v152, v25, v7
	v_fma_f32 v23, v24, v7, -v6
	v_mul_f32_e32 v25, v28, v4
	v_fma_f32 v22, v22, v5, -v32
	ds_load_2addr_b64 v[5:8], v21 offset0:81 offset1:82
	v_mul_f32_e32 v24, v26, v2
	v_mul_f32_e32 v4, v29, v4
	v_mul_f32_e32 v32, v154, v10
	v_mul_f32_e32 v10, v155, v10
	v_dual_mul_f32 v2, v27, v2 :: v_dual_fmac_f32 v25, v29, v3
	v_fmac_f32_e32 v24, v27, v1
	v_fma_f32 v27, v28, v3, -v4
	v_fmac_f32_e32 v32, v155, v9
	v_fma_f32 v28, v154, v9, -v10
	;; [unrolled: 2-line block ×3, first 2 shown]
	ds_load_2addr_b64 v[9:12], v21 offset0:83 offset1:84
	s_wait_loadcnt_dscnt 0x201
	v_dual_mul_f32 v155, v7, v16 :: v_dual_mul_f32 v154, v5, v14
	v_mul_f32_e32 v14, v6, v14
	v_mul_f32_e32 v16, v8, v16
	s_delay_alu instid0(VALU_DEP_3)
	v_fmac_f32_e32 v155, v8, v15
	v_fma_f32 v26, v26, v1, -v2
	scratch_load_b128 v[1:4], off, off offset:200
	v_fmac_f32_e32 v154, v6, v13
	v_fma_f32 v13, v5, v13, -v14
	v_fma_f32 v14, v7, v15, -v16
	ds_load_2addr_b64 v[5:8], v21 offset0:85 offset1:86
	s_wait_loadcnt_dscnt 0x201
	v_mul_f32_e32 v15, v9, v18
	v_mul_f32_e32 v16, v10, v18
	;; [unrolled: 1-line block ×3, first 2 shown]
	s_delay_alu instid0(VALU_DEP_3) | instskip(NEXT) | instid1(VALU_DEP_3)
	v_dual_mul_f32 v20, v12, v20 :: v_dual_fmac_f32 v15, v10, v17
	v_fma_f32 v16, v9, v17, -v16
	s_delay_alu instid0(VALU_DEP_3) | instskip(NEXT) | instid1(VALU_DEP_3)
	v_fmac_f32_e32 v18, v12, v19
	v_fma_f32 v17, v11, v19, -v20
	scratch_load_b128 v[9:12], off, off offset:216
	s_wait_loadcnt_dscnt 0x100
	v_mul_f32_e32 v19, v5, v2
	v_mul_f32_e32 v2, v6, v2
	;; [unrolled: 1-line block ×3, first 2 shown]
	s_delay_alu instid0(VALU_DEP_3) | instskip(NEXT) | instid1(VALU_DEP_3)
	v_dual_mul_f32 v4, v8, v4 :: v_dual_fmac_f32 v19, v6, v1
	v_fma_f32 v156, v5, v1, -v2
	s_delay_alu instid0(VALU_DEP_3) | instskip(NEXT) | instid1(VALU_DEP_3)
	v_fmac_f32_e32 v20, v8, v3
	v_fma_f32 v157, v7, v3, -v4
	ds_load_2addr_b64 v[1:4], v21 offset0:87 offset1:88
	ds_load_2addr_b64 v[5:8], v21 offset0:89 offset1:90
	s_wait_loadcnt_dscnt 0x1
	v_mul_f32_e32 v159, v1, v10
	v_mul_f32_e32 v10, v2, v10
	s_delay_alu instid0(VALU_DEP_2) | instskip(NEXT) | instid1(VALU_DEP_2)
	v_dual_mul_f32 v160, v3, v12 :: v_dual_fmac_f32 v159, v2, v9
	v_fma_f32 v161, v1, v9, -v10
	v_mul_f32_e32 v1, v4, v12
	s_delay_alu instid0(VALU_DEP_3) | instskip(NEXT) | instid1(VALU_DEP_2)
	v_fmac_f32_e32 v160, v4, v11
	v_fma_f32 v162, v3, v11, -v1
	s_clause 0x1
	scratch_load_b128 v[1:4], off, off offset:232
	scratch_load_b128 v[9:12], off, off offset:248
	s_wait_loadcnt_dscnt 0x100
	v_mul_f32_e32 v163, v5, v2
	v_dual_mul_f32 v2, v6, v2 :: v_dual_mul_f32 v165, v7, v4
	s_delay_alu instid0(VALU_DEP_2) | instskip(NEXT) | instid1(VALU_DEP_2)
	v_fmac_f32_e32 v163, v6, v1
	v_fma_f32 v164, v5, v1, -v2
	v_mul_f32_e32 v1, v8, v4
	s_delay_alu instid0(VALU_DEP_4) | instskip(NEXT) | instid1(VALU_DEP_2)
	v_fmac_f32_e32 v165, v8, v3
	v_fma_f32 v166, v7, v3, -v1
	ds_load_2addr_b64 v[1:4], v21 offset0:91 offset1:92
	ds_load_2addr_b64 v[5:8], v21 offset0:93 offset1:94
	s_wait_loadcnt_dscnt 0x1
	v_mul_f32_e32 v167, v1, v10
	v_mul_f32_e32 v169, v3, v12
	s_delay_alu instid0(VALU_DEP_2) | instskip(NEXT) | instid1(VALU_DEP_2)
	v_fmac_f32_e32 v167, v2, v9
	v_dual_mul_f32 v2, v2, v10 :: v_dual_fmac_f32 v169, v4, v11
	s_delay_alu instid0(VALU_DEP_1) | instskip(SKIP_1) | instid1(VALU_DEP_1)
	v_fma_f32 v168, v1, v9, -v2
	v_mul_f32_e32 v1, v4, v12
	v_fma_f32 v170, v3, v11, -v1
	s_clause 0x1
	scratch_load_b128 v[1:4], off, off offset:264
	scratch_load_b128 v[9:12], off, off offset:280
	s_wait_loadcnt_dscnt 0x100
	v_mul_f32_e32 v171, v5, v2
	v_dual_mul_f32 v2, v6, v2 :: v_dual_mul_f32 v173, v7, v4
	s_delay_alu instid0(VALU_DEP_2) | instskip(NEXT) | instid1(VALU_DEP_2)
	v_fmac_f32_e32 v171, v6, v1
	v_fma_f32 v172, v5, v1, -v2
	v_mul_f32_e32 v1, v8, v4
	s_delay_alu instid0(VALU_DEP_4) | instskip(NEXT) | instid1(VALU_DEP_2)
	v_fmac_f32_e32 v173, v8, v3
	v_fma_f32 v174, v7, v3, -v1
	ds_load_2addr_b64 v[1:4], v21 offset0:95 offset1:96
	ds_load_2addr_b64 v[5:8], v21 offset0:97 offset1:98
	s_wait_loadcnt_dscnt 0x1
	v_mul_f32_e32 v175, v1, v10
	v_mul_f32_e32 v177, v3, v12
	s_delay_alu instid0(VALU_DEP_2) | instskip(NEXT) | instid1(VALU_DEP_2)
	v_fmac_f32_e32 v175, v2, v9
	v_dual_mul_f32 v2, v2, v10 :: v_dual_fmac_f32 v177, v4, v11
	s_delay_alu instid0(VALU_DEP_1) | instskip(SKIP_1) | instid1(VALU_DEP_1)
	v_fma_f32 v176, v1, v9, -v2
	v_mul_f32_e32 v1, v4, v12
	;; [unrolled: 25-line block ×5, first 2 shown]
	v_fma_f32 v202, v3, v11, -v1
	s_clause 0x1
	scratch_load_b128 v[1:4], off, off offset:392
	scratch_load_b128 v[9:12], off, off offset:408
	s_wait_loadcnt_dscnt 0x100
	v_mul_f32_e32 v203, v5, v2
	v_mul_f32_e32 v2, v6, v2
	s_delay_alu instid0(VALU_DEP_1) | instskip(SKIP_1) | instid1(VALU_DEP_1)
	v_fma_f32 v204, v5, v1, -v2
	v_add_f32_e32 v2, 0, v151
	v_add_f32_e32 v2, v2, v152
	s_delay_alu instid0(VALU_DEP_1) | instskip(NEXT) | instid1(VALU_DEP_1)
	v_add_f32_e32 v2, v2, v24
	v_add_f32_e32 v2, v2, v25
	s_delay_alu instid0(VALU_DEP_1) | instskip(NEXT) | instid1(VALU_DEP_1)
	;; [unrolled: 3-line block ×8, first 2 shown]
	v_add_f32_e32 v2, v2, v167
	v_add_f32_e32 v2, v2, v169
	v_fmac_f32_e32 v203, v6, v1
	v_mul_f32_e32 v1, v8, v4
	s_delay_alu instid0(VALU_DEP_3) | instskip(NEXT) | instid1(VALU_DEP_2)
	v_dual_mul_f32 v205, v7, v4 :: v_dual_add_f32 v2, v2, v171
	v_fma_f32 v206, v7, v3, -v1
	v_add_f32_e32 v1, 0, v22
	s_delay_alu instid0(VALU_DEP_3) | instskip(NEXT) | instid1(VALU_DEP_2)
	v_dual_fmac_f32 v205, v8, v3 :: v_dual_add_f32 v2, v2, v173
	v_add_f32_e32 v1, v1, v23
	s_delay_alu instid0(VALU_DEP_2) | instskip(NEXT) | instid1(VALU_DEP_2)
	v_add_f32_e32 v5, v2, v175
	v_add_f32_e32 v1, v1, v26
	s_delay_alu instid0(VALU_DEP_2) | instskip(NEXT) | instid1(VALU_DEP_2)
	v_add_f32_e32 v5, v5, v177
	v_add_f32_e32 v1, v1, v27
	s_delay_alu instid0(VALU_DEP_1) | instskip(NEXT) | instid1(VALU_DEP_1)
	v_add_f32_e32 v1, v1, v28
	v_add_f32_e32 v1, v1, v29
	s_delay_alu instid0(VALU_DEP_1) | instskip(NEXT) | instid1(VALU_DEP_1)
	;; [unrolled: 3-line block ×9, first 2 shown]
	v_add_f32_e32 v1, v1, v176
	v_add_f32_e32 v6, v1, v178
	ds_load_2addr_b64 v[1:4], v21 offset0:111 offset1:112
	v_dual_add_f32 v5, v5, v179 :: v_dual_add_f32 v6, v6, v180
	s_delay_alu instid0(VALU_DEP_1) | instskip(SKIP_3) | instid1(VALU_DEP_1)
	v_dual_add_f32 v14, v5, v181 :: v_dual_add_f32 v13, v6, v182
	ds_load_2addr_b64 v[5:8], v21 offset0:113 offset1:114
	v_add_f32_e32 v13, v13, v184
	s_wait_loadcnt_dscnt 0x1
	v_dual_add_f32 v13, v13, v186 :: v_dual_mul_f32 v26, v3, v12
	v_add_f32_e32 v14, v14, v183
	v_dual_mul_f32 v12, v4, v12 :: v_dual_mul_f32 v25, v1, v10
	s_delay_alu instid0(VALU_DEP_3) | instskip(NEXT) | instid1(VALU_DEP_3)
	v_dual_add_f32 v13, v13, v188 :: v_dual_fmac_f32 v26, v4, v11
	v_add_f32_e32 v14, v14, v185
	v_mul_f32_e32 v10, v2, v10
	s_delay_alu instid0(VALU_DEP_4) | instskip(NEXT) | instid1(VALU_DEP_3)
	v_fma_f32 v28, v3, v11, -v12
	v_dual_add_f32 v18, v13, v190 :: v_dual_add_f32 v17, v14, v187
	s_delay_alu instid0(VALU_DEP_3) | instskip(SKIP_2) | instid1(VALU_DEP_1)
	v_fma_f32 v27, v1, v9, -v10
	scratch_load_b128 v[13:16], off, off offset:456
	v_dual_add_f32 v18, v18, v192 :: v_dual_add_f32 v17, v17, v189
	v_dual_add_f32 v18, v18, v194 :: v_dual_add_f32 v17, v17, v191
	s_delay_alu instid0(VALU_DEP_1) | instskip(NEXT) | instid1(VALU_DEP_1)
	v_dual_add_f32 v22, v18, v196 :: v_dual_add_f32 v17, v17, v193
	v_add_f32_e32 v29, v22, v198
	s_delay_alu instid0(VALU_DEP_2)
	v_add_f32_e32 v23, v17, v195
	ds_load_2addr_b64 v[17:20], v21 offset0:115 offset1:116
	v_dual_add_f32 v29, v29, v200 :: v_dual_add_f32 v32, v23, v197
	ds_load_2addr_b64 v[21:24], v21 offset0:117 offset1:118
	v_fmac_f32_e32 v25, v2, v9
	s_clause 0x1
	scratch_load_b128 v[1:4], off, off offset:424
	scratch_load_b128 v[9:12], off, off offset:440
	v_dual_add_f32 v32, v32, v199 :: v_dual_add_f32 v29, v29, v202
	s_delay_alu instid0(VALU_DEP_1) | instskip(NEXT) | instid1(VALU_DEP_1)
	v_dual_add_f32 v32, v32, v201 :: v_dual_add_f32 v29, v29, v204
	v_dual_add_f32 v32, v32, v203 :: v_dual_add_f32 v29, v29, v206
	s_delay_alu instid0(VALU_DEP_1) | instskip(SKIP_1) | instid1(VALU_DEP_1)
	v_dual_add_f32 v32, v32, v205 :: v_dual_add_f32 v27, v29, v27
	s_wait_loadcnt_dscnt 0x200
	v_dual_mul_f32 v156, v21, v14 :: v_dual_add_f32 v25, v32, v25
	s_delay_alu instid0(VALU_DEP_1) | instskip(NEXT) | instid1(VALU_DEP_1)
	v_dual_mul_f32 v29, v23, v16 :: v_dual_fmac_f32 v156, v22, v13
	v_fmac_f32_e32 v29, v24, v15
	s_wait_loadcnt 0x1
	v_mul_f32_e32 v151, v5, v2
	v_mul_f32_e32 v2, v6, v2
	;; [unrolled: 1-line block ×4, first 2 shown]
	s_wait_loadcnt 0x0
	v_dual_mul_f32 v154, v17, v10 :: v_dual_fmac_f32 v151, v6, v1
	v_fma_f32 v2, v5, v1, -v2
	v_add_f32_e32 v1, v27, v28
	v_add_f32_e32 v5, v25, v26
	v_mul_f32_e32 v6, v18, v10
	v_fmac_f32_e32 v152, v8, v3
	v_fma_f32 v3, v7, v3, -v4
	v_add_f32_e32 v1, v1, v2
	v_dual_add_f32 v2, v5, v151 :: v_dual_mul_f32 v155, v19, v12
	v_mul_f32_e32 v4, v20, v12
	v_fmac_f32_e32 v154, v18, v9
	v_fma_f32 v5, v17, v9, -v6
	s_delay_alu instid0(VALU_DEP_4) | instskip(SKIP_3) | instid1(VALU_DEP_4)
	v_dual_add_f32 v1, v1, v3 :: v_dual_add_f32 v2, v2, v152
	v_mul_f32_e32 v3, v22, v14
	v_fmac_f32_e32 v155, v20, v11
	v_fma_f32 v4, v19, v11, -v4
	v_dual_add_f32 v1, v1, v5 :: v_dual_add_f32 v2, v2, v154
	v_mul_f32_e32 v5, v24, v16
	v_fma_f32 v3, v21, v13, -v3
	s_delay_alu instid0(VALU_DEP_3) | instskip(NEXT) | instid1(VALU_DEP_3)
	v_dual_add_f32 v1, v1, v4 :: v_dual_add_f32 v2, v2, v155
	v_fma_f32 v4, v23, v15, -v5
	s_delay_alu instid0(VALU_DEP_2) | instskip(NEXT) | instid1(VALU_DEP_1)
	v_dual_add_f32 v1, v1, v3 :: v_dual_add_f32 v2, v2, v156
	v_dual_add_f32 v1, v1, v4 :: v_dual_add_f32 v2, v2, v29
	s_delay_alu instid0(VALU_DEP_1)
	v_dual_sub_f32 v1, v30, v1 :: v_dual_sub_f32 v2, v31, v2
	scratch_store_b64 off, v[1:2], off offset:112
	v_cmpx_lt_u32_e32 13, v0
	s_cbranch_execz .LBB58_341
; %bb.340:
	scratch_load_b64 v[1:2], off, off offset:104
	v_mov_b32_e32 v3, 0
	s_delay_alu instid0(VALU_DEP_1)
	v_mov_b32_e32 v4, v3
	scratch_store_b64 off, v[3:4], off offset:104
	s_wait_loadcnt 0x0
	ds_store_b64 v153, v[1:2]
.LBB58_341:
	s_wait_alu 0xfffe
	s_or_b32 exec_lo, exec_lo, s0
	s_wait_storecnt_dscnt 0x0
	s_barrier_signal -1
	s_barrier_wait -1
	global_inv scope:SCOPE_SE
	s_clause 0x4
	scratch_load_b128 v[5:8], off, off offset:112
	scratch_load_b128 v[1:4], off, off offset:128
	;; [unrolled: 1-line block ×5, first 2 shown]
	v_mov_b32_e32 v21, 0
	ds_load_b128 v[22:25], v21 offset:592
	ds_load_b128 v[26:29], v21 offset:608
	;; [unrolled: 1-line block ×3, first 2 shown]
	scratch_load_b64 v[30:31], off, off offset:104
	s_mov_b32 s0, exec_lo
	s_wait_loadcnt_dscnt 0x502
	v_mul_f32_e32 v32, v23, v6
	v_dual_mul_f32 v151, v22, v6 :: v_dual_mul_f32 v152, v24, v8
	v_mul_f32_e32 v6, v25, v8
	s_wait_loadcnt_dscnt 0x300
	v_mul_f32_e32 v158, v156, v12
	v_fma_f32 v22, v22, v5, -v32
	v_dual_fmac_f32 v151, v23, v5 :: v_dual_fmac_f32 v152, v25, v7
	v_mul_f32_e32 v25, v28, v4
	v_fma_f32 v23, v24, v7, -v6
	ds_load_b128 v[5:8], v21 offset:640
	v_mul_f32_e32 v24, v26, v2
	v_mul_f32_e32 v4, v29, v4
	;; [unrolled: 1-line block ×5, first 2 shown]
	v_dual_mul_f32 v2, v27, v2 :: v_dual_fmac_f32 v25, v29, v3
	v_fmac_f32_e32 v24, v27, v1
	v_fma_f32 v27, v28, v3, -v4
	v_fmac_f32_e32 v32, v155, v9
	v_fma_f32 v28, v154, v9, -v10
	;; [unrolled: 2-line block ×3, first 2 shown]
	ds_load_b128 v[9:12], v21 offset:656
	s_wait_loadcnt_dscnt 0x201
	v_dual_mul_f32 v155, v7, v16 :: v_dual_mul_f32 v154, v5, v14
	v_mul_f32_e32 v14, v6, v14
	v_mul_f32_e32 v16, v8, v16
	s_delay_alu instid0(VALU_DEP_3)
	v_fmac_f32_e32 v155, v8, v15
	v_fma_f32 v26, v26, v1, -v2
	scratch_load_b128 v[1:4], off, off offset:192
	v_fmac_f32_e32 v154, v6, v13
	v_fma_f32 v13, v5, v13, -v14
	v_fma_f32 v14, v7, v15, -v16
	ds_load_b128 v[5:8], v21 offset:672
	s_wait_loadcnt_dscnt 0x201
	v_mul_f32_e32 v15, v9, v18
	v_mul_f32_e32 v16, v10, v18
	;; [unrolled: 1-line block ×3, first 2 shown]
	s_delay_alu instid0(VALU_DEP_3) | instskip(NEXT) | instid1(VALU_DEP_3)
	v_dual_mul_f32 v20, v12, v20 :: v_dual_fmac_f32 v15, v10, v17
	v_fma_f32 v16, v9, v17, -v16
	s_delay_alu instid0(VALU_DEP_3) | instskip(NEXT) | instid1(VALU_DEP_3)
	v_fmac_f32_e32 v18, v12, v19
	v_fma_f32 v17, v11, v19, -v20
	scratch_load_b128 v[9:12], off, off offset:208
	s_wait_loadcnt_dscnt 0x100
	v_mul_f32_e32 v19, v5, v2
	v_mul_f32_e32 v2, v6, v2
	;; [unrolled: 1-line block ×3, first 2 shown]
	s_delay_alu instid0(VALU_DEP_3) | instskip(NEXT) | instid1(VALU_DEP_3)
	v_dual_mul_f32 v4, v8, v4 :: v_dual_fmac_f32 v19, v6, v1
	v_fma_f32 v156, v5, v1, -v2
	s_delay_alu instid0(VALU_DEP_3) | instskip(NEXT) | instid1(VALU_DEP_3)
	v_fmac_f32_e32 v20, v8, v3
	v_fma_f32 v157, v7, v3, -v4
	ds_load_b128 v[1:4], v21 offset:688
	ds_load_b128 v[5:8], v21 offset:704
	s_wait_loadcnt_dscnt 0x1
	v_mul_f32_e32 v159, v1, v10
	v_mul_f32_e32 v10, v2, v10
	s_delay_alu instid0(VALU_DEP_2) | instskip(NEXT) | instid1(VALU_DEP_2)
	v_dual_mul_f32 v160, v3, v12 :: v_dual_fmac_f32 v159, v2, v9
	v_fma_f32 v161, v1, v9, -v10
	v_mul_f32_e32 v1, v4, v12
	s_delay_alu instid0(VALU_DEP_3) | instskip(NEXT) | instid1(VALU_DEP_2)
	v_fmac_f32_e32 v160, v4, v11
	v_fma_f32 v162, v3, v11, -v1
	s_clause 0x1
	scratch_load_b128 v[1:4], off, off offset:224
	scratch_load_b128 v[9:12], off, off offset:240
	s_wait_loadcnt_dscnt 0x100
	v_mul_f32_e32 v163, v5, v2
	v_dual_mul_f32 v2, v6, v2 :: v_dual_mul_f32 v165, v7, v4
	s_delay_alu instid0(VALU_DEP_2) | instskip(NEXT) | instid1(VALU_DEP_2)
	v_fmac_f32_e32 v163, v6, v1
	v_fma_f32 v164, v5, v1, -v2
	v_mul_f32_e32 v1, v8, v4
	s_delay_alu instid0(VALU_DEP_4) | instskip(NEXT) | instid1(VALU_DEP_2)
	v_fmac_f32_e32 v165, v8, v3
	v_fma_f32 v166, v7, v3, -v1
	ds_load_b128 v[1:4], v21 offset:720
	ds_load_b128 v[5:8], v21 offset:736
	s_wait_loadcnt_dscnt 0x1
	v_mul_f32_e32 v167, v1, v10
	v_mul_f32_e32 v169, v3, v12
	s_delay_alu instid0(VALU_DEP_2) | instskip(NEXT) | instid1(VALU_DEP_2)
	v_fmac_f32_e32 v167, v2, v9
	v_dual_mul_f32 v2, v2, v10 :: v_dual_fmac_f32 v169, v4, v11
	s_delay_alu instid0(VALU_DEP_1) | instskip(SKIP_1) | instid1(VALU_DEP_1)
	v_fma_f32 v168, v1, v9, -v2
	v_mul_f32_e32 v1, v4, v12
	v_fma_f32 v170, v3, v11, -v1
	s_clause 0x1
	scratch_load_b128 v[1:4], off, off offset:256
	scratch_load_b128 v[9:12], off, off offset:272
	s_wait_loadcnt_dscnt 0x100
	v_mul_f32_e32 v171, v5, v2
	v_dual_mul_f32 v2, v6, v2 :: v_dual_mul_f32 v173, v7, v4
	s_delay_alu instid0(VALU_DEP_2) | instskip(NEXT) | instid1(VALU_DEP_2)
	v_fmac_f32_e32 v171, v6, v1
	v_fma_f32 v172, v5, v1, -v2
	v_mul_f32_e32 v1, v8, v4
	s_delay_alu instid0(VALU_DEP_4) | instskip(NEXT) | instid1(VALU_DEP_2)
	v_fmac_f32_e32 v173, v8, v3
	v_fma_f32 v174, v7, v3, -v1
	ds_load_b128 v[1:4], v21 offset:752
	ds_load_b128 v[5:8], v21 offset:768
	s_wait_loadcnt_dscnt 0x1
	v_mul_f32_e32 v175, v1, v10
	v_mul_f32_e32 v177, v3, v12
	s_delay_alu instid0(VALU_DEP_2) | instskip(NEXT) | instid1(VALU_DEP_2)
	v_fmac_f32_e32 v175, v2, v9
	v_dual_mul_f32 v2, v2, v10 :: v_dual_fmac_f32 v177, v4, v11
	s_delay_alu instid0(VALU_DEP_1) | instskip(SKIP_1) | instid1(VALU_DEP_1)
	v_fma_f32 v176, v1, v9, -v2
	v_mul_f32_e32 v1, v4, v12
	;; [unrolled: 25-line block ×5, first 2 shown]
	v_fma_f32 v202, v3, v11, -v1
	s_clause 0x1
	scratch_load_b128 v[1:4], off, off offset:384
	scratch_load_b128 v[9:12], off, off offset:400
	s_wait_loadcnt_dscnt 0x100
	v_mul_f32_e32 v203, v5, v2
	v_mul_f32_e32 v2, v6, v2
	s_delay_alu instid0(VALU_DEP_1) | instskip(SKIP_1) | instid1(VALU_DEP_1)
	v_fma_f32 v204, v5, v1, -v2
	v_add_f32_e32 v2, 0, v151
	v_add_f32_e32 v2, v2, v152
	s_delay_alu instid0(VALU_DEP_1) | instskip(NEXT) | instid1(VALU_DEP_1)
	v_add_f32_e32 v2, v2, v24
	v_add_f32_e32 v2, v2, v25
	s_delay_alu instid0(VALU_DEP_1) | instskip(NEXT) | instid1(VALU_DEP_1)
	;; [unrolled: 3-line block ×8, first 2 shown]
	v_add_f32_e32 v2, v2, v167
	v_add_f32_e32 v2, v2, v169
	s_delay_alu instid0(VALU_DEP_1) | instskip(SKIP_2) | instid1(VALU_DEP_3)
	v_add_f32_e32 v2, v2, v171
	v_fmac_f32_e32 v203, v6, v1
	v_mul_f32_e32 v1, v8, v4
	v_dual_mul_f32 v205, v7, v4 :: v_dual_add_f32 v2, v2, v173
	s_delay_alu instid0(VALU_DEP_2) | instskip(SKIP_1) | instid1(VALU_DEP_3)
	v_fma_f32 v206, v7, v3, -v1
	v_add_f32_e32 v1, 0, v22
	v_add_f32_e32 v5, v2, v175
	s_delay_alu instid0(VALU_DEP_2) | instskip(NEXT) | instid1(VALU_DEP_2)
	v_add_f32_e32 v1, v1, v23
	v_add_f32_e32 v5, v5, v177
	s_delay_alu instid0(VALU_DEP_2) | instskip(NEXT) | instid1(VALU_DEP_1)
	v_add_f32_e32 v1, v1, v26
	v_add_f32_e32 v1, v1, v27
	scratch_load_b64 v[26:27], off, off offset:464
	v_add_f32_e32 v1, v1, v28
	s_delay_alu instid0(VALU_DEP_1) | instskip(NEXT) | instid1(VALU_DEP_1)
	v_add_f32_e32 v1, v1, v29
	v_add_f32_e32 v1, v1, v13
	s_delay_alu instid0(VALU_DEP_1) | instskip(NEXT) | instid1(VALU_DEP_1)
	v_add_f32_e32 v1, v1, v14
	;; [unrolled: 3-line block ×8, first 2 shown]
	v_add_f32_e32 v1, v1, v176
	s_delay_alu instid0(VALU_DEP_1) | instskip(SKIP_2) | instid1(VALU_DEP_1)
	v_dual_add_f32 v6, v1, v178 :: v_dual_fmac_f32 v205, v8, v3
	ds_load_b128 v[1:4], v21 offset:880
	v_dual_add_f32 v5, v5, v179 :: v_dual_add_f32 v6, v6, v180
	v_dual_add_f32 v14, v5, v181 :: v_dual_add_f32 v13, v6, v182
	ds_load_b128 v[5:8], v21 offset:896
	s_wait_loadcnt_dscnt 0x101
	v_mul_f32_e32 v32, v1, v10
	v_dual_mul_f32 v10, v2, v10 :: v_dual_mul_f32 v151, v3, v12
	v_mul_f32_e32 v12, v4, v12
	v_add_f32_e32 v14, v14, v183
	s_delay_alu instid0(VALU_DEP_4) | instskip(NEXT) | instid1(VALU_DEP_4)
	v_fmac_f32_e32 v32, v2, v9
	v_fma_f32 v152, v1, v9, -v10
	v_fmac_f32_e32 v151, v4, v11
	v_fma_f32 v154, v3, v11, -v12
	s_clause 0x1
	scratch_load_b128 v[1:4], off, off offset:416
	scratch_load_b128 v[9:12], off, off offset:432
	v_dual_add_f32 v13, v13, v184 :: v_dual_add_f32 v14, v14, v185
	s_delay_alu instid0(VALU_DEP_1) | instskip(NEXT) | instid1(VALU_DEP_2)
	v_add_f32_e32 v13, v13, v186
	v_add_f32_e32 v17, v14, v187
	s_delay_alu instid0(VALU_DEP_2) | instskip(NEXT) | instid1(VALU_DEP_2)
	v_add_f32_e32 v13, v13, v188
	v_add_f32_e32 v17, v17, v189
	s_delay_alu instid0(VALU_DEP_2) | instskip(SKIP_2) | instid1(VALU_DEP_1)
	v_add_f32_e32 v18, v13, v190
	scratch_load_b128 v[13:16], off, off offset:448
	v_dual_add_f32 v17, v17, v191 :: v_dual_add_f32 v18, v18, v192
	v_dual_add_f32 v17, v17, v193 :: v_dual_add_f32 v18, v18, v194
	s_delay_alu instid0(VALU_DEP_1) | instskip(NEXT) | instid1(VALU_DEP_1)
	v_dual_add_f32 v17, v17, v195 :: v_dual_add_f32 v18, v18, v196
	v_add_f32_e32 v22, v17, v197
	s_delay_alu instid0(VALU_DEP_2) | instskip(NEXT) | instid1(VALU_DEP_1)
	v_add_f32_e32 v18, v18, v198
	v_add_f32_e32 v28, v18, v200
	ds_load_b128 v[17:20], v21 offset:912
	s_wait_loadcnt_dscnt 0x201
	v_dual_mul_f32 v158, v7, v4 :: v_dual_add_f32 v29, v22, v199
	ds_load_b128 v[22:25], v21 offset:928
	v_add_f32_e32 v155, v28, v202
	v_dual_mul_f32 v4, v8, v4 :: v_dual_mul_f32 v157, v5, v2
	v_add_f32_e32 v156, v29, v201
	s_delay_alu instid0(VALU_DEP_3)
	v_dual_mul_f32 v2, v6, v2 :: v_dual_add_f32 v155, v155, v204
	ds_load_b64 v[28:29], v21 offset:944
	v_dual_fmac_f32 v157, v6, v1 :: v_dual_add_f32 v156, v156, v203
	v_fma_f32 v2, v5, v1, -v2
	v_dual_add_f32 v155, v155, v206 :: v_dual_fmac_f32 v158, v8, v3
	v_fma_f32 v1, v7, v3, -v4
	s_wait_loadcnt_dscnt 0x102
	v_dual_add_f32 v156, v156, v205 :: v_dual_mul_f32 v3, v18, v10
	s_delay_alu instid0(VALU_DEP_3) | instskip(SKIP_1) | instid1(VALU_DEP_3)
	v_dual_add_f32 v152, v155, v152 :: v_dual_mul_f32 v155, v17, v10
	v_mul_f32_e32 v5, v20, v12
	v_add_f32_e32 v32, v156, v32
	v_mul_f32_e32 v156, v19, v12
	s_delay_alu instid0(VALU_DEP_4) | instskip(SKIP_3) | instid1(VALU_DEP_3)
	v_dual_add_f32 v152, v152, v154 :: v_dual_fmac_f32 v155, v18, v9
	v_fma_f32 v3, v17, v9, -v3
	s_wait_loadcnt_dscnt 0x1
	v_dual_add_f32 v32, v32, v151 :: v_dual_mul_f32 v159, v22, v14
	v_add_f32_e32 v2, v152, v2
	v_fmac_f32_e32 v156, v20, v11
	v_fma_f32 v5, v19, v11, -v5
	s_delay_alu instid0(VALU_DEP_4) | instskip(NEXT) | instid1(VALU_DEP_4)
	v_add_f32_e32 v4, v32, v157
	v_dual_mul_f32 v154, v24, v16 :: v_dual_add_f32 v1, v2, v1
	v_fmac_f32_e32 v159, v23, v13
	s_wait_dscnt 0x0
	v_mul_f32_e32 v151, v28, v27
	v_add_f32_e32 v2, v4, v158
	v_dual_mul_f32 v4, v23, v14 :: v_dual_add_f32 v1, v1, v3
	v_mul_f32_e32 v3, v25, v16
	v_fmac_f32_e32 v154, v25, v15
	s_delay_alu instid0(VALU_DEP_4) | instskip(NEXT) | instid1(VALU_DEP_4)
	v_add_f32_e32 v2, v2, v155
	v_fma_f32 v4, v22, v13, -v4
	v_add_f32_e32 v1, v1, v5
	v_mul_f32_e32 v5, v29, v27
	v_fma_f32 v3, v24, v15, -v3
	v_dual_add_f32 v2, v2, v156 :: v_dual_fmac_f32 v151, v29, v26
	s_delay_alu instid0(VALU_DEP_4) | instskip(NEXT) | instid1(VALU_DEP_4)
	v_add_f32_e32 v1, v1, v4
	v_fma_f32 v4, v28, v26, -v5
	s_delay_alu instid0(VALU_DEP_3) | instskip(NEXT) | instid1(VALU_DEP_1)
	v_add_f32_e32 v2, v2, v159
	v_dual_add_f32 v1, v1, v3 :: v_dual_add_f32 v2, v2, v154
	s_delay_alu instid0(VALU_DEP_1) | instskip(NEXT) | instid1(VALU_DEP_1)
	v_dual_add_f32 v1, v1, v4 :: v_dual_add_f32 v2, v2, v151
	v_dual_sub_f32 v1, v30, v1 :: v_dual_sub_f32 v2, v31, v2
	scratch_store_b64 off, v[1:2], off offset:104
	v_cmpx_lt_u32_e32 12, v0
	s_cbranch_execz .LBB58_343
; %bb.342:
	scratch_load_b64 v[1:2], off, off offset:96
	v_mov_b32_e32 v22, v21
	scratch_store_b64 off, v[21:22], off offset:96
	s_wait_loadcnt 0x0
	ds_store_b64 v153, v[1:2]
.LBB58_343:
	s_wait_alu 0xfffe
	s_or_b32 exec_lo, exec_lo, s0
	s_wait_storecnt_dscnt 0x0
	s_barrier_signal -1
	s_barrier_wait -1
	global_inv scope:SCOPE_SE
	s_clause 0x4
	scratch_load_b128 v[5:8], off, off offset:104
	scratch_load_b128 v[1:4], off, off offset:120
	;; [unrolled: 1-line block ×5, first 2 shown]
	ds_load_2addr_b64 v[22:25], v21 offset0:73 offset1:74
	ds_load_2addr_b64 v[26:29], v21 offset0:75 offset1:76
	;; [unrolled: 1-line block ×3, first 2 shown]
	scratch_load_b64 v[30:31], off, off offset:96
	s_mov_b32 s0, exec_lo
	s_wait_loadcnt_dscnt 0x502
	v_mul_f32_e32 v32, v23, v6
	v_dual_mul_f32 v151, v22, v6 :: v_dual_mul_f32 v152, v24, v8
	v_mul_f32_e32 v6, v25, v8
	s_wait_loadcnt_dscnt 0x300
	v_mul_f32_e32 v158, v156, v12
	s_delay_alu instid0(VALU_DEP_3)
	v_dual_mul_f32 v12, v157, v12 :: v_dual_fmac_f32 v151, v23, v5
	v_fmac_f32_e32 v152, v25, v7
	v_fma_f32 v23, v24, v7, -v6
	v_mul_f32_e32 v25, v28, v4
	v_fma_f32 v22, v22, v5, -v32
	ds_load_2addr_b64 v[5:8], v21 offset0:79 offset1:80
	v_mul_f32_e32 v24, v26, v2
	v_mul_f32_e32 v4, v29, v4
	;; [unrolled: 1-line block ×4, first 2 shown]
	v_dual_mul_f32 v2, v27, v2 :: v_dual_fmac_f32 v25, v29, v3
	v_fmac_f32_e32 v24, v27, v1
	v_fma_f32 v27, v28, v3, -v4
	v_fmac_f32_e32 v32, v155, v9
	v_fma_f32 v28, v154, v9, -v10
	v_fmac_f32_e32 v158, v157, v11
	v_fma_f32 v29, v156, v11, -v12
	ds_load_2addr_b64 v[9:12], v21 offset0:81 offset1:82
	s_wait_loadcnt_dscnt 0x201
	v_dual_mul_f32 v155, v7, v16 :: v_dual_mul_f32 v154, v5, v14
	v_mul_f32_e32 v14, v6, v14
	v_mul_f32_e32 v16, v8, v16
	s_delay_alu instid0(VALU_DEP_3)
	v_fmac_f32_e32 v155, v8, v15
	v_fma_f32 v26, v26, v1, -v2
	scratch_load_b128 v[1:4], off, off offset:184
	v_fmac_f32_e32 v154, v6, v13
	v_fma_f32 v13, v5, v13, -v14
	v_fma_f32 v14, v7, v15, -v16
	ds_load_2addr_b64 v[5:8], v21 offset0:83 offset1:84
	s_wait_loadcnt_dscnt 0x201
	v_mul_f32_e32 v15, v9, v18
	v_mul_f32_e32 v16, v10, v18
	;; [unrolled: 1-line block ×3, first 2 shown]
	s_delay_alu instid0(VALU_DEP_3) | instskip(NEXT) | instid1(VALU_DEP_3)
	v_dual_mul_f32 v20, v12, v20 :: v_dual_fmac_f32 v15, v10, v17
	v_fma_f32 v16, v9, v17, -v16
	s_delay_alu instid0(VALU_DEP_3) | instskip(NEXT) | instid1(VALU_DEP_3)
	v_fmac_f32_e32 v18, v12, v19
	v_fma_f32 v17, v11, v19, -v20
	scratch_load_b128 v[9:12], off, off offset:200
	s_wait_loadcnt_dscnt 0x100
	v_mul_f32_e32 v19, v5, v2
	v_mul_f32_e32 v2, v6, v2
	;; [unrolled: 1-line block ×3, first 2 shown]
	s_delay_alu instid0(VALU_DEP_3) | instskip(NEXT) | instid1(VALU_DEP_3)
	v_dual_mul_f32 v4, v8, v4 :: v_dual_fmac_f32 v19, v6, v1
	v_fma_f32 v156, v5, v1, -v2
	s_delay_alu instid0(VALU_DEP_3) | instskip(NEXT) | instid1(VALU_DEP_3)
	v_fmac_f32_e32 v20, v8, v3
	v_fma_f32 v157, v7, v3, -v4
	ds_load_2addr_b64 v[1:4], v21 offset0:85 offset1:86
	ds_load_2addr_b64 v[5:8], v21 offset0:87 offset1:88
	s_wait_loadcnt_dscnt 0x1
	v_mul_f32_e32 v159, v1, v10
	v_mul_f32_e32 v10, v2, v10
	s_delay_alu instid0(VALU_DEP_2) | instskip(NEXT) | instid1(VALU_DEP_2)
	v_dual_mul_f32 v160, v3, v12 :: v_dual_fmac_f32 v159, v2, v9
	v_fma_f32 v161, v1, v9, -v10
	v_mul_f32_e32 v1, v4, v12
	s_delay_alu instid0(VALU_DEP_3) | instskip(NEXT) | instid1(VALU_DEP_2)
	v_fmac_f32_e32 v160, v4, v11
	v_fma_f32 v162, v3, v11, -v1
	s_clause 0x1
	scratch_load_b128 v[1:4], off, off offset:216
	scratch_load_b128 v[9:12], off, off offset:232
	s_wait_loadcnt_dscnt 0x100
	v_mul_f32_e32 v163, v5, v2
	v_dual_mul_f32 v2, v6, v2 :: v_dual_mul_f32 v165, v7, v4
	s_delay_alu instid0(VALU_DEP_2) | instskip(NEXT) | instid1(VALU_DEP_2)
	v_fmac_f32_e32 v163, v6, v1
	v_fma_f32 v164, v5, v1, -v2
	v_mul_f32_e32 v1, v8, v4
	s_delay_alu instid0(VALU_DEP_4) | instskip(NEXT) | instid1(VALU_DEP_2)
	v_fmac_f32_e32 v165, v8, v3
	v_fma_f32 v166, v7, v3, -v1
	ds_load_2addr_b64 v[1:4], v21 offset0:89 offset1:90
	ds_load_2addr_b64 v[5:8], v21 offset0:91 offset1:92
	s_wait_loadcnt_dscnt 0x1
	v_mul_f32_e32 v167, v1, v10
	v_mul_f32_e32 v169, v3, v12
	s_delay_alu instid0(VALU_DEP_2) | instskip(NEXT) | instid1(VALU_DEP_2)
	v_fmac_f32_e32 v167, v2, v9
	v_dual_mul_f32 v2, v2, v10 :: v_dual_fmac_f32 v169, v4, v11
	s_delay_alu instid0(VALU_DEP_1) | instskip(SKIP_1) | instid1(VALU_DEP_1)
	v_fma_f32 v168, v1, v9, -v2
	v_mul_f32_e32 v1, v4, v12
	v_fma_f32 v170, v3, v11, -v1
	s_clause 0x1
	scratch_load_b128 v[1:4], off, off offset:248
	scratch_load_b128 v[9:12], off, off offset:264
	s_wait_loadcnt_dscnt 0x100
	v_mul_f32_e32 v171, v5, v2
	v_dual_mul_f32 v2, v6, v2 :: v_dual_mul_f32 v173, v7, v4
	s_delay_alu instid0(VALU_DEP_2) | instskip(NEXT) | instid1(VALU_DEP_2)
	v_fmac_f32_e32 v171, v6, v1
	v_fma_f32 v172, v5, v1, -v2
	v_mul_f32_e32 v1, v8, v4
	s_delay_alu instid0(VALU_DEP_4) | instskip(NEXT) | instid1(VALU_DEP_2)
	v_fmac_f32_e32 v173, v8, v3
	v_fma_f32 v174, v7, v3, -v1
	ds_load_2addr_b64 v[1:4], v21 offset0:93 offset1:94
	ds_load_2addr_b64 v[5:8], v21 offset0:95 offset1:96
	s_wait_loadcnt_dscnt 0x1
	v_mul_f32_e32 v175, v1, v10
	v_mul_f32_e32 v177, v3, v12
	s_delay_alu instid0(VALU_DEP_2) | instskip(NEXT) | instid1(VALU_DEP_2)
	v_fmac_f32_e32 v175, v2, v9
	v_dual_mul_f32 v2, v2, v10 :: v_dual_fmac_f32 v177, v4, v11
	s_delay_alu instid0(VALU_DEP_1) | instskip(SKIP_1) | instid1(VALU_DEP_1)
	v_fma_f32 v176, v1, v9, -v2
	v_mul_f32_e32 v1, v4, v12
	v_fma_f32 v178, v3, v11, -v1
	s_clause 0x1
	scratch_load_b128 v[1:4], off, off offset:280
	scratch_load_b128 v[9:12], off, off offset:296
	s_wait_loadcnt_dscnt 0x100
	v_mul_f32_e32 v179, v5, v2
	v_dual_mul_f32 v2, v6, v2 :: v_dual_mul_f32 v181, v7, v4
	s_delay_alu instid0(VALU_DEP_1) | instskip(NEXT) | instid1(VALU_DEP_3)
	v_fma_f32 v180, v5, v1, -v2
	v_fmac_f32_e32 v179, v6, v1
	v_mul_f32_e32 v1, v8, v4
	s_delay_alu instid0(VALU_DEP_4) | instskip(NEXT) | instid1(VALU_DEP_2)
	v_fmac_f32_e32 v181, v8, v3
	v_fma_f32 v182, v7, v3, -v1
	ds_load_2addr_b64 v[1:4], v21 offset0:97 offset1:98
	ds_load_2addr_b64 v[5:8], v21 offset0:99 offset1:100
	s_wait_loadcnt_dscnt 0x1
	v_mul_f32_e32 v183, v1, v10
	v_mul_f32_e32 v185, v3, v12
	s_delay_alu instid0(VALU_DEP_2) | instskip(NEXT) | instid1(VALU_DEP_2)
	v_fmac_f32_e32 v183, v2, v9
	v_dual_mul_f32 v2, v2, v10 :: v_dual_fmac_f32 v185, v4, v11
	s_delay_alu instid0(VALU_DEP_1) | instskip(SKIP_1) | instid1(VALU_DEP_1)
	v_fma_f32 v184, v1, v9, -v2
	v_mul_f32_e32 v1, v4, v12
	v_fma_f32 v186, v3, v11, -v1
	s_clause 0x1
	scratch_load_b128 v[1:4], off, off offset:312
	scratch_load_b128 v[9:12], off, off offset:328
	s_wait_loadcnt_dscnt 0x100
	v_mul_f32_e32 v187, v5, v2
	v_dual_mul_f32 v2, v6, v2 :: v_dual_mul_f32 v189, v7, v4
	s_delay_alu instid0(VALU_DEP_2) | instskip(NEXT) | instid1(VALU_DEP_2)
	v_fmac_f32_e32 v187, v6, v1
	v_fma_f32 v188, v5, v1, -v2
	v_mul_f32_e32 v1, v8, v4
	s_delay_alu instid0(VALU_DEP_4) | instskip(NEXT) | instid1(VALU_DEP_2)
	v_fmac_f32_e32 v189, v8, v3
	v_fma_f32 v190, v7, v3, -v1
	ds_load_2addr_b64 v[1:4], v21 offset0:101 offset1:102
	ds_load_2addr_b64 v[5:8], v21 offset0:103 offset1:104
	s_wait_loadcnt_dscnt 0x1
	v_mul_f32_e32 v191, v1, v10
	v_mul_f32_e32 v193, v3, v12
	s_delay_alu instid0(VALU_DEP_2) | instskip(NEXT) | instid1(VALU_DEP_2)
	v_fmac_f32_e32 v191, v2, v9
	v_dual_mul_f32 v2, v2, v10 :: v_dual_fmac_f32 v193, v4, v11
	s_delay_alu instid0(VALU_DEP_1) | instskip(SKIP_1) | instid1(VALU_DEP_1)
	v_fma_f32 v192, v1, v9, -v2
	v_mul_f32_e32 v1, v4, v12
	v_fma_f32 v194, v3, v11, -v1
	s_clause 0x1
	scratch_load_b128 v[1:4], off, off offset:344
	scratch_load_b128 v[9:12], off, off offset:360
	s_wait_loadcnt_dscnt 0x100
	v_mul_f32_e32 v195, v5, v2
	v_dual_mul_f32 v2, v6, v2 :: v_dual_mul_f32 v197, v7, v4
	s_delay_alu instid0(VALU_DEP_2) | instskip(NEXT) | instid1(VALU_DEP_2)
	v_fmac_f32_e32 v195, v6, v1
	v_fma_f32 v196, v5, v1, -v2
	v_mul_f32_e32 v1, v8, v4
	s_delay_alu instid0(VALU_DEP_4) | instskip(NEXT) | instid1(VALU_DEP_2)
	v_fmac_f32_e32 v197, v8, v3
	v_fma_f32 v198, v7, v3, -v1
	ds_load_2addr_b64 v[1:4], v21 offset0:105 offset1:106
	ds_load_2addr_b64 v[5:8], v21 offset0:107 offset1:108
	s_wait_loadcnt_dscnt 0x1
	v_mul_f32_e32 v199, v1, v10
	v_mul_f32_e32 v201, v3, v12
	s_delay_alu instid0(VALU_DEP_2) | instskip(NEXT) | instid1(VALU_DEP_2)
	v_fmac_f32_e32 v199, v2, v9
	v_dual_mul_f32 v2, v2, v10 :: v_dual_fmac_f32 v201, v4, v11
	s_delay_alu instid0(VALU_DEP_1) | instskip(SKIP_1) | instid1(VALU_DEP_1)
	v_fma_f32 v200, v1, v9, -v2
	v_mul_f32_e32 v1, v4, v12
	v_fma_f32 v202, v3, v11, -v1
	s_clause 0x1
	scratch_load_b128 v[1:4], off, off offset:376
	scratch_load_b128 v[9:12], off, off offset:392
	s_wait_loadcnt_dscnt 0x100
	v_mul_f32_e32 v203, v5, v2
	v_mul_f32_e32 v2, v6, v2
	s_delay_alu instid0(VALU_DEP_1) | instskip(SKIP_1) | instid1(VALU_DEP_1)
	v_fma_f32 v204, v5, v1, -v2
	v_add_f32_e32 v2, 0, v151
	v_add_f32_e32 v2, v2, v152
	s_delay_alu instid0(VALU_DEP_1) | instskip(NEXT) | instid1(VALU_DEP_1)
	v_add_f32_e32 v2, v2, v24
	v_add_f32_e32 v2, v2, v25
	s_delay_alu instid0(VALU_DEP_1) | instskip(NEXT) | instid1(VALU_DEP_1)
	;; [unrolled: 3-line block ×8, first 2 shown]
	v_add_f32_e32 v2, v2, v167
	v_dual_add_f32 v2, v2, v169 :: v_dual_mul_f32 v205, v7, v4
	v_fmac_f32_e32 v203, v6, v1
	s_delay_alu instid0(VALU_DEP_2) | instskip(NEXT) | instid1(VALU_DEP_1)
	v_add_f32_e32 v2, v2, v171
	v_dual_fmac_f32 v205, v8, v3 :: v_dual_add_f32 v2, v2, v173
	s_delay_alu instid0(VALU_DEP_1) | instskip(NEXT) | instid1(VALU_DEP_1)
	v_dual_mul_f32 v1, v8, v4 :: v_dual_add_f32 v2, v2, v175
	v_fma_f32 v206, v7, v3, -v1
	v_add_f32_e32 v1, 0, v22
	s_delay_alu instid0(VALU_DEP_3) | instskip(NEXT) | instid1(VALU_DEP_2)
	v_add_f32_e32 v5, v2, v177
	v_add_f32_e32 v1, v1, v23
	s_delay_alu instid0(VALU_DEP_1) | instskip(NEXT) | instid1(VALU_DEP_1)
	v_add_f32_e32 v1, v1, v26
	v_add_f32_e32 v1, v1, v27
	s_delay_alu instid0(VALU_DEP_1) | instskip(NEXT) | instid1(VALU_DEP_1)
	;; [unrolled: 3-line block ×10, first 2 shown]
	v_add_f32_e32 v1, v1, v176
	v_add_f32_e32 v1, v1, v178
	s_delay_alu instid0(VALU_DEP_1)
	v_add_f32_e32 v6, v1, v180
	v_add_f32_e32 v13, v5, v179
	ds_load_2addr_b64 v[1:4], v21 offset0:109 offset1:110
	v_add_f32_e32 v14, v6, v182
	scratch_load_b128 v[5:8], off, off offset:408
	v_dual_add_f32 v13, v13, v181 :: v_dual_add_f32 v14, v14, v184
	s_delay_alu instid0(VALU_DEP_1) | instskip(NEXT) | instid1(VALU_DEP_1)
	v_add_f32_e32 v13, v13, v183
	v_dual_add_f32 v17, v14, v186 :: v_dual_add_f32 v18, v13, v185
	ds_load_2addr_b64 v[13:16], v21 offset0:111 offset1:112
	v_add_f32_e32 v17, v17, v188
	s_wait_loadcnt_dscnt 0x101
	v_mul_f32_e32 v25, v1, v10
	v_mul_f32_e32 v10, v2, v10
	;; [unrolled: 1-line block ×4, first 2 shown]
	v_add_f32_e32 v18, v18, v187
	v_fmac_f32_e32 v25, v2, v9
	v_fma_f32 v27, v1, v9, -v10
	v_fmac_f32_e32 v26, v4, v11
	v_fma_f32 v28, v3, v11, -v12
	scratch_load_b128 v[1:4], off, off offset:424
	v_add_f32_e32 v17, v17, v190
	scratch_load_b128 v[9:12], off, off offset:440
	v_dual_add_f32 v18, v18, v189 :: v_dual_add_f32 v17, v17, v192
	s_delay_alu instid0(VALU_DEP_1) | instskip(SKIP_2) | instid1(VALU_DEP_1)
	v_dual_add_f32 v22, v18, v191 :: v_dual_add_f32 v23, v17, v194
	scratch_load_b128 v[17:20], off, off offset:456
	v_dual_add_f32 v22, v22, v193 :: v_dual_add_f32 v23, v23, v196
	v_add_f32_e32 v23, v23, v198
	s_wait_loadcnt_dscnt 0x300
	v_mul_f32_e32 v29, v13, v6
	v_mul_f32_e32 v6, v14, v6
	;; [unrolled: 1-line block ×3, first 2 shown]
	v_add_f32_e32 v22, v22, v195
	s_delay_alu instid0(VALU_DEP_4) | instskip(NEXT) | instid1(VALU_DEP_4)
	v_dual_mul_f32 v8, v16, v8 :: v_dual_fmac_f32 v29, v14, v5
	v_fma_f32 v151, v13, v5, -v6
	s_delay_alu instid0(VALU_DEP_3) | instskip(NEXT) | instid1(VALU_DEP_3)
	v_dual_fmac_f32 v32, v16, v7 :: v_dual_add_f32 v13, v22, v197
	v_fma_f32 v152, v15, v7, -v8
	ds_load_2addr_b64 v[5:8], v21 offset0:113 offset1:114
	v_dual_add_f32 v22, v23, v200 :: v_dual_add_f32 v23, v13, v199
	ds_load_2addr_b64 v[13:16], v21 offset0:115 offset1:116
	v_dual_add_f32 v154, v22, v202 :: v_dual_add_f32 v155, v23, v201
	ds_load_2addr_b64 v[21:24], v21 offset0:117 offset1:118
	v_dual_add_f32 v154, v154, v204 :: v_dual_add_f32 v155, v155, v203
	s_delay_alu instid0(VALU_DEP_1) | instskip(SKIP_1) | instid1(VALU_DEP_1)
	v_dual_add_f32 v154, v154, v206 :: v_dual_add_f32 v155, v155, v205
	s_wait_loadcnt_dscnt 0x202
	v_dual_mul_f32 v156, v5, v2 :: v_dual_add_f32 v27, v154, v27
	s_delay_alu instid0(VALU_DEP_2) | instskip(SKIP_2) | instid1(VALU_DEP_4)
	v_dual_mul_f32 v2, v6, v2 :: v_dual_add_f32 v25, v155, v25
	v_mul_f32_e32 v154, v7, v4
	v_mul_f32_e32 v4, v8, v4
	v_add_f32_e32 v27, v27, v28
	s_delay_alu instid0(VALU_DEP_4) | instskip(SKIP_4) | instid1(VALU_DEP_3)
	v_fma_f32 v2, v5, v1, -v2
	v_dual_add_f32 v25, v25, v26 :: v_dual_fmac_f32 v156, v6, v1
	s_wait_loadcnt_dscnt 0x101
	v_mul_f32_e32 v155, v13, v10
	v_dual_add_f32 v27, v27, v151 :: v_dual_mul_f32 v6, v14, v10
	v_dual_add_f32 v25, v25, v29 :: v_dual_fmac_f32 v154, v8, v3
	v_fma_f32 v3, v7, v3, -v4
	s_delay_alu instid0(VALU_DEP_3) | instskip(SKIP_1) | instid1(VALU_DEP_4)
	v_add_f32_e32 v1, v27, v152
	v_mul_f32_e32 v157, v15, v12
	v_add_f32_e32 v5, v25, v32
	v_dual_mul_f32 v4, v16, v12 :: v_dual_fmac_f32 v155, v14, v9
	s_delay_alu instid0(VALU_DEP_4)
	v_add_f32_e32 v1, v1, v2
	s_wait_loadcnt_dscnt 0x0
	v_mul_f32_e32 v26, v21, v18
	v_add_f32_e32 v2, v5, v156
	v_fma_f32 v5, v13, v9, -v6
	v_fmac_f32_e32 v157, v16, v11
	v_add_f32_e32 v1, v1, v3
	v_mul_f32_e32 v3, v22, v18
	v_add_f32_e32 v2, v2, v154
	v_fma_f32 v4, v15, v11, -v4
	s_delay_alu instid0(VALU_DEP_4) | instskip(NEXT) | instid1(VALU_DEP_3)
	v_dual_mul_f32 v28, v23, v20 :: v_dual_add_f32 v1, v1, v5
	v_dual_mul_f32 v5, v24, v20 :: v_dual_add_f32 v2, v2, v155
	v_fmac_f32_e32 v26, v22, v17
	v_fma_f32 v3, v21, v17, -v3
	s_delay_alu instid0(VALU_DEP_4) | instskip(NEXT) | instid1(VALU_DEP_4)
	v_dual_add_f32 v1, v1, v4 :: v_dual_fmac_f32 v28, v24, v19
	v_add_f32_e32 v2, v2, v157
	v_fma_f32 v4, v23, v19, -v5
	s_delay_alu instid0(VALU_DEP_2) | instskip(NEXT) | instid1(VALU_DEP_1)
	v_dual_add_f32 v1, v1, v3 :: v_dual_add_f32 v2, v2, v26
	v_add_f32_e32 v1, v1, v4
	s_delay_alu instid0(VALU_DEP_2) | instskip(NEXT) | instid1(VALU_DEP_1)
	v_add_f32_e32 v2, v2, v28
	v_dual_sub_f32 v1, v30, v1 :: v_dual_sub_f32 v2, v31, v2
	scratch_store_b64 off, v[1:2], off offset:96
	v_cmpx_lt_u32_e32 11, v0
	s_cbranch_execz .LBB58_345
; %bb.344:
	scratch_load_b64 v[1:2], off, off offset:88
	v_mov_b32_e32 v3, 0
	s_delay_alu instid0(VALU_DEP_1)
	v_mov_b32_e32 v4, v3
	scratch_store_b64 off, v[3:4], off offset:88
	s_wait_loadcnt 0x0
	ds_store_b64 v153, v[1:2]
.LBB58_345:
	s_wait_alu 0xfffe
	s_or_b32 exec_lo, exec_lo, s0
	s_wait_storecnt_dscnt 0x0
	s_barrier_signal -1
	s_barrier_wait -1
	global_inv scope:SCOPE_SE
	s_clause 0x4
	scratch_load_b128 v[5:8], off, off offset:96
	scratch_load_b128 v[1:4], off, off offset:112
	;; [unrolled: 1-line block ×5, first 2 shown]
	v_mov_b32_e32 v21, 0
	ds_load_b128 v[22:25], v21 offset:576
	ds_load_b128 v[26:29], v21 offset:592
	;; [unrolled: 1-line block ×3, first 2 shown]
	scratch_load_b64 v[30:31], off, off offset:88
	s_mov_b32 s0, exec_lo
	s_wait_loadcnt_dscnt 0x502
	v_mul_f32_e32 v32, v23, v6
	v_dual_mul_f32 v151, v22, v6 :: v_dual_mul_f32 v152, v24, v8
	v_mul_f32_e32 v6, v25, v8
	s_wait_loadcnt_dscnt 0x300
	v_mul_f32_e32 v158, v156, v12
	v_fma_f32 v22, v22, v5, -v32
	v_dual_fmac_f32 v151, v23, v5 :: v_dual_fmac_f32 v152, v25, v7
	v_mul_f32_e32 v25, v28, v4
	v_fma_f32 v23, v24, v7, -v6
	ds_load_b128 v[5:8], v21 offset:624
	v_mul_f32_e32 v24, v26, v2
	v_mul_f32_e32 v4, v29, v4
	;; [unrolled: 1-line block ×5, first 2 shown]
	v_dual_mul_f32 v2, v27, v2 :: v_dual_fmac_f32 v25, v29, v3
	v_fmac_f32_e32 v24, v27, v1
	v_fma_f32 v27, v28, v3, -v4
	v_fmac_f32_e32 v32, v155, v9
	v_fma_f32 v28, v154, v9, -v10
	;; [unrolled: 2-line block ×3, first 2 shown]
	ds_load_b128 v[9:12], v21 offset:640
	s_wait_loadcnt_dscnt 0x201
	v_dual_mul_f32 v155, v7, v16 :: v_dual_mul_f32 v154, v5, v14
	v_mul_f32_e32 v14, v6, v14
	v_mul_f32_e32 v16, v8, v16
	s_delay_alu instid0(VALU_DEP_3)
	v_fmac_f32_e32 v155, v8, v15
	v_fma_f32 v26, v26, v1, -v2
	scratch_load_b128 v[1:4], off, off offset:176
	v_fmac_f32_e32 v154, v6, v13
	v_fma_f32 v13, v5, v13, -v14
	v_fma_f32 v14, v7, v15, -v16
	ds_load_b128 v[5:8], v21 offset:656
	s_wait_loadcnt_dscnt 0x201
	v_mul_f32_e32 v15, v9, v18
	v_mul_f32_e32 v16, v10, v18
	;; [unrolled: 1-line block ×3, first 2 shown]
	s_delay_alu instid0(VALU_DEP_3) | instskip(NEXT) | instid1(VALU_DEP_3)
	v_dual_mul_f32 v20, v12, v20 :: v_dual_fmac_f32 v15, v10, v17
	v_fma_f32 v16, v9, v17, -v16
	s_delay_alu instid0(VALU_DEP_3) | instskip(NEXT) | instid1(VALU_DEP_3)
	v_fmac_f32_e32 v18, v12, v19
	v_fma_f32 v17, v11, v19, -v20
	scratch_load_b128 v[9:12], off, off offset:192
	s_wait_loadcnt_dscnt 0x100
	v_mul_f32_e32 v19, v5, v2
	v_mul_f32_e32 v2, v6, v2
	;; [unrolled: 1-line block ×3, first 2 shown]
	s_delay_alu instid0(VALU_DEP_3) | instskip(NEXT) | instid1(VALU_DEP_3)
	v_dual_mul_f32 v4, v8, v4 :: v_dual_fmac_f32 v19, v6, v1
	v_fma_f32 v156, v5, v1, -v2
	s_delay_alu instid0(VALU_DEP_3) | instskip(NEXT) | instid1(VALU_DEP_3)
	v_fmac_f32_e32 v20, v8, v3
	v_fma_f32 v157, v7, v3, -v4
	ds_load_b128 v[1:4], v21 offset:672
	ds_load_b128 v[5:8], v21 offset:688
	s_wait_loadcnt_dscnt 0x1
	v_mul_f32_e32 v159, v1, v10
	v_mul_f32_e32 v10, v2, v10
	s_delay_alu instid0(VALU_DEP_2) | instskip(NEXT) | instid1(VALU_DEP_2)
	v_dual_mul_f32 v160, v3, v12 :: v_dual_fmac_f32 v159, v2, v9
	v_fma_f32 v161, v1, v9, -v10
	v_mul_f32_e32 v1, v4, v12
	s_delay_alu instid0(VALU_DEP_3) | instskip(NEXT) | instid1(VALU_DEP_2)
	v_fmac_f32_e32 v160, v4, v11
	v_fma_f32 v162, v3, v11, -v1
	s_clause 0x1
	scratch_load_b128 v[1:4], off, off offset:208
	scratch_load_b128 v[9:12], off, off offset:224
	s_wait_loadcnt_dscnt 0x100
	v_mul_f32_e32 v163, v5, v2
	v_dual_mul_f32 v2, v6, v2 :: v_dual_mul_f32 v165, v7, v4
	s_delay_alu instid0(VALU_DEP_2) | instskip(NEXT) | instid1(VALU_DEP_2)
	v_fmac_f32_e32 v163, v6, v1
	v_fma_f32 v164, v5, v1, -v2
	v_mul_f32_e32 v1, v8, v4
	s_delay_alu instid0(VALU_DEP_4) | instskip(NEXT) | instid1(VALU_DEP_2)
	v_fmac_f32_e32 v165, v8, v3
	v_fma_f32 v166, v7, v3, -v1
	ds_load_b128 v[1:4], v21 offset:704
	ds_load_b128 v[5:8], v21 offset:720
	s_wait_loadcnt_dscnt 0x1
	v_mul_f32_e32 v167, v1, v10
	v_mul_f32_e32 v169, v3, v12
	s_delay_alu instid0(VALU_DEP_2) | instskip(NEXT) | instid1(VALU_DEP_2)
	v_fmac_f32_e32 v167, v2, v9
	v_dual_mul_f32 v2, v2, v10 :: v_dual_fmac_f32 v169, v4, v11
	s_delay_alu instid0(VALU_DEP_1) | instskip(SKIP_1) | instid1(VALU_DEP_1)
	v_fma_f32 v168, v1, v9, -v2
	v_mul_f32_e32 v1, v4, v12
	v_fma_f32 v170, v3, v11, -v1
	s_clause 0x1
	scratch_load_b128 v[1:4], off, off offset:240
	scratch_load_b128 v[9:12], off, off offset:256
	s_wait_loadcnt_dscnt 0x100
	v_mul_f32_e32 v171, v5, v2
	v_dual_mul_f32 v2, v6, v2 :: v_dual_mul_f32 v173, v7, v4
	s_delay_alu instid0(VALU_DEP_2) | instskip(NEXT) | instid1(VALU_DEP_2)
	v_fmac_f32_e32 v171, v6, v1
	v_fma_f32 v172, v5, v1, -v2
	v_mul_f32_e32 v1, v8, v4
	s_delay_alu instid0(VALU_DEP_4) | instskip(NEXT) | instid1(VALU_DEP_2)
	v_fmac_f32_e32 v173, v8, v3
	v_fma_f32 v174, v7, v3, -v1
	ds_load_b128 v[1:4], v21 offset:736
	ds_load_b128 v[5:8], v21 offset:752
	s_wait_loadcnt_dscnt 0x1
	v_mul_f32_e32 v175, v1, v10
	v_mul_f32_e32 v177, v3, v12
	s_delay_alu instid0(VALU_DEP_2) | instskip(NEXT) | instid1(VALU_DEP_2)
	v_fmac_f32_e32 v175, v2, v9
	v_dual_mul_f32 v2, v2, v10 :: v_dual_fmac_f32 v177, v4, v11
	s_delay_alu instid0(VALU_DEP_1) | instskip(SKIP_1) | instid1(VALU_DEP_1)
	v_fma_f32 v176, v1, v9, -v2
	v_mul_f32_e32 v1, v4, v12
	v_fma_f32 v178, v3, v11, -v1
	s_clause 0x1
	scratch_load_b128 v[1:4], off, off offset:272
	scratch_load_b128 v[9:12], off, off offset:288
	s_wait_loadcnt_dscnt 0x100
	v_mul_f32_e32 v179, v5, v2
	v_dual_mul_f32 v2, v6, v2 :: v_dual_mul_f32 v181, v7, v4
	s_delay_alu instid0(VALU_DEP_1) | instskip(NEXT) | instid1(VALU_DEP_3)
	v_fma_f32 v180, v5, v1, -v2
	v_fmac_f32_e32 v179, v6, v1
	v_mul_f32_e32 v1, v8, v4
	s_delay_alu instid0(VALU_DEP_4) | instskip(NEXT) | instid1(VALU_DEP_2)
	v_fmac_f32_e32 v181, v8, v3
	v_fma_f32 v182, v7, v3, -v1
	ds_load_b128 v[1:4], v21 offset:768
	ds_load_b128 v[5:8], v21 offset:784
	s_wait_loadcnt_dscnt 0x1
	v_mul_f32_e32 v183, v1, v10
	v_mul_f32_e32 v185, v3, v12
	s_delay_alu instid0(VALU_DEP_2) | instskip(NEXT) | instid1(VALU_DEP_2)
	v_fmac_f32_e32 v183, v2, v9
	v_dual_mul_f32 v2, v2, v10 :: v_dual_fmac_f32 v185, v4, v11
	s_delay_alu instid0(VALU_DEP_1) | instskip(SKIP_1) | instid1(VALU_DEP_1)
	v_fma_f32 v184, v1, v9, -v2
	v_mul_f32_e32 v1, v4, v12
	v_fma_f32 v186, v3, v11, -v1
	s_clause 0x1
	scratch_load_b128 v[1:4], off, off offset:304
	scratch_load_b128 v[9:12], off, off offset:320
	s_wait_loadcnt_dscnt 0x100
	v_mul_f32_e32 v187, v5, v2
	v_dual_mul_f32 v2, v6, v2 :: v_dual_mul_f32 v189, v7, v4
	s_delay_alu instid0(VALU_DEP_2) | instskip(NEXT) | instid1(VALU_DEP_2)
	v_fmac_f32_e32 v187, v6, v1
	v_fma_f32 v188, v5, v1, -v2
	v_mul_f32_e32 v1, v8, v4
	s_delay_alu instid0(VALU_DEP_4) | instskip(NEXT) | instid1(VALU_DEP_2)
	v_fmac_f32_e32 v189, v8, v3
	v_fma_f32 v190, v7, v3, -v1
	ds_load_b128 v[1:4], v21 offset:800
	ds_load_b128 v[5:8], v21 offset:816
	s_wait_loadcnt_dscnt 0x1
	v_mul_f32_e32 v191, v1, v10
	v_mul_f32_e32 v193, v3, v12
	s_delay_alu instid0(VALU_DEP_2) | instskip(NEXT) | instid1(VALU_DEP_2)
	v_fmac_f32_e32 v191, v2, v9
	v_dual_mul_f32 v2, v2, v10 :: v_dual_fmac_f32 v193, v4, v11
	s_delay_alu instid0(VALU_DEP_1) | instskip(SKIP_1) | instid1(VALU_DEP_1)
	v_fma_f32 v192, v1, v9, -v2
	v_mul_f32_e32 v1, v4, v12
	v_fma_f32 v194, v3, v11, -v1
	s_clause 0x1
	scratch_load_b128 v[1:4], off, off offset:336
	scratch_load_b128 v[9:12], off, off offset:352
	s_wait_loadcnt_dscnt 0x100
	v_mul_f32_e32 v195, v5, v2
	v_dual_mul_f32 v2, v6, v2 :: v_dual_mul_f32 v197, v7, v4
	s_delay_alu instid0(VALU_DEP_2) | instskip(NEXT) | instid1(VALU_DEP_2)
	v_fmac_f32_e32 v195, v6, v1
	v_fma_f32 v196, v5, v1, -v2
	v_mul_f32_e32 v1, v8, v4
	s_delay_alu instid0(VALU_DEP_4) | instskip(NEXT) | instid1(VALU_DEP_2)
	v_fmac_f32_e32 v197, v8, v3
	v_fma_f32 v198, v7, v3, -v1
	ds_load_b128 v[1:4], v21 offset:832
	ds_load_b128 v[5:8], v21 offset:848
	s_wait_loadcnt_dscnt 0x1
	v_mul_f32_e32 v199, v1, v10
	v_mul_f32_e32 v201, v3, v12
	s_delay_alu instid0(VALU_DEP_2) | instskip(NEXT) | instid1(VALU_DEP_2)
	v_fmac_f32_e32 v199, v2, v9
	v_dual_mul_f32 v2, v2, v10 :: v_dual_fmac_f32 v201, v4, v11
	s_delay_alu instid0(VALU_DEP_1) | instskip(SKIP_1) | instid1(VALU_DEP_1)
	v_fma_f32 v200, v1, v9, -v2
	v_mul_f32_e32 v1, v4, v12
	v_fma_f32 v202, v3, v11, -v1
	s_clause 0x1
	scratch_load_b128 v[1:4], off, off offset:368
	scratch_load_b128 v[9:12], off, off offset:384
	s_wait_loadcnt_dscnt 0x100
	v_mul_f32_e32 v203, v5, v2
	v_mul_f32_e32 v2, v6, v2
	s_delay_alu instid0(VALU_DEP_1) | instskip(SKIP_1) | instid1(VALU_DEP_1)
	v_fma_f32 v204, v5, v1, -v2
	v_add_f32_e32 v2, 0, v151
	v_add_f32_e32 v2, v2, v152
	s_delay_alu instid0(VALU_DEP_1) | instskip(NEXT) | instid1(VALU_DEP_1)
	v_add_f32_e32 v2, v2, v24
	v_add_f32_e32 v2, v2, v25
	s_delay_alu instid0(VALU_DEP_1) | instskip(NEXT) | instid1(VALU_DEP_1)
	;; [unrolled: 3-line block ×8, first 2 shown]
	v_add_f32_e32 v2, v2, v167
	v_add_f32_e32 v2, v2, v169
	s_delay_alu instid0(VALU_DEP_1) | instskip(SKIP_1) | instid1(VALU_DEP_2)
	v_add_f32_e32 v2, v2, v171
	v_fmac_f32_e32 v203, v6, v1
	v_dual_mul_f32 v205, v7, v4 :: v_dual_add_f32 v2, v2, v173
	s_delay_alu instid0(VALU_DEP_1) | instskip(NEXT) | instid1(VALU_DEP_1)
	v_dual_mul_f32 v1, v8, v4 :: v_dual_add_f32 v2, v2, v175
	v_fma_f32 v206, v7, v3, -v1
	v_add_f32_e32 v1, 0, v22
	s_delay_alu instid0(VALU_DEP_3) | instskip(NEXT) | instid1(VALU_DEP_2)
	v_add_f32_e32 v5, v2, v177
	v_add_f32_e32 v1, v1, v23
	s_delay_alu instid0(VALU_DEP_1) | instskip(NEXT) | instid1(VALU_DEP_1)
	v_add_f32_e32 v1, v1, v26
	v_add_f32_e32 v1, v1, v27
	scratch_load_b64 v[26:27], off, off offset:464
	v_add_f32_e32 v1, v1, v28
	s_delay_alu instid0(VALU_DEP_1) | instskip(NEXT) | instid1(VALU_DEP_1)
	v_add_f32_e32 v1, v1, v29
	v_add_f32_e32 v1, v1, v13
	s_delay_alu instid0(VALU_DEP_1) | instskip(NEXT) | instid1(VALU_DEP_1)
	v_add_f32_e32 v1, v1, v14
	;; [unrolled: 3-line block ×9, first 2 shown]
	v_dual_add_f32 v6, v1, v180 :: v_dual_fmac_f32 v205, v8, v3
	scratch_load_b128 v[1:4], off, off offset:400
	v_dual_add_f32 v13, v5, v179 :: v_dual_add_f32 v14, v6, v182
	ds_load_b128 v[5:8], v21 offset:864
	v_dual_add_f32 v13, v13, v181 :: v_dual_add_f32 v14, v14, v184
	s_delay_alu instid0(VALU_DEP_1) | instskip(NEXT) | instid1(VALU_DEP_1)
	v_add_f32_e32 v13, v13, v183
	v_dual_add_f32 v17, v14, v186 :: v_dual_add_f32 v18, v13, v185
	ds_load_b128 v[13:16], v21 offset:880
	v_add_f32_e32 v17, v17, v188
	s_delay_alu instid0(VALU_DEP_1)
	v_add_f32_e32 v17, v17, v190
	s_wait_loadcnt_dscnt 0x201
	v_mul_f32_e32 v151, v7, v12
	v_mul_f32_e32 v12, v8, v12
	v_add_f32_e32 v18, v18, v187
	v_mul_f32_e32 v32, v5, v10
	v_dual_mul_f32 v10, v6, v10 :: v_dual_add_f32 v17, v17, v192
	s_delay_alu instid0(VALU_DEP_3) | instskip(NEXT) | instid1(VALU_DEP_3)
	v_dual_fmac_f32 v151, v8, v11 :: v_dual_add_f32 v18, v18, v189
	v_fmac_f32_e32 v32, v6, v9
	s_delay_alu instid0(VALU_DEP_3)
	v_fma_f32 v152, v5, v9, -v10
	v_fma_f32 v154, v7, v11, -v12
	s_clause 0x1
	scratch_load_b128 v[5:8], off, off offset:416
	scratch_load_b128 v[9:12], off, off offset:432
	s_wait_loadcnt_dscnt 0x200
	v_dual_add_f32 v23, v17, v194 :: v_dual_mul_f32 v156, v15, v4
	v_add_f32_e32 v22, v18, v191
	scratch_load_b128 v[17:20], off, off offset:448
	v_add_f32_e32 v23, v23, v196
	v_dual_mul_f32 v4, v16, v4 :: v_dual_mul_f32 v155, v13, v2
	v_add_f32_e32 v22, v22, v193
	v_mul_f32_e32 v2, v14, v2
	s_delay_alu instid0(VALU_DEP_4) | instskip(NEXT) | instid1(VALU_DEP_4)
	v_dual_add_f32 v23, v23, v198 :: v_dual_fmac_f32 v156, v16, v3
	v_fmac_f32_e32 v155, v14, v1
	s_delay_alu instid0(VALU_DEP_4) | instskip(NEXT) | instid1(VALU_DEP_4)
	v_add_f32_e32 v22, v22, v195
	v_fma_f32 v157, v13, v1, -v2
	s_delay_alu instid0(VALU_DEP_4) | instskip(SKIP_3) | instid1(VALU_DEP_1)
	v_add_f32_e32 v23, v23, v200
	v_fma_f32 v158, v15, v3, -v4
	ds_load_b128 v[1:4], v21 offset:896
	v_add_f32_e32 v22, v22, v197
	v_dual_add_f32 v14, v23, v202 :: v_dual_add_f32 v13, v22, v199
	s_delay_alu instid0(VALU_DEP_1) | instskip(NEXT) | instid1(VALU_DEP_2)
	v_add_f32_e32 v28, v14, v204
	v_add_f32_e32 v22, v13, v201
	ds_load_b128 v[13:16], v21 offset:912
	v_add_f32_e32 v159, v28, v206
	v_add_f32_e32 v29, v22, v203
	ds_load_b128 v[22:25], v21 offset:928
	s_wait_loadcnt_dscnt 0x202
	v_dual_add_f32 v152, v159, v152 :: v_dual_mul_f32 v159, v1, v6
	v_add_f32_e32 v160, v29, v205
	ds_load_b64 v[28:29], v21 offset:944
	v_add_f32_e32 v152, v152, v154
	v_mul_f32_e32 v6, v2, v6
	v_dual_fmac_f32 v159, v2, v5 :: v_dual_add_f32 v32, v160, v32
	s_delay_alu instid0(VALU_DEP_3) | instskip(NEXT) | instid1(VALU_DEP_3)
	v_add_f32_e32 v152, v152, v157
	v_fma_f32 v1, v1, v5, -v6
	s_delay_alu instid0(VALU_DEP_3)
	v_add_f32_e32 v32, v32, v151
	s_wait_loadcnt_dscnt 0x102
	v_mul_f32_e32 v154, v13, v10
	v_add_f32_e32 v152, v152, v158
	v_mul_f32_e32 v5, v16, v12
	v_dual_add_f32 v32, v32, v155 :: v_dual_mul_f32 v155, v15, v12
	s_delay_alu instid0(VALU_DEP_3) | instskip(SKIP_1) | instid1(VALU_DEP_4)
	v_add_f32_e32 v1, v152, v1
	v_fmac_f32_e32 v154, v14, v9
	v_fma_f32 v5, v15, v11, -v5
	s_delay_alu instid0(VALU_DEP_4) | instskip(SKIP_3) | instid1(VALU_DEP_1)
	v_add_f32_e32 v32, v32, v156
	v_fmac_f32_e32 v155, v16, v11
	s_wait_dscnt 0x0
	v_mul_f32_e32 v156, v28, v27
	v_fmac_f32_e32 v156, v29, v26
	s_wait_loadcnt 0x0
	v_dual_mul_f32 v158, v24, v20 :: v_dual_mul_f32 v157, v22, v18
	s_delay_alu instid0(VALU_DEP_1) | instskip(NEXT) | instid1(VALU_DEP_2)
	v_dual_fmac_f32 v158, v25, v19 :: v_dual_mul_f32 v151, v3, v8
	v_dual_mul_f32 v8, v4, v8 :: v_dual_fmac_f32 v157, v23, v17
	s_delay_alu instid0(VALU_DEP_2) | instskip(NEXT) | instid1(VALU_DEP_2)
	v_fmac_f32_e32 v151, v4, v7
	v_fma_f32 v2, v3, v7, -v8
	v_dual_mul_f32 v3, v14, v10 :: v_dual_add_f32 v4, v32, v159
	s_delay_alu instid0(VALU_DEP_2) | instskip(NEXT) | instid1(VALU_DEP_2)
	v_add_f32_e32 v1, v1, v2
	v_fma_f32 v3, v13, v9, -v3
	s_delay_alu instid0(VALU_DEP_3) | instskip(NEXT) | instid1(VALU_DEP_2)
	v_add_f32_e32 v2, v4, v151
	v_dual_mul_f32 v4, v23, v18 :: v_dual_add_f32 v1, v1, v3
	s_delay_alu instid0(VALU_DEP_2) | instskip(NEXT) | instid1(VALU_DEP_2)
	v_dual_add_f32 v2, v2, v154 :: v_dual_mul_f32 v3, v25, v20
	v_fma_f32 v4, v22, v17, -v4
	s_delay_alu instid0(VALU_DEP_2) | instskip(SKIP_1) | instid1(VALU_DEP_4)
	v_dual_add_f32 v1, v1, v5 :: v_dual_add_f32 v2, v2, v155
	v_mul_f32_e32 v5, v29, v27
	v_fma_f32 v3, v24, v19, -v3
	s_delay_alu instid0(VALU_DEP_3) | instskip(NEXT) | instid1(VALU_DEP_3)
	v_dual_add_f32 v1, v1, v4 :: v_dual_add_f32 v2, v2, v157
	v_fma_f32 v4, v28, v26, -v5
	s_delay_alu instid0(VALU_DEP_2) | instskip(NEXT) | instid1(VALU_DEP_1)
	v_dual_add_f32 v1, v1, v3 :: v_dual_add_f32 v2, v2, v158
	v_add_f32_e32 v1, v1, v4
	s_delay_alu instid0(VALU_DEP_2) | instskip(NEXT) | instid1(VALU_DEP_1)
	v_add_f32_e32 v2, v2, v156
	v_dual_sub_f32 v1, v30, v1 :: v_dual_sub_f32 v2, v31, v2
	scratch_store_b64 off, v[1:2], off offset:88
	v_cmpx_lt_u32_e32 10, v0
	s_cbranch_execz .LBB58_347
; %bb.346:
	scratch_load_b64 v[1:2], off, off offset:80
	v_mov_b32_e32 v22, v21
	scratch_store_b64 off, v[21:22], off offset:80
	s_wait_loadcnt 0x0
	ds_store_b64 v153, v[1:2]
.LBB58_347:
	s_wait_alu 0xfffe
	s_or_b32 exec_lo, exec_lo, s0
	s_wait_storecnt_dscnt 0x0
	s_barrier_signal -1
	s_barrier_wait -1
	global_inv scope:SCOPE_SE
	s_clause 0x4
	scratch_load_b128 v[5:8], off, off offset:88
	scratch_load_b128 v[1:4], off, off offset:104
	;; [unrolled: 1-line block ×5, first 2 shown]
	ds_load_2addr_b64 v[22:25], v21 offset0:71 offset1:72
	ds_load_2addr_b64 v[26:29], v21 offset0:73 offset1:74
	;; [unrolled: 1-line block ×3, first 2 shown]
	scratch_load_b64 v[30:31], off, off offset:80
	s_mov_b32 s0, exec_lo
	s_wait_loadcnt_dscnt 0x502
	v_mul_f32_e32 v32, v23, v6
	v_dual_mul_f32 v151, v22, v6 :: v_dual_mul_f32 v152, v24, v8
	v_mul_f32_e32 v6, v25, v8
	s_wait_loadcnt_dscnt 0x300
	v_mul_f32_e32 v158, v156, v12
	s_delay_alu instid0(VALU_DEP_3)
	v_dual_mul_f32 v12, v157, v12 :: v_dual_fmac_f32 v151, v23, v5
	v_fmac_f32_e32 v152, v25, v7
	v_fma_f32 v23, v24, v7, -v6
	v_mul_f32_e32 v25, v28, v4
	v_fma_f32 v22, v22, v5, -v32
	ds_load_2addr_b64 v[5:8], v21 offset0:77 offset1:78
	v_mul_f32_e32 v24, v26, v2
	v_mul_f32_e32 v4, v29, v4
	v_mul_f32_e32 v32, v154, v10
	v_mul_f32_e32 v10, v155, v10
	v_dual_mul_f32 v2, v27, v2 :: v_dual_fmac_f32 v25, v29, v3
	v_fmac_f32_e32 v24, v27, v1
	v_fma_f32 v27, v28, v3, -v4
	v_fmac_f32_e32 v32, v155, v9
	v_fma_f32 v28, v154, v9, -v10
	;; [unrolled: 2-line block ×3, first 2 shown]
	ds_load_2addr_b64 v[9:12], v21 offset0:79 offset1:80
	s_wait_loadcnt_dscnt 0x201
	v_dual_mul_f32 v155, v7, v16 :: v_dual_mul_f32 v154, v5, v14
	v_mul_f32_e32 v14, v6, v14
	v_mul_f32_e32 v16, v8, v16
	s_delay_alu instid0(VALU_DEP_3)
	v_fmac_f32_e32 v155, v8, v15
	v_fma_f32 v26, v26, v1, -v2
	scratch_load_b128 v[1:4], off, off offset:168
	v_fmac_f32_e32 v154, v6, v13
	v_fma_f32 v13, v5, v13, -v14
	v_fma_f32 v14, v7, v15, -v16
	ds_load_2addr_b64 v[5:8], v21 offset0:81 offset1:82
	s_wait_loadcnt_dscnt 0x201
	v_mul_f32_e32 v15, v9, v18
	v_mul_f32_e32 v16, v10, v18
	;; [unrolled: 1-line block ×3, first 2 shown]
	s_delay_alu instid0(VALU_DEP_3) | instskip(NEXT) | instid1(VALU_DEP_3)
	v_dual_mul_f32 v20, v12, v20 :: v_dual_fmac_f32 v15, v10, v17
	v_fma_f32 v16, v9, v17, -v16
	s_delay_alu instid0(VALU_DEP_3) | instskip(NEXT) | instid1(VALU_DEP_3)
	v_fmac_f32_e32 v18, v12, v19
	v_fma_f32 v17, v11, v19, -v20
	scratch_load_b128 v[9:12], off, off offset:184
	s_wait_loadcnt_dscnt 0x100
	v_mul_f32_e32 v19, v5, v2
	v_mul_f32_e32 v2, v6, v2
	;; [unrolled: 1-line block ×3, first 2 shown]
	s_delay_alu instid0(VALU_DEP_3) | instskip(NEXT) | instid1(VALU_DEP_3)
	v_dual_mul_f32 v4, v8, v4 :: v_dual_fmac_f32 v19, v6, v1
	v_fma_f32 v156, v5, v1, -v2
	s_delay_alu instid0(VALU_DEP_3) | instskip(NEXT) | instid1(VALU_DEP_3)
	v_fmac_f32_e32 v20, v8, v3
	v_fma_f32 v157, v7, v3, -v4
	ds_load_2addr_b64 v[1:4], v21 offset0:83 offset1:84
	ds_load_2addr_b64 v[5:8], v21 offset0:85 offset1:86
	s_wait_loadcnt_dscnt 0x1
	v_mul_f32_e32 v159, v1, v10
	v_mul_f32_e32 v10, v2, v10
	s_delay_alu instid0(VALU_DEP_2) | instskip(NEXT) | instid1(VALU_DEP_2)
	v_dual_mul_f32 v160, v3, v12 :: v_dual_fmac_f32 v159, v2, v9
	v_fma_f32 v161, v1, v9, -v10
	v_mul_f32_e32 v1, v4, v12
	s_delay_alu instid0(VALU_DEP_3) | instskip(NEXT) | instid1(VALU_DEP_2)
	v_fmac_f32_e32 v160, v4, v11
	v_fma_f32 v162, v3, v11, -v1
	s_clause 0x1
	scratch_load_b128 v[1:4], off, off offset:200
	scratch_load_b128 v[9:12], off, off offset:216
	s_wait_loadcnt_dscnt 0x100
	v_mul_f32_e32 v163, v5, v2
	v_dual_mul_f32 v2, v6, v2 :: v_dual_mul_f32 v165, v7, v4
	s_delay_alu instid0(VALU_DEP_2) | instskip(NEXT) | instid1(VALU_DEP_2)
	v_fmac_f32_e32 v163, v6, v1
	v_fma_f32 v164, v5, v1, -v2
	v_mul_f32_e32 v1, v8, v4
	s_delay_alu instid0(VALU_DEP_4) | instskip(NEXT) | instid1(VALU_DEP_2)
	v_fmac_f32_e32 v165, v8, v3
	v_fma_f32 v166, v7, v3, -v1
	ds_load_2addr_b64 v[1:4], v21 offset0:87 offset1:88
	ds_load_2addr_b64 v[5:8], v21 offset0:89 offset1:90
	s_wait_loadcnt_dscnt 0x1
	v_mul_f32_e32 v167, v1, v10
	v_mul_f32_e32 v169, v3, v12
	s_delay_alu instid0(VALU_DEP_2) | instskip(NEXT) | instid1(VALU_DEP_2)
	v_fmac_f32_e32 v167, v2, v9
	v_dual_mul_f32 v2, v2, v10 :: v_dual_fmac_f32 v169, v4, v11
	s_delay_alu instid0(VALU_DEP_1) | instskip(SKIP_1) | instid1(VALU_DEP_1)
	v_fma_f32 v168, v1, v9, -v2
	v_mul_f32_e32 v1, v4, v12
	v_fma_f32 v170, v3, v11, -v1
	s_clause 0x1
	scratch_load_b128 v[1:4], off, off offset:232
	scratch_load_b128 v[9:12], off, off offset:248
	s_wait_loadcnt_dscnt 0x100
	v_mul_f32_e32 v171, v5, v2
	v_dual_mul_f32 v2, v6, v2 :: v_dual_mul_f32 v173, v7, v4
	s_delay_alu instid0(VALU_DEP_2) | instskip(NEXT) | instid1(VALU_DEP_2)
	v_fmac_f32_e32 v171, v6, v1
	v_fma_f32 v172, v5, v1, -v2
	v_mul_f32_e32 v1, v8, v4
	s_delay_alu instid0(VALU_DEP_4) | instskip(NEXT) | instid1(VALU_DEP_2)
	v_fmac_f32_e32 v173, v8, v3
	v_fma_f32 v174, v7, v3, -v1
	ds_load_2addr_b64 v[1:4], v21 offset0:91 offset1:92
	ds_load_2addr_b64 v[5:8], v21 offset0:93 offset1:94
	s_wait_loadcnt_dscnt 0x1
	v_mul_f32_e32 v175, v1, v10
	v_mul_f32_e32 v177, v3, v12
	s_delay_alu instid0(VALU_DEP_2) | instskip(NEXT) | instid1(VALU_DEP_2)
	v_fmac_f32_e32 v175, v2, v9
	v_dual_mul_f32 v2, v2, v10 :: v_dual_fmac_f32 v177, v4, v11
	s_delay_alu instid0(VALU_DEP_1) | instskip(SKIP_1) | instid1(VALU_DEP_1)
	v_fma_f32 v176, v1, v9, -v2
	v_mul_f32_e32 v1, v4, v12
	;; [unrolled: 25-line block ×6, first 2 shown]
	v_fma_f32 v210, v3, v11, -v1
	s_clause 0x1
	scratch_load_b128 v[1:4], off, off offset:392
	scratch_load_b128 v[9:12], off, off offset:408
	s_wait_loadcnt_dscnt 0x100
	v_mul_f32_e32 v211, v5, v2
	v_mul_f32_e32 v2, v6, v2
	s_delay_alu instid0(VALU_DEP_2) | instskip(NEXT) | instid1(VALU_DEP_2)
	v_fmac_f32_e32 v211, v6, v1
	v_fma_f32 v212, v5, v1, -v2
	v_dual_add_f32 v2, 0, v151 :: v_dual_mul_f32 v1, v8, v4
	s_delay_alu instid0(VALU_DEP_1) | instskip(NEXT) | instid1(VALU_DEP_2)
	v_add_f32_e32 v2, v2, v152
	v_fma_f32 v214, v7, v3, -v1
	s_delay_alu instid0(VALU_DEP_2) | instskip(NEXT) | instid1(VALU_DEP_1)
	v_add_f32_e32 v2, v2, v24
	v_add_f32_e32 v2, v2, v25
	s_delay_alu instid0(VALU_DEP_1) | instskip(NEXT) | instid1(VALU_DEP_1)
	v_dual_add_f32 v2, v2, v32 :: v_dual_add_f32 v1, 0, v22
	v_dual_add_f32 v2, v2, v158 :: v_dual_add_f32 v1, v1, v23
	s_delay_alu instid0(VALU_DEP_1) | instskip(NEXT) | instid1(VALU_DEP_1)
	v_add_f32_e32 v2, v2, v154
	v_dual_add_f32 v1, v1, v26 :: v_dual_add_f32 v2, v2, v155
	s_delay_alu instid0(VALU_DEP_1) | instskip(NEXT) | instid1(VALU_DEP_2)
	v_add_f32_e32 v1, v1, v27
	v_add_f32_e32 v2, v2, v15
	s_delay_alu instid0(VALU_DEP_1) | instskip(NEXT) | instid1(VALU_DEP_1)
	v_add_f32_e32 v2, v2, v18
	v_add_f32_e32 v2, v2, v19
	s_delay_alu instid0(VALU_DEP_1) | instskip(NEXT) | instid1(VALU_DEP_1)
	v_add_f32_e32 v2, v2, v20
	v_add_f32_e32 v2, v2, v159
	s_delay_alu instid0(VALU_DEP_1) | instskip(NEXT) | instid1(VALU_DEP_1)
	v_add_f32_e32 v2, v2, v160
	v_add_f32_e32 v2, v2, v163
	s_delay_alu instid0(VALU_DEP_1) | instskip(NEXT) | instid1(VALU_DEP_1)
	v_add_f32_e32 v2, v2, v165
	v_add_f32_e32 v2, v2, v167
	s_delay_alu instid0(VALU_DEP_1) | instskip(NEXT) | instid1(VALU_DEP_1)
	v_dual_add_f32 v2, v2, v169 :: v_dual_add_f32 v1, v1, v28
	v_dual_add_f32 v2, v2, v171 :: v_dual_add_f32 v1, v1, v29
	s_delay_alu instid0(VALU_DEP_1) | instskip(NEXT) | instid1(VALU_DEP_1)
	v_add_f32_e32 v2, v2, v173
	v_dual_add_f32 v1, v1, v13 :: v_dual_add_f32 v2, v2, v175
	s_delay_alu instid0(VALU_DEP_1) | instskip(NEXT) | instid1(VALU_DEP_1)
	v_dual_add_f32 v2, v2, v177 :: v_dual_add_f32 v1, v1, v14
	v_add_f32_e32 v1, v1, v16
	s_delay_alu instid0(VALU_DEP_1) | instskip(NEXT) | instid1(VALU_DEP_1)
	v_add_f32_e32 v1, v1, v17
	v_add_f32_e32 v1, v1, v156
	s_delay_alu instid0(VALU_DEP_1) | instskip(NEXT) | instid1(VALU_DEP_1)
	v_add_f32_e32 v1, v1, v157
	v_add_f32_e32 v1, v1, v161
	s_delay_alu instid0(VALU_DEP_1) | instskip(NEXT) | instid1(VALU_DEP_1)
	v_add_f32_e32 v1, v1, v162
	v_add_f32_e32 v1, v1, v164
	s_delay_alu instid0(VALU_DEP_1) | instskip(NEXT) | instid1(VALU_DEP_1)
	v_add_f32_e32 v1, v1, v166
	v_add_f32_e32 v1, v1, v168
	s_delay_alu instid0(VALU_DEP_1) | instskip(NEXT) | instid1(VALU_DEP_1)
	v_add_f32_e32 v1, v1, v170
	v_add_f32_e32 v1, v1, v172
	s_delay_alu instid0(VALU_DEP_1) | instskip(NEXT) | instid1(VALU_DEP_1)
	v_add_f32_e32 v1, v1, v174
	v_add_f32_e32 v1, v1, v176
	s_delay_alu instid0(VALU_DEP_1) | instskip(NEXT) | instid1(VALU_DEP_1)
	v_add_f32_e32 v1, v1, v178
	v_add_f32_e32 v1, v1, v180
	s_delay_alu instid0(VALU_DEP_1) | instskip(NEXT) | instid1(VALU_DEP_1)
	v_add_f32_e32 v1, v1, v182
	v_add_f32_e32 v1, v1, v184
	s_delay_alu instid0(VALU_DEP_1) | instskip(SKIP_1) | instid1(VALU_DEP_2)
	v_add_f32_e32 v6, v1, v186
	v_add_f32_e32 v2, v2, v179
	;; [unrolled: 1-line block ×3, first 2 shown]
	s_delay_alu instid0(VALU_DEP_2) | instskip(NEXT) | instid1(VALU_DEP_2)
	v_add_f32_e32 v2, v2, v181
	v_add_f32_e32 v13, v6, v190
	s_delay_alu instid0(VALU_DEP_2) | instskip(NEXT) | instid1(VALU_DEP_2)
	v_add_f32_e32 v5, v2, v183
	v_add_f32_e32 v13, v13, v192
	;; [unrolled: 3-line block ×3, first 2 shown]
	s_delay_alu instid0(VALU_DEP_2) | instskip(SKIP_1) | instid1(VALU_DEP_3)
	v_add_f32_e32 v5, v5, v187
	v_mul_f32_e32 v213, v7, v4
	v_add_f32_e32 v13, v13, v196
	s_delay_alu instid0(VALU_DEP_2) | instskip(SKIP_3) | instid1(VALU_DEP_1)
	v_dual_add_f32 v14, v5, v189 :: v_dual_fmac_f32 v213, v8, v3
	ds_load_2addr_b64 v[1:4], v21 offset0:111 offset1:112
	ds_load_2addr_b64 v[5:8], v21 offset0:113 offset1:114
	v_add_f32_e32 v18, v13, v198
	v_add_f32_e32 v18, v18, v200
	s_delay_alu instid0(VALU_DEP_1) | instskip(SKIP_1) | instid1(VALU_DEP_1)
	v_add_f32_e32 v18, v18, v202
	s_wait_loadcnt_dscnt 0x1
	v_dual_add_f32 v22, v18, v204 :: v_dual_mul_f32 v25, v1, v10
	v_mul_f32_e32 v26, v3, v12
	v_mul_f32_e32 v10, v2, v10
	s_delay_alu instid0(VALU_DEP_3) | instskip(NEXT) | instid1(VALU_DEP_3)
	v_dual_mul_f32 v12, v4, v12 :: v_dual_add_f32 v29, v22, v206
	v_dual_fmac_f32 v25, v2, v9 :: v_dual_fmac_f32 v26, v4, v11
	s_delay_alu instid0(VALU_DEP_3) | instskip(NEXT) | instid1(VALU_DEP_3)
	v_fma_f32 v27, v1, v9, -v10
	v_fma_f32 v28, v3, v11, -v12
	s_clause 0x1
	scratch_load_b128 v[1:4], off, off offset:424
	scratch_load_b128 v[9:12], off, off offset:440
	v_dual_add_f32 v14, v14, v191 :: v_dual_add_f32 v29, v29, v208
	s_delay_alu instid0(VALU_DEP_1) | instskip(NEXT) | instid1(VALU_DEP_1)
	v_dual_add_f32 v14, v14, v193 :: v_dual_add_f32 v29, v29, v210
	v_add_f32_e32 v17, v14, v195
	scratch_load_b128 v[13:16], off, off offset:456
	v_add_f32_e32 v29, v29, v212
	v_add_f32_e32 v17, v17, v197
	s_delay_alu instid0(VALU_DEP_2) | instskip(NEXT) | instid1(VALU_DEP_2)
	v_add_f32_e32 v29, v29, v214
	v_add_f32_e32 v17, v17, v199
	s_delay_alu instid0(VALU_DEP_2) | instskip(NEXT) | instid1(VALU_DEP_2)
	v_add_f32_e32 v27, v29, v27
	v_add_f32_e32 v17, v17, v201
	s_delay_alu instid0(VALU_DEP_1)
	v_add_f32_e32 v23, v17, v203
	ds_load_2addr_b64 v[17:20], v21 offset0:115 offset1:116
	v_add_f32_e32 v32, v23, v205
	ds_load_2addr_b64 v[21:24], v21 offset0:117 offset1:118
	s_wait_loadcnt_dscnt 0x202
	v_mul_f32_e32 v152, v7, v4
	v_add_f32_e32 v32, v32, v207
	s_wait_loadcnt_dscnt 0x101
	v_mul_f32_e32 v154, v17, v10
	v_mul_f32_e32 v151, v5, v2
	;; [unrolled: 1-line block ×4, first 2 shown]
	v_add_f32_e32 v32, v32, v209
	s_delay_alu instid0(VALU_DEP_4) | instskip(NEXT) | instid1(VALU_DEP_4)
	v_dual_fmac_f32 v152, v8, v3 :: v_dual_fmac_f32 v151, v6, v1
	v_fma_f32 v2, v5, v1, -v2
	s_delay_alu instid0(VALU_DEP_3) | instskip(SKIP_3) | instid1(VALU_DEP_4)
	v_dual_add_f32 v1, v27, v28 :: v_dual_add_f32 v32, v32, v211
	v_mul_f32_e32 v6, v18, v10
	v_fma_f32 v3, v7, v3, -v4
	v_mul_f32_e32 v155, v19, v12
	v_dual_add_f32 v1, v1, v2 :: v_dual_add_f32 v32, v32, v213
	v_mul_f32_e32 v4, v20, v12
	v_fmac_f32_e32 v154, v18, v9
	s_wait_loadcnt_dscnt 0x0
	v_mul_f32_e32 v156, v21, v14
	v_add_f32_e32 v1, v1, v3
	v_add_f32_e32 v25, v32, v25
	v_mul_f32_e32 v3, v22, v14
	v_fmac_f32_e32 v155, v20, v11
	v_fma_f32 v4, v19, v11, -v4
	v_mul_f32_e32 v29, v23, v16
	v_dual_add_f32 v5, v25, v26 :: v_dual_fmac_f32 v156, v22, v13
	v_fma_f32 v3, v21, v13, -v3
	s_delay_alu instid0(VALU_DEP_3) | instskip(NEXT) | instid1(VALU_DEP_3)
	v_fmac_f32_e32 v29, v24, v15
	v_add_f32_e32 v2, v5, v151
	v_fma_f32 v5, v17, v9, -v6
	s_delay_alu instid0(VALU_DEP_1) | instskip(NEXT) | instid1(VALU_DEP_1)
	v_dual_add_f32 v2, v2, v152 :: v_dual_add_f32 v1, v1, v5
	v_dual_mul_f32 v5, v24, v16 :: v_dual_add_f32 v2, v2, v154
	s_delay_alu instid0(VALU_DEP_2) | instskip(NEXT) | instid1(VALU_DEP_2)
	v_add_f32_e32 v1, v1, v4
	v_fma_f32 v4, v23, v15, -v5
	s_delay_alu instid0(VALU_DEP_3) | instskip(NEXT) | instid1(VALU_DEP_1)
	v_add_f32_e32 v2, v2, v155
	v_dual_add_f32 v1, v1, v3 :: v_dual_add_f32 v2, v2, v156
	s_delay_alu instid0(VALU_DEP_1) | instskip(NEXT) | instid1(VALU_DEP_1)
	v_dual_add_f32 v1, v1, v4 :: v_dual_add_f32 v2, v2, v29
	v_dual_sub_f32 v1, v30, v1 :: v_dual_sub_f32 v2, v31, v2
	scratch_store_b64 off, v[1:2], off offset:80
	v_cmpx_lt_u32_e32 9, v0
	s_cbranch_execz .LBB58_349
; %bb.348:
	scratch_load_b64 v[1:2], off, off offset:72
	v_mov_b32_e32 v3, 0
	s_delay_alu instid0(VALU_DEP_1)
	v_mov_b32_e32 v4, v3
	scratch_store_b64 off, v[3:4], off offset:72
	s_wait_loadcnt 0x0
	ds_store_b64 v153, v[1:2]
.LBB58_349:
	s_wait_alu 0xfffe
	s_or_b32 exec_lo, exec_lo, s0
	s_wait_storecnt_dscnt 0x0
	s_barrier_signal -1
	s_barrier_wait -1
	global_inv scope:SCOPE_SE
	s_clause 0x4
	scratch_load_b128 v[5:8], off, off offset:80
	scratch_load_b128 v[1:4], off, off offset:96
	;; [unrolled: 1-line block ×5, first 2 shown]
	v_mov_b32_e32 v25, 0
	ds_load_b128 v[21:24], v25 offset:560
	ds_load_b128 v[26:29], v25 offset:576
	;; [unrolled: 1-line block ×3, first 2 shown]
	scratch_load_b64 v[30:31], off, off offset:72
	s_mov_b32 s0, exec_lo
	s_wait_loadcnt_dscnt 0x502
	v_mul_f32_e32 v32, v22, v6
	v_dual_mul_f32 v151, v21, v6 :: v_dual_mul_f32 v152, v23, v8
	v_mul_f32_e32 v6, v24, v8
	s_wait_loadcnt_dscnt 0x300
	v_mul_f32_e32 v158, v156, v12
	v_fma_f32 v21, v21, v5, -v32
	v_dual_fmac_f32 v151, v22, v5 :: v_dual_fmac_f32 v152, v24, v7
	v_fma_f32 v22, v23, v7, -v6
	ds_load_b128 v[5:8], v25 offset:608
	v_dual_mul_f32 v23, v26, v2 :: v_dual_mul_f32 v24, v28, v4
	v_mul_f32_e32 v4, v29, v4
	v_mul_f32_e32 v32, v154, v10
	;; [unrolled: 1-line block ×5, first 2 shown]
	v_dual_fmac_f32 v23, v27, v1 :: v_dual_fmac_f32 v24, v29, v3
	v_fma_f32 v27, v28, v3, -v4
	v_fmac_f32_e32 v32, v155, v9
	v_fma_f32 v28, v154, v9, -v10
	v_fmac_f32_e32 v158, v157, v11
	v_fma_f32 v29, v156, v11, -v12
	ds_load_b128 v[9:12], v25 offset:624
	s_wait_loadcnt_dscnt 0x201
	v_dual_mul_f32 v155, v7, v16 :: v_dual_mul_f32 v154, v5, v14
	v_mul_f32_e32 v14, v6, v14
	v_mul_f32_e32 v16, v8, v16
	s_delay_alu instid0(VALU_DEP_3)
	v_fmac_f32_e32 v155, v8, v15
	v_fma_f32 v26, v26, v1, -v2
	scratch_load_b128 v[1:4], off, off offset:160
	v_fmac_f32_e32 v154, v6, v13
	v_fma_f32 v13, v5, v13, -v14
	v_fma_f32 v14, v7, v15, -v16
	ds_load_b128 v[5:8], v25 offset:640
	s_wait_loadcnt_dscnt 0x201
	v_mul_f32_e32 v15, v9, v18
	v_mul_f32_e32 v16, v10, v18
	v_mul_f32_e32 v18, v11, v20
	s_delay_alu instid0(VALU_DEP_3) | instskip(NEXT) | instid1(VALU_DEP_3)
	v_dual_mul_f32 v20, v12, v20 :: v_dual_fmac_f32 v15, v10, v17
	v_fma_f32 v16, v9, v17, -v16
	s_delay_alu instid0(VALU_DEP_3) | instskip(NEXT) | instid1(VALU_DEP_3)
	v_fmac_f32_e32 v18, v12, v19
	v_fma_f32 v17, v11, v19, -v20
	scratch_load_b128 v[9:12], off, off offset:176
	s_wait_loadcnt_dscnt 0x100
	v_mul_f32_e32 v19, v5, v2
	v_mul_f32_e32 v2, v6, v2
	;; [unrolled: 1-line block ×3, first 2 shown]
	s_delay_alu instid0(VALU_DEP_3) | instskip(NEXT) | instid1(VALU_DEP_3)
	v_dual_mul_f32 v4, v8, v4 :: v_dual_fmac_f32 v19, v6, v1
	v_fma_f32 v156, v5, v1, -v2
	s_delay_alu instid0(VALU_DEP_3) | instskip(NEXT) | instid1(VALU_DEP_3)
	v_fmac_f32_e32 v20, v8, v3
	v_fma_f32 v157, v7, v3, -v4
	ds_load_b128 v[1:4], v25 offset:656
	ds_load_b128 v[5:8], v25 offset:672
	s_wait_loadcnt_dscnt 0x1
	v_mul_f32_e32 v159, v1, v10
	v_mul_f32_e32 v10, v2, v10
	s_delay_alu instid0(VALU_DEP_2) | instskip(NEXT) | instid1(VALU_DEP_2)
	v_dual_mul_f32 v160, v3, v12 :: v_dual_fmac_f32 v159, v2, v9
	v_fma_f32 v161, v1, v9, -v10
	v_mul_f32_e32 v1, v4, v12
	s_delay_alu instid0(VALU_DEP_3) | instskip(NEXT) | instid1(VALU_DEP_2)
	v_fmac_f32_e32 v160, v4, v11
	v_fma_f32 v162, v3, v11, -v1
	s_clause 0x1
	scratch_load_b128 v[1:4], off, off offset:192
	scratch_load_b128 v[9:12], off, off offset:208
	s_wait_loadcnt_dscnt 0x100
	v_mul_f32_e32 v163, v5, v2
	v_dual_mul_f32 v2, v6, v2 :: v_dual_mul_f32 v165, v7, v4
	s_delay_alu instid0(VALU_DEP_2) | instskip(NEXT) | instid1(VALU_DEP_2)
	v_fmac_f32_e32 v163, v6, v1
	v_fma_f32 v164, v5, v1, -v2
	v_mul_f32_e32 v1, v8, v4
	s_delay_alu instid0(VALU_DEP_4) | instskip(NEXT) | instid1(VALU_DEP_2)
	v_fmac_f32_e32 v165, v8, v3
	v_fma_f32 v166, v7, v3, -v1
	ds_load_b128 v[1:4], v25 offset:688
	ds_load_b128 v[5:8], v25 offset:704
	s_wait_loadcnt_dscnt 0x1
	v_mul_f32_e32 v167, v1, v10
	v_mul_f32_e32 v169, v3, v12
	s_delay_alu instid0(VALU_DEP_2) | instskip(NEXT) | instid1(VALU_DEP_2)
	v_fmac_f32_e32 v167, v2, v9
	v_dual_mul_f32 v2, v2, v10 :: v_dual_fmac_f32 v169, v4, v11
	s_delay_alu instid0(VALU_DEP_1) | instskip(SKIP_1) | instid1(VALU_DEP_1)
	v_fma_f32 v168, v1, v9, -v2
	v_mul_f32_e32 v1, v4, v12
	v_fma_f32 v170, v3, v11, -v1
	s_clause 0x1
	scratch_load_b128 v[1:4], off, off offset:224
	scratch_load_b128 v[9:12], off, off offset:240
	s_wait_loadcnt_dscnt 0x100
	v_mul_f32_e32 v171, v5, v2
	v_dual_mul_f32 v2, v6, v2 :: v_dual_mul_f32 v173, v7, v4
	s_delay_alu instid0(VALU_DEP_2) | instskip(NEXT) | instid1(VALU_DEP_2)
	v_fmac_f32_e32 v171, v6, v1
	v_fma_f32 v172, v5, v1, -v2
	v_mul_f32_e32 v1, v8, v4
	s_delay_alu instid0(VALU_DEP_4) | instskip(NEXT) | instid1(VALU_DEP_2)
	v_fmac_f32_e32 v173, v8, v3
	v_fma_f32 v174, v7, v3, -v1
	ds_load_b128 v[1:4], v25 offset:720
	ds_load_b128 v[5:8], v25 offset:736
	s_wait_loadcnt_dscnt 0x1
	v_mul_f32_e32 v175, v1, v10
	v_mul_f32_e32 v177, v3, v12
	s_delay_alu instid0(VALU_DEP_2) | instskip(NEXT) | instid1(VALU_DEP_2)
	v_fmac_f32_e32 v175, v2, v9
	v_dual_mul_f32 v2, v2, v10 :: v_dual_fmac_f32 v177, v4, v11
	s_delay_alu instid0(VALU_DEP_1) | instskip(SKIP_1) | instid1(VALU_DEP_1)
	v_fma_f32 v176, v1, v9, -v2
	v_mul_f32_e32 v1, v4, v12
	;; [unrolled: 25-line block ×6, first 2 shown]
	v_fma_f32 v210, v3, v11, -v1
	s_clause 0x1
	scratch_load_b128 v[1:4], off, off offset:384
	scratch_load_b128 v[9:12], off, off offset:400
	s_wait_loadcnt_dscnt 0x100
	v_mul_f32_e32 v211, v5, v2
	v_mul_f32_e32 v2, v6, v2
	s_delay_alu instid0(VALU_DEP_2) | instskip(NEXT) | instid1(VALU_DEP_2)
	v_fmac_f32_e32 v211, v6, v1
	v_fma_f32 v212, v5, v1, -v2
	v_dual_add_f32 v2, 0, v151 :: v_dual_mul_f32 v1, v8, v4
	s_delay_alu instid0(VALU_DEP_1) | instskip(NEXT) | instid1(VALU_DEP_2)
	v_add_f32_e32 v2, v2, v152
	v_fma_f32 v214, v7, v3, -v1
	s_delay_alu instid0(VALU_DEP_2) | instskip(NEXT) | instid1(VALU_DEP_1)
	v_dual_add_f32 v1, 0, v21 :: v_dual_add_f32 v2, v2, v23
	v_dual_add_f32 v1, v1, v22 :: v_dual_add_f32 v2, v2, v24
	s_delay_alu instid0(VALU_DEP_1) | instskip(NEXT) | instid1(VALU_DEP_1)
	v_add_f32_e32 v2, v2, v32
	v_add_f32_e32 v2, v2, v158
	s_delay_alu instid0(VALU_DEP_1) | instskip(NEXT) | instid1(VALU_DEP_1)
	v_add_f32_e32 v2, v2, v154
	v_dual_add_f32 v1, v1, v26 :: v_dual_add_f32 v2, v2, v155
	s_delay_alu instid0(VALU_DEP_1) | instskip(SKIP_2) | instid1(VALU_DEP_1)
	v_add_f32_e32 v1, v1, v27
	scratch_load_b64 v[26:27], off, off offset:464
	v_dual_add_f32 v2, v2, v15 :: v_dual_add_f32 v1, v1, v28
	v_dual_add_f32 v2, v2, v18 :: v_dual_add_f32 v1, v1, v29
	s_delay_alu instid0(VALU_DEP_1) | instskip(NEXT) | instid1(VALU_DEP_1)
	v_dual_add_f32 v2, v2, v19 :: v_dual_add_f32 v1, v1, v13
	v_dual_add_f32 v2, v2, v20 :: v_dual_add_f32 v1, v1, v14
	s_delay_alu instid0(VALU_DEP_1) | instskip(NEXT) | instid1(VALU_DEP_1)
	;; [unrolled: 3-line block ×3, first 2 shown]
	v_dual_add_f32 v2, v2, v163 :: v_dual_add_f32 v1, v1, v156
	v_add_f32_e32 v2, v2, v165
	s_delay_alu instid0(VALU_DEP_1) | instskip(NEXT) | instid1(VALU_DEP_1)
	v_dual_add_f32 v1, v1, v157 :: v_dual_add_f32 v2, v2, v167
	v_add_f32_e32 v1, v1, v161
	s_delay_alu instid0(VALU_DEP_1) | instskip(NEXT) | instid1(VALU_DEP_1)
	v_dual_add_f32 v2, v2, v169 :: v_dual_add_f32 v1, v1, v162
	v_dual_add_f32 v2, v2, v171 :: v_dual_add_f32 v1, v1, v164
	s_delay_alu instid0(VALU_DEP_1) | instskip(NEXT) | instid1(VALU_DEP_1)
	v_dual_add_f32 v2, v2, v173 :: v_dual_add_f32 v1, v1, v166
	v_dual_add_f32 v2, v2, v175 :: v_dual_add_f32 v1, v1, v168
	s_delay_alu instid0(VALU_DEP_1) | instskip(NEXT) | instid1(VALU_DEP_1)
	v_dual_add_f32 v2, v2, v177 :: v_dual_add_f32 v1, v1, v170
	v_add_f32_e32 v1, v1, v172
	s_delay_alu instid0(VALU_DEP_1) | instskip(NEXT) | instid1(VALU_DEP_1)
	v_add_f32_e32 v1, v1, v174
	v_add_f32_e32 v1, v1, v176
	s_delay_alu instid0(VALU_DEP_1) | instskip(NEXT) | instid1(VALU_DEP_1)
	v_add_f32_e32 v1, v1, v178
	;; [unrolled: 3-line block ×3, first 2 shown]
	v_add_f32_e32 v1, v1, v184
	s_delay_alu instid0(VALU_DEP_1) | instskip(SKIP_1) | instid1(VALU_DEP_2)
	v_add_f32_e32 v6, v1, v186
	v_add_f32_e32 v2, v2, v179
	;; [unrolled: 1-line block ×3, first 2 shown]
	s_delay_alu instid0(VALU_DEP_2) | instskip(NEXT) | instid1(VALU_DEP_2)
	v_add_f32_e32 v2, v2, v181
	v_add_f32_e32 v13, v6, v190
	s_delay_alu instid0(VALU_DEP_2) | instskip(NEXT) | instid1(VALU_DEP_2)
	v_add_f32_e32 v5, v2, v183
	v_add_f32_e32 v13, v13, v192
	;; [unrolled: 3-line block ×3, first 2 shown]
	s_delay_alu instid0(VALU_DEP_2) | instskip(SKIP_1) | instid1(VALU_DEP_3)
	v_add_f32_e32 v5, v5, v187
	v_mul_f32_e32 v213, v7, v4
	v_add_f32_e32 v13, v13, v196
	s_delay_alu instid0(VALU_DEP_2) | instskip(SKIP_4) | instid1(VALU_DEP_2)
	v_dual_add_f32 v14, v5, v189 :: v_dual_fmac_f32 v213, v8, v3
	ds_load_b128 v[1:4], v25 offset:880
	ds_load_b128 v[5:8], v25 offset:896
	v_add_f32_e32 v18, v13, v198
	v_add_f32_e32 v14, v14, v191
	;; [unrolled: 1-line block ×3, first 2 shown]
	s_delay_alu instid0(VALU_DEP_2) | instskip(NEXT) | instid1(VALU_DEP_2)
	v_add_f32_e32 v14, v14, v193
	v_add_f32_e32 v18, v18, v202
	s_delay_alu instid0(VALU_DEP_2)
	v_add_f32_e32 v17, v14, v195
	scratch_load_b128 v[13:16], off, off offset:448
	v_dual_add_f32 v18, v18, v204 :: v_dual_add_f32 v17, v17, v197
	s_wait_loadcnt_dscnt 0x201
	v_mul_f32_e32 v32, v1, v10
	v_dual_mul_f32 v10, v2, v10 :: v_dual_mul_f32 v151, v3, v12
	v_mul_f32_e32 v12, v4, v12
	v_add_f32_e32 v18, v18, v206
	s_delay_alu instid0(VALU_DEP_4) | instskip(NEXT) | instid1(VALU_DEP_4)
	v_fmac_f32_e32 v32, v2, v9
	v_fma_f32 v152, v1, v9, -v10
	v_fmac_f32_e32 v151, v4, v11
	v_fma_f32 v154, v3, v11, -v12
	s_clause 0x1
	scratch_load_b128 v[1:4], off, off offset:416
	scratch_load_b128 v[9:12], off, off offset:432
	v_add_f32_e32 v28, v18, v208
	s_delay_alu instid0(VALU_DEP_1) | instskip(NEXT) | instid1(VALU_DEP_1)
	v_add_f32_e32 v155, v28, v210
	v_add_f32_e32 v155, v155, v212
	s_delay_alu instid0(VALU_DEP_1) | instskip(NEXT) | instid1(VALU_DEP_1)
	v_add_f32_e32 v155, v155, v214
	v_add_f32_e32 v152, v155, v152
	s_delay_alu instid0(VALU_DEP_1) | instskip(SKIP_4) | instid1(VALU_DEP_3)
	v_add_f32_e32 v152, v152, v154
	s_wait_loadcnt_dscnt 0x100
	v_dual_mul_f32 v158, v7, v4 :: v_dual_add_f32 v17, v17, v199
	v_dual_mul_f32 v4, v8, v4 :: v_dual_mul_f32 v157, v5, v2
	v_mul_f32_e32 v2, v6, v2
	v_dual_fmac_f32 v158, v8, v3 :: v_dual_add_f32 v17, v17, v201
	s_delay_alu instid0(VALU_DEP_3) | instskip(NEXT) | instid1(VALU_DEP_3)
	v_fmac_f32_e32 v157, v6, v1
	v_fma_f32 v2, v5, v1, -v2
	v_fma_f32 v1, v7, v3, -v4
	s_delay_alu instid0(VALU_DEP_2) | instskip(NEXT) | instid1(VALU_DEP_1)
	v_dual_add_f32 v17, v17, v203 :: v_dual_add_f32 v2, v152, v2
	v_add_f32_e32 v21, v17, v205
	ds_load_b128 v[17:20], v25 offset:912
	v_add_f32_e32 v1, v2, v1
	v_add_f32_e32 v29, v21, v207
	ds_load_b128 v[21:24], v25 offset:928
	v_add_f32_e32 v156, v29, v209
	ds_load_b64 v[28:29], v25 offset:944
	v_add_f32_e32 v156, v156, v211
	s_wait_loadcnt_dscnt 0x2
	s_delay_alu instid0(VALU_DEP_1) | instskip(SKIP_2) | instid1(VALU_DEP_3)
	v_dual_add_f32 v156, v156, v213 :: v_dual_mul_f32 v155, v17, v10
	v_mul_f32_e32 v3, v18, v10
	v_mul_f32_e32 v5, v20, v12
	v_add_f32_e32 v32, v156, v32
	s_delay_alu instid0(VALU_DEP_4) | instskip(NEXT) | instid1(VALU_DEP_4)
	v_dual_mul_f32 v156, v19, v12 :: v_dual_fmac_f32 v155, v18, v9
	v_fma_f32 v3, v17, v9, -v3
	s_wait_dscnt 0x1
	s_delay_alu instid0(VALU_DEP_3) | instskip(NEXT) | instid1(VALU_DEP_3)
	v_dual_mul_f32 v159, v21, v14 :: v_dual_add_f32 v32, v32, v151
	v_fmac_f32_e32 v156, v20, v11
	v_fma_f32 v5, v19, v11, -v5
	v_dual_add_f32 v1, v1, v3 :: v_dual_mul_f32 v154, v23, v16
	s_delay_alu instid0(VALU_DEP_4) | instskip(SKIP_2) | instid1(VALU_DEP_4)
	v_add_f32_e32 v4, v32, v157
	v_mul_f32_e32 v3, v24, v16
	v_fmac_f32_e32 v159, v22, v13
	v_add_f32_e32 v1, v1, v5
	s_wait_dscnt 0x0
	v_mul_f32_e32 v151, v28, v27
	v_add_f32_e32 v2, v4, v158
	v_dual_mul_f32 v4, v22, v14 :: v_dual_mul_f32 v5, v29, v27
	v_fmac_f32_e32 v154, v24, v15
	v_fma_f32 v3, v23, v15, -v3
	s_delay_alu instid0(VALU_DEP_4) | instskip(NEXT) | instid1(VALU_DEP_4)
	v_add_f32_e32 v2, v2, v155
	v_fma_f32 v4, v21, v13, -v4
	s_delay_alu instid0(VALU_DEP_2) | instskip(NEXT) | instid1(VALU_DEP_2)
	v_dual_fmac_f32 v151, v29, v26 :: v_dual_add_f32 v2, v2, v156
	v_add_f32_e32 v1, v1, v4
	v_fma_f32 v4, v28, v26, -v5
	s_delay_alu instid0(VALU_DEP_3) | instskip(NEXT) | instid1(VALU_DEP_1)
	v_add_f32_e32 v2, v2, v159
	v_dual_add_f32 v1, v1, v3 :: v_dual_add_f32 v2, v2, v154
	s_delay_alu instid0(VALU_DEP_1) | instskip(NEXT) | instid1(VALU_DEP_1)
	v_dual_add_f32 v1, v1, v4 :: v_dual_add_f32 v2, v2, v151
	v_dual_sub_f32 v1, v30, v1 :: v_dual_sub_f32 v2, v31, v2
	scratch_store_b64 off, v[1:2], off offset:72
	v_cmpx_lt_u32_e32 8, v0
	s_cbranch_execz .LBB58_351
; %bb.350:
	scratch_load_b64 v[1:2], off, off offset:64
	v_mov_b32_e32 v26, v25
	scratch_store_b64 off, v[25:26], off offset:64
	s_wait_loadcnt 0x0
	ds_store_b64 v153, v[1:2]
.LBB58_351:
	s_wait_alu 0xfffe
	s_or_b32 exec_lo, exec_lo, s0
	s_wait_storecnt_dscnt 0x0
	s_barrier_signal -1
	s_barrier_wait -1
	global_inv scope:SCOPE_SE
	s_clause 0x4
	scratch_load_b128 v[5:8], off, off offset:72
	scratch_load_b128 v[1:4], off, off offset:88
	;; [unrolled: 1-line block ×5, first 2 shown]
	ds_load_2addr_b64 v[21:24], v25 offset0:69 offset1:70
	ds_load_2addr_b64 v[26:29], v25 offset0:71 offset1:72
	;; [unrolled: 1-line block ×3, first 2 shown]
	scratch_load_b64 v[30:31], off, off offset:64
	s_mov_b32 s0, exec_lo
	s_wait_loadcnt_dscnt 0x502
	v_dual_mul_f32 v32, v21, v6 :: v_dual_mul_f32 v151, v23, v8
	v_mul_f32_e32 v6, v22, v6
	v_mul_f32_e32 v8, v24, v8
	s_wait_loadcnt_dscnt 0x300
	v_mul_f32_e32 v152, v154, v10
	v_dual_fmac_f32 v32, v22, v5 :: v_dual_fmac_f32 v151, v24, v7
	v_fma_f32 v21, v21, v5, -v6
	v_fma_f32 v22, v23, v7, -v8
	ds_load_2addr_b64 v[5:8], v25 offset0:75 offset1:76
	v_dual_mul_f32 v23, v26, v2 :: v_dual_mul_f32 v24, v28, v4
	v_mul_f32_e32 v4, v29, v4
	v_mul_f32_e32 v10, v155, v10
	;; [unrolled: 1-line block ×5, first 2 shown]
	v_dual_fmac_f32 v23, v27, v1 :: v_dual_fmac_f32 v24, v29, v3
	v_fma_f32 v27, v28, v3, -v4
	v_fmac_f32_e32 v152, v155, v9
	v_fma_f32 v28, v154, v9, -v10
	v_fmac_f32_e32 v158, v157, v11
	v_fma_f32 v29, v156, v11, -v12
	ds_load_2addr_b64 v[9:12], v25 offset0:77 offset1:78
	s_wait_loadcnt_dscnt 0x201
	v_dual_mul_f32 v155, v7, v16 :: v_dual_mul_f32 v154, v5, v14
	v_mul_f32_e32 v14, v6, v14
	v_mul_f32_e32 v16, v8, v16
	s_delay_alu instid0(VALU_DEP_3)
	v_fmac_f32_e32 v155, v8, v15
	v_fma_f32 v26, v26, v1, -v2
	scratch_load_b128 v[1:4], off, off offset:152
	v_fmac_f32_e32 v154, v6, v13
	v_fma_f32 v13, v5, v13, -v14
	v_fma_f32 v14, v7, v15, -v16
	ds_load_2addr_b64 v[5:8], v25 offset0:79 offset1:80
	s_wait_loadcnt_dscnt 0x201
	v_mul_f32_e32 v15, v9, v18
	v_mul_f32_e32 v16, v10, v18
	;; [unrolled: 1-line block ×3, first 2 shown]
	s_delay_alu instid0(VALU_DEP_3) | instskip(NEXT) | instid1(VALU_DEP_3)
	v_dual_mul_f32 v20, v12, v20 :: v_dual_fmac_f32 v15, v10, v17
	v_fma_f32 v16, v9, v17, -v16
	s_delay_alu instid0(VALU_DEP_3) | instskip(NEXT) | instid1(VALU_DEP_3)
	v_fmac_f32_e32 v18, v12, v19
	v_fma_f32 v17, v11, v19, -v20
	scratch_load_b128 v[9:12], off, off offset:168
	s_wait_loadcnt_dscnt 0x100
	v_mul_f32_e32 v19, v5, v2
	v_mul_f32_e32 v2, v6, v2
	;; [unrolled: 1-line block ×3, first 2 shown]
	s_delay_alu instid0(VALU_DEP_3) | instskip(NEXT) | instid1(VALU_DEP_3)
	v_dual_mul_f32 v4, v8, v4 :: v_dual_fmac_f32 v19, v6, v1
	v_fma_f32 v156, v5, v1, -v2
	s_delay_alu instid0(VALU_DEP_3) | instskip(NEXT) | instid1(VALU_DEP_3)
	v_fmac_f32_e32 v20, v8, v3
	v_fma_f32 v157, v7, v3, -v4
	ds_load_2addr_b64 v[1:4], v25 offset0:81 offset1:82
	ds_load_2addr_b64 v[5:8], v25 offset0:83 offset1:84
	s_wait_loadcnt_dscnt 0x1
	v_mul_f32_e32 v159, v1, v10
	v_mul_f32_e32 v10, v2, v10
	s_delay_alu instid0(VALU_DEP_2) | instskip(NEXT) | instid1(VALU_DEP_2)
	v_dual_mul_f32 v160, v3, v12 :: v_dual_fmac_f32 v159, v2, v9
	v_fma_f32 v161, v1, v9, -v10
	v_mul_f32_e32 v1, v4, v12
	s_delay_alu instid0(VALU_DEP_3) | instskip(NEXT) | instid1(VALU_DEP_2)
	v_fmac_f32_e32 v160, v4, v11
	v_fma_f32 v162, v3, v11, -v1
	s_clause 0x1
	scratch_load_b128 v[1:4], off, off offset:184
	scratch_load_b128 v[9:12], off, off offset:200
	s_wait_loadcnt_dscnt 0x100
	v_mul_f32_e32 v163, v5, v2
	v_dual_mul_f32 v2, v6, v2 :: v_dual_mul_f32 v165, v7, v4
	s_delay_alu instid0(VALU_DEP_2) | instskip(NEXT) | instid1(VALU_DEP_2)
	v_fmac_f32_e32 v163, v6, v1
	v_fma_f32 v164, v5, v1, -v2
	v_mul_f32_e32 v1, v8, v4
	s_delay_alu instid0(VALU_DEP_4) | instskip(NEXT) | instid1(VALU_DEP_2)
	v_fmac_f32_e32 v165, v8, v3
	v_fma_f32 v166, v7, v3, -v1
	ds_load_2addr_b64 v[1:4], v25 offset0:85 offset1:86
	ds_load_2addr_b64 v[5:8], v25 offset0:87 offset1:88
	s_wait_loadcnt_dscnt 0x1
	v_mul_f32_e32 v167, v1, v10
	v_mul_f32_e32 v169, v3, v12
	s_delay_alu instid0(VALU_DEP_2) | instskip(NEXT) | instid1(VALU_DEP_2)
	v_fmac_f32_e32 v167, v2, v9
	v_dual_mul_f32 v2, v2, v10 :: v_dual_fmac_f32 v169, v4, v11
	s_delay_alu instid0(VALU_DEP_1) | instskip(SKIP_1) | instid1(VALU_DEP_1)
	v_fma_f32 v168, v1, v9, -v2
	v_mul_f32_e32 v1, v4, v12
	v_fma_f32 v170, v3, v11, -v1
	s_clause 0x1
	scratch_load_b128 v[1:4], off, off offset:216
	scratch_load_b128 v[9:12], off, off offset:232
	s_wait_loadcnt_dscnt 0x100
	v_mul_f32_e32 v171, v5, v2
	v_dual_mul_f32 v2, v6, v2 :: v_dual_mul_f32 v173, v7, v4
	s_delay_alu instid0(VALU_DEP_2) | instskip(NEXT) | instid1(VALU_DEP_2)
	v_fmac_f32_e32 v171, v6, v1
	v_fma_f32 v172, v5, v1, -v2
	v_mul_f32_e32 v1, v8, v4
	s_delay_alu instid0(VALU_DEP_4) | instskip(NEXT) | instid1(VALU_DEP_2)
	v_fmac_f32_e32 v173, v8, v3
	v_fma_f32 v174, v7, v3, -v1
	ds_load_2addr_b64 v[1:4], v25 offset0:89 offset1:90
	ds_load_2addr_b64 v[5:8], v25 offset0:91 offset1:92
	s_wait_loadcnt_dscnt 0x1
	v_mul_f32_e32 v175, v1, v10
	v_mul_f32_e32 v177, v3, v12
	s_delay_alu instid0(VALU_DEP_2) | instskip(NEXT) | instid1(VALU_DEP_2)
	v_fmac_f32_e32 v175, v2, v9
	v_dual_mul_f32 v2, v2, v10 :: v_dual_fmac_f32 v177, v4, v11
	s_delay_alu instid0(VALU_DEP_1) | instskip(SKIP_1) | instid1(VALU_DEP_1)
	v_fma_f32 v176, v1, v9, -v2
	v_mul_f32_e32 v1, v4, v12
	;; [unrolled: 25-line block ×6, first 2 shown]
	v_fma_f32 v210, v3, v11, -v1
	s_clause 0x1
	scratch_load_b128 v[1:4], off, off offset:376
	scratch_load_b128 v[9:12], off, off offset:392
	s_wait_loadcnt_dscnt 0x100
	v_mul_f32_e32 v211, v5, v2
	v_mul_f32_e32 v2, v6, v2
	s_delay_alu instid0(VALU_DEP_2) | instskip(NEXT) | instid1(VALU_DEP_2)
	v_fmac_f32_e32 v211, v6, v1
	v_fma_f32 v212, v5, v1, -v2
	v_add_f32_e32 v2, 0, v32
	s_delay_alu instid0(VALU_DEP_1) | instskip(NEXT) | instid1(VALU_DEP_1)
	v_add_f32_e32 v2, v2, v151
	v_add_f32_e32 v2, v2, v23
	s_delay_alu instid0(VALU_DEP_1) | instskip(NEXT) | instid1(VALU_DEP_1)
	v_add_f32_e32 v2, v2, v24
	v_add_f32_e32 v2, v2, v152
	s_delay_alu instid0(VALU_DEP_1) | instskip(NEXT) | instid1(VALU_DEP_1)
	v_dual_mul_f32 v1, v8, v4 :: v_dual_add_f32 v2, v2, v158
	v_fma_f32 v214, v7, v3, -v1
	s_delay_alu instid0(VALU_DEP_2) | instskip(NEXT) | instid1(VALU_DEP_1)
	v_dual_add_f32 v1, 0, v21 :: v_dual_add_f32 v2, v2, v154
	v_dual_add_f32 v1, v1, v22 :: v_dual_add_f32 v2, v2, v155
	s_delay_alu instid0(VALU_DEP_1) | instskip(NEXT) | instid1(VALU_DEP_1)
	v_dual_add_f32 v1, v1, v26 :: v_dual_add_f32 v2, v2, v15
	v_dual_add_f32 v1, v1, v27 :: v_dual_add_f32 v2, v2, v18
	s_delay_alu instid0(VALU_DEP_1) | instskip(NEXT) | instid1(VALU_DEP_1)
	;; [unrolled: 3-line block ×4, first 2 shown]
	v_dual_add_f32 v1, v1, v16 :: v_dual_add_f32 v2, v2, v163
	v_add_f32_e32 v1, v1, v17
	s_delay_alu instid0(VALU_DEP_2) | instskip(NEXT) | instid1(VALU_DEP_1)
	v_add_f32_e32 v2, v2, v165
	v_add_f32_e32 v2, v2, v167
	s_delay_alu instid0(VALU_DEP_1) | instskip(NEXT) | instid1(VALU_DEP_1)
	v_add_f32_e32 v2, v2, v169
	v_add_f32_e32 v2, v2, v171
	s_delay_alu instid0(VALU_DEP_1) | instskip(NEXT) | instid1(VALU_DEP_1)
	;; [unrolled: 3-line block ×3, first 2 shown]
	v_dual_add_f32 v2, v2, v177 :: v_dual_add_f32 v1, v1, v156
	v_add_f32_e32 v1, v1, v157
	s_delay_alu instid0(VALU_DEP_1) | instskip(NEXT) | instid1(VALU_DEP_1)
	v_add_f32_e32 v1, v1, v161
	v_add_f32_e32 v1, v1, v162
	s_delay_alu instid0(VALU_DEP_1) | instskip(NEXT) | instid1(VALU_DEP_1)
	v_add_f32_e32 v1, v1, v164
	;; [unrolled: 3-line block ×7, first 2 shown]
	v_add_f32_e32 v1, v1, v186
	s_delay_alu instid0(VALU_DEP_1) | instskip(SKIP_1) | instid1(VALU_DEP_2)
	v_add_f32_e32 v6, v1, v188
	v_add_f32_e32 v2, v2, v179
	;; [unrolled: 1-line block ×3, first 2 shown]
	s_delay_alu instid0(VALU_DEP_2) | instskip(NEXT) | instid1(VALU_DEP_2)
	v_dual_add_f32 v2, v2, v181 :: v_dual_mul_f32 v213, v7, v4
	v_add_f32_e32 v14, v14, v192
	s_delay_alu instid0(VALU_DEP_2) | instskip(NEXT) | instid1(VALU_DEP_3)
	v_add_f32_e32 v2, v2, v183
	v_fmac_f32_e32 v213, v8, v3
	s_delay_alu instid0(VALU_DEP_3) | instskip(NEXT) | instid1(VALU_DEP_3)
	v_add_f32_e32 v17, v14, v194
	v_add_f32_e32 v5, v2, v185
	ds_load_2addr_b64 v[1:4], v25 offset0:109 offset1:110
	v_add_f32_e32 v17, v17, v196
	v_add_f32_e32 v13, v5, v187
	scratch_load_b128 v[5:8], off, off offset:408
	v_add_f32_e32 v17, v17, v198
	v_add_f32_e32 v13, v13, v189
	s_delay_alu instid0(VALU_DEP_2) | instskip(NEXT) | instid1(VALU_DEP_1)
	v_add_f32_e32 v17, v17, v200
	v_add_f32_e32 v22, v17, v202
	s_delay_alu instid0(VALU_DEP_1) | instskip(NEXT) | instid1(VALU_DEP_1)
	v_dual_add_f32 v13, v13, v191 :: v_dual_add_f32 v22, v22, v204
	v_add_f32_e32 v18, v13, v193
	ds_load_2addr_b64 v[13:16], v25 offset0:111 offset1:112
	s_wait_loadcnt_dscnt 0x101
	v_mul_f32_e32 v26, v1, v10
	v_dual_mul_f32 v10, v2, v10 :: v_dual_mul_f32 v27, v3, v12
	v_mul_f32_e32 v12, v4, v12
	v_add_f32_e32 v22, v22, v206
	s_delay_alu instid0(VALU_DEP_4) | instskip(NEXT) | instid1(VALU_DEP_4)
	v_fmac_f32_e32 v26, v2, v9
	v_fma_f32 v28, v1, v9, -v10
	v_fmac_f32_e32 v27, v4, v11
	v_fma_f32 v29, v3, v11, -v12
	s_clause 0x1
	scratch_load_b128 v[1:4], off, off offset:424
	scratch_load_b128 v[9:12], off, off offset:440
	s_wait_loadcnt_dscnt 0x200
	v_mul_f32_e32 v32, v13, v6
	v_dual_add_f32 v18, v18, v195 :: v_dual_mul_f32 v151, v15, v8
	v_mul_f32_e32 v8, v16, v8
	v_mul_f32_e32 v6, v14, v6
	s_delay_alu instid0(VALU_DEP_4) | instskip(NEXT) | instid1(VALU_DEP_4)
	v_fmac_f32_e32 v32, v14, v5
	v_dual_add_f32 v18, v18, v197 :: v_dual_fmac_f32 v151, v16, v7
	s_delay_alu instid0(VALU_DEP_4) | instskip(NEXT) | instid1(VALU_DEP_4)
	v_fma_f32 v154, v15, v7, -v8
	v_fma_f32 v152, v13, v5, -v6
	ds_load_2addr_b64 v[5:8], v25 offset0:113 offset1:114
	v_add_f32_e32 v21, v18, v199
	scratch_load_b128 v[17:20], off, off offset:456
	v_add_f32_e32 v21, v21, v201
	s_delay_alu instid0(VALU_DEP_1) | instskip(NEXT) | instid1(VALU_DEP_1)
	v_add_f32_e32 v21, v21, v203
	v_add_f32_e32 v13, v21, v205
	s_delay_alu instid0(VALU_DEP_1) | instskip(NEXT) | instid1(VALU_DEP_1)
	v_dual_add_f32 v21, v22, v208 :: v_dual_add_f32 v22, v13, v207
	v_add_f32_e32 v155, v21, v210
	ds_load_2addr_b64 v[13:16], v25 offset0:115 offset1:116
	v_add_f32_e32 v156, v22, v209
	ds_load_2addr_b64 v[21:24], v25 offset0:117 offset1:118
	v_add_f32_e32 v25, v155, v212
	s_wait_loadcnt_dscnt 0x202
	v_dual_add_f32 v155, v156, v211 :: v_dual_mul_f32 v156, v5, v2
	s_delay_alu instid0(VALU_DEP_2) | instskip(NEXT) | instid1(VALU_DEP_2)
	v_add_f32_e32 v25, v25, v214
	v_dual_mul_f32 v2, v6, v2 :: v_dual_add_f32 v155, v155, v213
	s_delay_alu instid0(VALU_DEP_2) | instskip(SKIP_2) | instid1(VALU_DEP_4)
	v_dual_fmac_f32 v156, v6, v1 :: v_dual_add_f32 v25, v25, v28
	v_mul_f32_e32 v28, v7, v4
	v_mul_f32_e32 v4, v8, v4
	v_add_f32_e32 v26, v155, v26
	v_fma_f32 v2, v5, v1, -v2
	v_add_f32_e32 v25, v25, v29
	s_wait_loadcnt_dscnt 0x101
	v_mul_f32_e32 v155, v13, v10
	v_mul_f32_e32 v6, v14, v10
	v_add_f32_e32 v26, v26, v27
	v_dual_fmac_f32 v28, v8, v3 :: v_dual_add_f32 v25, v25, v152
	v_fma_f32 v3, v7, v3, -v4
	v_mul_f32_e32 v157, v15, v12
	s_delay_alu instid0(VALU_DEP_4) | instskip(NEXT) | instid1(VALU_DEP_4)
	v_add_f32_e32 v26, v26, v32
	v_dual_mul_f32 v4, v16, v12 :: v_dual_add_f32 v1, v25, v154
	v_fmac_f32_e32 v155, v14, v9
	s_delay_alu instid0(VALU_DEP_4) | instskip(NEXT) | instid1(VALU_DEP_4)
	v_fmac_f32_e32 v157, v16, v11
	v_add_f32_e32 v5, v26, v151
	s_delay_alu instid0(VALU_DEP_4) | instskip(SKIP_1) | instid1(VALU_DEP_3)
	v_fma_f32 v4, v15, v11, -v4
	v_add_f32_e32 v1, v1, v2
	v_add_f32_e32 v2, v5, v156
	v_fma_f32 v5, v13, v9, -v6
	s_delay_alu instid0(VALU_DEP_2) | instskip(NEXT) | instid1(VALU_DEP_1)
	v_dual_add_f32 v1, v1, v3 :: v_dual_add_f32 v2, v2, v28
	v_dual_add_f32 v1, v1, v5 :: v_dual_add_f32 v2, v2, v155
	s_delay_alu instid0(VALU_DEP_1)
	v_dual_add_f32 v1, v1, v4 :: v_dual_add_f32 v2, v2, v157
	s_wait_loadcnt_dscnt 0x0
	v_mul_f32_e32 v27, v21, v18
	v_mul_f32_e32 v3, v22, v18
	;; [unrolled: 1-line block ×4, first 2 shown]
	s_delay_alu instid0(VALU_DEP_4) | instskip(NEXT) | instid1(VALU_DEP_4)
	v_fmac_f32_e32 v27, v22, v17
	v_fma_f32 v3, v21, v17, -v3
	s_delay_alu instid0(VALU_DEP_4) | instskip(NEXT) | instid1(VALU_DEP_4)
	v_fmac_f32_e32 v29, v24, v19
	v_fma_f32 v4, v23, v19, -v5
	s_delay_alu instid0(VALU_DEP_4) | instskip(NEXT) | instid1(VALU_DEP_1)
	v_add_f32_e32 v2, v2, v27
	v_dual_add_f32 v1, v1, v3 :: v_dual_add_f32 v2, v2, v29
	s_delay_alu instid0(VALU_DEP_1) | instskip(NEXT) | instid1(VALU_DEP_1)
	v_dual_add_f32 v1, v1, v4 :: v_dual_sub_f32 v2, v31, v2
	v_sub_f32_e32 v1, v30, v1
	scratch_store_b64 off, v[1:2], off offset:64
	v_cmpx_lt_u32_e32 7, v0
	s_cbranch_execz .LBB58_353
; %bb.352:
	scratch_load_b64 v[1:2], off, off offset:56
	v_mov_b32_e32 v3, 0
	s_delay_alu instid0(VALU_DEP_1)
	v_mov_b32_e32 v4, v3
	scratch_store_b64 off, v[3:4], off offset:56
	s_wait_loadcnt 0x0
	ds_store_b64 v153, v[1:2]
.LBB58_353:
	s_wait_alu 0xfffe
	s_or_b32 exec_lo, exec_lo, s0
	s_wait_storecnt_dscnt 0x0
	s_barrier_signal -1
	s_barrier_wait -1
	global_inv scope:SCOPE_SE
	s_clause 0x4
	scratch_load_b128 v[5:8], off, off offset:64
	scratch_load_b128 v[1:4], off, off offset:80
	;; [unrolled: 1-line block ×5, first 2 shown]
	v_mov_b32_e32 v25, 0
	ds_load_b128 v[21:24], v25 offset:544
	ds_load_b128 v[26:29], v25 offset:560
	;; [unrolled: 1-line block ×3, first 2 shown]
	scratch_load_b64 v[30:31], off, off offset:56
	s_mov_b32 s0, exec_lo
	s_wait_loadcnt_dscnt 0x502
	v_dual_mul_f32 v32, v21, v6 :: v_dual_mul_f32 v151, v23, v8
	v_mul_f32_e32 v6, v22, v6
	v_mul_f32_e32 v8, v24, v8
	s_wait_loadcnt_dscnt 0x300
	v_mul_f32_e32 v158, v156, v12
	v_dual_fmac_f32 v32, v22, v5 :: v_dual_fmac_f32 v151, v24, v7
	v_fma_f32 v21, v21, v5, -v6
	v_fma_f32 v22, v23, v7, -v8
	ds_load_b128 v[5:8], v25 offset:592
	v_dual_mul_f32 v23, v26, v2 :: v_dual_mul_f32 v24, v28, v4
	v_mul_f32_e32 v4, v29, v4
	v_mul_f32_e32 v152, v154, v10
	;; [unrolled: 1-line block ×5, first 2 shown]
	v_dual_fmac_f32 v23, v27, v1 :: v_dual_fmac_f32 v24, v29, v3
	v_fma_f32 v27, v28, v3, -v4
	v_fmac_f32_e32 v152, v155, v9
	v_fma_f32 v28, v154, v9, -v10
	v_fmac_f32_e32 v158, v157, v11
	v_fma_f32 v29, v156, v11, -v12
	ds_load_b128 v[9:12], v25 offset:608
	s_wait_loadcnt_dscnt 0x201
	v_dual_mul_f32 v155, v7, v16 :: v_dual_mul_f32 v154, v5, v14
	v_mul_f32_e32 v14, v6, v14
	v_mul_f32_e32 v16, v8, v16
	s_delay_alu instid0(VALU_DEP_3)
	v_fmac_f32_e32 v155, v8, v15
	v_fma_f32 v26, v26, v1, -v2
	scratch_load_b128 v[1:4], off, off offset:144
	v_fmac_f32_e32 v154, v6, v13
	v_fma_f32 v13, v5, v13, -v14
	v_fma_f32 v14, v7, v15, -v16
	ds_load_b128 v[5:8], v25 offset:624
	s_wait_loadcnt_dscnt 0x201
	v_mul_f32_e32 v15, v9, v18
	v_mul_f32_e32 v16, v10, v18
	;; [unrolled: 1-line block ×3, first 2 shown]
	s_delay_alu instid0(VALU_DEP_3) | instskip(NEXT) | instid1(VALU_DEP_3)
	v_dual_mul_f32 v20, v12, v20 :: v_dual_fmac_f32 v15, v10, v17
	v_fma_f32 v16, v9, v17, -v16
	s_delay_alu instid0(VALU_DEP_3) | instskip(NEXT) | instid1(VALU_DEP_3)
	v_fmac_f32_e32 v18, v12, v19
	v_fma_f32 v17, v11, v19, -v20
	scratch_load_b128 v[9:12], off, off offset:160
	s_wait_loadcnt_dscnt 0x100
	v_mul_f32_e32 v19, v5, v2
	v_mul_f32_e32 v2, v6, v2
	;; [unrolled: 1-line block ×3, first 2 shown]
	s_delay_alu instid0(VALU_DEP_3) | instskip(NEXT) | instid1(VALU_DEP_3)
	v_dual_mul_f32 v4, v8, v4 :: v_dual_fmac_f32 v19, v6, v1
	v_fma_f32 v156, v5, v1, -v2
	s_delay_alu instid0(VALU_DEP_3) | instskip(NEXT) | instid1(VALU_DEP_3)
	v_fmac_f32_e32 v20, v8, v3
	v_fma_f32 v157, v7, v3, -v4
	ds_load_b128 v[1:4], v25 offset:640
	ds_load_b128 v[5:8], v25 offset:656
	s_wait_loadcnt_dscnt 0x1
	v_mul_f32_e32 v159, v1, v10
	v_mul_f32_e32 v10, v2, v10
	s_delay_alu instid0(VALU_DEP_2) | instskip(NEXT) | instid1(VALU_DEP_2)
	v_dual_mul_f32 v160, v3, v12 :: v_dual_fmac_f32 v159, v2, v9
	v_fma_f32 v161, v1, v9, -v10
	v_mul_f32_e32 v1, v4, v12
	s_delay_alu instid0(VALU_DEP_3) | instskip(NEXT) | instid1(VALU_DEP_2)
	v_fmac_f32_e32 v160, v4, v11
	v_fma_f32 v162, v3, v11, -v1
	s_clause 0x1
	scratch_load_b128 v[1:4], off, off offset:176
	scratch_load_b128 v[9:12], off, off offset:192
	s_wait_loadcnt_dscnt 0x100
	v_mul_f32_e32 v163, v5, v2
	v_dual_mul_f32 v2, v6, v2 :: v_dual_mul_f32 v165, v7, v4
	s_delay_alu instid0(VALU_DEP_2) | instskip(NEXT) | instid1(VALU_DEP_2)
	v_fmac_f32_e32 v163, v6, v1
	v_fma_f32 v164, v5, v1, -v2
	v_mul_f32_e32 v1, v8, v4
	s_delay_alu instid0(VALU_DEP_4) | instskip(NEXT) | instid1(VALU_DEP_2)
	v_fmac_f32_e32 v165, v8, v3
	v_fma_f32 v166, v7, v3, -v1
	ds_load_b128 v[1:4], v25 offset:672
	ds_load_b128 v[5:8], v25 offset:688
	s_wait_loadcnt_dscnt 0x1
	v_mul_f32_e32 v167, v1, v10
	v_mul_f32_e32 v169, v3, v12
	s_delay_alu instid0(VALU_DEP_2) | instskip(NEXT) | instid1(VALU_DEP_2)
	v_fmac_f32_e32 v167, v2, v9
	v_dual_mul_f32 v2, v2, v10 :: v_dual_fmac_f32 v169, v4, v11
	s_delay_alu instid0(VALU_DEP_1) | instskip(SKIP_1) | instid1(VALU_DEP_1)
	v_fma_f32 v168, v1, v9, -v2
	v_mul_f32_e32 v1, v4, v12
	v_fma_f32 v170, v3, v11, -v1
	s_clause 0x1
	scratch_load_b128 v[1:4], off, off offset:208
	scratch_load_b128 v[9:12], off, off offset:224
	s_wait_loadcnt_dscnt 0x100
	v_mul_f32_e32 v171, v5, v2
	v_dual_mul_f32 v2, v6, v2 :: v_dual_mul_f32 v173, v7, v4
	s_delay_alu instid0(VALU_DEP_2) | instskip(NEXT) | instid1(VALU_DEP_2)
	v_fmac_f32_e32 v171, v6, v1
	v_fma_f32 v172, v5, v1, -v2
	v_mul_f32_e32 v1, v8, v4
	s_delay_alu instid0(VALU_DEP_4) | instskip(NEXT) | instid1(VALU_DEP_2)
	v_fmac_f32_e32 v173, v8, v3
	v_fma_f32 v174, v7, v3, -v1
	ds_load_b128 v[1:4], v25 offset:704
	ds_load_b128 v[5:8], v25 offset:720
	s_wait_loadcnt_dscnt 0x1
	v_mul_f32_e32 v175, v1, v10
	v_mul_f32_e32 v177, v3, v12
	s_delay_alu instid0(VALU_DEP_2) | instskip(NEXT) | instid1(VALU_DEP_2)
	v_fmac_f32_e32 v175, v2, v9
	v_dual_mul_f32 v2, v2, v10 :: v_dual_fmac_f32 v177, v4, v11
	s_delay_alu instid0(VALU_DEP_1) | instskip(SKIP_1) | instid1(VALU_DEP_1)
	v_fma_f32 v176, v1, v9, -v2
	v_mul_f32_e32 v1, v4, v12
	;; [unrolled: 25-line block ×6, first 2 shown]
	v_fma_f32 v210, v3, v11, -v1
	s_clause 0x1
	scratch_load_b128 v[1:4], off, off offset:368
	scratch_load_b128 v[9:12], off, off offset:384
	s_wait_loadcnt_dscnt 0x100
	v_mul_f32_e32 v211, v5, v2
	v_mul_f32_e32 v2, v6, v2
	s_delay_alu instid0(VALU_DEP_2) | instskip(NEXT) | instid1(VALU_DEP_2)
	v_fmac_f32_e32 v211, v6, v1
	v_fma_f32 v212, v5, v1, -v2
	v_add_f32_e32 v2, 0, v32
	s_delay_alu instid0(VALU_DEP_1) | instskip(NEXT) | instid1(VALU_DEP_1)
	v_add_f32_e32 v2, v2, v151
	v_add_f32_e32 v2, v2, v23
	s_delay_alu instid0(VALU_DEP_1) | instskip(NEXT) | instid1(VALU_DEP_1)
	v_add_f32_e32 v2, v2, v24
	;; [unrolled: 3-line block ×3, first 2 shown]
	v_dual_add_f32 v2, v2, v154 :: v_dual_mul_f32 v1, v8, v4
	s_delay_alu instid0(VALU_DEP_1) | instskip(NEXT) | instid1(VALU_DEP_2)
	v_add_f32_e32 v2, v2, v155
	v_fma_f32 v214, v7, v3, -v1
	s_delay_alu instid0(VALU_DEP_2) | instskip(NEXT) | instid1(VALU_DEP_1)
	v_dual_add_f32 v1, 0, v21 :: v_dual_add_f32 v2, v2, v15
	v_add_f32_e32 v1, v1, v22
	s_delay_alu instid0(VALU_DEP_2) | instskip(NEXT) | instid1(VALU_DEP_1)
	v_add_f32_e32 v2, v2, v18
	v_dual_add_f32 v1, v1, v26 :: v_dual_add_f32 v2, v2, v19
	s_delay_alu instid0(VALU_DEP_1) | instskip(SKIP_2) | instid1(VALU_DEP_1)
	v_dual_add_f32 v2, v2, v20 :: v_dual_add_f32 v1, v1, v27
	scratch_load_b64 v[26:27], off, off offset:464
	v_dual_add_f32 v2, v2, v159 :: v_dual_add_f32 v1, v1, v28
	v_dual_add_f32 v2, v2, v160 :: v_dual_add_f32 v1, v1, v29
	s_delay_alu instid0(VALU_DEP_1) | instskip(NEXT) | instid1(VALU_DEP_1)
	v_dual_add_f32 v2, v2, v163 :: v_dual_add_f32 v1, v1, v13
	v_dual_add_f32 v2, v2, v165 :: v_dual_add_f32 v1, v1, v14
	s_delay_alu instid0(VALU_DEP_1) | instskip(NEXT) | instid1(VALU_DEP_1)
	v_dual_add_f32 v2, v2, v167 :: v_dual_add_f32 v1, v1, v16
	v_add_f32_e32 v2, v2, v169
	s_delay_alu instid0(VALU_DEP_1) | instskip(NEXT) | instid1(VALU_DEP_1)
	v_dual_add_f32 v1, v1, v17 :: v_dual_add_f32 v2, v2, v171
	v_dual_add_f32 v1, v1, v156 :: v_dual_add_f32 v2, v2, v173
	s_delay_alu instid0(VALU_DEP_1) | instskip(NEXT) | instid1(VALU_DEP_1)
	v_dual_add_f32 v1, v1, v157 :: v_dual_add_f32 v2, v2, v175
	v_add_f32_e32 v1, v1, v161
	s_delay_alu instid0(VALU_DEP_1) | instskip(NEXT) | instid1(VALU_DEP_1)
	v_dual_add_f32 v2, v2, v177 :: v_dual_add_f32 v1, v1, v162
	v_add_f32_e32 v1, v1, v164
	s_delay_alu instid0(VALU_DEP_1) | instskip(NEXT) | instid1(VALU_DEP_1)
	v_add_f32_e32 v1, v1, v166
	v_add_f32_e32 v1, v1, v168
	s_delay_alu instid0(VALU_DEP_1) | instskip(NEXT) | instid1(VALU_DEP_1)
	v_add_f32_e32 v1, v1, v170
	;; [unrolled: 3-line block ×6, first 2 shown]
	v_add_f32_e32 v6, v1, v188
	v_dual_add_f32 v2, v2, v179 :: v_dual_mul_f32 v213, v7, v4
	s_delay_alu instid0(VALU_DEP_2) | instskip(NEXT) | instid1(VALU_DEP_2)
	v_add_f32_e32 v14, v6, v190
	v_dual_add_f32 v2, v2, v181 :: v_dual_fmac_f32 v213, v8, v3
	s_delay_alu instid0(VALU_DEP_2) | instskip(NEXT) | instid1(VALU_DEP_2)
	v_add_f32_e32 v14, v14, v192
	v_add_f32_e32 v2, v2, v183
	s_delay_alu instid0(VALU_DEP_2) | instskip(NEXT) | instid1(VALU_DEP_2)
	v_add_f32_e32 v17, v14, v194
	v_add_f32_e32 v5, v2, v185
	scratch_load_b128 v[1:4], off, off offset:400
	v_add_f32_e32 v17, v17, v196
	v_add_f32_e32 v13, v5, v187
	ds_load_b128 v[5:8], v25 offset:864
	v_add_f32_e32 v17, v17, v198
	v_add_f32_e32 v13, v13, v189
	s_delay_alu instid0(VALU_DEP_2) | instskip(NEXT) | instid1(VALU_DEP_1)
	v_add_f32_e32 v17, v17, v200
	v_add_f32_e32 v22, v17, v202
	s_delay_alu instid0(VALU_DEP_1) | instskip(NEXT) | instid1(VALU_DEP_1)
	v_dual_add_f32 v13, v13, v191 :: v_dual_add_f32 v22, v22, v204
	v_add_f32_e32 v18, v13, v193
	ds_load_b128 v[13:16], v25 offset:880
	s_wait_loadcnt_dscnt 0x201
	v_mul_f32_e32 v32, v5, v10
	v_dual_mul_f32 v10, v6, v10 :: v_dual_mul_f32 v151, v7, v12
	v_mul_f32_e32 v12, v8, v12
	v_add_f32_e32 v22, v22, v206
	s_delay_alu instid0(VALU_DEP_4) | instskip(NEXT) | instid1(VALU_DEP_4)
	v_fmac_f32_e32 v32, v6, v9
	v_fma_f32 v152, v5, v9, -v10
	v_fmac_f32_e32 v151, v8, v11
	v_fma_f32 v154, v7, v11, -v12
	s_clause 0x1
	scratch_load_b128 v[5:8], off, off offset:416
	scratch_load_b128 v[9:12], off, off offset:432
	v_add_f32_e32 v22, v22, v208
	s_wait_loadcnt_dscnt 0x200
	v_mul_f32_e32 v156, v15, v4
	v_add_f32_e32 v18, v18, v195
	v_dual_mul_f32 v4, v16, v4 :: v_dual_mul_f32 v155, v13, v2
	v_mul_f32_e32 v2, v14, v2
	s_delay_alu instid0(VALU_DEP_4) | instskip(NEXT) | instid1(VALU_DEP_4)
	v_fmac_f32_e32 v156, v16, v3
	v_add_f32_e32 v18, v18, v197
	s_delay_alu instid0(VALU_DEP_4)
	v_fma_f32 v158, v15, v3, -v4
	v_fmac_f32_e32 v155, v14, v1
	v_add_f32_e32 v14, v22, v210
	v_fma_f32 v157, v13, v1, -v2
	v_add_f32_e32 v21, v18, v199
	scratch_load_b128 v[17:20], off, off offset:448
	ds_load_b128 v[1:4], v25 offset:896
	v_dual_add_f32 v28, v14, v212 :: v_dual_add_f32 v21, v21, v201
	s_delay_alu instid0(VALU_DEP_1) | instskip(NEXT) | instid1(VALU_DEP_1)
	v_add_f32_e32 v159, v28, v214
	v_dual_add_f32 v21, v21, v203 :: v_dual_add_f32 v152, v159, v152
	s_delay_alu instid0(VALU_DEP_1) | instskip(NEXT) | instid1(VALU_DEP_1)
	v_dual_add_f32 v21, v21, v205 :: v_dual_add_f32 v152, v152, v154
	v_dual_add_f32 v13, v21, v207 :: v_dual_add_f32 v152, v152, v157
	s_delay_alu instid0(VALU_DEP_1)
	v_add_f32_e32 v21, v13, v209
	ds_load_b128 v[13:16], v25 offset:912
	s_wait_loadcnt_dscnt 0x201
	v_mul_f32_e32 v159, v1, v6
	v_mul_f32_e32 v6, v2, v6
	v_dual_add_f32 v152, v152, v158 :: v_dual_add_f32 v29, v21, v211
	ds_load_b128 v[21:24], v25 offset:928
	v_fmac_f32_e32 v159, v2, v5
	v_fma_f32 v1, v1, v5, -v6
	v_add_f32_e32 v160, v29, v213
	ds_load_b64 v[28:29], v25 offset:944
	v_add_f32_e32 v1, v152, v1
	v_add_f32_e32 v32, v160, v32
	s_delay_alu instid0(VALU_DEP_1) | instskip(SKIP_3) | instid1(VALU_DEP_3)
	v_dual_add_f32 v32, v32, v151 :: v_dual_mul_f32 v151, v3, v8
	v_mul_f32_e32 v8, v4, v8
	s_wait_loadcnt_dscnt 0x102
	v_dual_mul_f32 v154, v13, v10 :: v_dual_mul_f32 v5, v16, v12
	v_add_f32_e32 v32, v32, v155
	v_fmac_f32_e32 v151, v4, v7
	v_fma_f32 v2, v3, v7, -v8
	v_mul_f32_e32 v3, v14, v10
	v_mul_f32_e32 v155, v15, v12
	v_add_f32_e32 v32, v32, v156
	s_delay_alu instid0(VALU_DEP_4) | instskip(NEXT) | instid1(VALU_DEP_4)
	v_dual_fmac_f32 v154, v14, v9 :: v_dual_add_f32 v1, v1, v2
	v_fma_f32 v3, v13, v9, -v3
	s_delay_alu instid0(VALU_DEP_4) | instskip(NEXT) | instid1(VALU_DEP_4)
	v_fmac_f32_e32 v155, v16, v11
	v_add_f32_e32 v4, v32, v159
	v_fma_f32 v5, v15, v11, -v5
	s_wait_dscnt 0x0
	v_mul_f32_e32 v156, v28, v27
	v_add_f32_e32 v1, v1, v3
	v_add_f32_e32 v2, v4, v151
	s_delay_alu instid0(VALU_DEP_3) | instskip(NEXT) | instid1(VALU_DEP_3)
	v_fmac_f32_e32 v156, v29, v26
	v_add_f32_e32 v1, v1, v5
	s_delay_alu instid0(VALU_DEP_3) | instskip(SKIP_1) | instid1(VALU_DEP_1)
	v_dual_mul_f32 v5, v29, v27 :: v_dual_add_f32 v2, v2, v154
	s_wait_loadcnt 0x0
	v_dual_add_f32 v2, v2, v155 :: v_dual_mul_f32 v157, v21, v18
	v_mul_f32_e32 v4, v22, v18
	v_mul_f32_e32 v158, v23, v20
	;; [unrolled: 1-line block ×3, first 2 shown]
	s_delay_alu instid0(VALU_DEP_4) | instskip(NEXT) | instid1(VALU_DEP_4)
	v_fmac_f32_e32 v157, v22, v17
	v_fma_f32 v4, v21, v17, -v4
	s_delay_alu instid0(VALU_DEP_4) | instskip(NEXT) | instid1(VALU_DEP_4)
	v_fmac_f32_e32 v158, v24, v19
	v_fma_f32 v3, v23, v19, -v3
	s_delay_alu instid0(VALU_DEP_3) | instskip(SKIP_1) | instid1(VALU_DEP_2)
	v_dual_add_f32 v2, v2, v157 :: v_dual_add_f32 v1, v1, v4
	v_fma_f32 v4, v28, v26, -v5
	v_dual_add_f32 v2, v2, v158 :: v_dual_add_f32 v1, v1, v3
	s_delay_alu instid0(VALU_DEP_1) | instskip(NEXT) | instid1(VALU_DEP_1)
	v_add_f32_e32 v2, v2, v156
	v_dual_add_f32 v1, v1, v4 :: v_dual_sub_f32 v2, v31, v2
	s_delay_alu instid0(VALU_DEP_1)
	v_sub_f32_e32 v1, v30, v1
	scratch_store_b64 off, v[1:2], off offset:56
	v_cmpx_lt_u32_e32 6, v0
	s_cbranch_execz .LBB58_355
; %bb.354:
	scratch_load_b64 v[1:2], off, off offset:48
	v_mov_b32_e32 v26, v25
	scratch_store_b64 off, v[25:26], off offset:48
	s_wait_loadcnt 0x0
	ds_store_b64 v153, v[1:2]
.LBB58_355:
	s_wait_alu 0xfffe
	s_or_b32 exec_lo, exec_lo, s0
	s_wait_storecnt_dscnt 0x0
	s_barrier_signal -1
	s_barrier_wait -1
	global_inv scope:SCOPE_SE
	s_clause 0x4
	scratch_load_b128 v[5:8], off, off offset:56
	scratch_load_b128 v[1:4], off, off offset:72
	;; [unrolled: 1-line block ×5, first 2 shown]
	ds_load_2addr_b64 v[21:24], v25 offset0:67 offset1:68
	ds_load_2addr_b64 v[26:29], v25 offset0:69 offset1:70
	;; [unrolled: 1-line block ×3, first 2 shown]
	scratch_load_b64 v[30:31], off, off offset:48
	s_mov_b32 s0, exec_lo
	s_wait_loadcnt_dscnt 0x502
	v_dual_mul_f32 v32, v21, v6 :: v_dual_mul_f32 v151, v23, v8
	v_mul_f32_e32 v6, v22, v6
	v_mul_f32_e32 v8, v24, v8
	s_wait_loadcnt_dscnt 0x300
	v_mul_f32_e32 v152, v154, v10
	v_dual_fmac_f32 v32, v22, v5 :: v_dual_fmac_f32 v151, v24, v7
	v_fma_f32 v21, v21, v5, -v6
	v_fma_f32 v22, v23, v7, -v8
	ds_load_2addr_b64 v[5:8], v25 offset0:73 offset1:74
	v_dual_mul_f32 v23, v26, v2 :: v_dual_mul_f32 v24, v28, v4
	v_mul_f32_e32 v4, v29, v4
	v_mul_f32_e32 v10, v155, v10
	;; [unrolled: 1-line block ×5, first 2 shown]
	v_dual_fmac_f32 v23, v27, v1 :: v_dual_fmac_f32 v24, v29, v3
	v_fma_f32 v27, v28, v3, -v4
	v_fmac_f32_e32 v152, v155, v9
	v_fma_f32 v28, v154, v9, -v10
	v_fmac_f32_e32 v158, v157, v11
	v_fma_f32 v29, v156, v11, -v12
	ds_load_2addr_b64 v[9:12], v25 offset0:75 offset1:76
	s_wait_loadcnt_dscnt 0x201
	v_dual_mul_f32 v155, v7, v16 :: v_dual_mul_f32 v154, v5, v14
	v_mul_f32_e32 v14, v6, v14
	v_mul_f32_e32 v16, v8, v16
	s_delay_alu instid0(VALU_DEP_3)
	v_fmac_f32_e32 v155, v8, v15
	v_fma_f32 v26, v26, v1, -v2
	scratch_load_b128 v[1:4], off, off offset:136
	v_fmac_f32_e32 v154, v6, v13
	v_fma_f32 v13, v5, v13, -v14
	v_fma_f32 v14, v7, v15, -v16
	ds_load_2addr_b64 v[5:8], v25 offset0:77 offset1:78
	s_wait_loadcnt_dscnt 0x201
	v_mul_f32_e32 v15, v9, v18
	v_mul_f32_e32 v16, v10, v18
	;; [unrolled: 1-line block ×3, first 2 shown]
	s_delay_alu instid0(VALU_DEP_3) | instskip(NEXT) | instid1(VALU_DEP_3)
	v_dual_mul_f32 v20, v12, v20 :: v_dual_fmac_f32 v15, v10, v17
	v_fma_f32 v16, v9, v17, -v16
	s_delay_alu instid0(VALU_DEP_3) | instskip(NEXT) | instid1(VALU_DEP_3)
	v_fmac_f32_e32 v18, v12, v19
	v_fma_f32 v17, v11, v19, -v20
	scratch_load_b128 v[9:12], off, off offset:152
	s_wait_loadcnt_dscnt 0x100
	v_mul_f32_e32 v19, v5, v2
	v_mul_f32_e32 v2, v6, v2
	;; [unrolled: 1-line block ×3, first 2 shown]
	s_delay_alu instid0(VALU_DEP_3) | instskip(NEXT) | instid1(VALU_DEP_3)
	v_dual_mul_f32 v4, v8, v4 :: v_dual_fmac_f32 v19, v6, v1
	v_fma_f32 v156, v5, v1, -v2
	s_delay_alu instid0(VALU_DEP_3) | instskip(NEXT) | instid1(VALU_DEP_3)
	v_fmac_f32_e32 v20, v8, v3
	v_fma_f32 v157, v7, v3, -v4
	ds_load_2addr_b64 v[1:4], v25 offset0:79 offset1:80
	ds_load_2addr_b64 v[5:8], v25 offset0:81 offset1:82
	s_wait_loadcnt_dscnt 0x1
	v_mul_f32_e32 v159, v1, v10
	v_mul_f32_e32 v10, v2, v10
	s_delay_alu instid0(VALU_DEP_2) | instskip(NEXT) | instid1(VALU_DEP_2)
	v_dual_mul_f32 v160, v3, v12 :: v_dual_fmac_f32 v159, v2, v9
	v_fma_f32 v161, v1, v9, -v10
	v_mul_f32_e32 v1, v4, v12
	s_delay_alu instid0(VALU_DEP_3) | instskip(NEXT) | instid1(VALU_DEP_2)
	v_fmac_f32_e32 v160, v4, v11
	v_fma_f32 v162, v3, v11, -v1
	s_clause 0x1
	scratch_load_b128 v[1:4], off, off offset:168
	scratch_load_b128 v[9:12], off, off offset:184
	s_wait_loadcnt_dscnt 0x100
	v_mul_f32_e32 v163, v5, v2
	v_dual_mul_f32 v2, v6, v2 :: v_dual_mul_f32 v165, v7, v4
	s_delay_alu instid0(VALU_DEP_2) | instskip(NEXT) | instid1(VALU_DEP_2)
	v_fmac_f32_e32 v163, v6, v1
	v_fma_f32 v164, v5, v1, -v2
	v_mul_f32_e32 v1, v8, v4
	s_delay_alu instid0(VALU_DEP_4) | instskip(NEXT) | instid1(VALU_DEP_2)
	v_fmac_f32_e32 v165, v8, v3
	v_fma_f32 v166, v7, v3, -v1
	ds_load_2addr_b64 v[1:4], v25 offset0:83 offset1:84
	ds_load_2addr_b64 v[5:8], v25 offset0:85 offset1:86
	s_wait_loadcnt_dscnt 0x1
	v_mul_f32_e32 v167, v1, v10
	v_mul_f32_e32 v169, v3, v12
	s_delay_alu instid0(VALU_DEP_2) | instskip(NEXT) | instid1(VALU_DEP_2)
	v_fmac_f32_e32 v167, v2, v9
	v_dual_mul_f32 v2, v2, v10 :: v_dual_fmac_f32 v169, v4, v11
	s_delay_alu instid0(VALU_DEP_1) | instskip(SKIP_1) | instid1(VALU_DEP_1)
	v_fma_f32 v168, v1, v9, -v2
	v_mul_f32_e32 v1, v4, v12
	v_fma_f32 v170, v3, v11, -v1
	s_clause 0x1
	scratch_load_b128 v[1:4], off, off offset:200
	scratch_load_b128 v[9:12], off, off offset:216
	s_wait_loadcnt_dscnt 0x100
	v_mul_f32_e32 v171, v5, v2
	v_dual_mul_f32 v2, v6, v2 :: v_dual_mul_f32 v173, v7, v4
	s_delay_alu instid0(VALU_DEP_2) | instskip(NEXT) | instid1(VALU_DEP_2)
	v_fmac_f32_e32 v171, v6, v1
	v_fma_f32 v172, v5, v1, -v2
	v_mul_f32_e32 v1, v8, v4
	s_delay_alu instid0(VALU_DEP_4) | instskip(NEXT) | instid1(VALU_DEP_2)
	v_fmac_f32_e32 v173, v8, v3
	v_fma_f32 v174, v7, v3, -v1
	ds_load_2addr_b64 v[1:4], v25 offset0:87 offset1:88
	ds_load_2addr_b64 v[5:8], v25 offset0:89 offset1:90
	s_wait_loadcnt_dscnt 0x1
	v_mul_f32_e32 v175, v1, v10
	v_mul_f32_e32 v177, v3, v12
	s_delay_alu instid0(VALU_DEP_2) | instskip(NEXT) | instid1(VALU_DEP_2)
	v_fmac_f32_e32 v175, v2, v9
	v_dual_mul_f32 v2, v2, v10 :: v_dual_fmac_f32 v177, v4, v11
	s_delay_alu instid0(VALU_DEP_1) | instskip(SKIP_1) | instid1(VALU_DEP_1)
	v_fma_f32 v176, v1, v9, -v2
	v_mul_f32_e32 v1, v4, v12
	;; [unrolled: 25-line block ×7, first 2 shown]
	v_fma_f32 v218, v3, v11, -v1
	s_clause 0x1
	scratch_load_b128 v[1:4], off, off offset:392
	scratch_load_b128 v[9:12], off, off offset:408
	s_wait_loadcnt_dscnt 0x100
	v_mul_f32_e32 v219, v5, v2
	v_mul_f32_e32 v2, v6, v2
	s_delay_alu instid0(VALU_DEP_2) | instskip(NEXT) | instid1(VALU_DEP_2)
	v_fmac_f32_e32 v219, v6, v1
	v_fma_f32 v220, v5, v1, -v2
	v_add_f32_e32 v2, 0, v32
	s_delay_alu instid0(VALU_DEP_1) | instskip(NEXT) | instid1(VALU_DEP_1)
	v_dual_mul_f32 v1, v8, v4 :: v_dual_add_f32 v2, v2, v151
	v_fma_f32 v222, v7, v3, -v1
	s_delay_alu instid0(VALU_DEP_2) | instskip(NEXT) | instid1(VALU_DEP_1)
	v_dual_add_f32 v1, 0, v21 :: v_dual_add_f32 v2, v2, v23
	v_add_f32_e32 v2, v2, v24
	s_delay_alu instid0(VALU_DEP_1) | instskip(NEXT) | instid1(VALU_DEP_1)
	v_add_f32_e32 v2, v2, v152
	v_add_f32_e32 v2, v2, v158
	s_delay_alu instid0(VALU_DEP_1) | instskip(NEXT) | instid1(VALU_DEP_1)
	v_add_f32_e32 v2, v2, v154
	;; [unrolled: 3-line block ×4, first 2 shown]
	v_dual_add_f32 v2, v2, v20 :: v_dual_add_f32 v1, v1, v22
	s_delay_alu instid0(VALU_DEP_1) | instskip(NEXT) | instid1(VALU_DEP_1)
	v_dual_add_f32 v2, v2, v159 :: v_dual_add_f32 v1, v1, v26
	v_dual_add_f32 v2, v2, v160 :: v_dual_add_f32 v1, v1, v27
	s_delay_alu instid0(VALU_DEP_1) | instskip(NEXT) | instid1(VALU_DEP_1)
	v_dual_add_f32 v2, v2, v163 :: v_dual_add_f32 v1, v1, v28
	v_add_f32_e32 v2, v2, v165
	s_delay_alu instid0(VALU_DEP_1) | instskip(NEXT) | instid1(VALU_DEP_1)
	v_dual_add_f32 v1, v1, v29 :: v_dual_add_f32 v2, v2, v167
	v_add_f32_e32 v1, v1, v13
	s_delay_alu instid0(VALU_DEP_1) | instskip(NEXT) | instid1(VALU_DEP_1)
	v_dual_add_f32 v2, v2, v169 :: v_dual_add_f32 v1, v1, v14
	v_dual_add_f32 v2, v2, v171 :: v_dual_add_f32 v1, v1, v16
	s_delay_alu instid0(VALU_DEP_1) | instskip(NEXT) | instid1(VALU_DEP_1)
	v_add_f32_e32 v2, v2, v173
	v_dual_add_f32 v1, v1, v17 :: v_dual_add_f32 v2, v2, v175
	s_delay_alu instid0(VALU_DEP_1) | instskip(NEXT) | instid1(VALU_DEP_1)
	v_dual_add_f32 v1, v1, v156 :: v_dual_add_f32 v2, v2, v177
	v_add_f32_e32 v1, v1, v157
	s_delay_alu instid0(VALU_DEP_1) | instskip(NEXT) | instid1(VALU_DEP_1)
	v_add_f32_e32 v1, v1, v161
	v_add_f32_e32 v1, v1, v162
	s_delay_alu instid0(VALU_DEP_1) | instskip(NEXT) | instid1(VALU_DEP_1)
	v_add_f32_e32 v1, v1, v164
	v_add_f32_e32 v1, v1, v166
	s_delay_alu instid0(VALU_DEP_1) | instskip(NEXT) | instid1(VALU_DEP_1)
	v_add_f32_e32 v1, v1, v168
	v_add_f32_e32 v1, v1, v170
	s_delay_alu instid0(VALU_DEP_1) | instskip(NEXT) | instid1(VALU_DEP_1)
	v_add_f32_e32 v1, v1, v172
	v_add_f32_e32 v1, v1, v174
	s_delay_alu instid0(VALU_DEP_1) | instskip(NEXT) | instid1(VALU_DEP_1)
	v_add_f32_e32 v1, v1, v176
	v_add_f32_e32 v1, v1, v178
	s_delay_alu instid0(VALU_DEP_1) | instskip(NEXT) | instid1(VALU_DEP_1)
	v_add_f32_e32 v1, v1, v180
	v_add_f32_e32 v1, v1, v182
	s_delay_alu instid0(VALU_DEP_1) | instskip(NEXT) | instid1(VALU_DEP_1)
	v_add_f32_e32 v1, v1, v184
	v_add_f32_e32 v1, v1, v186
	s_delay_alu instid0(VALU_DEP_1) | instskip(NEXT) | instid1(VALU_DEP_1)
	v_add_f32_e32 v1, v1, v188
	v_add_f32_e32 v1, v1, v190
	s_delay_alu instid0(VALU_DEP_1) | instskip(NEXT) | instid1(VALU_DEP_1)
	v_add_f32_e32 v1, v1, v192
	v_add_f32_e32 v6, v1, v194
	v_add_f32_e32 v2, v2, v179
	s_delay_alu instid0(VALU_DEP_2) | instskip(NEXT) | instid1(VALU_DEP_2)
	v_add_f32_e32 v6, v6, v196
	v_add_f32_e32 v2, v2, v181
	s_delay_alu instid0(VALU_DEP_2) | instskip(NEXT) | instid1(VALU_DEP_1)
	v_add_f32_e32 v13, v6, v198
	v_dual_add_f32 v2, v2, v183 :: v_dual_add_f32 v13, v13, v200
	s_delay_alu instid0(VALU_DEP_1) | instskip(NEXT) | instid1(VALU_DEP_1)
	v_dual_add_f32 v2, v2, v185 :: v_dual_add_f32 v13, v13, v202
	v_dual_add_f32 v2, v2, v187 :: v_dual_add_f32 v13, v13, v204
	s_delay_alu instid0(VALU_DEP_1) | instskip(NEXT) | instid1(VALU_DEP_1)
	v_add_f32_e32 v2, v2, v189
	v_dual_add_f32 v18, v13, v206 :: v_dual_add_f32 v5, v2, v191
	s_delay_alu instid0(VALU_DEP_1) | instskip(NEXT) | instid1(VALU_DEP_1)
	v_dual_add_f32 v18, v18, v208 :: v_dual_add_f32 v5, v5, v193
	v_dual_add_f32 v18, v18, v210 :: v_dual_add_f32 v5, v5, v195
	s_delay_alu instid0(VALU_DEP_1) | instskip(NEXT) | instid1(VALU_DEP_1)
	v_dual_add_f32 v21, v18, v212 :: v_dual_add_f32 v14, v5, v197
	v_dual_add_f32 v32, v21, v214 :: v_dual_mul_f32 v221, v7, v4
	s_delay_alu instid0(VALU_DEP_2) | instskip(NEXT) | instid1(VALU_DEP_2)
	v_add_f32_e32 v14, v14, v199
	v_fmac_f32_e32 v221, v8, v3
	ds_load_2addr_b64 v[1:4], v25 offset0:111 offset1:112
	ds_load_2addr_b64 v[5:8], v25 offset0:113 offset1:114
	v_add_f32_e32 v14, v14, v201
	s_delay_alu instid0(VALU_DEP_1) | instskip(SKIP_2) | instid1(VALU_DEP_1)
	v_add_f32_e32 v17, v14, v203
	scratch_load_b128 v[13:16], off, off offset:456
	v_add_f32_e32 v17, v17, v205
	v_add_f32_e32 v17, v17, v207
	s_wait_loadcnt_dscnt 0x101
	v_dual_mul_f32 v26, v1, v10 :: v_dual_mul_f32 v27, v3, v12
	v_mul_f32_e32 v10, v2, v10
	s_delay_alu instid0(VALU_DEP_3) | instskip(NEXT) | instid1(VALU_DEP_3)
	v_dual_mul_f32 v12, v4, v12 :: v_dual_add_f32 v17, v17, v209
	v_dual_fmac_f32 v26, v2, v9 :: v_dual_fmac_f32 v27, v4, v11
	s_delay_alu instid0(VALU_DEP_3) | instskip(NEXT) | instid1(VALU_DEP_3)
	v_fma_f32 v28, v1, v9, -v10
	v_fma_f32 v29, v3, v11, -v12
	s_clause 0x1
	scratch_load_b128 v[1:4], off, off offset:424
	scratch_load_b128 v[9:12], off, off offset:440
	s_wait_loadcnt_dscnt 0x100
	v_mul_f32_e32 v152, v7, v4
	v_add_f32_e32 v22, v17, v211
	ds_load_2addr_b64 v[17:20], v25 offset0:115 offset1:116
	v_mul_f32_e32 v4, v8, v4
	v_dual_fmac_f32 v152, v8, v3 :: v_dual_add_f32 v151, v22, v213
	ds_load_2addr_b64 v[21:24], v25 offset0:117 offset1:118
	v_add_f32_e32 v25, v32, v216
	v_fma_f32 v3, v7, v3, -v4
	s_delay_alu instid0(VALU_DEP_2) | instskip(NEXT) | instid1(VALU_DEP_1)
	v_add_f32_e32 v25, v25, v218
	v_add_f32_e32 v25, v25, v220
	s_wait_loadcnt_dscnt 0x1
	v_mul_f32_e32 v154, v17, v10
	s_delay_alu instid0(VALU_DEP_2)
	v_dual_add_f32 v32, v151, v215 :: v_dual_add_f32 v25, v25, v222
	v_mul_f32_e32 v151, v5, v2
	v_mul_f32_e32 v2, v6, v2
	s_wait_dscnt 0x0
	v_mul_f32_e32 v156, v21, v14
	v_dual_add_f32 v32, v32, v217 :: v_dual_add_f32 v25, v25, v28
	v_fmac_f32_e32 v151, v6, v1
	v_fma_f32 v2, v5, v1, -v2
	v_mul_f32_e32 v6, v18, v10
	s_delay_alu instid0(VALU_DEP_4) | instskip(SKIP_3) | instid1(VALU_DEP_4)
	v_dual_add_f32 v32, v32, v219 :: v_dual_add_f32 v1, v25, v29
	v_mul_f32_e32 v155, v19, v12
	v_mul_f32_e32 v4, v20, v12
	v_fmac_f32_e32 v154, v18, v9
	v_dual_add_f32 v32, v32, v221 :: v_dual_add_f32 v1, v1, v2
	s_delay_alu instid0(VALU_DEP_4) | instskip(NEXT) | instid1(VALU_DEP_4)
	v_fmac_f32_e32 v155, v20, v11
	v_fma_f32 v4, v19, v11, -v4
	v_mul_f32_e32 v28, v23, v16
	s_delay_alu instid0(VALU_DEP_4) | instskip(SKIP_2) | instid1(VALU_DEP_4)
	v_dual_add_f32 v26, v32, v26 :: v_dual_add_f32 v1, v1, v3
	v_mul_f32_e32 v3, v22, v14
	v_fmac_f32_e32 v156, v22, v13
	v_fmac_f32_e32 v28, v24, v15
	s_delay_alu instid0(VALU_DEP_4) | instskip(NEXT) | instid1(VALU_DEP_4)
	v_add_f32_e32 v5, v26, v27
	v_fma_f32 v3, v21, v13, -v3
	s_delay_alu instid0(VALU_DEP_2) | instskip(SKIP_1) | instid1(VALU_DEP_1)
	v_add_f32_e32 v2, v5, v151
	v_fma_f32 v5, v17, v9, -v6
	v_dual_add_f32 v2, v2, v152 :: v_dual_add_f32 v1, v1, v5
	s_delay_alu instid0(VALU_DEP_1) | instskip(NEXT) | instid1(VALU_DEP_2)
	v_dual_mul_f32 v5, v24, v16 :: v_dual_add_f32 v2, v2, v154
	v_add_f32_e32 v1, v1, v4
	s_delay_alu instid0(VALU_DEP_2) | instskip(NEXT) | instid1(VALU_DEP_3)
	v_fma_f32 v4, v23, v15, -v5
	v_add_f32_e32 v2, v2, v155
	s_delay_alu instid0(VALU_DEP_1) | instskip(NEXT) | instid1(VALU_DEP_1)
	v_dual_add_f32 v1, v1, v3 :: v_dual_add_f32 v2, v2, v156
	v_add_f32_e32 v1, v1, v4
	s_delay_alu instid0(VALU_DEP_2) | instskip(NEXT) | instid1(VALU_DEP_1)
	v_add_f32_e32 v2, v2, v28
	v_dual_sub_f32 v1, v30, v1 :: v_dual_sub_f32 v2, v31, v2
	scratch_store_b64 off, v[1:2], off offset:48
	v_cmpx_lt_u32_e32 5, v0
	s_cbranch_execz .LBB58_357
; %bb.356:
	scratch_load_b64 v[1:2], off, off offset:40
	v_mov_b32_e32 v3, 0
	s_delay_alu instid0(VALU_DEP_1)
	v_mov_b32_e32 v4, v3
	scratch_store_b64 off, v[3:4], off offset:40
	s_wait_loadcnt 0x0
	ds_store_b64 v153, v[1:2]
.LBB58_357:
	s_wait_alu 0xfffe
	s_or_b32 exec_lo, exec_lo, s0
	s_wait_storecnt_dscnt 0x0
	s_barrier_signal -1
	s_barrier_wait -1
	global_inv scope:SCOPE_SE
	s_clause 0x4
	scratch_load_b128 v[5:8], off, off offset:48
	scratch_load_b128 v[1:4], off, off offset:64
	;; [unrolled: 1-line block ×5, first 2 shown]
	v_mov_b32_e32 v25, 0
	ds_load_b128 v[21:24], v25 offset:528
	ds_load_b128 v[26:29], v25 offset:544
	;; [unrolled: 1-line block ×3, first 2 shown]
	scratch_load_b64 v[30:31], off, off offset:40
	s_mov_b32 s0, exec_lo
	s_wait_loadcnt_dscnt 0x502
	v_dual_mul_f32 v32, v21, v6 :: v_dual_mul_f32 v151, v23, v8
	v_mul_f32_e32 v6, v22, v6
	v_mul_f32_e32 v8, v24, v8
	s_wait_loadcnt_dscnt 0x300
	v_mul_f32_e32 v158, v156, v12
	v_dual_fmac_f32 v32, v22, v5 :: v_dual_fmac_f32 v151, v24, v7
	v_fma_f32 v21, v21, v5, -v6
	v_fma_f32 v22, v23, v7, -v8
	ds_load_b128 v[5:8], v25 offset:576
	v_dual_mul_f32 v23, v26, v2 :: v_dual_mul_f32 v24, v28, v4
	v_mul_f32_e32 v4, v29, v4
	v_mul_f32_e32 v152, v154, v10
	;; [unrolled: 1-line block ×5, first 2 shown]
	v_dual_fmac_f32 v23, v27, v1 :: v_dual_fmac_f32 v24, v29, v3
	v_fma_f32 v27, v28, v3, -v4
	v_fmac_f32_e32 v152, v155, v9
	v_fmac_f32_e32 v158, v157, v11
	v_fma_f32 v28, v154, v9, -v10
	v_fma_f32 v29, v156, v11, -v12
	ds_load_b128 v[9:12], v25 offset:592
	s_wait_loadcnt_dscnt 0x201
	v_dual_mul_f32 v155, v7, v16 :: v_dual_mul_f32 v154, v5, v14
	v_mul_f32_e32 v14, v6, v14
	v_mul_f32_e32 v16, v8, v16
	s_delay_alu instid0(VALU_DEP_3)
	v_fmac_f32_e32 v155, v8, v15
	v_fma_f32 v26, v26, v1, -v2
	scratch_load_b128 v[1:4], off, off offset:128
	v_fmac_f32_e32 v154, v6, v13
	v_fma_f32 v13, v5, v13, -v14
	v_fma_f32 v14, v7, v15, -v16
	ds_load_b128 v[5:8], v25 offset:608
	s_wait_loadcnt_dscnt 0x201
	v_mul_f32_e32 v15, v9, v18
	v_mul_f32_e32 v16, v10, v18
	v_mul_f32_e32 v18, v11, v20
	s_delay_alu instid0(VALU_DEP_3) | instskip(NEXT) | instid1(VALU_DEP_3)
	v_dual_mul_f32 v20, v12, v20 :: v_dual_fmac_f32 v15, v10, v17
	v_fma_f32 v16, v9, v17, -v16
	s_delay_alu instid0(VALU_DEP_3) | instskip(NEXT) | instid1(VALU_DEP_3)
	v_fmac_f32_e32 v18, v12, v19
	v_fma_f32 v17, v11, v19, -v20
	scratch_load_b128 v[9:12], off, off offset:144
	s_wait_loadcnt_dscnt 0x100
	v_mul_f32_e32 v19, v5, v2
	v_mul_f32_e32 v2, v6, v2
	v_mul_f32_e32 v20, v7, v4
	s_delay_alu instid0(VALU_DEP_3) | instskip(NEXT) | instid1(VALU_DEP_3)
	v_dual_mul_f32 v4, v8, v4 :: v_dual_fmac_f32 v19, v6, v1
	v_fma_f32 v156, v5, v1, -v2
	s_delay_alu instid0(VALU_DEP_3) | instskip(NEXT) | instid1(VALU_DEP_3)
	v_fmac_f32_e32 v20, v8, v3
	v_fma_f32 v157, v7, v3, -v4
	ds_load_b128 v[1:4], v25 offset:624
	ds_load_b128 v[5:8], v25 offset:640
	s_wait_loadcnt_dscnt 0x1
	v_mul_f32_e32 v159, v1, v10
	v_mul_f32_e32 v10, v2, v10
	s_delay_alu instid0(VALU_DEP_2) | instskip(NEXT) | instid1(VALU_DEP_2)
	v_dual_mul_f32 v160, v3, v12 :: v_dual_fmac_f32 v159, v2, v9
	v_fma_f32 v161, v1, v9, -v10
	v_mul_f32_e32 v1, v4, v12
	s_delay_alu instid0(VALU_DEP_3) | instskip(NEXT) | instid1(VALU_DEP_2)
	v_fmac_f32_e32 v160, v4, v11
	v_fma_f32 v162, v3, v11, -v1
	s_clause 0x1
	scratch_load_b128 v[1:4], off, off offset:160
	scratch_load_b128 v[9:12], off, off offset:176
	s_wait_loadcnt_dscnt 0x100
	v_mul_f32_e32 v163, v5, v2
	v_dual_mul_f32 v2, v6, v2 :: v_dual_mul_f32 v165, v7, v4
	s_delay_alu instid0(VALU_DEP_2) | instskip(NEXT) | instid1(VALU_DEP_2)
	v_fmac_f32_e32 v163, v6, v1
	v_fma_f32 v164, v5, v1, -v2
	v_mul_f32_e32 v1, v8, v4
	s_delay_alu instid0(VALU_DEP_4) | instskip(NEXT) | instid1(VALU_DEP_2)
	v_fmac_f32_e32 v165, v8, v3
	v_fma_f32 v166, v7, v3, -v1
	ds_load_b128 v[1:4], v25 offset:656
	ds_load_b128 v[5:8], v25 offset:672
	s_wait_loadcnt_dscnt 0x1
	v_mul_f32_e32 v167, v1, v10
	v_mul_f32_e32 v169, v3, v12
	s_delay_alu instid0(VALU_DEP_2) | instskip(NEXT) | instid1(VALU_DEP_2)
	v_fmac_f32_e32 v167, v2, v9
	v_dual_mul_f32 v2, v2, v10 :: v_dual_fmac_f32 v169, v4, v11
	s_delay_alu instid0(VALU_DEP_1) | instskip(SKIP_1) | instid1(VALU_DEP_1)
	v_fma_f32 v168, v1, v9, -v2
	v_mul_f32_e32 v1, v4, v12
	v_fma_f32 v170, v3, v11, -v1
	s_clause 0x1
	scratch_load_b128 v[1:4], off, off offset:192
	scratch_load_b128 v[9:12], off, off offset:208
	s_wait_loadcnt_dscnt 0x100
	v_mul_f32_e32 v171, v5, v2
	v_dual_mul_f32 v2, v6, v2 :: v_dual_mul_f32 v173, v7, v4
	s_delay_alu instid0(VALU_DEP_2) | instskip(NEXT) | instid1(VALU_DEP_2)
	v_fmac_f32_e32 v171, v6, v1
	v_fma_f32 v172, v5, v1, -v2
	v_mul_f32_e32 v1, v8, v4
	s_delay_alu instid0(VALU_DEP_4) | instskip(NEXT) | instid1(VALU_DEP_2)
	v_fmac_f32_e32 v173, v8, v3
	v_fma_f32 v174, v7, v3, -v1
	ds_load_b128 v[1:4], v25 offset:688
	ds_load_b128 v[5:8], v25 offset:704
	s_wait_loadcnt_dscnt 0x1
	v_mul_f32_e32 v175, v1, v10
	v_mul_f32_e32 v177, v3, v12
	s_delay_alu instid0(VALU_DEP_2) | instskip(NEXT) | instid1(VALU_DEP_2)
	v_fmac_f32_e32 v175, v2, v9
	v_dual_mul_f32 v2, v2, v10 :: v_dual_fmac_f32 v177, v4, v11
	s_delay_alu instid0(VALU_DEP_1) | instskip(SKIP_1) | instid1(VALU_DEP_1)
	v_fma_f32 v176, v1, v9, -v2
	v_mul_f32_e32 v1, v4, v12
	v_fma_f32 v178, v3, v11, -v1
	s_clause 0x1
	scratch_load_b128 v[1:4], off, off offset:224
	scratch_load_b128 v[9:12], off, off offset:240
	s_wait_loadcnt_dscnt 0x100
	v_mul_f32_e32 v179, v5, v2
	v_dual_mul_f32 v2, v6, v2 :: v_dual_mul_f32 v181, v7, v4
	s_delay_alu instid0(VALU_DEP_2) | instskip(NEXT) | instid1(VALU_DEP_2)
	v_fmac_f32_e32 v179, v6, v1
	v_fma_f32 v180, v5, v1, -v2
	v_mul_f32_e32 v1, v8, v4
	s_delay_alu instid0(VALU_DEP_4) | instskip(NEXT) | instid1(VALU_DEP_2)
	v_fmac_f32_e32 v181, v8, v3
	v_fma_f32 v182, v7, v3, -v1
	ds_load_b128 v[1:4], v25 offset:720
	ds_load_b128 v[5:8], v25 offset:736
	s_wait_loadcnt_dscnt 0x1
	v_mul_f32_e32 v183, v1, v10
	v_mul_f32_e32 v185, v3, v12
	s_delay_alu instid0(VALU_DEP_2) | instskip(NEXT) | instid1(VALU_DEP_2)
	v_fmac_f32_e32 v183, v2, v9
	v_dual_mul_f32 v2, v2, v10 :: v_dual_fmac_f32 v185, v4, v11
	s_delay_alu instid0(VALU_DEP_1) | instskip(SKIP_1) | instid1(VALU_DEP_1)
	v_fma_f32 v184, v1, v9, -v2
	v_mul_f32_e32 v1, v4, v12
	v_fma_f32 v186, v3, v11, -v1
	s_clause 0x1
	scratch_load_b128 v[1:4], off, off offset:256
	scratch_load_b128 v[9:12], off, off offset:272
	s_wait_loadcnt_dscnt 0x100
	v_mul_f32_e32 v187, v5, v2
	v_dual_mul_f32 v2, v6, v2 :: v_dual_mul_f32 v189, v7, v4
	s_delay_alu instid0(VALU_DEP_2) | instskip(NEXT) | instid1(VALU_DEP_2)
	v_fmac_f32_e32 v187, v6, v1
	v_fma_f32 v188, v5, v1, -v2
	v_mul_f32_e32 v1, v8, v4
	s_delay_alu instid0(VALU_DEP_4) | instskip(NEXT) | instid1(VALU_DEP_2)
	v_fmac_f32_e32 v189, v8, v3
	v_fma_f32 v190, v7, v3, -v1
	ds_load_b128 v[1:4], v25 offset:752
	ds_load_b128 v[5:8], v25 offset:768
	s_wait_loadcnt_dscnt 0x1
	v_mul_f32_e32 v191, v1, v10
	v_mul_f32_e32 v193, v3, v12
	s_delay_alu instid0(VALU_DEP_2) | instskip(NEXT) | instid1(VALU_DEP_2)
	v_fmac_f32_e32 v191, v2, v9
	v_dual_mul_f32 v2, v2, v10 :: v_dual_fmac_f32 v193, v4, v11
	s_delay_alu instid0(VALU_DEP_1) | instskip(SKIP_1) | instid1(VALU_DEP_1)
	v_fma_f32 v192, v1, v9, -v2
	v_mul_f32_e32 v1, v4, v12
	v_fma_f32 v194, v3, v11, -v1
	s_clause 0x1
	scratch_load_b128 v[1:4], off, off offset:288
	scratch_load_b128 v[9:12], off, off offset:304
	s_wait_loadcnt_dscnt 0x100
	v_mul_f32_e32 v195, v5, v2
	v_dual_mul_f32 v2, v6, v2 :: v_dual_mul_f32 v197, v7, v4
	s_delay_alu instid0(VALU_DEP_2) | instskip(NEXT) | instid1(VALU_DEP_2)
	v_fmac_f32_e32 v195, v6, v1
	v_fma_f32 v196, v5, v1, -v2
	v_mul_f32_e32 v1, v8, v4
	s_delay_alu instid0(VALU_DEP_4) | instskip(NEXT) | instid1(VALU_DEP_2)
	v_fmac_f32_e32 v197, v8, v3
	v_fma_f32 v198, v7, v3, -v1
	ds_load_b128 v[1:4], v25 offset:784
	ds_load_b128 v[5:8], v25 offset:800
	s_wait_loadcnt_dscnt 0x1
	v_mul_f32_e32 v199, v1, v10
	v_mul_f32_e32 v201, v3, v12
	s_delay_alu instid0(VALU_DEP_2) | instskip(NEXT) | instid1(VALU_DEP_2)
	v_fmac_f32_e32 v199, v2, v9
	v_dual_mul_f32 v2, v2, v10 :: v_dual_fmac_f32 v201, v4, v11
	s_delay_alu instid0(VALU_DEP_1) | instskip(SKIP_1) | instid1(VALU_DEP_1)
	v_fma_f32 v200, v1, v9, -v2
	v_mul_f32_e32 v1, v4, v12
	v_fma_f32 v202, v3, v11, -v1
	s_clause 0x1
	scratch_load_b128 v[1:4], off, off offset:320
	scratch_load_b128 v[9:12], off, off offset:336
	s_wait_loadcnt_dscnt 0x100
	v_mul_f32_e32 v203, v5, v2
	v_dual_mul_f32 v2, v6, v2 :: v_dual_mul_f32 v205, v7, v4
	s_delay_alu instid0(VALU_DEP_2) | instskip(NEXT) | instid1(VALU_DEP_2)
	v_fmac_f32_e32 v203, v6, v1
	v_fma_f32 v204, v5, v1, -v2
	v_mul_f32_e32 v1, v8, v4
	s_delay_alu instid0(VALU_DEP_4) | instskip(NEXT) | instid1(VALU_DEP_2)
	v_fmac_f32_e32 v205, v8, v3
	v_fma_f32 v206, v7, v3, -v1
	ds_load_b128 v[1:4], v25 offset:816
	ds_load_b128 v[5:8], v25 offset:832
	s_wait_loadcnt_dscnt 0x1
	v_mul_f32_e32 v207, v1, v10
	v_mul_f32_e32 v209, v3, v12
	s_delay_alu instid0(VALU_DEP_2) | instskip(NEXT) | instid1(VALU_DEP_2)
	v_fmac_f32_e32 v207, v2, v9
	v_dual_mul_f32 v2, v2, v10 :: v_dual_fmac_f32 v209, v4, v11
	s_delay_alu instid0(VALU_DEP_1) | instskip(SKIP_1) | instid1(VALU_DEP_1)
	v_fma_f32 v208, v1, v9, -v2
	v_mul_f32_e32 v1, v4, v12
	v_fma_f32 v210, v3, v11, -v1
	s_clause 0x1
	scratch_load_b128 v[1:4], off, off offset:352
	scratch_load_b128 v[9:12], off, off offset:368
	s_wait_loadcnt_dscnt 0x100
	v_mul_f32_e32 v211, v5, v2
	v_dual_mul_f32 v2, v6, v2 :: v_dual_mul_f32 v213, v7, v4
	s_delay_alu instid0(VALU_DEP_2) | instskip(NEXT) | instid1(VALU_DEP_2)
	v_fmac_f32_e32 v211, v6, v1
	v_fma_f32 v212, v5, v1, -v2
	v_mul_f32_e32 v1, v8, v4
	s_delay_alu instid0(VALU_DEP_4) | instskip(NEXT) | instid1(VALU_DEP_2)
	v_fmac_f32_e32 v213, v8, v3
	v_fma_f32 v214, v7, v3, -v1
	ds_load_b128 v[1:4], v25 offset:848
	ds_load_b128 v[5:8], v25 offset:864
	s_wait_loadcnt_dscnt 0x1
	v_mul_f32_e32 v215, v1, v10
	v_mul_f32_e32 v217, v3, v12
	s_delay_alu instid0(VALU_DEP_2) | instskip(NEXT) | instid1(VALU_DEP_2)
	v_fmac_f32_e32 v215, v2, v9
	v_dual_mul_f32 v2, v2, v10 :: v_dual_fmac_f32 v217, v4, v11
	s_delay_alu instid0(VALU_DEP_1) | instskip(SKIP_1) | instid1(VALU_DEP_1)
	v_fma_f32 v216, v1, v9, -v2
	v_mul_f32_e32 v1, v4, v12
	v_fma_f32 v218, v3, v11, -v1
	s_clause 0x1
	scratch_load_b128 v[1:4], off, off offset:384
	scratch_load_b128 v[9:12], off, off offset:400
	s_wait_loadcnt_dscnt 0x100
	v_mul_f32_e32 v219, v5, v2
	v_dual_mul_f32 v2, v6, v2 :: v_dual_mul_f32 v221, v7, v4
	s_delay_alu instid0(VALU_DEP_2) | instskip(NEXT) | instid1(VALU_DEP_2)
	v_fmac_f32_e32 v219, v6, v1
	v_fma_f32 v220, v5, v1, -v2
	s_delay_alu instid0(VALU_DEP_3) | instskip(NEXT) | instid1(VALU_DEP_1)
	v_dual_add_f32 v2, 0, v32 :: v_dual_fmac_f32 v221, v8, v3
	v_add_f32_e32 v2, v2, v151
	s_delay_alu instid0(VALU_DEP_1) | instskip(NEXT) | instid1(VALU_DEP_1)
	v_add_f32_e32 v2, v2, v23
	v_add_f32_e32 v2, v2, v24
	s_delay_alu instid0(VALU_DEP_1) | instskip(NEXT) | instid1(VALU_DEP_1)
	v_add_f32_e32 v2, v2, v152
	;; [unrolled: 3-line block ×5, first 2 shown]
	v_add_f32_e32 v2, v2, v20
	s_delay_alu instid0(VALU_DEP_1) | instskip(NEXT) | instid1(VALU_DEP_1)
	v_dual_mul_f32 v1, v8, v4 :: v_dual_add_f32 v2, v2, v159
	v_fma_f32 v222, v7, v3, -v1
	s_delay_alu instid0(VALU_DEP_2) | instskip(NEXT) | instid1(VALU_DEP_1)
	v_dual_add_f32 v1, 0, v21 :: v_dual_add_f32 v2, v2, v160
	v_dual_add_f32 v1, v1, v22 :: v_dual_add_f32 v2, v2, v163
	s_delay_alu instid0(VALU_DEP_1) | instskip(NEXT) | instid1(VALU_DEP_1)
	v_dual_add_f32 v1, v1, v26 :: v_dual_add_f32 v2, v2, v165
	v_add_f32_e32 v1, v1, v27
	scratch_load_b64 v[26:27], off, off offset:464
	v_dual_add_f32 v2, v2, v167 :: v_dual_add_f32 v1, v1, v28
	s_delay_alu instid0(VALU_DEP_1) | instskip(NEXT) | instid1(VALU_DEP_1)
	v_add_f32_e32 v2, v2, v169
	v_dual_add_f32 v1, v1, v29 :: v_dual_add_f32 v2, v2, v171
	s_delay_alu instid0(VALU_DEP_1) | instskip(NEXT) | instid1(VALU_DEP_1)
	v_add_f32_e32 v1, v1, v13
	v_dual_add_f32 v2, v2, v173 :: v_dual_add_f32 v1, v1, v14
	s_delay_alu instid0(VALU_DEP_1) | instskip(NEXT) | instid1(VALU_DEP_1)
	v_dual_add_f32 v2, v2, v175 :: v_dual_add_f32 v1, v1, v16
	v_add_f32_e32 v2, v2, v177
	s_delay_alu instid0(VALU_DEP_2) | instskip(NEXT) | instid1(VALU_DEP_1)
	v_add_f32_e32 v1, v1, v17
	v_add_f32_e32 v1, v1, v156
	s_delay_alu instid0(VALU_DEP_1) | instskip(NEXT) | instid1(VALU_DEP_1)
	v_add_f32_e32 v1, v1, v157
	v_add_f32_e32 v1, v1, v161
	s_delay_alu instid0(VALU_DEP_1) | instskip(NEXT) | instid1(VALU_DEP_1)
	;; [unrolled: 3-line block ×9, first 2 shown]
	v_add_f32_e32 v1, v1, v190
	v_add_f32_e32 v1, v1, v192
	s_delay_alu instid0(VALU_DEP_1) | instskip(SKIP_1) | instid1(VALU_DEP_2)
	v_add_f32_e32 v6, v1, v194
	v_add_f32_e32 v2, v2, v179
	;; [unrolled: 1-line block ×3, first 2 shown]
	s_delay_alu instid0(VALU_DEP_2) | instskip(NEXT) | instid1(VALU_DEP_2)
	v_add_f32_e32 v2, v2, v181
	v_add_f32_e32 v13, v6, v198
	s_delay_alu instid0(VALU_DEP_1) | instskip(NEXT) | instid1(VALU_DEP_1)
	v_dual_add_f32 v2, v2, v183 :: v_dual_add_f32 v13, v13, v200
	v_dual_add_f32 v2, v2, v185 :: v_dual_add_f32 v13, v13, v202
	s_delay_alu instid0(VALU_DEP_1) | instskip(NEXT) | instid1(VALU_DEP_1)
	v_dual_add_f32 v2, v2, v187 :: v_dual_add_f32 v13, v13, v204
	v_add_f32_e32 v2, v2, v189
	s_delay_alu instid0(VALU_DEP_1) | instskip(SKIP_2) | instid1(VALU_DEP_1)
	v_dual_add_f32 v18, v13, v206 :: v_dual_add_f32 v5, v2, v191
	ds_load_b128 v[1:4], v25 offset:880
	v_dual_add_f32 v18, v18, v208 :: v_dual_add_f32 v5, v5, v193
	v_dual_add_f32 v18, v18, v210 :: v_dual_add_f32 v5, v5, v195
	s_delay_alu instid0(VALU_DEP_1) | instskip(NEXT) | instid1(VALU_DEP_2)
	v_add_f32_e32 v18, v18, v212
	v_add_f32_e32 v14, v5, v197
	ds_load_b128 v[5:8], v25 offset:896
	v_add_f32_e32 v18, v18, v214
	s_wait_loadcnt_dscnt 0x101
	v_mul_f32_e32 v32, v1, v10
	v_dual_mul_f32 v10, v2, v10 :: v_dual_mul_f32 v151, v3, v12
	v_mul_f32_e32 v12, v4, v12
	v_add_f32_e32 v28, v18, v216
	s_delay_alu instid0(VALU_DEP_4) | instskip(NEXT) | instid1(VALU_DEP_4)
	v_fmac_f32_e32 v32, v2, v9
	v_fma_f32 v152, v1, v9, -v10
	v_fmac_f32_e32 v151, v4, v11
	v_fma_f32 v154, v3, v11, -v12
	s_clause 0x1
	scratch_load_b128 v[1:4], off, off offset:416
	scratch_load_b128 v[9:12], off, off offset:432
	v_add_f32_e32 v155, v28, v218
	s_delay_alu instid0(VALU_DEP_1) | instskip(NEXT) | instid1(VALU_DEP_1)
	v_add_f32_e32 v155, v155, v220
	v_add_f32_e32 v155, v155, v222
	s_delay_alu instid0(VALU_DEP_1) | instskip(NEXT) | instid1(VALU_DEP_1)
	v_add_f32_e32 v152, v155, v152
	v_add_f32_e32 v152, v152, v154
	s_wait_loadcnt_dscnt 0x100
	v_mul_f32_e32 v158, v7, v4
	v_add_f32_e32 v14, v14, v199
	v_dual_mul_f32 v4, v8, v4 :: v_dual_mul_f32 v157, v5, v2
	v_mul_f32_e32 v2, v6, v2
	s_delay_alu instid0(VALU_DEP_4) | instskip(NEXT) | instid1(VALU_DEP_4)
	v_fmac_f32_e32 v158, v8, v3
	v_add_f32_e32 v14, v14, v201
	s_delay_alu instid0(VALU_DEP_4) | instskip(NEXT) | instid1(VALU_DEP_4)
	v_fmac_f32_e32 v157, v6, v1
	v_fma_f32 v2, v5, v1, -v2
	v_fma_f32 v1, v7, v3, -v4
	s_delay_alu instid0(VALU_DEP_4) | instskip(SKIP_2) | instid1(VALU_DEP_1)
	v_add_f32_e32 v17, v14, v203
	scratch_load_b128 v[13:16], off, off offset:448
	v_dual_add_f32 v2, v152, v2 :: v_dual_add_f32 v17, v17, v205
	v_add_f32_e32 v1, v2, v1
	s_delay_alu instid0(VALU_DEP_2) | instskip(NEXT) | instid1(VALU_DEP_1)
	v_add_f32_e32 v17, v17, v207
	v_add_f32_e32 v17, v17, v209
	s_delay_alu instid0(VALU_DEP_1) | instskip(NEXT) | instid1(VALU_DEP_1)
	v_add_f32_e32 v17, v17, v211
	v_add_f32_e32 v21, v17, v213
	ds_load_b128 v[17:20], v25 offset:912
	v_add_f32_e32 v29, v21, v215
	ds_load_b128 v[21:24], v25 offset:928
	v_add_f32_e32 v156, v29, v217
	ds_load_b64 v[28:29], v25 offset:944
	v_add_f32_e32 v156, v156, v219
	s_wait_loadcnt_dscnt 0x102
	s_delay_alu instid0(VALU_DEP_1) | instskip(SKIP_2) | instid1(VALU_DEP_3)
	v_dual_add_f32 v156, v156, v221 :: v_dual_mul_f32 v155, v17, v10
	v_mul_f32_e32 v3, v18, v10
	v_mul_f32_e32 v5, v20, v12
	v_add_f32_e32 v32, v156, v32
	s_delay_alu instid0(VALU_DEP_4) | instskip(NEXT) | instid1(VALU_DEP_4)
	v_dual_mul_f32 v156, v19, v12 :: v_dual_fmac_f32 v155, v18, v9
	v_fma_f32 v3, v17, v9, -v3
	s_delay_alu instid0(VALU_DEP_4) | instskip(NEXT) | instid1(VALU_DEP_4)
	v_fma_f32 v5, v19, v11, -v5
	v_add_f32_e32 v32, v32, v151
	s_delay_alu instid0(VALU_DEP_4) | instskip(SKIP_2) | instid1(VALU_DEP_3)
	v_fmac_f32_e32 v156, v20, v11
	s_wait_dscnt 0x0
	v_mul_f32_e32 v151, v28, v27
	v_dual_add_f32 v1, v1, v3 :: v_dual_add_f32 v4, v32, v157
	s_delay_alu instid0(VALU_DEP_2) | instskip(NEXT) | instid1(VALU_DEP_2)
	v_fmac_f32_e32 v151, v29, v26
	v_add_f32_e32 v1, v1, v5
	s_delay_alu instid0(VALU_DEP_3) | instskip(NEXT) | instid1(VALU_DEP_1)
	v_dual_mul_f32 v5, v29, v27 :: v_dual_add_f32 v2, v4, v158
	v_add_f32_e32 v2, v2, v155
	s_wait_loadcnt 0x0
	s_delay_alu instid0(VALU_DEP_1) | instskip(SKIP_3) | instid1(VALU_DEP_4)
	v_dual_add_f32 v2, v2, v156 :: v_dual_mul_f32 v159, v21, v14
	v_mul_f32_e32 v4, v22, v14
	v_mul_f32_e32 v154, v23, v16
	;; [unrolled: 1-line block ×3, first 2 shown]
	v_fmac_f32_e32 v159, v22, v13
	s_delay_alu instid0(VALU_DEP_4) | instskip(NEXT) | instid1(VALU_DEP_4)
	v_fma_f32 v4, v21, v13, -v4
	v_fmac_f32_e32 v154, v24, v15
	s_delay_alu instid0(VALU_DEP_4) | instskip(NEXT) | instid1(VALU_DEP_3)
	v_fma_f32 v3, v23, v15, -v3
	v_dual_add_f32 v2, v2, v159 :: v_dual_add_f32 v1, v1, v4
	v_fma_f32 v4, v28, v26, -v5
	s_delay_alu instid0(VALU_DEP_2) | instskip(NEXT) | instid1(VALU_DEP_1)
	v_dual_add_f32 v2, v2, v154 :: v_dual_add_f32 v1, v1, v3
	v_dual_add_f32 v2, v2, v151 :: v_dual_add_f32 v1, v1, v4
	s_delay_alu instid0(VALU_DEP_1)
	v_dual_sub_f32 v2, v31, v2 :: v_dual_sub_f32 v1, v30, v1
	scratch_store_b64 off, v[1:2], off offset:40
	v_cmpx_lt_u32_e32 4, v0
	s_cbranch_execz .LBB58_359
; %bb.358:
	scratch_load_b64 v[1:2], off, off offset:32
	v_mov_b32_e32 v26, v25
	scratch_store_b64 off, v[25:26], off offset:32
	s_wait_loadcnt 0x0
	ds_store_b64 v153, v[1:2]
.LBB58_359:
	s_wait_alu 0xfffe
	s_or_b32 exec_lo, exec_lo, s0
	s_wait_storecnt_dscnt 0x0
	s_barrier_signal -1
	s_barrier_wait -1
	global_inv scope:SCOPE_SE
	s_clause 0x4
	scratch_load_b128 v[5:8], off, off offset:40
	scratch_load_b128 v[1:4], off, off offset:56
	;; [unrolled: 1-line block ×5, first 2 shown]
	ds_load_2addr_b64 v[21:24], v25 offset0:65 offset1:66
	ds_load_2addr_b64 v[26:29], v25 offset0:67 offset1:68
	;; [unrolled: 1-line block ×3, first 2 shown]
	scratch_load_b64 v[30:31], off, off offset:32
	s_mov_b32 s0, exec_lo
	s_wait_loadcnt_dscnt 0x502
	v_dual_mul_f32 v32, v21, v6 :: v_dual_mul_f32 v151, v23, v8
	v_mul_f32_e32 v6, v22, v6
	v_mul_f32_e32 v8, v24, v8
	s_wait_loadcnt_dscnt 0x300
	v_mul_f32_e32 v152, v154, v10
	v_dual_fmac_f32 v32, v22, v5 :: v_dual_fmac_f32 v151, v24, v7
	v_fma_f32 v21, v21, v5, -v6
	v_fma_f32 v22, v23, v7, -v8
	ds_load_2addr_b64 v[5:8], v25 offset0:71 offset1:72
	v_dual_mul_f32 v23, v26, v2 :: v_dual_mul_f32 v24, v28, v4
	v_mul_f32_e32 v4, v29, v4
	v_mul_f32_e32 v158, v156, v12
	;; [unrolled: 1-line block ×5, first 2 shown]
	v_dual_fmac_f32 v23, v27, v1 :: v_dual_fmac_f32 v24, v29, v3
	v_fma_f32 v27, v28, v3, -v4
	v_fmac_f32_e32 v152, v155, v9
	v_fmac_f32_e32 v158, v157, v11
	v_fma_f32 v28, v154, v9, -v10
	v_fma_f32 v29, v156, v11, -v12
	ds_load_2addr_b64 v[9:12], v25 offset0:73 offset1:74
	s_wait_loadcnt_dscnt 0x201
	v_dual_mul_f32 v155, v7, v16 :: v_dual_mul_f32 v154, v5, v14
	v_mul_f32_e32 v14, v6, v14
	v_mul_f32_e32 v16, v8, v16
	s_delay_alu instid0(VALU_DEP_3)
	v_fmac_f32_e32 v155, v8, v15
	v_fma_f32 v26, v26, v1, -v2
	scratch_load_b128 v[1:4], off, off offset:120
	v_fmac_f32_e32 v154, v6, v13
	v_fma_f32 v13, v5, v13, -v14
	v_fma_f32 v14, v7, v15, -v16
	ds_load_2addr_b64 v[5:8], v25 offset0:75 offset1:76
	s_wait_loadcnt_dscnt 0x201
	v_mul_f32_e32 v15, v9, v18
	v_mul_f32_e32 v16, v10, v18
	v_mul_f32_e32 v18, v11, v20
	s_delay_alu instid0(VALU_DEP_3) | instskip(NEXT) | instid1(VALU_DEP_3)
	v_dual_mul_f32 v20, v12, v20 :: v_dual_fmac_f32 v15, v10, v17
	v_fma_f32 v16, v9, v17, -v16
	s_delay_alu instid0(VALU_DEP_3) | instskip(NEXT) | instid1(VALU_DEP_3)
	v_fmac_f32_e32 v18, v12, v19
	v_fma_f32 v17, v11, v19, -v20
	scratch_load_b128 v[9:12], off, off offset:136
	s_wait_loadcnt_dscnt 0x100
	v_mul_f32_e32 v19, v5, v2
	v_mul_f32_e32 v2, v6, v2
	;; [unrolled: 1-line block ×3, first 2 shown]
	s_delay_alu instid0(VALU_DEP_3) | instskip(NEXT) | instid1(VALU_DEP_3)
	v_dual_mul_f32 v4, v8, v4 :: v_dual_fmac_f32 v19, v6, v1
	v_fma_f32 v156, v5, v1, -v2
	s_delay_alu instid0(VALU_DEP_3) | instskip(NEXT) | instid1(VALU_DEP_3)
	v_fmac_f32_e32 v20, v8, v3
	v_fma_f32 v157, v7, v3, -v4
	ds_load_2addr_b64 v[1:4], v25 offset0:77 offset1:78
	ds_load_2addr_b64 v[5:8], v25 offset0:79 offset1:80
	s_wait_loadcnt_dscnt 0x1
	v_mul_f32_e32 v159, v1, v10
	v_mul_f32_e32 v10, v2, v10
	s_delay_alu instid0(VALU_DEP_2) | instskip(NEXT) | instid1(VALU_DEP_2)
	v_dual_mul_f32 v160, v3, v12 :: v_dual_fmac_f32 v159, v2, v9
	v_fma_f32 v161, v1, v9, -v10
	v_mul_f32_e32 v1, v4, v12
	s_delay_alu instid0(VALU_DEP_3) | instskip(NEXT) | instid1(VALU_DEP_2)
	v_fmac_f32_e32 v160, v4, v11
	v_fma_f32 v162, v3, v11, -v1
	s_clause 0x1
	scratch_load_b128 v[1:4], off, off offset:152
	scratch_load_b128 v[9:12], off, off offset:168
	s_wait_loadcnt_dscnt 0x100
	v_mul_f32_e32 v163, v5, v2
	v_dual_mul_f32 v2, v6, v2 :: v_dual_mul_f32 v165, v7, v4
	s_delay_alu instid0(VALU_DEP_2) | instskip(NEXT) | instid1(VALU_DEP_2)
	v_fmac_f32_e32 v163, v6, v1
	v_fma_f32 v164, v5, v1, -v2
	v_mul_f32_e32 v1, v8, v4
	s_delay_alu instid0(VALU_DEP_4) | instskip(NEXT) | instid1(VALU_DEP_2)
	v_fmac_f32_e32 v165, v8, v3
	v_fma_f32 v166, v7, v3, -v1
	ds_load_2addr_b64 v[1:4], v25 offset0:81 offset1:82
	ds_load_2addr_b64 v[5:8], v25 offset0:83 offset1:84
	s_wait_loadcnt_dscnt 0x1
	v_mul_f32_e32 v167, v1, v10
	v_mul_f32_e32 v169, v3, v12
	s_delay_alu instid0(VALU_DEP_2) | instskip(NEXT) | instid1(VALU_DEP_2)
	v_fmac_f32_e32 v167, v2, v9
	v_dual_mul_f32 v2, v2, v10 :: v_dual_fmac_f32 v169, v4, v11
	s_delay_alu instid0(VALU_DEP_1) | instskip(SKIP_1) | instid1(VALU_DEP_1)
	v_fma_f32 v168, v1, v9, -v2
	v_mul_f32_e32 v1, v4, v12
	v_fma_f32 v170, v3, v11, -v1
	s_clause 0x1
	scratch_load_b128 v[1:4], off, off offset:184
	scratch_load_b128 v[9:12], off, off offset:200
	s_wait_loadcnt_dscnt 0x100
	v_mul_f32_e32 v171, v5, v2
	v_dual_mul_f32 v2, v6, v2 :: v_dual_mul_f32 v173, v7, v4
	s_delay_alu instid0(VALU_DEP_2) | instskip(NEXT) | instid1(VALU_DEP_2)
	v_fmac_f32_e32 v171, v6, v1
	v_fma_f32 v172, v5, v1, -v2
	v_mul_f32_e32 v1, v8, v4
	s_delay_alu instid0(VALU_DEP_4) | instskip(NEXT) | instid1(VALU_DEP_2)
	v_fmac_f32_e32 v173, v8, v3
	v_fma_f32 v174, v7, v3, -v1
	ds_load_2addr_b64 v[1:4], v25 offset0:85 offset1:86
	ds_load_2addr_b64 v[5:8], v25 offset0:87 offset1:88
	s_wait_loadcnt_dscnt 0x1
	v_mul_f32_e32 v175, v1, v10
	v_mul_f32_e32 v177, v3, v12
	s_delay_alu instid0(VALU_DEP_2) | instskip(NEXT) | instid1(VALU_DEP_2)
	v_fmac_f32_e32 v175, v2, v9
	v_dual_mul_f32 v2, v2, v10 :: v_dual_fmac_f32 v177, v4, v11
	s_delay_alu instid0(VALU_DEP_1) | instskip(SKIP_1) | instid1(VALU_DEP_1)
	v_fma_f32 v176, v1, v9, -v2
	v_mul_f32_e32 v1, v4, v12
	;; [unrolled: 25-line block ×7, first 2 shown]
	v_fma_f32 v218, v3, v11, -v1
	s_clause 0x1
	scratch_load_b128 v[1:4], off, off offset:376
	scratch_load_b128 v[9:12], off, off offset:392
	s_wait_loadcnt_dscnt 0x100
	v_mul_f32_e32 v219, v5, v2
	v_mul_f32_e32 v2, v6, v2
	s_delay_alu instid0(VALU_DEP_2) | instskip(NEXT) | instid1(VALU_DEP_2)
	v_fmac_f32_e32 v219, v6, v1
	v_fma_f32 v220, v5, v1, -v2
	v_add_f32_e32 v2, 0, v32
	s_delay_alu instid0(VALU_DEP_1) | instskip(NEXT) | instid1(VALU_DEP_1)
	v_dual_mul_f32 v1, v8, v4 :: v_dual_add_f32 v2, v2, v151
	v_fma_f32 v222, v7, v3, -v1
	s_delay_alu instid0(VALU_DEP_2) | instskip(NEXT) | instid1(VALU_DEP_1)
	v_dual_add_f32 v1, 0, v21 :: v_dual_add_f32 v2, v2, v23
	v_dual_add_f32 v1, v1, v22 :: v_dual_add_f32 v2, v2, v24
	s_delay_alu instid0(VALU_DEP_1) | instskip(NEXT) | instid1(VALU_DEP_1)
	v_add_f32_e32 v2, v2, v152
	v_add_f32_e32 v2, v2, v158
	s_delay_alu instid0(VALU_DEP_1) | instskip(NEXT) | instid1(VALU_DEP_1)
	v_add_f32_e32 v2, v2, v154
	v_add_f32_e32 v2, v2, v155
	;; [unrolled: 3-line block ×5, first 2 shown]
	s_delay_alu instid0(VALU_DEP_1) | instskip(NEXT) | instid1(VALU_DEP_1)
	v_add_f32_e32 v2, v2, v163
	v_dual_add_f32 v2, v2, v165 :: v_dual_add_f32 v1, v1, v26
	s_delay_alu instid0(VALU_DEP_1) | instskip(NEXT) | instid1(VALU_DEP_1)
	v_add_f32_e32 v2, v2, v167
	v_dual_add_f32 v1, v1, v27 :: v_dual_add_f32 v2, v2, v169
	s_delay_alu instid0(VALU_DEP_1) | instskip(NEXT) | instid1(VALU_DEP_1)
	v_dual_add_f32 v1, v1, v28 :: v_dual_add_f32 v2, v2, v171
	v_add_f32_e32 v1, v1, v29
	s_delay_alu instid0(VALU_DEP_2) | instskip(NEXT) | instid1(VALU_DEP_1)
	v_add_f32_e32 v2, v2, v173
	v_dual_add_f32 v1, v1, v13 :: v_dual_add_f32 v2, v2, v175
	s_delay_alu instid0(VALU_DEP_1) | instskip(NEXT) | instid1(VALU_DEP_1)
	v_dual_add_f32 v1, v1, v14 :: v_dual_add_f32 v2, v2, v177
	v_add_f32_e32 v1, v1, v16
	s_delay_alu instid0(VALU_DEP_1) | instskip(NEXT) | instid1(VALU_DEP_1)
	v_add_f32_e32 v1, v1, v17
	v_add_f32_e32 v1, v1, v156
	s_delay_alu instid0(VALU_DEP_1) | instskip(NEXT) | instid1(VALU_DEP_1)
	v_add_f32_e32 v1, v1, v157
	;; [unrolled: 3-line block ×11, first 2 shown]
	v_add_f32_e32 v6, v1, v196
	v_dual_mul_f32 v221, v7, v4 :: v_dual_add_f32 v2, v2, v179
	s_delay_alu instid0(VALU_DEP_2) | instskip(NEXT) | instid1(VALU_DEP_2)
	v_add_f32_e32 v14, v6, v198
	v_add_f32_e32 v2, v2, v181
	s_delay_alu instid0(VALU_DEP_2) | instskip(NEXT) | instid1(VALU_DEP_2)
	v_add_f32_e32 v14, v14, v200
	v_add_f32_e32 v2, v2, v183
	s_delay_alu instid0(VALU_DEP_2) | instskip(NEXT) | instid1(VALU_DEP_1)
	v_add_f32_e32 v17, v14, v202
	v_dual_add_f32 v2, v2, v185 :: v_dual_add_f32 v17, v17, v204
	s_delay_alu instid0(VALU_DEP_1) | instskip(NEXT) | instid1(VALU_DEP_1)
	v_dual_add_f32 v2, v2, v187 :: v_dual_add_f32 v17, v17, v206
	v_dual_add_f32 v2, v2, v189 :: v_dual_add_f32 v17, v17, v208
	s_delay_alu instid0(VALU_DEP_1) | instskip(NEXT) | instid1(VALU_DEP_2)
	v_add_f32_e32 v22, v17, v210
	v_add_f32_e32 v2, v2, v191
	s_delay_alu instid0(VALU_DEP_2) | instskip(NEXT) | instid1(VALU_DEP_2)
	v_add_f32_e32 v22, v22, v212
	v_add_f32_e32 v5, v2, v193
	s_delay_alu instid0(VALU_DEP_1) | instskip(NEXT) | instid1(VALU_DEP_1)
	v_dual_add_f32 v22, v22, v214 :: v_dual_add_f32 v13, v5, v195
	v_add_f32_e32 v13, v13, v197
	s_delay_alu instid0(VALU_DEP_1)
	v_add_f32_e32 v13, v13, v199
	v_fmac_f32_e32 v221, v8, v3
	ds_load_2addr_b64 v[1:4], v25 offset0:109 offset1:110
	scratch_load_b128 v[5:8], off, off offset:408
	v_add_f32_e32 v18, v13, v201
	ds_load_2addr_b64 v[13:16], v25 offset0:111 offset1:112
	v_add_f32_e32 v18, v18, v203
	s_delay_alu instid0(VALU_DEP_1) | instskip(NEXT) | instid1(VALU_DEP_1)
	v_add_f32_e32 v18, v18, v205
	v_add_f32_e32 v21, v18, v207
	scratch_load_b128 v[17:20], off, off offset:456
	s_wait_loadcnt_dscnt 0x201
	v_mul_f32_e32 v26, v1, v10
	v_dual_mul_f32 v10, v2, v10 :: v_dual_mul_f32 v27, v3, v12
	v_dual_mul_f32 v12, v4, v12 :: v_dual_add_f32 v21, v21, v209
	s_delay_alu instid0(VALU_DEP_3) | instskip(NEXT) | instid1(VALU_DEP_3)
	v_fmac_f32_e32 v26, v2, v9
	v_fma_f32 v28, v1, v9, -v10
	s_delay_alu instid0(VALU_DEP_4) | instskip(NEXT) | instid1(VALU_DEP_4)
	v_fmac_f32_e32 v27, v4, v11
	v_fma_f32 v29, v3, v11, -v12
	s_clause 0x1
	scratch_load_b128 v[1:4], off, off offset:424
	scratch_load_b128 v[9:12], off, off offset:440
	v_add_f32_e32 v21, v21, v211
	s_wait_loadcnt_dscnt 0x300
	v_mul_f32_e32 v32, v13, v6
	v_dual_mul_f32 v6, v14, v6 :: v_dual_mul_f32 v151, v15, v8
	v_mul_f32_e32 v8, v16, v8
	s_delay_alu instid0(VALU_DEP_3) | instskip(NEXT) | instid1(VALU_DEP_3)
	v_fmac_f32_e32 v32, v14, v5
	v_fma_f32 v152, v13, v5, -v6
	v_add_f32_e32 v13, v21, v213
	v_fmac_f32_e32 v151, v16, v7
	v_fma_f32 v154, v15, v7, -v8
	ds_load_2addr_b64 v[5:8], v25 offset0:113 offset1:114
	v_dual_add_f32 v21, v22, v216 :: v_dual_add_f32 v22, v13, v215
	ds_load_2addr_b64 v[13:16], v25 offset0:115 offset1:116
	v_dual_add_f32 v155, v21, v218 :: v_dual_add_f32 v156, v22, v217
	ds_load_2addr_b64 v[21:24], v25 offset0:117 offset1:118
	v_add_f32_e32 v25, v155, v220
	s_delay_alu instid0(VALU_DEP_1) | instskip(NEXT) | instid1(VALU_DEP_1)
	v_add_f32_e32 v25, v25, v222
	v_add_f32_e32 v25, v25, v28
	s_wait_loadcnt_dscnt 0x102
	v_mul_f32_e32 v28, v7, v4
	v_mul_f32_e32 v4, v8, v4
	v_dual_add_f32 v155, v156, v219 :: v_dual_mul_f32 v156, v5, v2
	v_dual_add_f32 v25, v25, v29 :: v_dual_mul_f32 v2, v6, v2
	s_delay_alu instid0(VALU_DEP_2) | instskip(NEXT) | instid1(VALU_DEP_2)
	v_dual_fmac_f32 v28, v8, v3 :: v_dual_add_f32 v155, v155, v221
	v_dual_fmac_f32 v156, v6, v1 :: v_dual_add_f32 v25, v25, v152
	s_delay_alu instid0(VALU_DEP_3)
	v_fma_f32 v2, v5, v1, -v2
	s_wait_loadcnt_dscnt 0x1
	v_mul_f32_e32 v6, v14, v10
	v_add_f32_e32 v26, v155, v26
	v_mul_f32_e32 v155, v13, v10
	v_add_f32_e32 v1, v25, v154
	v_fma_f32 v3, v7, v3, -v4
	s_delay_alu instid0(VALU_DEP_4) | instskip(NEXT) | instid1(VALU_DEP_3)
	v_dual_mul_f32 v157, v15, v12 :: v_dual_add_f32 v26, v26, v27
	v_dual_mul_f32 v4, v16, v12 :: v_dual_add_f32 v1, v1, v2
	v_fmac_f32_e32 v155, v14, v9
	s_wait_dscnt 0x0
	s_delay_alu instid0(VALU_DEP_3)
	v_dual_mul_f32 v27, v21, v18 :: v_dual_add_f32 v26, v26, v32
	v_fmac_f32_e32 v157, v16, v11
	v_add_f32_e32 v1, v1, v3
	v_mul_f32_e32 v3, v22, v18
	v_fma_f32 v4, v15, v11, -v4
	v_add_f32_e32 v5, v26, v151
	v_mul_f32_e32 v29, v23, v20
	v_fmac_f32_e32 v27, v22, v17
	v_fma_f32 v3, v21, v17, -v3
	s_delay_alu instid0(VALU_DEP_4) | instskip(SKIP_1) | instid1(VALU_DEP_2)
	v_add_f32_e32 v2, v5, v156
	v_fma_f32 v5, v13, v9, -v6
	v_dual_fmac_f32 v29, v24, v19 :: v_dual_add_f32 v2, v2, v28
	s_delay_alu instid0(VALU_DEP_2) | instskip(NEXT) | instid1(VALU_DEP_2)
	v_add_f32_e32 v1, v1, v5
	v_dual_mul_f32 v5, v24, v20 :: v_dual_add_f32 v2, v2, v155
	s_delay_alu instid0(VALU_DEP_2) | instskip(NEXT) | instid1(VALU_DEP_2)
	v_add_f32_e32 v1, v1, v4
	v_fma_f32 v4, v23, v19, -v5
	s_delay_alu instid0(VALU_DEP_2) | instskip(NEXT) | instid1(VALU_DEP_1)
	v_dual_add_f32 v2, v2, v157 :: v_dual_add_f32 v1, v1, v3
	v_dual_add_f32 v2, v2, v27 :: v_dual_add_f32 v1, v1, v4
	s_delay_alu instid0(VALU_DEP_1) | instskip(NEXT) | instid1(VALU_DEP_1)
	v_add_f32_e32 v2, v2, v29
	v_dual_sub_f32 v1, v30, v1 :: v_dual_sub_f32 v2, v31, v2
	scratch_store_b64 off, v[1:2], off offset:32
	v_cmpx_lt_u32_e32 3, v0
	s_cbranch_execz .LBB58_361
; %bb.360:
	scratch_load_b64 v[1:2], off, off offset:24
	v_mov_b32_e32 v3, 0
	s_delay_alu instid0(VALU_DEP_1)
	v_mov_b32_e32 v4, v3
	scratch_store_b64 off, v[3:4], off offset:24
	s_wait_loadcnt 0x0
	ds_store_b64 v153, v[1:2]
.LBB58_361:
	s_wait_alu 0xfffe
	s_or_b32 exec_lo, exec_lo, s0
	s_wait_storecnt_dscnt 0x0
	s_barrier_signal -1
	s_barrier_wait -1
	global_inv scope:SCOPE_SE
	s_clause 0x4
	scratch_load_b128 v[5:8], off, off offset:32
	scratch_load_b128 v[1:4], off, off offset:48
	scratch_load_b128 v[9:12], off, off offset:64
	scratch_load_b128 v[13:16], off, off offset:80
	scratch_load_b128 v[17:20], off, off offset:96
	v_mov_b32_e32 v29, 0
	ds_load_b128 v[21:24], v29 offset:512
	ds_load_b128 v[25:28], v29 offset:528
	;; [unrolled: 1-line block ×3, first 2 shown]
	scratch_load_b64 v[30:31], off, off offset:24
	s_mov_b32 s0, exec_lo
	s_wait_loadcnt_dscnt 0x502
	v_dual_mul_f32 v32, v21, v6 :: v_dual_mul_f32 v151, v23, v8
	v_mul_f32_e32 v6, v22, v6
	v_mul_f32_e32 v8, v24, v8
	s_wait_loadcnt_dscnt 0x300
	v_mul_f32_e32 v158, v156, v12
	v_dual_fmac_f32 v32, v22, v5 :: v_dual_fmac_f32 v151, v24, v7
	v_fma_f32 v21, v21, v5, -v6
	v_fma_f32 v22, v23, v7, -v8
	ds_load_b128 v[5:8], v29 offset:560
	v_dual_mul_f32 v23, v25, v2 :: v_dual_mul_f32 v24, v27, v4
	v_mul_f32_e32 v4, v28, v4
	v_mul_f32_e32 v152, v154, v10
	;; [unrolled: 1-line block ×5, first 2 shown]
	v_dual_fmac_f32 v23, v26, v1 :: v_dual_fmac_f32 v24, v28, v3
	v_fma_f32 v26, v27, v3, -v4
	v_fmac_f32_e32 v152, v155, v9
	v_fmac_f32_e32 v158, v157, v11
	v_fma_f32 v27, v154, v9, -v10
	v_fma_f32 v28, v156, v11, -v12
	ds_load_b128 v[9:12], v29 offset:576
	s_wait_loadcnt_dscnt 0x201
	v_mul_f32_e32 v155, v7, v16
	v_fma_f32 v25, v25, v1, -v2
	scratch_load_b128 v[1:4], off, off offset:112
	v_mul_f32_e32 v154, v5, v14
	v_mul_f32_e32 v14, v6, v14
	;; [unrolled: 1-line block ×3, first 2 shown]
	s_delay_alu instid0(VALU_DEP_3) | instskip(NEXT) | instid1(VALU_DEP_3)
	v_dual_fmac_f32 v155, v8, v15 :: v_dual_fmac_f32 v154, v6, v13
	v_fma_f32 v13, v5, v13, -v14
	s_delay_alu instid0(VALU_DEP_3)
	v_fma_f32 v14, v7, v15, -v16
	ds_load_b128 v[5:8], v29 offset:592
	s_wait_loadcnt_dscnt 0x201
	v_mul_f32_e32 v15, v9, v18
	v_mul_f32_e32 v16, v10, v18
	v_mul_f32_e32 v18, v11, v20
	s_delay_alu instid0(VALU_DEP_3) | instskip(NEXT) | instid1(VALU_DEP_3)
	v_dual_mul_f32 v20, v12, v20 :: v_dual_fmac_f32 v15, v10, v17
	v_fma_f32 v16, v9, v17, -v16
	s_delay_alu instid0(VALU_DEP_3) | instskip(NEXT) | instid1(VALU_DEP_3)
	v_fmac_f32_e32 v18, v12, v19
	v_fma_f32 v17, v11, v19, -v20
	scratch_load_b128 v[9:12], off, off offset:128
	s_wait_loadcnt_dscnt 0x100
	v_mul_f32_e32 v19, v5, v2
	v_mul_f32_e32 v2, v6, v2
	;; [unrolled: 1-line block ×3, first 2 shown]
	s_delay_alu instid0(VALU_DEP_3) | instskip(NEXT) | instid1(VALU_DEP_3)
	v_dual_mul_f32 v4, v8, v4 :: v_dual_fmac_f32 v19, v6, v1
	v_fma_f32 v156, v5, v1, -v2
	s_delay_alu instid0(VALU_DEP_3) | instskip(NEXT) | instid1(VALU_DEP_3)
	v_fmac_f32_e32 v20, v8, v3
	v_fma_f32 v157, v7, v3, -v4
	ds_load_b128 v[1:4], v29 offset:608
	ds_load_b128 v[5:8], v29 offset:624
	s_wait_loadcnt_dscnt 0x1
	v_mul_f32_e32 v159, v1, v10
	v_mul_f32_e32 v10, v2, v10
	s_delay_alu instid0(VALU_DEP_2) | instskip(NEXT) | instid1(VALU_DEP_2)
	v_dual_mul_f32 v160, v3, v12 :: v_dual_fmac_f32 v159, v2, v9
	v_fma_f32 v161, v1, v9, -v10
	v_mul_f32_e32 v1, v4, v12
	s_delay_alu instid0(VALU_DEP_3) | instskip(NEXT) | instid1(VALU_DEP_2)
	v_fmac_f32_e32 v160, v4, v11
	v_fma_f32 v162, v3, v11, -v1
	s_clause 0x1
	scratch_load_b128 v[1:4], off, off offset:144
	scratch_load_b128 v[9:12], off, off offset:160
	s_wait_loadcnt_dscnt 0x100
	v_mul_f32_e32 v163, v5, v2
	v_dual_mul_f32 v2, v6, v2 :: v_dual_mul_f32 v165, v7, v4
	s_delay_alu instid0(VALU_DEP_2) | instskip(NEXT) | instid1(VALU_DEP_2)
	v_fmac_f32_e32 v163, v6, v1
	v_fma_f32 v164, v5, v1, -v2
	v_mul_f32_e32 v1, v8, v4
	s_delay_alu instid0(VALU_DEP_4) | instskip(NEXT) | instid1(VALU_DEP_2)
	v_fmac_f32_e32 v165, v8, v3
	v_fma_f32 v166, v7, v3, -v1
	ds_load_b128 v[1:4], v29 offset:640
	ds_load_b128 v[5:8], v29 offset:656
	s_wait_loadcnt_dscnt 0x1
	v_mul_f32_e32 v167, v1, v10
	v_mul_f32_e32 v169, v3, v12
	s_delay_alu instid0(VALU_DEP_2) | instskip(NEXT) | instid1(VALU_DEP_2)
	v_fmac_f32_e32 v167, v2, v9
	v_dual_mul_f32 v2, v2, v10 :: v_dual_fmac_f32 v169, v4, v11
	s_delay_alu instid0(VALU_DEP_1) | instskip(SKIP_1) | instid1(VALU_DEP_1)
	v_fma_f32 v168, v1, v9, -v2
	v_mul_f32_e32 v1, v4, v12
	v_fma_f32 v170, v3, v11, -v1
	s_clause 0x1
	scratch_load_b128 v[1:4], off, off offset:176
	scratch_load_b128 v[9:12], off, off offset:192
	s_wait_loadcnt_dscnt 0x100
	v_mul_f32_e32 v171, v5, v2
	v_dual_mul_f32 v2, v6, v2 :: v_dual_mul_f32 v173, v7, v4
	s_delay_alu instid0(VALU_DEP_2) | instskip(NEXT) | instid1(VALU_DEP_2)
	v_fmac_f32_e32 v171, v6, v1
	v_fma_f32 v172, v5, v1, -v2
	v_mul_f32_e32 v1, v8, v4
	s_delay_alu instid0(VALU_DEP_4) | instskip(NEXT) | instid1(VALU_DEP_2)
	v_fmac_f32_e32 v173, v8, v3
	v_fma_f32 v174, v7, v3, -v1
	ds_load_b128 v[1:4], v29 offset:672
	ds_load_b128 v[5:8], v29 offset:688
	s_wait_loadcnt_dscnt 0x1
	v_mul_f32_e32 v175, v1, v10
	v_mul_f32_e32 v177, v3, v12
	s_delay_alu instid0(VALU_DEP_2) | instskip(NEXT) | instid1(VALU_DEP_2)
	v_fmac_f32_e32 v175, v2, v9
	v_dual_mul_f32 v2, v2, v10 :: v_dual_fmac_f32 v177, v4, v11
	s_delay_alu instid0(VALU_DEP_1) | instskip(SKIP_1) | instid1(VALU_DEP_1)
	v_fma_f32 v176, v1, v9, -v2
	v_mul_f32_e32 v1, v4, v12
	;; [unrolled: 25-line block ×7, first 2 shown]
	v_fma_f32 v218, v3, v11, -v1
	s_clause 0x1
	scratch_load_b128 v[1:4], off, off offset:368
	scratch_load_b128 v[9:12], off, off offset:384
	s_wait_loadcnt_dscnt 0x100
	v_mul_f32_e32 v219, v5, v2
	v_mul_f32_e32 v2, v6, v2
	s_delay_alu instid0(VALU_DEP_2) | instskip(NEXT) | instid1(VALU_DEP_2)
	v_fmac_f32_e32 v219, v6, v1
	v_fma_f32 v220, v5, v1, -v2
	v_add_f32_e32 v2, 0, v32
	s_delay_alu instid0(VALU_DEP_1) | instskip(NEXT) | instid1(VALU_DEP_1)
	v_dual_mul_f32 v1, v8, v4 :: v_dual_add_f32 v2, v2, v151
	v_fma_f32 v222, v7, v3, -v1
	s_delay_alu instid0(VALU_DEP_2) | instskip(NEXT) | instid1(VALU_DEP_1)
	v_dual_add_f32 v1, 0, v21 :: v_dual_add_f32 v2, v2, v23
	v_dual_add_f32 v1, v1, v22 :: v_dual_add_f32 v2, v2, v24
	s_delay_alu instid0(VALU_DEP_1) | instskip(NEXT) | instid1(VALU_DEP_1)
	v_dual_add_f32 v1, v1, v25 :: v_dual_add_f32 v2, v2, v152
	v_add_f32_e32 v2, v2, v158
	s_delay_alu instid0(VALU_DEP_1) | instskip(NEXT) | instid1(VALU_DEP_1)
	v_add_f32_e32 v2, v2, v154
	v_add_f32_e32 v2, v2, v155
	s_delay_alu instid0(VALU_DEP_1) | instskip(NEXT) | instid1(VALU_DEP_1)
	v_add_f32_e32 v2, v2, v15
	v_add_f32_e32 v2, v2, v18
	s_delay_alu instid0(VALU_DEP_1) | instskip(NEXT) | instid1(VALU_DEP_1)
	v_add_f32_e32 v2, v2, v19
	v_add_f32_e32 v2, v2, v20
	s_delay_alu instid0(VALU_DEP_1) | instskip(NEXT) | instid1(VALU_DEP_1)
	v_add_f32_e32 v2, v2, v159
	v_add_f32_e32 v2, v2, v160
	s_delay_alu instid0(VALU_DEP_1) | instskip(NEXT) | instid1(VALU_DEP_1)
	v_add_f32_e32 v2, v2, v163
	v_add_f32_e32 v2, v2, v165
	s_delay_alu instid0(VALU_DEP_1) | instskip(NEXT) | instid1(VALU_DEP_1)
	v_add_f32_e32 v2, v2, v167
	v_dual_add_f32 v2, v2, v169 :: v_dual_add_f32 v1, v1, v26
	scratch_load_b64 v[25:26], off, off offset:464
	v_add_f32_e32 v2, v2, v171
	s_delay_alu instid0(VALU_DEP_1) | instskip(NEXT) | instid1(VALU_DEP_1)
	v_dual_add_f32 v1, v1, v27 :: v_dual_add_f32 v2, v2, v173
	v_dual_add_f32 v1, v1, v28 :: v_dual_add_f32 v2, v2, v175
	s_delay_alu instid0(VALU_DEP_1) | instskip(NEXT) | instid1(VALU_DEP_1)
	v_add_f32_e32 v1, v1, v13
	v_dual_add_f32 v2, v2, v177 :: v_dual_add_f32 v1, v1, v14
	s_delay_alu instid0(VALU_DEP_1) | instskip(NEXT) | instid1(VALU_DEP_1)
	v_add_f32_e32 v1, v1, v16
	v_add_f32_e32 v1, v1, v17
	s_delay_alu instid0(VALU_DEP_1) | instskip(NEXT) | instid1(VALU_DEP_1)
	v_add_f32_e32 v1, v1, v156
	v_add_f32_e32 v1, v1, v157
	;; [unrolled: 3-line block ×11, first 2 shown]
	s_delay_alu instid0(VALU_DEP_1) | instskip(SKIP_1) | instid1(VALU_DEP_2)
	v_add_f32_e32 v6, v1, v196
	v_add_f32_e32 v2, v2, v179
	v_add_f32_e32 v14, v6, v198
	s_delay_alu instid0(VALU_DEP_2) | instskip(NEXT) | instid1(VALU_DEP_2)
	v_add_f32_e32 v2, v2, v181
	v_add_f32_e32 v14, v14, v200
	s_delay_alu instid0(VALU_DEP_2) | instskip(NEXT) | instid1(VALU_DEP_2)
	v_add_f32_e32 v2, v2, v183
	v_add_f32_e32 v17, v14, v202
	s_delay_alu instid0(VALU_DEP_1) | instskip(NEXT) | instid1(VALU_DEP_1)
	v_dual_add_f32 v2, v2, v185 :: v_dual_add_f32 v17, v17, v204
	v_dual_add_f32 v2, v2, v187 :: v_dual_add_f32 v17, v17, v206
	s_delay_alu instid0(VALU_DEP_1) | instskip(NEXT) | instid1(VALU_DEP_1)
	v_dual_add_f32 v2, v2, v189 :: v_dual_add_f32 v17, v17, v208
	v_add_f32_e32 v22, v17, v210
	s_delay_alu instid0(VALU_DEP_2) | instskip(NEXT) | instid1(VALU_DEP_2)
	v_add_f32_e32 v2, v2, v191
	v_add_f32_e32 v22, v22, v212
	s_delay_alu instid0(VALU_DEP_2) | instskip(NEXT) | instid1(VALU_DEP_1)
	v_add_f32_e32 v5, v2, v193
	v_dual_add_f32 v22, v22, v214 :: v_dual_add_f32 v13, v5, v195
	s_delay_alu instid0(VALU_DEP_1) | instskip(NEXT) | instid1(VALU_DEP_1)
	v_dual_add_f32 v22, v22, v216 :: v_dual_add_f32 v13, v13, v197
	v_add_f32_e32 v13, v13, v199
	s_delay_alu instid0(VALU_DEP_1) | instskip(NEXT) | instid1(VALU_DEP_1)
	v_dual_mul_f32 v221, v7, v4 :: v_dual_add_f32 v18, v13, v201
	v_fmac_f32_e32 v221, v8, v3
	scratch_load_b128 v[1:4], off, off offset:400
	ds_load_b128 v[5:8], v29 offset:864
	ds_load_b128 v[13:16], v29 offset:880
	s_wait_loadcnt_dscnt 0x201
	v_mul_f32_e32 v32, v5, v10
	v_dual_mul_f32 v10, v6, v10 :: v_dual_mul_f32 v151, v7, v12
	v_mul_f32_e32 v12, v8, v12
	s_delay_alu instid0(VALU_DEP_3) | instskip(NEXT) | instid1(VALU_DEP_3)
	v_fmac_f32_e32 v32, v6, v9
	v_fma_f32 v152, v5, v9, -v10
	s_delay_alu instid0(VALU_DEP_4) | instskip(NEXT) | instid1(VALU_DEP_4)
	v_fmac_f32_e32 v151, v8, v11
	v_fma_f32 v154, v7, v11, -v12
	s_clause 0x1
	scratch_load_b128 v[5:8], off, off offset:416
	scratch_load_b128 v[9:12], off, off offset:432
	s_wait_loadcnt_dscnt 0x200
	v_dual_mul_f32 v156, v15, v4 :: v_dual_mul_f32 v155, v13, v2
	v_mul_f32_e32 v2, v14, v2
	v_mul_f32_e32 v4, v16, v4
	s_delay_alu instid0(VALU_DEP_3)
	v_fmac_f32_e32 v156, v16, v3
	v_add_f32_e32 v18, v18, v203
	v_fmac_f32_e32 v155, v14, v1
	v_add_f32_e32 v14, v22, v218
	v_fma_f32 v157, v13, v1, -v2
	v_fma_f32 v158, v15, v3, -v4
	v_add_f32_e32 v18, v18, v205
	ds_load_b128 v[1:4], v29 offset:896
	v_add_f32_e32 v27, v14, v220
	v_add_f32_e32 v21, v18, v207
	scratch_load_b128 v[17:20], off, off offset:448
	v_add_f32_e32 v159, v27, v222
	s_delay_alu instid0(VALU_DEP_1) | instskip(NEXT) | instid1(VALU_DEP_1)
	v_dual_add_f32 v21, v21, v209 :: v_dual_add_f32 v152, v159, v152
	v_dual_add_f32 v21, v21, v211 :: v_dual_add_f32 v152, v152, v154
	s_delay_alu instid0(VALU_DEP_1) | instskip(NEXT) | instid1(VALU_DEP_1)
	v_add_f32_e32 v21, v21, v213
	v_dual_add_f32 v152, v152, v157 :: v_dual_add_f32 v13, v21, v215
	s_delay_alu instid0(VALU_DEP_1)
	v_dual_add_f32 v152, v152, v158 :: v_dual_add_f32 v21, v13, v217
	ds_load_b128 v[13:16], v29 offset:912
	s_wait_loadcnt_dscnt 0x201
	v_mul_f32_e32 v159, v1, v6
	v_mul_f32_e32 v6, v2, v6
	v_add_f32_e32 v28, v21, v219
	ds_load_b128 v[21:24], v29 offset:928
	v_fmac_f32_e32 v159, v2, v5
	v_fma_f32 v1, v1, v5, -v6
	v_add_f32_e32 v160, v28, v221
	ds_load_b64 v[27:28], v29 offset:944
	v_add_f32_e32 v1, v152, v1
	v_add_f32_e32 v32, v160, v32
	s_delay_alu instid0(VALU_DEP_1) | instskip(SKIP_3) | instid1(VALU_DEP_3)
	v_dual_add_f32 v32, v32, v151 :: v_dual_mul_f32 v151, v3, v8
	v_mul_f32_e32 v8, v4, v8
	s_wait_loadcnt_dscnt 0x102
	v_dual_mul_f32 v154, v13, v10 :: v_dual_mul_f32 v5, v16, v12
	v_add_f32_e32 v32, v32, v155
	v_fmac_f32_e32 v151, v4, v7
	v_fma_f32 v2, v3, v7, -v8
	v_mul_f32_e32 v3, v14, v10
	v_mul_f32_e32 v155, v15, v12
	v_add_f32_e32 v32, v32, v156
	s_delay_alu instid0(VALU_DEP_4) | instskip(NEXT) | instid1(VALU_DEP_4)
	v_dual_fmac_f32 v154, v14, v9 :: v_dual_add_f32 v1, v1, v2
	v_fma_f32 v3, v13, v9, -v3
	s_delay_alu instid0(VALU_DEP_4) | instskip(NEXT) | instid1(VALU_DEP_4)
	v_fmac_f32_e32 v155, v16, v11
	v_add_f32_e32 v4, v32, v159
	v_fma_f32 v5, v15, v11, -v5
	s_wait_dscnt 0x0
	v_dual_mul_f32 v156, v27, v26 :: v_dual_add_f32 v1, v1, v3
	s_delay_alu instid0(VALU_DEP_3) | instskip(NEXT) | instid1(VALU_DEP_2)
	v_add_f32_e32 v2, v4, v151
	v_fmac_f32_e32 v156, v28, v25
	s_delay_alu instid0(VALU_DEP_3) | instskip(SKIP_1) | instid1(VALU_DEP_4)
	v_add_f32_e32 v1, v1, v5
	v_mul_f32_e32 v5, v28, v26
	v_add_f32_e32 v2, v2, v154
	s_wait_loadcnt 0x0
	s_delay_alu instid0(VALU_DEP_1) | instskip(SKIP_3) | instid1(VALU_DEP_4)
	v_dual_add_f32 v2, v2, v155 :: v_dual_mul_f32 v157, v21, v18
	v_mul_f32_e32 v4, v22, v18
	v_mul_f32_e32 v158, v23, v20
	;; [unrolled: 1-line block ×3, first 2 shown]
	v_fmac_f32_e32 v157, v22, v17
	s_delay_alu instid0(VALU_DEP_4) | instskip(NEXT) | instid1(VALU_DEP_4)
	v_fma_f32 v4, v21, v17, -v4
	v_fmac_f32_e32 v158, v24, v19
	s_delay_alu instid0(VALU_DEP_4) | instskip(NEXT) | instid1(VALU_DEP_3)
	v_fma_f32 v3, v23, v19, -v3
	v_dual_add_f32 v2, v2, v157 :: v_dual_add_f32 v1, v1, v4
	v_fma_f32 v4, v27, v25, -v5
	s_delay_alu instid0(VALU_DEP_2) | instskip(NEXT) | instid1(VALU_DEP_1)
	v_dual_add_f32 v2, v2, v158 :: v_dual_add_f32 v1, v1, v3
	v_add_f32_e32 v2, v2, v156
	s_delay_alu instid0(VALU_DEP_1) | instskip(NEXT) | instid1(VALU_DEP_1)
	v_dual_add_f32 v1, v1, v4 :: v_dual_sub_f32 v2, v31, v2
	v_sub_f32_e32 v1, v30, v1
	scratch_store_b64 off, v[1:2], off offset:24
	v_cmpx_lt_u32_e32 2, v0
	s_cbranch_execz .LBB58_363
; %bb.362:
	scratch_load_b64 v[1:2], off, off offset:16
	v_mov_b32_e32 v30, v29
	scratch_store_b64 off, v[29:30], off offset:16
	s_wait_loadcnt 0x0
	ds_store_b64 v153, v[1:2]
.LBB58_363:
	s_wait_alu 0xfffe
	s_or_b32 exec_lo, exec_lo, s0
	s_wait_storecnt_dscnt 0x0
	s_barrier_signal -1
	s_barrier_wait -1
	global_inv scope:SCOPE_SE
	s_clause 0x4
	scratch_load_b128 v[5:8], off, off offset:24
	scratch_load_b128 v[1:4], off, off offset:40
	;; [unrolled: 1-line block ×5, first 2 shown]
	ds_load_2addr_b64 v[21:24], v29 offset0:63 offset1:64
	ds_load_2addr_b64 v[25:28], v29 offset0:65 offset1:66
	;; [unrolled: 1-line block ×3, first 2 shown]
	scratch_load_b64 v[30:31], off, off offset:16
	s_mov_b32 s0, exec_lo
	s_wait_loadcnt_dscnt 0x502
	v_dual_mul_f32 v32, v21, v6 :: v_dual_mul_f32 v151, v23, v8
	v_mul_f32_e32 v6, v22, v6
	v_mul_f32_e32 v8, v24, v8
	s_wait_loadcnt_dscnt 0x300
	v_mul_f32_e32 v152, v154, v10
	v_dual_fmac_f32 v32, v22, v5 :: v_dual_fmac_f32 v151, v24, v7
	v_fma_f32 v21, v21, v5, -v6
	v_fma_f32 v22, v23, v7, -v8
	ds_load_2addr_b64 v[5:8], v29 offset0:69 offset1:70
	v_dual_mul_f32 v23, v25, v2 :: v_dual_mul_f32 v24, v27, v4
	v_mul_f32_e32 v4, v28, v4
	v_mul_f32_e32 v158, v156, v12
	;; [unrolled: 1-line block ×5, first 2 shown]
	v_dual_fmac_f32 v23, v26, v1 :: v_dual_fmac_f32 v24, v28, v3
	v_fma_f32 v26, v27, v3, -v4
	v_fmac_f32_e32 v152, v155, v9
	v_fmac_f32_e32 v158, v157, v11
	v_fma_f32 v27, v154, v9, -v10
	v_fma_f32 v28, v156, v11, -v12
	ds_load_2addr_b64 v[9:12], v29 offset0:71 offset1:72
	s_wait_loadcnt_dscnt 0x201
	v_dual_mul_f32 v155, v7, v16 :: v_dual_mul_f32 v154, v5, v14
	v_mul_f32_e32 v14, v6, v14
	v_mul_f32_e32 v16, v8, v16
	s_delay_alu instid0(VALU_DEP_3)
	v_fmac_f32_e32 v155, v8, v15
	v_fma_f32 v25, v25, v1, -v2
	scratch_load_b128 v[1:4], off, off offset:104
	v_fmac_f32_e32 v154, v6, v13
	v_fma_f32 v13, v5, v13, -v14
	v_fma_f32 v14, v7, v15, -v16
	ds_load_2addr_b64 v[5:8], v29 offset0:73 offset1:74
	s_wait_loadcnt_dscnt 0x201
	v_mul_f32_e32 v15, v9, v18
	v_mul_f32_e32 v16, v10, v18
	;; [unrolled: 1-line block ×3, first 2 shown]
	s_delay_alu instid0(VALU_DEP_3) | instskip(NEXT) | instid1(VALU_DEP_3)
	v_dual_mul_f32 v20, v12, v20 :: v_dual_fmac_f32 v15, v10, v17
	v_fma_f32 v16, v9, v17, -v16
	s_delay_alu instid0(VALU_DEP_3) | instskip(NEXT) | instid1(VALU_DEP_3)
	v_fmac_f32_e32 v18, v12, v19
	v_fma_f32 v17, v11, v19, -v20
	scratch_load_b128 v[9:12], off, off offset:120
	s_wait_loadcnt_dscnt 0x100
	v_mul_f32_e32 v19, v5, v2
	v_mul_f32_e32 v2, v6, v2
	;; [unrolled: 1-line block ×3, first 2 shown]
	s_delay_alu instid0(VALU_DEP_3) | instskip(NEXT) | instid1(VALU_DEP_3)
	v_dual_mul_f32 v4, v8, v4 :: v_dual_fmac_f32 v19, v6, v1
	v_fma_f32 v156, v5, v1, -v2
	s_delay_alu instid0(VALU_DEP_3) | instskip(NEXT) | instid1(VALU_DEP_3)
	v_fmac_f32_e32 v20, v8, v3
	v_fma_f32 v157, v7, v3, -v4
	ds_load_2addr_b64 v[1:4], v29 offset0:75 offset1:76
	ds_load_2addr_b64 v[5:8], v29 offset0:77 offset1:78
	s_wait_loadcnt_dscnt 0x1
	v_mul_f32_e32 v159, v1, v10
	v_mul_f32_e32 v10, v2, v10
	s_delay_alu instid0(VALU_DEP_2) | instskip(NEXT) | instid1(VALU_DEP_2)
	v_dual_mul_f32 v160, v3, v12 :: v_dual_fmac_f32 v159, v2, v9
	v_fma_f32 v161, v1, v9, -v10
	v_mul_f32_e32 v1, v4, v12
	s_delay_alu instid0(VALU_DEP_3) | instskip(NEXT) | instid1(VALU_DEP_2)
	v_fmac_f32_e32 v160, v4, v11
	v_fma_f32 v162, v3, v11, -v1
	s_clause 0x1
	scratch_load_b128 v[1:4], off, off offset:136
	scratch_load_b128 v[9:12], off, off offset:152
	s_wait_loadcnt_dscnt 0x100
	v_mul_f32_e32 v163, v5, v2
	v_dual_mul_f32 v2, v6, v2 :: v_dual_mul_f32 v165, v7, v4
	s_delay_alu instid0(VALU_DEP_2) | instskip(NEXT) | instid1(VALU_DEP_2)
	v_fmac_f32_e32 v163, v6, v1
	v_fma_f32 v164, v5, v1, -v2
	v_mul_f32_e32 v1, v8, v4
	s_delay_alu instid0(VALU_DEP_4) | instskip(NEXT) | instid1(VALU_DEP_2)
	v_fmac_f32_e32 v165, v8, v3
	v_fma_f32 v166, v7, v3, -v1
	ds_load_2addr_b64 v[1:4], v29 offset0:79 offset1:80
	ds_load_2addr_b64 v[5:8], v29 offset0:81 offset1:82
	s_wait_loadcnt_dscnt 0x1
	v_mul_f32_e32 v167, v1, v10
	v_mul_f32_e32 v169, v3, v12
	s_delay_alu instid0(VALU_DEP_2) | instskip(NEXT) | instid1(VALU_DEP_2)
	v_fmac_f32_e32 v167, v2, v9
	v_dual_mul_f32 v2, v2, v10 :: v_dual_fmac_f32 v169, v4, v11
	s_delay_alu instid0(VALU_DEP_1) | instskip(SKIP_1) | instid1(VALU_DEP_1)
	v_fma_f32 v168, v1, v9, -v2
	v_mul_f32_e32 v1, v4, v12
	v_fma_f32 v170, v3, v11, -v1
	s_clause 0x1
	scratch_load_b128 v[1:4], off, off offset:168
	scratch_load_b128 v[9:12], off, off offset:184
	s_wait_loadcnt_dscnt 0x100
	v_mul_f32_e32 v171, v5, v2
	v_dual_mul_f32 v2, v6, v2 :: v_dual_mul_f32 v173, v7, v4
	s_delay_alu instid0(VALU_DEP_2) | instskip(NEXT) | instid1(VALU_DEP_2)
	v_fmac_f32_e32 v171, v6, v1
	v_fma_f32 v172, v5, v1, -v2
	v_mul_f32_e32 v1, v8, v4
	s_delay_alu instid0(VALU_DEP_4) | instskip(NEXT) | instid1(VALU_DEP_2)
	v_fmac_f32_e32 v173, v8, v3
	v_fma_f32 v174, v7, v3, -v1
	ds_load_2addr_b64 v[1:4], v29 offset0:83 offset1:84
	ds_load_2addr_b64 v[5:8], v29 offset0:85 offset1:86
	s_wait_loadcnt_dscnt 0x1
	v_mul_f32_e32 v175, v1, v10
	v_mul_f32_e32 v177, v3, v12
	s_delay_alu instid0(VALU_DEP_2) | instskip(NEXT) | instid1(VALU_DEP_2)
	v_fmac_f32_e32 v175, v2, v9
	v_dual_mul_f32 v2, v2, v10 :: v_dual_fmac_f32 v177, v4, v11
	s_delay_alu instid0(VALU_DEP_1) | instskip(SKIP_1) | instid1(VALU_DEP_1)
	v_fma_f32 v176, v1, v9, -v2
	v_mul_f32_e32 v1, v4, v12
	v_fma_f32 v178, v3, v11, -v1
	s_clause 0x1
	scratch_load_b128 v[1:4], off, off offset:200
	scratch_load_b128 v[9:12], off, off offset:216
	s_wait_loadcnt_dscnt 0x100
	v_mul_f32_e32 v179, v5, v2
	v_dual_mul_f32 v2, v6, v2 :: v_dual_mul_f32 v181, v7, v4
	s_delay_alu instid0(VALU_DEP_2) | instskip(NEXT) | instid1(VALU_DEP_2)
	v_fmac_f32_e32 v179, v6, v1
	v_fma_f32 v180, v5, v1, -v2
	v_mul_f32_e32 v1, v8, v4
	s_delay_alu instid0(VALU_DEP_4) | instskip(NEXT) | instid1(VALU_DEP_2)
	v_fmac_f32_e32 v181, v8, v3
	v_fma_f32 v182, v7, v3, -v1
	ds_load_2addr_b64 v[1:4], v29 offset0:87 offset1:88
	ds_load_2addr_b64 v[5:8], v29 offset0:89 offset1:90
	s_wait_loadcnt_dscnt 0x1
	v_mul_f32_e32 v183, v1, v10
	v_mul_f32_e32 v185, v3, v12
	s_delay_alu instid0(VALU_DEP_2) | instskip(NEXT) | instid1(VALU_DEP_2)
	v_fmac_f32_e32 v183, v2, v9
	v_dual_mul_f32 v2, v2, v10 :: v_dual_fmac_f32 v185, v4, v11
	s_delay_alu instid0(VALU_DEP_1) | instskip(SKIP_1) | instid1(VALU_DEP_1)
	v_fma_f32 v184, v1, v9, -v2
	v_mul_f32_e32 v1, v4, v12
	v_fma_f32 v186, v3, v11, -v1
	s_clause 0x1
	scratch_load_b128 v[1:4], off, off offset:232
	scratch_load_b128 v[9:12], off, off offset:248
	s_wait_loadcnt_dscnt 0x100
	v_mul_f32_e32 v187, v5, v2
	v_dual_mul_f32 v2, v6, v2 :: v_dual_mul_f32 v189, v7, v4
	s_delay_alu instid0(VALU_DEP_2) | instskip(NEXT) | instid1(VALU_DEP_2)
	v_fmac_f32_e32 v187, v6, v1
	v_fma_f32 v188, v5, v1, -v2
	v_mul_f32_e32 v1, v8, v4
	s_delay_alu instid0(VALU_DEP_4) | instskip(NEXT) | instid1(VALU_DEP_2)
	v_fmac_f32_e32 v189, v8, v3
	v_fma_f32 v190, v7, v3, -v1
	ds_load_2addr_b64 v[1:4], v29 offset0:91 offset1:92
	ds_load_2addr_b64 v[5:8], v29 offset0:93 offset1:94
	s_wait_loadcnt_dscnt 0x1
	v_mul_f32_e32 v191, v1, v10
	v_mul_f32_e32 v193, v3, v12
	s_delay_alu instid0(VALU_DEP_2) | instskip(NEXT) | instid1(VALU_DEP_2)
	v_fmac_f32_e32 v191, v2, v9
	v_dual_mul_f32 v2, v2, v10 :: v_dual_fmac_f32 v193, v4, v11
	s_delay_alu instid0(VALU_DEP_1) | instskip(SKIP_1) | instid1(VALU_DEP_1)
	v_fma_f32 v192, v1, v9, -v2
	v_mul_f32_e32 v1, v4, v12
	v_fma_f32 v194, v3, v11, -v1
	s_clause 0x1
	scratch_load_b128 v[1:4], off, off offset:264
	scratch_load_b128 v[9:12], off, off offset:280
	s_wait_loadcnt_dscnt 0x100
	v_mul_f32_e32 v195, v5, v2
	v_dual_mul_f32 v2, v6, v2 :: v_dual_mul_f32 v197, v7, v4
	s_delay_alu instid0(VALU_DEP_2) | instskip(NEXT) | instid1(VALU_DEP_2)
	v_fmac_f32_e32 v195, v6, v1
	v_fma_f32 v196, v5, v1, -v2
	v_mul_f32_e32 v1, v8, v4
	s_delay_alu instid0(VALU_DEP_4) | instskip(NEXT) | instid1(VALU_DEP_2)
	v_fmac_f32_e32 v197, v8, v3
	v_fma_f32 v198, v7, v3, -v1
	ds_load_2addr_b64 v[1:4], v29 offset0:95 offset1:96
	ds_load_2addr_b64 v[5:8], v29 offset0:97 offset1:98
	s_wait_loadcnt_dscnt 0x1
	v_mul_f32_e32 v199, v1, v10
	v_mul_f32_e32 v201, v3, v12
	s_delay_alu instid0(VALU_DEP_2) | instskip(NEXT) | instid1(VALU_DEP_2)
	v_fmac_f32_e32 v199, v2, v9
	v_dual_mul_f32 v2, v2, v10 :: v_dual_fmac_f32 v201, v4, v11
	s_delay_alu instid0(VALU_DEP_1) | instskip(SKIP_1) | instid1(VALU_DEP_1)
	v_fma_f32 v200, v1, v9, -v2
	v_mul_f32_e32 v1, v4, v12
	v_fma_f32 v202, v3, v11, -v1
	s_clause 0x1
	scratch_load_b128 v[1:4], off, off offset:296
	scratch_load_b128 v[9:12], off, off offset:312
	s_wait_loadcnt_dscnt 0x100
	v_mul_f32_e32 v203, v5, v2
	v_dual_mul_f32 v2, v6, v2 :: v_dual_mul_f32 v205, v7, v4
	s_delay_alu instid0(VALU_DEP_2) | instskip(NEXT) | instid1(VALU_DEP_2)
	v_fmac_f32_e32 v203, v6, v1
	v_fma_f32 v204, v5, v1, -v2
	v_mul_f32_e32 v1, v8, v4
	s_delay_alu instid0(VALU_DEP_4) | instskip(NEXT) | instid1(VALU_DEP_2)
	v_fmac_f32_e32 v205, v8, v3
	v_fma_f32 v206, v7, v3, -v1
	ds_load_2addr_b64 v[1:4], v29 offset0:99 offset1:100
	ds_load_2addr_b64 v[5:8], v29 offset0:101 offset1:102
	s_wait_loadcnt_dscnt 0x1
	v_mul_f32_e32 v207, v1, v10
	v_mul_f32_e32 v209, v3, v12
	s_delay_alu instid0(VALU_DEP_2) | instskip(NEXT) | instid1(VALU_DEP_2)
	v_fmac_f32_e32 v207, v2, v9
	v_dual_mul_f32 v2, v2, v10 :: v_dual_fmac_f32 v209, v4, v11
	s_delay_alu instid0(VALU_DEP_1) | instskip(SKIP_1) | instid1(VALU_DEP_1)
	v_fma_f32 v208, v1, v9, -v2
	v_mul_f32_e32 v1, v4, v12
	v_fma_f32 v210, v3, v11, -v1
	s_clause 0x1
	scratch_load_b128 v[1:4], off, off offset:328
	scratch_load_b128 v[9:12], off, off offset:344
	s_wait_loadcnt_dscnt 0x100
	v_mul_f32_e32 v211, v5, v2
	v_dual_mul_f32 v2, v6, v2 :: v_dual_mul_f32 v213, v7, v4
	s_delay_alu instid0(VALU_DEP_2) | instskip(NEXT) | instid1(VALU_DEP_2)
	v_fmac_f32_e32 v211, v6, v1
	v_fma_f32 v212, v5, v1, -v2
	v_mul_f32_e32 v1, v8, v4
	s_delay_alu instid0(VALU_DEP_4) | instskip(NEXT) | instid1(VALU_DEP_2)
	v_fmac_f32_e32 v213, v8, v3
	v_fma_f32 v214, v7, v3, -v1
	ds_load_2addr_b64 v[1:4], v29 offset0:103 offset1:104
	ds_load_2addr_b64 v[5:8], v29 offset0:105 offset1:106
	s_wait_loadcnt_dscnt 0x1
	v_mul_f32_e32 v215, v1, v10
	v_mul_f32_e32 v217, v3, v12
	s_delay_alu instid0(VALU_DEP_2) | instskip(NEXT) | instid1(VALU_DEP_2)
	v_fmac_f32_e32 v215, v2, v9
	v_dual_mul_f32 v2, v2, v10 :: v_dual_fmac_f32 v217, v4, v11
	s_delay_alu instid0(VALU_DEP_1) | instskip(SKIP_1) | instid1(VALU_DEP_1)
	v_fma_f32 v216, v1, v9, -v2
	v_mul_f32_e32 v1, v4, v12
	v_fma_f32 v218, v3, v11, -v1
	s_clause 0x1
	scratch_load_b128 v[1:4], off, off offset:360
	scratch_load_b128 v[9:12], off, off offset:376
	s_wait_loadcnt_dscnt 0x100
	v_mul_f32_e32 v219, v5, v2
	v_dual_mul_f32 v2, v6, v2 :: v_dual_mul_f32 v221, v7, v4
	s_delay_alu instid0(VALU_DEP_2) | instskip(NEXT) | instid1(VALU_DEP_2)
	v_fmac_f32_e32 v219, v6, v1
	v_fma_f32 v220, v5, v1, -v2
	v_mul_f32_e32 v1, v8, v4
	s_delay_alu instid0(VALU_DEP_4) | instskip(NEXT) | instid1(VALU_DEP_2)
	v_fmac_f32_e32 v221, v8, v3
	v_fma_f32 v222, v7, v3, -v1
	ds_load_2addr_b64 v[1:4], v29 offset0:107 offset1:108
	ds_load_2addr_b64 v[5:8], v29 offset0:109 offset1:110
	s_wait_loadcnt_dscnt 0x1
	v_mul_f32_e32 v223, v1, v10
	v_mul_f32_e32 v225, v3, v12
	s_delay_alu instid0(VALU_DEP_2) | instskip(NEXT) | instid1(VALU_DEP_2)
	v_fmac_f32_e32 v223, v2, v9
	v_dual_mul_f32 v2, v2, v10 :: v_dual_fmac_f32 v225, v4, v11
	s_delay_alu instid0(VALU_DEP_1) | instskip(SKIP_1) | instid1(VALU_DEP_1)
	v_fma_f32 v224, v1, v9, -v2
	v_mul_f32_e32 v1, v4, v12
	v_fma_f32 v226, v3, v11, -v1
	s_clause 0x1
	scratch_load_b128 v[1:4], off, off offset:392
	scratch_load_b128 v[9:12], off, off offset:408
	s_wait_loadcnt_dscnt 0x100
	v_mul_f32_e32 v227, v5, v2
	v_dual_mul_f32 v2, v6, v2 :: v_dual_mul_f32 v229, v7, v4
	s_delay_alu instid0(VALU_DEP_2) | instskip(NEXT) | instid1(VALU_DEP_2)
	v_fmac_f32_e32 v227, v6, v1
	v_fma_f32 v228, v5, v1, -v2
	v_mul_f32_e32 v1, v8, v4
	v_add_f32_e32 v2, 0, v32
	s_delay_alu instid0(VALU_DEP_2) | instskip(NEXT) | instid1(VALU_DEP_2)
	v_fma_f32 v230, v7, v3, -v1
	v_dual_add_f32 v1, 0, v21 :: v_dual_add_f32 v2, v2, v151
	s_delay_alu instid0(VALU_DEP_1) | instskip(NEXT) | instid1(VALU_DEP_1)
	v_dual_add_f32 v1, v1, v22 :: v_dual_add_f32 v2, v2, v23
	v_dual_add_f32 v1, v1, v25 :: v_dual_add_f32 v2, v2, v24
	s_delay_alu instid0(VALU_DEP_1) | instskip(NEXT) | instid1(VALU_DEP_1)
	v_dual_add_f32 v1, v1, v26 :: v_dual_add_f32 v2, v2, v152
	;; [unrolled: 3-line block ×5, first 2 shown]
	v_add_f32_e32 v1, v1, v156
	s_delay_alu instid0(VALU_DEP_1) | instskip(NEXT) | instid1(VALU_DEP_1)
	v_dual_add_f32 v2, v2, v20 :: v_dual_add_f32 v1, v1, v157
	v_dual_add_f32 v2, v2, v159 :: v_dual_add_f32 v1, v1, v161
	s_delay_alu instid0(VALU_DEP_1) | instskip(NEXT) | instid1(VALU_DEP_1)
	v_dual_add_f32 v2, v2, v160 :: v_dual_add_f32 v1, v1, v162
	v_dual_add_f32 v2, v2, v163 :: v_dual_add_f32 v1, v1, v164
	;; [unrolled: 3-line block ×5, first 2 shown]
	s_delay_alu instid0(VALU_DEP_1) | instskip(NEXT) | instid1(VALU_DEP_1)
	v_dual_add_f32 v2, v2, v177 :: v_dual_add_f32 v1, v1, v178
	v_add_f32_e32 v1, v1, v180
	s_delay_alu instid0(VALU_DEP_1) | instskip(NEXT) | instid1(VALU_DEP_1)
	v_add_f32_e32 v1, v1, v182
	v_add_f32_e32 v1, v1, v184
	s_delay_alu instid0(VALU_DEP_1) | instskip(NEXT) | instid1(VALU_DEP_1)
	v_add_f32_e32 v1, v1, v186
	;; [unrolled: 3-line block ×5, first 2 shown]
	v_add_f32_e32 v1, v1, v200
	s_delay_alu instid0(VALU_DEP_1) | instskip(SKIP_1) | instid1(VALU_DEP_2)
	v_add_f32_e32 v6, v1, v202
	v_add_f32_e32 v2, v2, v179
	;; [unrolled: 1-line block ×3, first 2 shown]
	s_delay_alu instid0(VALU_DEP_2) | instskip(NEXT) | instid1(VALU_DEP_2)
	v_add_f32_e32 v2, v2, v181
	v_add_f32_e32 v13, v6, v206
	s_delay_alu instid0(VALU_DEP_1) | instskip(NEXT) | instid1(VALU_DEP_1)
	v_dual_add_f32 v2, v2, v183 :: v_dual_add_f32 v13, v13, v208
	v_dual_add_f32 v2, v2, v185 :: v_dual_add_f32 v13, v13, v210
	s_delay_alu instid0(VALU_DEP_1) | instskip(NEXT) | instid1(VALU_DEP_1)
	v_dual_add_f32 v2, v2, v187 :: v_dual_add_f32 v13, v13, v212
	v_add_f32_e32 v2, v2, v189
	s_delay_alu instid0(VALU_DEP_2) | instskip(NEXT) | instid1(VALU_DEP_2)
	v_add_f32_e32 v18, v13, v214
	v_add_f32_e32 v2, v2, v191
	s_delay_alu instid0(VALU_DEP_2) | instskip(NEXT) | instid1(VALU_DEP_2)
	v_dual_fmac_f32 v229, v8, v3 :: v_dual_add_f32 v18, v18, v216
	v_add_f32_e32 v2, v2, v193
	s_delay_alu instid0(VALU_DEP_2) | instskip(NEXT) | instid1(VALU_DEP_2)
	v_add_f32_e32 v18, v18, v218
	v_add_f32_e32 v2, v2, v195
	s_delay_alu instid0(VALU_DEP_2) | instskip(NEXT) | instid1(VALU_DEP_2)
	v_add_f32_e32 v21, v18, v220
	v_add_f32_e32 v2, v2, v197
	s_delay_alu instid0(VALU_DEP_1) | instskip(SKIP_2) | instid1(VALU_DEP_1)
	v_dual_add_f32 v32, v21, v222 :: v_dual_add_f32 v5, v2, v199
	ds_load_2addr_b64 v[1:4], v29 offset0:111 offset1:112
	v_add_f32_e32 v5, v5, v201
	v_add_f32_e32 v5, v5, v203
	s_delay_alu instid0(VALU_DEP_1)
	v_add_f32_e32 v14, v5, v205
	ds_load_2addr_b64 v[5:8], v29 offset0:113 offset1:114
	s_wait_loadcnt_dscnt 0x1
	v_dual_add_f32 v14, v14, v207 :: v_dual_mul_f32 v25, v1, v10
	v_mul_f32_e32 v26, v3, v12
	v_mul_f32_e32 v10, v2, v10
	;; [unrolled: 1-line block ×3, first 2 shown]
	s_delay_alu instid0(VALU_DEP_4) | instskip(NEXT) | instid1(VALU_DEP_4)
	v_add_f32_e32 v14, v14, v209
	v_dual_fmac_f32 v25, v2, v9 :: v_dual_fmac_f32 v26, v4, v11
	s_delay_alu instid0(VALU_DEP_4) | instskip(NEXT) | instid1(VALU_DEP_4)
	v_fma_f32 v27, v1, v9, -v10
	v_fma_f32 v28, v3, v11, -v12
	s_clause 0x1
	scratch_load_b128 v[1:4], off, off offset:424
	scratch_load_b128 v[9:12], off, off offset:440
	v_add_f32_e32 v17, v14, v211
	scratch_load_b128 v[13:16], off, off offset:456
	s_wait_loadcnt_dscnt 0x200
	v_dual_add_f32 v17, v17, v213 :: v_dual_mul_f32 v152, v7, v4
	s_delay_alu instid0(VALU_DEP_1) | instskip(NEXT) | instid1(VALU_DEP_1)
	v_dual_add_f32 v17, v17, v215 :: v_dual_mul_f32 v4, v8, v4
	v_dual_fmac_f32 v152, v8, v3 :: v_dual_add_f32 v17, v17, v217
	s_delay_alu instid0(VALU_DEP_2) | instskip(NEXT) | instid1(VALU_DEP_2)
	v_fma_f32 v3, v7, v3, -v4
	v_add_f32_e32 v22, v17, v219
	ds_load_2addr_b64 v[17:20], v29 offset0:115 offset1:116
	v_add_f32_e32 v151, v22, v221
	ds_load_2addr_b64 v[21:24], v29 offset0:117 offset1:118
	v_add_f32_e32 v29, v32, v224
	s_delay_alu instid0(VALU_DEP_1) | instskip(NEXT) | instid1(VALU_DEP_1)
	v_add_f32_e32 v29, v29, v226
	v_add_f32_e32 v29, v29, v228
	s_wait_loadcnt_dscnt 0x101
	v_mul_f32_e32 v154, v17, v10
	s_delay_alu instid0(VALU_DEP_2)
	v_add_f32_e32 v29, v29, v230
	v_mul_f32_e32 v155, v19, v12
	v_mul_f32_e32 v4, v20, v12
	s_wait_loadcnt_dscnt 0x0
	v_mul_f32_e32 v156, v21, v14
	v_dual_add_f32 v32, v151, v223 :: v_dual_mul_f32 v151, v5, v2
	v_dual_mul_f32 v2, v6, v2 :: v_dual_add_f32 v27, v29, v27
	v_fmac_f32_e32 v154, v18, v9
	s_delay_alu instid0(VALU_DEP_3) | instskip(NEXT) | instid1(VALU_DEP_4)
	v_add_f32_e32 v32, v32, v225
	v_fmac_f32_e32 v151, v6, v1
	s_delay_alu instid0(VALU_DEP_4) | instskip(SKIP_1) | instid1(VALU_DEP_4)
	v_fma_f32 v2, v5, v1, -v2
	v_dual_add_f32 v1, v27, v28 :: v_dual_mul_f32 v6, v18, v10
	v_add_f32_e32 v32, v32, v227
	v_fmac_f32_e32 v155, v20, v11
	v_fma_f32 v4, v19, v11, -v4
	s_delay_alu instid0(VALU_DEP_4) | instskip(NEXT) | instid1(VALU_DEP_4)
	v_add_f32_e32 v1, v1, v2
	v_dual_mul_f32 v29, v23, v16 :: v_dual_add_f32 v32, v32, v229
	s_delay_alu instid0(VALU_DEP_2) | instskip(SKIP_1) | instid1(VALU_DEP_3)
	v_dual_fmac_f32 v156, v22, v13 :: v_dual_add_f32 v1, v1, v3
	v_mul_f32_e32 v3, v22, v14
	v_add_f32_e32 v25, v32, v25
	s_delay_alu instid0(VALU_DEP_4) | instskip(NEXT) | instid1(VALU_DEP_3)
	v_fmac_f32_e32 v29, v24, v15
	v_fma_f32 v3, v21, v13, -v3
	s_delay_alu instid0(VALU_DEP_3) | instskip(NEXT) | instid1(VALU_DEP_1)
	v_add_f32_e32 v5, v25, v26
	v_add_f32_e32 v2, v5, v151
	v_fma_f32 v5, v17, v9, -v6
	s_delay_alu instid0(VALU_DEP_1) | instskip(NEXT) | instid1(VALU_DEP_1)
	v_dual_add_f32 v2, v2, v152 :: v_dual_add_f32 v1, v1, v5
	v_dual_mul_f32 v5, v24, v16 :: v_dual_add_f32 v2, v2, v154
	s_delay_alu instid0(VALU_DEP_2) | instskip(NEXT) | instid1(VALU_DEP_2)
	v_add_f32_e32 v1, v1, v4
	v_fma_f32 v4, v23, v15, -v5
	s_delay_alu instid0(VALU_DEP_3) | instskip(NEXT) | instid1(VALU_DEP_1)
	v_add_f32_e32 v2, v2, v155
	v_dual_add_f32 v1, v1, v3 :: v_dual_add_f32 v2, v2, v156
	s_delay_alu instid0(VALU_DEP_1) | instskip(NEXT) | instid1(VALU_DEP_1)
	v_dual_add_f32 v1, v1, v4 :: v_dual_add_f32 v2, v2, v29
	v_dual_sub_f32 v1, v30, v1 :: v_dual_sub_f32 v2, v31, v2
	scratch_store_b64 off, v[1:2], off offset:16
	v_cmpx_lt_u32_e32 1, v0
	s_cbranch_execz .LBB58_365
; %bb.364:
	scratch_load_b64 v[1:2], off, off offset:8
	v_mov_b32_e32 v3, 0
	s_delay_alu instid0(VALU_DEP_1)
	v_mov_b32_e32 v4, v3
	scratch_store_b64 off, v[3:4], off offset:8
	s_wait_loadcnt 0x0
	ds_store_b64 v153, v[1:2]
.LBB58_365:
	s_wait_alu 0xfffe
	s_or_b32 exec_lo, exec_lo, s0
	s_wait_storecnt_dscnt 0x0
	s_barrier_signal -1
	s_barrier_wait -1
	global_inv scope:SCOPE_SE
	s_clause 0x4
	scratch_load_b128 v[5:8], off, off offset:16
	scratch_load_b128 v[1:4], off, off offset:32
	;; [unrolled: 1-line block ×5, first 2 shown]
	v_mov_b32_e32 v151, 0
	ds_load_b128 v[21:24], v151 offset:496
	ds_load_b128 v[25:28], v151 offset:512
	;; [unrolled: 1-line block ×3, first 2 shown]
	scratch_load_b64 v[154:155], off, off offset:8
	s_mov_b32 s0, exec_lo
	s_wait_loadcnt_dscnt 0x502
	v_mul_f32_e32 v152, v21, v6
	v_mul_f32_e32 v156, v23, v8
	;; [unrolled: 1-line block ×3, first 2 shown]
	s_wait_loadcnt_dscnt 0x300
	v_dual_mul_f32 v8, v24, v8 :: v_dual_mul_f32 v157, v29, v10
	v_fmac_f32_e32 v152, v22, v5
	v_mul_f32_e32 v158, v31, v12
	v_fma_f32 v21, v21, v5, -v6
	s_delay_alu instid0(VALU_DEP_4)
	v_fma_f32 v22, v23, v7, -v8
	v_dual_mul_f32 v23, v25, v2 :: v_dual_fmac_f32 v156, v24, v7
	ds_load_b128 v[5:8], v151 offset:544
	v_dual_mul_f32 v24, v27, v4 :: v_dual_fmac_f32 v157, v30, v9
	v_mul_f32_e32 v2, v26, v2
	v_mul_f32_e32 v4, v28, v4
	;; [unrolled: 1-line block ×3, first 2 shown]
	s_delay_alu instid0(VALU_DEP_4) | instskip(NEXT) | instid1(VALU_DEP_4)
	v_dual_fmac_f32 v23, v26, v1 :: v_dual_fmac_f32 v24, v28, v3
	v_fma_f32 v25, v25, v1, -v2
	s_delay_alu instid0(VALU_DEP_4) | instskip(SKIP_4) | instid1(VALU_DEP_3)
	v_fma_f32 v26, v27, v3, -v4
	scratch_load_b128 v[1:4], off, off offset:96
	v_mul_f32_e32 v12, v32, v12
	v_fmac_f32_e32 v158, v32, v11
	v_fma_f32 v27, v29, v9, -v10
	v_fma_f32 v28, v31, v11, -v12
	ds_load_b128 v[9:12], v151 offset:560
	s_wait_loadcnt_dscnt 0x301
	v_dual_mul_f32 v29, v5, v14 :: v_dual_mul_f32 v30, v7, v16
	v_mul_f32_e32 v14, v6, v14
	s_delay_alu instid0(VALU_DEP_2) | instskip(NEXT) | instid1(VALU_DEP_3)
	v_dual_mul_f32 v16, v8, v16 :: v_dual_fmac_f32 v29, v6, v13
	v_fmac_f32_e32 v30, v8, v15
	s_delay_alu instid0(VALU_DEP_3) | instskip(NEXT) | instid1(VALU_DEP_3)
	v_fma_f32 v13, v5, v13, -v14
	v_fma_f32 v14, v7, v15, -v16
	ds_load_b128 v[5:8], v151 offset:576
	s_wait_loadcnt_dscnt 0x201
	v_dual_mul_f32 v15, v9, v18 :: v_dual_mul_f32 v16, v11, v20
	v_mul_f32_e32 v18, v10, v18
	s_delay_alu instid0(VALU_DEP_2) | instskip(NEXT) | instid1(VALU_DEP_3)
	v_dual_mul_f32 v20, v12, v20 :: v_dual_fmac_f32 v15, v10, v17
	v_fmac_f32_e32 v16, v12, v19
	s_delay_alu instid0(VALU_DEP_3) | instskip(NEXT) | instid1(VALU_DEP_3)
	v_fma_f32 v17, v9, v17, -v18
	v_fma_f32 v18, v11, v19, -v20
	scratch_load_b128 v[9:12], off, off offset:112
	s_wait_loadcnt_dscnt 0x100
	v_mul_f32_e32 v19, v5, v2
	v_mul_f32_e32 v2, v6, v2
	;; [unrolled: 1-line block ×3, first 2 shown]
	s_delay_alu instid0(VALU_DEP_3) | instskip(NEXT) | instid1(VALU_DEP_3)
	v_dual_mul_f32 v4, v8, v4 :: v_dual_fmac_f32 v19, v6, v1
	v_fma_f32 v31, v5, v1, -v2
	s_delay_alu instid0(VALU_DEP_3) | instskip(NEXT) | instid1(VALU_DEP_3)
	v_fmac_f32_e32 v20, v8, v3
	v_fma_f32 v32, v7, v3, -v4
	ds_load_b128 v[1:4], v151 offset:592
	ds_load_b128 v[5:8], v151 offset:608
	s_wait_loadcnt_dscnt 0x1
	v_mul_f32_e32 v159, v1, v10
	v_mul_f32_e32 v10, v2, v10
	s_delay_alu instid0(VALU_DEP_2) | instskip(NEXT) | instid1(VALU_DEP_2)
	v_dual_mul_f32 v160, v3, v12 :: v_dual_fmac_f32 v159, v2, v9
	v_fma_f32 v161, v1, v9, -v10
	v_mul_f32_e32 v1, v4, v12
	s_delay_alu instid0(VALU_DEP_3) | instskip(NEXT) | instid1(VALU_DEP_2)
	v_fmac_f32_e32 v160, v4, v11
	v_fma_f32 v162, v3, v11, -v1
	s_clause 0x1
	scratch_load_b128 v[1:4], off, off offset:128
	scratch_load_b128 v[9:12], off, off offset:144
	s_wait_loadcnt_dscnt 0x100
	v_mul_f32_e32 v163, v5, v2
	v_dual_mul_f32 v2, v6, v2 :: v_dual_mul_f32 v165, v7, v4
	s_delay_alu instid0(VALU_DEP_2) | instskip(NEXT) | instid1(VALU_DEP_2)
	v_fmac_f32_e32 v163, v6, v1
	v_fma_f32 v164, v5, v1, -v2
	v_mul_f32_e32 v1, v8, v4
	s_delay_alu instid0(VALU_DEP_4) | instskip(NEXT) | instid1(VALU_DEP_2)
	v_fmac_f32_e32 v165, v8, v3
	v_fma_f32 v166, v7, v3, -v1
	ds_load_b128 v[1:4], v151 offset:624
	ds_load_b128 v[5:8], v151 offset:640
	s_wait_loadcnt_dscnt 0x1
	v_mul_f32_e32 v167, v1, v10
	v_mul_f32_e32 v169, v3, v12
	s_delay_alu instid0(VALU_DEP_2) | instskip(NEXT) | instid1(VALU_DEP_2)
	v_fmac_f32_e32 v167, v2, v9
	v_dual_mul_f32 v2, v2, v10 :: v_dual_fmac_f32 v169, v4, v11
	s_delay_alu instid0(VALU_DEP_1) | instskip(SKIP_1) | instid1(VALU_DEP_1)
	v_fma_f32 v168, v1, v9, -v2
	v_mul_f32_e32 v1, v4, v12
	v_fma_f32 v170, v3, v11, -v1
	s_clause 0x1
	scratch_load_b128 v[1:4], off, off offset:160
	scratch_load_b128 v[9:12], off, off offset:176
	s_wait_loadcnt_dscnt 0x100
	v_mul_f32_e32 v171, v5, v2
	v_dual_mul_f32 v2, v6, v2 :: v_dual_mul_f32 v173, v7, v4
	s_delay_alu instid0(VALU_DEP_2) | instskip(NEXT) | instid1(VALU_DEP_2)
	v_fmac_f32_e32 v171, v6, v1
	v_fma_f32 v172, v5, v1, -v2
	v_mul_f32_e32 v1, v8, v4
	s_delay_alu instid0(VALU_DEP_4) | instskip(NEXT) | instid1(VALU_DEP_2)
	v_fmac_f32_e32 v173, v8, v3
	v_fma_f32 v174, v7, v3, -v1
	ds_load_b128 v[1:4], v151 offset:656
	ds_load_b128 v[5:8], v151 offset:672
	s_wait_loadcnt_dscnt 0x1
	v_mul_f32_e32 v175, v1, v10
	v_mul_f32_e32 v177, v3, v12
	s_delay_alu instid0(VALU_DEP_2) | instskip(NEXT) | instid1(VALU_DEP_2)
	v_fmac_f32_e32 v175, v2, v9
	v_dual_mul_f32 v2, v2, v10 :: v_dual_fmac_f32 v177, v4, v11
	s_delay_alu instid0(VALU_DEP_1) | instskip(SKIP_1) | instid1(VALU_DEP_1)
	v_fma_f32 v176, v1, v9, -v2
	v_mul_f32_e32 v1, v4, v12
	;; [unrolled: 25-line block ×8, first 2 shown]
	v_fma_f32 v226, v3, v11, -v1
	s_clause 0x1
	scratch_load_b128 v[1:4], off, off offset:384
	scratch_load_b128 v[9:12], off, off offset:400
	s_wait_loadcnt_dscnt 0x100
	v_mul_f32_e32 v227, v5, v2
	v_mul_f32_e32 v2, v6, v2
	s_delay_alu instid0(VALU_DEP_2) | instskip(NEXT) | instid1(VALU_DEP_2)
	v_fmac_f32_e32 v227, v6, v1
	v_fma_f32 v228, v5, v1, -v2
	v_mul_f32_e32 v1, v8, v4
	v_add_f32_e32 v2, 0, v152
	s_delay_alu instid0(VALU_DEP_2) | instskip(NEXT) | instid1(VALU_DEP_2)
	v_fma_f32 v230, v7, v3, -v1
	v_dual_add_f32 v1, 0, v21 :: v_dual_add_f32 v2, v2, v156
	s_delay_alu instid0(VALU_DEP_1) | instskip(NEXT) | instid1(VALU_DEP_1)
	v_dual_add_f32 v1, v1, v22 :: v_dual_add_f32 v2, v2, v23
	v_dual_add_f32 v1, v1, v25 :: v_dual_add_f32 v2, v2, v24
	s_delay_alu instid0(VALU_DEP_1) | instskip(SKIP_2) | instid1(VALU_DEP_1)
	v_dual_add_f32 v1, v1, v26 :: v_dual_add_f32 v2, v2, v157
	scratch_load_b64 v[25:26], off, off offset:464
	v_dual_add_f32 v1, v1, v27 :: v_dual_add_f32 v2, v2, v158
	v_dual_add_f32 v1, v1, v28 :: v_dual_add_f32 v2, v2, v29
	s_delay_alu instid0(VALU_DEP_1) | instskip(NEXT) | instid1(VALU_DEP_1)
	v_dual_add_f32 v1, v1, v13 :: v_dual_add_f32 v2, v2, v30
	v_dual_add_f32 v1, v1, v14 :: v_dual_add_f32 v2, v2, v15
	s_delay_alu instid0(VALU_DEP_1) | instskip(NEXT) | instid1(VALU_DEP_1)
	;; [unrolled: 3-line block ×8, first 2 shown]
	v_dual_add_f32 v1, v1, v176 :: v_dual_add_f32 v2, v2, v177
	v_add_f32_e32 v1, v1, v178
	s_delay_alu instid0(VALU_DEP_1) | instskip(NEXT) | instid1(VALU_DEP_1)
	v_add_f32_e32 v1, v1, v180
	v_add_f32_e32 v1, v1, v182
	s_delay_alu instid0(VALU_DEP_1) | instskip(NEXT) | instid1(VALU_DEP_1)
	v_add_f32_e32 v1, v1, v184
	;; [unrolled: 3-line block ×6, first 2 shown]
	v_add_f32_e32 v6, v1, v202
	v_add_f32_e32 v2, v2, v179
	s_delay_alu instid0(VALU_DEP_2) | instskip(NEXT) | instid1(VALU_DEP_2)
	v_add_f32_e32 v6, v6, v204
	v_add_f32_e32 v2, v2, v181
	s_delay_alu instid0(VALU_DEP_2) | instskip(NEXT) | instid1(VALU_DEP_1)
	v_add_f32_e32 v13, v6, v206
	v_dual_add_f32 v2, v2, v183 :: v_dual_add_f32 v13, v13, v208
	s_delay_alu instid0(VALU_DEP_1) | instskip(NEXT) | instid1(VALU_DEP_1)
	v_dual_add_f32 v2, v2, v185 :: v_dual_add_f32 v13, v13, v210
	v_dual_add_f32 v2, v2, v187 :: v_dual_add_f32 v13, v13, v212
	s_delay_alu instid0(VALU_DEP_1) | instskip(NEXT) | instid1(VALU_DEP_2)
	v_add_f32_e32 v2, v2, v189
	v_add_f32_e32 v18, v13, v214
	s_delay_alu instid0(VALU_DEP_2) | instskip(NEXT) | instid1(VALU_DEP_2)
	v_add_f32_e32 v2, v2, v191
	v_add_f32_e32 v18, v18, v216
	s_delay_alu instid0(VALU_DEP_2) | instskip(NEXT) | instid1(VALU_DEP_2)
	v_dual_add_f32 v2, v2, v193 :: v_dual_mul_f32 v229, v7, v4
	v_add_f32_e32 v18, v18, v218
	s_delay_alu instid0(VALU_DEP_2) | instskip(NEXT) | instid1(VALU_DEP_2)
	v_add_f32_e32 v2, v2, v195
	v_dual_fmac_f32 v229, v8, v3 :: v_dual_add_f32 v18, v18, v220
	s_delay_alu instid0(VALU_DEP_2) | instskip(NEXT) | instid1(VALU_DEP_2)
	v_add_f32_e32 v2, v2, v197
	v_add_f32_e32 v18, v18, v222
	s_delay_alu instid0(VALU_DEP_2) | instskip(SKIP_2) | instid1(VALU_DEP_1)
	v_add_f32_e32 v5, v2, v199
	ds_load_b128 v[1:4], v151 offset:880
	v_add_f32_e32 v27, v18, v224
	v_dual_add_f32 v5, v5, v201 :: v_dual_add_f32 v152, v27, v226
	s_delay_alu instid0(VALU_DEP_1) | instskip(NEXT) | instid1(VALU_DEP_1)
	v_dual_add_f32 v5, v5, v203 :: v_dual_add_f32 v152, v152, v228
	v_add_f32_e32 v14, v5, v205
	ds_load_b128 v[5:8], v151 offset:896
	v_add_f32_e32 v152, v152, v230
	s_wait_loadcnt_dscnt 0x101
	v_dual_add_f32 v14, v14, v207 :: v_dual_mul_f32 v29, v1, v10
	v_mul_f32_e32 v10, v2, v10
	v_mul_f32_e32 v30, v3, v12
	;; [unrolled: 1-line block ×3, first 2 shown]
	s_delay_alu instid0(VALU_DEP_4)
	v_add_f32_e32 v14, v14, v209
	v_fmac_f32_e32 v29, v2, v9
	v_fma_f32 v31, v1, v9, -v10
	v_fmac_f32_e32 v30, v4, v11
	v_fma_f32 v32, v3, v11, -v12
	s_clause 0x1
	scratch_load_b128 v[1:4], off, off offset:416
	scratch_load_b128 v[9:12], off, off offset:432
	v_add_f32_e32 v17, v14, v211
	scratch_load_b128 v[13:16], off, off offset:448
	v_add_f32_e32 v31, v152, v31
	v_add_f32_e32 v17, v17, v213
	s_delay_alu instid0(VALU_DEP_2) | instskip(NEXT) | instid1(VALU_DEP_2)
	v_add_f32_e32 v31, v31, v32
	v_add_f32_e32 v17, v17, v215
	s_wait_loadcnt_dscnt 0x200
	s_delay_alu instid0(VALU_DEP_1) | instskip(NEXT) | instid1(VALU_DEP_1)
	v_dual_add_f32 v17, v17, v217 :: v_dual_mul_f32 v158, v7, v4
	v_dual_add_f32 v17, v17, v219 :: v_dual_mul_f32 v4, v8, v4
	v_mul_f32_e32 v157, v5, v2
	v_mul_f32_e32 v2, v6, v2
	s_delay_alu instid0(VALU_DEP_3)
	v_dual_fmac_f32 v158, v8, v3 :: v_dual_add_f32 v21, v17, v221
	ds_load_b128 v[17:20], v151 offset:912
	v_fmac_f32_e32 v157, v6, v1
	v_fma_f32 v2, v5, v1, -v2
	v_fma_f32 v1, v7, v3, -v4
	v_add_f32_e32 v28, v21, v223
	ds_load_b128 v[21:24], v151 offset:928
	v_add_f32_e32 v2, v31, v2
	v_add_f32_e32 v156, v28, v225
	ds_load_b64 v[27:28], v151 offset:944
	s_wait_loadcnt_dscnt 0x102
	v_dual_add_f32 v1, v2, v1 :: v_dual_mul_f32 v152, v17, v10
	v_dual_add_f32 v156, v156, v227 :: v_dual_mul_f32 v3, v18, v10
	s_delay_alu instid0(VALU_DEP_2) | instskip(NEXT) | instid1(VALU_DEP_2)
	v_dual_mul_f32 v5, v20, v12 :: v_dual_fmac_f32 v152, v18, v9
	v_add_f32_e32 v156, v156, v229
	s_delay_alu instid0(VALU_DEP_3)
	v_fma_f32 v3, v17, v9, -v3
	s_wait_loadcnt_dscnt 0x1
	v_mul_f32_e32 v159, v21, v14
	v_fma_f32 v5, v19, v11, -v5
	v_dual_mul_f32 v32, v23, v16 :: v_dual_add_f32 v29, v156, v29
	v_dual_mul_f32 v156, v19, v12 :: v_dual_add_f32 v1, v1, v3
	v_mul_f32_e32 v3, v24, v16
	v_fmac_f32_e32 v159, v22, v13
	s_delay_alu instid0(VALU_DEP_3) | instskip(SKIP_2) | instid1(VALU_DEP_2)
	v_dual_add_f32 v29, v29, v30 :: v_dual_fmac_f32 v156, v20, v11
	s_wait_dscnt 0x0
	v_dual_add_f32 v1, v1, v5 :: v_dual_mul_f32 v30, v27, v26
	v_dual_mul_f32 v5, v28, v26 :: v_dual_add_f32 v4, v29, v157
	v_fmac_f32_e32 v32, v24, v15
	v_fma_f32 v3, v23, v15, -v3
	s_delay_alu instid0(VALU_DEP_4) | instskip(NEXT) | instid1(VALU_DEP_4)
	v_fmac_f32_e32 v30, v28, v25
	v_add_f32_e32 v2, v4, v158
	v_mul_f32_e32 v4, v22, v14
	s_delay_alu instid0(VALU_DEP_2) | instskip(NEXT) | instid1(VALU_DEP_2)
	v_add_f32_e32 v2, v2, v152
	v_fma_f32 v4, v21, v13, -v4
	s_delay_alu instid0(VALU_DEP_2) | instskip(NEXT) | instid1(VALU_DEP_2)
	v_add_f32_e32 v2, v2, v156
	v_add_f32_e32 v1, v1, v4
	v_fma_f32 v4, v27, v25, -v5
	s_delay_alu instid0(VALU_DEP_3) | instskip(NEXT) | instid1(VALU_DEP_1)
	v_add_f32_e32 v2, v2, v159
	v_dual_add_f32 v1, v1, v3 :: v_dual_add_f32 v2, v2, v32
	s_delay_alu instid0(VALU_DEP_1) | instskip(NEXT) | instid1(VALU_DEP_1)
	v_dual_add_f32 v1, v1, v4 :: v_dual_add_f32 v2, v2, v30
	v_dual_sub_f32 v1, v154, v1 :: v_dual_sub_f32 v2, v155, v2
	scratch_store_b64 off, v[1:2], off offset:8
	v_cmpx_ne_u32_e32 0, v0
	s_cbranch_execz .LBB58_367
; %bb.366:
	scratch_load_b64 v[0:1], off, off
	v_mov_b32_e32 v152, v151
	scratch_store_b64 off, v[151:152], off
	s_wait_loadcnt 0x0
	ds_store_b64 v153, v[0:1]
.LBB58_367:
	s_wait_alu 0xfffe
	s_or_b32 exec_lo, exec_lo, s0
	s_wait_storecnt_dscnt 0x0
	s_barrier_signal -1
	s_barrier_wait -1
	global_inv scope:SCOPE_SE
	s_clause 0x6
	scratch_load_b128 v[0:3], off, off offset:8
	scratch_load_b128 v[4:7], off, off offset:24
	;; [unrolled: 1-line block ×7, first 2 shown]
	ds_load_2addr_b64 v[28:31], v151 offset0:61 offset1:62
	ds_load_2addr_b64 v[152:155], v151 offset0:63 offset1:64
	scratch_load_b64 v[156:157], off, off
	s_and_b32 vcc_lo, exec_lo, s18
	s_wait_loadcnt_dscnt 0x701
	v_mul_f32_e32 v32, v28, v1
	v_dual_mul_f32 v158, v30, v3 :: v_dual_mul_f32 v1, v29, v1
	s_delay_alu instid0(VALU_DEP_2) | instskip(NEXT) | instid1(VALU_DEP_2)
	v_dual_mul_f32 v3, v31, v3 :: v_dual_fmac_f32 v32, v29, v0
	v_fmac_f32_e32 v158, v31, v2
	s_delay_alu instid0(VALU_DEP_3) | instskip(NEXT) | instid1(VALU_DEP_3)
	v_fma_f32 v28, v28, v0, -v1
	v_fma_f32 v29, v30, v2, -v3
	ds_load_2addr_b64 v[0:3], v151 offset0:65 offset1:66
	s_wait_loadcnt_dscnt 0x601
	v_dual_mul_f32 v30, v152, v5 :: v_dual_mul_f32 v31, v154, v7
	v_mul_f32_e32 v5, v153, v5
	s_delay_alu instid0(VALU_DEP_2) | instskip(NEXT) | instid1(VALU_DEP_3)
	v_dual_mul_f32 v7, v155, v7 :: v_dual_fmac_f32 v30, v153, v4
	v_fmac_f32_e32 v31, v155, v6
	s_delay_alu instid0(VALU_DEP_3) | instskip(NEXT) | instid1(VALU_DEP_3)
	v_fma_f32 v152, v152, v4, -v5
	v_fma_f32 v153, v154, v6, -v7
	ds_load_2addr_b64 v[4:7], v151 offset0:67 offset1:68
	s_wait_loadcnt_dscnt 0x501
	v_dual_mul_f32 v154, v0, v9 :: v_dual_mul_f32 v155, v2, v11
	v_mul_f32_e32 v9, v1, v9
	s_delay_alu instid0(VALU_DEP_2) | instskip(NEXT) | instid1(VALU_DEP_3)
	v_dual_mul_f32 v11, v3, v11 :: v_dual_fmac_f32 v154, v1, v8
	v_fmac_f32_e32 v155, v3, v10
	s_delay_alu instid0(VALU_DEP_2)
	v_fma_f32 v160, v2, v10, -v11
	s_wait_loadcnt_dscnt 0x400
	v_mul_f32_e32 v162, v6, v15
	v_fma_f32 v159, v0, v8, -v9
	ds_load_2addr_b64 v[0:3], v151 offset0:69 offset1:70
	v_mul_f32_e32 v161, v4, v13
	v_dual_mul_f32 v8, v5, v13 :: v_dual_mul_f32 v9, v7, v15
	s_delay_alu instid0(VALU_DEP_2) | instskip(NEXT) | instid1(VALU_DEP_2)
	v_dual_fmac_f32 v162, v7, v14 :: v_dual_fmac_f32 v161, v5, v12
	v_fma_f32 v12, v4, v12, -v8
	s_delay_alu instid0(VALU_DEP_3) | instskip(SKIP_4) | instid1(VALU_DEP_2)
	v_fma_f32 v13, v6, v14, -v9
	ds_load_2addr_b64 v[4:7], v151 offset0:71 offset1:72
	s_wait_loadcnt_dscnt 0x301
	v_dual_mul_f32 v14, v0, v17 :: v_dual_mul_f32 v15, v2, v19
	v_dual_mul_f32 v8, v1, v17 :: v_dual_mul_f32 v9, v3, v19
	v_dual_fmac_f32 v14, v1, v16 :: v_dual_fmac_f32 v15, v3, v18
	s_delay_alu instid0(VALU_DEP_2) | instskip(NEXT) | instid1(VALU_DEP_3)
	v_fma_f32 v16, v0, v16, -v8
	v_fma_f32 v17, v2, v18, -v9
	ds_load_2addr_b64 v[0:3], v151 offset0:73 offset1:74
	s_wait_loadcnt_dscnt 0x201
	v_mul_f32_e32 v18, v4, v21
	v_dual_mul_f32 v8, v5, v21 :: v_dual_mul_f32 v19, v6, v23
	s_delay_alu instid0(VALU_DEP_2) | instskip(NEXT) | instid1(VALU_DEP_2)
	v_dual_mul_f32 v9, v7, v23 :: v_dual_fmac_f32 v18, v5, v20
	v_fma_f32 v20, v4, v20, -v8
	s_delay_alu instid0(VALU_DEP_3) | instskip(NEXT) | instid1(VALU_DEP_3)
	v_fmac_f32_e32 v19, v7, v22
	v_fma_f32 v21, v6, v22, -v9
	ds_load_2addr_b64 v[4:7], v151 offset0:75 offset1:76
	s_wait_loadcnt_dscnt 0x101
	v_mul_f32_e32 v22, v0, v25
	v_dual_mul_f32 v8, v1, v25 :: v_dual_mul_f32 v23, v2, v27
	s_delay_alu instid0(VALU_DEP_2) | instskip(NEXT) | instid1(VALU_DEP_2)
	v_dual_mul_f32 v9, v3, v27 :: v_dual_fmac_f32 v22, v1, v24
	v_fma_f32 v24, v0, v24, -v8
	s_delay_alu instid0(VALU_DEP_3) | instskip(NEXT) | instid1(VALU_DEP_3)
	v_fmac_f32_e32 v23, v3, v26
	v_fma_f32 v25, v2, v26, -v9
	s_clause 0x1
	scratch_load_b128 v[0:3], off, off offset:120
	scratch_load_b128 v[8:11], off, off offset:136
	s_wait_loadcnt_dscnt 0x100
	v_mul_f32_e32 v26, v4, v1
	v_mul_f32_e32 v1, v5, v1
	s_delay_alu instid0(VALU_DEP_2) | instskip(NEXT) | instid1(VALU_DEP_2)
	v_dual_mul_f32 v163, v6, v3 :: v_dual_fmac_f32 v26, v5, v0
	v_fma_f32 v27, v4, v0, -v1
	v_mul_f32_e32 v0, v7, v3
	s_delay_alu instid0(VALU_DEP_3) | instskip(NEXT) | instid1(VALU_DEP_2)
	v_fmac_f32_e32 v163, v7, v2
	v_fma_f32 v164, v6, v2, -v0
	ds_load_2addr_b64 v[0:3], v151 offset0:77 offset1:78
	ds_load_2addr_b64 v[4:7], v151 offset0:79 offset1:80
	s_wait_loadcnt_dscnt 0x1
	v_mul_f32_e32 v165, v0, v9
	v_mul_f32_e32 v167, v2, v11
	s_delay_alu instid0(VALU_DEP_2) | instskip(SKIP_1) | instid1(VALU_DEP_3)
	v_fmac_f32_e32 v165, v1, v8
	v_mul_f32_e32 v1, v1, v9
	v_fmac_f32_e32 v167, v3, v10
	s_delay_alu instid0(VALU_DEP_2) | instskip(SKIP_1) | instid1(VALU_DEP_1)
	v_fma_f32 v166, v0, v8, -v1
	v_mul_f32_e32 v0, v3, v11
	v_fma_f32 v168, v2, v10, -v0
	s_clause 0x1
	scratch_load_b128 v[0:3], off, off offset:152
	scratch_load_b128 v[8:11], off, off offset:168
	s_wait_loadcnt_dscnt 0x100
	v_mul_f32_e32 v169, v4, v1
	v_mul_f32_e32 v1, v5, v1
	v_mul_f32_e32 v171, v6, v3
	s_delay_alu instid0(VALU_DEP_3) | instskip(NEXT) | instid1(VALU_DEP_3)
	v_fmac_f32_e32 v169, v5, v0
	v_fma_f32 v170, v4, v0, -v1
	v_mul_f32_e32 v0, v7, v3
	s_delay_alu instid0(VALU_DEP_4) | instskip(NEXT) | instid1(VALU_DEP_2)
	v_fmac_f32_e32 v171, v7, v2
	v_fma_f32 v172, v6, v2, -v0
	ds_load_2addr_b64 v[0:3], v151 offset0:81 offset1:82
	ds_load_2addr_b64 v[4:7], v151 offset0:83 offset1:84
	s_wait_loadcnt_dscnt 0x1
	v_mul_f32_e32 v173, v0, v9
	v_mul_f32_e32 v175, v2, v11
	s_delay_alu instid0(VALU_DEP_2) | instskip(SKIP_1) | instid1(VALU_DEP_3)
	v_fmac_f32_e32 v173, v1, v8
	v_mul_f32_e32 v1, v1, v9
	v_fmac_f32_e32 v175, v3, v10
	s_delay_alu instid0(VALU_DEP_2) | instskip(SKIP_1) | instid1(VALU_DEP_1)
	v_fma_f32 v174, v0, v8, -v1
	v_mul_f32_e32 v0, v3, v11
	v_fma_f32 v176, v2, v10, -v0
	s_clause 0x1
	scratch_load_b128 v[0:3], off, off offset:184
	scratch_load_b128 v[8:11], off, off offset:200
	s_wait_loadcnt_dscnt 0x100
	v_mul_f32_e32 v177, v4, v1
	v_mul_f32_e32 v1, v5, v1
	v_mul_f32_e32 v179, v6, v3
	s_delay_alu instid0(VALU_DEP_3) | instskip(NEXT) | instid1(VALU_DEP_3)
	v_fmac_f32_e32 v177, v5, v0
	v_fma_f32 v178, v4, v0, -v1
	v_mul_f32_e32 v0, v7, v3
	s_delay_alu instid0(VALU_DEP_4) | instskip(NEXT) | instid1(VALU_DEP_2)
	;; [unrolled: 27-line block ×6, first 2 shown]
	v_fmac_f32_e32 v211, v7, v2
	v_fma_f32 v212, v6, v2, -v0
	ds_load_2addr_b64 v[0:3], v151 offset0:101 offset1:102
	ds_load_2addr_b64 v[4:7], v151 offset0:103 offset1:104
	s_wait_loadcnt_dscnt 0x1
	v_mul_f32_e32 v213, v0, v9
	s_delay_alu instid0(VALU_DEP_1) | instskip(SKIP_1) | instid1(VALU_DEP_1)
	v_fmac_f32_e32 v213, v1, v8
	v_mul_f32_e32 v1, v1, v9
	v_fma_f32 v214, v0, v8, -v1
	v_mul_f32_e32 v0, v3, v11
	s_delay_alu instid0(VALU_DEP_1) | instskip(SKIP_1) | instid1(VALU_DEP_1)
	v_fma_f32 v216, v2, v10, -v0
	v_mul_f32_e32 v215, v2, v11
	v_fmac_f32_e32 v215, v3, v10
	s_clause 0x1
	scratch_load_b128 v[0:3], off, off offset:344
	scratch_load_b128 v[8:11], off, off offset:360
	s_wait_loadcnt_dscnt 0x100
	v_mul_f32_e32 v217, v4, v1
	v_mul_f32_e32 v1, v5, v1
	;; [unrolled: 1-line block ×3, first 2 shown]
	s_delay_alu instid0(VALU_DEP_2) | instskip(NEXT) | instid1(VALU_DEP_4)
	v_fma_f32 v218, v4, v0, -v1
	v_dual_fmac_f32 v217, v5, v0 :: v_dual_mul_f32 v0, v7, v3
	s_delay_alu instid0(VALU_DEP_3) | instskip(NEXT) | instid1(VALU_DEP_2)
	v_fmac_f32_e32 v219, v7, v2
	v_fma_f32 v220, v6, v2, -v0
	ds_load_2addr_b64 v[0:3], v151 offset0:105 offset1:106
	ds_load_2addr_b64 v[4:7], v151 offset0:107 offset1:108
	s_wait_loadcnt_dscnt 0x1
	v_mul_f32_e32 v221, v0, v9
	v_mul_f32_e32 v223, v2, v11
	s_delay_alu instid0(VALU_DEP_2) | instskip(SKIP_1) | instid1(VALU_DEP_3)
	v_fmac_f32_e32 v221, v1, v8
	v_mul_f32_e32 v1, v1, v9
	v_fmac_f32_e32 v223, v3, v10
	s_delay_alu instid0(VALU_DEP_2) | instskip(SKIP_1) | instid1(VALU_DEP_1)
	v_fma_f32 v222, v0, v8, -v1
	v_mul_f32_e32 v0, v3, v11
	v_fma_f32 v224, v2, v10, -v0
	s_clause 0x1
	scratch_load_b128 v[0:3], off, off offset:376
	scratch_load_b128 v[8:11], off, off offset:392
	s_wait_loadcnt_dscnt 0x100
	v_mul_f32_e32 v225, v4, v1
	v_mul_f32_e32 v1, v5, v1
	s_delay_alu instid0(VALU_DEP_2) | instskip(NEXT) | instid1(VALU_DEP_2)
	v_fmac_f32_e32 v225, v5, v0
	v_fma_f32 v226, v4, v0, -v1
	v_dual_mul_f32 v0, v7, v3 :: v_dual_add_f32 v1, 0, v32
	s_delay_alu instid0(VALU_DEP_1) | instskip(NEXT) | instid1(VALU_DEP_2)
	v_fma_f32 v228, v6, v2, -v0
	v_dual_add_f32 v0, 0, v28 :: v_dual_add_f32 v1, v1, v158
	s_delay_alu instid0(VALU_DEP_1) | instskip(NEXT) | instid1(VALU_DEP_1)
	v_dual_add_f32 v0, v0, v29 :: v_dual_add_f32 v1, v1, v30
	v_dual_add_f32 v0, v0, v152 :: v_dual_add_f32 v1, v1, v31
	s_delay_alu instid0(VALU_DEP_1) | instskip(NEXT) | instid1(VALU_DEP_1)
	v_dual_add_f32 v0, v0, v153 :: v_dual_add_f32 v1, v1, v154
	v_add_f32_e32 v0, v0, v159
	s_delay_alu instid0(VALU_DEP_1) | instskip(NEXT) | instid1(VALU_DEP_1)
	v_dual_add_f32 v1, v1, v155 :: v_dual_add_f32 v0, v0, v160
	v_dual_add_f32 v1, v1, v161 :: v_dual_add_f32 v0, v0, v12
	s_delay_alu instid0(VALU_DEP_1) | instskip(NEXT) | instid1(VALU_DEP_1)
	v_dual_add_f32 v1, v1, v162 :: v_dual_add_f32 v0, v0, v13
	v_dual_add_f32 v1, v1, v14 :: v_dual_add_f32 v0, v0, v16
	;; [unrolled: 3-line block ×14, first 2 shown]
	s_delay_alu instid0(VALU_DEP_1) | instskip(NEXT) | instid1(VALU_DEP_1)
	v_dual_add_f32 v5, v5, v199 :: v_dual_add_f32 v4, v4, v200
	v_add_f32_e32 v12, v5, v201
	s_delay_alu instid0(VALU_DEP_2) | instskip(NEXT) | instid1(VALU_DEP_2)
	v_add_f32_e32 v4, v4, v202
	v_add_f32_e32 v12, v12, v203
	s_delay_alu instid0(VALU_DEP_2) | instskip(NEXT) | instid1(VALU_DEP_1)
	v_add_f32_e32 v13, v4, v204
	v_dual_add_f32 v12, v12, v205 :: v_dual_add_f32 v13, v13, v206
	s_delay_alu instid0(VALU_DEP_1) | instskip(NEXT) | instid1(VALU_DEP_1)
	v_dual_add_f32 v12, v12, v207 :: v_dual_add_f32 v13, v13, v208
	v_dual_add_f32 v12, v12, v209 :: v_dual_add_f32 v13, v13, v210
	s_delay_alu instid0(VALU_DEP_1) | instskip(NEXT) | instid1(VALU_DEP_1)
	v_dual_add_f32 v17, v12, v211 :: v_dual_add_f32 v16, v13, v212
	v_add_f32_e32 v21, v17, v213
	scratch_load_b128 v[12:15], off, off offset:440
	v_add_f32_e32 v20, v16, v214
	scratch_load_b128 v[16:19], off, off offset:456
	v_add_f32_e32 v20, v20, v216
	s_delay_alu instid0(VALU_DEP_1) | instskip(NEXT) | instid1(VALU_DEP_1)
	v_add_f32_e32 v20, v20, v218
	v_dual_add_f32 v20, v20, v220 :: v_dual_add_f32 v21, v21, v215
	s_delay_alu instid0(VALU_DEP_1) | instskip(NEXT) | instid1(VALU_DEP_2)
	v_add_f32_e32 v25, v20, v222
	v_add_f32_e32 v21, v21, v217
	s_delay_alu instid0(VALU_DEP_2) | instskip(NEXT) | instid1(VALU_DEP_2)
	v_add_f32_e32 v28, v25, v224
	v_add_f32_e32 v24, v21, v219
	ds_load_2addr_b64 v[20:23], v151 offset0:113 offset1:114
	v_add_f32_e32 v158, v28, v226
	v_add_f32_e32 v24, v24, v221
	ds_load_2addr_b64 v[28:31], v151 offset0:117 offset1:118
	v_dual_add_f32 v158, v158, v228 :: v_dual_add_f32 v155, v24, v223
	ds_load_2addr_b64 v[24:27], v151 offset0:115 offset1:116
	v_mul_f32_e32 v227, v6, v3
	s_delay_alu instid0(VALU_DEP_1)
	v_fmac_f32_e32 v227, v7, v2
	ds_load_2addr_b64 v[0:3], v151 offset0:109 offset1:110
	ds_load_2addr_b64 v[4:7], v151 offset0:111 offset1:112
	v_add_f32_e32 v151, v155, v225
	s_wait_loadcnt_dscnt 0x201
	v_mul_f32_e32 v32, v0, v9
	v_dual_mul_f32 v9, v1, v9 :: v_dual_mul_f32 v152, v2, v11
	s_delay_alu instid0(VALU_DEP_2) | instskip(NEXT) | instid1(VALU_DEP_2)
	v_dual_mul_f32 v11, v3, v11 :: v_dual_fmac_f32 v32, v1, v8
	v_fma_f32 v153, v0, v8, -v9
	s_delay_alu instid0(VALU_DEP_3) | instskip(NEXT) | instid1(VALU_DEP_3)
	v_fmac_f32_e32 v152, v3, v10
	v_fma_f32 v154, v2, v10, -v11
	s_clause 0x1
	scratch_load_b128 v[0:3], off, off offset:408
	scratch_load_b128 v[8:11], off, off offset:424
	v_add_f32_e32 v153, v158, v153
	s_wait_loadcnt_dscnt 0x100
	v_mul_f32_e32 v155, v4, v1
	v_mul_f32_e32 v159, v6, v3
	;; [unrolled: 1-line block ×3, first 2 shown]
	s_wait_loadcnt 0x0
	v_dual_mul_f32 v3, v7, v3 :: v_dual_mul_f32 v158, v20, v9
	v_fmac_f32_e32 v155, v5, v0
	v_fmac_f32_e32 v159, v7, v2
	v_fma_f32 v0, v4, v0, -v1
	s_delay_alu instid0(VALU_DEP_4) | instskip(SKIP_4) | instid1(VALU_DEP_4)
	v_fma_f32 v1, v6, v2, -v3
	v_mul_f32_e32 v2, v24, v13
	v_add_f32_e32 v4, v153, v154
	v_mul_f32_e32 v7, v21, v9
	v_dual_fmac_f32 v158, v21, v8 :: v_dual_mul_f32 v3, v26, v15
	v_dual_fmac_f32 v2, v25, v12 :: v_dual_add_f32 v151, v151, v227
	s_delay_alu instid0(VALU_DEP_4) | instskip(NEXT) | instid1(VALU_DEP_4)
	v_add_f32_e32 v0, v4, v0
	v_fma_f32 v7, v20, v8, -v7
	s_delay_alu instid0(VALU_DEP_4) | instskip(NEXT) | instid1(VALU_DEP_4)
	v_dual_mul_f32 v6, v28, v17 :: v_dual_fmac_f32 v3, v27, v14
	v_dual_add_f32 v32, v151, v32 :: v_dual_mul_f32 v151, v22, v11
	s_delay_alu instid0(VALU_DEP_4) | instskip(NEXT) | instid1(VALU_DEP_3)
	v_dual_add_f32 v0, v0, v1 :: v_dual_mul_f32 v9, v30, v19
	v_fmac_f32_e32 v6, v29, v16
	s_delay_alu instid0(VALU_DEP_3) | instskip(NEXT) | instid1(VALU_DEP_3)
	v_add_f32_e32 v5, v32, v152
	v_dual_fmac_f32 v151, v23, v10 :: v_dual_add_f32 v0, v0, v7
	v_mul_f32_e32 v7, v27, v15
	s_delay_alu instid0(VALU_DEP_3) | instskip(SKIP_1) | instid1(VALU_DEP_3)
	v_dual_fmac_f32 v9, v31, v18 :: v_dual_add_f32 v4, v5, v155
	v_mul_f32_e32 v5, v23, v11
	v_fma_f32 v7, v26, v14, -v7
	s_delay_alu instid0(VALU_DEP_3) | instskip(NEXT) | instid1(VALU_DEP_3)
	v_dual_add_f32 v1, v4, v159 :: v_dual_mul_f32 v4, v25, v13
	v_fma_f32 v5, v22, v10, -v5
	s_delay_alu instid0(VALU_DEP_2) | instskip(NEXT) | instid1(VALU_DEP_3)
	v_add_f32_e32 v1, v1, v158
	v_fma_f32 v4, v24, v12, -v4
	s_delay_alu instid0(VALU_DEP_3) | instskip(SKIP_1) | instid1(VALU_DEP_2)
	v_add_f32_e32 v0, v0, v5
	v_mul_f32_e32 v5, v29, v17
	v_dual_add_f32 v1, v1, v151 :: v_dual_add_f32 v0, v0, v4
	s_delay_alu instid0(VALU_DEP_2) | instskip(NEXT) | instid1(VALU_DEP_2)
	v_fma_f32 v4, v28, v16, -v5
	v_dual_add_f32 v1, v1, v2 :: v_dual_mul_f32 v2, v31, v19
	s_delay_alu instid0(VALU_DEP_3) | instskip(NEXT) | instid1(VALU_DEP_2)
	v_add_f32_e32 v0, v0, v7
	v_add_f32_e32 v1, v1, v3
	s_delay_alu instid0(VALU_DEP_3) | instskip(NEXT) | instid1(VALU_DEP_2)
	v_fma_f32 v2, v30, v18, -v2
	v_dual_add_f32 v0, v0, v4 :: v_dual_add_f32 v1, v1, v6
	s_delay_alu instid0(VALU_DEP_1) | instskip(NEXT) | instid1(VALU_DEP_1)
	v_dual_add_f32 v0, v0, v2 :: v_dual_add_f32 v1, v1, v9
	v_dual_sub_f32 v0, v156, v0 :: v_dual_sub_f32 v1, v157, v1
	scratch_store_b64 off, v[0:1], off
	s_wait_alu 0xfffe
	s_cbranch_vccz .LBB58_484
; %bb.368:
	v_mov_b32_e32 v0, 0
	global_load_b32 v1, v0, s[2:3] offset:228
	s_wait_loadcnt 0x0
	v_cmp_ne_u32_e32 vcc_lo, 58, v1
	s_cbranch_vccz .LBB58_370
; %bb.369:
	v_lshlrev_b32_e32 v1, 3, v1
	s_delay_alu instid0(VALU_DEP_1)
	v_mov_b32_e32 v5, v1
	scratch_load_b64 v[1:2], v5, off offset:-8
	scratch_load_b64 v[3:4], off, off offset:456
	s_wait_loadcnt 0x1
	scratch_store_b64 off, v[1:2], off offset:456
	s_wait_loadcnt 0x0
	scratch_store_b64 v5, v[3:4], off offset:-8
.LBB58_370:
	global_load_b32 v0, v0, s[2:3] offset:224
	s_wait_loadcnt 0x0
	v_cmp_eq_u32_e32 vcc_lo, 57, v0
	s_cbranch_vccnz .LBB58_372
; %bb.371:
	v_lshlrev_b32_e32 v0, 3, v0
	s_delay_alu instid0(VALU_DEP_1)
	v_mov_b32_e32 v4, v0
	scratch_load_b64 v[0:1], v4, off offset:-8
	scratch_load_b64 v[2:3], off, off offset:448
	s_wait_loadcnt 0x1
	scratch_store_b64 off, v[0:1], off offset:448
	s_wait_loadcnt 0x0
	scratch_store_b64 v4, v[2:3], off offset:-8
.LBB58_372:
	v_mov_b32_e32 v0, 0
	global_load_b32 v1, v0, s[2:3] offset:220
	s_wait_loadcnt 0x0
	v_cmp_eq_u32_e32 vcc_lo, 56, v1
	s_cbranch_vccnz .LBB58_374
; %bb.373:
	v_lshlrev_b32_e32 v1, 3, v1
	s_delay_alu instid0(VALU_DEP_1)
	v_mov_b32_e32 v5, v1
	scratch_load_b64 v[1:2], v5, off offset:-8
	scratch_load_b64 v[3:4], off, off offset:440
	s_wait_loadcnt 0x1
	scratch_store_b64 off, v[1:2], off offset:440
	s_wait_loadcnt 0x0
	scratch_store_b64 v5, v[3:4], off offset:-8
.LBB58_374:
	global_load_b32 v0, v0, s[2:3] offset:216
	s_wait_loadcnt 0x0
	v_cmp_eq_u32_e32 vcc_lo, 55, v0
	s_cbranch_vccnz .LBB58_376
; %bb.375:
	v_lshlrev_b32_e32 v0, 3, v0
	s_delay_alu instid0(VALU_DEP_1)
	v_mov_b32_e32 v4, v0
	scratch_load_b64 v[0:1], v4, off offset:-8
	scratch_load_b64 v[2:3], off, off offset:432
	s_wait_loadcnt 0x1
	scratch_store_b64 off, v[0:1], off offset:432
	s_wait_loadcnt 0x0
	scratch_store_b64 v4, v[2:3], off offset:-8
.LBB58_376:
	v_mov_b32_e32 v0, 0
	global_load_b32 v1, v0, s[2:3] offset:212
	s_wait_loadcnt 0x0
	v_cmp_eq_u32_e32 vcc_lo, 54, v1
	s_cbranch_vccnz .LBB58_378
; %bb.377:
	v_lshlrev_b32_e32 v1, 3, v1
	s_delay_alu instid0(VALU_DEP_1)
	v_mov_b32_e32 v5, v1
	scratch_load_b64 v[1:2], v5, off offset:-8
	scratch_load_b64 v[3:4], off, off offset:424
	s_wait_loadcnt 0x1
	scratch_store_b64 off, v[1:2], off offset:424
	s_wait_loadcnt 0x0
	scratch_store_b64 v5, v[3:4], off offset:-8
.LBB58_378:
	;; [unrolled: 31-line block ×28, first 2 shown]
	global_load_b32 v0, v0, s[2:3]
	s_wait_loadcnt 0x0
	v_cmp_eq_u32_e32 vcc_lo, 1, v0
	s_cbranch_vccnz .LBB58_484
; %bb.483:
	v_lshlrev_b32_e32 v0, 3, v0
	s_delay_alu instid0(VALU_DEP_1)
	v_mov_b32_e32 v4, v0
	scratch_load_b64 v[0:1], v4, off offset:-8
	scratch_load_b64 v[2:3], off, off
	s_wait_loadcnt 0x1
	scratch_store_b64 off, v[0:1], off
	s_wait_loadcnt 0x0
	scratch_store_b64 v4, v[2:3], off offset:-8
.LBB58_484:
	s_clause 0x1d
	scratch_load_b128 v[0:3], off, off
	scratch_load_b128 v[4:7], off, off offset:16
	scratch_load_b128 v[8:11], off, off offset:32
	;; [unrolled: 1-line block ×28, first 2 shown]
	scratch_load_b64 v[235:236], off, off offset:464
	s_wait_loadcnt 0x1d
	s_clause 0x1
	global_store_b64 v[33:34], v[0:1], off
	global_store_b64 v[35:36], v[2:3], off
	s_wait_loadcnt 0x1c
	s_clause 0x1
	global_store_b64 v[37:38], v[4:5], off
	global_store_b64 v[39:40], v[6:7], off
	;; [unrolled: 4-line block ×29, first 2 shown]
	s_wait_loadcnt 0x0
	global_store_b64 v[149:150], v[235:236], off
	s_nop 0
	s_sendmsg sendmsg(MSG_DEALLOC_VGPRS)
	s_endpgm
	.section	.rodata,"a",@progbits
	.p2align	6, 0x0
	.amdhsa_kernel _ZN9rocsolver6v33100L18getri_kernel_smallILi59E19rocblas_complex_numIfEPS3_EEvT1_iilPiilS6_bb
		.amdhsa_group_segment_fixed_size 952
		.amdhsa_private_segment_fixed_size 480
		.amdhsa_kernarg_size 60
		.amdhsa_user_sgpr_count 2
		.amdhsa_user_sgpr_dispatch_ptr 0
		.amdhsa_user_sgpr_queue_ptr 0
		.amdhsa_user_sgpr_kernarg_segment_ptr 1
		.amdhsa_user_sgpr_dispatch_id 0
		.amdhsa_user_sgpr_private_segment_size 0
		.amdhsa_wavefront_size32 1
		.amdhsa_uses_dynamic_stack 0
		.amdhsa_enable_private_segment 1
		.amdhsa_system_sgpr_workgroup_id_x 1
		.amdhsa_system_sgpr_workgroup_id_y 0
		.amdhsa_system_sgpr_workgroup_id_z 0
		.amdhsa_system_sgpr_workgroup_info 0
		.amdhsa_system_vgpr_workitem_id 0
		.amdhsa_next_free_vgpr 252
		.amdhsa_next_free_sgpr 19
		.amdhsa_reserve_vcc 1
		.amdhsa_float_round_mode_32 0
		.amdhsa_float_round_mode_16_64 0
		.amdhsa_float_denorm_mode_32 3
		.amdhsa_float_denorm_mode_16_64 3
		.amdhsa_fp16_overflow 0
		.amdhsa_workgroup_processor_mode 1
		.amdhsa_memory_ordered 1
		.amdhsa_forward_progress 1
		.amdhsa_inst_pref_size 255
		.amdhsa_round_robin_scheduling 0
		.amdhsa_exception_fp_ieee_invalid_op 0
		.amdhsa_exception_fp_denorm_src 0
		.amdhsa_exception_fp_ieee_div_zero 0
		.amdhsa_exception_fp_ieee_overflow 0
		.amdhsa_exception_fp_ieee_underflow 0
		.amdhsa_exception_fp_ieee_inexact 0
		.amdhsa_exception_int_div_zero 0
	.end_amdhsa_kernel
	.section	.text._ZN9rocsolver6v33100L18getri_kernel_smallILi59E19rocblas_complex_numIfEPS3_EEvT1_iilPiilS6_bb,"axG",@progbits,_ZN9rocsolver6v33100L18getri_kernel_smallILi59E19rocblas_complex_numIfEPS3_EEvT1_iilPiilS6_bb,comdat
.Lfunc_end58:
	.size	_ZN9rocsolver6v33100L18getri_kernel_smallILi59E19rocblas_complex_numIfEPS3_EEvT1_iilPiilS6_bb, .Lfunc_end58-_ZN9rocsolver6v33100L18getri_kernel_smallILi59E19rocblas_complex_numIfEPS3_EEvT1_iilPiilS6_bb
                                        ; -- End function
	.set _ZN9rocsolver6v33100L18getri_kernel_smallILi59E19rocblas_complex_numIfEPS3_EEvT1_iilPiilS6_bb.num_vgpr, 252
	.set _ZN9rocsolver6v33100L18getri_kernel_smallILi59E19rocblas_complex_numIfEPS3_EEvT1_iilPiilS6_bb.num_agpr, 0
	.set _ZN9rocsolver6v33100L18getri_kernel_smallILi59E19rocblas_complex_numIfEPS3_EEvT1_iilPiilS6_bb.numbered_sgpr, 19
	.set _ZN9rocsolver6v33100L18getri_kernel_smallILi59E19rocblas_complex_numIfEPS3_EEvT1_iilPiilS6_bb.num_named_barrier, 0
	.set _ZN9rocsolver6v33100L18getri_kernel_smallILi59E19rocblas_complex_numIfEPS3_EEvT1_iilPiilS6_bb.private_seg_size, 480
	.set _ZN9rocsolver6v33100L18getri_kernel_smallILi59E19rocblas_complex_numIfEPS3_EEvT1_iilPiilS6_bb.uses_vcc, 1
	.set _ZN9rocsolver6v33100L18getri_kernel_smallILi59E19rocblas_complex_numIfEPS3_EEvT1_iilPiilS6_bb.uses_flat_scratch, 1
	.set _ZN9rocsolver6v33100L18getri_kernel_smallILi59E19rocblas_complex_numIfEPS3_EEvT1_iilPiilS6_bb.has_dyn_sized_stack, 0
	.set _ZN9rocsolver6v33100L18getri_kernel_smallILi59E19rocblas_complex_numIfEPS3_EEvT1_iilPiilS6_bb.has_recursion, 0
	.set _ZN9rocsolver6v33100L18getri_kernel_smallILi59E19rocblas_complex_numIfEPS3_EEvT1_iilPiilS6_bb.has_indirect_call, 0
	.section	.AMDGPU.csdata,"",@progbits
; Kernel info:
; codeLenInByte = 112992
; TotalNumSgprs: 21
; NumVgprs: 252
; ScratchSize: 480
; MemoryBound: 0
; FloatMode: 240
; IeeeMode: 1
; LDSByteSize: 952 bytes/workgroup (compile time only)
; SGPRBlocks: 0
; VGPRBlocks: 31
; NumSGPRsForWavesPerEU: 21
; NumVGPRsForWavesPerEU: 252
; Occupancy: 5
; WaveLimiterHint : 1
; COMPUTE_PGM_RSRC2:SCRATCH_EN: 1
; COMPUTE_PGM_RSRC2:USER_SGPR: 2
; COMPUTE_PGM_RSRC2:TRAP_HANDLER: 0
; COMPUTE_PGM_RSRC2:TGID_X_EN: 1
; COMPUTE_PGM_RSRC2:TGID_Y_EN: 0
; COMPUTE_PGM_RSRC2:TGID_Z_EN: 0
; COMPUTE_PGM_RSRC2:TIDIG_COMP_CNT: 0
	.section	.text._ZN9rocsolver6v33100L18getri_kernel_smallILi60E19rocblas_complex_numIfEPS3_EEvT1_iilPiilS6_bb,"axG",@progbits,_ZN9rocsolver6v33100L18getri_kernel_smallILi60E19rocblas_complex_numIfEPS3_EEvT1_iilPiilS6_bb,comdat
	.globl	_ZN9rocsolver6v33100L18getri_kernel_smallILi60E19rocblas_complex_numIfEPS3_EEvT1_iilPiilS6_bb ; -- Begin function _ZN9rocsolver6v33100L18getri_kernel_smallILi60E19rocblas_complex_numIfEPS3_EEvT1_iilPiilS6_bb
	.p2align	8
	.type	_ZN9rocsolver6v33100L18getri_kernel_smallILi60E19rocblas_complex_numIfEPS3_EEvT1_iilPiilS6_bb,@function
_ZN9rocsolver6v33100L18getri_kernel_smallILi60E19rocblas_complex_numIfEPS3_EEvT1_iilPiilS6_bb: ; @_ZN9rocsolver6v33100L18getri_kernel_smallILi60E19rocblas_complex_numIfEPS3_EEvT1_iilPiilS6_bb
; %bb.0:
	s_mov_b32 s2, exec_lo
	v_cmpx_gt_u32_e32 60, v0
	s_cbranch_execz .LBB59_254
; %bb.1:
	s_clause 0x2
	s_load_b32 s2, s[0:1], 0x38
	s_load_b128 s[12:15], s[0:1], 0x10
	s_load_b128 s[4:7], s[0:1], 0x28
	s_mov_b32 s16, ttmp9
	s_wait_kmcnt 0x0
	s_bitcmp1_b32 s2, 8
	s_cselect_b32 s18, -1, 0
	s_bfe_u32 s2, s2, 0x10008
	s_ashr_i32 s17, ttmp9, 31
	s_cmp_eq_u32 s2, 0
                                        ; implicit-def: $sgpr2_sgpr3
	s_cbranch_scc1 .LBB59_3
; %bb.2:
	s_load_b32 s2, s[0:1], 0x20
	s_mul_u64 s[4:5], s[4:5], s[16:17]
	s_delay_alu instid0(SALU_CYCLE_1) | instskip(NEXT) | instid1(SALU_CYCLE_1)
	s_lshl_b64 s[4:5], s[4:5], 2
	s_add_nc_u64 s[4:5], s[14:15], s[4:5]
	s_wait_kmcnt 0x0
	s_ashr_i32 s3, s2, 31
	s_delay_alu instid0(SALU_CYCLE_1) | instskip(NEXT) | instid1(SALU_CYCLE_1)
	s_lshl_b64 s[2:3], s[2:3], 2
	s_add_nc_u64 s[2:3], s[4:5], s[2:3]
.LBB59_3:
	s_clause 0x1
	s_load_b128 s[8:11], s[0:1], 0x0
	s_load_b32 s4, s[0:1], 0x38
	s_mul_u64 s[0:1], s[12:13], s[16:17]
	v_lshlrev_b32_e32 v13, 3, v0
	s_lshl_b64 s[0:1], s[0:1], 3
	s_wait_kmcnt 0x0
	v_add3_u32 v3, s11, s11, v0
	s_ashr_i32 s13, s10, 31
	s_mov_b32 s12, s10
	s_add_nc_u64 s[0:1], s[8:9], s[0:1]
	s_lshl_b64 s[12:13], s[12:13], 3
	v_add_nc_u32_e32 v5, s11, v3
	v_ashrrev_i32_e32 v4, 31, v3
	s_add_nc_u64 s[0:1], s[0:1], s[12:13]
	s_ashr_i32 s9, s11, 31
	v_add_co_u32 v33, s5, s0, v13
	v_add_nc_u32_e32 v7, s11, v5
	s_mov_b32 s8, s11
	v_lshlrev_b64_e32 v[3:4], 3, v[3:4]
	v_add_co_ci_u32_e64 v34, null, s1, 0, s5
	s_delay_alu instid0(VALU_DEP_3) | instskip(SKIP_3) | instid1(VALU_DEP_1)
	v_add_nc_u32_e32 v9, s11, v7
	s_lshl_b64 s[8:9], s[8:9], 3
	v_ashrrev_i32_e32 v6, 31, v5
	v_add_co_u32 v35, vcc_lo, v33, s8
	v_add_co_ci_u32_e64 v36, null, s9, v34, vcc_lo
	v_add_co_u32 v37, vcc_lo, s0, v3
	v_add_nc_u32_e32 v3, s11, v9
	v_lshlrev_b64_e32 v[5:6], 3, v[5:6]
	v_ashrrev_i32_e32 v8, 31, v7
	v_ashrrev_i32_e32 v10, 31, v9
	s_wait_alu 0xfffd
	v_add_co_ci_u32_e64 v38, null, s1, v4, vcc_lo
	v_add_nc_u32_e32 v11, s11, v3
	v_ashrrev_i32_e32 v4, 31, v3
	v_lshlrev_b64_e32 v[7:8], 3, v[7:8]
	v_add_co_u32 v39, vcc_lo, s0, v5
	s_wait_alu 0xfffd
	v_add_co_ci_u32_e64 v40, null, s1, v6, vcc_lo
	v_lshlrev_b64_e32 v[5:6], 3, v[9:10]
	v_add_nc_u32_e32 v16, s11, v11
	v_lshlrev_b64_e32 v[14:15], 3, v[3:4]
	v_ashrrev_i32_e32 v12, 31, v11
	v_add_co_u32 v41, vcc_lo, s0, v7
	s_delay_alu instid0(VALU_DEP_4)
	v_ashrrev_i32_e32 v17, 31, v16
	v_add_nc_u32_e32 v18, s11, v16
	s_wait_alu 0xfffd
	v_add_co_ci_u32_e64 v42, null, s1, v8, vcc_lo
	v_add_co_u32 v43, vcc_lo, s0, v5
	v_lshlrev_b64_e32 v[11:12], 3, v[11:12]
	s_wait_alu 0xfffd
	v_add_co_ci_u32_e64 v44, null, s1, v6, vcc_lo
	v_add_co_u32 v45, vcc_lo, s0, v14
	s_wait_alu 0xfffd
	v_add_co_ci_u32_e64 v46, null, s1, v15, vcc_lo
	v_lshlrev_b64_e32 v[14:15], 3, v[16:17]
	v_ashrrev_i32_e32 v19, 31, v18
	v_add_nc_u32_e32 v16, s11, v18
	v_add_co_u32 v47, vcc_lo, s0, v11
	s_wait_alu 0xfffd
	v_add_co_ci_u32_e64 v48, null, s1, v12, vcc_lo
	v_lshlrev_b64_e32 v[11:12], 3, v[18:19]
	v_ashrrev_i32_e32 v17, 31, v16
	v_add_nc_u32_e32 v18, s11, v16
	;; [unrolled: 6-line block ×24, first 2 shown]
	v_add_co_u32 v93, vcc_lo, s0, v14
	s_wait_alu 0xfffd
	v_add_co_ci_u32_e64 v94, null, s1, v15, vcc_lo
	v_lshlrev_b64_e32 v[14:15], 3, v[16:17]
	v_add_nc_u32_e32 v16, s11, v18
	v_ashrrev_i32_e32 v19, 31, v18
	v_add_co_u32 v95, vcc_lo, s0, v11
	s_wait_alu 0xfffd
	v_add_co_ci_u32_e64 v96, null, s1, v12, vcc_lo
	v_add_nc_u32_e32 v30, s11, v16
	v_lshlrev_b64_e32 v[11:12], 3, v[18:19]
	v_add_co_u32 v97, vcc_lo, s0, v14
	s_wait_alu 0xfffd
	v_add_co_ci_u32_e64 v98, null, s1, v15, vcc_lo
	v_ashrrev_i32_e32 v31, 31, v30
	s_delay_alu instid0(VALU_DEP_4) | instskip(SKIP_2) | instid1(VALU_DEP_3)
	v_add_co_u32 v99, vcc_lo, s0, v11
	s_wait_alu 0xfffd
	v_add_co_ci_u32_e64 v100, null, s1, v12, vcc_lo
	v_lshlrev_b64_e32 v[11:12], 3, v[30:31]
	v_add_nc_u32_e32 v30, s11, v30
	v_ashrrev_i32_e32 v17, 31, v16
	s_clause 0x4
	global_load_b64 v[1:2], v13, s[0:1]
	global_load_b64 v[3:4], v[35:36], off
	global_load_b64 v[5:6], v[37:38], off
	;; [unrolled: 1-line block ×4, first 2 shown]
	s_bitcmp0_b32 s4, 0
	v_add_nc_u32_e32 v107, s11, v30
	v_ashrrev_i32_e32 v31, 31, v30
	v_lshlrev_b64_e32 v[14:15], 3, v[16:17]
	s_delay_alu instid0(VALU_DEP_3) | instskip(NEXT) | instid1(VALU_DEP_3)
	v_add_nc_u32_e32 v109, s11, v107
	v_lshlrev_b64_e32 v[30:31], 3, v[30:31]
	v_ashrrev_i32_e32 v108, 31, v107
	s_delay_alu instid0(VALU_DEP_4)
	v_add_co_u32 v101, vcc_lo, s0, v14
	s_wait_alu 0xfffd
	v_add_co_ci_u32_e64 v102, null, s1, v15, vcc_lo
	v_add_co_u32 v103, vcc_lo, s0, v11
	v_add_nc_u32_e32 v111, s11, v109
	s_wait_alu 0xfffd
	v_add_co_ci_u32_e64 v104, null, s1, v12, vcc_lo
	v_add_co_u32 v105, vcc_lo, s0, v30
	s_wait_alu 0xfffd
	v_add_co_ci_u32_e64 v106, null, s1, v31, vcc_lo
	v_lshlrev_b64_e32 v[30:31], 3, v[107:108]
	v_ashrrev_i32_e32 v110, 31, v109
	v_add_nc_u32_e32 v113, s11, v111
	v_ashrrev_i32_e32 v112, 31, v111
	s_clause 0x13
	global_load_b64 v[11:12], v[43:44], off
	global_load_b64 v[14:15], v[45:46], off
	;; [unrolled: 1-line block ×20, first 2 shown]
	v_lshlrev_b64_e32 v[109:110], 3, v[109:110]
	v_add_co_u32 v107, vcc_lo, s0, v30
	v_ashrrev_i32_e32 v114, 31, v113
	s_wait_alu 0xfffd
	v_add_co_ci_u32_e64 v108, null, s1, v31, vcc_lo
	v_lshlrev_b64_e32 v[30:31], 3, v[111:112]
	v_add_nc_u32_e32 v116, s11, v113
	v_lshlrev_b64_e32 v[114:115], 3, v[113:114]
	v_add_co_u32 v109, vcc_lo, s0, v109
	s_wait_alu 0xfffd
	v_add_co_ci_u32_e64 v110, null, s1, v110, vcc_lo
	v_add_co_u32 v111, vcc_lo, s0, v30
	v_ashrrev_i32_e32 v117, 31, v116
	v_add_nc_u32_e32 v30, s11, v116
	s_wait_alu 0xfffd
	v_add_co_ci_u32_e64 v112, null, s1, v31, vcc_lo
	v_add_co_u32 v113, vcc_lo, s0, v114
	s_wait_alu 0xfffd
	v_add_co_ci_u32_e64 v114, null, s1, v115, vcc_lo
	v_lshlrev_b64_e32 v[115:116], 3, v[116:117]
	v_add_nc_u32_e32 v117, s11, v30
	v_ashrrev_i32_e32 v31, 31, v30
	s_clause 0xb
	global_load_b64 v[175:176], v[83:84], off
	global_load_b64 v[177:178], v[85:86], off
	;; [unrolled: 1-line block ×12, first 2 shown]
	v_add_nc_u32_e32 v119, s11, v117
	v_lshlrev_b64_e32 v[30:31], 3, v[30:31]
	v_ashrrev_i32_e32 v118, 31, v117
	v_add_co_u32 v115, vcc_lo, s0, v115
	s_delay_alu instid0(VALU_DEP_4)
	v_add_nc_u32_e32 v123, s11, v119
	v_ashrrev_i32_e32 v120, 31, v119
	s_wait_alu 0xfffd
	v_add_co_ci_u32_e64 v116, null, s1, v116, vcc_lo
	v_lshlrev_b64_e32 v[121:122], 3, v[117:118]
	v_add_co_u32 v117, vcc_lo, s0, v30
	v_add_nc_u32_e32 v125, s11, v123
	s_wait_alu 0xfffd
	v_add_co_ci_u32_e64 v118, null, s1, v31, vcc_lo
	v_lshlrev_b64_e32 v[30:31], 3, v[119:120]
	v_ashrrev_i32_e32 v124, 31, v123
	v_add_co_u32 v119, vcc_lo, s0, v121
	v_add_nc_u32_e32 v127, s11, v125
	s_wait_alu 0xfffd
	v_add_co_ci_u32_e64 v120, null, s1, v122, vcc_lo
	v_add_co_u32 v121, vcc_lo, s0, v30
	s_wait_alu 0xfffd
	v_add_co_ci_u32_e64 v122, null, s1, v31, vcc_lo
	v_lshlrev_b64_e32 v[30:31], 3, v[123:124]
	v_ashrrev_i32_e32 v126, 31, v125
	v_add_nc_u32_e32 v129, s11, v127
	v_ashrrev_i32_e32 v128, 31, v127
	s_clause 0x7
	global_load_b64 v[199:200], v[107:108], off
	global_load_b64 v[201:202], v[109:110], off
	;; [unrolled: 1-line block ×8, first 2 shown]
	v_lshlrev_b64_e32 v[125:126], 3, v[125:126]
	v_add_co_u32 v123, vcc_lo, s0, v30
	v_ashrrev_i32_e32 v130, 31, v129
	s_wait_alu 0xfffd
	v_add_co_ci_u32_e64 v124, null, s1, v31, vcc_lo
	v_lshlrev_b64_e32 v[30:31], 3, v[127:128]
	v_add_nc_u32_e32 v132, s11, v129
	v_lshlrev_b64_e32 v[130:131], 3, v[129:130]
	v_add_co_u32 v125, vcc_lo, s0, v125
	s_wait_alu 0xfffd
	v_add_co_ci_u32_e64 v126, null, s1, v126, vcc_lo
	v_add_co_u32 v127, vcc_lo, s0, v30
	v_ashrrev_i32_e32 v133, 31, v132
	v_add_nc_u32_e32 v30, s11, v132
	s_wait_alu 0xfffd
	v_add_co_ci_u32_e64 v128, null, s1, v31, vcc_lo
	v_add_co_u32 v129, vcc_lo, s0, v130
	s_wait_alu 0xfffd
	v_add_co_ci_u32_e64 v130, null, s1, v131, vcc_lo
	v_lshlrev_b64_e32 v[131:132], 3, v[132:133]
	v_add_nc_u32_e32 v133, s11, v30
	v_ashrrev_i32_e32 v31, 31, v30
	s_clause 0x3
	global_load_b64 v[215:216], v[123:124], off
	global_load_b64 v[217:218], v[125:126], off
	;; [unrolled: 1-line block ×4, first 2 shown]
	v_add_nc_u32_e32 v135, s11, v133
	v_lshlrev_b64_e32 v[30:31], 3, v[30:31]
	v_ashrrev_i32_e32 v134, 31, v133
	v_add_co_u32 v131, vcc_lo, s0, v131
	s_delay_alu instid0(VALU_DEP_4)
	v_add_nc_u32_e32 v139, s11, v135
	v_ashrrev_i32_e32 v136, 31, v135
	s_wait_alu 0xfffd
	v_add_co_ci_u32_e64 v132, null, s1, v132, vcc_lo
	v_lshlrev_b64_e32 v[137:138], 3, v[133:134]
	v_add_nc_u32_e32 v141, s11, v139
	v_add_co_u32 v133, vcc_lo, s0, v30
	s_wait_alu 0xfffd
	v_add_co_ci_u32_e64 v134, null, s1, v31, vcc_lo
	v_lshlrev_b64_e32 v[30:31], 3, v[135:136]
	v_add_nc_u32_e32 v143, s11, v141
	v_ashrrev_i32_e32 v140, 31, v139
	v_add_co_u32 v135, vcc_lo, s0, v137
	s_wait_alu 0xfffd
	v_add_co_ci_u32_e64 v136, null, s1, v138, vcc_lo
	v_add_co_u32 v137, vcc_lo, s0, v30
	v_add_nc_u32_e32 v145, s11, v143
	s_wait_alu 0xfffd
	v_add_co_ci_u32_e64 v138, null, s1, v31, vcc_lo
	v_lshlrev_b64_e32 v[30:31], 3, v[139:140]
	v_ashrrev_i32_e32 v142, 31, v141
	v_ashrrev_i32_e32 v144, 31, v143
	v_add_nc_u32_e32 v147, s11, v145
	v_ashrrev_i32_e32 v146, 31, v145
	s_clause 0x3
	global_load_b64 v[223:224], v[131:132], off
	global_load_b64 v[225:226], v[133:134], off
	;; [unrolled: 1-line block ×4, first 2 shown]
	v_lshlrev_b64_e32 v[141:142], 3, v[141:142]
	v_add_co_u32 v139, vcc_lo, s0, v30
	s_wait_alu 0xfffd
	v_add_co_ci_u32_e64 v140, null, s1, v31, vcc_lo
	v_lshlrev_b64_e32 v[30:31], 3, v[143:144]
	v_add_nc_u32_e32 v149, s11, v147
	v_ashrrev_i32_e32 v148, 31, v147
	v_add_co_u32 v141, vcc_lo, s0, v141
	s_wait_alu 0xfffd
	v_add_co_ci_u32_e64 v142, null, s1, v142, vcc_lo
	v_lshlrev_b64_e32 v[145:146], 3, v[145:146]
	v_add_co_u32 v143, vcc_lo, s0, v30
	v_add_nc_u32_e32 v151, s11, v149
	s_wait_alu 0xfffd
	v_add_co_ci_u32_e64 v144, null, s1, v31, vcc_lo
	v_lshlrev_b64_e32 v[30:31], 3, v[147:148]
	v_ashrrev_i32_e32 v150, 31, v149
	v_ashrrev_i32_e32 v152, 31, v151
	v_add_co_u32 v145, vcc_lo, s0, v145
	s_wait_alu 0xfffd
	v_add_co_ci_u32_e64 v146, null, s1, v146, vcc_lo
	v_lshlrev_b64_e32 v[149:150], 3, v[149:150]
	v_add_co_u32 v147, vcc_lo, s0, v30
	s_wait_alu 0xfffd
	v_add_co_ci_u32_e64 v148, null, s1, v31, vcc_lo
	v_lshlrev_b64_e32 v[30:31], 3, v[151:152]
	s_delay_alu instid0(VALU_DEP_4) | instskip(SKIP_2) | instid1(VALU_DEP_3)
	v_add_co_u32 v149, vcc_lo, s0, v149
	s_wait_alu 0xfffd
	v_add_co_ci_u32_e64 v150, null, s1, v150, vcc_lo
	v_add_co_u32 v151, vcc_lo, s0, v30
	s_wait_alu 0xfffd
	v_add_co_ci_u32_e64 v152, null, s1, v31, vcc_lo
	s_clause 0x6
	global_load_b64 v[231:232], v[139:140], off
	global_load_b64 v[233:234], v[141:142], off
	;; [unrolled: 1-line block ×7, first 2 shown]
	s_mov_b32 s1, -1
	s_wait_loadcnt 0x3a
	scratch_store_b128 off, v[1:4], off
	s_wait_loadcnt 0x38
	scratch_store_b128 off, v[5:8], off offset:16
	s_wait_loadcnt 0x36
	scratch_store_b128 off, v[9:12], off offset:32
	;; [unrolled: 2-line block ×29, first 2 shown]
	s_cbranch_scc1 .LBB59_252
; %bb.4:
	v_cmp_eq_u32_e64 s0, 0, v0
	s_and_saveexec_b32 s1, s0
; %bb.5:
	v_mov_b32_e32 v1, 0
	ds_store_b32 v1, v1 offset:960
; %bb.6:
	s_wait_alu 0xfffe
	s_or_b32 exec_lo, exec_lo, s1
	s_wait_storecnt_dscnt 0x0
	s_barrier_signal -1
	s_barrier_wait -1
	global_inv scope:SCOPE_SE
	scratch_load_b64 v[1:2], v13, off
	s_wait_loadcnt 0x0
	v_cmp_eq_f32_e32 vcc_lo, 0, v1
	v_cmp_eq_f32_e64 s1, 0, v2
	s_and_b32 s1, vcc_lo, s1
	s_wait_alu 0xfffe
	s_and_saveexec_b32 s4, s1
	s_cbranch_execz .LBB59_10
; %bb.7:
	v_mov_b32_e32 v1, 0
	s_mov_b32 s5, 0
	ds_load_b32 v2, v1 offset:960
	s_wait_dscnt 0x0
	v_readfirstlane_b32 s1, v2
	v_add_nc_u32_e32 v2, 1, v0
	s_cmp_eq_u32 s1, 0
	s_delay_alu instid0(VALU_DEP_1)
	v_cmp_gt_i32_e32 vcc_lo, s1, v2
	s_cselect_b32 s8, -1, 0
	s_wait_alu 0xfffe
	s_or_b32 s8, s8, vcc_lo
	s_wait_alu 0xfffe
	s_and_b32 exec_lo, exec_lo, s8
	s_cbranch_execz .LBB59_10
; %bb.8:
	v_mov_b32_e32 v3, s1
.LBB59_9:                               ; =>This Inner Loop Header: Depth=1
	ds_cmpstore_rtn_b32 v3, v1, v2, v3 offset:960
	s_wait_dscnt 0x0
	v_cmp_ne_u32_e32 vcc_lo, 0, v3
	v_cmp_le_i32_e64 s1, v3, v2
	s_and_b32 s1, vcc_lo, s1
	s_wait_alu 0xfffe
	s_and_b32 s1, exec_lo, s1
	s_wait_alu 0xfffe
	s_or_b32 s5, s1, s5
	s_wait_alu 0xfffe
	s_and_not1_b32 exec_lo, exec_lo, s5
	s_cbranch_execnz .LBB59_9
.LBB59_10:
	s_wait_alu 0xfffe
	s_or_b32 exec_lo, exec_lo, s4
	v_mov_b32_e32 v1, 0
	s_barrier_signal -1
	s_barrier_wait -1
	global_inv scope:SCOPE_SE
	ds_load_b32 v2, v1 offset:960
	s_and_saveexec_b32 s1, s0
	s_cbranch_execz .LBB59_12
; %bb.11:
	s_lshl_b64 s[4:5], s[16:17], 2
	s_wait_alu 0xfffe
	s_add_nc_u64 s[4:5], s[6:7], s[4:5]
	s_wait_dscnt 0x0
	global_store_b32 v1, v2, s[4:5]
.LBB59_12:
	s_wait_alu 0xfffe
	s_or_b32 exec_lo, exec_lo, s1
	s_wait_dscnt 0x0
	v_cmp_ne_u32_e32 vcc_lo, 0, v2
	s_mov_b32 s1, 0
	s_cbranch_vccnz .LBB59_252
; %bb.13:
	v_mov_b32_e32 v7, v13
                                        ; implicit-def: $vgpr3
                                        ; implicit-def: $vgpr5
	scratch_load_b64 v[1:2], v7, off
	s_wait_loadcnt 0x0
	v_cmp_ngt_f32_e64 s1, |v1|, |v2|
	s_wait_alu 0xfffe
	s_and_saveexec_b32 s4, s1
	s_wait_alu 0xfffe
	s_xor_b32 s1, exec_lo, s4
	s_cbranch_execz .LBB59_15
; %bb.14:
	v_div_scale_f32 v3, null, v2, v2, v1
	v_div_scale_f32 v6, vcc_lo, v1, v2, v1
	s_delay_alu instid0(VALU_DEP_2) | instskip(NEXT) | instid1(TRANS32_DEP_1)
	v_rcp_f32_e32 v4, v3
	v_fma_f32 v5, -v3, v4, 1.0
	s_delay_alu instid0(VALU_DEP_1) | instskip(NEXT) | instid1(VALU_DEP_1)
	v_fmac_f32_e32 v4, v5, v4
	v_mul_f32_e32 v5, v6, v4
	s_delay_alu instid0(VALU_DEP_1) | instskip(NEXT) | instid1(VALU_DEP_1)
	v_fma_f32 v8, -v3, v5, v6
	v_fmac_f32_e32 v5, v8, v4
	s_delay_alu instid0(VALU_DEP_1) | instskip(SKIP_1) | instid1(VALU_DEP_1)
	v_fma_f32 v3, -v3, v5, v6
	s_wait_alu 0xfffd
	v_div_fmas_f32 v3, v3, v4, v5
	s_delay_alu instid0(VALU_DEP_1) | instskip(NEXT) | instid1(VALU_DEP_1)
	v_div_fixup_f32 v3, v3, v2, v1
	v_fmac_f32_e32 v2, v1, v3
	s_delay_alu instid0(VALU_DEP_1) | instskip(NEXT) | instid1(VALU_DEP_1)
	v_div_scale_f32 v1, null, v2, v2, 1.0
	v_rcp_f32_e32 v4, v1
	s_delay_alu instid0(TRANS32_DEP_1) | instskip(NEXT) | instid1(VALU_DEP_1)
	v_fma_f32 v5, -v1, v4, 1.0
	v_fmac_f32_e32 v4, v5, v4
	v_div_scale_f32 v5, vcc_lo, 1.0, v2, 1.0
	s_delay_alu instid0(VALU_DEP_1) | instskip(NEXT) | instid1(VALU_DEP_1)
	v_mul_f32_e32 v6, v5, v4
	v_fma_f32 v8, -v1, v6, v5
	s_delay_alu instid0(VALU_DEP_1) | instskip(NEXT) | instid1(VALU_DEP_1)
	v_fmac_f32_e32 v6, v8, v4
	v_fma_f32 v1, -v1, v6, v5
	s_wait_alu 0xfffd
	s_delay_alu instid0(VALU_DEP_1) | instskip(NEXT) | instid1(VALU_DEP_1)
	v_div_fmas_f32 v1, v1, v4, v6
	v_div_fixup_f32 v1, v1, v2, 1.0
	s_delay_alu instid0(VALU_DEP_1) | instskip(SKIP_1) | instid1(VALU_DEP_2)
	v_mul_f32_e32 v3, v3, v1
	v_xor_b32_e32 v4, 0x80000000, v1
                                        ; implicit-def: $vgpr1_vgpr2
	v_xor_b32_e32 v5, 0x80000000, v3
.LBB59_15:
	s_wait_alu 0xfffe
	s_and_not1_saveexec_b32 s1, s1
	s_cbranch_execz .LBB59_17
; %bb.16:
	v_div_scale_f32 v3, null, v1, v1, v2
	v_div_scale_f32 v6, vcc_lo, v2, v1, v2
	s_delay_alu instid0(VALU_DEP_2) | instskip(NEXT) | instid1(TRANS32_DEP_1)
	v_rcp_f32_e32 v4, v3
	v_fma_f32 v5, -v3, v4, 1.0
	s_delay_alu instid0(VALU_DEP_1) | instskip(NEXT) | instid1(VALU_DEP_1)
	v_fmac_f32_e32 v4, v5, v4
	v_mul_f32_e32 v5, v6, v4
	s_delay_alu instid0(VALU_DEP_1) | instskip(NEXT) | instid1(VALU_DEP_1)
	v_fma_f32 v8, -v3, v5, v6
	v_fmac_f32_e32 v5, v8, v4
	s_delay_alu instid0(VALU_DEP_1) | instskip(SKIP_1) | instid1(VALU_DEP_1)
	v_fma_f32 v3, -v3, v5, v6
	s_wait_alu 0xfffd
	v_div_fmas_f32 v3, v3, v4, v5
	s_delay_alu instid0(VALU_DEP_1) | instskip(NEXT) | instid1(VALU_DEP_1)
	v_div_fixup_f32 v4, v3, v1, v2
	v_fmac_f32_e32 v1, v2, v4
	s_delay_alu instid0(VALU_DEP_1) | instskip(SKIP_1) | instid1(VALU_DEP_2)
	v_div_scale_f32 v2, null, v1, v1, 1.0
	v_div_scale_f32 v6, vcc_lo, 1.0, v1, 1.0
	v_rcp_f32_e32 v3, v2
	s_delay_alu instid0(TRANS32_DEP_1) | instskip(NEXT) | instid1(VALU_DEP_1)
	v_fma_f32 v5, -v2, v3, 1.0
	v_fmac_f32_e32 v3, v5, v3
	s_delay_alu instid0(VALU_DEP_1) | instskip(NEXT) | instid1(VALU_DEP_1)
	v_mul_f32_e32 v5, v6, v3
	v_fma_f32 v8, -v2, v5, v6
	s_delay_alu instid0(VALU_DEP_1) | instskip(NEXT) | instid1(VALU_DEP_1)
	v_fmac_f32_e32 v5, v8, v3
	v_fma_f32 v2, -v2, v5, v6
	s_wait_alu 0xfffd
	s_delay_alu instid0(VALU_DEP_1) | instskip(NEXT) | instid1(VALU_DEP_1)
	v_div_fmas_f32 v2, v2, v3, v5
	v_div_fixup_f32 v3, v2, v1, 1.0
	s_delay_alu instid0(VALU_DEP_1)
	v_xor_b32_e32 v5, 0x80000000, v3
	v_mul_f32_e64 v4, v4, -v3
.LBB59_17:
	s_wait_alu 0xfffe
	s_or_b32 exec_lo, exec_lo, s1
	scratch_store_b64 v7, v[3:4], off
	scratch_load_b64 v[2:3], off, off offset:8
	v_xor_b32_e32 v6, 0x80000000, v4
	v_add_nc_u32_e32 v1, 0x1e0, v13
	s_wait_loadcnt 0x0
	ds_store_2addr_b64 v13, v[5:6], v[2:3] offset1:60
	s_wait_storecnt_dscnt 0x0
	s_barrier_signal -1
	s_barrier_wait -1
	global_inv scope:SCOPE_SE
	s_and_saveexec_b32 s1, s0
	s_cbranch_execz .LBB59_19
; %bb.18:
	scratch_load_b64 v[2:3], v7, off
	ds_load_b64 v[4:5], v1
	v_mov_b32_e32 v6, 0
	ds_load_b64 v[8:9], v6 offset:8
	s_wait_loadcnt_dscnt 0x1
	v_mul_f32_e32 v6, v4, v3
	v_mul_f32_e32 v3, v5, v3
	s_delay_alu instid0(VALU_DEP_2) | instskip(NEXT) | instid1(VALU_DEP_2)
	v_fmac_f32_e32 v6, v5, v2
	v_fma_f32 v2, v4, v2, -v3
	s_delay_alu instid0(VALU_DEP_2) | instskip(SKIP_1) | instid1(VALU_DEP_1)
	v_add_f32_e32 v4, 0, v6
	s_wait_dscnt 0x0
	v_dual_add_f32 v2, 0, v2 :: v_dual_mul_f32 v5, v4, v9
	s_delay_alu instid0(VALU_DEP_1) | instskip(NEXT) | instid1(VALU_DEP_1)
	v_mul_f32_e32 v3, v2, v9
	v_fmac_f32_e32 v3, v4, v8
	s_delay_alu instid0(VALU_DEP_3)
	v_fma_f32 v2, v2, v8, -v5
	scratch_store_b64 off, v[2:3], off offset:8
.LBB59_19:
	s_wait_alu 0xfffe
	s_or_b32 exec_lo, exec_lo, s1
	s_wait_loadcnt 0x0
	s_wait_storecnt 0x0
	s_barrier_signal -1
	s_barrier_wait -1
	global_inv scope:SCOPE_SE
	scratch_load_b64 v[2:3], off, off offset:16
	s_mov_b32 s1, exec_lo
	s_wait_loadcnt 0x0
	ds_store_b64 v1, v[2:3]
	s_wait_dscnt 0x0
	s_barrier_signal -1
	s_barrier_wait -1
	global_inv scope:SCOPE_SE
	v_cmpx_gt_u32_e32 2, v0
	s_cbranch_execz .LBB59_23
; %bb.20:
	scratch_load_b64 v[2:3], v7, off
	ds_load_b64 v[4:5], v1
	s_wait_loadcnt_dscnt 0x0
	v_mul_f32_e32 v6, v5, v3
	v_mul_f32_e32 v8, v4, v3
	s_delay_alu instid0(VALU_DEP_2) | instskip(NEXT) | instid1(VALU_DEP_1)
	v_fma_f32 v3, v4, v2, -v6
	v_dual_fmac_f32 v8, v5, v2 :: v_dual_add_f32 v3, 0, v3
	s_delay_alu instid0(VALU_DEP_1)
	v_add_f32_e32 v2, 0, v8
	s_and_saveexec_b32 s4, s0
	s_cbranch_execz .LBB59_22
; %bb.21:
	scratch_load_b64 v[4:5], off, off offset:8
	v_mov_b32_e32 v6, 0
	ds_load_b64 v[8:9], v6 offset:488
	s_wait_loadcnt_dscnt 0x0
	v_mul_f32_e32 v6, v8, v5
	v_mul_f32_e32 v5, v9, v5
	s_delay_alu instid0(VALU_DEP_2) | instskip(NEXT) | instid1(VALU_DEP_2)
	v_fmac_f32_e32 v6, v9, v4
	v_fma_f32 v4, v8, v4, -v5
	s_delay_alu instid0(VALU_DEP_1)
	v_dual_add_f32 v2, v2, v6 :: v_dual_add_f32 v3, v3, v4
.LBB59_22:
	s_wait_alu 0xfffe
	s_or_b32 exec_lo, exec_lo, s4
	v_mov_b32_e32 v4, 0
	ds_load_b64 v[4:5], v4 offset:16
	s_wait_dscnt 0x0
	v_mul_f32_e32 v8, v2, v5
	v_mul_f32_e32 v6, v3, v5
	s_delay_alu instid0(VALU_DEP_2) | instskip(NEXT) | instid1(VALU_DEP_2)
	v_fma_f32 v5, v3, v4, -v8
	v_fmac_f32_e32 v6, v2, v4
	scratch_store_b64 off, v[5:6], off offset:16
.LBB59_23:
	s_wait_alu 0xfffe
	s_or_b32 exec_lo, exec_lo, s1
	s_wait_loadcnt 0x0
	s_wait_storecnt 0x0
	s_barrier_signal -1
	s_barrier_wait -1
	global_inv scope:SCOPE_SE
	scratch_load_b64 v[3:4], off, off offset:24
	v_add_nc_u32_e32 v2, -1, v0
	s_mov_b32 s0, exec_lo
	s_wait_loadcnt 0x0
	ds_store_b64 v1, v[3:4]
	s_wait_dscnt 0x0
	s_barrier_signal -1
	s_barrier_wait -1
	global_inv scope:SCOPE_SE
	v_cmpx_gt_u32_e32 3, v0
	s_cbranch_execz .LBB59_27
; %bb.24:
	v_dual_mov_b32 v3, 0 :: v_dual_add_nc_u32 v4, -1, v0
	v_dual_mov_b32 v6, v13 :: v_dual_add_nc_u32 v5, 0x1e0, v13
	v_mov_b32_e32 v8, 0
	s_mov_b32 s1, 0
.LBB59_25:                              ; =>This Inner Loop Header: Depth=1
	scratch_load_b64 v[9:10], v6, off
	ds_load_b64 v[11:12], v5
	v_add_nc_u32_e32 v6, 8, v6
	s_wait_loadcnt_dscnt 0x0
	v_dual_mul_f32 v14, v12, v10 :: v_dual_add_nc_u32 v5, 8, v5
	v_mul_f32_e32 v10, v11, v10
	s_delay_alu instid0(VALU_DEP_2) | instskip(NEXT) | instid1(VALU_DEP_2)
	v_fma_f32 v11, v11, v9, -v14
	v_fmac_f32_e32 v10, v12, v9
	v_add_nc_u32_e32 v4, 1, v4
	s_delay_alu instid0(VALU_DEP_2) | instskip(NEXT) | instid1(VALU_DEP_2)
	v_dual_add_f32 v8, v8, v11 :: v_dual_add_f32 v3, v3, v10
	v_cmp_lt_u32_e32 vcc_lo, 1, v4
	s_wait_alu 0xfffe
	s_or_b32 s1, vcc_lo, s1
	s_wait_alu 0xfffe
	s_and_not1_b32 exec_lo, exec_lo, s1
	s_cbranch_execnz .LBB59_25
; %bb.26:
	s_or_b32 exec_lo, exec_lo, s1
	v_mov_b32_e32 v4, 0
	ds_load_b64 v[4:5], v4 offset:24
	s_wait_dscnt 0x0
	v_mul_f32_e32 v9, v3, v5
	v_mul_f32_e32 v6, v8, v5
	s_delay_alu instid0(VALU_DEP_2) | instskip(NEXT) | instid1(VALU_DEP_2)
	v_fma_f32 v5, v8, v4, -v9
	v_fmac_f32_e32 v6, v3, v4
	scratch_store_b64 off, v[5:6], off offset:24
.LBB59_27:
	s_wait_alu 0xfffe
	s_or_b32 exec_lo, exec_lo, s0
	s_wait_loadcnt 0x0
	s_wait_storecnt 0x0
	s_barrier_signal -1
	s_barrier_wait -1
	global_inv scope:SCOPE_SE
	scratch_load_b64 v[3:4], off, off offset:32
	s_mov_b32 s0, exec_lo
	s_wait_loadcnt 0x0
	ds_store_b64 v1, v[3:4]
	s_wait_dscnt 0x0
	s_barrier_signal -1
	s_barrier_wait -1
	global_inv scope:SCOPE_SE
	v_cmpx_gt_u32_e32 4, v0
	s_cbranch_execz .LBB59_31
; %bb.28:
	v_dual_mov_b32 v3, 0 :: v_dual_add_nc_u32 v4, -1, v0
	v_dual_mov_b32 v6, v13 :: v_dual_add_nc_u32 v5, 0x1e0, v13
	v_mov_b32_e32 v8, 0
	s_mov_b32 s1, 0
.LBB59_29:                              ; =>This Inner Loop Header: Depth=1
	scratch_load_b64 v[9:10], v6, off
	ds_load_b64 v[11:12], v5
	v_add_nc_u32_e32 v6, 8, v6
	s_wait_loadcnt_dscnt 0x0
	v_dual_mul_f32 v14, v12, v10 :: v_dual_add_nc_u32 v5, 8, v5
	v_mul_f32_e32 v10, v11, v10
	s_delay_alu instid0(VALU_DEP_2) | instskip(NEXT) | instid1(VALU_DEP_2)
	v_fma_f32 v11, v11, v9, -v14
	v_fmac_f32_e32 v10, v12, v9
	v_add_nc_u32_e32 v4, 1, v4
	s_delay_alu instid0(VALU_DEP_2) | instskip(NEXT) | instid1(VALU_DEP_2)
	v_dual_add_f32 v8, v8, v11 :: v_dual_add_f32 v3, v3, v10
	v_cmp_lt_u32_e32 vcc_lo, 2, v4
	s_wait_alu 0xfffe
	s_or_b32 s1, vcc_lo, s1
	s_wait_alu 0xfffe
	s_and_not1_b32 exec_lo, exec_lo, s1
	s_cbranch_execnz .LBB59_29
; %bb.30:
	s_or_b32 exec_lo, exec_lo, s1
	v_mov_b32_e32 v4, 0
	ds_load_b64 v[4:5], v4 offset:32
	s_wait_dscnt 0x0
	v_mul_f32_e32 v9, v3, v5
	v_mul_f32_e32 v6, v8, v5
	s_delay_alu instid0(VALU_DEP_2) | instskip(NEXT) | instid1(VALU_DEP_2)
	v_fma_f32 v5, v8, v4, -v9
	v_fmac_f32_e32 v6, v3, v4
	scratch_store_b64 off, v[5:6], off offset:32
.LBB59_31:
	s_wait_alu 0xfffe
	s_or_b32 exec_lo, exec_lo, s0
	s_wait_loadcnt 0x0
	s_wait_storecnt 0x0
	s_barrier_signal -1
	s_barrier_wait -1
	global_inv scope:SCOPE_SE
	scratch_load_b64 v[3:4], off, off offset:40
	s_mov_b32 s0, exec_lo
	s_wait_loadcnt 0x0
	ds_store_b64 v1, v[3:4]
	s_wait_dscnt 0x0
	s_barrier_signal -1
	s_barrier_wait -1
	global_inv scope:SCOPE_SE
	v_cmpx_gt_u32_e32 5, v0
	s_cbranch_execz .LBB59_35
; %bb.32:
	v_dual_mov_b32 v3, 0 :: v_dual_add_nc_u32 v4, -1, v0
	v_dual_mov_b32 v6, v13 :: v_dual_add_nc_u32 v5, 0x1e0, v13
	v_mov_b32_e32 v8, 0
	s_mov_b32 s1, 0
.LBB59_33:                              ; =>This Inner Loop Header: Depth=1
	scratch_load_b64 v[9:10], v6, off
	ds_load_b64 v[11:12], v5
	v_add_nc_u32_e32 v6, 8, v6
	s_wait_loadcnt_dscnt 0x0
	v_dual_mul_f32 v14, v12, v10 :: v_dual_add_nc_u32 v5, 8, v5
	v_mul_f32_e32 v10, v11, v10
	s_delay_alu instid0(VALU_DEP_2) | instskip(NEXT) | instid1(VALU_DEP_2)
	v_fma_f32 v11, v11, v9, -v14
	v_fmac_f32_e32 v10, v12, v9
	v_add_nc_u32_e32 v4, 1, v4
	s_delay_alu instid0(VALU_DEP_2) | instskip(NEXT) | instid1(VALU_DEP_2)
	v_dual_add_f32 v8, v8, v11 :: v_dual_add_f32 v3, v3, v10
	v_cmp_lt_u32_e32 vcc_lo, 3, v4
	s_wait_alu 0xfffe
	s_or_b32 s1, vcc_lo, s1
	s_wait_alu 0xfffe
	s_and_not1_b32 exec_lo, exec_lo, s1
	s_cbranch_execnz .LBB59_33
; %bb.34:
	s_or_b32 exec_lo, exec_lo, s1
	v_mov_b32_e32 v4, 0
	ds_load_b64 v[4:5], v4 offset:40
	s_wait_dscnt 0x0
	v_mul_f32_e32 v9, v3, v5
	v_mul_f32_e32 v6, v8, v5
	s_delay_alu instid0(VALU_DEP_2) | instskip(NEXT) | instid1(VALU_DEP_2)
	v_fma_f32 v5, v8, v4, -v9
	v_fmac_f32_e32 v6, v3, v4
	scratch_store_b64 off, v[5:6], off offset:40
.LBB59_35:
	s_wait_alu 0xfffe
	s_or_b32 exec_lo, exec_lo, s0
	s_wait_loadcnt 0x0
	s_wait_storecnt 0x0
	s_barrier_signal -1
	s_barrier_wait -1
	global_inv scope:SCOPE_SE
	scratch_load_b64 v[3:4], off, off offset:48
	s_mov_b32 s0, exec_lo
	s_wait_loadcnt 0x0
	ds_store_b64 v1, v[3:4]
	s_wait_dscnt 0x0
	s_barrier_signal -1
	s_barrier_wait -1
	global_inv scope:SCOPE_SE
	v_cmpx_gt_u32_e32 6, v0
	s_cbranch_execz .LBB59_39
; %bb.36:
	v_dual_mov_b32 v3, 0 :: v_dual_add_nc_u32 v4, -1, v0
	v_dual_mov_b32 v6, v13 :: v_dual_add_nc_u32 v5, 0x1e0, v13
	v_mov_b32_e32 v8, 0
	s_mov_b32 s1, 0
.LBB59_37:                              ; =>This Inner Loop Header: Depth=1
	scratch_load_b64 v[9:10], v6, off
	ds_load_b64 v[11:12], v5
	v_add_nc_u32_e32 v6, 8, v6
	s_wait_loadcnt_dscnt 0x0
	v_dual_mul_f32 v14, v12, v10 :: v_dual_add_nc_u32 v5, 8, v5
	v_mul_f32_e32 v10, v11, v10
	s_delay_alu instid0(VALU_DEP_2) | instskip(NEXT) | instid1(VALU_DEP_2)
	v_fma_f32 v11, v11, v9, -v14
	v_fmac_f32_e32 v10, v12, v9
	v_add_nc_u32_e32 v4, 1, v4
	s_delay_alu instid0(VALU_DEP_2) | instskip(NEXT) | instid1(VALU_DEP_2)
	v_dual_add_f32 v8, v8, v11 :: v_dual_add_f32 v3, v3, v10
	v_cmp_lt_u32_e32 vcc_lo, 4, v4
	s_wait_alu 0xfffe
	s_or_b32 s1, vcc_lo, s1
	s_wait_alu 0xfffe
	s_and_not1_b32 exec_lo, exec_lo, s1
	s_cbranch_execnz .LBB59_37
; %bb.38:
	s_or_b32 exec_lo, exec_lo, s1
	v_mov_b32_e32 v4, 0
	ds_load_b64 v[4:5], v4 offset:48
	s_wait_dscnt 0x0
	v_mul_f32_e32 v9, v3, v5
	v_mul_f32_e32 v6, v8, v5
	s_delay_alu instid0(VALU_DEP_2) | instskip(NEXT) | instid1(VALU_DEP_2)
	v_fma_f32 v5, v8, v4, -v9
	v_fmac_f32_e32 v6, v3, v4
	scratch_store_b64 off, v[5:6], off offset:48
.LBB59_39:
	s_wait_alu 0xfffe
	s_or_b32 exec_lo, exec_lo, s0
	s_wait_loadcnt 0x0
	s_wait_storecnt 0x0
	s_barrier_signal -1
	s_barrier_wait -1
	global_inv scope:SCOPE_SE
	scratch_load_b64 v[3:4], off, off offset:56
	s_mov_b32 s0, exec_lo
	s_wait_loadcnt 0x0
	ds_store_b64 v1, v[3:4]
	s_wait_dscnt 0x0
	s_barrier_signal -1
	s_barrier_wait -1
	global_inv scope:SCOPE_SE
	v_cmpx_gt_u32_e32 7, v0
	s_cbranch_execz .LBB59_43
; %bb.40:
	v_dual_mov_b32 v3, 0 :: v_dual_add_nc_u32 v4, -1, v0
	v_dual_mov_b32 v6, v13 :: v_dual_add_nc_u32 v5, 0x1e0, v13
	v_mov_b32_e32 v8, 0
	s_mov_b32 s1, 0
.LBB59_41:                              ; =>This Inner Loop Header: Depth=1
	scratch_load_b64 v[9:10], v6, off
	ds_load_b64 v[11:12], v5
	v_add_nc_u32_e32 v6, 8, v6
	s_wait_loadcnt_dscnt 0x0
	v_dual_mul_f32 v14, v12, v10 :: v_dual_add_nc_u32 v5, 8, v5
	v_mul_f32_e32 v10, v11, v10
	s_delay_alu instid0(VALU_DEP_2) | instskip(NEXT) | instid1(VALU_DEP_2)
	v_fma_f32 v11, v11, v9, -v14
	v_fmac_f32_e32 v10, v12, v9
	v_add_nc_u32_e32 v4, 1, v4
	s_delay_alu instid0(VALU_DEP_2) | instskip(NEXT) | instid1(VALU_DEP_2)
	v_dual_add_f32 v8, v8, v11 :: v_dual_add_f32 v3, v3, v10
	v_cmp_lt_u32_e32 vcc_lo, 5, v4
	s_wait_alu 0xfffe
	s_or_b32 s1, vcc_lo, s1
	s_wait_alu 0xfffe
	s_and_not1_b32 exec_lo, exec_lo, s1
	s_cbranch_execnz .LBB59_41
; %bb.42:
	s_or_b32 exec_lo, exec_lo, s1
	v_mov_b32_e32 v4, 0
	ds_load_b64 v[4:5], v4 offset:56
	s_wait_dscnt 0x0
	v_mul_f32_e32 v9, v3, v5
	v_mul_f32_e32 v6, v8, v5
	s_delay_alu instid0(VALU_DEP_2) | instskip(NEXT) | instid1(VALU_DEP_2)
	v_fma_f32 v5, v8, v4, -v9
	v_fmac_f32_e32 v6, v3, v4
	scratch_store_b64 off, v[5:6], off offset:56
.LBB59_43:
	s_wait_alu 0xfffe
	s_or_b32 exec_lo, exec_lo, s0
	s_wait_loadcnt 0x0
	s_wait_storecnt 0x0
	s_barrier_signal -1
	s_barrier_wait -1
	global_inv scope:SCOPE_SE
	scratch_load_b64 v[3:4], off, off offset:64
	s_mov_b32 s0, exec_lo
	s_wait_loadcnt 0x0
	ds_store_b64 v1, v[3:4]
	s_wait_dscnt 0x0
	s_barrier_signal -1
	s_barrier_wait -1
	global_inv scope:SCOPE_SE
	v_cmpx_gt_u32_e32 8, v0
	s_cbranch_execz .LBB59_47
; %bb.44:
	v_dual_mov_b32 v3, 0 :: v_dual_add_nc_u32 v4, -1, v0
	v_dual_mov_b32 v6, v13 :: v_dual_add_nc_u32 v5, 0x1e0, v13
	v_mov_b32_e32 v8, 0
	s_mov_b32 s1, 0
.LBB59_45:                              ; =>This Inner Loop Header: Depth=1
	scratch_load_b64 v[9:10], v6, off
	ds_load_b64 v[11:12], v5
	v_add_nc_u32_e32 v6, 8, v6
	s_wait_loadcnt_dscnt 0x0
	v_dual_mul_f32 v14, v12, v10 :: v_dual_add_nc_u32 v5, 8, v5
	v_mul_f32_e32 v10, v11, v10
	s_delay_alu instid0(VALU_DEP_2) | instskip(NEXT) | instid1(VALU_DEP_2)
	v_fma_f32 v11, v11, v9, -v14
	v_fmac_f32_e32 v10, v12, v9
	v_add_nc_u32_e32 v4, 1, v4
	s_delay_alu instid0(VALU_DEP_2) | instskip(NEXT) | instid1(VALU_DEP_2)
	v_dual_add_f32 v8, v8, v11 :: v_dual_add_f32 v3, v3, v10
	v_cmp_lt_u32_e32 vcc_lo, 6, v4
	s_wait_alu 0xfffe
	s_or_b32 s1, vcc_lo, s1
	s_wait_alu 0xfffe
	s_and_not1_b32 exec_lo, exec_lo, s1
	s_cbranch_execnz .LBB59_45
; %bb.46:
	s_or_b32 exec_lo, exec_lo, s1
	v_mov_b32_e32 v4, 0
	ds_load_b64 v[4:5], v4 offset:64
	s_wait_dscnt 0x0
	v_mul_f32_e32 v9, v3, v5
	v_mul_f32_e32 v6, v8, v5
	s_delay_alu instid0(VALU_DEP_2) | instskip(NEXT) | instid1(VALU_DEP_2)
	v_fma_f32 v5, v8, v4, -v9
	v_fmac_f32_e32 v6, v3, v4
	scratch_store_b64 off, v[5:6], off offset:64
.LBB59_47:
	s_wait_alu 0xfffe
	s_or_b32 exec_lo, exec_lo, s0
	s_wait_loadcnt 0x0
	s_wait_storecnt 0x0
	s_barrier_signal -1
	s_barrier_wait -1
	global_inv scope:SCOPE_SE
	scratch_load_b64 v[3:4], off, off offset:72
	s_mov_b32 s0, exec_lo
	s_wait_loadcnt 0x0
	ds_store_b64 v1, v[3:4]
	s_wait_dscnt 0x0
	s_barrier_signal -1
	s_barrier_wait -1
	global_inv scope:SCOPE_SE
	v_cmpx_gt_u32_e32 9, v0
	s_cbranch_execz .LBB59_51
; %bb.48:
	v_dual_mov_b32 v3, 0 :: v_dual_add_nc_u32 v4, -1, v0
	v_dual_mov_b32 v6, v13 :: v_dual_add_nc_u32 v5, 0x1e0, v13
	v_mov_b32_e32 v8, 0
	s_mov_b32 s1, 0
.LBB59_49:                              ; =>This Inner Loop Header: Depth=1
	scratch_load_b64 v[9:10], v6, off
	ds_load_b64 v[11:12], v5
	v_add_nc_u32_e32 v6, 8, v6
	s_wait_loadcnt_dscnt 0x0
	v_dual_mul_f32 v14, v12, v10 :: v_dual_add_nc_u32 v5, 8, v5
	v_mul_f32_e32 v10, v11, v10
	s_delay_alu instid0(VALU_DEP_2) | instskip(NEXT) | instid1(VALU_DEP_2)
	v_fma_f32 v11, v11, v9, -v14
	v_fmac_f32_e32 v10, v12, v9
	v_add_nc_u32_e32 v4, 1, v4
	s_delay_alu instid0(VALU_DEP_2) | instskip(NEXT) | instid1(VALU_DEP_2)
	v_dual_add_f32 v8, v8, v11 :: v_dual_add_f32 v3, v3, v10
	v_cmp_lt_u32_e32 vcc_lo, 7, v4
	s_wait_alu 0xfffe
	s_or_b32 s1, vcc_lo, s1
	s_wait_alu 0xfffe
	s_and_not1_b32 exec_lo, exec_lo, s1
	s_cbranch_execnz .LBB59_49
; %bb.50:
	s_or_b32 exec_lo, exec_lo, s1
	v_mov_b32_e32 v4, 0
	ds_load_b64 v[4:5], v4 offset:72
	s_wait_dscnt 0x0
	v_mul_f32_e32 v9, v3, v5
	v_mul_f32_e32 v6, v8, v5
	s_delay_alu instid0(VALU_DEP_2) | instskip(NEXT) | instid1(VALU_DEP_2)
	v_fma_f32 v5, v8, v4, -v9
	v_fmac_f32_e32 v6, v3, v4
	scratch_store_b64 off, v[5:6], off offset:72
.LBB59_51:
	s_wait_alu 0xfffe
	s_or_b32 exec_lo, exec_lo, s0
	s_wait_loadcnt 0x0
	s_wait_storecnt 0x0
	s_barrier_signal -1
	s_barrier_wait -1
	global_inv scope:SCOPE_SE
	scratch_load_b64 v[3:4], off, off offset:80
	s_mov_b32 s0, exec_lo
	s_wait_loadcnt 0x0
	ds_store_b64 v1, v[3:4]
	s_wait_dscnt 0x0
	s_barrier_signal -1
	s_barrier_wait -1
	global_inv scope:SCOPE_SE
	v_cmpx_gt_u32_e32 10, v0
	s_cbranch_execz .LBB59_55
; %bb.52:
	v_dual_mov_b32 v3, 0 :: v_dual_add_nc_u32 v4, -1, v0
	v_dual_mov_b32 v6, v13 :: v_dual_add_nc_u32 v5, 0x1e0, v13
	v_mov_b32_e32 v8, 0
	s_mov_b32 s1, 0
.LBB59_53:                              ; =>This Inner Loop Header: Depth=1
	scratch_load_b64 v[9:10], v6, off
	ds_load_b64 v[11:12], v5
	v_add_nc_u32_e32 v6, 8, v6
	s_wait_loadcnt_dscnt 0x0
	v_dual_mul_f32 v14, v12, v10 :: v_dual_add_nc_u32 v5, 8, v5
	v_mul_f32_e32 v10, v11, v10
	s_delay_alu instid0(VALU_DEP_2) | instskip(NEXT) | instid1(VALU_DEP_2)
	v_fma_f32 v11, v11, v9, -v14
	v_fmac_f32_e32 v10, v12, v9
	v_add_nc_u32_e32 v4, 1, v4
	s_delay_alu instid0(VALU_DEP_2) | instskip(NEXT) | instid1(VALU_DEP_2)
	v_dual_add_f32 v8, v8, v11 :: v_dual_add_f32 v3, v3, v10
	v_cmp_lt_u32_e32 vcc_lo, 8, v4
	s_wait_alu 0xfffe
	s_or_b32 s1, vcc_lo, s1
	s_wait_alu 0xfffe
	s_and_not1_b32 exec_lo, exec_lo, s1
	s_cbranch_execnz .LBB59_53
; %bb.54:
	s_or_b32 exec_lo, exec_lo, s1
	v_mov_b32_e32 v4, 0
	ds_load_b64 v[4:5], v4 offset:80
	s_wait_dscnt 0x0
	v_mul_f32_e32 v9, v3, v5
	v_mul_f32_e32 v6, v8, v5
	s_delay_alu instid0(VALU_DEP_2) | instskip(NEXT) | instid1(VALU_DEP_2)
	v_fma_f32 v5, v8, v4, -v9
	v_fmac_f32_e32 v6, v3, v4
	scratch_store_b64 off, v[5:6], off offset:80
.LBB59_55:
	s_wait_alu 0xfffe
	s_or_b32 exec_lo, exec_lo, s0
	s_wait_loadcnt 0x0
	s_wait_storecnt 0x0
	s_barrier_signal -1
	s_barrier_wait -1
	global_inv scope:SCOPE_SE
	scratch_load_b64 v[3:4], off, off offset:88
	s_mov_b32 s0, exec_lo
	s_wait_loadcnt 0x0
	ds_store_b64 v1, v[3:4]
	s_wait_dscnt 0x0
	s_barrier_signal -1
	s_barrier_wait -1
	global_inv scope:SCOPE_SE
	v_cmpx_gt_u32_e32 11, v0
	s_cbranch_execz .LBB59_59
; %bb.56:
	v_dual_mov_b32 v3, 0 :: v_dual_add_nc_u32 v4, -1, v0
	v_dual_mov_b32 v6, v13 :: v_dual_add_nc_u32 v5, 0x1e0, v13
	v_mov_b32_e32 v8, 0
	s_mov_b32 s1, 0
.LBB59_57:                              ; =>This Inner Loop Header: Depth=1
	scratch_load_b64 v[9:10], v6, off
	ds_load_b64 v[11:12], v5
	v_add_nc_u32_e32 v6, 8, v6
	s_wait_loadcnt_dscnt 0x0
	v_dual_mul_f32 v14, v12, v10 :: v_dual_add_nc_u32 v5, 8, v5
	v_mul_f32_e32 v10, v11, v10
	s_delay_alu instid0(VALU_DEP_2) | instskip(NEXT) | instid1(VALU_DEP_2)
	v_fma_f32 v11, v11, v9, -v14
	v_fmac_f32_e32 v10, v12, v9
	v_add_nc_u32_e32 v4, 1, v4
	s_delay_alu instid0(VALU_DEP_2) | instskip(NEXT) | instid1(VALU_DEP_2)
	v_dual_add_f32 v8, v8, v11 :: v_dual_add_f32 v3, v3, v10
	v_cmp_lt_u32_e32 vcc_lo, 9, v4
	s_wait_alu 0xfffe
	s_or_b32 s1, vcc_lo, s1
	s_wait_alu 0xfffe
	s_and_not1_b32 exec_lo, exec_lo, s1
	s_cbranch_execnz .LBB59_57
; %bb.58:
	s_or_b32 exec_lo, exec_lo, s1
	v_mov_b32_e32 v4, 0
	ds_load_b64 v[4:5], v4 offset:88
	s_wait_dscnt 0x0
	v_mul_f32_e32 v9, v3, v5
	v_mul_f32_e32 v6, v8, v5
	s_delay_alu instid0(VALU_DEP_2) | instskip(NEXT) | instid1(VALU_DEP_2)
	v_fma_f32 v5, v8, v4, -v9
	v_fmac_f32_e32 v6, v3, v4
	scratch_store_b64 off, v[5:6], off offset:88
.LBB59_59:
	s_wait_alu 0xfffe
	s_or_b32 exec_lo, exec_lo, s0
	s_wait_loadcnt 0x0
	s_wait_storecnt 0x0
	s_barrier_signal -1
	s_barrier_wait -1
	global_inv scope:SCOPE_SE
	scratch_load_b64 v[3:4], off, off offset:96
	s_mov_b32 s0, exec_lo
	s_wait_loadcnt 0x0
	ds_store_b64 v1, v[3:4]
	s_wait_dscnt 0x0
	s_barrier_signal -1
	s_barrier_wait -1
	global_inv scope:SCOPE_SE
	v_cmpx_gt_u32_e32 12, v0
	s_cbranch_execz .LBB59_63
; %bb.60:
	v_dual_mov_b32 v3, 0 :: v_dual_add_nc_u32 v4, -1, v0
	v_dual_mov_b32 v6, v13 :: v_dual_add_nc_u32 v5, 0x1e0, v13
	v_mov_b32_e32 v8, 0
	s_mov_b32 s1, 0
.LBB59_61:                              ; =>This Inner Loop Header: Depth=1
	scratch_load_b64 v[9:10], v6, off
	ds_load_b64 v[11:12], v5
	v_add_nc_u32_e32 v6, 8, v6
	s_wait_loadcnt_dscnt 0x0
	v_dual_mul_f32 v14, v12, v10 :: v_dual_add_nc_u32 v5, 8, v5
	v_mul_f32_e32 v10, v11, v10
	s_delay_alu instid0(VALU_DEP_2) | instskip(NEXT) | instid1(VALU_DEP_2)
	v_fma_f32 v11, v11, v9, -v14
	v_fmac_f32_e32 v10, v12, v9
	v_add_nc_u32_e32 v4, 1, v4
	s_delay_alu instid0(VALU_DEP_2) | instskip(NEXT) | instid1(VALU_DEP_2)
	v_dual_add_f32 v8, v8, v11 :: v_dual_add_f32 v3, v3, v10
	v_cmp_lt_u32_e32 vcc_lo, 10, v4
	s_wait_alu 0xfffe
	s_or_b32 s1, vcc_lo, s1
	s_wait_alu 0xfffe
	s_and_not1_b32 exec_lo, exec_lo, s1
	s_cbranch_execnz .LBB59_61
; %bb.62:
	s_or_b32 exec_lo, exec_lo, s1
	v_mov_b32_e32 v4, 0
	ds_load_b64 v[4:5], v4 offset:96
	s_wait_dscnt 0x0
	v_mul_f32_e32 v9, v3, v5
	v_mul_f32_e32 v6, v8, v5
	s_delay_alu instid0(VALU_DEP_2) | instskip(NEXT) | instid1(VALU_DEP_2)
	v_fma_f32 v5, v8, v4, -v9
	v_fmac_f32_e32 v6, v3, v4
	scratch_store_b64 off, v[5:6], off offset:96
.LBB59_63:
	s_wait_alu 0xfffe
	s_or_b32 exec_lo, exec_lo, s0
	s_wait_loadcnt 0x0
	s_wait_storecnt 0x0
	s_barrier_signal -1
	s_barrier_wait -1
	global_inv scope:SCOPE_SE
	scratch_load_b64 v[3:4], off, off offset:104
	s_mov_b32 s0, exec_lo
	s_wait_loadcnt 0x0
	ds_store_b64 v1, v[3:4]
	s_wait_dscnt 0x0
	s_barrier_signal -1
	s_barrier_wait -1
	global_inv scope:SCOPE_SE
	v_cmpx_gt_u32_e32 13, v0
	s_cbranch_execz .LBB59_67
; %bb.64:
	v_dual_mov_b32 v3, 0 :: v_dual_add_nc_u32 v4, -1, v0
	v_dual_mov_b32 v6, v13 :: v_dual_add_nc_u32 v5, 0x1e0, v13
	v_mov_b32_e32 v8, 0
	s_mov_b32 s1, 0
.LBB59_65:                              ; =>This Inner Loop Header: Depth=1
	scratch_load_b64 v[9:10], v6, off
	ds_load_b64 v[11:12], v5
	v_add_nc_u32_e32 v6, 8, v6
	s_wait_loadcnt_dscnt 0x0
	v_dual_mul_f32 v14, v12, v10 :: v_dual_add_nc_u32 v5, 8, v5
	v_mul_f32_e32 v10, v11, v10
	s_delay_alu instid0(VALU_DEP_2) | instskip(NEXT) | instid1(VALU_DEP_2)
	v_fma_f32 v11, v11, v9, -v14
	v_fmac_f32_e32 v10, v12, v9
	v_add_nc_u32_e32 v4, 1, v4
	s_delay_alu instid0(VALU_DEP_2) | instskip(NEXT) | instid1(VALU_DEP_2)
	v_dual_add_f32 v8, v8, v11 :: v_dual_add_f32 v3, v3, v10
	v_cmp_lt_u32_e32 vcc_lo, 11, v4
	s_wait_alu 0xfffe
	s_or_b32 s1, vcc_lo, s1
	s_wait_alu 0xfffe
	s_and_not1_b32 exec_lo, exec_lo, s1
	s_cbranch_execnz .LBB59_65
; %bb.66:
	s_or_b32 exec_lo, exec_lo, s1
	v_mov_b32_e32 v4, 0
	ds_load_b64 v[4:5], v4 offset:104
	s_wait_dscnt 0x0
	v_mul_f32_e32 v9, v3, v5
	v_mul_f32_e32 v6, v8, v5
	s_delay_alu instid0(VALU_DEP_2) | instskip(NEXT) | instid1(VALU_DEP_2)
	v_fma_f32 v5, v8, v4, -v9
	v_fmac_f32_e32 v6, v3, v4
	scratch_store_b64 off, v[5:6], off offset:104
.LBB59_67:
	s_wait_alu 0xfffe
	s_or_b32 exec_lo, exec_lo, s0
	s_wait_loadcnt 0x0
	s_wait_storecnt 0x0
	s_barrier_signal -1
	s_barrier_wait -1
	global_inv scope:SCOPE_SE
	scratch_load_b64 v[3:4], off, off offset:112
	s_mov_b32 s0, exec_lo
	s_wait_loadcnt 0x0
	ds_store_b64 v1, v[3:4]
	s_wait_dscnt 0x0
	s_barrier_signal -1
	s_barrier_wait -1
	global_inv scope:SCOPE_SE
	v_cmpx_gt_u32_e32 14, v0
	s_cbranch_execz .LBB59_71
; %bb.68:
	v_dual_mov_b32 v3, 0 :: v_dual_add_nc_u32 v4, -1, v0
	v_dual_mov_b32 v6, v13 :: v_dual_add_nc_u32 v5, 0x1e0, v13
	v_mov_b32_e32 v8, 0
	s_mov_b32 s1, 0
.LBB59_69:                              ; =>This Inner Loop Header: Depth=1
	scratch_load_b64 v[9:10], v6, off
	ds_load_b64 v[11:12], v5
	v_add_nc_u32_e32 v6, 8, v6
	s_wait_loadcnt_dscnt 0x0
	v_dual_mul_f32 v14, v12, v10 :: v_dual_add_nc_u32 v5, 8, v5
	v_mul_f32_e32 v10, v11, v10
	s_delay_alu instid0(VALU_DEP_2) | instskip(NEXT) | instid1(VALU_DEP_2)
	v_fma_f32 v11, v11, v9, -v14
	v_fmac_f32_e32 v10, v12, v9
	v_add_nc_u32_e32 v4, 1, v4
	s_delay_alu instid0(VALU_DEP_2) | instskip(NEXT) | instid1(VALU_DEP_2)
	v_dual_add_f32 v8, v8, v11 :: v_dual_add_f32 v3, v3, v10
	v_cmp_lt_u32_e32 vcc_lo, 12, v4
	s_wait_alu 0xfffe
	s_or_b32 s1, vcc_lo, s1
	s_wait_alu 0xfffe
	s_and_not1_b32 exec_lo, exec_lo, s1
	s_cbranch_execnz .LBB59_69
; %bb.70:
	s_or_b32 exec_lo, exec_lo, s1
	v_mov_b32_e32 v4, 0
	ds_load_b64 v[4:5], v4 offset:112
	s_wait_dscnt 0x0
	v_mul_f32_e32 v9, v3, v5
	v_mul_f32_e32 v6, v8, v5
	s_delay_alu instid0(VALU_DEP_2) | instskip(NEXT) | instid1(VALU_DEP_2)
	v_fma_f32 v5, v8, v4, -v9
	v_fmac_f32_e32 v6, v3, v4
	scratch_store_b64 off, v[5:6], off offset:112
.LBB59_71:
	s_wait_alu 0xfffe
	s_or_b32 exec_lo, exec_lo, s0
	s_wait_loadcnt 0x0
	s_wait_storecnt 0x0
	s_barrier_signal -1
	s_barrier_wait -1
	global_inv scope:SCOPE_SE
	scratch_load_b64 v[3:4], off, off offset:120
	s_mov_b32 s0, exec_lo
	s_wait_loadcnt 0x0
	ds_store_b64 v1, v[3:4]
	s_wait_dscnt 0x0
	s_barrier_signal -1
	s_barrier_wait -1
	global_inv scope:SCOPE_SE
	v_cmpx_gt_u32_e32 15, v0
	s_cbranch_execz .LBB59_75
; %bb.72:
	v_dual_mov_b32 v3, 0 :: v_dual_add_nc_u32 v4, -1, v0
	v_dual_mov_b32 v6, v13 :: v_dual_add_nc_u32 v5, 0x1e0, v13
	v_mov_b32_e32 v8, 0
	s_mov_b32 s1, 0
.LBB59_73:                              ; =>This Inner Loop Header: Depth=1
	scratch_load_b64 v[9:10], v6, off
	ds_load_b64 v[11:12], v5
	v_add_nc_u32_e32 v6, 8, v6
	s_wait_loadcnt_dscnt 0x0
	v_dual_mul_f32 v14, v12, v10 :: v_dual_add_nc_u32 v5, 8, v5
	v_mul_f32_e32 v10, v11, v10
	s_delay_alu instid0(VALU_DEP_2) | instskip(NEXT) | instid1(VALU_DEP_2)
	v_fma_f32 v11, v11, v9, -v14
	v_fmac_f32_e32 v10, v12, v9
	v_add_nc_u32_e32 v4, 1, v4
	s_delay_alu instid0(VALU_DEP_2) | instskip(NEXT) | instid1(VALU_DEP_2)
	v_dual_add_f32 v8, v8, v11 :: v_dual_add_f32 v3, v3, v10
	v_cmp_lt_u32_e32 vcc_lo, 13, v4
	s_wait_alu 0xfffe
	s_or_b32 s1, vcc_lo, s1
	s_wait_alu 0xfffe
	s_and_not1_b32 exec_lo, exec_lo, s1
	s_cbranch_execnz .LBB59_73
; %bb.74:
	s_or_b32 exec_lo, exec_lo, s1
	v_mov_b32_e32 v4, 0
	ds_load_b64 v[4:5], v4 offset:120
	s_wait_dscnt 0x0
	v_mul_f32_e32 v9, v3, v5
	v_mul_f32_e32 v6, v8, v5
	s_delay_alu instid0(VALU_DEP_2) | instskip(NEXT) | instid1(VALU_DEP_2)
	v_fma_f32 v5, v8, v4, -v9
	v_fmac_f32_e32 v6, v3, v4
	scratch_store_b64 off, v[5:6], off offset:120
.LBB59_75:
	s_wait_alu 0xfffe
	s_or_b32 exec_lo, exec_lo, s0
	s_wait_loadcnt 0x0
	s_wait_storecnt 0x0
	s_barrier_signal -1
	s_barrier_wait -1
	global_inv scope:SCOPE_SE
	scratch_load_b64 v[3:4], off, off offset:128
	s_mov_b32 s0, exec_lo
	s_wait_loadcnt 0x0
	ds_store_b64 v1, v[3:4]
	s_wait_dscnt 0x0
	s_barrier_signal -1
	s_barrier_wait -1
	global_inv scope:SCOPE_SE
	v_cmpx_gt_u32_e32 16, v0
	s_cbranch_execz .LBB59_79
; %bb.76:
	v_dual_mov_b32 v3, 0 :: v_dual_add_nc_u32 v4, -1, v0
	v_dual_mov_b32 v6, v13 :: v_dual_add_nc_u32 v5, 0x1e0, v13
	v_mov_b32_e32 v8, 0
	s_mov_b32 s1, 0
.LBB59_77:                              ; =>This Inner Loop Header: Depth=1
	scratch_load_b64 v[9:10], v6, off
	ds_load_b64 v[11:12], v5
	v_add_nc_u32_e32 v6, 8, v6
	s_wait_loadcnt_dscnt 0x0
	v_dual_mul_f32 v14, v12, v10 :: v_dual_add_nc_u32 v5, 8, v5
	v_mul_f32_e32 v10, v11, v10
	s_delay_alu instid0(VALU_DEP_2) | instskip(NEXT) | instid1(VALU_DEP_2)
	v_fma_f32 v11, v11, v9, -v14
	v_fmac_f32_e32 v10, v12, v9
	v_add_nc_u32_e32 v4, 1, v4
	s_delay_alu instid0(VALU_DEP_2) | instskip(NEXT) | instid1(VALU_DEP_2)
	v_dual_add_f32 v8, v8, v11 :: v_dual_add_f32 v3, v3, v10
	v_cmp_lt_u32_e32 vcc_lo, 14, v4
	s_wait_alu 0xfffe
	s_or_b32 s1, vcc_lo, s1
	s_wait_alu 0xfffe
	s_and_not1_b32 exec_lo, exec_lo, s1
	s_cbranch_execnz .LBB59_77
; %bb.78:
	s_or_b32 exec_lo, exec_lo, s1
	v_mov_b32_e32 v4, 0
	ds_load_b64 v[4:5], v4 offset:128
	s_wait_dscnt 0x0
	v_mul_f32_e32 v9, v3, v5
	v_mul_f32_e32 v6, v8, v5
	s_delay_alu instid0(VALU_DEP_2) | instskip(NEXT) | instid1(VALU_DEP_2)
	v_fma_f32 v5, v8, v4, -v9
	v_fmac_f32_e32 v6, v3, v4
	scratch_store_b64 off, v[5:6], off offset:128
.LBB59_79:
	s_wait_alu 0xfffe
	s_or_b32 exec_lo, exec_lo, s0
	s_wait_loadcnt 0x0
	s_wait_storecnt 0x0
	s_barrier_signal -1
	s_barrier_wait -1
	global_inv scope:SCOPE_SE
	scratch_load_b64 v[3:4], off, off offset:136
	s_mov_b32 s0, exec_lo
	s_wait_loadcnt 0x0
	ds_store_b64 v1, v[3:4]
	s_wait_dscnt 0x0
	s_barrier_signal -1
	s_barrier_wait -1
	global_inv scope:SCOPE_SE
	v_cmpx_gt_u32_e32 17, v0
	s_cbranch_execz .LBB59_83
; %bb.80:
	v_dual_mov_b32 v3, 0 :: v_dual_add_nc_u32 v4, -1, v0
	v_dual_mov_b32 v6, v13 :: v_dual_add_nc_u32 v5, 0x1e0, v13
	v_mov_b32_e32 v8, 0
	s_mov_b32 s1, 0
.LBB59_81:                              ; =>This Inner Loop Header: Depth=1
	scratch_load_b64 v[9:10], v6, off
	ds_load_b64 v[11:12], v5
	v_add_nc_u32_e32 v6, 8, v6
	s_wait_loadcnt_dscnt 0x0
	v_dual_mul_f32 v14, v12, v10 :: v_dual_add_nc_u32 v5, 8, v5
	v_mul_f32_e32 v10, v11, v10
	s_delay_alu instid0(VALU_DEP_2) | instskip(NEXT) | instid1(VALU_DEP_2)
	v_fma_f32 v11, v11, v9, -v14
	v_fmac_f32_e32 v10, v12, v9
	v_add_nc_u32_e32 v4, 1, v4
	s_delay_alu instid0(VALU_DEP_2) | instskip(NEXT) | instid1(VALU_DEP_2)
	v_dual_add_f32 v8, v8, v11 :: v_dual_add_f32 v3, v3, v10
	v_cmp_lt_u32_e32 vcc_lo, 15, v4
	s_wait_alu 0xfffe
	s_or_b32 s1, vcc_lo, s1
	s_wait_alu 0xfffe
	s_and_not1_b32 exec_lo, exec_lo, s1
	s_cbranch_execnz .LBB59_81
; %bb.82:
	s_or_b32 exec_lo, exec_lo, s1
	v_mov_b32_e32 v4, 0
	ds_load_b64 v[4:5], v4 offset:136
	s_wait_dscnt 0x0
	v_mul_f32_e32 v9, v3, v5
	v_mul_f32_e32 v6, v8, v5
	s_delay_alu instid0(VALU_DEP_2) | instskip(NEXT) | instid1(VALU_DEP_2)
	v_fma_f32 v5, v8, v4, -v9
	v_fmac_f32_e32 v6, v3, v4
	scratch_store_b64 off, v[5:6], off offset:136
.LBB59_83:
	s_wait_alu 0xfffe
	s_or_b32 exec_lo, exec_lo, s0
	s_wait_loadcnt 0x0
	s_wait_storecnt 0x0
	s_barrier_signal -1
	s_barrier_wait -1
	global_inv scope:SCOPE_SE
	scratch_load_b64 v[3:4], off, off offset:144
	s_mov_b32 s0, exec_lo
	s_wait_loadcnt 0x0
	ds_store_b64 v1, v[3:4]
	s_wait_dscnt 0x0
	s_barrier_signal -1
	s_barrier_wait -1
	global_inv scope:SCOPE_SE
	v_cmpx_gt_u32_e32 18, v0
	s_cbranch_execz .LBB59_87
; %bb.84:
	v_dual_mov_b32 v3, 0 :: v_dual_add_nc_u32 v4, -1, v0
	v_dual_mov_b32 v6, v13 :: v_dual_add_nc_u32 v5, 0x1e0, v13
	v_mov_b32_e32 v8, 0
	s_mov_b32 s1, 0
.LBB59_85:                              ; =>This Inner Loop Header: Depth=1
	scratch_load_b64 v[9:10], v6, off
	ds_load_b64 v[11:12], v5
	v_add_nc_u32_e32 v6, 8, v6
	s_wait_loadcnt_dscnt 0x0
	v_dual_mul_f32 v14, v12, v10 :: v_dual_add_nc_u32 v5, 8, v5
	v_mul_f32_e32 v10, v11, v10
	s_delay_alu instid0(VALU_DEP_2) | instskip(NEXT) | instid1(VALU_DEP_2)
	v_fma_f32 v11, v11, v9, -v14
	v_fmac_f32_e32 v10, v12, v9
	v_add_nc_u32_e32 v4, 1, v4
	s_delay_alu instid0(VALU_DEP_2) | instskip(NEXT) | instid1(VALU_DEP_2)
	v_dual_add_f32 v8, v8, v11 :: v_dual_add_f32 v3, v3, v10
	v_cmp_lt_u32_e32 vcc_lo, 16, v4
	s_wait_alu 0xfffe
	s_or_b32 s1, vcc_lo, s1
	s_wait_alu 0xfffe
	s_and_not1_b32 exec_lo, exec_lo, s1
	s_cbranch_execnz .LBB59_85
; %bb.86:
	s_or_b32 exec_lo, exec_lo, s1
	v_mov_b32_e32 v4, 0
	ds_load_b64 v[4:5], v4 offset:144
	s_wait_dscnt 0x0
	v_mul_f32_e32 v9, v3, v5
	v_mul_f32_e32 v6, v8, v5
	s_delay_alu instid0(VALU_DEP_2) | instskip(NEXT) | instid1(VALU_DEP_2)
	v_fma_f32 v5, v8, v4, -v9
	v_fmac_f32_e32 v6, v3, v4
	scratch_store_b64 off, v[5:6], off offset:144
.LBB59_87:
	s_wait_alu 0xfffe
	s_or_b32 exec_lo, exec_lo, s0
	s_wait_loadcnt 0x0
	s_wait_storecnt 0x0
	s_barrier_signal -1
	s_barrier_wait -1
	global_inv scope:SCOPE_SE
	scratch_load_b64 v[3:4], off, off offset:152
	s_mov_b32 s0, exec_lo
	s_wait_loadcnt 0x0
	ds_store_b64 v1, v[3:4]
	s_wait_dscnt 0x0
	s_barrier_signal -1
	s_barrier_wait -1
	global_inv scope:SCOPE_SE
	v_cmpx_gt_u32_e32 19, v0
	s_cbranch_execz .LBB59_91
; %bb.88:
	v_dual_mov_b32 v3, 0 :: v_dual_add_nc_u32 v4, -1, v0
	v_dual_mov_b32 v6, v13 :: v_dual_add_nc_u32 v5, 0x1e0, v13
	v_mov_b32_e32 v8, 0
	s_mov_b32 s1, 0
.LBB59_89:                              ; =>This Inner Loop Header: Depth=1
	scratch_load_b64 v[9:10], v6, off
	ds_load_b64 v[11:12], v5
	v_add_nc_u32_e32 v6, 8, v6
	s_wait_loadcnt_dscnt 0x0
	v_dual_mul_f32 v14, v12, v10 :: v_dual_add_nc_u32 v5, 8, v5
	v_mul_f32_e32 v10, v11, v10
	s_delay_alu instid0(VALU_DEP_2) | instskip(NEXT) | instid1(VALU_DEP_2)
	v_fma_f32 v11, v11, v9, -v14
	v_fmac_f32_e32 v10, v12, v9
	v_add_nc_u32_e32 v4, 1, v4
	s_delay_alu instid0(VALU_DEP_2) | instskip(NEXT) | instid1(VALU_DEP_2)
	v_dual_add_f32 v8, v8, v11 :: v_dual_add_f32 v3, v3, v10
	v_cmp_lt_u32_e32 vcc_lo, 17, v4
	s_wait_alu 0xfffe
	s_or_b32 s1, vcc_lo, s1
	s_wait_alu 0xfffe
	s_and_not1_b32 exec_lo, exec_lo, s1
	s_cbranch_execnz .LBB59_89
; %bb.90:
	s_or_b32 exec_lo, exec_lo, s1
	v_mov_b32_e32 v4, 0
	ds_load_b64 v[4:5], v4 offset:152
	s_wait_dscnt 0x0
	v_mul_f32_e32 v9, v3, v5
	v_mul_f32_e32 v6, v8, v5
	s_delay_alu instid0(VALU_DEP_2) | instskip(NEXT) | instid1(VALU_DEP_2)
	v_fma_f32 v5, v8, v4, -v9
	v_fmac_f32_e32 v6, v3, v4
	scratch_store_b64 off, v[5:6], off offset:152
.LBB59_91:
	s_wait_alu 0xfffe
	s_or_b32 exec_lo, exec_lo, s0
	s_wait_loadcnt 0x0
	s_wait_storecnt 0x0
	s_barrier_signal -1
	s_barrier_wait -1
	global_inv scope:SCOPE_SE
	scratch_load_b64 v[3:4], off, off offset:160
	s_mov_b32 s0, exec_lo
	s_wait_loadcnt 0x0
	ds_store_b64 v1, v[3:4]
	s_wait_dscnt 0x0
	s_barrier_signal -1
	s_barrier_wait -1
	global_inv scope:SCOPE_SE
	v_cmpx_gt_u32_e32 20, v0
	s_cbranch_execz .LBB59_95
; %bb.92:
	v_dual_mov_b32 v3, 0 :: v_dual_add_nc_u32 v4, -1, v0
	v_dual_mov_b32 v6, v13 :: v_dual_add_nc_u32 v5, 0x1e0, v13
	v_mov_b32_e32 v8, 0
	s_mov_b32 s1, 0
.LBB59_93:                              ; =>This Inner Loop Header: Depth=1
	scratch_load_b64 v[9:10], v6, off
	ds_load_b64 v[11:12], v5
	v_add_nc_u32_e32 v6, 8, v6
	s_wait_loadcnt_dscnt 0x0
	v_dual_mul_f32 v14, v12, v10 :: v_dual_add_nc_u32 v5, 8, v5
	v_mul_f32_e32 v10, v11, v10
	s_delay_alu instid0(VALU_DEP_2) | instskip(NEXT) | instid1(VALU_DEP_2)
	v_fma_f32 v11, v11, v9, -v14
	v_fmac_f32_e32 v10, v12, v9
	v_add_nc_u32_e32 v4, 1, v4
	s_delay_alu instid0(VALU_DEP_2) | instskip(NEXT) | instid1(VALU_DEP_2)
	v_dual_add_f32 v8, v8, v11 :: v_dual_add_f32 v3, v3, v10
	v_cmp_lt_u32_e32 vcc_lo, 18, v4
	s_wait_alu 0xfffe
	s_or_b32 s1, vcc_lo, s1
	s_wait_alu 0xfffe
	s_and_not1_b32 exec_lo, exec_lo, s1
	s_cbranch_execnz .LBB59_93
; %bb.94:
	s_or_b32 exec_lo, exec_lo, s1
	v_mov_b32_e32 v4, 0
	ds_load_b64 v[4:5], v4 offset:160
	s_wait_dscnt 0x0
	v_mul_f32_e32 v9, v3, v5
	v_mul_f32_e32 v6, v8, v5
	s_delay_alu instid0(VALU_DEP_2) | instskip(NEXT) | instid1(VALU_DEP_2)
	v_fma_f32 v5, v8, v4, -v9
	v_fmac_f32_e32 v6, v3, v4
	scratch_store_b64 off, v[5:6], off offset:160
.LBB59_95:
	s_wait_alu 0xfffe
	s_or_b32 exec_lo, exec_lo, s0
	s_wait_loadcnt 0x0
	s_wait_storecnt 0x0
	s_barrier_signal -1
	s_barrier_wait -1
	global_inv scope:SCOPE_SE
	scratch_load_b64 v[3:4], off, off offset:168
	s_mov_b32 s0, exec_lo
	s_wait_loadcnt 0x0
	ds_store_b64 v1, v[3:4]
	s_wait_dscnt 0x0
	s_barrier_signal -1
	s_barrier_wait -1
	global_inv scope:SCOPE_SE
	v_cmpx_gt_u32_e32 21, v0
	s_cbranch_execz .LBB59_99
; %bb.96:
	v_dual_mov_b32 v3, 0 :: v_dual_add_nc_u32 v4, -1, v0
	v_dual_mov_b32 v6, v13 :: v_dual_add_nc_u32 v5, 0x1e0, v13
	v_mov_b32_e32 v8, 0
	s_mov_b32 s1, 0
.LBB59_97:                              ; =>This Inner Loop Header: Depth=1
	scratch_load_b64 v[9:10], v6, off
	ds_load_b64 v[11:12], v5
	v_add_nc_u32_e32 v6, 8, v6
	s_wait_loadcnt_dscnt 0x0
	v_dual_mul_f32 v14, v12, v10 :: v_dual_add_nc_u32 v5, 8, v5
	v_mul_f32_e32 v10, v11, v10
	s_delay_alu instid0(VALU_DEP_2) | instskip(NEXT) | instid1(VALU_DEP_2)
	v_fma_f32 v11, v11, v9, -v14
	v_fmac_f32_e32 v10, v12, v9
	v_add_nc_u32_e32 v4, 1, v4
	s_delay_alu instid0(VALU_DEP_2) | instskip(NEXT) | instid1(VALU_DEP_2)
	v_dual_add_f32 v8, v8, v11 :: v_dual_add_f32 v3, v3, v10
	v_cmp_lt_u32_e32 vcc_lo, 19, v4
	s_wait_alu 0xfffe
	s_or_b32 s1, vcc_lo, s1
	s_wait_alu 0xfffe
	s_and_not1_b32 exec_lo, exec_lo, s1
	s_cbranch_execnz .LBB59_97
; %bb.98:
	s_or_b32 exec_lo, exec_lo, s1
	v_mov_b32_e32 v4, 0
	ds_load_b64 v[4:5], v4 offset:168
	s_wait_dscnt 0x0
	v_mul_f32_e32 v9, v3, v5
	v_mul_f32_e32 v6, v8, v5
	s_delay_alu instid0(VALU_DEP_2) | instskip(NEXT) | instid1(VALU_DEP_2)
	v_fma_f32 v5, v8, v4, -v9
	v_fmac_f32_e32 v6, v3, v4
	scratch_store_b64 off, v[5:6], off offset:168
.LBB59_99:
	s_wait_alu 0xfffe
	s_or_b32 exec_lo, exec_lo, s0
	s_wait_loadcnt 0x0
	s_wait_storecnt 0x0
	s_barrier_signal -1
	s_barrier_wait -1
	global_inv scope:SCOPE_SE
	scratch_load_b64 v[3:4], off, off offset:176
	s_mov_b32 s0, exec_lo
	s_wait_loadcnt 0x0
	ds_store_b64 v1, v[3:4]
	s_wait_dscnt 0x0
	s_barrier_signal -1
	s_barrier_wait -1
	global_inv scope:SCOPE_SE
	v_cmpx_gt_u32_e32 22, v0
	s_cbranch_execz .LBB59_103
; %bb.100:
	v_dual_mov_b32 v3, 0 :: v_dual_add_nc_u32 v4, -1, v0
	v_dual_mov_b32 v6, v13 :: v_dual_add_nc_u32 v5, 0x1e0, v13
	v_mov_b32_e32 v8, 0
	s_mov_b32 s1, 0
.LBB59_101:                             ; =>This Inner Loop Header: Depth=1
	scratch_load_b64 v[9:10], v6, off
	ds_load_b64 v[11:12], v5
	v_add_nc_u32_e32 v6, 8, v6
	s_wait_loadcnt_dscnt 0x0
	v_dual_mul_f32 v14, v12, v10 :: v_dual_add_nc_u32 v5, 8, v5
	v_mul_f32_e32 v10, v11, v10
	s_delay_alu instid0(VALU_DEP_2) | instskip(NEXT) | instid1(VALU_DEP_2)
	v_fma_f32 v11, v11, v9, -v14
	v_fmac_f32_e32 v10, v12, v9
	v_add_nc_u32_e32 v4, 1, v4
	s_delay_alu instid0(VALU_DEP_2) | instskip(NEXT) | instid1(VALU_DEP_2)
	v_dual_add_f32 v8, v8, v11 :: v_dual_add_f32 v3, v3, v10
	v_cmp_lt_u32_e32 vcc_lo, 20, v4
	s_wait_alu 0xfffe
	s_or_b32 s1, vcc_lo, s1
	s_wait_alu 0xfffe
	s_and_not1_b32 exec_lo, exec_lo, s1
	s_cbranch_execnz .LBB59_101
; %bb.102:
	s_or_b32 exec_lo, exec_lo, s1
	v_mov_b32_e32 v4, 0
	ds_load_b64 v[4:5], v4 offset:176
	s_wait_dscnt 0x0
	v_mul_f32_e32 v9, v3, v5
	v_mul_f32_e32 v6, v8, v5
	s_delay_alu instid0(VALU_DEP_2) | instskip(NEXT) | instid1(VALU_DEP_2)
	v_fma_f32 v5, v8, v4, -v9
	v_fmac_f32_e32 v6, v3, v4
	scratch_store_b64 off, v[5:6], off offset:176
.LBB59_103:
	s_wait_alu 0xfffe
	s_or_b32 exec_lo, exec_lo, s0
	s_wait_loadcnt 0x0
	s_wait_storecnt 0x0
	s_barrier_signal -1
	s_barrier_wait -1
	global_inv scope:SCOPE_SE
	scratch_load_b64 v[3:4], off, off offset:184
	s_mov_b32 s0, exec_lo
	s_wait_loadcnt 0x0
	ds_store_b64 v1, v[3:4]
	s_wait_dscnt 0x0
	s_barrier_signal -1
	s_barrier_wait -1
	global_inv scope:SCOPE_SE
	v_cmpx_gt_u32_e32 23, v0
	s_cbranch_execz .LBB59_107
; %bb.104:
	v_dual_mov_b32 v3, 0 :: v_dual_add_nc_u32 v4, -1, v0
	v_dual_mov_b32 v6, v13 :: v_dual_add_nc_u32 v5, 0x1e0, v13
	v_mov_b32_e32 v8, 0
	s_mov_b32 s1, 0
.LBB59_105:                             ; =>This Inner Loop Header: Depth=1
	scratch_load_b64 v[9:10], v6, off
	ds_load_b64 v[11:12], v5
	v_add_nc_u32_e32 v6, 8, v6
	s_wait_loadcnt_dscnt 0x0
	v_dual_mul_f32 v14, v12, v10 :: v_dual_add_nc_u32 v5, 8, v5
	v_mul_f32_e32 v10, v11, v10
	s_delay_alu instid0(VALU_DEP_2) | instskip(NEXT) | instid1(VALU_DEP_2)
	v_fma_f32 v11, v11, v9, -v14
	v_fmac_f32_e32 v10, v12, v9
	v_add_nc_u32_e32 v4, 1, v4
	s_delay_alu instid0(VALU_DEP_2) | instskip(NEXT) | instid1(VALU_DEP_2)
	v_dual_add_f32 v8, v8, v11 :: v_dual_add_f32 v3, v3, v10
	v_cmp_lt_u32_e32 vcc_lo, 21, v4
	s_wait_alu 0xfffe
	s_or_b32 s1, vcc_lo, s1
	s_wait_alu 0xfffe
	s_and_not1_b32 exec_lo, exec_lo, s1
	s_cbranch_execnz .LBB59_105
; %bb.106:
	s_or_b32 exec_lo, exec_lo, s1
	v_mov_b32_e32 v4, 0
	ds_load_b64 v[4:5], v4 offset:184
	s_wait_dscnt 0x0
	v_mul_f32_e32 v9, v3, v5
	v_mul_f32_e32 v6, v8, v5
	s_delay_alu instid0(VALU_DEP_2) | instskip(NEXT) | instid1(VALU_DEP_2)
	v_fma_f32 v5, v8, v4, -v9
	v_fmac_f32_e32 v6, v3, v4
	scratch_store_b64 off, v[5:6], off offset:184
.LBB59_107:
	s_wait_alu 0xfffe
	s_or_b32 exec_lo, exec_lo, s0
	s_wait_loadcnt 0x0
	s_wait_storecnt 0x0
	s_barrier_signal -1
	s_barrier_wait -1
	global_inv scope:SCOPE_SE
	scratch_load_b64 v[3:4], off, off offset:192
	;; [unrolled: 53-line block ×36, first 2 shown]
	s_mov_b32 s0, exec_lo
	s_wait_loadcnt 0x0
	ds_store_b64 v1, v[3:4]
	s_wait_dscnt 0x0
	s_barrier_signal -1
	s_barrier_wait -1
	global_inv scope:SCOPE_SE
	v_cmpx_gt_u32_e32 58, v0
	s_cbranch_execz .LBB59_247
; %bb.244:
	v_dual_mov_b32 v3, 0 :: v_dual_add_nc_u32 v4, -1, v0
	v_dual_mov_b32 v6, v13 :: v_dual_add_nc_u32 v5, 0x1e0, v13
	v_mov_b32_e32 v8, 0
	s_mov_b32 s1, 0
.LBB59_245:                             ; =>This Inner Loop Header: Depth=1
	scratch_load_b64 v[9:10], v6, off
	ds_load_b64 v[11:12], v5
	v_add_nc_u32_e32 v6, 8, v6
	v_add_nc_u32_e32 v4, 1, v4
	;; [unrolled: 1-line block ×3, first 2 shown]
	s_delay_alu instid0(VALU_DEP_2)
	v_cmp_lt_u32_e32 vcc_lo, 56, v4
	s_wait_alu 0xfffe
	s_or_b32 s1, vcc_lo, s1
	s_wait_loadcnt_dscnt 0x0
	v_mul_f32_e32 v13, v12, v10
	v_mul_f32_e32 v10, v11, v10
	s_delay_alu instid0(VALU_DEP_2) | instskip(NEXT) | instid1(VALU_DEP_2)
	v_fma_f32 v11, v11, v9, -v13
	v_fmac_f32_e32 v10, v12, v9
	s_delay_alu instid0(VALU_DEP_1)
	v_dual_add_f32 v8, v8, v11 :: v_dual_add_f32 v3, v3, v10
	s_wait_alu 0xfffe
	s_and_not1_b32 exec_lo, exec_lo, s1
	s_cbranch_execnz .LBB59_245
; %bb.246:
	s_or_b32 exec_lo, exec_lo, s1
	v_mov_b32_e32 v4, 0
	ds_load_b64 v[4:5], v4 offset:464
	s_wait_dscnt 0x0
	v_mul_f32_e32 v9, v3, v5
	v_mul_f32_e32 v6, v8, v5
	s_delay_alu instid0(VALU_DEP_2) | instskip(NEXT) | instid1(VALU_DEP_2)
	v_fma_f32 v5, v8, v4, -v9
	v_fmac_f32_e32 v6, v3, v4
	scratch_store_b64 off, v[5:6], off offset:464
.LBB59_247:
	s_wait_alu 0xfffe
	s_or_b32 exec_lo, exec_lo, s0
	s_wait_loadcnt 0x0
	s_wait_storecnt 0x0
	s_barrier_signal -1
	s_barrier_wait -1
	global_inv scope:SCOPE_SE
	scratch_load_b64 v[3:4], off, off offset:472
	s_mov_b32 s0, exec_lo
	s_wait_loadcnt 0x0
	ds_store_b64 v1, v[3:4]
	s_wait_dscnt 0x0
	s_barrier_signal -1
	s_barrier_wait -1
	global_inv scope:SCOPE_SE
	v_cmpx_ne_u32_e32 59, v0
	s_cbranch_execz .LBB59_251
; %bb.248:
	v_dual_mov_b32 v3, 0 :: v_dual_mov_b32 v4, 0
	s_mov_b32 s1, 0
.LBB59_249:                             ; =>This Inner Loop Header: Depth=1
	scratch_load_b64 v[5:6], v7, off
	ds_load_b64 v[8:9], v1
	v_add_nc_u32_e32 v2, 1, v2
	v_add_nc_u32_e32 v1, 8, v1
	;; [unrolled: 1-line block ×3, first 2 shown]
	s_delay_alu instid0(VALU_DEP_3)
	v_cmp_lt_u32_e32 vcc_lo, 57, v2
	s_wait_alu 0xfffe
	s_or_b32 s1, vcc_lo, s1
	s_wait_loadcnt_dscnt 0x0
	v_mul_f32_e32 v10, v9, v6
	v_mul_f32_e32 v6, v8, v6
	s_delay_alu instid0(VALU_DEP_2) | instskip(NEXT) | instid1(VALU_DEP_2)
	v_fma_f32 v8, v8, v5, -v10
	v_fmac_f32_e32 v6, v9, v5
	s_delay_alu instid0(VALU_DEP_1)
	v_dual_add_f32 v4, v4, v8 :: v_dual_add_f32 v3, v3, v6
	s_wait_alu 0xfffe
	s_and_not1_b32 exec_lo, exec_lo, s1
	s_cbranch_execnz .LBB59_249
; %bb.250:
	s_or_b32 exec_lo, exec_lo, s1
	v_mov_b32_e32 v1, 0
	ds_load_b64 v[1:2], v1 offset:472
	s_wait_dscnt 0x0
	v_mul_f32_e32 v6, v3, v2
	v_mul_f32_e32 v5, v4, v2
	s_delay_alu instid0(VALU_DEP_2) | instskip(NEXT) | instid1(VALU_DEP_2)
	v_fma_f32 v4, v4, v1, -v6
	v_fmac_f32_e32 v5, v3, v1
	scratch_store_b64 off, v[4:5], off offset:472
.LBB59_251:
	s_wait_alu 0xfffe
	s_or_b32 exec_lo, exec_lo, s0
	s_mov_b32 s1, -1
	s_wait_loadcnt 0x0
	s_wait_storecnt 0x0
	s_barrier_signal -1
	s_barrier_wait -1
	global_inv scope:SCOPE_SE
.LBB59_252:
	s_wait_alu 0xfffe
	s_and_b32 vcc_lo, exec_lo, s1
	s_wait_alu 0xfffe
	s_cbranch_vccz .LBB59_254
; %bb.253:
	v_mov_b32_e32 v1, 0
	s_lshl_b64 s[0:1], s[16:17], 2
	s_wait_alu 0xfffe
	s_add_nc_u64 s[0:1], s[6:7], s[0:1]
	global_load_b32 v1, v1, s[0:1]
	s_wait_loadcnt 0x0
	v_cmp_ne_u32_e32 vcc_lo, 0, v1
	s_cbranch_vccz .LBB59_255
.LBB59_254:
	s_nop 0
	s_sendmsg sendmsg(MSG_DEALLOC_VGPRS)
	s_endpgm
.LBB59_255:
	v_lshl_add_u32 v155, v0, 3, 0x1e0
	s_mov_b32 s0, exec_lo
	v_cmpx_eq_u32_e32 59, v0
	s_cbranch_execz .LBB59_257
; %bb.256:
	scratch_load_b64 v[1:2], off, off offset:464
	v_mov_b32_e32 v3, 0
	s_delay_alu instid0(VALU_DEP_1)
	v_mov_b32_e32 v4, v3
	scratch_store_b64 off, v[3:4], off offset:464
	s_wait_loadcnt 0x0
	ds_store_b64 v155, v[1:2]
.LBB59_257:
	s_wait_alu 0xfffe
	s_or_b32 exec_lo, exec_lo, s0
	s_wait_storecnt_dscnt 0x0
	s_barrier_signal -1
	s_barrier_wait -1
	global_inv scope:SCOPE_SE
	s_clause 0x1
	scratch_load_b64 v[2:3], off, off offset:472
	scratch_load_b64 v[4:5], off, off offset:464
	v_mov_b32_e32 v1, 0
	s_mov_b32 s0, exec_lo
	ds_load_b64 v[6:7], v1 offset:952
	s_wait_loadcnt_dscnt 0x100
	v_mul_f32_e32 v8, v7, v3
	v_mul_f32_e32 v3, v6, v3
	s_delay_alu instid0(VALU_DEP_2) | instskip(NEXT) | instid1(VALU_DEP_2)
	v_fma_f32 v6, v6, v2, -v8
	v_fmac_f32_e32 v3, v7, v2
	s_delay_alu instid0(VALU_DEP_1) | instskip(SKIP_1) | instid1(VALU_DEP_1)
	v_dual_add_f32 v2, 0, v6 :: v_dual_add_f32 v3, 0, v3
	s_wait_loadcnt 0x0
	v_dual_sub_f32 v2, v4, v2 :: v_dual_sub_f32 v3, v5, v3
	scratch_store_b64 off, v[2:3], off offset:464
	v_cmpx_lt_u32_e32 57, v0
	s_cbranch_execz .LBB59_259
; %bb.258:
	scratch_load_b64 v[3:4], off, off offset:456
	v_mov_b32_e32 v2, v1
	scratch_store_b64 off, v[1:2], off offset:456
	s_wait_loadcnt 0x0
	ds_store_b64 v155, v[3:4]
.LBB59_259:
	s_wait_alu 0xfffe
	s_or_b32 exec_lo, exec_lo, s0
	s_wait_storecnt_dscnt 0x0
	s_barrier_signal -1
	s_barrier_wait -1
	global_inv scope:SCOPE_SE
	s_clause 0x1
	scratch_load_b128 v[2:5], off, off offset:464
	scratch_load_b64 v[10:11], off, off offset:456
	ds_load_b128 v[6:9], v1 offset:944
	s_mov_b32 s0, exec_lo
	s_wait_loadcnt_dscnt 0x100
	v_dual_mul_f32 v1, v7, v3 :: v_dual_mul_f32 v12, v8, v5
	v_mul_f32_e32 v3, v6, v3
	s_delay_alu instid0(VALU_DEP_2) | instskip(NEXT) | instid1(VALU_DEP_2)
	v_fma_f32 v1, v6, v2, -v1
	v_dual_fmac_f32 v12, v9, v4 :: v_dual_fmac_f32 v3, v7, v2
	s_delay_alu instid0(VALU_DEP_2) | instskip(NEXT) | instid1(VALU_DEP_2)
	v_add_f32_e32 v1, 0, v1
	v_add_f32_e32 v3, 0, v3
	v_mul_f32_e32 v5, v9, v5
	s_delay_alu instid0(VALU_DEP_1) | instskip(NEXT) | instid1(VALU_DEP_1)
	v_fma_f32 v2, v8, v4, -v5
	v_dual_add_f32 v1, v1, v2 :: v_dual_add_f32 v2, v3, v12
	s_wait_loadcnt 0x0
	s_delay_alu instid0(VALU_DEP_1)
	v_dual_sub_f32 v1, v10, v1 :: v_dual_sub_f32 v2, v11, v2
	scratch_store_b64 off, v[1:2], off offset:456
	v_cmpx_lt_u32_e32 56, v0
	s_cbranch_execz .LBB59_261
; %bb.260:
	scratch_load_b64 v[1:2], off, off offset:448
	v_mov_b32_e32 v3, 0
	s_delay_alu instid0(VALU_DEP_1)
	v_mov_b32_e32 v4, v3
	scratch_store_b64 off, v[3:4], off offset:448
	s_wait_loadcnt 0x0
	ds_store_b64 v155, v[1:2]
.LBB59_261:
	s_wait_alu 0xfffe
	s_or_b32 exec_lo, exec_lo, s0
	s_wait_storecnt_dscnt 0x0
	s_barrier_signal -1
	s_barrier_wait -1
	global_inv scope:SCOPE_SE
	s_clause 0x2
	scratch_load_b128 v[2:5], off, off offset:456
	scratch_load_b64 v[10:11], off, off offset:472
	scratch_load_b64 v[12:13], off, off offset:448
	v_mov_b32_e32 v1, 0
	ds_load_2addr_b64 v[6:9], v1 offset0:117 offset1:118
	ds_load_b64 v[14:15], v1 offset:952
	s_mov_b32 s0, exec_lo
	s_wait_loadcnt_dscnt 0x201
	v_dual_mul_f32 v16, v7, v3 :: v_dual_mul_f32 v17, v8, v5
	s_wait_loadcnt_dscnt 0x100
	v_mul_f32_e32 v18, v14, v11
	v_mul_f32_e32 v3, v6, v3
	;; [unrolled: 1-line block ×3, first 2 shown]
	v_fma_f32 v6, v6, v2, -v16
	s_delay_alu instid0(VALU_DEP_4) | instskip(NEXT) | instid1(VALU_DEP_4)
	v_fmac_f32_e32 v18, v15, v10
	v_fmac_f32_e32 v3, v7, v2
	v_mul_f32_e32 v2, v15, v11
	s_delay_alu instid0(VALU_DEP_1) | instskip(SKIP_3) | instid1(VALU_DEP_1)
	v_fma_f32 v2, v14, v10, -v2
	v_fmac_f32_e32 v17, v9, v4
	v_fma_f32 v4, v8, v4, -v5
	v_add_f32_e32 v5, 0, v6
	v_add_f32_e32 v4, v5, v4
	s_delay_alu instid0(VALU_DEP_1) | instskip(SKIP_1) | instid1(VALU_DEP_1)
	v_dual_add_f32 v2, v4, v2 :: v_dual_add_f32 v3, 0, v3
	s_wait_loadcnt 0x0
	v_dual_sub_f32 v2, v12, v2 :: v_dual_add_f32 v3, v3, v17
	s_delay_alu instid0(VALU_DEP_1) | instskip(NEXT) | instid1(VALU_DEP_1)
	v_add_f32_e32 v3, v3, v18
	v_sub_f32_e32 v3, v13, v3
	scratch_store_b64 off, v[2:3], off offset:448
	v_cmpx_lt_u32_e32 55, v0
	s_cbranch_execz .LBB59_263
; %bb.262:
	scratch_load_b64 v[3:4], off, off offset:440
	v_mov_b32_e32 v2, v1
	scratch_store_b64 off, v[1:2], off offset:440
	s_wait_loadcnt 0x0
	ds_store_b64 v155, v[3:4]
.LBB59_263:
	s_wait_alu 0xfffe
	s_or_b32 exec_lo, exec_lo, s0
	s_wait_storecnt_dscnt 0x0
	s_barrier_signal -1
	s_barrier_wait -1
	global_inv scope:SCOPE_SE
	s_clause 0x2
	scratch_load_b128 v[2:5], off, off offset:448
	scratch_load_b128 v[6:9], off, off offset:464
	scratch_load_b64 v[18:19], off, off offset:440
	ds_load_b128 v[10:13], v1 offset:928
	ds_load_b128 v[14:17], v1 offset:944
	s_mov_b32 s0, exec_lo
	s_wait_loadcnt_dscnt 0x201
	v_dual_mul_f32 v1, v10, v3 :: v_dual_mul_f32 v20, v12, v5
	s_wait_loadcnt_dscnt 0x100
	v_dual_mul_f32 v3, v11, v3 :: v_dual_mul_f32 v22, v16, v9
	v_mul_f32_e32 v5, v13, v5
	s_delay_alu instid0(VALU_DEP_3) | instskip(NEXT) | instid1(VALU_DEP_3)
	v_dual_mul_f32 v21, v14, v7 :: v_dual_fmac_f32 v20, v13, v4
	v_fma_f32 v3, v10, v2, -v3
	s_delay_alu instid0(VALU_DEP_4) | instskip(SKIP_2) | instid1(VALU_DEP_4)
	v_dual_fmac_f32 v1, v11, v2 :: v_dual_fmac_f32 v22, v17, v8
	v_mul_f32_e32 v2, v15, v7
	v_fma_f32 v4, v12, v4, -v5
	v_add_f32_e32 v3, 0, v3
	v_fmac_f32_e32 v21, v15, v6
	s_delay_alu instid0(VALU_DEP_4) | instskip(NEXT) | instid1(VALU_DEP_3)
	v_fma_f32 v2, v14, v6, -v2
	v_add_f32_e32 v3, v3, v4
	s_delay_alu instid0(VALU_DEP_1) | instskip(NEXT) | instid1(VALU_DEP_1)
	v_dual_add_f32 v1, 0, v1 :: v_dual_add_f32 v2, v3, v2
	v_add_f32_e32 v1, v1, v20
	s_delay_alu instid0(VALU_DEP_1) | instskip(NEXT) | instid1(VALU_DEP_1)
	v_add_f32_e32 v1, v1, v21
	v_add_f32_e32 v3, v1, v22
	v_mul_f32_e32 v5, v17, v9
	s_delay_alu instid0(VALU_DEP_1) | instskip(NEXT) | instid1(VALU_DEP_1)
	v_fma_f32 v4, v16, v8, -v5
	v_add_f32_e32 v2, v2, v4
	s_wait_loadcnt 0x0
	s_delay_alu instid0(VALU_DEP_1)
	v_dual_sub_f32 v1, v18, v2 :: v_dual_sub_f32 v2, v19, v3
	scratch_store_b64 off, v[1:2], off offset:440
	v_cmpx_lt_u32_e32 54, v0
	s_cbranch_execz .LBB59_265
; %bb.264:
	scratch_load_b64 v[1:2], off, off offset:432
	v_mov_b32_e32 v3, 0
	s_delay_alu instid0(VALU_DEP_1)
	v_mov_b32_e32 v4, v3
	scratch_store_b64 off, v[3:4], off offset:432
	s_wait_loadcnt 0x0
	ds_store_b64 v155, v[1:2]
.LBB59_265:
	s_wait_alu 0xfffe
	s_or_b32 exec_lo, exec_lo, s0
	s_wait_storecnt_dscnt 0x0
	s_barrier_signal -1
	s_barrier_wait -1
	global_inv scope:SCOPE_SE
	s_clause 0x3
	scratch_load_b128 v[2:5], off, off offset:440
	scratch_load_b128 v[6:9], off, off offset:456
	scratch_load_b64 v[18:19], off, off offset:472
	scratch_load_b64 v[20:21], off, off offset:432
	v_mov_b32_e32 v1, 0
	ds_load_2addr_b64 v[10:13], v1 offset0:115 offset1:116
	ds_load_2addr_b64 v[14:17], v1 offset0:117 offset1:118
	ds_load_b64 v[22:23], v1 offset:952
	s_mov_b32 s0, exec_lo
	s_wait_loadcnt_dscnt 0x302
	v_dual_mul_f32 v24, v10, v3 :: v_dual_mul_f32 v25, v12, v5
	s_wait_loadcnt_dscnt 0x201
	v_dual_mul_f32 v26, v14, v7 :: v_dual_mul_f32 v5, v13, v5
	;; [unrolled: 2-line block ×3, first 2 shown]
	v_dual_fmac_f32 v24, v11, v2 :: v_dual_fmac_f32 v25, v13, v4
	s_delay_alu instid0(VALU_DEP_3) | instskip(SKIP_1) | instid1(VALU_DEP_3)
	v_fmac_f32_e32 v26, v15, v6
	v_fma_f32 v4, v12, v4, -v5
	v_dual_fmac_f32 v28, v23, v18 :: v_dual_add_f32 v5, 0, v24
	v_mul_f32_e32 v3, v11, v3
	s_delay_alu instid0(VALU_DEP_1) | instskip(SKIP_1) | instid1(VALU_DEP_2)
	v_fma_f32 v3, v10, v2, -v3
	v_dual_mul_f32 v2, v15, v7 :: v_dual_mul_f32 v7, v17, v9
	v_add_f32_e32 v3, 0, v3
	s_delay_alu instid0(VALU_DEP_2) | instskip(NEXT) | instid1(VALU_DEP_3)
	v_fma_f32 v2, v14, v6, -v2
	v_fma_f32 v6, v16, v8, -v7
	s_delay_alu instid0(VALU_DEP_3) | instskip(NEXT) | instid1(VALU_DEP_1)
	v_add_f32_e32 v3, v3, v4
	v_add_f32_e32 v2, v3, v2
	;; [unrolled: 1-line block ×3, first 2 shown]
	s_delay_alu instid0(VALU_DEP_2) | instskip(NEXT) | instid1(VALU_DEP_2)
	v_dual_add_f32 v2, v2, v6 :: v_dual_mul_f32 v5, v23, v19
	v_add_f32_e32 v3, v4, v26
	s_delay_alu instid0(VALU_DEP_2) | instskip(NEXT) | instid1(VALU_DEP_1)
	v_fma_f32 v4, v22, v18, -v5
	v_add_f32_e32 v2, v2, v4
	s_wait_loadcnt 0x0
	s_delay_alu instid0(VALU_DEP_1) | instskip(NEXT) | instid1(VALU_DEP_1)
	v_dual_fmac_f32 v27, v17, v8 :: v_dual_sub_f32 v2, v20, v2
	v_add_f32_e32 v3, v3, v27
	s_delay_alu instid0(VALU_DEP_1) | instskip(NEXT) | instid1(VALU_DEP_1)
	v_add_f32_e32 v3, v3, v28
	v_sub_f32_e32 v3, v21, v3
	scratch_store_b64 off, v[2:3], off offset:432
	v_cmpx_lt_u32_e32 53, v0
	s_cbranch_execz .LBB59_267
; %bb.266:
	scratch_load_b64 v[3:4], off, off offset:424
	v_mov_b32_e32 v2, v1
	scratch_store_b64 off, v[1:2], off offset:424
	s_wait_loadcnt 0x0
	ds_store_b64 v155, v[3:4]
.LBB59_267:
	s_wait_alu 0xfffe
	s_or_b32 exec_lo, exec_lo, s0
	s_wait_storecnt_dscnt 0x0
	s_barrier_signal -1
	s_barrier_wait -1
	global_inv scope:SCOPE_SE
	s_clause 0x3
	scratch_load_b128 v[2:5], off, off offset:432
	scratch_load_b128 v[6:9], off, off offset:448
	;; [unrolled: 1-line block ×3, first 2 shown]
	scratch_load_b64 v[26:27], off, off offset:424
	ds_load_b128 v[14:17], v1 offset:912
	ds_load_b128 v[18:21], v1 offset:928
	;; [unrolled: 1-line block ×3, first 2 shown]
	s_mov_b32 s0, exec_lo
	s_wait_loadcnt_dscnt 0x302
	v_dual_mul_f32 v1, v14, v3 :: v_dual_mul_f32 v28, v16, v5
	s_wait_loadcnt_dscnt 0x100
	v_dual_mul_f32 v3, v15, v3 :: v_dual_mul_f32 v32, v24, v13
	v_dual_mul_f32 v29, v18, v7 :: v_dual_mul_f32 v30, v20, v9
	v_mul_f32_e32 v5, v17, v5
	s_delay_alu instid0(VALU_DEP_3)
	v_fma_f32 v3, v14, v2, -v3
	v_fmac_f32_e32 v1, v15, v2
	v_mul_f32_e32 v2, v19, v7
	v_dual_mul_f32 v31, v22, v11 :: v_dual_fmac_f32 v28, v17, v4
	v_fma_f32 v4, v16, v4, -v5
	v_fmac_f32_e32 v30, v21, v8
	s_delay_alu instid0(VALU_DEP_4) | instskip(SKIP_4) | instid1(VALU_DEP_4)
	v_fma_f32 v2, v18, v6, -v2
	v_mul_f32_e32 v5, v21, v9
	v_add_f32_e32 v1, 0, v1
	v_dual_fmac_f32 v29, v19, v6 :: v_dual_fmac_f32 v32, v25, v12
	v_fmac_f32_e32 v31, v23, v10
	v_fma_f32 v5, v20, v8, -v5
	v_add_f32_e32 v3, 0, v3
	s_delay_alu instid0(VALU_DEP_1) | instskip(SKIP_1) | instid1(VALU_DEP_2)
	v_add_f32_e32 v3, v3, v4
	v_mul_f32_e32 v4, v23, v11
	v_add_f32_e32 v2, v3, v2
	s_delay_alu instid0(VALU_DEP_2) | instskip(NEXT) | instid1(VALU_DEP_2)
	v_fma_f32 v4, v22, v10, -v4
	v_add_f32_e32 v2, v2, v5
	s_delay_alu instid0(VALU_DEP_1) | instskip(NEXT) | instid1(VALU_DEP_1)
	v_dual_mul_f32 v3, v25, v13 :: v_dual_add_f32 v2, v2, v4
	v_fma_f32 v3, v24, v12, -v3
	s_delay_alu instid0(VALU_DEP_1) | instskip(NEXT) | instid1(VALU_DEP_1)
	v_dual_add_f32 v1, v1, v28 :: v_dual_add_f32 v2, v2, v3
	v_add_f32_e32 v1, v1, v29
	s_delay_alu instid0(VALU_DEP_1) | instskip(NEXT) | instid1(VALU_DEP_1)
	v_add_f32_e32 v1, v1, v30
	v_add_f32_e32 v1, v1, v31
	s_delay_alu instid0(VALU_DEP_1) | instskip(SKIP_1) | instid1(VALU_DEP_1)
	v_add_f32_e32 v3, v1, v32
	s_wait_loadcnt 0x0
	v_dual_sub_f32 v1, v26, v2 :: v_dual_sub_f32 v2, v27, v3
	scratch_store_b64 off, v[1:2], off offset:424
	v_cmpx_lt_u32_e32 52, v0
	s_cbranch_execz .LBB59_269
; %bb.268:
	scratch_load_b64 v[1:2], off, off offset:416
	v_mov_b32_e32 v3, 0
	s_delay_alu instid0(VALU_DEP_1)
	v_mov_b32_e32 v4, v3
	scratch_store_b64 off, v[3:4], off offset:416
	s_wait_loadcnt 0x0
	ds_store_b64 v155, v[1:2]
.LBB59_269:
	s_wait_alu 0xfffe
	s_or_b32 exec_lo, exec_lo, s0
	s_wait_storecnt_dscnt 0x0
	s_barrier_signal -1
	s_barrier_wait -1
	global_inv scope:SCOPE_SE
	s_clause 0x4
	scratch_load_b128 v[2:5], off, off offset:424
	scratch_load_b128 v[6:9], off, off offset:440
	;; [unrolled: 1-line block ×3, first 2 shown]
	scratch_load_b64 v[26:27], off, off offset:472
	scratch_load_b64 v[28:29], off, off offset:416
	v_mov_b32_e32 v1, 0
	ds_load_2addr_b64 v[14:17], v1 offset0:113 offset1:114
	ds_load_2addr_b64 v[18:21], v1 offset0:115 offset1:116
	;; [unrolled: 1-line block ×3, first 2 shown]
	ds_load_b64 v[30:31], v1 offset:952
	s_mov_b32 s0, exec_lo
	s_wait_loadcnt_dscnt 0x403
	v_mul_f32_e32 v32, v14, v3
	s_wait_loadcnt_dscnt 0x302
	v_dual_mul_f32 v156, v20, v9 :: v_dual_mul_f32 v3, v15, v3
	v_dual_mul_f32 v153, v16, v5 :: v_dual_mul_f32 v154, v18, v7
	s_wait_loadcnt_dscnt 0x100
	v_dual_mul_f32 v159, v30, v27 :: v_dual_fmac_f32 v32, v15, v2
	v_mul_f32_e32 v5, v17, v5
	v_fma_f32 v3, v14, v2, -v3
	v_dual_mul_f32 v2, v19, v7 :: v_dual_fmac_f32 v153, v17, v4
	v_fmac_f32_e32 v154, v19, v6
	s_delay_alu instid0(VALU_DEP_4) | instskip(SKIP_1) | instid1(VALU_DEP_4)
	v_fma_f32 v4, v16, v4, -v5
	v_dual_mul_f32 v157, v22, v11 :: v_dual_mul_f32 v158, v24, v13
	v_fma_f32 v2, v18, v6, -v2
	v_add_f32_e32 v5, 0, v32
	v_dual_add_f32 v3, 0, v3 :: v_dual_fmac_f32 v156, v21, v8
	s_delay_alu instid0(VALU_DEP_4) | instskip(NEXT) | instid1(VALU_DEP_2)
	v_dual_fmac_f32 v157, v23, v10 :: v_dual_fmac_f32 v158, v25, v12
	v_add_f32_e32 v3, v3, v4
	s_delay_alu instid0(VALU_DEP_1) | instskip(SKIP_1) | instid1(VALU_DEP_2)
	v_dual_add_f32 v2, v3, v2 :: v_dual_mul_f32 v7, v21, v9
	v_dual_add_f32 v4, v5, v153 :: v_dual_mul_f32 v5, v23, v11
	v_fma_f32 v6, v20, v8, -v7
	s_delay_alu instid0(VALU_DEP_2) | instskip(NEXT) | instid1(VALU_DEP_3)
	v_dual_add_f32 v3, v4, v154 :: v_dual_mul_f32 v4, v25, v13
	v_fma_f32 v5, v22, v10, -v5
	s_delay_alu instid0(VALU_DEP_3) | instskip(SKIP_1) | instid1(VALU_DEP_4)
	v_add_f32_e32 v2, v2, v6
	v_mul_f32_e32 v6, v31, v27
	v_add_f32_e32 v3, v3, v156
	v_fma_f32 v4, v24, v12, -v4
	s_delay_alu instid0(VALU_DEP_4) | instskip(NEXT) | instid1(VALU_DEP_4)
	v_add_f32_e32 v2, v2, v5
	v_fma_f32 v5, v30, v26, -v6
	s_delay_alu instid0(VALU_DEP_2) | instskip(SKIP_1) | instid1(VALU_DEP_2)
	v_dual_add_f32 v3, v3, v157 :: v_dual_add_f32 v2, v2, v4
	v_fmac_f32_e32 v159, v31, v26
	v_dual_add_f32 v3, v3, v158 :: v_dual_add_f32 v2, v2, v5
	s_wait_loadcnt 0x0
	s_delay_alu instid0(VALU_DEP_1) | instskip(NEXT) | instid1(VALU_DEP_1)
	v_dual_add_f32 v3, v3, v159 :: v_dual_sub_f32 v2, v28, v2
	v_sub_f32_e32 v3, v29, v3
	scratch_store_b64 off, v[2:3], off offset:416
	v_cmpx_lt_u32_e32 51, v0
	s_cbranch_execz .LBB59_271
; %bb.270:
	scratch_load_b64 v[3:4], off, off offset:408
	v_mov_b32_e32 v2, v1
	scratch_store_b64 off, v[1:2], off offset:408
	s_wait_loadcnt 0x0
	ds_store_b64 v155, v[3:4]
.LBB59_271:
	s_wait_alu 0xfffe
	s_or_b32 exec_lo, exec_lo, s0
	s_wait_storecnt_dscnt 0x0
	s_barrier_signal -1
	s_barrier_wait -1
	global_inv scope:SCOPE_SE
	s_clause 0x4
	scratch_load_b128 v[2:5], off, off offset:416
	scratch_load_b128 v[6:9], off, off offset:432
	;; [unrolled: 1-line block ×4, first 2 shown]
	scratch_load_b64 v[30:31], off, off offset:408
	ds_load_b128 v[18:21], v1 offset:896
	ds_load_b128 v[22:25], v1 offset:912
	;; [unrolled: 1-line block ×4, first 2 shown]
	s_mov_b32 s0, exec_lo
	s_wait_loadcnt_dscnt 0x403
	v_dual_mul_f32 v1, v18, v3 :: v_dual_mul_f32 v32, v20, v5
	v_mul_f32_e32 v3, v19, v3
	v_mul_f32_e32 v5, v21, v5
	s_wait_loadcnt_dscnt 0x302
	v_dual_mul_f32 v153, v22, v7 :: v_dual_mul_f32 v154, v24, v9
	v_fmac_f32_e32 v32, v21, v4
	v_fma_f32 v3, v18, v2, -v3
	s_wait_loadcnt_dscnt 0x201
	v_dual_mul_f32 v160, v26, v11 :: v_dual_mul_f32 v161, v28, v13
	s_wait_loadcnt_dscnt 0x100
	v_dual_mul_f32 v162, v156, v15 :: v_dual_mul_f32 v163, v158, v17
	v_dual_fmac_f32 v1, v19, v2 :: v_dual_fmac_f32 v154, v25, v8
	v_mul_f32_e32 v2, v23, v7
	v_fma_f32 v4, v20, v4, -v5
	v_dual_add_f32 v3, 0, v3 :: v_dual_fmac_f32 v160, v27, v10
	v_fmac_f32_e32 v162, v157, v14
	s_delay_alu instid0(VALU_DEP_4) | instskip(SKIP_1) | instid1(VALU_DEP_4)
	v_fma_f32 v2, v22, v6, -v2
	v_add_f32_e32 v1, 0, v1
	v_add_f32_e32 v3, v3, v4
	v_dual_mul_f32 v5, v25, v9 :: v_dual_mul_f32 v4, v27, v11
	v_fmac_f32_e32 v163, v159, v16
	s_delay_alu instid0(VALU_DEP_3) | instskip(NEXT) | instid1(VALU_DEP_3)
	v_dual_add_f32 v1, v1, v32 :: v_dual_add_f32 v2, v3, v2
	v_fma_f32 v5, v24, v8, -v5
	v_fmac_f32_e32 v153, v23, v6
	v_fma_f32 v4, v26, v10, -v4
	s_delay_alu instid0(VALU_DEP_3) | instskip(SKIP_1) | instid1(VALU_DEP_2)
	v_add_f32_e32 v2, v2, v5
	v_mul_f32_e32 v3, v29, v13
	v_dual_mul_f32 v5, v157, v15 :: v_dual_add_f32 v2, v2, v4
	s_delay_alu instid0(VALU_DEP_2) | instskip(SKIP_2) | instid1(VALU_DEP_4)
	v_fma_f32 v3, v28, v12, -v3
	v_mul_f32_e32 v4, v159, v17
	v_add_f32_e32 v1, v1, v153
	v_fma_f32 v5, v156, v14, -v5
	s_delay_alu instid0(VALU_DEP_4) | instskip(NEXT) | instid1(VALU_DEP_4)
	v_add_f32_e32 v2, v2, v3
	v_fma_f32 v3, v158, v16, -v4
	s_delay_alu instid0(VALU_DEP_2) | instskip(SKIP_1) | instid1(VALU_DEP_2)
	v_dual_add_f32 v1, v1, v154 :: v_dual_add_f32 v2, v2, v5
	v_fmac_f32_e32 v161, v29, v12
	v_dual_add_f32 v1, v1, v160 :: v_dual_add_f32 v2, v2, v3
	s_delay_alu instid0(VALU_DEP_1) | instskip(NEXT) | instid1(VALU_DEP_1)
	v_add_f32_e32 v1, v1, v161
	v_add_f32_e32 v1, v1, v162
	s_delay_alu instid0(VALU_DEP_1) | instskip(SKIP_1) | instid1(VALU_DEP_1)
	v_add_f32_e32 v3, v1, v163
	s_wait_loadcnt 0x0
	v_dual_sub_f32 v1, v30, v2 :: v_dual_sub_f32 v2, v31, v3
	scratch_store_b64 off, v[1:2], off offset:408
	v_cmpx_lt_u32_e32 50, v0
	s_cbranch_execz .LBB59_273
; %bb.272:
	scratch_load_b64 v[1:2], off, off offset:400
	v_mov_b32_e32 v3, 0
	s_delay_alu instid0(VALU_DEP_1)
	v_mov_b32_e32 v4, v3
	scratch_store_b64 off, v[3:4], off offset:400
	s_wait_loadcnt 0x0
	ds_store_b64 v155, v[1:2]
.LBB59_273:
	s_wait_alu 0xfffe
	s_or_b32 exec_lo, exec_lo, s0
	s_wait_storecnt_dscnt 0x0
	s_barrier_signal -1
	s_barrier_wait -1
	global_inv scope:SCOPE_SE
	s_clause 0x5
	scratch_load_b128 v[2:5], off, off offset:408
	scratch_load_b128 v[6:9], off, off offset:424
	;; [unrolled: 1-line block ×4, first 2 shown]
	scratch_load_b64 v[30:31], off, off offset:472
	scratch_load_b64 v[153:154], off, off offset:400
	v_mov_b32_e32 v1, 0
	ds_load_2addr_b64 v[18:21], v1 offset0:111 offset1:112
	ds_load_2addr_b64 v[22:25], v1 offset0:113 offset1:114
	;; [unrolled: 1-line block ×4, first 2 shown]
	ds_load_b64 v[160:161], v1 offset:952
	s_mov_b32 s0, exec_lo
	s_wait_loadcnt_dscnt 0x504
	v_mul_f32_e32 v32, v18, v3
	s_wait_loadcnt_dscnt 0x302
	v_dual_mul_f32 v3, v19, v3 :: v_dual_mul_f32 v166, v28, v13
	v_dual_mul_f32 v162, v20, v5 :: v_dual_mul_f32 v163, v22, v7
	v_mul_f32_e32 v5, v21, v5
	s_delay_alu instid0(VALU_DEP_3) | instskip(SKIP_3) | instid1(VALU_DEP_3)
	v_fma_f32 v3, v18, v2, -v3
	s_wait_loadcnt_dscnt 0x100
	v_dual_mul_f32 v169, v160, v31 :: v_dual_fmac_f32 v32, v19, v2
	v_mul_f32_e32 v2, v23, v7
	v_dual_fmac_f32 v162, v21, v4 :: v_dual_add_f32 v3, 0, v3
	v_fma_f32 v4, v20, v4, -v5
	v_dual_mul_f32 v164, v24, v9 :: v_dual_mul_f32 v165, v26, v11
	s_delay_alu instid0(VALU_DEP_4) | instskip(SKIP_1) | instid1(VALU_DEP_4)
	v_fma_f32 v2, v22, v6, -v2
	v_fmac_f32_e32 v163, v23, v6
	v_add_f32_e32 v3, v3, v4
	v_add_f32_e32 v5, 0, v32
	v_dual_fmac_f32 v164, v25, v8 :: v_dual_fmac_f32 v165, v27, v10
	v_dual_mul_f32 v167, v156, v15 :: v_dual_mul_f32 v168, v158, v17
	s_delay_alu instid0(VALU_DEP_4) | instskip(NEXT) | instid1(VALU_DEP_4)
	v_dual_add_f32 v2, v3, v2 :: v_dual_mul_f32 v7, v25, v9
	v_dual_add_f32 v4, v5, v162 :: v_dual_mul_f32 v5, v27, v11
	v_fmac_f32_e32 v166, v29, v12
	s_delay_alu instid0(VALU_DEP_4) | instskip(NEXT) | instid1(VALU_DEP_4)
	v_dual_fmac_f32 v167, v157, v14 :: v_dual_fmac_f32 v168, v159, v16
	v_fma_f32 v6, v24, v8, -v7
	s_delay_alu instid0(VALU_DEP_4) | instskip(SKIP_1) | instid1(VALU_DEP_2)
	v_dual_add_f32 v3, v4, v163 :: v_dual_mul_f32 v4, v29, v13
	v_fma_f32 v5, v26, v10, -v5
	v_dual_add_f32 v2, v2, v6 :: v_dual_add_f32 v3, v3, v164
	v_mul_f32_e32 v6, v157, v15
	s_delay_alu instid0(VALU_DEP_4) | instskip(NEXT) | instid1(VALU_DEP_3)
	v_fma_f32 v4, v28, v12, -v4
	v_add_f32_e32 v2, v2, v5
	s_delay_alu instid0(VALU_DEP_4) | instskip(SKIP_2) | instid1(VALU_DEP_4)
	v_add_f32_e32 v3, v3, v165
	v_mul_f32_e32 v5, v159, v17
	v_fma_f32 v6, v156, v14, -v6
	v_add_f32_e32 v2, v2, v4
	v_mul_f32_e32 v4, v161, v31
	s_delay_alu instid0(VALU_DEP_4) | instskip(NEXT) | instid1(VALU_DEP_3)
	v_fma_f32 v5, v158, v16, -v5
	v_add_f32_e32 v2, v2, v6
	v_add_f32_e32 v3, v3, v166
	s_delay_alu instid0(VALU_DEP_4) | instskip(NEXT) | instid1(VALU_DEP_2)
	v_fma_f32 v4, v160, v30, -v4
	v_dual_add_f32 v2, v2, v5 :: v_dual_add_f32 v3, v3, v167
	s_delay_alu instid0(VALU_DEP_1) | instskip(SKIP_1) | instid1(VALU_DEP_1)
	v_dual_fmac_f32 v169, v161, v30 :: v_dual_add_f32 v2, v2, v4
	s_wait_loadcnt 0x0
	v_dual_add_f32 v3, v3, v168 :: v_dual_sub_f32 v2, v153, v2
	s_delay_alu instid0(VALU_DEP_1) | instskip(NEXT) | instid1(VALU_DEP_1)
	v_add_f32_e32 v3, v3, v169
	v_sub_f32_e32 v3, v154, v3
	scratch_store_b64 off, v[2:3], off offset:400
	v_cmpx_lt_u32_e32 49, v0
	s_cbranch_execz .LBB59_275
; %bb.274:
	scratch_load_b64 v[3:4], off, off offset:392
	v_mov_b32_e32 v2, v1
	scratch_store_b64 off, v[1:2], off offset:392
	s_wait_loadcnt 0x0
	ds_store_b64 v155, v[3:4]
.LBB59_275:
	s_wait_alu 0xfffe
	s_or_b32 exec_lo, exec_lo, s0
	s_wait_storecnt_dscnt 0x0
	s_barrier_signal -1
	s_barrier_wait -1
	global_inv scope:SCOPE_SE
	s_clause 0x5
	scratch_load_b128 v[2:5], off, off offset:400
	scratch_load_b128 v[6:9], off, off offset:416
	;; [unrolled: 1-line block ×5, first 2 shown]
	scratch_load_b64 v[30:31], off, off offset:392
	ds_load_b128 v[22:25], v1 offset:880
	ds_load_b128 v[26:29], v1 offset:896
	;; [unrolled: 1-line block ×5, first 2 shown]
	s_mov_b32 s0, exec_lo
	s_wait_loadcnt_dscnt 0x504
	v_dual_mul_f32 v1, v22, v3 :: v_dual_mul_f32 v32, v24, v5
	v_mul_f32_e32 v3, v23, v3
	v_mul_f32_e32 v5, v25, v5
	s_wait_loadcnt_dscnt 0x403
	v_dual_mul_f32 v153, v26, v7 :: v_dual_mul_f32 v154, v28, v9
	v_fmac_f32_e32 v32, v25, v4
	v_fma_f32 v3, v22, v2, -v3
	v_fmac_f32_e32 v1, v23, v2
	v_mul_f32_e32 v2, v27, v7
	v_fma_f32 v4, v24, v4, -v5
	s_wait_loadcnt_dscnt 0x302
	v_dual_mul_f32 v168, v156, v11 :: v_dual_mul_f32 v169, v158, v13
	v_dual_add_f32 v3, 0, v3 :: v_dual_fmac_f32 v154, v29, v8
	v_fma_f32 v2, v26, v6, -v2
	s_delay_alu instid0(VALU_DEP_3) | instskip(SKIP_3) | instid1(VALU_DEP_2)
	v_fmac_f32_e32 v168, v157, v10
	s_wait_loadcnt_dscnt 0x201
	v_dual_mul_f32 v170, v160, v15 :: v_dual_mul_f32 v171, v162, v17
	v_dual_add_f32 v3, v3, v4 :: v_dual_mul_f32 v4, v157, v11
	v_dual_add_f32 v1, 0, v1 :: v_dual_fmac_f32 v170, v161, v14
	s_wait_loadcnt_dscnt 0x100
	v_dual_mul_f32 v172, v164, v19 :: v_dual_mul_f32 v173, v166, v21
	s_delay_alu instid0(VALU_DEP_3) | instskip(SKIP_4) | instid1(VALU_DEP_4)
	v_fma_f32 v4, v156, v10, -v4
	v_dual_mul_f32 v5, v29, v9 :: v_dual_add_f32 v2, v3, v2
	v_add_f32_e32 v1, v1, v32
	v_mul_f32_e32 v3, v159, v13
	v_dual_fmac_f32 v169, v159, v12 :: v_dual_fmac_f32 v172, v165, v18
	v_fma_f32 v5, v28, v8, -v5
	v_fmac_f32_e32 v153, v27, v6
	s_delay_alu instid0(VALU_DEP_4) | instskip(SKIP_1) | instid1(VALU_DEP_4)
	v_fma_f32 v3, v158, v12, -v3
	v_fmac_f32_e32 v171, v163, v16
	v_dual_fmac_f32 v173, v167, v20 :: v_dual_add_f32 v2, v2, v5
	s_delay_alu instid0(VALU_DEP_1) | instskip(SKIP_1) | instid1(VALU_DEP_2)
	v_add_f32_e32 v2, v2, v4
	v_mul_f32_e32 v4, v163, v17
	v_dual_add_f32 v1, v1, v153 :: v_dual_add_f32 v2, v2, v3
	s_delay_alu instid0(VALU_DEP_2) | instskip(SKIP_2) | instid1(VALU_DEP_2)
	v_fma_f32 v4, v162, v16, -v4
	v_mul_f32_e32 v5, v161, v15
	v_mul_f32_e32 v3, v165, v19
	v_fma_f32 v5, v160, v14, -v5
	v_add_f32_e32 v1, v1, v154
	s_delay_alu instid0(VALU_DEP_3) | instskip(NEXT) | instid1(VALU_DEP_3)
	v_fma_f32 v3, v164, v18, -v3
	v_add_f32_e32 v2, v2, v5
	s_delay_alu instid0(VALU_DEP_1) | instskip(NEXT) | instid1(VALU_DEP_4)
	v_dual_mul_f32 v5, v167, v21 :: v_dual_add_f32 v2, v2, v4
	v_add_f32_e32 v1, v1, v168
	s_delay_alu instid0(VALU_DEP_2) | instskip(NEXT) | instid1(VALU_DEP_2)
	v_fma_f32 v4, v166, v20, -v5
	v_dual_add_f32 v2, v2, v3 :: v_dual_add_f32 v1, v1, v169
	s_delay_alu instid0(VALU_DEP_1) | instskip(NEXT) | instid1(VALU_DEP_1)
	v_dual_add_f32 v2, v2, v4 :: v_dual_add_f32 v1, v1, v170
	v_add_f32_e32 v1, v1, v171
	s_delay_alu instid0(VALU_DEP_1) | instskip(NEXT) | instid1(VALU_DEP_1)
	v_add_f32_e32 v1, v1, v172
	v_add_f32_e32 v3, v1, v173
	s_wait_loadcnt 0x0
	s_delay_alu instid0(VALU_DEP_1)
	v_dual_sub_f32 v1, v30, v2 :: v_dual_sub_f32 v2, v31, v3
	scratch_store_b64 off, v[1:2], off offset:392
	v_cmpx_lt_u32_e32 48, v0
	s_cbranch_execz .LBB59_277
; %bb.276:
	scratch_load_b64 v[1:2], off, off offset:384
	v_mov_b32_e32 v3, 0
	s_delay_alu instid0(VALU_DEP_1)
	v_mov_b32_e32 v4, v3
	scratch_store_b64 off, v[3:4], off offset:384
	s_wait_loadcnt 0x0
	ds_store_b64 v155, v[1:2]
.LBB59_277:
	s_wait_alu 0xfffe
	s_or_b32 exec_lo, exec_lo, s0
	s_wait_storecnt_dscnt 0x0
	s_barrier_signal -1
	s_barrier_wait -1
	global_inv scope:SCOPE_SE
	s_clause 0x6
	scratch_load_b128 v[2:5], off, off offset:392
	scratch_load_b128 v[6:9], off, off offset:408
	;; [unrolled: 1-line block ×5, first 2 shown]
	scratch_load_b64 v[30:31], off, off offset:472
	scratch_load_b64 v[153:154], off, off offset:384
	v_mov_b32_e32 v1, 0
	ds_load_2addr_b64 v[22:25], v1 offset0:109 offset1:110
	ds_load_2addr_b64 v[26:29], v1 offset0:111 offset1:112
	;; [unrolled: 1-line block ×5, first 2 shown]
	ds_load_b64 v[168:169], v1 offset:952
	s_mov_b32 s0, exec_lo
	s_wait_loadcnt_dscnt 0x605
	v_mul_f32_e32 v32, v22, v3
	s_wait_loadcnt_dscnt 0x504
	v_dual_mul_f32 v172, v28, v9 :: v_dual_mul_f32 v3, v23, v3
	v_dual_mul_f32 v170, v24, v5 :: v_dual_mul_f32 v171, v26, v7
	v_mul_f32_e32 v5, v25, v5
	s_wait_loadcnt_dscnt 0x100
	v_dual_mul_f32 v179, v168, v31 :: v_dual_fmac_f32 v32, v23, v2
	v_fma_f32 v3, v22, v2, -v3
	v_mul_f32_e32 v2, v27, v7
	v_fmac_f32_e32 v170, v25, v4
	v_fma_f32 v4, v24, v4, -v5
	v_dual_fmac_f32 v171, v27, v6 :: v_dual_fmac_f32 v172, v29, v8
	v_add_f32_e32 v3, 0, v3
	v_fma_f32 v2, v26, v6, -v2
	v_dual_mul_f32 v173, v156, v11 :: v_dual_mul_f32 v174, v158, v13
	v_dual_mul_f32 v175, v160, v15 :: v_dual_mul_f32 v176, v162, v17
	s_delay_alu instid0(VALU_DEP_4) | instskip(SKIP_1) | instid1(VALU_DEP_3)
	v_add_f32_e32 v3, v3, v4
	v_add_f32_e32 v5, 0, v32
	v_dual_fmac_f32 v174, v159, v12 :: v_dual_fmac_f32 v175, v161, v14
	s_delay_alu instid0(VALU_DEP_4) | instskip(NEXT) | instid1(VALU_DEP_4)
	v_fmac_f32_e32 v176, v163, v16
	v_dual_add_f32 v2, v3, v2 :: v_dual_mul_f32 v7, v29, v9
	s_delay_alu instid0(VALU_DEP_4) | instskip(SKIP_2) | instid1(VALU_DEP_4)
	v_add_f32_e32 v4, v5, v170
	v_mul_f32_e32 v5, v157, v11
	v_dual_mul_f32 v177, v164, v19 :: v_dual_mul_f32 v178, v166, v21
	v_fma_f32 v6, v28, v8, -v7
	s_delay_alu instid0(VALU_DEP_4) | instskip(NEXT) | instid1(VALU_DEP_4)
	v_dual_add_f32 v3, v4, v171 :: v_dual_mul_f32 v4, v159, v13
	v_fma_f32 v5, v156, v10, -v5
	s_delay_alu instid0(VALU_DEP_4) | instskip(NEXT) | instid1(VALU_DEP_4)
	v_fmac_f32_e32 v177, v165, v18
	v_add_f32_e32 v2, v2, v6
	v_fmac_f32_e32 v173, v157, v10
	v_dual_add_f32 v3, v3, v172 :: v_dual_mul_f32 v6, v161, v15
	v_fma_f32 v4, v158, v12, -v4
	s_delay_alu instid0(VALU_DEP_4) | instskip(SKIP_1) | instid1(VALU_DEP_4)
	v_add_f32_e32 v2, v2, v5
	v_mul_f32_e32 v5, v163, v17
	v_add_f32_e32 v3, v3, v173
	v_fma_f32 v6, v160, v14, -v6
	v_fmac_f32_e32 v178, v167, v20
	v_add_f32_e32 v2, v2, v4
	v_mul_f32_e32 v4, v165, v19
	v_fma_f32 v5, v162, v16, -v5
	s_delay_alu instid0(VALU_DEP_3) | instskip(SKIP_3) | instid1(VALU_DEP_3)
	v_add_f32_e32 v2, v2, v6
	v_add_f32_e32 v3, v3, v174
	v_mul_f32_e32 v6, v167, v21
	v_fma_f32 v4, v164, v18, -v4
	v_dual_add_f32 v2, v2, v5 :: v_dual_add_f32 v3, v3, v175
	s_delay_alu instid0(VALU_DEP_3) | instskip(NEXT) | instid1(VALU_DEP_2)
	v_fma_f32 v6, v166, v20, -v6
	v_dual_mul_f32 v5, v169, v31 :: v_dual_add_f32 v2, v2, v4
	s_delay_alu instid0(VALU_DEP_3) | instskip(NEXT) | instid1(VALU_DEP_2)
	v_add_f32_e32 v3, v3, v176
	v_fma_f32 v4, v168, v30, -v5
	s_delay_alu instid0(VALU_DEP_2) | instskip(NEXT) | instid1(VALU_DEP_1)
	v_dual_add_f32 v2, v2, v6 :: v_dual_add_f32 v3, v3, v177
	v_dual_fmac_f32 v179, v169, v30 :: v_dual_add_f32 v2, v2, v4
	s_delay_alu instid0(VALU_DEP_2) | instskip(SKIP_1) | instid1(VALU_DEP_1)
	v_add_f32_e32 v3, v3, v178
	s_wait_loadcnt 0x0
	v_dual_sub_f32 v2, v153, v2 :: v_dual_add_f32 v3, v3, v179
	s_delay_alu instid0(VALU_DEP_1)
	v_sub_f32_e32 v3, v154, v3
	scratch_store_b64 off, v[2:3], off offset:384
	v_cmpx_lt_u32_e32 47, v0
	s_cbranch_execz .LBB59_279
; %bb.278:
	scratch_load_b64 v[3:4], off, off offset:376
	v_mov_b32_e32 v2, v1
	scratch_store_b64 off, v[1:2], off offset:376
	s_wait_loadcnt 0x0
	ds_store_b64 v155, v[3:4]
.LBB59_279:
	s_wait_alu 0xfffe
	s_or_b32 exec_lo, exec_lo, s0
	s_wait_storecnt_dscnt 0x0
	s_barrier_signal -1
	s_barrier_wait -1
	global_inv scope:SCOPE_SE
	s_clause 0x6
	scratch_load_b128 v[2:5], off, off offset:384
	scratch_load_b128 v[6:9], off, off offset:400
	;; [unrolled: 1-line block ×6, first 2 shown]
	scratch_load_b64 v[30:31], off, off offset:376
	ds_load_b128 v[26:29], v1 offset:864
	ds_load_b128 v[156:159], v1 offset:880
	;; [unrolled: 1-line block ×6, first 2 shown]
	s_mov_b32 s0, exec_lo
	s_wait_loadcnt_dscnt 0x605
	v_dual_mul_f32 v1, v26, v3 :: v_dual_mul_f32 v32, v28, v5
	v_mul_f32_e32 v3, v27, v3
	s_wait_loadcnt_dscnt 0x504
	v_dual_mul_f32 v153, v156, v7 :: v_dual_mul_f32 v154, v158, v9
	v_mul_f32_e32 v5, v29, v5
	v_fmac_f32_e32 v32, v29, v4
	v_fma_f32 v3, v26, v2, -v3
	s_wait_loadcnt_dscnt 0x403
	v_dual_mul_f32 v176, v160, v11 :: v_dual_mul_f32 v177, v162, v13
	v_dual_fmac_f32 v1, v27, v2 :: v_dual_mul_f32 v2, v157, v7
	s_delay_alu instid0(VALU_DEP_2)
	v_dual_add_f32 v3, 0, v3 :: v_dual_fmac_f32 v176, v161, v10
	v_fmac_f32_e32 v154, v159, v8
	v_fma_f32 v4, v28, v4, -v5
	s_wait_loadcnt_dscnt 0x302
	v_dual_mul_f32 v178, v164, v15 :: v_dual_mul_f32 v179, v166, v17
	v_add_f32_e32 v1, 0, v1
	v_fma_f32 v2, v156, v6, -v2
	s_delay_alu instid0(VALU_DEP_3) | instskip(SKIP_3) | instid1(VALU_DEP_3)
	v_dual_add_f32 v3, v3, v4 :: v_dual_fmac_f32 v178, v165, v14
	v_mul_f32_e32 v4, v161, v11
	s_wait_loadcnt_dscnt 0x201
	v_dual_add_f32 v1, v1, v32 :: v_dual_mul_f32 v180, v168, v19
	v_dual_mul_f32 v181, v170, v21 :: v_dual_add_f32 v2, v3, v2
	s_delay_alu instid0(VALU_DEP_3) | instskip(SKIP_1) | instid1(VALU_DEP_4)
	v_fma_f32 v4, v160, v10, -v4
	v_mul_f32_e32 v5, v159, v9
	v_dual_mul_f32 v3, v163, v13 :: v_dual_fmac_f32 v180, v169, v18
	s_wait_loadcnt_dscnt 0x100
	v_dual_mul_f32 v182, v172, v23 :: v_dual_mul_f32 v183, v174, v25
	s_delay_alu instid0(VALU_DEP_3) | instskip(SKIP_3) | instid1(VALU_DEP_4)
	v_fma_f32 v5, v158, v8, -v5
	v_fmac_f32_e32 v153, v157, v6
	v_fma_f32 v3, v162, v12, -v3
	v_fmac_f32_e32 v179, v167, v16
	v_dual_fmac_f32 v181, v171, v20 :: v_dual_add_f32 v2, v2, v5
	v_dual_fmac_f32 v183, v175, v24 :: v_dual_fmac_f32 v182, v173, v22
	s_delay_alu instid0(VALU_DEP_2) | instskip(SKIP_1) | instid1(VALU_DEP_2)
	v_dual_add_f32 v2, v2, v4 :: v_dual_add_f32 v1, v1, v153
	v_mul_f32_e32 v4, v167, v17
	v_dual_add_f32 v2, v2, v3 :: v_dual_add_f32 v1, v1, v154
	s_delay_alu instid0(VALU_DEP_2) | instskip(SKIP_1) | instid1(VALU_DEP_1)
	v_fma_f32 v4, v166, v16, -v4
	v_mul_f32_e32 v5, v165, v15
	v_fma_f32 v5, v164, v14, -v5
	s_delay_alu instid0(VALU_DEP_1) | instskip(NEXT) | instid1(VALU_DEP_1)
	v_dual_fmac_f32 v177, v163, v12 :: v_dual_add_f32 v2, v2, v5
	v_dual_mul_f32 v5, v171, v21 :: v_dual_add_f32 v2, v2, v4
	s_delay_alu instid0(VALU_DEP_1) | instskip(SKIP_2) | instid1(VALU_DEP_2)
	v_fma_f32 v5, v170, v20, -v5
	v_mul_f32_e32 v3, v169, v19
	v_mul_f32_e32 v4, v173, v23
	v_fma_f32 v3, v168, v18, -v3
	v_add_f32_e32 v1, v1, v176
	s_delay_alu instid0(VALU_DEP_3) | instskip(NEXT) | instid1(VALU_DEP_3)
	v_fma_f32 v4, v172, v22, -v4
	v_dual_add_f32 v2, v2, v3 :: v_dual_mul_f32 v3, v175, v25
	s_delay_alu instid0(VALU_DEP_1) | instskip(NEXT) | instid1(VALU_DEP_4)
	v_add_f32_e32 v2, v2, v5
	v_add_f32_e32 v1, v1, v177
	s_delay_alu instid0(VALU_DEP_3) | instskip(NEXT) | instid1(VALU_DEP_2)
	v_fma_f32 v3, v174, v24, -v3
	v_dual_add_f32 v2, v2, v4 :: v_dual_add_f32 v1, v1, v178
	s_delay_alu instid0(VALU_DEP_1) | instskip(NEXT) | instid1(VALU_DEP_2)
	v_add_f32_e32 v2, v2, v3
	v_add_f32_e32 v1, v1, v179
	s_delay_alu instid0(VALU_DEP_1) | instskip(NEXT) | instid1(VALU_DEP_1)
	v_add_f32_e32 v1, v1, v180
	v_add_f32_e32 v1, v1, v181
	s_delay_alu instid0(VALU_DEP_1) | instskip(NEXT) | instid1(VALU_DEP_1)
	v_add_f32_e32 v1, v1, v182
	v_add_f32_e32 v3, v1, v183
	s_wait_loadcnt 0x0
	s_delay_alu instid0(VALU_DEP_1)
	v_dual_sub_f32 v1, v30, v2 :: v_dual_sub_f32 v2, v31, v3
	scratch_store_b64 off, v[1:2], off offset:376
	v_cmpx_lt_u32_e32 46, v0
	s_cbranch_execz .LBB59_281
; %bb.280:
	scratch_load_b64 v[1:2], off, off offset:368
	v_mov_b32_e32 v3, 0
	s_delay_alu instid0(VALU_DEP_1)
	v_mov_b32_e32 v4, v3
	scratch_store_b64 off, v[3:4], off offset:368
	s_wait_loadcnt 0x0
	ds_store_b64 v155, v[1:2]
.LBB59_281:
	s_wait_alu 0xfffe
	s_or_b32 exec_lo, exec_lo, s0
	s_wait_storecnt_dscnt 0x0
	s_barrier_signal -1
	s_barrier_wait -1
	global_inv scope:SCOPE_SE
	s_clause 0x7
	scratch_load_b128 v[2:5], off, off offset:376
	scratch_load_b128 v[6:9], off, off offset:392
	;; [unrolled: 1-line block ×6, first 2 shown]
	scratch_load_b64 v[30:31], off, off offset:472
	scratch_load_b64 v[153:154], off, off offset:368
	v_mov_b32_e32 v1, 0
	ds_load_2addr_b64 v[26:29], v1 offset0:107 offset1:108
	ds_load_2addr_b64 v[156:159], v1 offset0:109 offset1:110
	;; [unrolled: 1-line block ×6, first 2 shown]
	ds_load_b64 v[176:177], v1 offset:952
	s_mov_b32 s0, exec_lo
	s_wait_loadcnt_dscnt 0x706
	v_mul_f32_e32 v32, v26, v3
	v_dual_mul_f32 v178, v28, v5 :: v_dual_mul_f32 v3, v27, v3
	s_wait_loadcnt_dscnt 0x605
	v_dual_mul_f32 v179, v156, v7 :: v_dual_mul_f32 v180, v158, v9
	v_mul_f32_e32 v5, v29, v5
	s_wait_loadcnt_dscnt 0x100
	v_dual_mul_f32 v189, v176, v31 :: v_dual_fmac_f32 v32, v27, v2
	v_fma_f32 v3, v26, v2, -v3
	v_mul_f32_e32 v2, v157, v7
	v_fmac_f32_e32 v178, v29, v4
	v_fmac_f32_e32 v180, v159, v8
	v_fma_f32 v4, v28, v4, -v5
	v_add_f32_e32 v3, 0, v3
	v_add_f32_e32 v5, 0, v32
	v_mul_f32_e32 v7, v159, v9
	v_fma_f32 v2, v156, v6, -v2
	v_fmac_f32_e32 v179, v157, v6
	s_delay_alu instid0(VALU_DEP_4) | instskip(SKIP_3) | instid1(VALU_DEP_4)
	v_dual_add_f32 v3, v3, v4 :: v_dual_add_f32 v4, v5, v178
	v_mul_f32_e32 v5, v161, v11
	v_fma_f32 v6, v158, v8, -v7
	v_dual_mul_f32 v181, v160, v11 :: v_dual_mul_f32 v182, v162, v13
	v_dual_add_f32 v2, v3, v2 :: v_dual_add_f32 v3, v4, v179
	v_mul_f32_e32 v4, v163, v13
	v_fma_f32 v5, v160, v10, -v5
	s_delay_alu instid0(VALU_DEP_4) | instskip(NEXT) | instid1(VALU_DEP_4)
	v_fmac_f32_e32 v182, v163, v12
	v_add_f32_e32 v2, v2, v6
	v_fmac_f32_e32 v181, v161, v10
	v_dual_add_f32 v3, v3, v180 :: v_dual_mul_f32 v6, v165, v15
	v_fma_f32 v4, v162, v12, -v4
	s_delay_alu instid0(VALU_DEP_4) | instskip(SKIP_1) | instid1(VALU_DEP_4)
	v_dual_add_f32 v2, v2, v5 :: v_dual_mul_f32 v183, v164, v15
	v_mul_f32_e32 v184, v166, v17
	v_add_f32_e32 v3, v3, v181
	v_mul_f32_e32 v5, v167, v17
	v_fma_f32 v6, v164, v14, -v6
	v_dual_add_f32 v2, v2, v4 :: v_dual_fmac_f32 v183, v165, v14
	v_fmac_f32_e32 v184, v167, v16
	v_mul_f32_e32 v4, v169, v19
	v_fma_f32 v5, v166, v16, -v5
	s_delay_alu instid0(VALU_DEP_4) | instskip(SKIP_4) | instid1(VALU_DEP_4)
	v_add_f32_e32 v2, v2, v6
	v_add_f32_e32 v3, v3, v182
	v_dual_mul_f32 v185, v168, v19 :: v_dual_mul_f32 v186, v170, v21
	v_mul_f32_e32 v6, v171, v21
	v_fma_f32 v4, v168, v18, -v4
	v_dual_add_f32 v2, v2, v5 :: v_dual_add_f32 v3, v3, v183
	s_delay_alu instid0(VALU_DEP_4) | instskip(NEXT) | instid1(VALU_DEP_4)
	v_fmac_f32_e32 v185, v169, v18
	v_fma_f32 v6, v170, v20, -v6
	v_dual_mul_f32 v187, v172, v23 :: v_dual_mul_f32 v188, v174, v25
	s_delay_alu instid0(VALU_DEP_4) | instskip(SKIP_2) | instid1(VALU_DEP_4)
	v_add_f32_e32 v2, v2, v4
	v_add_f32_e32 v3, v3, v184
	v_dual_mul_f32 v5, v173, v23 :: v_dual_fmac_f32 v186, v171, v20
	v_dual_mul_f32 v4, v175, v25 :: v_dual_fmac_f32 v187, v173, v22
	s_delay_alu instid0(VALU_DEP_3) | instskip(NEXT) | instid1(VALU_DEP_3)
	v_dual_add_f32 v2, v2, v6 :: v_dual_add_f32 v3, v3, v185
	v_fma_f32 v5, v172, v22, -v5
	v_mul_f32_e32 v6, v177, v31
	v_dual_fmac_f32 v188, v175, v24 :: v_dual_fmac_f32 v189, v177, v30
	s_delay_alu instid0(VALU_DEP_4) | instskip(SKIP_3) | instid1(VALU_DEP_4)
	v_add_f32_e32 v3, v3, v186
	v_fma_f32 v4, v174, v24, -v4
	v_add_f32_e32 v2, v2, v5
	v_fma_f32 v5, v176, v30, -v6
	v_add_f32_e32 v3, v3, v187
	s_delay_alu instid0(VALU_DEP_1) | instskip(NEXT) | instid1(VALU_DEP_1)
	v_add_f32_e32 v3, v3, v188
	v_dual_add_f32 v2, v2, v4 :: v_dual_add_f32 v3, v3, v189
	s_delay_alu instid0(VALU_DEP_1) | instskip(SKIP_1) | instid1(VALU_DEP_1)
	v_add_f32_e32 v2, v2, v5
	s_wait_loadcnt 0x0
	v_dual_sub_f32 v3, v154, v3 :: v_dual_sub_f32 v2, v153, v2
	scratch_store_b64 off, v[2:3], off offset:368
	v_cmpx_lt_u32_e32 45, v0
	s_cbranch_execz .LBB59_283
; %bb.282:
	scratch_load_b64 v[3:4], off, off offset:360
	v_mov_b32_e32 v2, v1
	scratch_store_b64 off, v[1:2], off offset:360
	s_wait_loadcnt 0x0
	ds_store_b64 v155, v[3:4]
.LBB59_283:
	s_wait_alu 0xfffe
	s_or_b32 exec_lo, exec_lo, s0
	s_wait_storecnt_dscnt 0x0
	s_barrier_signal -1
	s_barrier_wait -1
	global_inv scope:SCOPE_SE
	s_clause 0x7
	scratch_load_b128 v[2:5], off, off offset:368
	scratch_load_b128 v[6:9], off, off offset:384
	;; [unrolled: 1-line block ×7, first 2 shown]
	scratch_load_b64 v[30:31], off, off offset:360
	ds_load_b128 v[156:159], v1 offset:848
	ds_load_b128 v[160:163], v1 offset:864
	;; [unrolled: 1-line block ×7, first 2 shown]
	s_mov_b32 s0, exec_lo
	s_wait_loadcnt_dscnt 0x706
	v_dual_mul_f32 v1, v156, v3 :: v_dual_mul_f32 v32, v158, v5
	v_mul_f32_e32 v3, v157, v3
	v_mul_f32_e32 v5, v159, v5
	s_wait_loadcnt_dscnt 0x605
	v_dual_mul_f32 v153, v160, v7 :: v_dual_mul_f32 v154, v162, v9
	v_fmac_f32_e32 v32, v159, v4
	v_fma_f32 v3, v156, v2, -v3
	s_wait_loadcnt_dscnt 0x504
	v_dual_mul_f32 v184, v164, v11 :: v_dual_mul_f32 v185, v166, v13
	v_dual_fmac_f32 v1, v157, v2 :: v_dual_fmac_f32 v154, v163, v8
	v_mul_f32_e32 v2, v161, v7
	v_fma_f32 v4, v158, v4, -v5
	s_delay_alu instid0(VALU_DEP_4) | instskip(SKIP_3) | instid1(VALU_DEP_3)
	v_dual_add_f32 v3, 0, v3 :: v_dual_fmac_f32 v184, v165, v10
	s_wait_loadcnt_dscnt 0x403
	v_dual_mul_f32 v186, v168, v15 :: v_dual_mul_f32 v187, v170, v17
	v_add_f32_e32 v1, 0, v1
	v_dual_add_f32 v3, v3, v4 :: v_dual_mul_f32 v4, v165, v11
	v_fma_f32 v2, v160, v6, -v2
	s_delay_alu instid0(VALU_DEP_4)
	v_fmac_f32_e32 v186, v169, v14
	s_wait_loadcnt_dscnt 0x302
	v_dual_add_f32 v1, v1, v32 :: v_dual_mul_f32 v188, v172, v19
	v_mul_f32_e32 v189, v174, v21
	v_fma_f32 v4, v164, v10, -v4
	v_mul_f32_e32 v5, v163, v9
	v_add_f32_e32 v2, v3, v2
	v_dual_mul_f32 v3, v167, v13 :: v_dual_fmac_f32 v188, v173, v18
	s_wait_loadcnt_dscnt 0x201
	v_dual_mul_f32 v190, v176, v23 :: v_dual_mul_f32 v191, v178, v25
	v_fma_f32 v5, v162, v8, -v5
	v_fmac_f32_e32 v153, v161, v6
	v_fma_f32 v3, v166, v12, -v3
	s_wait_loadcnt_dscnt 0x100
	v_dual_fmac_f32 v187, v171, v16 :: v_dual_mul_f32 v192, v180, v27
	v_mul_f32_e32 v193, v182, v29
	v_dual_add_f32 v2, v2, v5 :: v_dual_fmac_f32 v189, v175, v20
	v_fmac_f32_e32 v190, v177, v22
	s_delay_alu instid0(VALU_DEP_3) | instskip(NEXT) | instid1(VALU_DEP_3)
	v_dual_fmac_f32 v192, v181, v26 :: v_dual_fmac_f32 v193, v183, v28
	v_dual_add_f32 v2, v2, v4 :: v_dual_add_f32 v1, v1, v153
	v_mul_f32_e32 v4, v171, v17
	s_delay_alu instid0(VALU_DEP_2) | instskip(NEXT) | instid1(VALU_DEP_2)
	v_dual_add_f32 v2, v2, v3 :: v_dual_add_f32 v1, v1, v154
	v_fma_f32 v4, v170, v16, -v4
	v_mul_f32_e32 v5, v169, v15
	s_delay_alu instid0(VALU_DEP_1) | instskip(NEXT) | instid1(VALU_DEP_1)
	v_fma_f32 v5, v168, v14, -v5
	v_dual_fmac_f32 v185, v167, v12 :: v_dual_add_f32 v2, v2, v5
	s_delay_alu instid0(VALU_DEP_1) | instskip(NEXT) | instid1(VALU_DEP_1)
	v_dual_mul_f32 v5, v175, v21 :: v_dual_add_f32 v2, v2, v4
	v_fma_f32 v5, v174, v20, -v5
	v_mul_f32_e32 v3, v173, v19
	v_mul_f32_e32 v4, v177, v23
	s_delay_alu instid0(VALU_DEP_2) | instskip(SKIP_1) | instid1(VALU_DEP_3)
	v_fma_f32 v3, v172, v18, -v3
	v_add_f32_e32 v1, v1, v184
	v_fma_f32 v4, v176, v22, -v4
	s_delay_alu instid0(VALU_DEP_3) | instskip(NEXT) | instid1(VALU_DEP_1)
	v_dual_add_f32 v2, v2, v3 :: v_dual_mul_f32 v3, v179, v25
	v_add_f32_e32 v2, v2, v5
	s_delay_alu instid0(VALU_DEP_4) | instskip(SKIP_1) | instid1(VALU_DEP_4)
	v_add_f32_e32 v1, v1, v185
	v_mul_f32_e32 v5, v181, v27
	v_fma_f32 v3, v178, v24, -v3
	s_delay_alu instid0(VALU_DEP_3) | instskip(SKIP_3) | instid1(VALU_DEP_4)
	v_dual_add_f32 v2, v2, v4 :: v_dual_add_f32 v1, v1, v186
	v_mul_f32_e32 v4, v183, v29
	v_fmac_f32_e32 v191, v179, v24
	v_fma_f32 v5, v180, v26, -v5
	v_add_f32_e32 v2, v2, v3
	v_add_f32_e32 v1, v1, v187
	v_fma_f32 v3, v182, v28, -v4
	s_delay_alu instid0(VALU_DEP_2) | instskip(NEXT) | instid1(VALU_DEP_1)
	v_dual_add_f32 v2, v2, v5 :: v_dual_add_f32 v1, v1, v188
	v_dual_add_f32 v2, v2, v3 :: v_dual_add_f32 v1, v1, v189
	s_delay_alu instid0(VALU_DEP_1) | instskip(NEXT) | instid1(VALU_DEP_1)
	v_add_f32_e32 v1, v1, v190
	v_add_f32_e32 v1, v1, v191
	s_delay_alu instid0(VALU_DEP_1) | instskip(NEXT) | instid1(VALU_DEP_1)
	v_add_f32_e32 v1, v1, v192
	v_add_f32_e32 v3, v1, v193
	s_wait_loadcnt 0x0
	s_delay_alu instid0(VALU_DEP_1)
	v_dual_sub_f32 v1, v30, v2 :: v_dual_sub_f32 v2, v31, v3
	scratch_store_b64 off, v[1:2], off offset:360
	v_cmpx_lt_u32_e32 44, v0
	s_cbranch_execz .LBB59_285
; %bb.284:
	scratch_load_b64 v[1:2], off, off offset:352
	v_mov_b32_e32 v3, 0
	s_delay_alu instid0(VALU_DEP_1)
	v_mov_b32_e32 v4, v3
	scratch_store_b64 off, v[3:4], off offset:352
	s_wait_loadcnt 0x0
	ds_store_b64 v155, v[1:2]
.LBB59_285:
	s_wait_alu 0xfffe
	s_or_b32 exec_lo, exec_lo, s0
	s_wait_storecnt_dscnt 0x0
	s_barrier_signal -1
	s_barrier_wait -1
	global_inv scope:SCOPE_SE
	s_clause 0x8
	scratch_load_b128 v[2:5], off, off offset:360
	scratch_load_b128 v[6:9], off, off offset:376
	;; [unrolled: 1-line block ×7, first 2 shown]
	scratch_load_b64 v[30:31], off, off offset:472
	scratch_load_b64 v[153:154], off, off offset:352
	v_mov_b32_e32 v1, 0
	ds_load_2addr_b64 v[156:159], v1 offset0:105 offset1:106
	ds_load_2addr_b64 v[160:163], v1 offset0:107 offset1:108
	;; [unrolled: 1-line block ×7, first 2 shown]
	ds_load_b64 v[184:185], v1 offset:952
	s_mov_b32 s0, exec_lo
	s_wait_loadcnt_dscnt 0x807
	v_mul_f32_e32 v32, v156, v3
	v_dual_mul_f32 v3, v157, v3 :: v_dual_mul_f32 v186, v158, v5
	s_wait_loadcnt_dscnt 0x706
	v_mul_f32_e32 v187, v160, v7
	v_mul_f32_e32 v5, v159, v5
	s_wait_loadcnt_dscnt 0x302
	v_mul_f32_e32 v196, v178, v25
	v_fma_f32 v3, v156, v2, -v3
	s_wait_loadcnt_dscnt 0x100
	v_dual_mul_f32 v199, v184, v31 :: v_dual_fmac_f32 v32, v157, v2
	v_mul_f32_e32 v2, v161, v7
	s_delay_alu instid0(VALU_DEP_3) | instskip(SKIP_2) | instid1(VALU_DEP_4)
	v_dual_fmac_f32 v186, v159, v4 :: v_dual_add_f32 v3, 0, v3
	v_fma_f32 v4, v158, v4, -v5
	v_dual_mul_f32 v188, v162, v9 :: v_dual_mul_f32 v189, v164, v11
	v_fma_f32 v2, v160, v6, -v2
	v_fmac_f32_e32 v187, v161, v6
	s_delay_alu instid0(VALU_DEP_4) | instskip(SKIP_2) | instid1(VALU_DEP_3)
	v_add_f32_e32 v3, v3, v4
	v_dual_add_f32 v5, 0, v32 :: v_dual_mul_f32 v190, v166, v13
	v_dual_mul_f32 v191, v168, v15 :: v_dual_fmac_f32 v188, v163, v8
	v_add_f32_e32 v2, v3, v2
	s_delay_alu instid0(VALU_DEP_3) | instskip(NEXT) | instid1(VALU_DEP_4)
	v_dual_mul_f32 v7, v163, v9 :: v_dual_add_f32 v4, v5, v186
	v_dual_mul_f32 v5, v165, v11 :: v_dual_fmac_f32 v190, v167, v12
	v_dual_mul_f32 v192, v170, v17 :: v_dual_mul_f32 v193, v172, v19
	s_delay_alu instid0(VALU_DEP_3) | instskip(NEXT) | instid1(VALU_DEP_4)
	v_fma_f32 v6, v162, v8, -v7
	v_dual_add_f32 v3, v4, v187 :: v_dual_mul_f32 v4, v167, v13
	s_delay_alu instid0(VALU_DEP_4) | instskip(NEXT) | instid1(VALU_DEP_4)
	v_fma_f32 v5, v164, v10, -v5
	v_dual_fmac_f32 v191, v169, v14 :: v_dual_fmac_f32 v192, v171, v16
	s_delay_alu instid0(VALU_DEP_4) | instskip(SKIP_3) | instid1(VALU_DEP_4)
	v_add_f32_e32 v2, v2, v6
	v_fmac_f32_e32 v189, v165, v10
	v_dual_add_f32 v3, v3, v188 :: v_dual_mul_f32 v6, v169, v15
	v_fma_f32 v4, v166, v12, -v4
	v_add_f32_e32 v2, v2, v5
	v_mul_f32_e32 v5, v171, v17
	s_delay_alu instid0(VALU_DEP_4)
	v_add_f32_e32 v3, v3, v189
	v_fma_f32 v6, v168, v14, -v6
	v_dual_mul_f32 v194, v174, v21 :: v_dual_mul_f32 v195, v176, v23
	v_add_f32_e32 v2, v2, v4
	v_mul_f32_e32 v4, v173, v19
	v_fma_f32 v5, v170, v16, -v5
	v_fmac_f32_e32 v193, v173, v18
	v_dual_mul_f32 v197, v180, v27 :: v_dual_mul_f32 v198, v182, v29
	v_add_f32_e32 v2, v2, v6
	v_add_f32_e32 v3, v3, v190
	v_mul_f32_e32 v6, v175, v21
	v_fma_f32 v4, v172, v18, -v4
	v_fmac_f32_e32 v194, v175, v20
	s_delay_alu instid0(VALU_DEP_4) | instskip(NEXT) | instid1(VALU_DEP_4)
	v_dual_add_f32 v2, v2, v5 :: v_dual_add_f32 v3, v3, v191
	v_fma_f32 v6, v174, v20, -v6
	v_mul_f32_e32 v5, v177, v23
	s_delay_alu instid0(VALU_DEP_3) | instskip(NEXT) | instid1(VALU_DEP_4)
	v_dual_fmac_f32 v195, v177, v22 :: v_dual_add_f32 v2, v2, v4
	v_add_f32_e32 v3, v3, v192
	v_mul_f32_e32 v4, v179, v25
	s_delay_alu instid0(VALU_DEP_4) | instskip(SKIP_1) | instid1(VALU_DEP_4)
	v_fma_f32 v5, v176, v22, -v5
	v_dual_fmac_f32 v196, v179, v24 :: v_dual_fmac_f32 v197, v181, v26
	v_dual_add_f32 v2, v2, v6 :: v_dual_add_f32 v3, v3, v193
	v_mul_f32_e32 v6, v181, v27
	v_fma_f32 v4, v178, v24, -v4
	v_dual_fmac_f32 v198, v183, v28 :: v_dual_fmac_f32 v199, v185, v30
	s_delay_alu instid0(VALU_DEP_4) | instskip(NEXT) | instid1(VALU_DEP_4)
	v_dual_add_f32 v3, v3, v194 :: v_dual_add_f32 v2, v2, v5
	v_fma_f32 v6, v180, v26, -v6
	s_delay_alu instid0(VALU_DEP_2) | instskip(NEXT) | instid1(VALU_DEP_3)
	v_add_f32_e32 v3, v3, v195
	v_dual_mul_f32 v5, v183, v29 :: v_dual_add_f32 v2, v2, v4
	s_delay_alu instid0(VALU_DEP_2) | instskip(NEXT) | instid1(VALU_DEP_2)
	v_dual_mul_f32 v4, v185, v31 :: v_dual_add_f32 v3, v3, v196
	v_fma_f32 v5, v182, v28, -v5
	s_delay_alu instid0(VALU_DEP_3) | instskip(NEXT) | instid1(VALU_DEP_3)
	v_add_f32_e32 v2, v2, v6
	v_fma_f32 v4, v184, v30, -v4
	s_delay_alu instid0(VALU_DEP_4) | instskip(NEXT) | instid1(VALU_DEP_1)
	v_add_f32_e32 v3, v3, v197
	v_dual_add_f32 v2, v2, v5 :: v_dual_add_f32 v3, v3, v198
	s_delay_alu instid0(VALU_DEP_1) | instskip(SKIP_1) | instid1(VALU_DEP_1)
	v_dual_add_f32 v2, v2, v4 :: v_dual_add_f32 v3, v3, v199
	s_wait_loadcnt 0x0
	v_dual_sub_f32 v2, v153, v2 :: v_dual_sub_f32 v3, v154, v3
	scratch_store_b64 off, v[2:3], off offset:352
	v_cmpx_lt_u32_e32 43, v0
	s_cbranch_execz .LBB59_287
; %bb.286:
	scratch_load_b64 v[3:4], off, off offset:344
	v_mov_b32_e32 v2, v1
	scratch_store_b64 off, v[1:2], off offset:344
	s_wait_loadcnt 0x0
	ds_store_b64 v155, v[3:4]
.LBB59_287:
	s_wait_alu 0xfffe
	s_or_b32 exec_lo, exec_lo, s0
	s_wait_storecnt_dscnt 0x0
	s_barrier_signal -1
	s_barrier_wait -1
	global_inv scope:SCOPE_SE
	s_clause 0x8
	scratch_load_b128 v[2:5], off, off offset:352
	scratch_load_b128 v[6:9], off, off offset:368
	;; [unrolled: 1-line block ×8, first 2 shown]
	scratch_load_b64 v[30:31], off, off offset:344
	ds_load_b128 v[160:163], v1 offset:832
	ds_load_b128 v[164:167], v1 offset:848
	;; [unrolled: 1-line block ×8, first 2 shown]
	s_mov_b32 s0, exec_lo
	s_wait_loadcnt_dscnt 0x807
	v_dual_mul_f32 v1, v160, v3 :: v_dual_mul_f32 v32, v162, v5
	v_mul_f32_e32 v3, v161, v3
	v_mul_f32_e32 v5, v163, v5
	s_wait_loadcnt_dscnt 0x706
	v_dual_mul_f32 v153, v164, v7 :: v_dual_mul_f32 v154, v166, v9
	s_wait_loadcnt_dscnt 0x605
	v_dual_mul_f32 v192, v168, v11 :: v_dual_mul_f32 v193, v170, v13
	s_wait_loadcnt_dscnt 0x100
	v_mul_f32_e32 v202, v188, v157
	v_fma_f32 v3, v160, v2, -v3
	v_dual_mul_f32 v203, v190, v159 :: v_dual_fmac_f32 v32, v163, v4
	v_dual_fmac_f32 v1, v161, v2 :: v_dual_fmac_f32 v154, v167, v8
	v_mul_f32_e32 v2, v165, v7
	v_fma_f32 v4, v162, v4, -v5
	v_dual_add_f32 v3, 0, v3 :: v_dual_fmac_f32 v192, v169, v10
	v_dual_mul_f32 v194, v172, v15 :: v_dual_mul_f32 v195, v174, v17
	v_add_f32_e32 v1, 0, v1
	s_delay_alu instid0(VALU_DEP_3) | instskip(SKIP_1) | instid1(VALU_DEP_4)
	v_dual_add_f32 v3, v3, v4 :: v_dual_mul_f32 v4, v169, v11
	v_fma_f32 v2, v164, v6, -v2
	v_fmac_f32_e32 v194, v173, v14
	s_delay_alu instid0(VALU_DEP_4)
	v_dual_add_f32 v1, v1, v32 :: v_dual_mul_f32 v196, v176, v19
	v_mul_f32_e32 v197, v178, v21
	v_fma_f32 v4, v168, v10, -v4
	v_mul_f32_e32 v5, v167, v9
	v_add_f32_e32 v2, v3, v2
	v_dual_mul_f32 v3, v171, v13 :: v_dual_fmac_f32 v196, v177, v18
	v_dual_mul_f32 v198, v180, v23 :: v_dual_mul_f32 v199, v182, v25
	s_delay_alu instid0(VALU_DEP_4) | instskip(SKIP_1) | instid1(VALU_DEP_4)
	v_fma_f32 v5, v166, v8, -v5
	v_fmac_f32_e32 v153, v165, v6
	v_fma_f32 v3, v170, v12, -v3
	v_dual_fmac_f32 v195, v175, v16 :: v_dual_mul_f32 v200, v184, v27
	v_mul_f32_e32 v201, v186, v29
	v_dual_add_f32 v2, v2, v5 :: v_dual_fmac_f32 v197, v179, v20
	v_fmac_f32_e32 v203, v191, v158
	s_delay_alu instid0(VALU_DEP_3) | instskip(NEXT) | instid1(VALU_DEP_3)
	v_dual_fmac_f32 v200, v185, v26 :: v_dual_fmac_f32 v201, v187, v28
	v_dual_add_f32 v2, v2, v4 :: v_dual_add_f32 v1, v1, v153
	v_mul_f32_e32 v4, v175, v17
	v_fmac_f32_e32 v198, v181, v22
	v_fmac_f32_e32 v202, v189, v156
	s_delay_alu instid0(VALU_DEP_4) | instskip(NEXT) | instid1(VALU_DEP_4)
	v_dual_add_f32 v2, v2, v3 :: v_dual_add_f32 v1, v1, v154
	v_fma_f32 v4, v174, v16, -v4
	v_mul_f32_e32 v5, v173, v15
	s_delay_alu instid0(VALU_DEP_1) | instskip(NEXT) | instid1(VALU_DEP_1)
	v_fma_f32 v5, v172, v14, -v5
	v_dual_fmac_f32 v193, v171, v12 :: v_dual_add_f32 v2, v2, v5
	s_delay_alu instid0(VALU_DEP_1) | instskip(NEXT) | instid1(VALU_DEP_1)
	v_dual_mul_f32 v5, v179, v21 :: v_dual_add_f32 v2, v2, v4
	v_fma_f32 v5, v178, v20, -v5
	v_mul_f32_e32 v3, v177, v19
	v_mul_f32_e32 v4, v181, v23
	s_delay_alu instid0(VALU_DEP_2) | instskip(SKIP_1) | instid1(VALU_DEP_3)
	v_fma_f32 v3, v176, v18, -v3
	v_add_f32_e32 v1, v1, v192
	v_fma_f32 v4, v180, v22, -v4
	s_delay_alu instid0(VALU_DEP_3) | instskip(NEXT) | instid1(VALU_DEP_1)
	v_dual_add_f32 v2, v2, v3 :: v_dual_mul_f32 v3, v183, v25
	v_add_f32_e32 v2, v2, v5
	s_delay_alu instid0(VALU_DEP_4) | instskip(NEXT) | instid1(VALU_DEP_3)
	v_add_f32_e32 v1, v1, v193
	v_fma_f32 v3, v182, v24, -v3
	s_delay_alu instid0(VALU_DEP_2) | instskip(SKIP_1) | instid1(VALU_DEP_2)
	v_dual_add_f32 v2, v2, v4 :: v_dual_add_f32 v1, v1, v194
	v_mul_f32_e32 v4, v187, v29
	v_dual_fmac_f32 v199, v183, v24 :: v_dual_add_f32 v2, v2, v3
	v_mul_f32_e32 v3, v189, v157
	s_delay_alu instid0(VALU_DEP_3) | instskip(SKIP_1) | instid1(VALU_DEP_3)
	v_fma_f32 v4, v186, v28, -v4
	v_mul_f32_e32 v5, v185, v27
	v_fma_f32 v3, v188, v156, -v3
	s_delay_alu instid0(VALU_DEP_2) | instskip(NEXT) | instid1(VALU_DEP_1)
	v_fma_f32 v5, v184, v26, -v5
	v_dual_add_f32 v1, v1, v195 :: v_dual_add_f32 v2, v2, v5
	s_delay_alu instid0(VALU_DEP_1) | instskip(NEXT) | instid1(VALU_DEP_2)
	v_dual_mul_f32 v5, v191, v159 :: v_dual_add_f32 v2, v2, v4
	v_add_f32_e32 v1, v1, v196
	s_delay_alu instid0(VALU_DEP_2) | instskip(NEXT) | instid1(VALU_DEP_2)
	v_fma_f32 v4, v190, v158, -v5
	v_dual_add_f32 v2, v2, v3 :: v_dual_add_f32 v1, v1, v197
	s_delay_alu instid0(VALU_DEP_1) | instskip(NEXT) | instid1(VALU_DEP_1)
	v_dual_add_f32 v2, v2, v4 :: v_dual_add_f32 v1, v1, v198
	v_add_f32_e32 v1, v1, v199
	s_delay_alu instid0(VALU_DEP_1) | instskip(NEXT) | instid1(VALU_DEP_1)
	v_add_f32_e32 v1, v1, v200
	v_add_f32_e32 v1, v1, v201
	s_delay_alu instid0(VALU_DEP_1) | instskip(NEXT) | instid1(VALU_DEP_1)
	v_add_f32_e32 v1, v1, v202
	v_add_f32_e32 v3, v1, v203
	s_wait_loadcnt 0x0
	s_delay_alu instid0(VALU_DEP_1)
	v_dual_sub_f32 v1, v30, v2 :: v_dual_sub_f32 v2, v31, v3
	scratch_store_b64 off, v[1:2], off offset:344
	v_cmpx_lt_u32_e32 42, v0
	s_cbranch_execz .LBB59_289
; %bb.288:
	scratch_load_b64 v[1:2], off, off offset:336
	v_mov_b32_e32 v3, 0
	s_delay_alu instid0(VALU_DEP_1)
	v_mov_b32_e32 v4, v3
	scratch_store_b64 off, v[3:4], off offset:336
	s_wait_loadcnt 0x0
	ds_store_b64 v155, v[1:2]
.LBB59_289:
	s_wait_alu 0xfffe
	s_or_b32 exec_lo, exec_lo, s0
	s_wait_storecnt_dscnt 0x0
	s_barrier_signal -1
	s_barrier_wait -1
	global_inv scope:SCOPE_SE
	s_clause 0x9
	scratch_load_b128 v[2:5], off, off offset:344
	scratch_load_b128 v[6:9], off, off offset:360
	;; [unrolled: 1-line block ×8, first 2 shown]
	scratch_load_b64 v[30:31], off, off offset:472
	scratch_load_b64 v[153:154], off, off offset:336
	v_mov_b32_e32 v1, 0
	ds_load_2addr_b64 v[160:163], v1 offset0:103 offset1:104
	ds_load_2addr_b64 v[164:167], v1 offset0:105 offset1:106
	;; [unrolled: 1-line block ×8, first 2 shown]
	ds_load_b64 v[192:193], v1 offset:952
	s_mov_b32 s0, exec_lo
	s_wait_loadcnt_dscnt 0x908
	v_mul_f32_e32 v32, v160, v3
	s_wait_loadcnt_dscnt 0x807
	v_dual_mul_f32 v194, v162, v5 :: v_dual_mul_f32 v195, v164, v7
	v_mul_f32_e32 v3, v161, v3
	s_delay_alu instid0(VALU_DEP_3)
	v_dual_mul_f32 v5, v163, v5 :: v_dual_fmac_f32 v32, v161, v2
	s_wait_loadcnt_dscnt 0x302
	v_mul_f32_e32 v206, v186, v29
	v_dual_mul_f32 v196, v166, v9 :: v_dual_mul_f32 v197, v168, v11
	v_fma_f32 v3, v160, v2, -v3
	s_wait_loadcnt_dscnt 0x100
	v_mul_f32_e32 v209, v192, v31
	v_mul_f32_e32 v2, v165, v7
	v_fmac_f32_e32 v194, v163, v4
	v_fma_f32 v4, v162, v4, -v5
	v_add_f32_e32 v3, 0, v3
	v_dual_fmac_f32 v195, v165, v6 :: v_dual_fmac_f32 v196, v167, v8
	v_fma_f32 v2, v164, v6, -v2
	v_dual_mul_f32 v198, v170, v13 :: v_dual_mul_f32 v199, v172, v15
	s_delay_alu instid0(VALU_DEP_4) | instskip(SKIP_2) | instid1(VALU_DEP_4)
	v_add_f32_e32 v3, v3, v4
	v_dual_add_f32 v5, 0, v32 :: v_dual_mul_f32 v200, v174, v17
	v_mul_f32_e32 v201, v176, v19
	v_fmac_f32_e32 v199, v173, v14
	s_delay_alu instid0(VALU_DEP_4) | instskip(NEXT) | instid1(VALU_DEP_4)
	v_add_f32_e32 v2, v3, v2
	v_dual_mul_f32 v7, v167, v9 :: v_dual_add_f32 v4, v5, v194
	v_dual_mul_f32 v5, v169, v11 :: v_dual_fmac_f32 v198, v171, v12
	v_fmac_f32_e32 v200, v175, v16
	s_delay_alu instid0(VALU_DEP_3) | instskip(NEXT) | instid1(VALU_DEP_4)
	v_fma_f32 v6, v166, v8, -v7
	v_dual_add_f32 v3, v4, v195 :: v_dual_mul_f32 v4, v171, v13
	s_delay_alu instid0(VALU_DEP_4) | instskip(SKIP_1) | instid1(VALU_DEP_4)
	v_fma_f32 v5, v168, v10, -v5
	v_dual_mul_f32 v202, v178, v21 :: v_dual_mul_f32 v203, v180, v23
	v_add_f32_e32 v2, v2, v6
	v_fmac_f32_e32 v197, v169, v10
	v_dual_add_f32 v3, v3, v196 :: v_dual_mul_f32 v6, v173, v15
	v_fma_f32 v4, v170, v12, -v4
	s_delay_alu instid0(VALU_DEP_4) | instskip(SKIP_1) | instid1(VALU_DEP_4)
	v_add_f32_e32 v2, v2, v5
	v_mul_f32_e32 v5, v175, v17
	v_add_f32_e32 v3, v3, v197
	v_fma_f32 v6, v172, v14, -v6
	v_dual_mul_f32 v204, v182, v25 :: v_dual_mul_f32 v205, v184, v27
	v_add_f32_e32 v2, v2, v4
	v_mul_f32_e32 v4, v177, v19
	v_fma_f32 v5, v174, v16, -v5
	v_dual_fmac_f32 v201, v177, v18 :: v_dual_fmac_f32 v202, v179, v20
	s_delay_alu instid0(VALU_DEP_4) | instskip(SKIP_3) | instid1(VALU_DEP_4)
	v_add_f32_e32 v2, v2, v6
	v_add_f32_e32 v3, v3, v198
	v_mul_f32_e32 v6, v179, v21
	v_fma_f32 v4, v176, v18, -v4
	v_dual_fmac_f32 v203, v181, v22 :: v_dual_add_f32 v2, v2, v5
	s_delay_alu instid0(VALU_DEP_4) | instskip(NEXT) | instid1(VALU_DEP_4)
	v_add_f32_e32 v3, v3, v199
	v_fma_f32 v6, v178, v20, -v6
	v_dual_mul_f32 v5, v181, v23 :: v_dual_fmac_f32 v204, v183, v24
	s_delay_alu instid0(VALU_DEP_4) | instskip(NEXT) | instid1(VALU_DEP_4)
	v_dual_fmac_f32 v205, v185, v26 :: v_dual_add_f32 v2, v2, v4
	v_add_f32_e32 v3, v3, v200
	v_mul_f32_e32 v4, v183, v25
	s_delay_alu instid0(VALU_DEP_4) | instskip(SKIP_1) | instid1(VALU_DEP_4)
	v_fma_f32 v5, v180, v22, -v5
	v_dual_mul_f32 v207, v188, v157 :: v_dual_mul_f32 v208, v190, v159
	v_dual_add_f32 v2, v2, v6 :: v_dual_add_f32 v3, v3, v201
	v_mul_f32_e32 v6, v185, v27
	v_fma_f32 v4, v182, v24, -v4
	v_fmac_f32_e32 v206, v187, v28
	v_fmac_f32_e32 v208, v191, v158
	v_dual_add_f32 v3, v3, v202 :: v_dual_add_f32 v2, v2, v5
	v_fma_f32 v6, v184, v26, -v6
	v_fmac_f32_e32 v207, v189, v156
	s_delay_alu instid0(VALU_DEP_3) | instskip(NEXT) | instid1(VALU_DEP_4)
	v_add_f32_e32 v3, v3, v203
	v_dual_mul_f32 v5, v187, v29 :: v_dual_add_f32 v2, v2, v4
	s_delay_alu instid0(VALU_DEP_2) | instskip(NEXT) | instid1(VALU_DEP_2)
	v_dual_mul_f32 v4, v189, v157 :: v_dual_add_f32 v3, v3, v204
	v_fma_f32 v5, v186, v28, -v5
	s_delay_alu instid0(VALU_DEP_3) | instskip(SKIP_1) | instid1(VALU_DEP_4)
	v_add_f32_e32 v2, v2, v6
	v_mul_f32_e32 v6, v191, v159
	v_fma_f32 v4, v188, v156, -v4
	v_add_f32_e32 v3, v3, v205
	s_delay_alu instid0(VALU_DEP_4) | instskip(NEXT) | instid1(VALU_DEP_4)
	v_dual_add_f32 v2, v2, v5 :: v_dual_mul_f32 v5, v193, v31
	v_fma_f32 v6, v190, v158, -v6
	s_delay_alu instid0(VALU_DEP_2) | instskip(NEXT) | instid1(VALU_DEP_3)
	v_dual_add_f32 v3, v3, v206 :: v_dual_add_f32 v2, v2, v4
	v_fma_f32 v4, v192, v30, -v5
	s_delay_alu instid0(VALU_DEP_2) | instskip(NEXT) | instid1(VALU_DEP_1)
	v_dual_add_f32 v3, v3, v207 :: v_dual_add_f32 v2, v2, v6
	v_add_f32_e32 v3, v3, v208
	s_delay_alu instid0(VALU_DEP_2) | instskip(SKIP_1) | instid1(VALU_DEP_1)
	v_dual_fmac_f32 v209, v193, v30 :: v_dual_add_f32 v2, v2, v4
	s_wait_loadcnt 0x0
	v_dual_add_f32 v3, v3, v209 :: v_dual_sub_f32 v2, v153, v2
	s_delay_alu instid0(VALU_DEP_1)
	v_sub_f32_e32 v3, v154, v3
	scratch_store_b64 off, v[2:3], off offset:336
	v_cmpx_lt_u32_e32 41, v0
	s_cbranch_execz .LBB59_291
; %bb.290:
	scratch_load_b64 v[3:4], off, off offset:328
	v_mov_b32_e32 v2, v1
	scratch_store_b64 off, v[1:2], off offset:328
	s_wait_loadcnt 0x0
	ds_store_b64 v155, v[3:4]
.LBB59_291:
	s_wait_alu 0xfffe
	s_or_b32 exec_lo, exec_lo, s0
	s_wait_storecnt_dscnt 0x0
	s_barrier_signal -1
	s_barrier_wait -1
	global_inv scope:SCOPE_SE
	s_clause 0x9
	scratch_load_b128 v[2:5], off, off offset:336
	scratch_load_b128 v[6:9], off, off offset:352
	;; [unrolled: 1-line block ×9, first 2 shown]
	scratch_load_b64 v[30:31], off, off offset:328
	ds_load_b128 v[164:167], v1 offset:816
	ds_load_b128 v[168:171], v1 offset:832
	;; [unrolled: 1-line block ×9, first 2 shown]
	s_mov_b32 s0, exec_lo
	s_wait_loadcnt_dscnt 0x908
	v_dual_mul_f32 v1, v164, v3 :: v_dual_mul_f32 v32, v166, v5
	v_mul_f32_e32 v5, v167, v5
	v_mul_f32_e32 v3, v165, v3
	s_wait_loadcnt_dscnt 0x807
	v_dual_mul_f32 v153, v168, v7 :: v_dual_mul_f32 v154, v170, v9
	s_wait_loadcnt_dscnt 0x706
	v_dual_mul_f32 v200, v172, v11 :: v_dual_mul_f32 v201, v174, v13
	s_wait_loadcnt_dscnt 0x201
	v_mul_f32_e32 v210, v192, v157
	v_fma_f32 v3, v164, v2, -v3
	s_wait_loadcnt_dscnt 0x100
	v_dual_mul_f32 v213, v198, v163 :: v_dual_fmac_f32 v32, v167, v4
	v_dual_fmac_f32 v1, v165, v2 :: v_dual_fmac_f32 v154, v171, v8
	v_mul_f32_e32 v2, v169, v7
	v_fma_f32 v4, v166, v4, -v5
	v_dual_add_f32 v3, 0, v3 :: v_dual_fmac_f32 v200, v173, v10
	v_dual_mul_f32 v202, v176, v15 :: v_dual_mul_f32 v203, v178, v17
	v_add_f32_e32 v1, 0, v1
	s_delay_alu instid0(VALU_DEP_3) | instskip(SKIP_1) | instid1(VALU_DEP_4)
	v_dual_add_f32 v3, v3, v4 :: v_dual_mul_f32 v4, v173, v11
	v_fma_f32 v2, v168, v6, -v2
	v_fmac_f32_e32 v202, v177, v14
	s_delay_alu instid0(VALU_DEP_4)
	v_dual_add_f32 v1, v1, v32 :: v_dual_mul_f32 v204, v180, v19
	v_mul_f32_e32 v205, v182, v21
	v_fma_f32 v4, v172, v10, -v4
	v_mul_f32_e32 v5, v171, v9
	v_add_f32_e32 v2, v3, v2
	v_dual_mul_f32 v3, v175, v13 :: v_dual_fmac_f32 v204, v181, v18
	v_dual_mul_f32 v206, v184, v23 :: v_dual_mul_f32 v207, v186, v25
	s_delay_alu instid0(VALU_DEP_4) | instskip(SKIP_1) | instid1(VALU_DEP_4)
	v_fma_f32 v5, v170, v8, -v5
	v_fmac_f32_e32 v153, v169, v6
	v_fma_f32 v3, v174, v12, -v3
	v_dual_fmac_f32 v203, v179, v16 :: v_dual_mul_f32 v208, v188, v27
	v_mul_f32_e32 v209, v190, v29
	v_add_f32_e32 v2, v2, v5
	v_dual_mul_f32 v211, v194, v159 :: v_dual_mul_f32 v212, v196, v161
	s_delay_alu instid0(VALU_DEP_4) | instskip(NEXT) | instid1(VALU_DEP_3)
	v_dual_fmac_f32 v205, v183, v20 :: v_dual_fmac_f32 v208, v189, v26
	v_dual_add_f32 v2, v2, v4 :: v_dual_add_f32 v1, v1, v153
	v_mul_f32_e32 v4, v179, v17
	v_fmac_f32_e32 v209, v191, v28
	s_delay_alu instid0(VALU_DEP_3) | instskip(NEXT) | instid1(VALU_DEP_4)
	v_dual_fmac_f32 v213, v199, v162 :: v_dual_add_f32 v2, v2, v3
	v_add_f32_e32 v1, v1, v154
	s_delay_alu instid0(VALU_DEP_4) | instskip(SKIP_4) | instid1(VALU_DEP_4)
	v_fma_f32 v4, v178, v16, -v4
	v_mul_f32_e32 v5, v177, v15
	v_fmac_f32_e32 v206, v185, v22
	v_fmac_f32_e32 v210, v193, v156
	;; [unrolled: 1-line block ×3, first 2 shown]
	v_fma_f32 v5, v176, v14, -v5
	s_delay_alu instid0(VALU_DEP_1) | instskip(NEXT) | instid1(VALU_DEP_1)
	v_dual_fmac_f32 v201, v175, v12 :: v_dual_add_f32 v2, v2, v5
	v_dual_mul_f32 v5, v183, v21 :: v_dual_add_f32 v2, v2, v4
	s_delay_alu instid0(VALU_DEP_1) | instskip(SKIP_2) | instid1(VALU_DEP_2)
	v_fma_f32 v5, v182, v20, -v5
	v_mul_f32_e32 v3, v181, v19
	v_mul_f32_e32 v4, v185, v23
	v_fma_f32 v3, v180, v18, -v3
	v_add_f32_e32 v1, v1, v200
	s_delay_alu instid0(VALU_DEP_3) | instskip(NEXT) | instid1(VALU_DEP_3)
	v_fma_f32 v4, v184, v22, -v4
	v_dual_add_f32 v2, v2, v3 :: v_dual_mul_f32 v3, v187, v25
	s_delay_alu instid0(VALU_DEP_1) | instskip(NEXT) | instid1(VALU_DEP_4)
	v_add_f32_e32 v2, v2, v5
	v_add_f32_e32 v1, v1, v201
	s_delay_alu instid0(VALU_DEP_3) | instskip(NEXT) | instid1(VALU_DEP_2)
	v_fma_f32 v3, v186, v24, -v3
	v_dual_add_f32 v2, v2, v4 :: v_dual_add_f32 v1, v1, v202
	v_mul_f32_e32 v4, v191, v29
	s_delay_alu instid0(VALU_DEP_2) | instskip(SKIP_1) | instid1(VALU_DEP_3)
	v_dual_fmac_f32 v207, v187, v24 :: v_dual_add_f32 v2, v2, v3
	v_mul_f32_e32 v3, v193, v157
	v_fma_f32 v4, v190, v28, -v4
	v_mul_f32_e32 v5, v189, v27
	s_delay_alu instid0(VALU_DEP_3) | instskip(NEXT) | instid1(VALU_DEP_2)
	v_fma_f32 v3, v192, v156, -v3
	v_fma_f32 v5, v188, v26, -v5
	s_delay_alu instid0(VALU_DEP_1) | instskip(NEXT) | instid1(VALU_DEP_1)
	v_dual_add_f32 v1, v1, v203 :: v_dual_add_f32 v2, v2, v5
	v_dual_mul_f32 v5, v195, v159 :: v_dual_add_f32 v2, v2, v4
	s_delay_alu instid0(VALU_DEP_2) | instskip(SKIP_1) | instid1(VALU_DEP_3)
	v_add_f32_e32 v1, v1, v204
	v_mul_f32_e32 v4, v197, v161
	v_fma_f32 v5, v194, v158, -v5
	s_delay_alu instid0(VALU_DEP_4) | instskip(SKIP_1) | instid1(VALU_DEP_4)
	v_dual_add_f32 v2, v2, v3 :: v_dual_fmac_f32 v211, v195, v158
	v_mul_f32_e32 v3, v199, v163
	v_fma_f32 v4, v196, v160, -v4
	s_delay_alu instid0(VALU_DEP_3) | instskip(SKIP_1) | instid1(VALU_DEP_4)
	v_add_f32_e32 v2, v2, v5
	v_add_f32_e32 v1, v1, v205
	v_fma_f32 v3, v198, v162, -v3
	s_delay_alu instid0(VALU_DEP_2) | instskip(NEXT) | instid1(VALU_DEP_1)
	v_dual_add_f32 v2, v2, v4 :: v_dual_add_f32 v1, v1, v206
	v_add_f32_e32 v2, v2, v3
	s_delay_alu instid0(VALU_DEP_2) | instskip(NEXT) | instid1(VALU_DEP_1)
	v_add_f32_e32 v1, v1, v207
	v_add_f32_e32 v1, v1, v208
	s_delay_alu instid0(VALU_DEP_1) | instskip(NEXT) | instid1(VALU_DEP_1)
	v_add_f32_e32 v1, v1, v209
	v_add_f32_e32 v1, v1, v210
	s_delay_alu instid0(VALU_DEP_1) | instskip(NEXT) | instid1(VALU_DEP_1)
	v_add_f32_e32 v1, v1, v211
	v_add_f32_e32 v1, v1, v212
	s_delay_alu instid0(VALU_DEP_1) | instskip(SKIP_1) | instid1(VALU_DEP_1)
	v_add_f32_e32 v3, v1, v213
	s_wait_loadcnt 0x0
	v_dual_sub_f32 v1, v30, v2 :: v_dual_sub_f32 v2, v31, v3
	scratch_store_b64 off, v[1:2], off offset:328
	v_cmpx_lt_u32_e32 40, v0
	s_cbranch_execz .LBB59_293
; %bb.292:
	scratch_load_b64 v[1:2], off, off offset:320
	v_mov_b32_e32 v3, 0
	s_delay_alu instid0(VALU_DEP_1)
	v_mov_b32_e32 v4, v3
	scratch_store_b64 off, v[3:4], off offset:320
	s_wait_loadcnt 0x0
	ds_store_b64 v155, v[1:2]
.LBB59_293:
	s_wait_alu 0xfffe
	s_or_b32 exec_lo, exec_lo, s0
	s_wait_storecnt_dscnt 0x0
	s_barrier_signal -1
	s_barrier_wait -1
	global_inv scope:SCOPE_SE
	s_clause 0xa
	scratch_load_b128 v[2:5], off, off offset:328
	scratch_load_b128 v[6:9], off, off offset:344
	;; [unrolled: 1-line block ×9, first 2 shown]
	scratch_load_b64 v[30:31], off, off offset:472
	scratch_load_b64 v[153:154], off, off offset:320
	v_mov_b32_e32 v1, 0
	ds_load_2addr_b64 v[164:167], v1 offset0:101 offset1:102
	ds_load_2addr_b64 v[168:171], v1 offset0:103 offset1:104
	;; [unrolled: 1-line block ×9, first 2 shown]
	ds_load_b64 v[200:201], v1 offset:952
	s_mov_b32 s0, exec_lo
	s_wait_loadcnt_dscnt 0xa09
	v_mul_f32_e32 v32, v164, v3
	s_wait_loadcnt_dscnt 0x908
	v_dual_mul_f32 v202, v166, v5 :: v_dual_mul_f32 v203, v168, v7
	v_mul_f32_e32 v3, v165, v3
	s_delay_alu instid0(VALU_DEP_3)
	v_dual_mul_f32 v5, v167, v5 :: v_dual_fmac_f32 v32, v165, v2
	s_wait_loadcnt_dscnt 0x403
	v_mul_f32_e32 v214, v190, v29
	v_dual_mul_f32 v204, v170, v9 :: v_dual_mul_f32 v205, v172, v11
	v_fma_f32 v3, v164, v2, -v3
	s_wait_loadcnt_dscnt 0x100
	v_mul_f32_e32 v219, v200, v31
	v_mul_f32_e32 v2, v169, v7
	v_fmac_f32_e32 v202, v167, v4
	v_fma_f32 v4, v166, v4, -v5
	v_add_f32_e32 v3, 0, v3
	v_dual_fmac_f32 v203, v169, v6 :: v_dual_fmac_f32 v204, v171, v8
	v_fma_f32 v2, v168, v6, -v2
	v_dual_mul_f32 v206, v174, v13 :: v_dual_mul_f32 v207, v176, v15
	s_delay_alu instid0(VALU_DEP_4) | instskip(SKIP_2) | instid1(VALU_DEP_4)
	v_add_f32_e32 v3, v3, v4
	v_dual_add_f32 v5, 0, v32 :: v_dual_mul_f32 v208, v178, v17
	v_mul_f32_e32 v209, v180, v19
	v_fmac_f32_e32 v207, v177, v14
	s_delay_alu instid0(VALU_DEP_4) | instskip(NEXT) | instid1(VALU_DEP_4)
	v_add_f32_e32 v2, v3, v2
	v_dual_mul_f32 v7, v171, v9 :: v_dual_add_f32 v4, v5, v202
	v_dual_mul_f32 v5, v173, v11 :: v_dual_fmac_f32 v206, v175, v12
	v_fmac_f32_e32 v208, v179, v16
	s_delay_alu instid0(VALU_DEP_3) | instskip(NEXT) | instid1(VALU_DEP_4)
	v_fma_f32 v6, v170, v8, -v7
	v_dual_add_f32 v3, v4, v203 :: v_dual_mul_f32 v4, v175, v13
	s_delay_alu instid0(VALU_DEP_4) | instskip(SKIP_1) | instid1(VALU_DEP_4)
	v_fma_f32 v5, v172, v10, -v5
	v_dual_mul_f32 v210, v182, v21 :: v_dual_mul_f32 v211, v184, v23
	v_add_f32_e32 v2, v2, v6
	v_fmac_f32_e32 v205, v173, v10
	v_dual_add_f32 v3, v3, v204 :: v_dual_mul_f32 v6, v177, v15
	v_fma_f32 v4, v174, v12, -v4
	s_delay_alu instid0(VALU_DEP_4) | instskip(SKIP_1) | instid1(VALU_DEP_4)
	v_add_f32_e32 v2, v2, v5
	v_mul_f32_e32 v5, v179, v17
	v_add_f32_e32 v3, v3, v205
	v_fma_f32 v6, v176, v14, -v6
	v_dual_mul_f32 v212, v186, v25 :: v_dual_mul_f32 v213, v188, v27
	v_add_f32_e32 v2, v2, v4
	v_mul_f32_e32 v4, v181, v19
	v_fma_f32 v5, v178, v16, -v5
	v_dual_fmac_f32 v209, v181, v18 :: v_dual_fmac_f32 v210, v183, v20
	s_delay_alu instid0(VALU_DEP_4) | instskip(SKIP_3) | instid1(VALU_DEP_4)
	v_add_f32_e32 v2, v2, v6
	v_add_f32_e32 v3, v3, v206
	v_mul_f32_e32 v6, v183, v21
	v_fma_f32 v4, v180, v18, -v4
	v_dual_fmac_f32 v211, v185, v22 :: v_dual_add_f32 v2, v2, v5
	s_delay_alu instid0(VALU_DEP_4) | instskip(NEXT) | instid1(VALU_DEP_4)
	v_add_f32_e32 v3, v3, v207
	v_fma_f32 v6, v182, v20, -v6
	v_dual_mul_f32 v5, v185, v23 :: v_dual_fmac_f32 v212, v187, v24
	s_delay_alu instid0(VALU_DEP_4) | instskip(NEXT) | instid1(VALU_DEP_4)
	v_dual_fmac_f32 v213, v189, v26 :: v_dual_add_f32 v2, v2, v4
	v_add_f32_e32 v3, v3, v208
	v_mul_f32_e32 v4, v187, v25
	s_delay_alu instid0(VALU_DEP_4) | instskip(SKIP_1) | instid1(VALU_DEP_4)
	v_fma_f32 v5, v184, v22, -v5
	v_dual_mul_f32 v215, v192, v157 :: v_dual_mul_f32 v216, v194, v159
	v_dual_add_f32 v2, v2, v6 :: v_dual_add_f32 v3, v3, v209
	v_mul_f32_e32 v6, v189, v27
	v_fma_f32 v4, v186, v24, -v4
	v_dual_fmac_f32 v214, v191, v28 :: v_dual_mul_f32 v217, v196, v161
	s_delay_alu instid0(VALU_DEP_4)
	v_dual_mul_f32 v218, v198, v163 :: v_dual_add_f32 v3, v3, v210
	v_add_f32_e32 v2, v2, v5
	v_fma_f32 v6, v188, v26, -v6
	v_dual_fmac_f32 v215, v193, v156 :: v_dual_fmac_f32 v216, v195, v158
	v_fmac_f32_e32 v217, v197, v160
	v_add_f32_e32 v3, v3, v211
	v_dual_mul_f32 v5, v191, v29 :: v_dual_add_f32 v2, v2, v4
	v_mul_f32_e32 v4, v193, v157
	v_fmac_f32_e32 v218, v199, v162
	s_delay_alu instid0(VALU_DEP_4) | instskip(NEXT) | instid1(VALU_DEP_4)
	v_add_f32_e32 v3, v3, v212
	v_fma_f32 v5, v190, v28, -v5
	v_add_f32_e32 v2, v2, v6
	v_mul_f32_e32 v6, v195, v159
	v_fma_f32 v4, v192, v156, -v4
	v_add_f32_e32 v3, v3, v213
	s_delay_alu instid0(VALU_DEP_4) | instskip(SKIP_2) | instid1(VALU_DEP_3)
	v_dual_fmac_f32 v219, v201, v30 :: v_dual_add_f32 v2, v2, v5
	v_mul_f32_e32 v5, v197, v161
	v_fma_f32 v6, v194, v158, -v6
	v_dual_add_f32 v3, v3, v214 :: v_dual_add_f32 v2, v2, v4
	v_mul_f32_e32 v4, v199, v163
	s_delay_alu instid0(VALU_DEP_4) | instskip(NEXT) | instid1(VALU_DEP_3)
	v_fma_f32 v5, v196, v160, -v5
	v_dual_add_f32 v3, v3, v215 :: v_dual_add_f32 v2, v2, v6
	s_delay_alu instid0(VALU_DEP_3) | instskip(NEXT) | instid1(VALU_DEP_2)
	v_fma_f32 v4, v198, v162, -v4
	v_dual_add_f32 v3, v3, v216 :: v_dual_mul_f32 v6, v201, v31
	s_delay_alu instid0(VALU_DEP_1) | instskip(NEXT) | instid1(VALU_DEP_4)
	v_add_f32_e32 v3, v3, v217
	v_add_f32_e32 v2, v2, v5
	s_delay_alu instid0(VALU_DEP_3) | instskip(NEXT) | instid1(VALU_DEP_2)
	v_fma_f32 v5, v200, v30, -v6
	v_dual_add_f32 v3, v3, v218 :: v_dual_add_f32 v2, v2, v4
	s_delay_alu instid0(VALU_DEP_1) | instskip(SKIP_1) | instid1(VALU_DEP_1)
	v_dual_add_f32 v3, v3, v219 :: v_dual_add_f32 v2, v2, v5
	s_wait_loadcnt 0x0
	v_dual_sub_f32 v3, v154, v3 :: v_dual_sub_f32 v2, v153, v2
	scratch_store_b64 off, v[2:3], off offset:320
	v_cmpx_lt_u32_e32 39, v0
	s_cbranch_execz .LBB59_295
; %bb.294:
	scratch_load_b64 v[3:4], off, off offset:312
	v_mov_b32_e32 v2, v1
	scratch_store_b64 off, v[1:2], off offset:312
	s_wait_loadcnt 0x0
	ds_store_b64 v155, v[3:4]
.LBB59_295:
	s_wait_alu 0xfffe
	s_or_b32 exec_lo, exec_lo, s0
	s_wait_storecnt_dscnt 0x0
	s_barrier_signal -1
	s_barrier_wait -1
	global_inv scope:SCOPE_SE
	s_clause 0xa
	scratch_load_b128 v[2:5], off, off offset:320
	scratch_load_b128 v[6:9], off, off offset:336
	;; [unrolled: 1-line block ×10, first 2 shown]
	scratch_load_b64 v[30:31], off, off offset:312
	ds_load_b128 v[168:171], v1 offset:800
	ds_load_b128 v[172:175], v1 offset:816
	;; [unrolled: 1-line block ×10, first 2 shown]
	s_mov_b32 s0, exec_lo
	s_wait_loadcnt_dscnt 0xa09
	v_dual_mul_f32 v1, v168, v3 :: v_dual_mul_f32 v32, v170, v5
	v_mul_f32_e32 v5, v171, v5
	s_wait_loadcnt_dscnt 0x908
	v_dual_mul_f32 v153, v172, v7 :: v_dual_mul_f32 v154, v174, v9
	v_mul_f32_e32 v3, v169, v3
	s_wait_loadcnt_dscnt 0x807
	v_dual_mul_f32 v208, v176, v11 :: v_dual_mul_f32 v209, v178, v13
	s_wait_loadcnt_dscnt 0x100
	v_dual_mul_f32 v220, v200, v161 :: v_dual_mul_f32 v223, v206, v167
	v_fmac_f32_e32 v32, v171, v4
	v_fma_f32 v3, v168, v2, -v3
	v_dual_fmac_f32 v1, v169, v2 :: v_dual_fmac_f32 v154, v175, v8
	v_mul_f32_e32 v2, v173, v7
	v_fma_f32 v4, v170, v4, -v5
	s_delay_alu instid0(VALU_DEP_4) | instskip(SKIP_2) | instid1(VALU_DEP_3)
	v_dual_add_f32 v3, 0, v3 :: v_dual_fmac_f32 v208, v177, v10
	v_dual_mul_f32 v210, v180, v15 :: v_dual_mul_f32 v211, v182, v17
	v_add_f32_e32 v1, 0, v1
	v_dual_add_f32 v3, v3, v4 :: v_dual_mul_f32 v4, v177, v11
	v_fma_f32 v2, v172, v6, -v2
	s_delay_alu instid0(VALU_DEP_4) | instskip(NEXT) | instid1(VALU_DEP_4)
	v_fmac_f32_e32 v210, v181, v14
	v_dual_add_f32 v1, v1, v32 :: v_dual_mul_f32 v212, v184, v19
	v_mul_f32_e32 v213, v186, v21
	v_fma_f32 v4, v176, v10, -v4
	v_mul_f32_e32 v5, v175, v9
	v_add_f32_e32 v2, v3, v2
	v_dual_mul_f32 v3, v179, v13 :: v_dual_fmac_f32 v212, v185, v18
	v_dual_mul_f32 v214, v188, v23 :: v_dual_mul_f32 v215, v190, v25
	s_delay_alu instid0(VALU_DEP_4) | instskip(SKIP_1) | instid1(VALU_DEP_4)
	v_fma_f32 v5, v174, v8, -v5
	v_fmac_f32_e32 v153, v173, v6
	v_fma_f32 v3, v178, v12, -v3
	v_dual_fmac_f32 v211, v183, v16 :: v_dual_mul_f32 v218, v196, v157
	v_mul_f32_e32 v219, v198, v159
	v_add_f32_e32 v2, v2, v5
	v_dual_mul_f32 v216, v192, v27 :: v_dual_mul_f32 v217, v194, v29
	v_fmac_f32_e32 v213, v187, v20
	v_dual_mul_f32 v221, v202, v163 :: v_dual_mul_f32 v222, v204, v165
	s_delay_alu instid0(VALU_DEP_4) | instskip(SKIP_2) | instid1(VALU_DEP_3)
	v_dual_add_f32 v2, v2, v4 :: v_dual_add_f32 v1, v1, v153
	v_mul_f32_e32 v4, v183, v17
	v_dual_fmac_f32 v217, v195, v28 :: v_dual_fmac_f32 v216, v193, v26
	v_dual_add_f32 v2, v2, v3 :: v_dual_add_f32 v1, v1, v154
	s_delay_alu instid0(VALU_DEP_3)
	v_fma_f32 v4, v182, v16, -v4
	v_mul_f32_e32 v5, v181, v15
	v_fmac_f32_e32 v221, v203, v162
	v_fmac_f32_e32 v223, v207, v166
	;; [unrolled: 1-line block ×4, first 2 shown]
	v_fma_f32 v5, v180, v14, -v5
	v_fmac_f32_e32 v209, v179, v12
	v_fmac_f32_e32 v220, v201, v160
	v_fmac_f32_e32 v222, v205, v164
	s_delay_alu instid0(VALU_DEP_4) | instskip(NEXT) | instid1(VALU_DEP_1)
	v_add_f32_e32 v2, v2, v5
	v_dual_mul_f32 v5, v187, v21 :: v_dual_add_f32 v2, v2, v4
	s_delay_alu instid0(VALU_DEP_1) | instskip(SKIP_2) | instid1(VALU_DEP_2)
	v_fma_f32 v5, v186, v20, -v5
	v_mul_f32_e32 v3, v185, v19
	v_mul_f32_e32 v4, v189, v23
	v_fma_f32 v3, v184, v18, -v3
	v_add_f32_e32 v1, v1, v208
	s_delay_alu instid0(VALU_DEP_3) | instskip(NEXT) | instid1(VALU_DEP_3)
	v_fma_f32 v4, v188, v22, -v4
	v_dual_add_f32 v2, v2, v3 :: v_dual_mul_f32 v3, v191, v25
	s_delay_alu instid0(VALU_DEP_1) | instskip(NEXT) | instid1(VALU_DEP_4)
	v_add_f32_e32 v2, v2, v5
	v_add_f32_e32 v1, v1, v209
	s_delay_alu instid0(VALU_DEP_3) | instskip(NEXT) | instid1(VALU_DEP_2)
	v_fma_f32 v3, v190, v24, -v3
	v_dual_add_f32 v2, v2, v4 :: v_dual_add_f32 v1, v1, v210
	v_mul_f32_e32 v4, v195, v29
	s_delay_alu instid0(VALU_DEP_2) | instskip(SKIP_1) | instid1(VALU_DEP_3)
	v_dual_fmac_f32 v215, v191, v24 :: v_dual_add_f32 v2, v2, v3
	v_mul_f32_e32 v3, v197, v157
	v_fma_f32 v4, v194, v28, -v4
	v_mul_f32_e32 v5, v193, v27
	s_delay_alu instid0(VALU_DEP_3) | instskip(NEXT) | instid1(VALU_DEP_2)
	v_fma_f32 v3, v196, v156, -v3
	v_fma_f32 v5, v192, v26, -v5
	s_delay_alu instid0(VALU_DEP_1) | instskip(NEXT) | instid1(VALU_DEP_1)
	v_dual_add_f32 v1, v1, v211 :: v_dual_add_f32 v2, v2, v5
	v_dual_mul_f32 v5, v199, v159 :: v_dual_add_f32 v2, v2, v4
	s_delay_alu instid0(VALU_DEP_2) | instskip(SKIP_1) | instid1(VALU_DEP_3)
	v_add_f32_e32 v1, v1, v212
	v_mul_f32_e32 v4, v201, v161
	v_fma_f32 v5, v198, v158, -v5
	s_delay_alu instid0(VALU_DEP_4) | instskip(SKIP_1) | instid1(VALU_DEP_4)
	v_dual_add_f32 v2, v2, v3 :: v_dual_fmac_f32 v219, v199, v158
	v_mul_f32_e32 v3, v203, v163
	v_fma_f32 v4, v200, v160, -v4
	s_delay_alu instid0(VALU_DEP_3) | instskip(SKIP_1) | instid1(VALU_DEP_4)
	v_add_f32_e32 v2, v2, v5
	v_add_f32_e32 v1, v1, v213
	v_fma_f32 v3, v202, v162, -v3
	s_delay_alu instid0(VALU_DEP_2) | instskip(SKIP_1) | instid1(VALU_DEP_2)
	v_dual_add_f32 v2, v2, v4 :: v_dual_add_f32 v1, v1, v214
	v_dual_mul_f32 v4, v207, v167 :: v_dual_mul_f32 v5, v205, v165
	v_add_f32_e32 v2, v2, v3
	s_delay_alu instid0(VALU_DEP_2) | instskip(NEXT) | instid1(VALU_DEP_3)
	v_fma_f32 v3, v206, v166, -v4
	v_fma_f32 v5, v204, v164, -v5
	s_delay_alu instid0(VALU_DEP_1) | instskip(NEXT) | instid1(VALU_DEP_1)
	v_dual_add_f32 v1, v1, v215 :: v_dual_add_f32 v2, v2, v5
	v_dual_add_f32 v1, v1, v216 :: v_dual_add_f32 v2, v2, v3
	s_delay_alu instid0(VALU_DEP_1) | instskip(NEXT) | instid1(VALU_DEP_1)
	v_add_f32_e32 v1, v1, v217
	v_add_f32_e32 v1, v1, v218
	s_delay_alu instid0(VALU_DEP_1) | instskip(NEXT) | instid1(VALU_DEP_1)
	v_add_f32_e32 v1, v1, v219
	v_add_f32_e32 v1, v1, v220
	;; [unrolled: 3-line block ×3, first 2 shown]
	s_delay_alu instid0(VALU_DEP_1) | instskip(SKIP_1) | instid1(VALU_DEP_1)
	v_add_f32_e32 v3, v1, v223
	s_wait_loadcnt 0x0
	v_dual_sub_f32 v1, v30, v2 :: v_dual_sub_f32 v2, v31, v3
	scratch_store_b64 off, v[1:2], off offset:312
	v_cmpx_lt_u32_e32 38, v0
	s_cbranch_execz .LBB59_297
; %bb.296:
	scratch_load_b64 v[1:2], off, off offset:304
	v_mov_b32_e32 v3, 0
	s_delay_alu instid0(VALU_DEP_1)
	v_mov_b32_e32 v4, v3
	scratch_store_b64 off, v[3:4], off offset:304
	s_wait_loadcnt 0x0
	ds_store_b64 v155, v[1:2]
.LBB59_297:
	s_wait_alu 0xfffe
	s_or_b32 exec_lo, exec_lo, s0
	s_wait_storecnt_dscnt 0x0
	s_barrier_signal -1
	s_barrier_wait -1
	global_inv scope:SCOPE_SE
	s_clause 0xb
	scratch_load_b128 v[2:5], off, off offset:312
	scratch_load_b128 v[6:9], off, off offset:328
	;; [unrolled: 1-line block ×10, first 2 shown]
	scratch_load_b64 v[30:31], off, off offset:472
	scratch_load_b64 v[153:154], off, off offset:304
	v_mov_b32_e32 v1, 0
	ds_load_2addr_b64 v[168:171], v1 offset0:99 offset1:100
	ds_load_2addr_b64 v[172:175], v1 offset0:101 offset1:102
	;; [unrolled: 1-line block ×10, first 2 shown]
	ds_load_b64 v[208:209], v1 offset:952
	s_mov_b32 s0, exec_lo
	s_wait_loadcnt_dscnt 0xb0a
	v_mul_f32_e32 v32, v168, v3
	s_wait_loadcnt_dscnt 0xa09
	v_dual_mul_f32 v210, v170, v5 :: v_dual_mul_f32 v211, v172, v7
	v_mul_f32_e32 v3, v169, v3
	v_mul_f32_e32 v5, v171, v5
	s_wait_loadcnt_dscnt 0x908
	v_dual_mul_f32 v212, v174, v9 :: v_dual_mul_f32 v213, v176, v11
	s_wait_loadcnt_dscnt 0x504
	v_mul_f32_e32 v222, v194, v29
	v_fma_f32 v3, v168, v2, -v3
	s_wait_loadcnt_dscnt 0x100
	v_dual_fmac_f32 v32, v169, v2 :: v_dual_mul_f32 v229, v208, v31
	v_mul_f32_e32 v2, v173, v7
	s_delay_alu instid0(VALU_DEP_3) | instskip(SKIP_2) | instid1(VALU_DEP_4)
	v_dual_fmac_f32 v210, v171, v4 :: v_dual_add_f32 v3, 0, v3
	v_fma_f32 v4, v170, v4, -v5
	v_dual_fmac_f32 v211, v173, v6 :: v_dual_fmac_f32 v212, v175, v8
	v_fma_f32 v2, v172, v6, -v2
	v_dual_mul_f32 v214, v178, v13 :: v_dual_mul_f32 v215, v180, v15
	s_delay_alu instid0(VALU_DEP_4) | instskip(SKIP_2) | instid1(VALU_DEP_4)
	v_add_f32_e32 v3, v3, v4
	v_dual_add_f32 v5, 0, v32 :: v_dual_mul_f32 v216, v182, v17
	v_mul_f32_e32 v217, v184, v19
	v_fmac_f32_e32 v215, v181, v14
	s_delay_alu instid0(VALU_DEP_4) | instskip(NEXT) | instid1(VALU_DEP_4)
	v_add_f32_e32 v2, v3, v2
	v_dual_mul_f32 v7, v175, v9 :: v_dual_add_f32 v4, v5, v210
	v_dual_mul_f32 v5, v177, v11 :: v_dual_fmac_f32 v214, v179, v12
	v_fmac_f32_e32 v216, v183, v16
	s_delay_alu instid0(VALU_DEP_3) | instskip(NEXT) | instid1(VALU_DEP_4)
	v_fma_f32 v6, v174, v8, -v7
	v_dual_add_f32 v3, v4, v211 :: v_dual_mul_f32 v4, v179, v13
	s_delay_alu instid0(VALU_DEP_4) | instskip(SKIP_1) | instid1(VALU_DEP_4)
	v_fma_f32 v5, v176, v10, -v5
	v_dual_mul_f32 v218, v186, v21 :: v_dual_mul_f32 v219, v188, v23
	v_add_f32_e32 v2, v2, v6
	v_fmac_f32_e32 v213, v177, v10
	v_dual_add_f32 v3, v3, v212 :: v_dual_mul_f32 v6, v181, v15
	v_fma_f32 v4, v178, v12, -v4
	s_delay_alu instid0(VALU_DEP_4) | instskip(SKIP_1) | instid1(VALU_DEP_4)
	v_add_f32_e32 v2, v2, v5
	v_mul_f32_e32 v5, v183, v17
	v_add_f32_e32 v3, v3, v213
	v_fma_f32 v6, v180, v14, -v6
	v_dual_mul_f32 v220, v190, v25 :: v_dual_mul_f32 v221, v192, v27
	v_add_f32_e32 v2, v2, v4
	v_mul_f32_e32 v4, v185, v19
	v_fma_f32 v5, v182, v16, -v5
	v_dual_fmac_f32 v217, v185, v18 :: v_dual_fmac_f32 v218, v187, v20
	s_delay_alu instid0(VALU_DEP_4) | instskip(SKIP_3) | instid1(VALU_DEP_4)
	v_add_f32_e32 v2, v2, v6
	v_add_f32_e32 v3, v3, v214
	v_mul_f32_e32 v6, v187, v21
	v_fma_f32 v4, v184, v18, -v4
	v_dual_fmac_f32 v219, v189, v22 :: v_dual_add_f32 v2, v2, v5
	s_delay_alu instid0(VALU_DEP_4) | instskip(NEXT) | instid1(VALU_DEP_4)
	v_add_f32_e32 v3, v3, v215
	v_fma_f32 v6, v186, v20, -v6
	v_dual_mul_f32 v5, v189, v23 :: v_dual_fmac_f32 v220, v191, v24
	s_delay_alu instid0(VALU_DEP_4) | instskip(NEXT) | instid1(VALU_DEP_4)
	v_dual_fmac_f32 v221, v193, v26 :: v_dual_add_f32 v2, v2, v4
	v_add_f32_e32 v3, v3, v216
	v_mul_f32_e32 v4, v191, v25
	s_delay_alu instid0(VALU_DEP_4) | instskip(SKIP_1) | instid1(VALU_DEP_4)
	v_fma_f32 v5, v188, v22, -v5
	v_dual_mul_f32 v223, v196, v157 :: v_dual_mul_f32 v224, v198, v159
	v_dual_add_f32 v2, v2, v6 :: v_dual_add_f32 v3, v3, v217
	v_mul_f32_e32 v6, v193, v27
	v_fma_f32 v4, v190, v24, -v4
	v_dual_fmac_f32 v222, v195, v28 :: v_dual_mul_f32 v225, v200, v161
	s_delay_alu instid0(VALU_DEP_4)
	v_dual_mul_f32 v226, v202, v163 :: v_dual_add_f32 v3, v3, v218
	v_add_f32_e32 v2, v2, v5
	v_fma_f32 v6, v192, v26, -v6
	v_dual_fmac_f32 v223, v197, v156 :: v_dual_fmac_f32 v224, v199, v158
	v_fmac_f32_e32 v225, v201, v160
	v_add_f32_e32 v3, v3, v219
	v_dual_mul_f32 v5, v195, v29 :: v_dual_add_f32 v2, v2, v4
	v_mul_f32_e32 v4, v197, v157
	v_dual_mul_f32 v227, v204, v165 :: v_dual_mul_f32 v228, v206, v167
	s_delay_alu instid0(VALU_DEP_4) | instskip(NEXT) | instid1(VALU_DEP_4)
	v_add_f32_e32 v3, v3, v220
	v_fma_f32 v5, v194, v28, -v5
	v_add_f32_e32 v2, v2, v6
	v_mul_f32_e32 v6, v199, v159
	v_fma_f32 v4, v196, v156, -v4
	v_add_f32_e32 v3, v3, v221
	v_fmac_f32_e32 v226, v203, v162
	v_add_f32_e32 v2, v2, v5
	v_mul_f32_e32 v5, v201, v161
	v_fma_f32 v6, v198, v158, -v6
	v_add_f32_e32 v3, v3, v222
	v_fmac_f32_e32 v227, v205, v164
	;; [unrolled: 5-line block ×3, first 2 shown]
	v_add_f32_e32 v2, v2, v6
	v_mul_f32_e32 v6, v205, v165
	v_fma_f32 v4, v202, v162, -v4
	v_add_f32_e32 v3, v3, v224
	s_delay_alu instid0(VALU_DEP_1) | instskip(SKIP_2) | instid1(VALU_DEP_2)
	v_add_f32_e32 v3, v3, v225
	v_dual_add_f32 v2, v2, v5 :: v_dual_mul_f32 v5, v207, v167
	v_fma_f32 v6, v204, v164, -v6
	v_dual_add_f32 v3, v3, v226 :: v_dual_add_f32 v2, v2, v4
	s_delay_alu instid0(VALU_DEP_3) | instskip(NEXT) | instid1(VALU_DEP_2)
	v_fma_f32 v5, v206, v166, -v5
	v_dual_add_f32 v3, v3, v227 :: v_dual_add_f32 v2, v2, v6
	v_mul_f32_e32 v4, v209, v31
	v_fmac_f32_e32 v229, v209, v30
	s_delay_alu instid0(VALU_DEP_3) | instskip(NEXT) | instid1(VALU_DEP_3)
	v_dual_add_f32 v3, v3, v228 :: v_dual_add_f32 v2, v2, v5
	v_fma_f32 v4, v208, v30, -v4
	s_delay_alu instid0(VALU_DEP_1) | instskip(SKIP_1) | instid1(VALU_DEP_1)
	v_dual_add_f32 v3, v3, v229 :: v_dual_add_f32 v2, v2, v4
	s_wait_loadcnt 0x0
	v_dual_sub_f32 v3, v154, v3 :: v_dual_sub_f32 v2, v153, v2
	scratch_store_b64 off, v[2:3], off offset:304
	v_cmpx_lt_u32_e32 37, v0
	s_cbranch_execz .LBB59_299
; %bb.298:
	scratch_load_b64 v[3:4], off, off offset:296
	v_mov_b32_e32 v2, v1
	scratch_store_b64 off, v[1:2], off offset:296
	s_wait_loadcnt 0x0
	ds_store_b64 v155, v[3:4]
.LBB59_299:
	s_wait_alu 0xfffe
	s_or_b32 exec_lo, exec_lo, s0
	s_wait_storecnt_dscnt 0x0
	s_barrier_signal -1
	s_barrier_wait -1
	global_inv scope:SCOPE_SE
	s_clause 0xb
	scratch_load_b128 v[2:5], off, off offset:304
	scratch_load_b128 v[6:9], off, off offset:320
	;; [unrolled: 1-line block ×11, first 2 shown]
	scratch_load_b64 v[30:31], off, off offset:296
	ds_load_b128 v[172:175], v1 offset:784
	ds_load_b128 v[176:179], v1 offset:800
	;; [unrolled: 1-line block ×11, first 2 shown]
	s_mov_b32 s0, exec_lo
	s_wait_loadcnt_dscnt 0xb0a
	v_dual_mul_f32 v1, v172, v3 :: v_dual_mul_f32 v32, v174, v5
	v_mul_f32_e32 v5, v175, v5
	s_wait_loadcnt_dscnt 0xa09
	v_dual_mul_f32 v153, v176, v7 :: v_dual_mul_f32 v154, v178, v9
	v_mul_f32_e32 v3, v173, v3
	s_wait_loadcnt_dscnt 0x908
	v_dual_mul_f32 v216, v180, v11 :: v_dual_mul_f32 v217, v182, v13
	s_delay_alu instid0(VALU_DEP_3)
	v_dual_fmac_f32 v1, v173, v2 :: v_dual_fmac_f32 v154, v179, v8
	s_wait_loadcnt_dscnt 0x201
	v_mul_f32_e32 v230, v208, v165
	v_fma_f32 v3, v172, v2, -v3
	s_wait_loadcnt_dscnt 0x100
	v_dual_mul_f32 v233, v214, v171 :: v_dual_fmac_f32 v32, v175, v4
	v_mul_f32_e32 v2, v177, v7
	v_fma_f32 v4, v174, v4, -v5
	v_dual_add_f32 v3, 0, v3 :: v_dual_fmac_f32 v216, v181, v10
	v_dual_mul_f32 v218, v184, v15 :: v_dual_mul_f32 v219, v186, v17
	v_add_f32_e32 v1, 0, v1
	s_delay_alu instid0(VALU_DEP_3) | instskip(SKIP_1) | instid1(VALU_DEP_4)
	v_dual_add_f32 v3, v3, v4 :: v_dual_mul_f32 v4, v181, v11
	v_fma_f32 v2, v176, v6, -v2
	v_fmac_f32_e32 v218, v185, v14
	s_delay_alu instid0(VALU_DEP_4)
	v_dual_add_f32 v1, v1, v32 :: v_dual_mul_f32 v220, v188, v19
	v_mul_f32_e32 v221, v190, v21
	v_fma_f32 v4, v180, v10, -v4
	v_mul_f32_e32 v5, v179, v9
	v_add_f32_e32 v2, v3, v2
	v_dual_mul_f32 v3, v183, v13 :: v_dual_fmac_f32 v220, v189, v18
	v_dual_mul_f32 v222, v192, v23 :: v_dual_mul_f32 v223, v194, v25
	s_delay_alu instid0(VALU_DEP_4) | instskip(SKIP_1) | instid1(VALU_DEP_4)
	v_fma_f32 v5, v178, v8, -v5
	v_fmac_f32_e32 v153, v177, v6
	v_fma_f32 v3, v182, v12, -v3
	v_dual_fmac_f32 v219, v187, v16 :: v_dual_mul_f32 v226, v200, v157
	v_mul_f32_e32 v227, v202, v159
	v_add_f32_e32 v2, v2, v5
	v_dual_mul_f32 v224, v196, v27 :: v_dual_mul_f32 v225, v198, v29
	v_dual_mul_f32 v228, v204, v161 :: v_dual_mul_f32 v229, v206, v163
	s_delay_alu instid0(VALU_DEP_3) | instskip(SKIP_1) | instid1(VALU_DEP_4)
	v_dual_add_f32 v2, v2, v4 :: v_dual_add_f32 v1, v1, v153
	v_mul_f32_e32 v4, v187, v17
	v_fmac_f32_e32 v225, v199, v28
	v_dual_fmac_f32 v221, v191, v20 :: v_dual_fmac_f32 v224, v197, v26
	s_delay_alu instid0(VALU_DEP_4) | instskip(NEXT) | instid1(VALU_DEP_4)
	v_dual_add_f32 v2, v2, v3 :: v_dual_add_f32 v1, v1, v154
	v_fma_f32 v4, v186, v16, -v4
	v_mul_f32_e32 v5, v185, v15
	v_dual_mul_f32 v231, v210, v167 :: v_dual_mul_f32 v232, v212, v169
	v_fmac_f32_e32 v229, v207, v162
	v_fmac_f32_e32 v233, v215, v170
	s_delay_alu instid0(VALU_DEP_4) | instskip(SKIP_2) | instid1(VALU_DEP_3)
	v_fma_f32 v5, v184, v14, -v5
	v_dual_fmac_f32 v217, v183, v12 :: v_dual_fmac_f32 v222, v193, v22
	v_dual_fmac_f32 v232, v213, v168 :: v_dual_fmac_f32 v231, v211, v166
	v_add_f32_e32 v2, v2, v5
	v_dual_mul_f32 v5, v191, v21 :: v_dual_fmac_f32 v226, v201, v156
	v_fmac_f32_e32 v228, v205, v160
	v_fmac_f32_e32 v230, v209, v164
	s_delay_alu instid0(VALU_DEP_4) | instskip(NEXT) | instid1(VALU_DEP_4)
	v_add_f32_e32 v2, v2, v4
	v_fma_f32 v5, v190, v20, -v5
	v_mul_f32_e32 v3, v189, v19
	v_mul_f32_e32 v4, v193, v23
	s_delay_alu instid0(VALU_DEP_2) | instskip(SKIP_1) | instid1(VALU_DEP_3)
	v_fma_f32 v3, v188, v18, -v3
	v_add_f32_e32 v1, v1, v216
	v_fma_f32 v4, v192, v22, -v4
	s_delay_alu instid0(VALU_DEP_3) | instskip(NEXT) | instid1(VALU_DEP_1)
	v_dual_add_f32 v2, v2, v3 :: v_dual_mul_f32 v3, v195, v25
	v_add_f32_e32 v2, v2, v5
	s_delay_alu instid0(VALU_DEP_4) | instskip(NEXT) | instid1(VALU_DEP_3)
	v_add_f32_e32 v1, v1, v217
	v_fma_f32 v3, v194, v24, -v3
	s_delay_alu instid0(VALU_DEP_2) | instskip(SKIP_1) | instid1(VALU_DEP_2)
	v_dual_add_f32 v2, v2, v4 :: v_dual_add_f32 v1, v1, v218
	v_mul_f32_e32 v4, v199, v29
	v_dual_fmac_f32 v223, v195, v24 :: v_dual_add_f32 v2, v2, v3
	v_mul_f32_e32 v3, v201, v157
	s_delay_alu instid0(VALU_DEP_3) | instskip(SKIP_1) | instid1(VALU_DEP_3)
	v_fma_f32 v4, v198, v28, -v4
	v_mul_f32_e32 v5, v197, v27
	v_fma_f32 v3, v200, v156, -v3
	s_delay_alu instid0(VALU_DEP_2) | instskip(NEXT) | instid1(VALU_DEP_1)
	v_fma_f32 v5, v196, v26, -v5
	v_dual_add_f32 v1, v1, v219 :: v_dual_add_f32 v2, v2, v5
	s_delay_alu instid0(VALU_DEP_1) | instskip(NEXT) | instid1(VALU_DEP_2)
	v_dual_mul_f32 v5, v203, v159 :: v_dual_add_f32 v2, v2, v4
	v_add_f32_e32 v1, v1, v220
	v_mul_f32_e32 v4, v205, v161
	s_delay_alu instid0(VALU_DEP_3) | instskip(NEXT) | instid1(VALU_DEP_4)
	v_fma_f32 v5, v202, v158, -v5
	v_dual_add_f32 v2, v2, v3 :: v_dual_fmac_f32 v227, v203, v158
	v_mul_f32_e32 v3, v207, v163
	s_delay_alu instid0(VALU_DEP_4) | instskip(NEXT) | instid1(VALU_DEP_3)
	v_fma_f32 v4, v204, v160, -v4
	v_add_f32_e32 v2, v2, v5
	v_add_f32_e32 v1, v1, v221
	s_delay_alu instid0(VALU_DEP_4) | instskip(NEXT) | instid1(VALU_DEP_3)
	v_fma_f32 v3, v206, v162, -v3
	v_dual_add_f32 v2, v2, v4 :: v_dual_mul_f32 v5, v209, v165
	s_delay_alu instid0(VALU_DEP_3) | instskip(NEXT) | instid1(VALU_DEP_2)
	v_dual_add_f32 v1, v1, v222 :: v_dual_mul_f32 v4, v211, v167
	v_add_f32_e32 v2, v2, v3
	s_delay_alu instid0(VALU_DEP_3) | instskip(NEXT) | instid1(VALU_DEP_3)
	v_fma_f32 v5, v208, v164, -v5
	v_add_f32_e32 v1, v1, v223
	v_mul_f32_e32 v3, v213, v169
	v_fma_f32 v4, v210, v166, -v4
	s_delay_alu instid0(VALU_DEP_4) | instskip(NEXT) | instid1(VALU_DEP_3)
	v_dual_add_f32 v2, v2, v5 :: v_dual_mul_f32 v5, v215, v171
	v_fma_f32 v3, v212, v168, -v3
	s_delay_alu instid0(VALU_DEP_2) | instskip(SKIP_1) | instid1(VALU_DEP_4)
	v_add_f32_e32 v2, v2, v4
	v_add_f32_e32 v1, v1, v224
	v_fma_f32 v4, v214, v170, -v5
	s_delay_alu instid0(VALU_DEP_2) | instskip(NEXT) | instid1(VALU_DEP_1)
	v_dual_add_f32 v2, v2, v3 :: v_dual_add_f32 v1, v1, v225
	v_dual_add_f32 v2, v2, v4 :: v_dual_add_f32 v1, v1, v226
	s_delay_alu instid0(VALU_DEP_1) | instskip(NEXT) | instid1(VALU_DEP_1)
	v_add_f32_e32 v1, v1, v227
	v_add_f32_e32 v1, v1, v228
	s_delay_alu instid0(VALU_DEP_1) | instskip(NEXT) | instid1(VALU_DEP_1)
	v_add_f32_e32 v1, v1, v229
	v_add_f32_e32 v1, v1, v230
	s_delay_alu instid0(VALU_DEP_1) | instskip(NEXT) | instid1(VALU_DEP_1)
	v_add_f32_e32 v1, v1, v231
	v_add_f32_e32 v1, v1, v232
	s_delay_alu instid0(VALU_DEP_1) | instskip(SKIP_1) | instid1(VALU_DEP_1)
	v_add_f32_e32 v3, v1, v233
	s_wait_loadcnt 0x0
	v_dual_sub_f32 v1, v30, v2 :: v_dual_sub_f32 v2, v31, v3
	scratch_store_b64 off, v[1:2], off offset:296
	v_cmpx_lt_u32_e32 36, v0
	s_cbranch_execz .LBB59_301
; %bb.300:
	scratch_load_b64 v[1:2], off, off offset:288
	v_mov_b32_e32 v3, 0
	s_delay_alu instid0(VALU_DEP_1)
	v_mov_b32_e32 v4, v3
	scratch_store_b64 off, v[3:4], off offset:288
	s_wait_loadcnt 0x0
	ds_store_b64 v155, v[1:2]
.LBB59_301:
	s_wait_alu 0xfffe
	s_or_b32 exec_lo, exec_lo, s0
	s_wait_storecnt_dscnt 0x0
	s_barrier_signal -1
	s_barrier_wait -1
	global_inv scope:SCOPE_SE
	s_clause 0xc
	scratch_load_b128 v[2:5], off, off offset:296
	scratch_load_b128 v[6:9], off, off offset:312
	;; [unrolled: 1-line block ×11, first 2 shown]
	scratch_load_b64 v[30:31], off, off offset:472
	scratch_load_b64 v[153:154], off, off offset:288
	v_mov_b32_e32 v1, 0
	ds_load_2addr_b64 v[172:175], v1 offset0:97 offset1:98
	ds_load_2addr_b64 v[176:179], v1 offset0:99 offset1:100
	;; [unrolled: 1-line block ×11, first 2 shown]
	ds_load_b64 v[216:217], v1 offset:952
	s_mov_b32 s0, exec_lo
	s_wait_loadcnt_dscnt 0xc0b
	v_mul_f32_e32 v32, v172, v3
	s_wait_loadcnt_dscnt 0xb0a
	v_dual_mul_f32 v218, v174, v5 :: v_dual_mul_f32 v219, v176, v7
	v_mul_f32_e32 v3, v173, v3
	v_mul_f32_e32 v5, v175, v5
	s_wait_loadcnt_dscnt 0xa09
	v_dual_mul_f32 v220, v178, v9 :: v_dual_mul_f32 v221, v180, v11
	s_wait_loadcnt_dscnt 0x605
	v_mul_f32_e32 v230, v198, v29
	v_fma_f32 v3, v172, v2, -v3
	v_fmac_f32_e32 v32, v173, v2
	v_mul_f32_e32 v2, v177, v7
	s_wait_loadcnt_dscnt 0x100
	v_dual_mul_f32 v239, v216, v31 :: v_dual_fmac_f32 v218, v175, v4
	v_add_f32_e32 v3, 0, v3
	v_fma_f32 v4, v174, v4, -v5
	v_fma_f32 v2, v176, v6, -v2
	v_dual_fmac_f32 v219, v177, v6 :: v_dual_fmac_f32 v220, v179, v8
	v_dual_mul_f32 v222, v182, v13 :: v_dual_mul_f32 v223, v184, v15
	s_delay_alu instid0(VALU_DEP_4) | instskip(SKIP_2) | instid1(VALU_DEP_4)
	v_add_f32_e32 v3, v3, v4
	v_dual_add_f32 v5, 0, v32 :: v_dual_mul_f32 v224, v186, v17
	v_mul_f32_e32 v225, v188, v19
	v_fmac_f32_e32 v223, v185, v14
	s_delay_alu instid0(VALU_DEP_4) | instskip(NEXT) | instid1(VALU_DEP_4)
	v_add_f32_e32 v2, v3, v2
	v_dual_mul_f32 v7, v179, v9 :: v_dual_add_f32 v4, v5, v218
	v_dual_mul_f32 v5, v181, v11 :: v_dual_fmac_f32 v222, v183, v12
	v_fmac_f32_e32 v224, v187, v16
	s_delay_alu instid0(VALU_DEP_3) | instskip(NEXT) | instid1(VALU_DEP_4)
	v_fma_f32 v6, v178, v8, -v7
	v_dual_add_f32 v3, v4, v219 :: v_dual_mul_f32 v4, v183, v13
	s_delay_alu instid0(VALU_DEP_4) | instskip(SKIP_1) | instid1(VALU_DEP_4)
	v_fma_f32 v5, v180, v10, -v5
	v_dual_mul_f32 v226, v190, v21 :: v_dual_mul_f32 v227, v192, v23
	v_add_f32_e32 v2, v2, v6
	v_fmac_f32_e32 v221, v181, v10
	v_dual_add_f32 v3, v3, v220 :: v_dual_mul_f32 v6, v185, v15
	v_fma_f32 v4, v182, v12, -v4
	s_delay_alu instid0(VALU_DEP_4) | instskip(SKIP_1) | instid1(VALU_DEP_4)
	v_add_f32_e32 v2, v2, v5
	v_mul_f32_e32 v5, v187, v17
	v_add_f32_e32 v3, v3, v221
	v_fma_f32 v6, v184, v14, -v6
	v_dual_mul_f32 v228, v194, v25 :: v_dual_mul_f32 v229, v196, v27
	v_add_f32_e32 v2, v2, v4
	v_mul_f32_e32 v4, v189, v19
	v_fma_f32 v5, v186, v16, -v5
	v_dual_fmac_f32 v225, v189, v18 :: v_dual_fmac_f32 v226, v191, v20
	s_delay_alu instid0(VALU_DEP_4) | instskip(SKIP_3) | instid1(VALU_DEP_4)
	v_add_f32_e32 v2, v2, v6
	v_add_f32_e32 v3, v3, v222
	v_mul_f32_e32 v6, v191, v21
	v_fma_f32 v4, v188, v18, -v4
	v_dual_fmac_f32 v227, v193, v22 :: v_dual_add_f32 v2, v2, v5
	s_delay_alu instid0(VALU_DEP_4) | instskip(NEXT) | instid1(VALU_DEP_4)
	v_add_f32_e32 v3, v3, v223
	v_fma_f32 v6, v190, v20, -v6
	v_dual_mul_f32 v5, v193, v23 :: v_dual_fmac_f32 v228, v195, v24
	s_delay_alu instid0(VALU_DEP_4) | instskip(NEXT) | instid1(VALU_DEP_4)
	v_dual_fmac_f32 v229, v197, v26 :: v_dual_add_f32 v2, v2, v4
	v_add_f32_e32 v3, v3, v224
	v_mul_f32_e32 v4, v195, v25
	s_delay_alu instid0(VALU_DEP_4) | instskip(SKIP_1) | instid1(VALU_DEP_4)
	v_fma_f32 v5, v192, v22, -v5
	v_dual_mul_f32 v231, v200, v157 :: v_dual_mul_f32 v232, v202, v159
	v_dual_add_f32 v2, v2, v6 :: v_dual_add_f32 v3, v3, v225
	v_mul_f32_e32 v6, v197, v27
	v_fma_f32 v4, v194, v24, -v4
	v_dual_fmac_f32 v230, v199, v28 :: v_dual_mul_f32 v233, v204, v161
	s_delay_alu instid0(VALU_DEP_4)
	v_dual_mul_f32 v234, v206, v163 :: v_dual_add_f32 v3, v3, v226
	v_add_f32_e32 v2, v2, v5
	v_fma_f32 v6, v196, v26, -v6
	v_dual_fmac_f32 v231, v201, v156 :: v_dual_fmac_f32 v232, v203, v158
	v_fmac_f32_e32 v233, v205, v160
	v_add_f32_e32 v3, v3, v227
	v_dual_mul_f32 v5, v199, v29 :: v_dual_add_f32 v2, v2, v4
	v_mul_f32_e32 v4, v201, v157
	v_dual_mul_f32 v235, v208, v165 :: v_dual_mul_f32 v236, v210, v167
	s_delay_alu instid0(VALU_DEP_4) | instskip(NEXT) | instid1(VALU_DEP_4)
	v_add_f32_e32 v3, v3, v228
	v_fma_f32 v5, v198, v28, -v5
	v_add_f32_e32 v2, v2, v6
	v_mul_f32_e32 v6, v203, v159
	v_fma_f32 v4, v200, v156, -v4
	v_add_f32_e32 v3, v3, v229
	v_dual_mul_f32 v237, v212, v169 :: v_dual_mul_f32 v238, v214, v171
	v_add_f32_e32 v2, v2, v5
	v_mul_f32_e32 v5, v205, v161
	s_delay_alu instid0(VALU_DEP_4) | instskip(SKIP_2) | instid1(VALU_DEP_3)
	v_add_f32_e32 v3, v3, v230
	v_fma_f32 v6, v202, v158, -v6
	v_dual_fmac_f32 v234, v207, v162 :: v_dual_fmac_f32 v237, v213, v168
	v_dual_add_f32 v2, v2, v4 :: v_dual_add_f32 v3, v3, v231
	v_dual_mul_f32 v4, v207, v163 :: v_dual_fmac_f32 v235, v209, v164
	v_fma_f32 v5, v204, v160, -v5
	s_delay_alu instid0(VALU_DEP_3) | instskip(SKIP_1) | instid1(VALU_DEP_4)
	v_dual_add_f32 v2, v2, v6 :: v_dual_add_f32 v3, v3, v232
	v_mul_f32_e32 v6, v209, v165
	v_fma_f32 v4, v206, v162, -v4
	v_fmac_f32_e32 v236, v211, v166
	v_fmac_f32_e32 v238, v215, v170
	v_add_f32_e32 v3, v3, v233
	v_dual_add_f32 v2, v2, v5 :: v_dual_mul_f32 v5, v211, v167
	v_fma_f32 v6, v208, v164, -v6
	v_fmac_f32_e32 v239, v217, v30
	s_delay_alu instid0(VALU_DEP_3) | instskip(SKIP_2) | instid1(VALU_DEP_3)
	v_dual_add_f32 v3, v3, v234 :: v_dual_add_f32 v2, v2, v4
	v_mul_f32_e32 v4, v213, v169
	v_fma_f32 v5, v210, v166, -v5
	v_dual_add_f32 v3, v3, v235 :: v_dual_add_f32 v2, v2, v6
	v_mul_f32_e32 v6, v215, v171
	s_delay_alu instid0(VALU_DEP_4) | instskip(NEXT) | instid1(VALU_DEP_3)
	v_fma_f32 v4, v212, v168, -v4
	v_dual_add_f32 v2, v2, v5 :: v_dual_mul_f32 v5, v217, v31
	s_delay_alu instid0(VALU_DEP_4) | instskip(NEXT) | instid1(VALU_DEP_4)
	v_add_f32_e32 v3, v3, v236
	v_fma_f32 v6, v214, v170, -v6
	s_delay_alu instid0(VALU_DEP_2) | instskip(NEXT) | instid1(VALU_DEP_1)
	v_add_f32_e32 v3, v3, v237
	v_dual_add_f32 v3, v3, v238 :: v_dual_add_f32 v2, v2, v4
	v_fma_f32 v4, v216, v30, -v5
	s_delay_alu instid0(VALU_DEP_2) | instskip(SKIP_1) | instid1(VALU_DEP_1)
	v_dual_add_f32 v3, v3, v239 :: v_dual_add_f32 v2, v2, v6
	s_wait_loadcnt 0x0
	v_sub_f32_e32 v3, v154, v3
	s_delay_alu instid0(VALU_DEP_2) | instskip(NEXT) | instid1(VALU_DEP_1)
	v_add_f32_e32 v2, v2, v4
	v_sub_f32_e32 v2, v153, v2
	scratch_store_b64 off, v[2:3], off offset:288
	v_cmpx_lt_u32_e32 35, v0
	s_cbranch_execz .LBB59_303
; %bb.302:
	scratch_load_b64 v[3:4], off, off offset:280
	v_mov_b32_e32 v2, v1
	scratch_store_b64 off, v[1:2], off offset:280
	s_wait_loadcnt 0x0
	ds_store_b64 v155, v[3:4]
.LBB59_303:
	s_wait_alu 0xfffe
	s_or_b32 exec_lo, exec_lo, s0
	s_wait_storecnt_dscnt 0x0
	s_barrier_signal -1
	s_barrier_wait -1
	global_inv scope:SCOPE_SE
	s_clause 0xc
	scratch_load_b128 v[2:5], off, off offset:288
	scratch_load_b128 v[6:9], off, off offset:304
	;; [unrolled: 1-line block ×12, first 2 shown]
	scratch_load_b64 v[30:31], off, off offset:280
	ds_load_b128 v[176:179], v1 offset:768
	ds_load_b128 v[180:183], v1 offset:784
	;; [unrolled: 1-line block ×12, first 2 shown]
	s_mov_b32 s0, exec_lo
	s_wait_loadcnt_dscnt 0xc0b
	v_dual_mul_f32 v1, v176, v3 :: v_dual_mul_f32 v32, v178, v5
	v_mul_f32_e32 v5, v179, v5
	s_wait_loadcnt_dscnt 0xb0a
	v_dual_mul_f32 v153, v180, v7 :: v_dual_mul_f32 v154, v182, v9
	s_wait_loadcnt_dscnt 0xa09
	v_dual_mul_f32 v224, v184, v11 :: v_dual_mul_f32 v225, v186, v13
	v_mul_f32_e32 v3, v177, v3
	s_delay_alu instid0(VALU_DEP_3)
	v_dual_fmac_f32 v1, v177, v2 :: v_dual_fmac_f32 v154, v183, v8
	s_wait_loadcnt_dscnt 0x100
	v_dual_mul_f32 v240, v216, v169 :: v_dual_mul_f32 v243, v222, v175
	v_fmac_f32_e32 v32, v179, v4
	v_fma_f32 v3, v176, v2, -v3
	v_mul_f32_e32 v2, v181, v7
	v_fma_f32 v4, v178, v4, -v5
	v_dual_mul_f32 v226, v188, v15 :: v_dual_mul_f32 v227, v190, v17
	s_delay_alu instid0(VALU_DEP_4) | instskip(SKIP_2) | instid1(VALU_DEP_3)
	v_dual_add_f32 v3, 0, v3 :: v_dual_fmac_f32 v224, v185, v10
	v_add_f32_e32 v1, 0, v1
	v_fma_f32 v2, v180, v6, -v2
	v_dual_fmac_f32 v226, v189, v14 :: v_dual_add_f32 v3, v3, v4
	v_mul_f32_e32 v4, v185, v11
	s_delay_alu instid0(VALU_DEP_4) | instskip(NEXT) | instid1(VALU_DEP_3)
	v_dual_add_f32 v1, v1, v32 :: v_dual_mul_f32 v228, v192, v19
	v_dual_mul_f32 v229, v194, v21 :: v_dual_add_f32 v2, v3, v2
	s_delay_alu instid0(VALU_DEP_3) | instskip(SKIP_1) | instid1(VALU_DEP_4)
	v_fma_f32 v4, v184, v10, -v4
	v_mul_f32_e32 v5, v183, v9
	v_dual_mul_f32 v3, v187, v13 :: v_dual_fmac_f32 v228, v193, v18
	v_dual_mul_f32 v230, v196, v23 :: v_dual_mul_f32 v231, v198, v25
	s_delay_alu instid0(VALU_DEP_3) | instskip(SKIP_1) | instid1(VALU_DEP_4)
	v_fma_f32 v5, v182, v8, -v5
	v_fmac_f32_e32 v153, v181, v6
	v_fma_f32 v3, v186, v12, -v3
	v_dual_fmac_f32 v227, v191, v16 :: v_dual_mul_f32 v234, v204, v157
	v_mul_f32_e32 v235, v206, v159
	v_add_f32_e32 v2, v2, v5
	v_dual_mul_f32 v232, v200, v27 :: v_dual_mul_f32 v233, v202, v29
	v_dual_mul_f32 v236, v208, v161 :: v_dual_mul_f32 v237, v210, v163
	s_delay_alu instid0(VALU_DEP_3) | instskip(SKIP_1) | instid1(VALU_DEP_4)
	v_dual_add_f32 v2, v2, v4 :: v_dual_add_f32 v1, v1, v153
	v_mul_f32_e32 v4, v191, v17
	v_dual_fmac_f32 v233, v203, v28 :: v_dual_mul_f32 v238, v212, v165
	v_mul_f32_e32 v239, v214, v167
	s_delay_alu instid0(VALU_DEP_4) | instskip(NEXT) | instid1(VALU_DEP_4)
	v_dual_add_f32 v2, v2, v3 :: v_dual_add_f32 v1, v1, v154
	v_fma_f32 v4, v190, v16, -v4
	v_mul_f32_e32 v5, v189, v15
	v_dual_fmac_f32 v229, v195, v20 :: v_dual_fmac_f32 v232, v201, v26
	v_dual_mul_f32 v241, v218, v171 :: v_dual_mul_f32 v242, v220, v173
	s_delay_alu instid0(VALU_DEP_3) | instskip(SKIP_3) | instid1(VALU_DEP_4)
	v_fma_f32 v5, v188, v14, -v5
	v_dual_fmac_f32 v225, v187, v12 :: v_dual_fmac_f32 v230, v197, v22
	v_fmac_f32_e32 v239, v215, v166
	v_dual_fmac_f32 v237, v211, v162 :: v_dual_fmac_f32 v240, v217, v168
	v_add_f32_e32 v2, v2, v5
	v_mul_f32_e32 v5, v195, v21
	v_dual_fmac_f32 v243, v223, v174 :: v_dual_fmac_f32 v234, v205, v156
	v_fmac_f32_e32 v236, v209, v160
	s_delay_alu instid0(VALU_DEP_4) | instskip(NEXT) | instid1(VALU_DEP_4)
	v_add_f32_e32 v2, v2, v4
	v_fma_f32 v5, v194, v20, -v5
	v_mul_f32_e32 v3, v193, v19
	v_mul_f32_e32 v4, v197, v23
	v_fmac_f32_e32 v238, v213, v164
	v_fmac_f32_e32 v242, v221, v172
	s_delay_alu instid0(VALU_DEP_4) | instskip(SKIP_2) | instid1(VALU_DEP_3)
	v_fma_f32 v3, v192, v18, -v3
	v_add_f32_e32 v1, v1, v224
	v_fma_f32 v4, v196, v22, -v4
	v_dual_add_f32 v2, v2, v3 :: v_dual_mul_f32 v3, v199, v25
	s_delay_alu instid0(VALU_DEP_1) | instskip(NEXT) | instid1(VALU_DEP_4)
	v_add_f32_e32 v2, v2, v5
	v_add_f32_e32 v1, v1, v225
	s_delay_alu instid0(VALU_DEP_3) | instskip(NEXT) | instid1(VALU_DEP_2)
	v_fma_f32 v3, v198, v24, -v3
	v_dual_add_f32 v2, v2, v4 :: v_dual_add_f32 v1, v1, v226
	v_mul_f32_e32 v4, v203, v29
	s_delay_alu instid0(VALU_DEP_2) | instskip(SKIP_1) | instid1(VALU_DEP_3)
	v_dual_fmac_f32 v231, v199, v24 :: v_dual_add_f32 v2, v2, v3
	v_mul_f32_e32 v3, v205, v157
	v_fma_f32 v4, v202, v28, -v4
	v_mul_f32_e32 v5, v201, v27
	s_delay_alu instid0(VALU_DEP_3) | instskip(NEXT) | instid1(VALU_DEP_2)
	v_fma_f32 v3, v204, v156, -v3
	v_fma_f32 v5, v200, v26, -v5
	s_delay_alu instid0(VALU_DEP_1) | instskip(NEXT) | instid1(VALU_DEP_1)
	v_dual_add_f32 v1, v1, v227 :: v_dual_add_f32 v2, v2, v5
	v_dual_mul_f32 v5, v207, v159 :: v_dual_add_f32 v2, v2, v4
	s_delay_alu instid0(VALU_DEP_2) | instskip(SKIP_1) | instid1(VALU_DEP_3)
	v_add_f32_e32 v1, v1, v228
	v_mul_f32_e32 v4, v209, v161
	v_fma_f32 v5, v206, v158, -v5
	s_delay_alu instid0(VALU_DEP_4) | instskip(SKIP_1) | instid1(VALU_DEP_4)
	v_dual_add_f32 v2, v2, v3 :: v_dual_fmac_f32 v235, v207, v158
	v_mul_f32_e32 v3, v211, v163
	v_fma_f32 v4, v208, v160, -v4
	s_delay_alu instid0(VALU_DEP_3) | instskip(SKIP_1) | instid1(VALU_DEP_4)
	v_add_f32_e32 v2, v2, v5
	v_add_f32_e32 v1, v1, v229
	v_fma_f32 v3, v210, v162, -v3
	s_delay_alu instid0(VALU_DEP_3) | instskip(NEXT) | instid1(VALU_DEP_3)
	v_dual_add_f32 v2, v2, v4 :: v_dual_mul_f32 v5, v213, v165
	v_dual_add_f32 v1, v1, v230 :: v_dual_mul_f32 v4, v215, v167
	s_delay_alu instid0(VALU_DEP_2) | instskip(NEXT) | instid1(VALU_DEP_3)
	v_add_f32_e32 v2, v2, v3
	v_fma_f32 v5, v212, v164, -v5
	s_delay_alu instid0(VALU_DEP_3) | instskip(SKIP_2) | instid1(VALU_DEP_4)
	v_add_f32_e32 v1, v1, v231
	v_mul_f32_e32 v3, v217, v169
	v_fma_f32 v4, v214, v166, -v4
	v_dual_add_f32 v2, v2, v5 :: v_dual_mul_f32 v5, v219, v171
	s_delay_alu instid0(VALU_DEP_3) | instskip(NEXT) | instid1(VALU_DEP_2)
	v_fma_f32 v3, v216, v168, -v3
	v_add_f32_e32 v2, v2, v4
	v_add_f32_e32 v1, v1, v232
	v_mul_f32_e32 v4, v221, v173
	v_fma_f32 v5, v218, v170, -v5
	s_delay_alu instid0(VALU_DEP_4) | instskip(SKIP_1) | instid1(VALU_DEP_4)
	v_dual_add_f32 v2, v2, v3 :: v_dual_fmac_f32 v241, v219, v170
	v_mul_f32_e32 v3, v223, v175
	v_fma_f32 v4, v220, v172, -v4
	s_delay_alu instid0(VALU_DEP_3) | instskip(SKIP_1) | instid1(VALU_DEP_4)
	v_add_f32_e32 v2, v2, v5
	v_add_f32_e32 v1, v1, v233
	v_fma_f32 v3, v222, v174, -v3
	s_delay_alu instid0(VALU_DEP_2) | instskip(NEXT) | instid1(VALU_DEP_1)
	v_dual_add_f32 v2, v2, v4 :: v_dual_add_f32 v1, v1, v234
	v_add_f32_e32 v2, v2, v3
	s_delay_alu instid0(VALU_DEP_2) | instskip(NEXT) | instid1(VALU_DEP_1)
	v_add_f32_e32 v1, v1, v235
	v_add_f32_e32 v1, v1, v236
	s_delay_alu instid0(VALU_DEP_1) | instskip(NEXT) | instid1(VALU_DEP_1)
	v_add_f32_e32 v1, v1, v237
	v_add_f32_e32 v1, v1, v238
	s_delay_alu instid0(VALU_DEP_1) | instskip(NEXT) | instid1(VALU_DEP_1)
	;; [unrolled: 3-line block ×3, first 2 shown]
	v_add_f32_e32 v1, v1, v241
	v_add_f32_e32 v1, v1, v242
	s_delay_alu instid0(VALU_DEP_1) | instskip(SKIP_1) | instid1(VALU_DEP_1)
	v_add_f32_e32 v3, v1, v243
	s_wait_loadcnt 0x0
	v_dual_sub_f32 v1, v30, v2 :: v_dual_sub_f32 v2, v31, v3
	scratch_store_b64 off, v[1:2], off offset:280
	v_cmpx_lt_u32_e32 34, v0
	s_cbranch_execz .LBB59_305
; %bb.304:
	scratch_load_b64 v[1:2], off, off offset:272
	v_mov_b32_e32 v3, 0
	s_delay_alu instid0(VALU_DEP_1)
	v_mov_b32_e32 v4, v3
	scratch_store_b64 off, v[3:4], off offset:272
	s_wait_loadcnt 0x0
	ds_store_b64 v155, v[1:2]
.LBB59_305:
	s_wait_alu 0xfffe
	s_or_b32 exec_lo, exec_lo, s0
	s_wait_storecnt_dscnt 0x0
	s_barrier_signal -1
	s_barrier_wait -1
	global_inv scope:SCOPE_SE
	s_clause 0xd
	scratch_load_b128 v[2:5], off, off offset:280
	scratch_load_b128 v[6:9], off, off offset:296
	scratch_load_b128 v[10:13], off, off offset:312
	scratch_load_b128 v[14:17], off, off offset:328
	scratch_load_b128 v[18:21], off, off offset:344
	scratch_load_b128 v[22:25], off, off offset:360
	scratch_load_b128 v[26:29], off, off offset:376
	scratch_load_b128 v[156:159], off, off offset:392
	scratch_load_b128 v[160:163], off, off offset:408
	scratch_load_b128 v[164:167], off, off offset:424
	scratch_load_b128 v[168:171], off, off offset:440
	scratch_load_b128 v[172:175], off, off offset:456
	scratch_load_b64 v[30:31], off, off offset:472
	scratch_load_b64 v[153:154], off, off offset:272
	v_mov_b32_e32 v1, 0
	ds_load_2addr_b64 v[176:179], v1 offset0:95 offset1:96
	ds_load_2addr_b64 v[180:183], v1 offset0:97 offset1:98
	;; [unrolled: 1-line block ×12, first 2 shown]
	ds_load_b64 v[224:225], v1 offset:952
	s_mov_b32 s0, exec_lo
	s_wait_loadcnt_dscnt 0xd0c
	v_mul_f32_e32 v32, v176, v3
	s_wait_loadcnt_dscnt 0xc0b
	v_dual_mul_f32 v226, v178, v5 :: v_dual_mul_f32 v227, v180, v7
	v_mul_f32_e32 v3, v177, v3
	v_mul_f32_e32 v5, v179, v5
	s_wait_loadcnt_dscnt 0xb0a
	v_dual_mul_f32 v228, v182, v9 :: v_dual_mul_f32 v229, v184, v11
	s_wait_loadcnt_dscnt 0x706
	v_mul_f32_e32 v238, v202, v29
	v_fma_f32 v3, v176, v2, -v3
	v_fmac_f32_e32 v32, v177, v2
	v_mul_f32_e32 v2, v181, v7
	s_wait_loadcnt_dscnt 0x100
	v_dual_fmac_f32 v226, v179, v4 :: v_dual_mul_f32 v249, v224, v31
	v_fma_f32 v4, v178, v4, -v5
	v_add_f32_e32 v3, 0, v3
	v_fma_f32 v2, v180, v6, -v2
	v_dual_fmac_f32 v227, v181, v6 :: v_dual_fmac_f32 v228, v183, v8
	v_dual_mul_f32 v230, v186, v13 :: v_dual_mul_f32 v231, v188, v15
	s_delay_alu instid0(VALU_DEP_4) | instskip(SKIP_2) | instid1(VALU_DEP_4)
	v_add_f32_e32 v3, v3, v4
	v_dual_add_f32 v5, 0, v32 :: v_dual_mul_f32 v232, v190, v17
	v_mul_f32_e32 v233, v192, v19
	v_fmac_f32_e32 v231, v189, v14
	s_delay_alu instid0(VALU_DEP_4) | instskip(NEXT) | instid1(VALU_DEP_4)
	v_add_f32_e32 v2, v3, v2
	v_dual_mul_f32 v7, v183, v9 :: v_dual_add_f32 v4, v5, v226
	v_dual_mul_f32 v5, v185, v11 :: v_dual_fmac_f32 v230, v187, v12
	v_fmac_f32_e32 v232, v191, v16
	s_delay_alu instid0(VALU_DEP_3) | instskip(NEXT) | instid1(VALU_DEP_4)
	v_fma_f32 v6, v182, v8, -v7
	v_dual_add_f32 v3, v4, v227 :: v_dual_mul_f32 v4, v187, v13
	s_delay_alu instid0(VALU_DEP_4) | instskip(SKIP_1) | instid1(VALU_DEP_4)
	v_fma_f32 v5, v184, v10, -v5
	v_dual_mul_f32 v234, v194, v21 :: v_dual_mul_f32 v235, v196, v23
	v_add_f32_e32 v2, v2, v6
	v_fmac_f32_e32 v229, v185, v10
	v_dual_add_f32 v3, v3, v228 :: v_dual_mul_f32 v6, v189, v15
	v_fma_f32 v4, v186, v12, -v4
	s_delay_alu instid0(VALU_DEP_4) | instskip(SKIP_1) | instid1(VALU_DEP_4)
	v_add_f32_e32 v2, v2, v5
	v_mul_f32_e32 v5, v191, v17
	v_add_f32_e32 v3, v3, v229
	v_fma_f32 v6, v188, v14, -v6
	v_dual_mul_f32 v236, v198, v25 :: v_dual_mul_f32 v237, v200, v27
	v_add_f32_e32 v2, v2, v4
	v_mul_f32_e32 v4, v193, v19
	v_fma_f32 v5, v190, v16, -v5
	v_dual_fmac_f32 v233, v193, v18 :: v_dual_fmac_f32 v234, v195, v20
	s_delay_alu instid0(VALU_DEP_4) | instskip(SKIP_3) | instid1(VALU_DEP_4)
	v_add_f32_e32 v2, v2, v6
	v_add_f32_e32 v3, v3, v230
	v_mul_f32_e32 v6, v195, v21
	v_fma_f32 v4, v192, v18, -v4
	v_dual_fmac_f32 v235, v197, v22 :: v_dual_add_f32 v2, v2, v5
	s_delay_alu instid0(VALU_DEP_4) | instskip(NEXT) | instid1(VALU_DEP_4)
	v_add_f32_e32 v3, v3, v231
	v_fma_f32 v6, v194, v20, -v6
	v_dual_mul_f32 v5, v197, v23 :: v_dual_fmac_f32 v236, v199, v24
	s_delay_alu instid0(VALU_DEP_4) | instskip(NEXT) | instid1(VALU_DEP_4)
	v_dual_fmac_f32 v237, v201, v26 :: v_dual_add_f32 v2, v2, v4
	v_add_f32_e32 v3, v3, v232
	v_mul_f32_e32 v4, v199, v25
	s_delay_alu instid0(VALU_DEP_4) | instskip(SKIP_1) | instid1(VALU_DEP_4)
	v_fma_f32 v5, v196, v22, -v5
	v_dual_mul_f32 v239, v204, v157 :: v_dual_mul_f32 v240, v206, v159
	v_dual_add_f32 v2, v2, v6 :: v_dual_add_f32 v3, v3, v233
	v_mul_f32_e32 v6, v201, v27
	v_fma_f32 v4, v198, v24, -v4
	v_dual_fmac_f32 v238, v203, v28 :: v_dual_mul_f32 v241, v208, v161
	s_delay_alu instid0(VALU_DEP_4)
	v_dual_mul_f32 v242, v210, v163 :: v_dual_add_f32 v3, v3, v234
	v_add_f32_e32 v2, v2, v5
	v_fma_f32 v6, v200, v26, -v6
	v_dual_fmac_f32 v239, v205, v156 :: v_dual_fmac_f32 v240, v207, v158
	v_fmac_f32_e32 v241, v209, v160
	v_add_f32_e32 v3, v3, v235
	v_dual_mul_f32 v5, v203, v29 :: v_dual_add_f32 v2, v2, v4
	v_mul_f32_e32 v4, v205, v157
	v_dual_mul_f32 v243, v212, v165 :: v_dual_mul_f32 v244, v214, v167
	s_delay_alu instid0(VALU_DEP_4) | instskip(NEXT) | instid1(VALU_DEP_4)
	v_add_f32_e32 v3, v3, v236
	v_fma_f32 v5, v202, v28, -v5
	v_add_f32_e32 v2, v2, v6
	v_mul_f32_e32 v6, v207, v159
	v_fma_f32 v4, v204, v156, -v4
	v_add_f32_e32 v3, v3, v237
	v_dual_mul_f32 v245, v216, v169 :: v_dual_mul_f32 v246, v218, v171
	v_add_f32_e32 v2, v2, v5
	v_mul_f32_e32 v5, v209, v161
	s_delay_alu instid0(VALU_DEP_4) | instskip(SKIP_2) | instid1(VALU_DEP_3)
	v_add_f32_e32 v3, v3, v238
	v_fma_f32 v6, v206, v158, -v6
	v_dual_fmac_f32 v242, v211, v162 :: v_dual_fmac_f32 v245, v217, v168
	v_dual_add_f32 v2, v2, v4 :: v_dual_add_f32 v3, v3, v239
	v_dual_mul_f32 v4, v211, v163 :: v_dual_fmac_f32 v243, v213, v164
	v_fma_f32 v5, v208, v160, -v5
	s_delay_alu instid0(VALU_DEP_3) | instskip(SKIP_1) | instid1(VALU_DEP_4)
	v_dual_add_f32 v2, v2, v6 :: v_dual_add_f32 v3, v3, v240
	v_mul_f32_e32 v6, v213, v165
	v_fma_f32 v4, v210, v162, -v4
	v_dual_fmac_f32 v244, v215, v166 :: v_dual_mul_f32 v247, v220, v173
	s_delay_alu instid0(VALU_DEP_4) | instskip(SKIP_3) | instid1(VALU_DEP_3)
	v_dual_mul_f32 v248, v222, v175 :: v_dual_add_f32 v3, v3, v241
	v_dual_add_f32 v2, v2, v5 :: v_dual_mul_f32 v5, v215, v167
	v_fma_f32 v6, v212, v164, -v6
	v_fmac_f32_e32 v246, v219, v170
	v_dual_add_f32 v3, v3, v242 :: v_dual_add_f32 v2, v2, v4
	v_mul_f32_e32 v4, v217, v169
	v_fma_f32 v5, v214, v166, -v5
	v_fmac_f32_e32 v247, v221, v172
	s_delay_alu instid0(VALU_DEP_4) | instskip(SKIP_3) | instid1(VALU_DEP_4)
	v_dual_add_f32 v3, v3, v243 :: v_dual_add_f32 v2, v2, v6
	v_mul_f32_e32 v6, v219, v171
	v_fma_f32 v4, v216, v168, -v4
	v_fmac_f32_e32 v248, v223, v174
	v_dual_fmac_f32 v249, v225, v30 :: v_dual_add_f32 v2, v2, v5
	v_mul_f32_e32 v5, v221, v173
	v_add_f32_e32 v3, v3, v244
	v_fma_f32 v6, v218, v170, -v6
	s_delay_alu instid0(VALU_DEP_3) | instskip(NEXT) | instid1(VALU_DEP_3)
	v_fma_f32 v5, v220, v172, -v5
	v_add_f32_e32 v3, v3, v245
	s_delay_alu instid0(VALU_DEP_1) | instskip(SKIP_1) | instid1(VALU_DEP_2)
	v_dual_add_f32 v3, v3, v246 :: v_dual_add_f32 v2, v2, v4
	v_mul_f32_e32 v4, v223, v175
	v_dual_add_f32 v3, v3, v247 :: v_dual_add_f32 v2, v2, v6
	v_mul_f32_e32 v6, v225, v31
	s_delay_alu instid0(VALU_DEP_3) | instskip(NEXT) | instid1(VALU_DEP_3)
	v_fma_f32 v4, v222, v174, -v4
	v_dual_add_f32 v3, v3, v248 :: v_dual_add_f32 v2, v2, v5
	s_delay_alu instid0(VALU_DEP_3) | instskip(NEXT) | instid1(VALU_DEP_2)
	v_fma_f32 v5, v224, v30, -v6
	v_dual_add_f32 v3, v3, v249 :: v_dual_add_f32 v2, v2, v4
	s_wait_loadcnt 0x0
	s_delay_alu instid0(VALU_DEP_1) | instskip(NEXT) | instid1(VALU_DEP_2)
	v_sub_f32_e32 v3, v154, v3
	v_add_f32_e32 v2, v2, v5
	s_delay_alu instid0(VALU_DEP_1)
	v_sub_f32_e32 v2, v153, v2
	scratch_store_b64 off, v[2:3], off offset:272
	v_cmpx_lt_u32_e32 33, v0
	s_cbranch_execz .LBB59_307
; %bb.306:
	scratch_load_b64 v[3:4], off, off offset:264
	v_mov_b32_e32 v2, v1
	scratch_store_b64 off, v[1:2], off offset:264
	s_wait_loadcnt 0x0
	ds_store_b64 v155, v[3:4]
.LBB59_307:
	s_wait_alu 0xfffe
	s_or_b32 exec_lo, exec_lo, s0
	s_wait_storecnt_dscnt 0x0
	s_barrier_signal -1
	s_barrier_wait -1
	global_inv scope:SCOPE_SE
	s_clause 0xd
	scratch_load_b128 v[2:5], off, off offset:272
	scratch_load_b128 v[6:9], off, off offset:288
	;; [unrolled: 1-line block ×13, first 2 shown]
	scratch_load_b64 v[30:31], off, off offset:264
	ds_load_b128 v[180:183], v1 offset:752
	ds_load_b128 v[184:187], v1 offset:768
	;; [unrolled: 1-line block ×13, first 2 shown]
	s_mov_b32 s0, exec_lo
	s_wait_loadcnt_dscnt 0xd0c
	v_dual_mul_f32 v1, v180, v3 :: v_dual_mul_f32 v32, v182, v5
	v_mul_f32_e32 v5, v183, v5
	s_wait_loadcnt_dscnt 0xc0b
	v_dual_mul_f32 v153, v184, v7 :: v_dual_mul_f32 v154, v186, v9
	s_wait_loadcnt_dscnt 0xb0a
	v_dual_mul_f32 v232, v188, v11 :: v_dual_mul_f32 v233, v190, v13
	v_mul_f32_e32 v3, v181, v3
	s_delay_alu instid0(VALU_DEP_3)
	v_dual_fmac_f32 v1, v181, v2 :: v_dual_fmac_f32 v154, v187, v8
	v_fmac_f32_e32 v32, v183, v4
	s_wait_loadcnt_dscnt 0x201
	v_mul_f32_e32 v250, v224, v173
	v_fma_f32 v3, v180, v2, -v3
	s_wait_loadcnt_dscnt 0x100
	v_mul_f32_e32 v253, v230, v179
	v_mul_f32_e32 v2, v185, v7
	v_fma_f32 v4, v182, v4, -v5
	v_dual_mul_f32 v234, v192, v15 :: v_dual_mul_f32 v235, v194, v17
	v_dual_add_f32 v3, 0, v3 :: v_dual_fmac_f32 v232, v189, v10
	v_add_f32_e32 v1, 0, v1
	v_fma_f32 v2, v184, v6, -v2
	s_delay_alu instid0(VALU_DEP_3) | instskip(SKIP_1) | instid1(VALU_DEP_4)
	v_dual_fmac_f32 v234, v193, v14 :: v_dual_add_f32 v3, v3, v4
	v_mul_f32_e32 v4, v189, v11
	v_dual_add_f32 v1, v1, v32 :: v_dual_mul_f32 v236, v196, v19
	s_delay_alu instid0(VALU_DEP_3) | instskip(NEXT) | instid1(VALU_DEP_3)
	v_dual_mul_f32 v237, v198, v21 :: v_dual_add_f32 v2, v3, v2
	v_fma_f32 v4, v188, v10, -v4
	v_mul_f32_e32 v5, v187, v9
	s_delay_alu instid0(VALU_DEP_4) | instskip(SKIP_1) | instid1(VALU_DEP_3)
	v_dual_mul_f32 v3, v191, v13 :: v_dual_fmac_f32 v236, v197, v18
	v_dual_mul_f32 v238, v200, v23 :: v_dual_mul_f32 v239, v202, v25
	v_fma_f32 v5, v186, v8, -v5
	v_fmac_f32_e32 v153, v185, v6
	s_delay_alu instid0(VALU_DEP_4)
	v_fma_f32 v3, v190, v12, -v3
	v_dual_fmac_f32 v235, v195, v16 :: v_dual_mul_f32 v242, v208, v157
	v_mul_f32_e32 v243, v210, v159
	v_add_f32_e32 v2, v2, v5
	v_dual_mul_f32 v240, v204, v27 :: v_dual_mul_f32 v241, v206, v29
	v_dual_mul_f32 v244, v212, v161 :: v_dual_mul_f32 v245, v214, v163
	s_delay_alu instid0(VALU_DEP_3) | instskip(SKIP_1) | instid1(VALU_DEP_4)
	v_dual_add_f32 v2, v2, v4 :: v_dual_add_f32 v1, v1, v153
	v_mul_f32_e32 v4, v195, v17
	v_dual_fmac_f32 v241, v207, v28 :: v_dual_mul_f32 v246, v216, v165
	v_mul_f32_e32 v247, v218, v167
	s_delay_alu instid0(VALU_DEP_4) | instskip(NEXT) | instid1(VALU_DEP_4)
	v_dual_add_f32 v2, v2, v3 :: v_dual_add_f32 v1, v1, v154
	v_fma_f32 v4, v194, v16, -v4
	v_mul_f32_e32 v5, v193, v15
	v_dual_fmac_f32 v237, v199, v20 :: v_dual_fmac_f32 v240, v205, v26
	v_dual_mul_f32 v248, v220, v169 :: v_dual_mul_f32 v249, v222, v171
	s_delay_alu instid0(VALU_DEP_3) | instskip(SKIP_3) | instid1(VALU_DEP_4)
	v_fma_f32 v5, v192, v14, -v5
	v_dual_fmac_f32 v233, v191, v12 :: v_dual_fmac_f32 v238, v201, v22
	v_fmac_f32_e32 v247, v219, v166
	v_dual_mul_f32 v251, v226, v175 :: v_dual_mul_f32 v252, v228, v177
	v_add_f32_e32 v2, v2, v5
	v_mul_f32_e32 v5, v199, v21
	v_dual_fmac_f32 v245, v215, v162 :: v_dual_fmac_f32 v248, v221, v168
	s_delay_alu instid0(VALU_DEP_3) | instskip(NEXT) | instid1(VALU_DEP_3)
	v_dual_fmac_f32 v251, v227, v174 :: v_dual_add_f32 v2, v2, v4
	v_fma_f32 v5, v198, v20, -v5
	v_mul_f32_e32 v3, v197, v19
	v_dual_mul_f32 v4, v201, v23 :: v_dual_fmac_f32 v253, v231, v178
	v_fmac_f32_e32 v242, v209, v156
	v_fmac_f32_e32 v244, v213, v160
	s_delay_alu instid0(VALU_DEP_4)
	v_fma_f32 v3, v196, v18, -v3
	v_add_f32_e32 v1, v1, v232
	v_fma_f32 v4, v200, v22, -v4
	v_fmac_f32_e32 v246, v217, v164
	v_fmac_f32_e32 v250, v225, v172
	v_dual_add_f32 v2, v2, v3 :: v_dual_mul_f32 v3, v203, v25
	v_fmac_f32_e32 v252, v229, v176
	s_delay_alu instid0(VALU_DEP_2) | instskip(SKIP_1) | instid1(VALU_DEP_4)
	v_add_f32_e32 v2, v2, v5
	v_add_f32_e32 v1, v1, v233
	v_fma_f32 v3, v202, v24, -v3
	s_delay_alu instid0(VALU_DEP_2) | instskip(SKIP_1) | instid1(VALU_DEP_2)
	v_dual_add_f32 v2, v2, v4 :: v_dual_add_f32 v1, v1, v234
	v_mul_f32_e32 v4, v207, v29
	v_dual_fmac_f32 v239, v203, v24 :: v_dual_add_f32 v2, v2, v3
	v_mul_f32_e32 v3, v209, v157
	s_delay_alu instid0(VALU_DEP_3) | instskip(SKIP_1) | instid1(VALU_DEP_3)
	v_fma_f32 v4, v206, v28, -v4
	v_mul_f32_e32 v5, v205, v27
	v_fma_f32 v3, v208, v156, -v3
	s_delay_alu instid0(VALU_DEP_2) | instskip(NEXT) | instid1(VALU_DEP_1)
	v_fma_f32 v5, v204, v26, -v5
	v_dual_add_f32 v1, v1, v235 :: v_dual_add_f32 v2, v2, v5
	s_delay_alu instid0(VALU_DEP_1) | instskip(NEXT) | instid1(VALU_DEP_2)
	v_dual_mul_f32 v5, v211, v159 :: v_dual_add_f32 v2, v2, v4
	v_add_f32_e32 v1, v1, v236
	v_mul_f32_e32 v4, v213, v161
	s_delay_alu instid0(VALU_DEP_3) | instskip(NEXT) | instid1(VALU_DEP_4)
	v_fma_f32 v5, v210, v158, -v5
	v_dual_add_f32 v2, v2, v3 :: v_dual_fmac_f32 v243, v211, v158
	v_mul_f32_e32 v3, v215, v163
	s_delay_alu instid0(VALU_DEP_4) | instskip(NEXT) | instid1(VALU_DEP_3)
	v_fma_f32 v4, v212, v160, -v4
	v_add_f32_e32 v2, v2, v5
	v_add_f32_e32 v1, v1, v237
	s_delay_alu instid0(VALU_DEP_4) | instskip(NEXT) | instid1(VALU_DEP_3)
	v_fma_f32 v3, v214, v162, -v3
	v_dual_add_f32 v2, v2, v4 :: v_dual_mul_f32 v5, v217, v165
	s_delay_alu instid0(VALU_DEP_3) | instskip(NEXT) | instid1(VALU_DEP_2)
	v_dual_add_f32 v1, v1, v238 :: v_dual_mul_f32 v4, v219, v167
	v_add_f32_e32 v2, v2, v3
	s_delay_alu instid0(VALU_DEP_3) | instskip(NEXT) | instid1(VALU_DEP_3)
	v_fma_f32 v5, v216, v164, -v5
	v_add_f32_e32 v1, v1, v239
	v_mul_f32_e32 v3, v221, v169
	v_fma_f32 v4, v218, v166, -v4
	s_delay_alu instid0(VALU_DEP_4) | instskip(NEXT) | instid1(VALU_DEP_3)
	v_dual_add_f32 v2, v2, v5 :: v_dual_mul_f32 v5, v223, v171
	v_fma_f32 v3, v220, v168, -v3
	s_delay_alu instid0(VALU_DEP_2) | instskip(SKIP_3) | instid1(VALU_DEP_4)
	v_add_f32_e32 v2, v2, v4
	v_add_f32_e32 v1, v1, v240
	v_mul_f32_e32 v4, v225, v173
	v_fma_f32 v5, v222, v170, -v5
	v_dual_add_f32 v2, v2, v3 :: v_dual_fmac_f32 v249, v223, v170
	v_mul_f32_e32 v3, v227, v175
	s_delay_alu instid0(VALU_DEP_4) | instskip(NEXT) | instid1(VALU_DEP_3)
	v_fma_f32 v4, v224, v172, -v4
	v_add_f32_e32 v2, v2, v5
	v_add_f32_e32 v1, v1, v241
	s_delay_alu instid0(VALU_DEP_4) | instskip(NEXT) | instid1(VALU_DEP_2)
	v_fma_f32 v3, v226, v174, -v3
	v_dual_add_f32 v2, v2, v4 :: v_dual_add_f32 v1, v1, v242
	v_dual_mul_f32 v4, v231, v179 :: v_dual_mul_f32 v5, v229, v177
	s_delay_alu instid0(VALU_DEP_2) | instskip(NEXT) | instid1(VALU_DEP_2)
	v_add_f32_e32 v2, v2, v3
	v_fma_f32 v3, v230, v178, -v4
	s_delay_alu instid0(VALU_DEP_3) | instskip(NEXT) | instid1(VALU_DEP_1)
	v_fma_f32 v5, v228, v176, -v5
	v_dual_add_f32 v1, v1, v243 :: v_dual_add_f32 v2, v2, v5
	s_delay_alu instid0(VALU_DEP_1) | instskip(NEXT) | instid1(VALU_DEP_1)
	v_dual_add_f32 v1, v1, v244 :: v_dual_add_f32 v2, v2, v3
	v_add_f32_e32 v1, v1, v245
	s_delay_alu instid0(VALU_DEP_1) | instskip(NEXT) | instid1(VALU_DEP_1)
	v_add_f32_e32 v1, v1, v246
	v_add_f32_e32 v1, v1, v247
	s_delay_alu instid0(VALU_DEP_1) | instskip(NEXT) | instid1(VALU_DEP_1)
	v_add_f32_e32 v1, v1, v248
	;; [unrolled: 3-line block ×4, first 2 shown]
	v_add_f32_e32 v3, v1, v253
	s_wait_loadcnt 0x0
	s_delay_alu instid0(VALU_DEP_1)
	v_dual_sub_f32 v1, v30, v2 :: v_dual_sub_f32 v2, v31, v3
	scratch_store_b64 off, v[1:2], off offset:264
	v_cmpx_lt_u32_e32 32, v0
	s_cbranch_execz .LBB59_309
; %bb.308:
	scratch_load_b64 v[1:2], off, off offset:256
	v_mov_b32_e32 v3, 0
	s_delay_alu instid0(VALU_DEP_1)
	v_mov_b32_e32 v4, v3
	scratch_store_b64 off, v[3:4], off offset:256
	s_wait_loadcnt 0x0
	ds_store_b64 v155, v[1:2]
.LBB59_309:
	s_wait_alu 0xfffe
	s_or_b32 exec_lo, exec_lo, s0
	s_wait_storecnt_dscnt 0x0
	s_barrier_signal -1
	s_barrier_wait -1
	global_inv scope:SCOPE_SE
	s_clause 0x4
	scratch_load_b128 v[2:5], off, off offset:264
	scratch_load_b128 v[6:9], off, off offset:280
	;; [unrolled: 1-line block ×5, first 2 shown]
	v_mov_b32_e32 v1, 0
	ds_load_2addr_b64 v[22:25], v1 offset0:93 offset1:94
	ds_load_2addr_b64 v[26:29], v1 offset0:95 offset1:96
	;; [unrolled: 1-line block ×3, first 2 shown]
	scratch_load_b64 v[30:31], off, off offset:256
	s_mov_b32 s0, exec_lo
	s_wait_loadcnt_dscnt 0x502
	v_mul_f32_e32 v32, v23, v3
	v_dual_mul_f32 v153, v22, v3 :: v_dual_mul_f32 v154, v24, v5
	v_mul_f32_e32 v3, v25, v5
	s_wait_loadcnt_dscnt 0x300
	v_mul_f32_e32 v160, v158, v13
	v_fma_f32 v22, v22, v2, -v32
	v_dual_fmac_f32 v153, v23, v2 :: v_dual_fmac_f32 v154, v25, v4
	v_fma_f32 v23, v24, v4, -v3
	v_mul_f32_e32 v24, v26, v7
	v_mul_f32_e32 v7, v27, v7
	v_mul_f32_e32 v25, v28, v9
	v_dual_mul_f32 v9, v29, v9 :: v_dual_mul_f32 v32, v156, v11
	ds_load_2addr_b64 v[2:5], v1 offset0:99 offset1:100
	v_fmac_f32_e32 v24, v27, v6
	v_fma_f32 v26, v26, v6, -v7
	v_fmac_f32_e32 v25, v29, v8
	v_fma_f32 v27, v28, v8, -v9
	scratch_load_b128 v[6:9], off, off offset:344
	v_dual_mul_f32 v11, v157, v11 :: v_dual_fmac_f32 v160, v159, v12
	v_dual_mul_f32 v13, v159, v13 :: v_dual_fmac_f32 v32, v157, v10
	s_delay_alu instid0(VALU_DEP_2) | instskip(NEXT) | instid1(VALU_DEP_2)
	v_fma_f32 v28, v156, v10, -v11
	v_fma_f32 v29, v158, v12, -v13
	ds_load_2addr_b64 v[10:13], v1 offset0:101 offset1:102
	s_wait_loadcnt_dscnt 0x301
	v_mul_f32_e32 v156, v2, v15
	v_mul_f32_e32 v15, v3, v15
	;; [unrolled: 1-line block ×3, first 2 shown]
	s_delay_alu instid0(VALU_DEP_3) | instskip(SKIP_1) | instid1(VALU_DEP_2)
	v_dual_mul_f32 v17, v5, v17 :: v_dual_fmac_f32 v156, v3, v14
	s_wait_loadcnt_dscnt 0x200
	v_dual_fmac_f32 v157, v5, v16 :: v_dual_mul_f32 v162, v12, v21
	v_fma_f32 v158, v2, v14, -v15
	v_mul_f32_e32 v14, v11, v19
	v_fma_f32 v159, v4, v16, -v17
	ds_load_2addr_b64 v[2:5], v1 offset0:103 offset1:104
	v_dual_mul_f32 v161, v10, v19 :: v_dual_fmac_f32 v162, v13, v20
	v_mul_f32_e32 v15, v13, v21
	s_delay_alu instid0(VALU_DEP_1) | instskip(SKIP_1) | instid1(VALU_DEP_3)
	v_fma_f32 v19, v12, v20, -v15
	s_wait_loadcnt_dscnt 0x0
	v_dual_mul_f32 v164, v4, v9 :: v_dual_fmac_f32 v161, v11, v18
	v_fma_f32 v18, v10, v18, -v14
	scratch_load_b128 v[10:13], off, off offset:360
	v_mul_f32_e32 v163, v2, v7
	v_mul_f32_e32 v7, v3, v7
	;; [unrolled: 1-line block ×3, first 2 shown]
	s_delay_alu instid0(VALU_DEP_3) | instskip(NEXT) | instid1(VALU_DEP_3)
	v_dual_fmac_f32 v164, v5, v8 :: v_dual_fmac_f32 v163, v3, v6
	v_fma_f32 v165, v2, v6, -v7
	s_delay_alu instid0(VALU_DEP_3)
	v_fma_f32 v166, v4, v8, -v9
	ds_load_2addr_b64 v[2:5], v1 offset0:105 offset1:106
	ds_load_2addr_b64 v[6:9], v1 offset0:107 offset1:108
	s_wait_loadcnt_dscnt 0x1
	v_mul_f32_e32 v167, v2, v11
	v_dual_mul_f32 v11, v3, v11 :: v_dual_mul_f32 v168, v4, v13
	s_delay_alu instid0(VALU_DEP_2) | instskip(NEXT) | instid1(VALU_DEP_2)
	v_fmac_f32_e32 v167, v3, v10
	v_fma_f32 v169, v2, v10, -v11
	v_mul_f32_e32 v2, v5, v13
	s_delay_alu instid0(VALU_DEP_4) | instskip(NEXT) | instid1(VALU_DEP_2)
	v_fmac_f32_e32 v168, v5, v12
	v_fma_f32 v170, v4, v12, -v2
	s_clause 0x1
	scratch_load_b128 v[2:5], off, off offset:376
	scratch_load_b128 v[10:13], off, off offset:392
	s_wait_loadcnt_dscnt 0x100
	v_mul_f32_e32 v171, v6, v3
	v_mul_f32_e32 v3, v7, v3
	;; [unrolled: 1-line block ×3, first 2 shown]
	s_delay_alu instid0(VALU_DEP_2) | instskip(SKIP_1) | instid1(VALU_DEP_1)
	v_fma_f32 v172, v6, v2, -v3
	v_add_f32_e32 v3, 0, v153
	v_add_f32_e32 v6, v3, v154
	s_delay_alu instid0(VALU_DEP_1) | instskip(NEXT) | instid1(VALU_DEP_1)
	v_add_f32_e32 v14, v6, v24
	v_dual_add_f32 v14, v14, v25 :: v_dual_fmac_f32 v171, v7, v2
	v_mul_f32_e32 v2, v9, v5
	s_delay_alu instid0(VALU_DEP_2) | instskip(NEXT) | instid1(VALU_DEP_2)
	v_add_f32_e32 v14, v14, v32
	v_fma_f32 v174, v8, v4, -v2
	s_delay_alu instid0(VALU_DEP_2) | instskip(NEXT) | instid1(VALU_DEP_1)
	v_dual_add_f32 v2, 0, v22 :: v_dual_add_f32 v21, v14, v160
	v_dual_add_f32 v2, v2, v23 :: v_dual_add_f32 v21, v21, v156
	s_delay_alu instid0(VALU_DEP_1) | instskip(NEXT) | instid1(VALU_DEP_1)
	v_add_f32_e32 v21, v21, v157
	v_dual_add_f32 v7, v2, v26 :: v_dual_add_f32 v22, v21, v161
	s_delay_alu instid0(VALU_DEP_1)
	v_add_f32_e32 v15, v7, v27
	scratch_load_b64 v[26:27], off, off offset:472
	v_dual_add_f32 v22, v22, v162 :: v_dual_add_f32 v15, v15, v28
	v_fmac_f32_e32 v173, v9, v4
	scratch_load_b128 v[2:5], off, off offset:408
	ds_load_2addr_b64 v[6:9], v1 offset0:109 offset1:110
	v_add_f32_e32 v22, v22, v163
	v_add_f32_e32 v20, v15, v29
	ds_load_2addr_b64 v[14:17], v1 offset0:111 offset1:112
	v_add_f32_e32 v22, v22, v164
	v_add_f32_e32 v20, v20, v158
	s_delay_alu instid0(VALU_DEP_1) | instskip(NEXT) | instid1(VALU_DEP_1)
	v_add_f32_e32 v20, v20, v159
	v_add_f32_e32 v18, v20, v18
	s_wait_loadcnt_dscnt 0x201
	v_mul_f32_e32 v32, v6, v11
	v_mul_f32_e32 v11, v7, v11
	;; [unrolled: 1-line block ×4, first 2 shown]
	s_delay_alu instid0(VALU_DEP_4) | instskip(NEXT) | instid1(VALU_DEP_4)
	v_dual_add_f32 v23, v18, v19 :: v_dual_fmac_f32 v32, v7, v10
	v_fma_f32 v154, v6, v10, -v11
	s_delay_alu instid0(VALU_DEP_4) | instskip(NEXT) | instid1(VALU_DEP_4)
	v_fmac_f32_e32 v153, v9, v12
	v_fma_f32 v156, v8, v12, -v13
	s_clause 0x2
	scratch_load_b128 v[6:9], off, off offset:424
	scratch_load_b128 v[10:13], off, off offset:440
	;; [unrolled: 1-line block ×3, first 2 shown]
	v_add_f32_e32 v23, v23, v165
	s_wait_loadcnt_dscnt 0x300
	v_dual_mul_f32 v158, v16, v5 :: v_dual_mul_f32 v157, v14, v3
	s_delay_alu instid0(VALU_DEP_1) | instskip(NEXT) | instid1(VALU_DEP_1)
	v_dual_mul_f32 v3, v15, v3 :: v_dual_fmac_f32 v158, v17, v4
	v_fma_f32 v159, v14, v2, -v3
	v_add_f32_e32 v14, v22, v167
	s_delay_alu instid0(VALU_DEP_1) | instskip(NEXT) | instid1(VALU_DEP_1)
	v_add_f32_e32 v22, v14, v168
	v_add_f32_e32 v29, v22, v171
	s_delay_alu instid0(VALU_DEP_1) | instskip(NEXT) | instid1(VALU_DEP_1)
	v_dual_add_f32 v23, v23, v166 :: v_dual_add_f32 v162, v29, v173
	v_dual_add_f32 v23, v23, v169 :: v_dual_add_f32 v32, v162, v32
	s_delay_alu instid0(VALU_DEP_1) | instskip(NEXT) | instid1(VALU_DEP_2)
	v_dual_add_f32 v32, v32, v153 :: v_dual_fmac_f32 v157, v15, v2
	v_add_f32_e32 v15, v23, v170
	ds_load_2addr_b64 v[22:25], v1 offset0:117 offset1:118
	v_add_f32_e32 v28, v15, v172
	s_delay_alu instid0(VALU_DEP_1) | instskip(SKIP_2) | instid1(VALU_DEP_1)
	v_add_f32_e32 v161, v28, v174
	ds_load_b64 v[28:29], v1 offset:952
	v_add_f32_e32 v154, v161, v154
	v_dual_add_f32 v154, v154, v156 :: v_dual_mul_f32 v5, v17, v5
	s_delay_alu instid0(VALU_DEP_1) | instskip(NEXT) | instid1(VALU_DEP_2)
	v_add_f32_e32 v154, v154, v159
	v_fma_f32 v160, v16, v4, -v5
	ds_load_2addr_b64 v[2:5], v1 offset0:113 offset1:114
	ds_load_2addr_b64 v[14:17], v1 offset0:115 offset1:116
	s_wait_loadcnt_dscnt 0x3
	v_mul_f32_e32 v159, v22, v19
	v_add_f32_e32 v154, v154, v160
	v_mul_f32_e32 v160, v24, v21
	s_wait_dscnt 0x1
	s_delay_alu instid0(VALU_DEP_1)
	v_dual_fmac_f32 v160, v25, v20 :: v_dual_mul_f32 v153, v4, v9
	s_wait_dscnt 0x0
	v_mul_f32_e32 v156, v14, v11
	v_dual_add_f32 v32, v32, v157 :: v_dual_mul_f32 v161, v2, v7
	v_mul_f32_e32 v7, v3, v7
	v_mul_f32_e32 v9, v5, v9
	s_delay_alu instid0(VALU_DEP_4) | instskip(NEXT) | instid1(VALU_DEP_4)
	v_dual_mul_f32 v157, v16, v13 :: v_dual_fmac_f32 v156, v15, v10
	v_add_f32_e32 v32, v32, v158
	s_delay_alu instid0(VALU_DEP_4) | instskip(SKIP_1) | instid1(VALU_DEP_2)
	v_fma_f32 v2, v2, v6, -v7
	v_mul_f32_e32 v158, v28, v27
	v_add_f32_e32 v2, v154, v2
	v_fmac_f32_e32 v161, v3, v6
	v_fma_f32 v3, v4, v8, -v9
	v_mul_f32_e32 v4, v15, v11
	v_dual_mul_f32 v6, v17, v13 :: v_dual_fmac_f32 v159, v23, v18
	v_fmac_f32_e32 v158, v29, v26
	s_delay_alu instid0(VALU_DEP_4) | instskip(NEXT) | instid1(VALU_DEP_4)
	v_add_f32_e32 v2, v2, v3
	v_fma_f32 v4, v14, v10, -v4
	s_delay_alu instid0(VALU_DEP_4) | instskip(NEXT) | instid1(VALU_DEP_2)
	v_fma_f32 v6, v16, v12, -v6
	v_add_f32_e32 v2, v2, v4
	v_fmac_f32_e32 v153, v5, v8
	v_add_f32_e32 v5, v32, v161
	v_mul_f32_e32 v4, v25, v21
	s_delay_alu instid0(VALU_DEP_4) | instskip(SKIP_1) | instid1(VALU_DEP_3)
	v_add_f32_e32 v2, v2, v6
	v_mul_f32_e32 v6, v29, v27
	v_fma_f32 v4, v24, v20, -v4
	v_add_f32_e32 v3, v5, v153
	v_mul_f32_e32 v5, v23, v19
	s_delay_alu instid0(VALU_DEP_1) | instskip(NEXT) | instid1(VALU_DEP_1)
	v_fma_f32 v5, v22, v18, -v5
	v_dual_fmac_f32 v157, v17, v12 :: v_dual_add_f32 v2, v2, v5
	v_fma_f32 v5, v28, v26, -v6
	s_delay_alu instid0(VALU_DEP_2) | instskip(NEXT) | instid1(VALU_DEP_1)
	v_add_f32_e32 v2, v2, v4
	v_dual_add_f32 v3, v3, v156 :: v_dual_add_f32 v2, v2, v5
	s_delay_alu instid0(VALU_DEP_1) | instskip(NEXT) | instid1(VALU_DEP_1)
	v_dual_add_f32 v3, v3, v157 :: v_dual_sub_f32 v2, v30, v2
	v_add_f32_e32 v3, v3, v159
	s_delay_alu instid0(VALU_DEP_1) | instskip(NEXT) | instid1(VALU_DEP_1)
	v_add_f32_e32 v3, v3, v160
	v_add_f32_e32 v3, v3, v158
	s_delay_alu instid0(VALU_DEP_1)
	v_sub_f32_e32 v3, v31, v3
	scratch_store_b64 off, v[2:3], off offset:256
	v_cmpx_lt_u32_e32 31, v0
	s_cbranch_execz .LBB59_311
; %bb.310:
	scratch_load_b64 v[3:4], off, off offset:248
	v_mov_b32_e32 v2, v1
	scratch_store_b64 off, v[1:2], off offset:248
	s_wait_loadcnt 0x0
	ds_store_b64 v155, v[3:4]
.LBB59_311:
	s_wait_alu 0xfffe
	s_or_b32 exec_lo, exec_lo, s0
	s_wait_storecnt_dscnt 0x0
	s_barrier_signal -1
	s_barrier_wait -1
	global_inv scope:SCOPE_SE
	s_clause 0x4
	scratch_load_b128 v[2:5], off, off offset:256
	scratch_load_b128 v[6:9], off, off offset:272
	;; [unrolled: 1-line block ×5, first 2 shown]
	ds_load_b128 v[22:25], v1 offset:736
	ds_load_b128 v[26:29], v1 offset:752
	;; [unrolled: 1-line block ×3, first 2 shown]
	scratch_load_b64 v[30:31], off, off offset:248
	s_mov_b32 s0, exec_lo
	s_wait_loadcnt_dscnt 0x502
	v_mul_f32_e32 v32, v23, v3
	v_dual_mul_f32 v153, v22, v3 :: v_dual_mul_f32 v154, v24, v5
	v_mul_f32_e32 v3, v25, v5
	s_wait_loadcnt_dscnt 0x300
	v_mul_f32_e32 v160, v158, v13
	v_fma_f32 v22, v22, v2, -v32
	v_dual_fmac_f32 v153, v23, v2 :: v_dual_fmac_f32 v154, v25, v4
	v_fma_f32 v23, v24, v4, -v3
	ds_load_b128 v[2:5], v1 offset:784
	v_dual_mul_f32 v24, v26, v7 :: v_dual_mul_f32 v25, v28, v9
	v_mul_f32_e32 v7, v27, v7
	v_dual_mul_f32 v9, v29, v9 :: v_dual_mul_f32 v32, v156, v11
	s_delay_alu instid0(VALU_DEP_3) | instskip(SKIP_2) | instid1(VALU_DEP_4)
	v_dual_mul_f32 v11, v157, v11 :: v_dual_fmac_f32 v24, v27, v6
	v_mul_f32_e32 v13, v159, v13
	v_fmac_f32_e32 v25, v29, v8
	v_fma_f32 v27, v28, v8, -v9
	v_fmac_f32_e32 v32, v157, v10
	v_fma_f32 v28, v156, v10, -v11
	;; [unrolled: 2-line block ×3, first 2 shown]
	ds_load_b128 v[10:13], v1 offset:800
	v_fma_f32 v26, v26, v6, -v7
	scratch_load_b128 v[6:9], off, off offset:336
	s_wait_loadcnt_dscnt 0x301
	v_mul_f32_e32 v156, v2, v15
	v_mul_f32_e32 v15, v3, v15
	;; [unrolled: 1-line block ×3, first 2 shown]
	s_delay_alu instid0(VALU_DEP_3) | instskip(NEXT) | instid1(VALU_DEP_3)
	v_dual_mul_f32 v17, v5, v17 :: v_dual_fmac_f32 v156, v3, v14
	v_fma_f32 v14, v2, v14, -v15
	s_delay_alu instid0(VALU_DEP_3) | instskip(NEXT) | instid1(VALU_DEP_3)
	v_fmac_f32_e32 v157, v5, v16
	v_fma_f32 v15, v4, v16, -v17
	ds_load_b128 v[2:5], v1 offset:816
	s_wait_loadcnt_dscnt 0x201
	v_mul_f32_e32 v16, v10, v19
	v_mul_f32_e32 v17, v11, v19
	;; [unrolled: 1-line block ×3, first 2 shown]
	s_delay_alu instid0(VALU_DEP_3) | instskip(NEXT) | instid1(VALU_DEP_3)
	v_dual_mul_f32 v21, v13, v21 :: v_dual_fmac_f32 v16, v11, v18
	v_fma_f32 v17, v10, v18, -v17
	s_delay_alu instid0(VALU_DEP_3) | instskip(NEXT) | instid1(VALU_DEP_3)
	v_fmac_f32_e32 v19, v13, v20
	v_fma_f32 v18, v12, v20, -v21
	scratch_load_b128 v[10:13], off, off offset:352
	s_wait_loadcnt_dscnt 0x100
	v_mul_f32_e32 v20, v2, v7
	v_mul_f32_e32 v7, v3, v7
	;; [unrolled: 1-line block ×3, first 2 shown]
	s_delay_alu instid0(VALU_DEP_3) | instskip(NEXT) | instid1(VALU_DEP_3)
	v_dual_mul_f32 v9, v5, v9 :: v_dual_fmac_f32 v20, v3, v6
	v_fma_f32 v158, v2, v6, -v7
	s_delay_alu instid0(VALU_DEP_3) | instskip(NEXT) | instid1(VALU_DEP_3)
	v_fmac_f32_e32 v21, v5, v8
	v_fma_f32 v159, v4, v8, -v9
	ds_load_b128 v[2:5], v1 offset:832
	ds_load_b128 v[6:9], v1 offset:848
	s_wait_loadcnt_dscnt 0x1
	v_mul_f32_e32 v161, v2, v11
	v_dual_mul_f32 v11, v3, v11 :: v_dual_mul_f32 v162, v4, v13
	s_delay_alu instid0(VALU_DEP_2) | instskip(NEXT) | instid1(VALU_DEP_2)
	v_fmac_f32_e32 v161, v3, v10
	v_fma_f32 v163, v2, v10, -v11
	v_mul_f32_e32 v2, v5, v13
	s_delay_alu instid0(VALU_DEP_4) | instskip(NEXT) | instid1(VALU_DEP_2)
	v_fmac_f32_e32 v162, v5, v12
	v_fma_f32 v164, v4, v12, -v2
	s_clause 0x1
	scratch_load_b128 v[2:5], off, off offset:368
	scratch_load_b128 v[10:13], off, off offset:384
	s_wait_loadcnt_dscnt 0x100
	v_mul_f32_e32 v165, v6, v3
	v_mul_f32_e32 v3, v7, v3
	;; [unrolled: 1-line block ×3, first 2 shown]
	s_delay_alu instid0(VALU_DEP_3) | instskip(NEXT) | instid1(VALU_DEP_3)
	v_fmac_f32_e32 v165, v7, v2
	v_fma_f32 v166, v6, v2, -v3
	v_mul_f32_e32 v2, v9, v5
	s_delay_alu instid0(VALU_DEP_4) | instskip(NEXT) | instid1(VALU_DEP_2)
	v_fmac_f32_e32 v167, v9, v4
	v_fma_f32 v168, v8, v4, -v2
	ds_load_b128 v[2:5], v1 offset:864
	ds_load_b128 v[6:9], v1 offset:880
	s_wait_loadcnt_dscnt 0x1
	v_mul_f32_e32 v169, v2, v11
	v_mul_f32_e32 v171, v4, v13
	s_delay_alu instid0(VALU_DEP_2) | instskip(SKIP_1) | instid1(VALU_DEP_3)
	v_fmac_f32_e32 v169, v3, v10
	v_mul_f32_e32 v3, v3, v11
	v_fmac_f32_e32 v171, v5, v12
	s_delay_alu instid0(VALU_DEP_2) | instskip(SKIP_1) | instid1(VALU_DEP_1)
	v_fma_f32 v170, v2, v10, -v3
	v_mul_f32_e32 v2, v5, v13
	v_fma_f32 v172, v4, v12, -v2
	s_clause 0x1
	scratch_load_b128 v[2:5], off, off offset:400
	scratch_load_b128 v[10:13], off, off offset:416
	s_wait_loadcnt_dscnt 0x100
	v_mul_f32_e32 v173, v6, v3
	v_mul_f32_e32 v3, v7, v3
	s_delay_alu instid0(VALU_DEP_2) | instskip(NEXT) | instid1(VALU_DEP_2)
	v_fmac_f32_e32 v173, v7, v2
	v_fma_f32 v174, v6, v2, -v3
	v_mul_f32_e32 v2, v9, v5
	v_add_f32_e32 v3, 0, v153
	s_delay_alu instid0(VALU_DEP_2) | instskip(SKIP_1) | instid1(VALU_DEP_1)
	v_fma_f32 v176, v8, v4, -v2
	v_add_f32_e32 v2, 0, v22
	v_dual_add_f32 v3, v3, v154 :: v_dual_add_f32 v2, v2, v23
	s_delay_alu instid0(VALU_DEP_1) | instskip(NEXT) | instid1(VALU_DEP_1)
	v_dual_add_f32 v3, v3, v24 :: v_dual_add_f32 v2, v2, v26
	v_add_f32_e32 v2, v2, v27
	s_delay_alu instid0(VALU_DEP_1) | instskip(NEXT) | instid1(VALU_DEP_1)
	v_add_f32_e32 v2, v2, v28
	v_add_f32_e32 v7, v2, v29
	s_delay_alu instid0(VALU_DEP_1) | instskip(NEXT) | instid1(VALU_DEP_1)
	v_add_f32_e32 v7, v7, v14
	;; [unrolled: 3-line block ×3, first 2 shown]
	v_dual_add_f32 v14, v14, v18 :: v_dual_add_f32 v3, v3, v25
	s_delay_alu instid0(VALU_DEP_1) | instskip(NEXT) | instid1(VALU_DEP_2)
	v_add_f32_e32 v14, v14, v158
	v_add_f32_e32 v6, v3, v32
	s_delay_alu instid0(VALU_DEP_1) | instskip(NEXT) | instid1(VALU_DEP_1)
	v_add_f32_e32 v6, v6, v160
	v_add_f32_e32 v6, v6, v156
	s_delay_alu instid0(VALU_DEP_1) | instskip(NEXT) | instid1(VALU_DEP_1)
	;; [unrolled: 3-line block ×3, first 2 shown]
	v_add_f32_e32 v15, v15, v19
	v_dual_add_f32 v19, v14, v159 :: v_dual_add_f32 v18, v15, v20
	scratch_load_b128 v[14:17], off, off offset:464
	v_dual_add_f32 v19, v19, v163 :: v_dual_add_f32 v18, v18, v21
	s_delay_alu instid0(VALU_DEP_1) | instskip(NEXT) | instid1(VALU_DEP_1)
	v_dual_add_f32 v19, v19, v164 :: v_dual_add_f32 v18, v18, v161
	v_dual_mul_f32 v175, v8, v5 :: v_dual_add_f32 v22, v19, v166
	s_delay_alu instid0(VALU_DEP_1)
	v_dual_add_f32 v18, v18, v162 :: v_dual_fmac_f32 v175, v9, v4
	ds_load_b128 v[2:5], v1 offset:896
	ds_load_b128 v[6:9], v1 offset:912
	v_add_f32_e32 v32, v22, v168
	v_add_f32_e32 v23, v18, v165
	ds_load_b128 v[18:21], v1 offset:928
	v_add_f32_e32 v153, v23, v167
	ds_load_b128 v[22:25], v1 offset:944
	v_dual_add_f32 v1, v32, v170 :: v_dual_add_f32 v32, v153, v169
	s_delay_alu instid0(VALU_DEP_1)
	v_add_f32_e32 v32, v32, v171
	s_wait_loadcnt_dscnt 0x103
	v_dual_mul_f32 v26, v2, v11 :: v_dual_mul_f32 v27, v4, v13
	v_mul_f32_e32 v11, v3, v11
	v_mul_f32_e32 v13, v5, v13
	v_add_f32_e32 v32, v32, v173
	s_delay_alu instid0(VALU_DEP_4) | instskip(NEXT) | instid1(VALU_DEP_4)
	v_dual_fmac_f32 v26, v3, v10 :: v_dual_fmac_f32 v27, v5, v12
	v_fma_f32 v28, v2, v10, -v11
	s_delay_alu instid0(VALU_DEP_3) | instskip(NEXT) | instid1(VALU_DEP_1)
	v_add_f32_e32 v32, v32, v175
	v_add_f32_e32 v26, v32, v26
	s_wait_loadcnt_dscnt 0x0
	v_mul_f32_e32 v158, v22, v15
	v_fma_f32 v29, v4, v12, -v13
	s_clause 0x1
	scratch_load_b128 v[2:5], off, off offset:432
	scratch_load_b128 v[10:13], off, off offset:448
	s_wait_loadcnt 0x1
	v_dual_fmac_f32 v158, v23, v14 :: v_dual_mul_f32 v153, v6, v3
	v_dual_mul_f32 v3, v7, v3 :: v_dual_mul_f32 v154, v8, v5
	s_wait_loadcnt 0x0
	v_dual_mul_f32 v156, v18, v11 :: v_dual_mul_f32 v5, v9, v5
	s_delay_alu instid0(VALU_DEP_3) | instskip(NEXT) | instid1(VALU_DEP_3)
	v_fmac_f32_e32 v153, v7, v2
	v_fma_f32 v3, v6, v2, -v3
	v_mul_f32_e32 v6, v19, v11
	v_add_f32_e32 v2, v26, v27
	v_fmac_f32_e32 v154, v9, v4
	v_fmac_f32_e32 v156, v19, v10
	v_fma_f32 v4, v8, v4, -v5
	v_fma_f32 v5, v18, v10, -v6
	v_add_f32_e32 v2, v2, v153
	s_delay_alu instid0(VALU_DEP_1) | instskip(NEXT) | instid1(VALU_DEP_1)
	v_dual_add_f32 v2, v2, v154 :: v_dual_mul_f32 v157, v20, v13
	v_add_f32_e32 v2, v2, v156
	s_delay_alu instid0(VALU_DEP_2) | instskip(NEXT) | instid1(VALU_DEP_1)
	v_fmac_f32_e32 v157, v21, v12
	v_dual_add_f32 v1, v1, v172 :: v_dual_add_f32 v2, v2, v157
	s_delay_alu instid0(VALU_DEP_1) | instskip(NEXT) | instid1(VALU_DEP_2)
	v_add_f32_e32 v2, v2, v158
	v_add_f32_e32 v1, v1, v174
	s_delay_alu instid0(VALU_DEP_1) | instskip(NEXT) | instid1(VALU_DEP_1)
	v_add_f32_e32 v1, v1, v176
	v_dual_add_f32 v1, v1, v28 :: v_dual_mul_f32 v28, v24, v17
	s_delay_alu instid0(VALU_DEP_1) | instskip(NEXT) | instid1(VALU_DEP_2)
	v_add_f32_e32 v1, v1, v29
	v_fmac_f32_e32 v28, v25, v16
	s_delay_alu instid0(VALU_DEP_2) | instskip(NEXT) | instid1(VALU_DEP_2)
	v_add_f32_e32 v1, v1, v3
	v_dual_mul_f32 v3, v21, v13 :: v_dual_add_f32 v2, v2, v28
	s_delay_alu instid0(VALU_DEP_2) | instskip(NEXT) | instid1(VALU_DEP_2)
	v_dual_add_f32 v1, v1, v4 :: v_dual_mul_f32 v4, v23, v15
	v_fma_f32 v3, v20, v12, -v3
	s_delay_alu instid0(VALU_DEP_2) | instskip(SKIP_1) | instid1(VALU_DEP_4)
	v_dual_sub_f32 v2, v31, v2 :: v_dual_add_f32 v1, v1, v5
	v_mul_f32_e32 v5, v25, v17
	v_fma_f32 v4, v22, v14, -v4
	s_delay_alu instid0(VALU_DEP_3) | instskip(NEXT) | instid1(VALU_DEP_3)
	v_add_f32_e32 v1, v1, v3
	v_fma_f32 v3, v24, v16, -v5
	s_delay_alu instid0(VALU_DEP_2) | instskip(NEXT) | instid1(VALU_DEP_1)
	v_add_f32_e32 v1, v1, v4
	v_add_f32_e32 v1, v1, v3
	s_delay_alu instid0(VALU_DEP_1)
	v_sub_f32_e32 v1, v30, v1
	scratch_store_b64 off, v[1:2], off offset:248
	v_cmpx_lt_u32_e32 30, v0
	s_cbranch_execz .LBB59_313
; %bb.312:
	scratch_load_b64 v[1:2], off, off offset:240
	v_mov_b32_e32 v3, 0
	s_delay_alu instid0(VALU_DEP_1)
	v_mov_b32_e32 v4, v3
	scratch_store_b64 off, v[3:4], off offset:240
	s_wait_loadcnt 0x0
	ds_store_b64 v155, v[1:2]
.LBB59_313:
	s_wait_alu 0xfffe
	s_or_b32 exec_lo, exec_lo, s0
	s_wait_storecnt_dscnt 0x0
	s_barrier_signal -1
	s_barrier_wait -1
	global_inv scope:SCOPE_SE
	s_clause 0x4
	scratch_load_b128 v[2:5], off, off offset:248
	scratch_load_b128 v[6:9], off, off offset:264
	;; [unrolled: 1-line block ×5, first 2 shown]
	v_mov_b32_e32 v1, 0
	ds_load_2addr_b64 v[22:25], v1 offset0:91 offset1:92
	ds_load_2addr_b64 v[26:29], v1 offset0:93 offset1:94
	;; [unrolled: 1-line block ×3, first 2 shown]
	scratch_load_b64 v[30:31], off, off offset:240
	s_mov_b32 s0, exec_lo
	s_wait_loadcnt_dscnt 0x502
	v_mul_f32_e32 v32, v23, v3
	v_dual_mul_f32 v153, v22, v3 :: v_dual_mul_f32 v154, v24, v5
	v_mul_f32_e32 v3, v25, v5
	s_wait_loadcnt_dscnt 0x300
	v_mul_f32_e32 v160, v158, v13
	v_fma_f32 v22, v22, v2, -v32
	v_dual_fmac_f32 v153, v23, v2 :: v_dual_fmac_f32 v154, v25, v4
	v_fma_f32 v23, v24, v4, -v3
	ds_load_2addr_b64 v[2:5], v1 offset0:97 offset1:98
	v_mul_f32_e32 v24, v26, v7
	v_mul_f32_e32 v7, v27, v7
	;; [unrolled: 1-line block ×3, first 2 shown]
	v_dual_mul_f32 v9, v29, v9 :: v_dual_mul_f32 v32, v156, v11
	v_dual_mul_f32 v11, v157, v11 :: v_dual_fmac_f32 v160, v159, v12
	v_mul_f32_e32 v13, v159, v13
	s_delay_alu instid0(VALU_DEP_4) | instskip(NEXT) | instid1(VALU_DEP_4)
	v_dual_fmac_f32 v24, v27, v6 :: v_dual_fmac_f32 v25, v29, v8
	v_fma_f32 v27, v28, v8, -v9
	v_fmac_f32_e32 v32, v157, v10
	v_fma_f32 v28, v156, v10, -v11
	v_fma_f32 v29, v158, v12, -v13
	ds_load_2addr_b64 v[10:13], v1 offset0:99 offset1:100
	v_fma_f32 v26, v26, v6, -v7
	scratch_load_b128 v[6:9], off, off offset:328
	s_wait_loadcnt_dscnt 0x301
	v_mul_f32_e32 v156, v2, v15
	v_mul_f32_e32 v15, v3, v15
	;; [unrolled: 1-line block ×3, first 2 shown]
	s_delay_alu instid0(VALU_DEP_3) | instskip(NEXT) | instid1(VALU_DEP_3)
	v_dual_mul_f32 v17, v5, v17 :: v_dual_fmac_f32 v156, v3, v14
	v_fma_f32 v14, v2, v14, -v15
	s_delay_alu instid0(VALU_DEP_3) | instskip(NEXT) | instid1(VALU_DEP_3)
	v_fmac_f32_e32 v157, v5, v16
	v_fma_f32 v15, v4, v16, -v17
	ds_load_2addr_b64 v[2:5], v1 offset0:101 offset1:102
	s_wait_loadcnt_dscnt 0x201
	v_mul_f32_e32 v16, v10, v19
	v_mul_f32_e32 v17, v11, v19
	;; [unrolled: 1-line block ×3, first 2 shown]
	s_delay_alu instid0(VALU_DEP_3) | instskip(NEXT) | instid1(VALU_DEP_3)
	v_dual_mul_f32 v21, v13, v21 :: v_dual_fmac_f32 v16, v11, v18
	v_fma_f32 v17, v10, v18, -v17
	s_delay_alu instid0(VALU_DEP_3) | instskip(NEXT) | instid1(VALU_DEP_3)
	v_fmac_f32_e32 v19, v13, v20
	v_fma_f32 v18, v12, v20, -v21
	scratch_load_b128 v[10:13], off, off offset:344
	s_wait_loadcnt_dscnt 0x100
	v_mul_f32_e32 v20, v2, v7
	v_mul_f32_e32 v7, v3, v7
	;; [unrolled: 1-line block ×3, first 2 shown]
	s_delay_alu instid0(VALU_DEP_3) | instskip(NEXT) | instid1(VALU_DEP_3)
	v_dual_mul_f32 v9, v5, v9 :: v_dual_fmac_f32 v20, v3, v6
	v_fma_f32 v158, v2, v6, -v7
	s_delay_alu instid0(VALU_DEP_3) | instskip(NEXT) | instid1(VALU_DEP_3)
	v_fmac_f32_e32 v21, v5, v8
	v_fma_f32 v159, v4, v8, -v9
	ds_load_2addr_b64 v[2:5], v1 offset0:103 offset1:104
	ds_load_2addr_b64 v[6:9], v1 offset0:105 offset1:106
	s_wait_loadcnt_dscnt 0x1
	v_mul_f32_e32 v161, v2, v11
	v_dual_mul_f32 v11, v3, v11 :: v_dual_mul_f32 v162, v4, v13
	s_delay_alu instid0(VALU_DEP_2) | instskip(NEXT) | instid1(VALU_DEP_2)
	v_fmac_f32_e32 v161, v3, v10
	v_fma_f32 v163, v2, v10, -v11
	v_mul_f32_e32 v2, v5, v13
	s_delay_alu instid0(VALU_DEP_4) | instskip(NEXT) | instid1(VALU_DEP_2)
	v_fmac_f32_e32 v162, v5, v12
	v_fma_f32 v164, v4, v12, -v2
	s_clause 0x1
	scratch_load_b128 v[2:5], off, off offset:360
	scratch_load_b128 v[10:13], off, off offset:376
	s_wait_loadcnt_dscnt 0x100
	v_mul_f32_e32 v165, v6, v3
	v_mul_f32_e32 v3, v7, v3
	;; [unrolled: 1-line block ×3, first 2 shown]
	s_delay_alu instid0(VALU_DEP_3) | instskip(NEXT) | instid1(VALU_DEP_3)
	v_fmac_f32_e32 v165, v7, v2
	v_fma_f32 v166, v6, v2, -v3
	v_mul_f32_e32 v2, v9, v5
	s_delay_alu instid0(VALU_DEP_4) | instskip(NEXT) | instid1(VALU_DEP_2)
	v_fmac_f32_e32 v167, v9, v4
	v_fma_f32 v168, v8, v4, -v2
	ds_load_2addr_b64 v[2:5], v1 offset0:107 offset1:108
	ds_load_2addr_b64 v[6:9], v1 offset0:109 offset1:110
	s_wait_loadcnt_dscnt 0x1
	v_mul_f32_e32 v169, v2, v11
	v_mul_f32_e32 v171, v4, v13
	s_delay_alu instid0(VALU_DEP_2) | instskip(SKIP_1) | instid1(VALU_DEP_3)
	v_fmac_f32_e32 v169, v3, v10
	v_mul_f32_e32 v3, v3, v11
	v_fmac_f32_e32 v171, v5, v12
	s_delay_alu instid0(VALU_DEP_2) | instskip(SKIP_1) | instid1(VALU_DEP_1)
	v_fma_f32 v170, v2, v10, -v3
	v_mul_f32_e32 v2, v5, v13
	v_fma_f32 v172, v4, v12, -v2
	s_clause 0x1
	scratch_load_b128 v[2:5], off, off offset:392
	scratch_load_b128 v[10:13], off, off offset:408
	s_wait_loadcnt_dscnt 0x100
	v_mul_f32_e32 v173, v6, v3
	v_mul_f32_e32 v3, v7, v3
	s_delay_alu instid0(VALU_DEP_2) | instskip(NEXT) | instid1(VALU_DEP_2)
	v_fmac_f32_e32 v173, v7, v2
	v_fma_f32 v174, v6, v2, -v3
	v_mul_f32_e32 v2, v9, v5
	s_delay_alu instid0(VALU_DEP_1) | instskip(SKIP_1) | instid1(VALU_DEP_1)
	v_fma_f32 v176, v8, v4, -v2
	v_add_f32_e32 v2, 0, v22
	v_add_f32_e32 v2, v2, v23
	s_delay_alu instid0(VALU_DEP_1) | instskip(NEXT) | instid1(VALU_DEP_1)
	v_add_f32_e32 v2, v2, v26
	v_add_f32_e32 v2, v2, v27
	scratch_load_b64 v[26:27], off, off offset:472
	v_add_f32_e32 v2, v2, v28
	s_delay_alu instid0(VALU_DEP_1) | instskip(NEXT) | instid1(VALU_DEP_1)
	v_add_f32_e32 v7, v2, v29
	v_add_f32_e32 v7, v7, v14
	s_delay_alu instid0(VALU_DEP_1) | instskip(NEXT) | instid1(VALU_DEP_1)
	v_dual_add_f32 v14, v7, v15 :: v_dual_add_f32 v3, 0, v153
	v_dual_add_f32 v14, v14, v17 :: v_dual_add_f32 v3, v3, v154
	s_delay_alu instid0(VALU_DEP_1) | instskip(NEXT) | instid1(VALU_DEP_1)
	v_dual_add_f32 v14, v14, v18 :: v_dual_add_f32 v3, v3, v24
	v_dual_add_f32 v14, v14, v158 :: v_dual_add_f32 v3, v3, v25
	s_delay_alu instid0(VALU_DEP_1) | instskip(NEXT) | instid1(VALU_DEP_1)
	v_add_f32_e32 v6, v3, v32
	v_add_f32_e32 v6, v6, v160
	s_delay_alu instid0(VALU_DEP_1) | instskip(NEXT) | instid1(VALU_DEP_1)
	v_add_f32_e32 v6, v6, v156
	v_add_f32_e32 v15, v6, v157
	;; [unrolled: 3-line block ×4, first 2 shown]
	s_delay_alu instid0(VALU_DEP_1) | instskip(NEXT) | instid1(VALU_DEP_1)
	v_add_f32_e32 v18, v18, v161
	v_dual_mul_f32 v175, v8, v5 :: v_dual_add_f32 v18, v18, v162
	s_delay_alu instid0(VALU_DEP_1)
	v_fmac_f32_e32 v175, v9, v4
	ds_load_2addr_b64 v[2:5], v1 offset0:111 offset1:112
	ds_load_2addr_b64 v[6:9], v1 offset0:113 offset1:114
	v_add_f32_e32 v19, v14, v159
	scratch_load_b128 v[14:17], off, off offset:456
	v_dual_add_f32 v18, v18, v165 :: v_dual_add_f32 v19, v19, v163
	s_delay_alu instid0(VALU_DEP_1) | instskip(NEXT) | instid1(VALU_DEP_1)
	v_dual_add_f32 v22, v18, v167 :: v_dual_add_f32 v19, v19, v164
	v_add_f32_e32 v29, v22, v169
	ds_load_2addr_b64 v[22:25], v1 offset0:117 offset1:118
	v_dual_add_f32 v19, v19, v166 :: v_dual_add_f32 v158, v29, v171
	s_wait_loadcnt_dscnt 0x202
	s_delay_alu instid0(VALU_DEP_1) | instskip(NEXT) | instid1(VALU_DEP_2)
	v_dual_mul_f32 v32, v2, v11 :: v_dual_add_f32 v19, v19, v168
	v_add_f32_e32 v158, v158, v173
	s_delay_alu instid0(VALU_DEP_2) | instskip(NEXT) | instid1(VALU_DEP_3)
	v_fmac_f32_e32 v32, v3, v10
	v_add_f32_e32 v28, v19, v170
	ds_load_2addr_b64 v[18:21], v1 offset0:115 offset1:116
	v_add_f32_e32 v158, v158, v175
	v_mul_f32_e32 v11, v3, v11
	v_add_f32_e32 v157, v28, v172
	ds_load_b64 v[28:29], v1 offset:952
	v_add_f32_e32 v32, v158, v32
	v_fma_f32 v154, v2, v10, -v11
	v_add_f32_e32 v157, v157, v174
	s_delay_alu instid0(VALU_DEP_1) | instskip(NEXT) | instid1(VALU_DEP_1)
	v_add_f32_e32 v157, v157, v176
	v_dual_add_f32 v154, v157, v154 :: v_dual_mul_f32 v153, v4, v13
	v_mul_f32_e32 v13, v5, v13
	s_delay_alu instid0(VALU_DEP_1) | instskip(NEXT) | instid1(VALU_DEP_1)
	v_fma_f32 v156, v4, v12, -v13
	v_add_f32_e32 v154, v154, v156
	s_delay_alu instid0(VALU_DEP_4)
	v_fmac_f32_e32 v153, v5, v12
	s_clause 0x1
	scratch_load_b128 v[2:5], off, off offset:424
	scratch_load_b128 v[10:13], off, off offset:440
	s_wait_loadcnt_dscnt 0x202
	v_mul_f32_e32 v156, v24, v17
	v_dual_add_f32 v32, v32, v153 :: v_dual_mul_f32 v161, v22, v15
	s_delay_alu instid0(VALU_DEP_1)
	v_dual_fmac_f32 v156, v25, v16 :: v_dual_fmac_f32 v161, v23, v14
	s_wait_loadcnt 0x1
	v_mul_f32_e32 v159, v6, v3
	v_dual_mul_f32 v3, v7, v3 :: v_dual_mul_f32 v160, v8, v5
	v_mul_f32_e32 v5, v9, v5
	s_wait_loadcnt_dscnt 0x1
	v_mul_f32_e32 v157, v18, v11
	v_fmac_f32_e32 v159, v7, v2
	v_fma_f32 v3, v6, v2, -v3
	v_fmac_f32_e32 v160, v9, v4
	v_fma_f32 v2, v8, v4, -v5
	v_mul_f32_e32 v4, v19, v11
	v_add_f32_e32 v5, v32, v159
	v_dual_add_f32 v3, v154, v3 :: v_dual_mul_f32 v6, v21, v13
	v_mul_f32_e32 v158, v20, v13
	s_delay_alu instid0(VALU_DEP_4) | instskip(SKIP_1) | instid1(VALU_DEP_4)
	v_fma_f32 v4, v18, v10, -v4
	v_fmac_f32_e32 v157, v19, v10
	v_dual_add_f32 v2, v3, v2 :: v_dual_add_f32 v3, v5, v160
	v_mul_f32_e32 v5, v23, v15
	v_fma_f32 v6, v20, v12, -v6
	v_fmac_f32_e32 v158, v21, v12
	s_delay_alu instid0(VALU_DEP_4) | instskip(SKIP_2) | instid1(VALU_DEP_3)
	v_dual_add_f32 v2, v2, v4 :: v_dual_add_f32 v3, v3, v157
	v_mul_f32_e32 v4, v25, v17
	v_fma_f32 v5, v22, v14, -v5
	v_add_f32_e32 v2, v2, v6
	s_wait_dscnt 0x0
	v_dual_add_f32 v3, v3, v158 :: v_dual_mul_f32 v6, v29, v27
	v_fma_f32 v4, v24, v16, -v4
	s_delay_alu instid0(VALU_DEP_3) | instskip(NEXT) | instid1(VALU_DEP_3)
	v_add_f32_e32 v2, v2, v5
	v_add_f32_e32 v3, v3, v161
	s_delay_alu instid0(VALU_DEP_4) | instskip(NEXT) | instid1(VALU_DEP_3)
	v_fma_f32 v5, v28, v26, -v6
	v_dual_add_f32 v2, v2, v4 :: v_dual_mul_f32 v153, v28, v27
	s_delay_alu instid0(VALU_DEP_1) | instskip(NEXT) | instid1(VALU_DEP_2)
	v_dual_add_f32 v3, v3, v156 :: v_dual_add_f32 v2, v2, v5
	v_fmac_f32_e32 v153, v29, v26
	s_delay_alu instid0(VALU_DEP_1) | instskip(NEXT) | instid1(VALU_DEP_1)
	v_dual_sub_f32 v2, v30, v2 :: v_dual_add_f32 v3, v3, v153
	v_sub_f32_e32 v3, v31, v3
	scratch_store_b64 off, v[2:3], off offset:240
	v_cmpx_lt_u32_e32 29, v0
	s_cbranch_execz .LBB59_315
; %bb.314:
	scratch_load_b64 v[3:4], off, off offset:232
	v_mov_b32_e32 v2, v1
	scratch_store_b64 off, v[1:2], off offset:232
	s_wait_loadcnt 0x0
	ds_store_b64 v155, v[3:4]
.LBB59_315:
	s_wait_alu 0xfffe
	s_or_b32 exec_lo, exec_lo, s0
	s_wait_storecnt_dscnt 0x0
	s_barrier_signal -1
	s_barrier_wait -1
	global_inv scope:SCOPE_SE
	s_clause 0x4
	scratch_load_b128 v[2:5], off, off offset:240
	scratch_load_b128 v[6:9], off, off offset:256
	;; [unrolled: 1-line block ×5, first 2 shown]
	ds_load_b128 v[22:25], v1 offset:720
	ds_load_b128 v[26:29], v1 offset:736
	;; [unrolled: 1-line block ×3, first 2 shown]
	scratch_load_b64 v[30:31], off, off offset:232
	s_mov_b32 s0, exec_lo
	s_wait_loadcnt_dscnt 0x502
	v_mul_f32_e32 v32, v23, v3
	v_dual_mul_f32 v153, v22, v3 :: v_dual_mul_f32 v154, v24, v5
	v_mul_f32_e32 v3, v25, v5
	s_wait_loadcnt_dscnt 0x300
	v_mul_f32_e32 v160, v158, v13
	v_fma_f32 v22, v22, v2, -v32
	v_dual_fmac_f32 v153, v23, v2 :: v_dual_fmac_f32 v154, v25, v4
	v_fma_f32 v23, v24, v4, -v3
	ds_load_b128 v[2:5], v1 offset:768
	v_dual_mul_f32 v24, v26, v7 :: v_dual_mul_f32 v25, v28, v9
	v_mul_f32_e32 v7, v27, v7
	v_dual_mul_f32 v9, v29, v9 :: v_dual_mul_f32 v32, v156, v11
	s_delay_alu instid0(VALU_DEP_3) | instskip(SKIP_2) | instid1(VALU_DEP_4)
	v_dual_mul_f32 v11, v157, v11 :: v_dual_fmac_f32 v24, v27, v6
	v_mul_f32_e32 v13, v159, v13
	v_fmac_f32_e32 v25, v29, v8
	v_fma_f32 v27, v28, v8, -v9
	v_fmac_f32_e32 v32, v157, v10
	v_fma_f32 v28, v156, v10, -v11
	;; [unrolled: 2-line block ×3, first 2 shown]
	ds_load_b128 v[10:13], v1 offset:784
	v_fma_f32 v26, v26, v6, -v7
	scratch_load_b128 v[6:9], off, off offset:320
	s_wait_loadcnt_dscnt 0x301
	v_mul_f32_e32 v156, v2, v15
	v_mul_f32_e32 v15, v3, v15
	;; [unrolled: 1-line block ×3, first 2 shown]
	s_delay_alu instid0(VALU_DEP_3) | instskip(NEXT) | instid1(VALU_DEP_3)
	v_dual_mul_f32 v17, v5, v17 :: v_dual_fmac_f32 v156, v3, v14
	v_fma_f32 v14, v2, v14, -v15
	s_delay_alu instid0(VALU_DEP_3) | instskip(NEXT) | instid1(VALU_DEP_3)
	v_fmac_f32_e32 v157, v5, v16
	v_fma_f32 v15, v4, v16, -v17
	ds_load_b128 v[2:5], v1 offset:800
	s_wait_loadcnt_dscnt 0x201
	v_mul_f32_e32 v16, v10, v19
	v_mul_f32_e32 v17, v11, v19
	;; [unrolled: 1-line block ×3, first 2 shown]
	s_delay_alu instid0(VALU_DEP_3) | instskip(NEXT) | instid1(VALU_DEP_3)
	v_dual_mul_f32 v21, v13, v21 :: v_dual_fmac_f32 v16, v11, v18
	v_fma_f32 v17, v10, v18, -v17
	s_delay_alu instid0(VALU_DEP_3) | instskip(NEXT) | instid1(VALU_DEP_3)
	v_fmac_f32_e32 v19, v13, v20
	v_fma_f32 v18, v12, v20, -v21
	scratch_load_b128 v[10:13], off, off offset:336
	s_wait_loadcnt_dscnt 0x100
	v_mul_f32_e32 v20, v2, v7
	v_mul_f32_e32 v7, v3, v7
	;; [unrolled: 1-line block ×3, first 2 shown]
	s_delay_alu instid0(VALU_DEP_3) | instskip(NEXT) | instid1(VALU_DEP_3)
	v_dual_mul_f32 v9, v5, v9 :: v_dual_fmac_f32 v20, v3, v6
	v_fma_f32 v158, v2, v6, -v7
	s_delay_alu instid0(VALU_DEP_3) | instskip(NEXT) | instid1(VALU_DEP_3)
	v_fmac_f32_e32 v21, v5, v8
	v_fma_f32 v159, v4, v8, -v9
	ds_load_b128 v[2:5], v1 offset:816
	ds_load_b128 v[6:9], v1 offset:832
	s_wait_loadcnt_dscnt 0x1
	v_mul_f32_e32 v161, v2, v11
	v_dual_mul_f32 v11, v3, v11 :: v_dual_mul_f32 v162, v4, v13
	s_delay_alu instid0(VALU_DEP_2) | instskip(NEXT) | instid1(VALU_DEP_2)
	v_fmac_f32_e32 v161, v3, v10
	v_fma_f32 v163, v2, v10, -v11
	v_mul_f32_e32 v2, v5, v13
	s_delay_alu instid0(VALU_DEP_4) | instskip(NEXT) | instid1(VALU_DEP_2)
	v_fmac_f32_e32 v162, v5, v12
	v_fma_f32 v164, v4, v12, -v2
	s_clause 0x1
	scratch_load_b128 v[2:5], off, off offset:352
	scratch_load_b128 v[10:13], off, off offset:368
	s_wait_loadcnt_dscnt 0x100
	v_mul_f32_e32 v165, v6, v3
	v_mul_f32_e32 v3, v7, v3
	;; [unrolled: 1-line block ×3, first 2 shown]
	s_delay_alu instid0(VALU_DEP_3) | instskip(NEXT) | instid1(VALU_DEP_3)
	v_fmac_f32_e32 v165, v7, v2
	v_fma_f32 v166, v6, v2, -v3
	v_mul_f32_e32 v2, v9, v5
	s_delay_alu instid0(VALU_DEP_4) | instskip(NEXT) | instid1(VALU_DEP_2)
	v_fmac_f32_e32 v167, v9, v4
	v_fma_f32 v168, v8, v4, -v2
	ds_load_b128 v[2:5], v1 offset:848
	ds_load_b128 v[6:9], v1 offset:864
	s_wait_loadcnt_dscnt 0x1
	v_mul_f32_e32 v169, v2, v11
	v_mul_f32_e32 v171, v4, v13
	s_delay_alu instid0(VALU_DEP_2) | instskip(SKIP_1) | instid1(VALU_DEP_3)
	v_fmac_f32_e32 v169, v3, v10
	v_mul_f32_e32 v3, v3, v11
	v_fmac_f32_e32 v171, v5, v12
	s_delay_alu instid0(VALU_DEP_2) | instskip(SKIP_1) | instid1(VALU_DEP_1)
	v_fma_f32 v170, v2, v10, -v3
	v_mul_f32_e32 v2, v5, v13
	v_fma_f32 v172, v4, v12, -v2
	s_clause 0x1
	scratch_load_b128 v[2:5], off, off offset:384
	scratch_load_b128 v[10:13], off, off offset:400
	s_wait_loadcnt_dscnt 0x100
	v_mul_f32_e32 v173, v6, v3
	v_mul_f32_e32 v3, v7, v3
	s_delay_alu instid0(VALU_DEP_2) | instskip(NEXT) | instid1(VALU_DEP_2)
	v_fmac_f32_e32 v173, v7, v2
	v_fma_f32 v174, v6, v2, -v3
	v_mul_f32_e32 v2, v9, v5
	v_add_f32_e32 v3, 0, v153
	s_delay_alu instid0(VALU_DEP_2) | instskip(SKIP_1) | instid1(VALU_DEP_1)
	v_fma_f32 v176, v8, v4, -v2
	v_add_f32_e32 v2, 0, v22
	v_add_f32_e32 v2, v2, v23
	s_delay_alu instid0(VALU_DEP_1) | instskip(NEXT) | instid1(VALU_DEP_1)
	v_add_f32_e32 v2, v2, v26
	v_dual_add_f32 v2, v2, v27 :: v_dual_add_f32 v3, v3, v154
	s_delay_alu instid0(VALU_DEP_1) | instskip(NEXT) | instid1(VALU_DEP_1)
	v_add_f32_e32 v2, v2, v28
	v_dual_add_f32 v2, v2, v29 :: v_dual_add_f32 v3, v3, v24
	s_delay_alu instid0(VALU_DEP_1) | instskip(NEXT) | instid1(VALU_DEP_2)
	v_add_f32_e32 v7, v2, v14
	v_add_f32_e32 v3, v3, v25
	s_delay_alu instid0(VALU_DEP_2) | instskip(NEXT) | instid1(VALU_DEP_2)
	v_add_f32_e32 v15, v7, v15
	v_add_f32_e32 v3, v3, v32
	s_delay_alu instid0(VALU_DEP_2) | instskip(NEXT) | instid1(VALU_DEP_2)
	;; [unrolled: 3-line block ×5, first 2 shown]
	v_add_f32_e32 v18, v18, v159
	v_dual_add_f32 v14, v14, v16 :: v_dual_mul_f32 v175, v8, v5
	s_delay_alu instid0(VALU_DEP_2) | instskip(NEXT) | instid1(VALU_DEP_2)
	v_add_f32_e32 v18, v18, v163
	v_add_f32_e32 v19, v14, v19
	ds_load_b128 v[14:17], v1 offset:896
	v_add_f32_e32 v23, v18, v164
	v_add_f32_e32 v19, v19, v20
	s_delay_alu instid0(VALU_DEP_2) | instskip(NEXT) | instid1(VALU_DEP_2)
	v_add_f32_e32 v23, v23, v166
	v_add_f32_e32 v19, v19, v21
	v_fmac_f32_e32 v175, v9, v4
	scratch_load_b128 v[6:9], off, off offset:416
	ds_load_b128 v[2:5], v1 offset:880
	v_add_f32_e32 v23, v23, v168
	v_add_f32_e32 v22, v19, v161
	scratch_load_b128 v[18:21], off, off offset:464
	v_add_f32_e32 v22, v22, v162
	s_delay_alu instid0(VALU_DEP_1) | instskip(SKIP_4) | instid1(VALU_DEP_3)
	v_add_f32_e32 v22, v22, v165
	s_wait_loadcnt_dscnt 0x200
	v_mul_f32_e32 v26, v2, v11
	v_mul_f32_e32 v11, v3, v11
	v_mul_f32_e32 v27, v4, v13
	v_dual_mul_f32 v13, v5, v13 :: v_dual_fmac_f32 v26, v3, v10
	s_delay_alu instid0(VALU_DEP_3) | instskip(NEXT) | instid1(VALU_DEP_3)
	v_fma_f32 v28, v2, v10, -v11
	v_fmac_f32_e32 v27, v5, v12
	s_delay_alu instid0(VALU_DEP_3)
	v_fma_f32 v29, v4, v12, -v13
	s_clause 0x1
	scratch_load_b128 v[2:5], off, off offset:432
	scratch_load_b128 v[10:13], off, off offset:448
	s_wait_loadcnt 0x3
	v_mul_f32_e32 v32, v14, v7
	v_mul_f32_e32 v7, v15, v7
	s_delay_alu instid0(VALU_DEP_2) | instskip(NEXT) | instid1(VALU_DEP_2)
	v_fmac_f32_e32 v32, v15, v6
	v_fma_f32 v154, v14, v6, -v7
	v_add_f32_e32 v14, v22, v167
	s_delay_alu instid0(VALU_DEP_1) | instskip(NEXT) | instid1(VALU_DEP_1)
	v_dual_add_f32 v22, v23, v170 :: v_dual_add_f32 v23, v14, v169
	v_dual_add_f32 v157, v22, v172 :: v_dual_add_f32 v158, v23, v171
	ds_load_b128 v[22:25], v1 offset:944
	v_mul_f32_e32 v153, v16, v9
	v_mul_f32_e32 v9, v17, v9
	s_delay_alu instid0(VALU_DEP_2) | instskip(NEXT) | instid1(VALU_DEP_2)
	v_fmac_f32_e32 v153, v17, v8
	v_fma_f32 v156, v16, v8, -v9
	ds_load_b128 v[6:9], v1 offset:912
	ds_load_b128 v[14:17], v1 offset:928
	v_add_f32_e32 v1, v157, v174
	v_add_f32_e32 v157, v158, v173
	s_delay_alu instid0(VALU_DEP_2) | instskip(NEXT) | instid1(VALU_DEP_2)
	v_add_f32_e32 v1, v1, v176
	v_add_f32_e32 v157, v157, v175
	s_delay_alu instid0(VALU_DEP_2) | instskip(NEXT) | instid1(VALU_DEP_2)
	v_add_f32_e32 v1, v1, v28
	v_add_f32_e32 v26, v157, v26
	s_delay_alu instid0(VALU_DEP_2) | instskip(SKIP_3) | instid1(VALU_DEP_3)
	v_add_f32_e32 v1, v1, v29
	s_wait_loadcnt_dscnt 0x101
	v_dual_mul_f32 v29, v24, v21 :: v_dual_mul_f32 v158, v6, v3
	v_mul_f32_e32 v3, v7, v3
	v_dual_add_f32 v1, v1, v154 :: v_dual_mul_f32 v28, v8, v5
	s_delay_alu instid0(VALU_DEP_3) | instskip(NEXT) | instid1(VALU_DEP_3)
	v_dual_mul_f32 v5, v9, v5 :: v_dual_fmac_f32 v158, v7, v2
	v_fma_f32 v3, v6, v2, -v3
	s_wait_loadcnt_dscnt 0x0
	v_mul_f32_e32 v6, v15, v11
	v_dual_add_f32 v26, v26, v27 :: v_dual_add_f32 v1, v1, v156
	v_dual_mul_f32 v157, v14, v11 :: v_dual_fmac_f32 v28, v9, v4
	v_fma_f32 v4, v8, v4, -v5
	s_delay_alu instid0(VALU_DEP_3) | instskip(SKIP_2) | instid1(VALU_DEP_3)
	v_dual_add_f32 v26, v26, v32 :: v_dual_add_f32 v1, v1, v3
	v_mul_f32_e32 v159, v16, v13
	v_mul_f32_e32 v3, v17, v13
	v_dual_fmac_f32 v157, v15, v10 :: v_dual_add_f32 v2, v26, v153
	v_fma_f32 v5, v14, v10, -v6
	v_add_f32_e32 v1, v1, v4
	v_mul_f32_e32 v27, v22, v19
	v_mul_f32_e32 v4, v23, v19
	v_dual_add_f32 v2, v2, v158 :: v_dual_fmac_f32 v159, v17, v12
	v_fma_f32 v3, v16, v12, -v3
	v_add_f32_e32 v1, v1, v5
	s_delay_alu instid0(VALU_DEP_3) | instskip(SKIP_2) | instid1(VALU_DEP_4)
	v_dual_mul_f32 v5, v25, v21 :: v_dual_add_f32 v2, v2, v28
	v_fmac_f32_e32 v27, v23, v18
	v_fma_f32 v4, v22, v18, -v4
	v_add_f32_e32 v1, v1, v3
	s_delay_alu instid0(VALU_DEP_4) | instskip(SKIP_1) | instid1(VALU_DEP_2)
	v_dual_fmac_f32 v29, v25, v20 :: v_dual_add_f32 v2, v2, v157
	v_fma_f32 v3, v24, v20, -v5
	v_dual_add_f32 v1, v1, v4 :: v_dual_add_f32 v2, v2, v159
	s_delay_alu instid0(VALU_DEP_1) | instskip(NEXT) | instid1(VALU_DEP_2)
	v_add_f32_e32 v1, v1, v3
	v_add_f32_e32 v2, v2, v27
	s_delay_alu instid0(VALU_DEP_2) | instskip(NEXT) | instid1(VALU_DEP_2)
	v_sub_f32_e32 v1, v30, v1
	v_add_f32_e32 v2, v2, v29
	s_delay_alu instid0(VALU_DEP_1)
	v_sub_f32_e32 v2, v31, v2
	scratch_store_b64 off, v[1:2], off offset:232
	v_cmpx_lt_u32_e32 28, v0
	s_cbranch_execz .LBB59_317
; %bb.316:
	scratch_load_b64 v[1:2], off, off offset:224
	v_mov_b32_e32 v3, 0
	s_delay_alu instid0(VALU_DEP_1)
	v_mov_b32_e32 v4, v3
	scratch_store_b64 off, v[3:4], off offset:224
	s_wait_loadcnt 0x0
	ds_store_b64 v155, v[1:2]
.LBB59_317:
	s_wait_alu 0xfffe
	s_or_b32 exec_lo, exec_lo, s0
	s_wait_storecnt_dscnt 0x0
	s_barrier_signal -1
	s_barrier_wait -1
	global_inv scope:SCOPE_SE
	s_clause 0x4
	scratch_load_b128 v[5:8], off, off offset:232
	scratch_load_b128 v[1:4], off, off offset:248
	;; [unrolled: 1-line block ×5, first 2 shown]
	v_mov_b32_e32 v21, 0
	ds_load_2addr_b64 v[22:25], v21 offset0:89 offset1:90
	ds_load_2addr_b64 v[26:29], v21 offset0:91 offset1:92
	;; [unrolled: 1-line block ×3, first 2 shown]
	scratch_load_b64 v[30:31], off, off offset:224
	s_mov_b32 s0, exec_lo
	s_wait_loadcnt_dscnt 0x502
	v_mul_f32_e32 v32, v23, v6
	v_dual_mul_f32 v153, v22, v6 :: v_dual_mul_f32 v154, v24, v8
	v_mul_f32_e32 v6, v25, v8
	s_wait_loadcnt_dscnt 0x300
	v_mul_f32_e32 v160, v158, v12
	v_fma_f32 v22, v22, v5, -v32
	v_dual_fmac_f32 v153, v23, v5 :: v_dual_fmac_f32 v154, v25, v7
	v_mul_f32_e32 v25, v28, v4
	v_fma_f32 v23, v24, v7, -v6
	ds_load_2addr_b64 v[5:8], v21 offset0:95 offset1:96
	v_mul_f32_e32 v24, v26, v2
	v_mul_f32_e32 v4, v29, v4
	;; [unrolled: 1-line block ×5, first 2 shown]
	v_dual_mul_f32 v2, v27, v2 :: v_dual_fmac_f32 v25, v29, v3
	v_fmac_f32_e32 v24, v27, v1
	v_fma_f32 v27, v28, v3, -v4
	v_fmac_f32_e32 v32, v157, v9
	v_fma_f32 v28, v156, v9, -v10
	;; [unrolled: 2-line block ×3, first 2 shown]
	ds_load_2addr_b64 v[9:12], v21 offset0:97 offset1:98
	s_wait_loadcnt_dscnt 0x201
	v_dual_mul_f32 v157, v7, v16 :: v_dual_mul_f32 v156, v5, v14
	v_mul_f32_e32 v14, v6, v14
	v_mul_f32_e32 v16, v8, v16
	s_delay_alu instid0(VALU_DEP_3)
	v_fmac_f32_e32 v157, v8, v15
	v_fma_f32 v26, v26, v1, -v2
	scratch_load_b128 v[1:4], off, off offset:312
	v_fmac_f32_e32 v156, v6, v13
	v_fma_f32 v13, v5, v13, -v14
	v_fma_f32 v14, v7, v15, -v16
	ds_load_2addr_b64 v[5:8], v21 offset0:99 offset1:100
	s_wait_loadcnt_dscnt 0x201
	v_mul_f32_e32 v15, v9, v18
	v_mul_f32_e32 v16, v10, v18
	;; [unrolled: 1-line block ×3, first 2 shown]
	s_delay_alu instid0(VALU_DEP_3) | instskip(NEXT) | instid1(VALU_DEP_3)
	v_dual_mul_f32 v20, v12, v20 :: v_dual_fmac_f32 v15, v10, v17
	v_fma_f32 v16, v9, v17, -v16
	s_delay_alu instid0(VALU_DEP_3) | instskip(NEXT) | instid1(VALU_DEP_3)
	v_fmac_f32_e32 v18, v12, v19
	v_fma_f32 v17, v11, v19, -v20
	scratch_load_b128 v[9:12], off, off offset:328
	s_wait_loadcnt_dscnt 0x100
	v_mul_f32_e32 v19, v5, v2
	v_mul_f32_e32 v2, v6, v2
	;; [unrolled: 1-line block ×3, first 2 shown]
	s_delay_alu instid0(VALU_DEP_3) | instskip(NEXT) | instid1(VALU_DEP_3)
	v_dual_mul_f32 v4, v8, v4 :: v_dual_fmac_f32 v19, v6, v1
	v_fma_f32 v158, v5, v1, -v2
	s_delay_alu instid0(VALU_DEP_3) | instskip(NEXT) | instid1(VALU_DEP_3)
	v_fmac_f32_e32 v20, v8, v3
	v_fma_f32 v159, v7, v3, -v4
	ds_load_2addr_b64 v[1:4], v21 offset0:101 offset1:102
	ds_load_2addr_b64 v[5:8], v21 offset0:103 offset1:104
	s_wait_loadcnt_dscnt 0x1
	v_mul_f32_e32 v161, v1, v10
	v_mul_f32_e32 v10, v2, v10
	s_delay_alu instid0(VALU_DEP_2) | instskip(NEXT) | instid1(VALU_DEP_2)
	v_dual_mul_f32 v162, v3, v12 :: v_dual_fmac_f32 v161, v2, v9
	v_fma_f32 v163, v1, v9, -v10
	v_mul_f32_e32 v1, v4, v12
	s_delay_alu instid0(VALU_DEP_3) | instskip(NEXT) | instid1(VALU_DEP_2)
	v_fmac_f32_e32 v162, v4, v11
	v_fma_f32 v164, v3, v11, -v1
	s_clause 0x1
	scratch_load_b128 v[1:4], off, off offset:344
	scratch_load_b128 v[9:12], off, off offset:360
	s_wait_loadcnt_dscnt 0x100
	v_mul_f32_e32 v165, v5, v2
	v_dual_mul_f32 v2, v6, v2 :: v_dual_mul_f32 v167, v7, v4
	s_delay_alu instid0(VALU_DEP_2) | instskip(NEXT) | instid1(VALU_DEP_2)
	v_fmac_f32_e32 v165, v6, v1
	v_fma_f32 v166, v5, v1, -v2
	v_mul_f32_e32 v1, v8, v4
	s_delay_alu instid0(VALU_DEP_4) | instskip(NEXT) | instid1(VALU_DEP_2)
	v_fmac_f32_e32 v167, v8, v3
	v_fma_f32 v168, v7, v3, -v1
	ds_load_2addr_b64 v[1:4], v21 offset0:105 offset1:106
	ds_load_2addr_b64 v[5:8], v21 offset0:107 offset1:108
	s_wait_loadcnt_dscnt 0x1
	v_mul_f32_e32 v169, v1, v10
	v_mul_f32_e32 v171, v3, v12
	s_delay_alu instid0(VALU_DEP_2) | instskip(NEXT) | instid1(VALU_DEP_2)
	v_fmac_f32_e32 v169, v2, v9
	v_dual_mul_f32 v2, v2, v10 :: v_dual_fmac_f32 v171, v4, v11
	s_delay_alu instid0(VALU_DEP_1) | instskip(SKIP_1) | instid1(VALU_DEP_1)
	v_fma_f32 v170, v1, v9, -v2
	v_mul_f32_e32 v1, v4, v12
	v_fma_f32 v172, v3, v11, -v1
	s_clause 0x1
	scratch_load_b128 v[1:4], off, off offset:376
	scratch_load_b128 v[9:12], off, off offset:392
	s_wait_loadcnt_dscnt 0x100
	v_mul_f32_e32 v173, v5, v2
	v_dual_mul_f32 v2, v6, v2 :: v_dual_mul_f32 v175, v7, v4
	s_delay_alu instid0(VALU_DEP_2) | instskip(NEXT) | instid1(VALU_DEP_2)
	v_fmac_f32_e32 v173, v6, v1
	v_fma_f32 v174, v5, v1, -v2
	v_mul_f32_e32 v1, v8, v4
	s_delay_alu instid0(VALU_DEP_4) | instskip(NEXT) | instid1(VALU_DEP_2)
	v_fmac_f32_e32 v175, v8, v3
	v_fma_f32 v176, v7, v3, -v1
	v_add_f32_e32 v1, 0, v22
	s_delay_alu instid0(VALU_DEP_1) | instskip(NEXT) | instid1(VALU_DEP_1)
	v_dual_add_f32 v1, v1, v23 :: v_dual_add_f32 v2, 0, v153
	v_add_f32_e32 v1, v1, v26
	s_delay_alu instid0(VALU_DEP_1) | instskip(SKIP_2) | instid1(VALU_DEP_1)
	v_dual_add_f32 v1, v1, v27 :: v_dual_add_f32 v2, v2, v154
	scratch_load_b64 v[26:27], off, off offset:472
	v_add_f32_e32 v1, v1, v28
	v_dual_add_f32 v2, v2, v24 :: v_dual_add_f32 v1, v1, v29
	s_delay_alu instid0(VALU_DEP_1) | instskip(NEXT) | instid1(VALU_DEP_2)
	v_add_f32_e32 v2, v2, v25
	v_add_f32_e32 v6, v1, v13
	s_delay_alu instid0(VALU_DEP_2) | instskip(NEXT) | instid1(VALU_DEP_1)
	v_add_f32_e32 v2, v2, v32
	v_add_f32_e32 v5, v2, v160
	scratch_load_b128 v[1:4], off, off offset:408
	v_add_f32_e32 v13, v5, v156
	s_delay_alu instid0(VALU_DEP_1) | instskip(SKIP_2) | instid1(VALU_DEP_1)
	v_dual_add_f32 v13, v13, v157 :: v_dual_add_f32 v14, v6, v14
	ds_load_2addr_b64 v[5:8], v21 offset0:109 offset1:110
	v_dual_add_f32 v13, v13, v15 :: v_dual_add_f32 v14, v14, v16
	v_dual_add_f32 v18, v13, v18 :: v_dual_add_f32 v17, v14, v17
	ds_load_2addr_b64 v[13:16], v21 offset0:111 offset1:112
	v_add_f32_e32 v17, v17, v158
	s_delay_alu instid0(VALU_DEP_1) | instskip(SKIP_3) | instid1(VALU_DEP_3)
	v_add_f32_e32 v17, v17, v159
	s_wait_loadcnt_dscnt 0x201
	v_dual_mul_f32 v32, v5, v10 :: v_dual_mul_f32 v153, v7, v12
	v_mul_f32_e32 v10, v6, v10
	v_dual_mul_f32 v12, v8, v12 :: v_dual_add_f32 v17, v17, v163
	s_delay_alu instid0(VALU_DEP_3) | instskip(NEXT) | instid1(VALU_DEP_3)
	v_dual_fmac_f32 v32, v6, v9 :: v_dual_fmac_f32 v153, v8, v11
	v_fma_f32 v154, v5, v9, -v10
	s_delay_alu instid0(VALU_DEP_3) | instskip(SKIP_4) | instid1(VALU_DEP_1)
	v_fma_f32 v156, v7, v11, -v12
	scratch_load_b128 v[5:8], off, off offset:424
	v_dual_add_f32 v18, v18, v19 :: v_dual_add_f32 v23, v17, v164
	scratch_load_b128 v[9:12], off, off offset:440
	v_dual_add_f32 v18, v18, v20 :: v_dual_add_f32 v23, v23, v166
	v_dual_add_f32 v22, v18, v161 :: v_dual_add_f32 v23, v23, v168
	scratch_load_b128 v[17:20], off, off offset:456
	v_add_f32_e32 v23, v23, v170
	s_wait_loadcnt_dscnt 0x300
	v_mul_f32_e32 v157, v13, v2
	v_mul_f32_e32 v2, v14, v2
	;; [unrolled: 1-line block ×3, first 2 shown]
	s_delay_alu instid0(VALU_DEP_3) | instskip(SKIP_1) | instid1(VALU_DEP_4)
	v_dual_mul_f32 v4, v16, v4 :: v_dual_fmac_f32 v157, v14, v1
	v_add_f32_e32 v14, v23, v172
	v_fma_f32 v159, v13, v1, -v2
	s_delay_alu instid0(VALU_DEP_4) | instskip(NEXT) | instid1(VALU_DEP_4)
	v_fmac_f32_e32 v158, v16, v3
	v_fma_f32 v160, v15, v3, -v4
	ds_load_2addr_b64 v[1:4], v21 offset0:113 offset1:114
	v_add_f32_e32 v28, v14, v174
	s_delay_alu instid0(VALU_DEP_1) | instskip(NEXT) | instid1(VALU_DEP_1)
	v_dual_add_f32 v22, v22, v162 :: v_dual_add_f32 v161, v28, v176
	v_add_f32_e32 v22, v22, v165
	s_delay_alu instid0(VALU_DEP_1) | instskip(NEXT) | instid1(VALU_DEP_1)
	v_add_f32_e32 v22, v22, v167
	v_add_f32_e32 v13, v22, v169
	s_delay_alu instid0(VALU_DEP_1)
	v_add_f32_e32 v22, v13, v171
	ds_load_2addr_b64 v[13:16], v21 offset0:115 offset1:116
	v_dual_add_f32 v154, v161, v154 :: v_dual_add_f32 v29, v22, v173
	ds_load_2addr_b64 v[22:25], v21 offset0:117 offset1:118
	s_wait_loadcnt_dscnt 0x202
	v_mul_f32_e32 v161, v1, v6
	v_mul_f32_e32 v6, v2, v6
	v_add_f32_e32 v162, v29, v175
	ds_load_b64 v[28:29], v21 offset:952
	v_fmac_f32_e32 v161, v2, v5
	v_add_f32_e32 v154, v154, v156
	v_fma_f32 v1, v1, v5, -v6
	s_wait_loadcnt_dscnt 0x102
	s_delay_alu instid0(VALU_DEP_2) | instskip(SKIP_2) | instid1(VALU_DEP_2)
	v_dual_add_f32 v154, v154, v159 :: v_dual_mul_f32 v5, v16, v12
	s_wait_loadcnt_dscnt 0x1
	v_mul_f32_e32 v159, v22, v18
	v_add_f32_e32 v154, v154, v160
	s_delay_alu instid0(VALU_DEP_3) | instskip(NEXT) | instid1(VALU_DEP_3)
	v_fma_f32 v5, v15, v11, -v5
	v_dual_fmac_f32 v159, v23, v17 :: v_dual_mul_f32 v156, v13, v10
	s_delay_alu instid0(VALU_DEP_3) | instskip(SKIP_1) | instid1(VALU_DEP_3)
	v_add_f32_e32 v1, v154, v1
	v_add_f32_e32 v32, v162, v32
	v_fmac_f32_e32 v156, v14, v9
	s_delay_alu instid0(VALU_DEP_2) | instskip(SKIP_1) | instid1(VALU_DEP_2)
	v_dual_add_f32 v32, v32, v153 :: v_dual_mul_f32 v153, v3, v8
	v_mul_f32_e32 v8, v4, v8
	v_fmac_f32_e32 v153, v4, v7
	s_delay_alu instid0(VALU_DEP_2) | instskip(NEXT) | instid1(VALU_DEP_4)
	v_fma_f32 v2, v3, v7, -v8
	v_dual_mul_f32 v3, v14, v10 :: v_dual_add_f32 v32, v32, v157
	v_mul_f32_e32 v157, v15, v12
	s_delay_alu instid0(VALU_DEP_3) | instskip(NEXT) | instid1(VALU_DEP_3)
	v_add_f32_e32 v1, v1, v2
	v_fma_f32 v3, v13, v9, -v3
	s_delay_alu instid0(VALU_DEP_3) | instskip(NEXT) | instid1(VALU_DEP_2)
	v_fmac_f32_e32 v157, v16, v11
	v_dual_add_f32 v1, v1, v3 :: v_dual_mul_f32 v160, v24, v20
	v_mul_f32_e32 v3, v25, v20
	s_delay_alu instid0(VALU_DEP_2) | instskip(SKIP_2) | instid1(VALU_DEP_3)
	v_add_f32_e32 v1, v1, v5
	s_wait_dscnt 0x0
	v_dual_mul_f32 v5, v29, v27 :: v_dual_add_f32 v32, v32, v158
	v_fma_f32 v3, v24, v19, -v3
	v_fmac_f32_e32 v160, v25, v19
	s_delay_alu instid0(VALU_DEP_3) | instskip(NEXT) | instid1(VALU_DEP_1)
	v_add_f32_e32 v4, v32, v161
	v_add_f32_e32 v2, v4, v153
	v_mul_f32_e32 v4, v23, v18
	s_delay_alu instid0(VALU_DEP_2) | instskip(NEXT) | instid1(VALU_DEP_2)
	v_add_f32_e32 v2, v2, v156
	v_fma_f32 v4, v22, v17, -v4
	s_delay_alu instid0(VALU_DEP_1) | instskip(SKIP_1) | instid1(VALU_DEP_2)
	v_dual_add_f32 v2, v2, v157 :: v_dual_add_f32 v1, v1, v4
	v_fma_f32 v4, v28, v26, -v5
	v_add_f32_e32 v2, v2, v159
	s_delay_alu instid0(VALU_DEP_3) | instskip(SKIP_1) | instid1(VALU_DEP_3)
	v_add_f32_e32 v1, v1, v3
	v_mul_f32_e32 v158, v28, v27
	v_add_f32_e32 v2, v2, v160
	s_delay_alu instid0(VALU_DEP_3) | instskip(NEXT) | instid1(VALU_DEP_1)
	v_add_f32_e32 v1, v1, v4
	v_dual_fmac_f32 v158, v29, v26 :: v_dual_sub_f32 v1, v30, v1
	s_delay_alu instid0(VALU_DEP_1) | instskip(NEXT) | instid1(VALU_DEP_1)
	v_add_f32_e32 v2, v2, v158
	v_sub_f32_e32 v2, v31, v2
	scratch_store_b64 off, v[1:2], off offset:224
	v_cmpx_lt_u32_e32 27, v0
	s_cbranch_execz .LBB59_319
; %bb.318:
	scratch_load_b64 v[1:2], off, off offset:216
	v_mov_b32_e32 v22, v21
	scratch_store_b64 off, v[21:22], off offset:216
	s_wait_loadcnt 0x0
	ds_store_b64 v155, v[1:2]
.LBB59_319:
	s_wait_alu 0xfffe
	s_or_b32 exec_lo, exec_lo, s0
	s_wait_storecnt_dscnt 0x0
	s_barrier_signal -1
	s_barrier_wait -1
	global_inv scope:SCOPE_SE
	s_clause 0x4
	scratch_load_b128 v[5:8], off, off offset:224
	scratch_load_b128 v[1:4], off, off offset:240
	;; [unrolled: 1-line block ×5, first 2 shown]
	ds_load_b128 v[22:25], v21 offset:704
	ds_load_b128 v[26:29], v21 offset:720
	;; [unrolled: 1-line block ×3, first 2 shown]
	scratch_load_b64 v[30:31], off, off offset:216
	s_mov_b32 s0, exec_lo
	s_wait_loadcnt_dscnt 0x502
	v_mul_f32_e32 v32, v23, v6
	v_dual_mul_f32 v153, v22, v6 :: v_dual_mul_f32 v154, v24, v8
	v_mul_f32_e32 v6, v25, v8
	s_wait_loadcnt_dscnt 0x300
	v_mul_f32_e32 v160, v158, v12
	v_mul_f32_e32 v12, v159, v12
	v_dual_fmac_f32 v153, v23, v5 :: v_dual_fmac_f32 v154, v25, v7
	v_fma_f32 v23, v24, v7, -v6
	v_mul_f32_e32 v25, v28, v4
	v_fma_f32 v22, v22, v5, -v32
	ds_load_b128 v[5:8], v21 offset:752
	v_mul_f32_e32 v24, v26, v2
	v_mul_f32_e32 v4, v29, v4
	;; [unrolled: 1-line block ×4, first 2 shown]
	v_dual_mul_f32 v2, v27, v2 :: v_dual_fmac_f32 v25, v29, v3
	v_fmac_f32_e32 v24, v27, v1
	v_fma_f32 v27, v28, v3, -v4
	v_fmac_f32_e32 v32, v157, v9
	v_fma_f32 v28, v156, v9, -v10
	;; [unrolled: 2-line block ×3, first 2 shown]
	ds_load_b128 v[9:12], v21 offset:768
	s_wait_loadcnt_dscnt 0x201
	v_dual_mul_f32 v157, v7, v16 :: v_dual_mul_f32 v156, v5, v14
	v_mul_f32_e32 v14, v6, v14
	v_mul_f32_e32 v16, v8, v16
	s_delay_alu instid0(VALU_DEP_3)
	v_fmac_f32_e32 v157, v8, v15
	v_fma_f32 v26, v26, v1, -v2
	scratch_load_b128 v[1:4], off, off offset:304
	v_fmac_f32_e32 v156, v6, v13
	v_fma_f32 v13, v5, v13, -v14
	v_fma_f32 v14, v7, v15, -v16
	ds_load_b128 v[5:8], v21 offset:784
	s_wait_loadcnt_dscnt 0x201
	v_mul_f32_e32 v15, v9, v18
	v_mul_f32_e32 v16, v10, v18
	v_mul_f32_e32 v18, v11, v20
	s_delay_alu instid0(VALU_DEP_3) | instskip(NEXT) | instid1(VALU_DEP_3)
	v_dual_mul_f32 v20, v12, v20 :: v_dual_fmac_f32 v15, v10, v17
	v_fma_f32 v16, v9, v17, -v16
	s_delay_alu instid0(VALU_DEP_3) | instskip(NEXT) | instid1(VALU_DEP_3)
	v_fmac_f32_e32 v18, v12, v19
	v_fma_f32 v17, v11, v19, -v20
	scratch_load_b128 v[9:12], off, off offset:320
	s_wait_loadcnt_dscnt 0x100
	v_mul_f32_e32 v19, v5, v2
	v_mul_f32_e32 v2, v6, v2
	v_mul_f32_e32 v20, v7, v4
	s_delay_alu instid0(VALU_DEP_3) | instskip(NEXT) | instid1(VALU_DEP_3)
	v_dual_mul_f32 v4, v8, v4 :: v_dual_fmac_f32 v19, v6, v1
	v_fma_f32 v158, v5, v1, -v2
	s_delay_alu instid0(VALU_DEP_3) | instskip(NEXT) | instid1(VALU_DEP_3)
	v_fmac_f32_e32 v20, v8, v3
	v_fma_f32 v159, v7, v3, -v4
	ds_load_b128 v[1:4], v21 offset:800
	ds_load_b128 v[5:8], v21 offset:816
	s_wait_loadcnt_dscnt 0x1
	v_mul_f32_e32 v161, v1, v10
	v_mul_f32_e32 v10, v2, v10
	s_delay_alu instid0(VALU_DEP_2) | instskip(NEXT) | instid1(VALU_DEP_2)
	v_dual_mul_f32 v162, v3, v12 :: v_dual_fmac_f32 v161, v2, v9
	v_fma_f32 v163, v1, v9, -v10
	v_mul_f32_e32 v1, v4, v12
	s_delay_alu instid0(VALU_DEP_3) | instskip(NEXT) | instid1(VALU_DEP_2)
	v_fmac_f32_e32 v162, v4, v11
	v_fma_f32 v164, v3, v11, -v1
	s_clause 0x1
	scratch_load_b128 v[1:4], off, off offset:336
	scratch_load_b128 v[9:12], off, off offset:352
	s_wait_loadcnt_dscnt 0x100
	v_mul_f32_e32 v165, v5, v2
	v_dual_mul_f32 v2, v6, v2 :: v_dual_mul_f32 v167, v7, v4
	s_delay_alu instid0(VALU_DEP_2) | instskip(NEXT) | instid1(VALU_DEP_2)
	v_fmac_f32_e32 v165, v6, v1
	v_fma_f32 v166, v5, v1, -v2
	v_mul_f32_e32 v1, v8, v4
	s_delay_alu instid0(VALU_DEP_4) | instskip(NEXT) | instid1(VALU_DEP_2)
	v_fmac_f32_e32 v167, v8, v3
	v_fma_f32 v168, v7, v3, -v1
	ds_load_b128 v[1:4], v21 offset:832
	ds_load_b128 v[5:8], v21 offset:848
	s_wait_loadcnt_dscnt 0x1
	v_mul_f32_e32 v169, v1, v10
	v_mul_f32_e32 v171, v3, v12
	s_delay_alu instid0(VALU_DEP_2) | instskip(NEXT) | instid1(VALU_DEP_2)
	v_fmac_f32_e32 v169, v2, v9
	v_dual_mul_f32 v2, v2, v10 :: v_dual_fmac_f32 v171, v4, v11
	s_delay_alu instid0(VALU_DEP_1) | instskip(SKIP_1) | instid1(VALU_DEP_1)
	v_fma_f32 v170, v1, v9, -v2
	v_mul_f32_e32 v1, v4, v12
	v_fma_f32 v172, v3, v11, -v1
	s_clause 0x1
	scratch_load_b128 v[1:4], off, off offset:368
	scratch_load_b128 v[9:12], off, off offset:384
	s_wait_loadcnt_dscnt 0x100
	v_mul_f32_e32 v173, v5, v2
	v_dual_mul_f32 v2, v6, v2 :: v_dual_mul_f32 v175, v7, v4
	s_delay_alu instid0(VALU_DEP_2) | instskip(NEXT) | instid1(VALU_DEP_2)
	v_fmac_f32_e32 v173, v6, v1
	v_fma_f32 v174, v5, v1, -v2
	v_mul_f32_e32 v1, v8, v4
	s_delay_alu instid0(VALU_DEP_4) | instskip(NEXT) | instid1(VALU_DEP_2)
	v_fmac_f32_e32 v175, v8, v3
	v_fma_f32 v176, v7, v3, -v1
	ds_load_b128 v[1:4], v21 offset:864
	ds_load_b128 v[5:8], v21 offset:880
	s_wait_loadcnt_dscnt 0x1
	v_mul_f32_e32 v177, v1, v10
	v_mul_f32_e32 v179, v3, v12
	s_delay_alu instid0(VALU_DEP_2) | instskip(NEXT) | instid1(VALU_DEP_2)
	v_fmac_f32_e32 v177, v2, v9
	v_dual_mul_f32 v2, v2, v10 :: v_dual_fmac_f32 v179, v4, v11
	s_delay_alu instid0(VALU_DEP_1) | instskip(SKIP_1) | instid1(VALU_DEP_1)
	v_fma_f32 v178, v1, v9, -v2
	v_mul_f32_e32 v1, v4, v12
	v_fma_f32 v180, v3, v11, -v1
	s_clause 0x1
	scratch_load_b128 v[1:4], off, off offset:400
	scratch_load_b128 v[9:12], off, off offset:416
	s_wait_loadcnt_dscnt 0x100
	v_mul_f32_e32 v181, v5, v2
	v_dual_mul_f32 v2, v6, v2 :: v_dual_mul_f32 v183, v7, v4
	s_delay_alu instid0(VALU_DEP_1) | instskip(NEXT) | instid1(VALU_DEP_2)
	v_fma_f32 v182, v5, v1, -v2
	v_dual_add_f32 v2, 0, v153 :: v_dual_fmac_f32 v183, v8, v3
	s_delay_alu instid0(VALU_DEP_1) | instskip(NEXT) | instid1(VALU_DEP_1)
	v_add_f32_e32 v2, v2, v154
	v_add_f32_e32 v2, v2, v24
	s_delay_alu instid0(VALU_DEP_1) | instskip(NEXT) | instid1(VALU_DEP_1)
	v_add_f32_e32 v2, v2, v25
	v_add_f32_e32 v2, v2, v32
	;; [unrolled: 3-line block ×5, first 2 shown]
	v_fmac_f32_e32 v181, v6, v1
	v_mul_f32_e32 v1, v8, v4
	s_delay_alu instid0(VALU_DEP_1) | instskip(SKIP_1) | instid1(VALU_DEP_1)
	v_fma_f32 v184, v7, v3, -v1
	v_add_f32_e32 v1, 0, v22
	v_add_f32_e32 v1, v1, v23
	s_delay_alu instid0(VALU_DEP_1) | instskip(NEXT) | instid1(VALU_DEP_1)
	v_add_f32_e32 v1, v1, v26
	v_add_f32_e32 v1, v1, v27
	s_delay_alu instid0(VALU_DEP_1) | instskip(NEXT) | instid1(VALU_DEP_1)
	;; [unrolled: 3-line block ×3, first 2 shown]
	v_add_f32_e32 v1, v1, v13
	v_add_f32_e32 v1, v1, v14
	;; [unrolled: 1-line block ×3, first 2 shown]
	s_delay_alu instid0(VALU_DEP_1) | instskip(NEXT) | instid1(VALU_DEP_1)
	v_dual_add_f32 v1, v1, v16 :: v_dual_add_f32 v14, v14, v161
	v_add_f32_e32 v6, v1, v17
	s_delay_alu instid0(VALU_DEP_2) | instskip(SKIP_3) | instid1(VALU_DEP_1)
	v_add_f32_e32 v14, v14, v162
	ds_load_b128 v[1:4], v21 offset:896
	v_add_f32_e32 v6, v6, v158
	v_add_f32_e32 v17, v14, v165
	;; [unrolled: 1-line block ×3, first 2 shown]
	s_delay_alu instid0(VALU_DEP_1) | instskip(NEXT) | instid1(VALU_DEP_1)
	v_add_f32_e32 v17, v17, v169
	v_add_f32_e32 v17, v17, v171
	s_delay_alu instid0(VALU_DEP_1) | instskip(NEXT) | instid1(VALU_DEP_1)
	v_add_f32_e32 v23, v17, v173
	v_add_f32_e32 v32, v23, v175
	;; [unrolled: 1-line block ×3, first 2 shown]
	ds_load_b128 v[5:8], v21 offset:912
	s_wait_loadcnt_dscnt 0x1
	v_mul_f32_e32 v26, v3, v12
	v_mul_f32_e32 v12, v4, v12
	v_dual_add_f32 v32, v32, v177 :: v_dual_add_f32 v13, v13, v163
	s_delay_alu instid0(VALU_DEP_3) | instskip(NEXT) | instid1(VALU_DEP_3)
	v_fmac_f32_e32 v26, v4, v11
	v_fma_f32 v28, v3, v11, -v12
	s_delay_alu instid0(VALU_DEP_3) | instskip(NEXT) | instid1(VALU_DEP_1)
	v_dual_add_f32 v32, v32, v179 :: v_dual_add_f32 v13, v13, v164
	v_dual_add_f32 v32, v32, v181 :: v_dual_add_f32 v13, v13, v166
	s_delay_alu instid0(VALU_DEP_1) | instskip(NEXT) | instid1(VALU_DEP_2)
	v_add_f32_e32 v32, v32, v183
	v_add_f32_e32 v18, v13, v168
	scratch_load_b128 v[13:16], off, off offset:464
	v_add_f32_e32 v18, v18, v170
	v_mul_f32_e32 v25, v1, v10
	v_mul_f32_e32 v10, v2, v10
	s_delay_alu instid0(VALU_DEP_3) | instskip(NEXT) | instid1(VALU_DEP_3)
	v_add_f32_e32 v18, v18, v172
	v_fmac_f32_e32 v25, v2, v9
	s_delay_alu instid0(VALU_DEP_3)
	v_fma_f32 v27, v1, v9, -v10
	s_clause 0x1
	scratch_load_b128 v[1:4], off, off offset:432
	scratch_load_b128 v[9:12], off, off offset:448
	v_add_f32_e32 v22, v18, v174
	ds_load_b128 v[17:20], v21 offset:928
	v_add_f32_e32 v29, v22, v176
	ds_load_b128 v[21:24], v21 offset:944
	s_wait_loadcnt_dscnt 0x200
	v_mul_f32_e32 v158, v21, v14
	s_delay_alu instid0(VALU_DEP_1)
	v_fmac_f32_e32 v158, v22, v13
	s_wait_loadcnt 0x1
	v_mul_f32_e32 v154, v7, v4
	s_wait_loadcnt 0x0
	v_mul_f32_e32 v156, v17, v10
	v_dual_add_f32 v29, v29, v178 :: v_dual_mul_f32 v4, v8, v4
	s_delay_alu instid0(VALU_DEP_3) | instskip(NEXT) | instid1(VALU_DEP_2)
	v_dual_mul_f32 v153, v5, v2 :: v_dual_fmac_f32 v154, v8, v3
	v_dual_mul_f32 v2, v6, v2 :: v_dual_add_f32 v29, v29, v180
	s_delay_alu instid0(VALU_DEP_3)
	v_fma_f32 v3, v7, v3, -v4
	v_mul_f32_e32 v4, v20, v12
	v_add_f32_e32 v25, v32, v25
	v_fmac_f32_e32 v153, v6, v1
	v_add_f32_e32 v29, v29, v182
	v_dual_mul_f32 v6, v18, v10 :: v_dual_mul_f32 v157, v19, v12
	v_fma_f32 v2, v5, v1, -v2
	s_delay_alu instid0(VALU_DEP_3) | instskip(SKIP_1) | instid1(VALU_DEP_4)
	v_dual_fmac_f32 v156, v18, v9 :: v_dual_add_f32 v29, v29, v184
	v_add_f32_e32 v5, v25, v26
	v_fmac_f32_e32 v157, v20, v11
	v_fma_f32 v4, v19, v11, -v4
	s_delay_alu instid0(VALU_DEP_4) | instskip(SKIP_1) | instid1(VALU_DEP_2)
	v_add_f32_e32 v27, v29, v27
	v_mul_f32_e32 v29, v23, v16
	v_add_f32_e32 v1, v27, v28
	s_delay_alu instid0(VALU_DEP_1) | instskip(SKIP_2) | instid1(VALU_DEP_2)
	v_add_f32_e32 v1, v1, v2
	v_add_f32_e32 v2, v5, v153
	v_fma_f32 v5, v17, v9, -v6
	v_dual_fmac_f32 v29, v24, v15 :: v_dual_add_f32 v2, v2, v154
	s_delay_alu instid0(VALU_DEP_1) | instskip(NEXT) | instid1(VALU_DEP_1)
	v_add_f32_e32 v2, v2, v156
	v_dual_add_f32 v2, v2, v157 :: v_dual_add_f32 v1, v1, v3
	v_mul_f32_e32 v3, v22, v14
	s_delay_alu instid0(VALU_DEP_2) | instskip(SKIP_1) | instid1(VALU_DEP_3)
	v_dual_add_f32 v2, v2, v158 :: v_dual_add_f32 v1, v1, v5
	v_mul_f32_e32 v5, v24, v16
	v_fma_f32 v3, v21, v13, -v3
	s_delay_alu instid0(VALU_DEP_3) | instskip(NEXT) | instid1(VALU_DEP_3)
	v_dual_add_f32 v2, v2, v29 :: v_dual_add_f32 v1, v1, v4
	v_fma_f32 v4, v23, v15, -v5
	s_delay_alu instid0(VALU_DEP_2) | instskip(NEXT) | instid1(VALU_DEP_1)
	v_dual_sub_f32 v2, v31, v2 :: v_dual_add_f32 v1, v1, v3
	v_add_f32_e32 v1, v1, v4
	s_delay_alu instid0(VALU_DEP_1)
	v_sub_f32_e32 v1, v30, v1
	scratch_store_b64 off, v[1:2], off offset:216
	v_cmpx_lt_u32_e32 26, v0
	s_cbranch_execz .LBB59_321
; %bb.320:
	scratch_load_b64 v[1:2], off, off offset:208
	v_mov_b32_e32 v3, 0
	s_delay_alu instid0(VALU_DEP_1)
	v_mov_b32_e32 v4, v3
	scratch_store_b64 off, v[3:4], off offset:208
	s_wait_loadcnt 0x0
	ds_store_b64 v155, v[1:2]
.LBB59_321:
	s_wait_alu 0xfffe
	s_or_b32 exec_lo, exec_lo, s0
	s_wait_storecnt_dscnt 0x0
	s_barrier_signal -1
	s_barrier_wait -1
	global_inv scope:SCOPE_SE
	s_clause 0x4
	scratch_load_b128 v[5:8], off, off offset:216
	scratch_load_b128 v[1:4], off, off offset:232
	scratch_load_b128 v[9:12], off, off offset:248
	scratch_load_b128 v[13:16], off, off offset:264
	scratch_load_b128 v[17:20], off, off offset:280
	v_mov_b32_e32 v21, 0
	ds_load_2addr_b64 v[22:25], v21 offset0:87 offset1:88
	ds_load_2addr_b64 v[26:29], v21 offset0:89 offset1:90
	;; [unrolled: 1-line block ×3, first 2 shown]
	scratch_load_b64 v[30:31], off, off offset:208
	s_mov_b32 s0, exec_lo
	s_wait_loadcnt_dscnt 0x502
	v_mul_f32_e32 v32, v23, v6
	v_dual_mul_f32 v153, v22, v6 :: v_dual_mul_f32 v154, v24, v8
	v_mul_f32_e32 v6, v25, v8
	s_wait_loadcnt_dscnt 0x300
	v_mul_f32_e32 v160, v158, v12
	v_fma_f32 v22, v22, v5, -v32
	v_dual_fmac_f32 v153, v23, v5 :: v_dual_fmac_f32 v154, v25, v7
	v_mul_f32_e32 v25, v28, v4
	v_fma_f32 v23, v24, v7, -v6
	ds_load_2addr_b64 v[5:8], v21 offset0:93 offset1:94
	v_mul_f32_e32 v24, v26, v2
	v_mul_f32_e32 v4, v29, v4
	;; [unrolled: 1-line block ×5, first 2 shown]
	v_dual_mul_f32 v2, v27, v2 :: v_dual_fmac_f32 v25, v29, v3
	v_fmac_f32_e32 v24, v27, v1
	v_fma_f32 v27, v28, v3, -v4
	v_fmac_f32_e32 v32, v157, v9
	v_fma_f32 v28, v156, v9, -v10
	;; [unrolled: 2-line block ×3, first 2 shown]
	ds_load_2addr_b64 v[9:12], v21 offset0:95 offset1:96
	s_wait_loadcnt_dscnt 0x201
	v_dual_mul_f32 v157, v7, v16 :: v_dual_mul_f32 v156, v5, v14
	v_mul_f32_e32 v14, v6, v14
	v_mul_f32_e32 v16, v8, v16
	s_delay_alu instid0(VALU_DEP_3)
	v_fmac_f32_e32 v157, v8, v15
	v_fma_f32 v26, v26, v1, -v2
	scratch_load_b128 v[1:4], off, off offset:296
	v_fmac_f32_e32 v156, v6, v13
	v_fma_f32 v13, v5, v13, -v14
	v_fma_f32 v14, v7, v15, -v16
	ds_load_2addr_b64 v[5:8], v21 offset0:97 offset1:98
	s_wait_loadcnt_dscnt 0x201
	v_mul_f32_e32 v15, v9, v18
	v_mul_f32_e32 v16, v10, v18
	;; [unrolled: 1-line block ×3, first 2 shown]
	s_delay_alu instid0(VALU_DEP_3) | instskip(NEXT) | instid1(VALU_DEP_3)
	v_dual_mul_f32 v20, v12, v20 :: v_dual_fmac_f32 v15, v10, v17
	v_fma_f32 v16, v9, v17, -v16
	s_delay_alu instid0(VALU_DEP_3) | instskip(NEXT) | instid1(VALU_DEP_3)
	v_fmac_f32_e32 v18, v12, v19
	v_fma_f32 v17, v11, v19, -v20
	scratch_load_b128 v[9:12], off, off offset:312
	s_wait_loadcnt_dscnt 0x100
	v_mul_f32_e32 v19, v5, v2
	v_mul_f32_e32 v2, v6, v2
	;; [unrolled: 1-line block ×3, first 2 shown]
	s_delay_alu instid0(VALU_DEP_3) | instskip(NEXT) | instid1(VALU_DEP_3)
	v_dual_mul_f32 v4, v8, v4 :: v_dual_fmac_f32 v19, v6, v1
	v_fma_f32 v158, v5, v1, -v2
	s_delay_alu instid0(VALU_DEP_3) | instskip(NEXT) | instid1(VALU_DEP_3)
	v_fmac_f32_e32 v20, v8, v3
	v_fma_f32 v159, v7, v3, -v4
	ds_load_2addr_b64 v[1:4], v21 offset0:99 offset1:100
	ds_load_2addr_b64 v[5:8], v21 offset0:101 offset1:102
	s_wait_loadcnt_dscnt 0x1
	v_mul_f32_e32 v161, v1, v10
	v_mul_f32_e32 v10, v2, v10
	s_delay_alu instid0(VALU_DEP_2) | instskip(NEXT) | instid1(VALU_DEP_2)
	v_dual_mul_f32 v162, v3, v12 :: v_dual_fmac_f32 v161, v2, v9
	v_fma_f32 v163, v1, v9, -v10
	v_mul_f32_e32 v1, v4, v12
	s_delay_alu instid0(VALU_DEP_3) | instskip(NEXT) | instid1(VALU_DEP_2)
	v_fmac_f32_e32 v162, v4, v11
	v_fma_f32 v164, v3, v11, -v1
	s_clause 0x1
	scratch_load_b128 v[1:4], off, off offset:328
	scratch_load_b128 v[9:12], off, off offset:344
	s_wait_loadcnt_dscnt 0x100
	v_mul_f32_e32 v165, v5, v2
	v_dual_mul_f32 v2, v6, v2 :: v_dual_mul_f32 v167, v7, v4
	s_delay_alu instid0(VALU_DEP_2) | instskip(NEXT) | instid1(VALU_DEP_2)
	v_fmac_f32_e32 v165, v6, v1
	v_fma_f32 v166, v5, v1, -v2
	v_mul_f32_e32 v1, v8, v4
	s_delay_alu instid0(VALU_DEP_4) | instskip(NEXT) | instid1(VALU_DEP_2)
	v_fmac_f32_e32 v167, v8, v3
	v_fma_f32 v168, v7, v3, -v1
	ds_load_2addr_b64 v[1:4], v21 offset0:103 offset1:104
	ds_load_2addr_b64 v[5:8], v21 offset0:105 offset1:106
	s_wait_loadcnt_dscnt 0x1
	v_mul_f32_e32 v169, v1, v10
	v_mul_f32_e32 v171, v3, v12
	s_delay_alu instid0(VALU_DEP_2) | instskip(NEXT) | instid1(VALU_DEP_2)
	v_fmac_f32_e32 v169, v2, v9
	v_dual_mul_f32 v2, v2, v10 :: v_dual_fmac_f32 v171, v4, v11
	s_delay_alu instid0(VALU_DEP_1) | instskip(SKIP_1) | instid1(VALU_DEP_1)
	v_fma_f32 v170, v1, v9, -v2
	v_mul_f32_e32 v1, v4, v12
	v_fma_f32 v172, v3, v11, -v1
	s_clause 0x1
	scratch_load_b128 v[1:4], off, off offset:360
	scratch_load_b128 v[9:12], off, off offset:376
	s_wait_loadcnt_dscnt 0x100
	v_mul_f32_e32 v173, v5, v2
	v_dual_mul_f32 v2, v6, v2 :: v_dual_mul_f32 v175, v7, v4
	s_delay_alu instid0(VALU_DEP_2) | instskip(NEXT) | instid1(VALU_DEP_2)
	v_fmac_f32_e32 v173, v6, v1
	v_fma_f32 v174, v5, v1, -v2
	v_mul_f32_e32 v1, v8, v4
	s_delay_alu instid0(VALU_DEP_4) | instskip(NEXT) | instid1(VALU_DEP_2)
	v_fmac_f32_e32 v175, v8, v3
	v_fma_f32 v176, v7, v3, -v1
	ds_load_2addr_b64 v[1:4], v21 offset0:107 offset1:108
	ds_load_2addr_b64 v[5:8], v21 offset0:109 offset1:110
	s_wait_loadcnt_dscnt 0x1
	v_mul_f32_e32 v177, v1, v10
	v_mul_f32_e32 v179, v3, v12
	s_delay_alu instid0(VALU_DEP_2) | instskip(NEXT) | instid1(VALU_DEP_2)
	v_fmac_f32_e32 v177, v2, v9
	v_dual_mul_f32 v2, v2, v10 :: v_dual_fmac_f32 v179, v4, v11
	s_delay_alu instid0(VALU_DEP_1) | instskip(SKIP_1) | instid1(VALU_DEP_1)
	v_fma_f32 v178, v1, v9, -v2
	v_mul_f32_e32 v1, v4, v12
	v_fma_f32 v180, v3, v11, -v1
	s_clause 0x1
	scratch_load_b128 v[1:4], off, off offset:392
	scratch_load_b128 v[9:12], off, off offset:408
	s_wait_loadcnt_dscnt 0x100
	v_mul_f32_e32 v181, v5, v2
	v_dual_mul_f32 v2, v6, v2 :: v_dual_mul_f32 v183, v7, v4
	s_delay_alu instid0(VALU_DEP_1) | instskip(NEXT) | instid1(VALU_DEP_2)
	v_fma_f32 v182, v5, v1, -v2
	v_dual_add_f32 v2, 0, v153 :: v_dual_fmac_f32 v183, v8, v3
	s_delay_alu instid0(VALU_DEP_4) | instskip(NEXT) | instid1(VALU_DEP_2)
	v_fmac_f32_e32 v181, v6, v1
	v_add_f32_e32 v2, v2, v154
	s_delay_alu instid0(VALU_DEP_1) | instskip(NEXT) | instid1(VALU_DEP_1)
	v_add_f32_e32 v2, v2, v24
	v_dual_mul_f32 v1, v8, v4 :: v_dual_add_f32 v2, v2, v25
	s_delay_alu instid0(VALU_DEP_1) | instskip(NEXT) | instid1(VALU_DEP_2)
	v_fma_f32 v184, v7, v3, -v1
	v_dual_add_f32 v1, 0, v22 :: v_dual_add_f32 v2, v2, v32
	s_delay_alu instid0(VALU_DEP_1) | instskip(NEXT) | instid1(VALU_DEP_1)
	v_dual_add_f32 v1, v1, v23 :: v_dual_add_f32 v2, v2, v160
	v_dual_add_f32 v1, v1, v26 :: v_dual_add_f32 v2, v2, v156
	s_delay_alu instid0(VALU_DEP_1) | instskip(SKIP_2) | instid1(VALU_DEP_1)
	v_add_f32_e32 v1, v1, v27
	scratch_load_b64 v[26:27], off, off offset:472
	v_dual_add_f32 v2, v2, v157 :: v_dual_add_f32 v1, v1, v28
	v_add_f32_e32 v5, v2, v15
	s_delay_alu instid0(VALU_DEP_2) | instskip(NEXT) | instid1(VALU_DEP_2)
	v_add_f32_e32 v1, v1, v29
	v_add_f32_e32 v5, v5, v18
	s_delay_alu instid0(VALU_DEP_2) | instskip(NEXT) | instid1(VALU_DEP_2)
	v_add_f32_e32 v1, v1, v13
	;; [unrolled: 3-line block ×3, first 2 shown]
	v_add_f32_e32 v14, v5, v20
	s_delay_alu instid0(VALU_DEP_1) | instskip(NEXT) | instid1(VALU_DEP_1)
	v_dual_add_f32 v14, v14, v161 :: v_dual_add_f32 v1, v1, v16
	v_add_f32_e32 v14, v14, v162
	s_delay_alu instid0(VALU_DEP_2) | instskip(SKIP_3) | instid1(VALU_DEP_1)
	v_add_f32_e32 v6, v1, v17
	ds_load_2addr_b64 v[1:4], v21 offset0:111 offset1:112
	v_add_f32_e32 v17, v14, v165
	v_add_f32_e32 v6, v6, v158
	;; [unrolled: 1-line block ×3, first 2 shown]
	ds_load_2addr_b64 v[5:8], v21 offset0:113 offset1:114
	s_wait_loadcnt_dscnt 0x101
	v_mul_f32_e32 v32, v1, v10
	v_dual_mul_f32 v10, v2, v10 :: v_dual_mul_f32 v153, v3, v12
	v_mul_f32_e32 v12, v4, v12
	s_delay_alu instid0(VALU_DEP_3) | instskip(NEXT) | instid1(VALU_DEP_3)
	v_fmac_f32_e32 v32, v2, v9
	v_fma_f32 v154, v1, v9, -v10
	s_delay_alu instid0(VALU_DEP_4) | instskip(NEXT) | instid1(VALU_DEP_4)
	v_fmac_f32_e32 v153, v4, v11
	v_fma_f32 v156, v3, v11, -v12
	s_clause 0x1
	scratch_load_b128 v[1:4], off, off offset:424
	scratch_load_b128 v[9:12], off, off offset:440
	s_wait_loadcnt_dscnt 0x100
	v_dual_mul_f32 v160, v7, v4 :: v_dual_add_f32 v13, v13, v163
	v_mul_f32_e32 v159, v5, v2
	v_mul_f32_e32 v2, v6, v2
	;; [unrolled: 1-line block ×3, first 2 shown]
	s_delay_alu instid0(VALU_DEP_4) | instskip(NEXT) | instid1(VALU_DEP_3)
	v_dual_fmac_f32 v160, v8, v3 :: v_dual_add_f32 v13, v13, v164
	v_fma_f32 v2, v5, v1, -v2
	s_delay_alu instid0(VALU_DEP_2) | instskip(NEXT) | instid1(VALU_DEP_1)
	v_add_f32_e32 v13, v13, v166
	v_add_f32_e32 v18, v13, v168
	scratch_load_b128 v[13:16], off, off offset:456
	v_add_f32_e32 v18, v18, v170
	s_delay_alu instid0(VALU_DEP_1) | instskip(NEXT) | instid1(VALU_DEP_1)
	v_add_f32_e32 v18, v18, v172
	v_dual_add_f32 v18, v18, v174 :: v_dual_add_f32 v17, v17, v167
	s_delay_alu instid0(VALU_DEP_1) | instskip(NEXT) | instid1(VALU_DEP_1)
	v_dual_add_f32 v18, v18, v176 :: v_dual_add_f32 v17, v17, v169
	v_dual_add_f32 v28, v18, v178 :: v_dual_add_f32 v17, v17, v171
	s_delay_alu instid0(VALU_DEP_1) | instskip(NEXT) | instid1(VALU_DEP_2)
	v_add_f32_e32 v157, v28, v180
	v_add_f32_e32 v17, v17, v173
	s_delay_alu instid0(VALU_DEP_1)
	v_add_f32_e32 v22, v17, v175
	ds_load_2addr_b64 v[17:20], v21 offset0:115 offset1:116
	v_add_f32_e32 v29, v22, v177
	ds_load_2addr_b64 v[22:25], v21 offset0:117 offset1:118
	v_add_f32_e32 v158, v29, v179
	ds_load_b64 v[28:29], v21 offset:952
	v_add_f32_e32 v158, v158, v181
	s_delay_alu instid0(VALU_DEP_1) | instskip(SKIP_2) | instid1(VALU_DEP_2)
	v_dual_add_f32 v158, v158, v183 :: v_dual_add_f32 v157, v157, v182
	s_wait_loadcnt_dscnt 0x102
	v_mul_f32_e32 v5, v20, v12
	v_add_f32_e32 v32, v158, v32
	s_delay_alu instid0(VALU_DEP_3) | instskip(SKIP_2) | instid1(VALU_DEP_4)
	v_add_f32_e32 v157, v157, v184
	v_dual_mul_f32 v158, v19, v12 :: v_dual_fmac_f32 v159, v6, v1
	v_fma_f32 v1, v7, v3, -v4
	v_add_f32_e32 v32, v32, v153
	s_wait_dscnt 0x0
	v_dual_add_f32 v154, v157, v154 :: v_dual_mul_f32 v153, v28, v27
	v_mul_f32_e32 v157, v17, v10
	s_delay_alu instid0(VALU_DEP_3) | instskip(NEXT) | instid1(VALU_DEP_3)
	v_dual_mul_f32 v3, v18, v10 :: v_dual_add_f32 v4, v32, v159
	v_add_f32_e32 v154, v154, v156
	s_delay_alu instid0(VALU_DEP_3) | instskip(NEXT) | instid1(VALU_DEP_3)
	v_dual_fmac_f32 v158, v20, v11 :: v_dual_fmac_f32 v157, v18, v9
	v_fma_f32 v3, v17, v9, -v3
	v_fma_f32 v5, v19, v11, -v5
	s_delay_alu instid0(VALU_DEP_4) | instskip(SKIP_1) | instid1(VALU_DEP_2)
	v_add_f32_e32 v2, v154, v2
	v_fmac_f32_e32 v153, v29, v26
	v_dual_add_f32 v1, v2, v1 :: v_dual_add_f32 v2, v4, v160
	s_delay_alu instid0(VALU_DEP_1) | instskip(SKIP_2) | instid1(VALU_DEP_3)
	v_add_f32_e32 v2, v2, v157
	s_wait_loadcnt 0x0
	v_dual_mul_f32 v161, v22, v14 :: v_dual_mul_f32 v156, v24, v16
	v_dual_mul_f32 v4, v23, v14 :: v_dual_add_f32 v1, v1, v3
	v_mul_f32_e32 v3, v25, v16
	s_delay_alu instid0(VALU_DEP_3) | instskip(NEXT) | instid1(VALU_DEP_4)
	v_dual_fmac_f32 v161, v23, v13 :: v_dual_add_f32 v2, v2, v158
	v_fmac_f32_e32 v156, v25, v15
	s_delay_alu instid0(VALU_DEP_4) | instskip(NEXT) | instid1(VALU_DEP_4)
	v_fma_f32 v4, v22, v13, -v4
	v_fma_f32 v3, v24, v15, -v3
	s_delay_alu instid0(VALU_DEP_4) | instskip(NEXT) | instid1(VALU_DEP_1)
	v_add_f32_e32 v2, v2, v161
	v_dual_add_f32 v1, v1, v5 :: v_dual_add_f32 v2, v2, v156
	s_delay_alu instid0(VALU_DEP_1) | instskip(NEXT) | instid1(VALU_DEP_2)
	v_dual_mul_f32 v5, v29, v27 :: v_dual_add_f32 v2, v2, v153
	v_add_f32_e32 v1, v1, v4
	s_delay_alu instid0(VALU_DEP_2) | instskip(NEXT) | instid1(VALU_DEP_2)
	v_fma_f32 v4, v28, v26, -v5
	v_dual_sub_f32 v2, v31, v2 :: v_dual_add_f32 v1, v1, v3
	s_delay_alu instid0(VALU_DEP_1) | instskip(NEXT) | instid1(VALU_DEP_1)
	v_add_f32_e32 v1, v1, v4
	v_sub_f32_e32 v1, v30, v1
	scratch_store_b64 off, v[1:2], off offset:208
	v_cmpx_lt_u32_e32 25, v0
	s_cbranch_execz .LBB59_323
; %bb.322:
	scratch_load_b64 v[1:2], off, off offset:200
	v_mov_b32_e32 v22, v21
	scratch_store_b64 off, v[21:22], off offset:200
	s_wait_loadcnt 0x0
	ds_store_b64 v155, v[1:2]
.LBB59_323:
	s_wait_alu 0xfffe
	s_or_b32 exec_lo, exec_lo, s0
	s_wait_storecnt_dscnt 0x0
	s_barrier_signal -1
	s_barrier_wait -1
	global_inv scope:SCOPE_SE
	s_clause 0x4
	scratch_load_b128 v[5:8], off, off offset:208
	scratch_load_b128 v[1:4], off, off offset:224
	;; [unrolled: 1-line block ×5, first 2 shown]
	ds_load_b128 v[22:25], v21 offset:688
	ds_load_b128 v[26:29], v21 offset:704
	;; [unrolled: 1-line block ×3, first 2 shown]
	scratch_load_b64 v[30:31], off, off offset:200
	s_mov_b32 s0, exec_lo
	s_wait_loadcnt_dscnt 0x502
	v_mul_f32_e32 v32, v23, v6
	v_dual_mul_f32 v153, v22, v6 :: v_dual_mul_f32 v154, v24, v8
	v_mul_f32_e32 v6, v25, v8
	s_wait_loadcnt_dscnt 0x300
	v_mul_f32_e32 v160, v158, v12
	v_mul_f32_e32 v12, v159, v12
	v_dual_fmac_f32 v153, v23, v5 :: v_dual_fmac_f32 v154, v25, v7
	v_fma_f32 v23, v24, v7, -v6
	v_mul_f32_e32 v25, v28, v4
	v_fma_f32 v22, v22, v5, -v32
	ds_load_b128 v[5:8], v21 offset:736
	v_mul_f32_e32 v24, v26, v2
	v_mul_f32_e32 v4, v29, v4
	;; [unrolled: 1-line block ×4, first 2 shown]
	v_dual_mul_f32 v2, v27, v2 :: v_dual_fmac_f32 v25, v29, v3
	v_fmac_f32_e32 v24, v27, v1
	v_fma_f32 v27, v28, v3, -v4
	v_fmac_f32_e32 v32, v157, v9
	v_fma_f32 v28, v156, v9, -v10
	;; [unrolled: 2-line block ×3, first 2 shown]
	ds_load_b128 v[9:12], v21 offset:752
	s_wait_loadcnt_dscnt 0x201
	v_dual_mul_f32 v157, v7, v16 :: v_dual_mul_f32 v156, v5, v14
	v_mul_f32_e32 v14, v6, v14
	v_mul_f32_e32 v16, v8, v16
	s_delay_alu instid0(VALU_DEP_3)
	v_fmac_f32_e32 v157, v8, v15
	v_fma_f32 v26, v26, v1, -v2
	scratch_load_b128 v[1:4], off, off offset:288
	v_fmac_f32_e32 v156, v6, v13
	v_fma_f32 v13, v5, v13, -v14
	v_fma_f32 v14, v7, v15, -v16
	ds_load_b128 v[5:8], v21 offset:768
	s_wait_loadcnt_dscnt 0x201
	v_mul_f32_e32 v15, v9, v18
	v_mul_f32_e32 v16, v10, v18
	;; [unrolled: 1-line block ×3, first 2 shown]
	s_delay_alu instid0(VALU_DEP_3) | instskip(NEXT) | instid1(VALU_DEP_3)
	v_dual_mul_f32 v20, v12, v20 :: v_dual_fmac_f32 v15, v10, v17
	v_fma_f32 v16, v9, v17, -v16
	s_delay_alu instid0(VALU_DEP_3) | instskip(NEXT) | instid1(VALU_DEP_3)
	v_fmac_f32_e32 v18, v12, v19
	v_fma_f32 v17, v11, v19, -v20
	scratch_load_b128 v[9:12], off, off offset:304
	s_wait_loadcnt_dscnt 0x100
	v_mul_f32_e32 v19, v5, v2
	v_mul_f32_e32 v2, v6, v2
	v_mul_f32_e32 v20, v7, v4
	s_delay_alu instid0(VALU_DEP_3) | instskip(NEXT) | instid1(VALU_DEP_3)
	v_dual_mul_f32 v4, v8, v4 :: v_dual_fmac_f32 v19, v6, v1
	v_fma_f32 v158, v5, v1, -v2
	s_delay_alu instid0(VALU_DEP_3) | instskip(NEXT) | instid1(VALU_DEP_3)
	v_fmac_f32_e32 v20, v8, v3
	v_fma_f32 v159, v7, v3, -v4
	ds_load_b128 v[1:4], v21 offset:784
	ds_load_b128 v[5:8], v21 offset:800
	s_wait_loadcnt_dscnt 0x1
	v_mul_f32_e32 v161, v1, v10
	v_mul_f32_e32 v10, v2, v10
	s_delay_alu instid0(VALU_DEP_2) | instskip(NEXT) | instid1(VALU_DEP_2)
	v_dual_mul_f32 v162, v3, v12 :: v_dual_fmac_f32 v161, v2, v9
	v_fma_f32 v163, v1, v9, -v10
	v_mul_f32_e32 v1, v4, v12
	s_delay_alu instid0(VALU_DEP_3) | instskip(NEXT) | instid1(VALU_DEP_2)
	v_fmac_f32_e32 v162, v4, v11
	v_fma_f32 v164, v3, v11, -v1
	s_clause 0x1
	scratch_load_b128 v[1:4], off, off offset:320
	scratch_load_b128 v[9:12], off, off offset:336
	s_wait_loadcnt_dscnt 0x100
	v_mul_f32_e32 v165, v5, v2
	v_dual_mul_f32 v2, v6, v2 :: v_dual_mul_f32 v167, v7, v4
	s_delay_alu instid0(VALU_DEP_2) | instskip(NEXT) | instid1(VALU_DEP_2)
	v_fmac_f32_e32 v165, v6, v1
	v_fma_f32 v166, v5, v1, -v2
	v_mul_f32_e32 v1, v8, v4
	s_delay_alu instid0(VALU_DEP_4) | instskip(NEXT) | instid1(VALU_DEP_2)
	v_fmac_f32_e32 v167, v8, v3
	v_fma_f32 v168, v7, v3, -v1
	ds_load_b128 v[1:4], v21 offset:816
	ds_load_b128 v[5:8], v21 offset:832
	s_wait_loadcnt_dscnt 0x1
	v_mul_f32_e32 v169, v1, v10
	v_mul_f32_e32 v171, v3, v12
	s_delay_alu instid0(VALU_DEP_2) | instskip(NEXT) | instid1(VALU_DEP_2)
	v_fmac_f32_e32 v169, v2, v9
	v_dual_mul_f32 v2, v2, v10 :: v_dual_fmac_f32 v171, v4, v11
	s_delay_alu instid0(VALU_DEP_1) | instskip(SKIP_1) | instid1(VALU_DEP_1)
	v_fma_f32 v170, v1, v9, -v2
	v_mul_f32_e32 v1, v4, v12
	v_fma_f32 v172, v3, v11, -v1
	s_clause 0x1
	scratch_load_b128 v[1:4], off, off offset:352
	scratch_load_b128 v[9:12], off, off offset:368
	s_wait_loadcnt_dscnt 0x100
	v_mul_f32_e32 v173, v5, v2
	v_dual_mul_f32 v2, v6, v2 :: v_dual_mul_f32 v175, v7, v4
	s_delay_alu instid0(VALU_DEP_2) | instskip(NEXT) | instid1(VALU_DEP_2)
	v_fmac_f32_e32 v173, v6, v1
	v_fma_f32 v174, v5, v1, -v2
	v_mul_f32_e32 v1, v8, v4
	s_delay_alu instid0(VALU_DEP_4) | instskip(NEXT) | instid1(VALU_DEP_2)
	v_fmac_f32_e32 v175, v8, v3
	v_fma_f32 v176, v7, v3, -v1
	ds_load_b128 v[1:4], v21 offset:848
	ds_load_b128 v[5:8], v21 offset:864
	s_wait_loadcnt_dscnt 0x1
	v_mul_f32_e32 v177, v1, v10
	v_mul_f32_e32 v179, v3, v12
	s_delay_alu instid0(VALU_DEP_2) | instskip(NEXT) | instid1(VALU_DEP_2)
	v_fmac_f32_e32 v177, v2, v9
	v_dual_mul_f32 v2, v2, v10 :: v_dual_fmac_f32 v179, v4, v11
	s_delay_alu instid0(VALU_DEP_1) | instskip(SKIP_1) | instid1(VALU_DEP_1)
	v_fma_f32 v178, v1, v9, -v2
	v_mul_f32_e32 v1, v4, v12
	v_fma_f32 v180, v3, v11, -v1
	s_clause 0x1
	scratch_load_b128 v[1:4], off, off offset:384
	scratch_load_b128 v[9:12], off, off offset:400
	s_wait_loadcnt_dscnt 0x100
	v_mul_f32_e32 v181, v5, v2
	v_dual_mul_f32 v2, v6, v2 :: v_dual_mul_f32 v183, v7, v4
	s_delay_alu instid0(VALU_DEP_1) | instskip(NEXT) | instid1(VALU_DEP_2)
	v_fma_f32 v182, v5, v1, -v2
	v_dual_add_f32 v2, 0, v153 :: v_dual_fmac_f32 v183, v8, v3
	s_delay_alu instid0(VALU_DEP_4) | instskip(NEXT) | instid1(VALU_DEP_2)
	v_fmac_f32_e32 v181, v6, v1
	v_add_f32_e32 v2, v2, v154
	s_delay_alu instid0(VALU_DEP_1) | instskip(NEXT) | instid1(VALU_DEP_1)
	v_add_f32_e32 v2, v2, v24
	v_dual_mul_f32 v1, v8, v4 :: v_dual_add_f32 v2, v2, v25
	s_delay_alu instid0(VALU_DEP_1) | instskip(NEXT) | instid1(VALU_DEP_2)
	v_fma_f32 v184, v7, v3, -v1
	v_dual_add_f32 v1, 0, v22 :: v_dual_add_f32 v2, v2, v32
	s_delay_alu instid0(VALU_DEP_1) | instskip(NEXT) | instid1(VALU_DEP_1)
	v_dual_add_f32 v1, v1, v23 :: v_dual_add_f32 v2, v2, v160
	v_dual_add_f32 v1, v1, v26 :: v_dual_add_f32 v2, v2, v156
	s_delay_alu instid0(VALU_DEP_1) | instskip(NEXT) | instid1(VALU_DEP_1)
	v_dual_add_f32 v1, v1, v27 :: v_dual_add_f32 v2, v2, v157
	v_dual_add_f32 v1, v1, v28 :: v_dual_add_f32 v2, v2, v15
	s_delay_alu instid0(VALU_DEP_1) | instskip(NEXT) | instid1(VALU_DEP_2)
	v_add_f32_e32 v1, v1, v29
	v_add_f32_e32 v5, v2, v18
	s_delay_alu instid0(VALU_DEP_2) | instskip(NEXT) | instid1(VALU_DEP_2)
	v_add_f32_e32 v1, v1, v13
	v_add_f32_e32 v13, v5, v19
	s_delay_alu instid0(VALU_DEP_2) | instskip(NEXT) | instid1(VALU_DEP_1)
	v_add_f32_e32 v1, v1, v14
	v_add_f32_e32 v1, v1, v16
	s_delay_alu instid0(VALU_DEP_1) | instskip(NEXT) | instid1(VALU_DEP_1)
	v_add_f32_e32 v1, v1, v17
	v_add_f32_e32 v6, v1, v158
	ds_load_b128 v[1:4], v21 offset:880
	v_dual_add_f32 v13, v13, v20 :: v_dual_add_f32 v14, v6, v159
	scratch_load_b128 v[5:8], off, off offset:416
	v_dual_add_f32 v13, v13, v161 :: v_dual_add_f32 v14, v14, v163
	s_delay_alu instid0(VALU_DEP_1) | instskip(SKIP_4) | instid1(VALU_DEP_2)
	v_dual_add_f32 v18, v13, v162 :: v_dual_add_f32 v17, v14, v164
	ds_load_b128 v[13:16], v21 offset:896
	v_add_f32_e32 v18, v18, v165
	s_wait_loadcnt_dscnt 0x101
	v_mul_f32_e32 v26, v3, v12
	v_dual_add_f32 v18, v18, v167 :: v_dual_add_f32 v17, v17, v166
	v_mul_f32_e32 v12, v4, v12
	s_delay_alu instid0(VALU_DEP_3) | instskip(NEXT) | instid1(VALU_DEP_3)
	v_fmac_f32_e32 v26, v4, v11
	v_dual_add_f32 v22, v18, v169 :: v_dual_mul_f32 v25, v1, v10
	v_mul_f32_e32 v10, v2, v10
	s_delay_alu instid0(VALU_DEP_4) | instskip(NEXT) | instid1(VALU_DEP_3)
	v_fma_f32 v28, v3, v11, -v12
	v_add_f32_e32 v22, v22, v171
	s_delay_alu instid0(VALU_DEP_4) | instskip(NEXT) | instid1(VALU_DEP_4)
	v_fmac_f32_e32 v25, v2, v9
	v_fma_f32 v27, v1, v9, -v10
	scratch_load_b128 v[1:4], off, off offset:432
	v_add_f32_e32 v17, v17, v168
	scratch_load_b128 v[9:12], off, off offset:448
	s_wait_loadcnt_dscnt 0x200
	v_dual_add_f32 v22, v22, v173 :: v_dual_mul_f32 v29, v13, v6
	v_mul_f32_e32 v6, v14, v6
	v_dual_add_f32 v17, v17, v170 :: v_dual_mul_f32 v32, v15, v8
	v_mul_f32_e32 v8, v16, v8
	s_delay_alu instid0(VALU_DEP_3) | instskip(NEXT) | instid1(VALU_DEP_3)
	v_fma_f32 v153, v13, v5, -v6
	v_dual_add_f32 v23, v17, v172 :: v_dual_fmac_f32 v32, v16, v7
	scratch_load_b128 v[17:20], off, off offset:464
	v_fma_f32 v154, v15, v7, -v8
	v_add_f32_e32 v23, v23, v174
	s_delay_alu instid0(VALU_DEP_1) | instskip(NEXT) | instid1(VALU_DEP_1)
	v_add_f32_e32 v23, v23, v176
	v_dual_add_f32 v13, v22, v175 :: v_dual_add_f32 v22, v23, v178
	s_delay_alu instid0(VALU_DEP_1) | instskip(NEXT) | instid1(VALU_DEP_1)
	v_add_f32_e32 v156, v22, v180
	v_dual_add_f32 v156, v156, v182 :: v_dual_fmac_f32 v29, v14, v5
	ds_load_b128 v[5:8], v21 offset:912
	v_add_f32_e32 v23, v13, v177
	ds_load_b128 v[13:16], v21 offset:928
	v_add_f32_e32 v156, v156, v184
	s_wait_loadcnt_dscnt 0x201
	s_delay_alu instid0(VALU_DEP_1)
	v_dual_add_f32 v27, v156, v27 :: v_dual_mul_f32 v156, v7, v4
	v_dual_add_f32 v157, v23, v179 :: v_dual_mul_f32 v158, v5, v2
	ds_load_b128 v[21:24], v21 offset:944
	v_mul_f32_e32 v2, v6, v2
	v_dual_mul_f32 v4, v8, v4 :: v_dual_add_f32 v157, v157, v181
	s_wait_loadcnt_dscnt 0x101
	v_dual_fmac_f32 v158, v6, v1 :: v_dual_mul_f32 v159, v15, v12
	v_mul_f32_e32 v6, v14, v10
	v_fma_f32 v2, v5, v1, -v2
	v_add_f32_e32 v157, v157, v183
	v_fmac_f32_e32 v156, v8, v3
	v_fma_f32 v3, v7, v3, -v4
	s_delay_alu instid0(VALU_DEP_3) | instskip(SKIP_1) | instid1(VALU_DEP_2)
	v_dual_mul_f32 v4, v16, v12 :: v_dual_add_f32 v25, v157, v25
	v_mul_f32_e32 v157, v13, v10
	v_fma_f32 v4, v15, v11, -v4
	s_delay_alu instid0(VALU_DEP_3) | instskip(NEXT) | instid1(VALU_DEP_1)
	v_add_f32_e32 v25, v25, v26
	v_add_f32_e32 v25, v25, v29
	s_wait_loadcnt_dscnt 0x0
	v_dual_mul_f32 v26, v21, v18 :: v_dual_add_f32 v27, v27, v28
	v_mul_f32_e32 v28, v23, v20
	s_delay_alu instid0(VALU_DEP_3) | instskip(SKIP_1) | instid1(VALU_DEP_4)
	v_add_f32_e32 v5, v25, v32
	v_fmac_f32_e32 v157, v14, v9
	v_fmac_f32_e32 v26, v22, v17
	s_delay_alu instid0(VALU_DEP_4) | instskip(SKIP_1) | instid1(VALU_DEP_2)
	v_dual_add_f32 v27, v27, v153 :: v_dual_fmac_f32 v28, v24, v19
	v_fmac_f32_e32 v159, v16, v11
	v_add_f32_e32 v1, v27, v154
	s_delay_alu instid0(VALU_DEP_1) | instskip(SKIP_2) | instid1(VALU_DEP_2)
	v_add_f32_e32 v1, v1, v2
	v_add_f32_e32 v2, v5, v158
	v_fma_f32 v5, v13, v9, -v6
	v_add_f32_e32 v2, v2, v156
	s_delay_alu instid0(VALU_DEP_1) | instskip(NEXT) | instid1(VALU_DEP_1)
	v_add_f32_e32 v2, v2, v157
	v_add_f32_e32 v2, v2, v159
	;; [unrolled: 1-line block ×3, first 2 shown]
	v_mul_f32_e32 v3, v22, v18
	s_delay_alu instid0(VALU_DEP_3) | instskip(NEXT) | instid1(VALU_DEP_2)
	v_add_f32_e32 v2, v2, v26
	v_fma_f32 v3, v21, v17, -v3
	s_delay_alu instid0(VALU_DEP_2) | instskip(NEXT) | instid1(VALU_DEP_1)
	v_dual_add_f32 v2, v2, v28 :: v_dual_add_f32 v1, v1, v5
	v_dual_mul_f32 v5, v24, v20 :: v_dual_sub_f32 v2, v31, v2
	s_delay_alu instid0(VALU_DEP_2) | instskip(NEXT) | instid1(VALU_DEP_2)
	v_add_f32_e32 v1, v1, v4
	v_fma_f32 v4, v23, v19, -v5
	s_delay_alu instid0(VALU_DEP_2) | instskip(NEXT) | instid1(VALU_DEP_1)
	v_add_f32_e32 v1, v1, v3
	v_add_f32_e32 v1, v1, v4
	s_delay_alu instid0(VALU_DEP_1)
	v_sub_f32_e32 v1, v30, v1
	scratch_store_b64 off, v[1:2], off offset:200
	v_cmpx_lt_u32_e32 24, v0
	s_cbranch_execz .LBB59_325
; %bb.324:
	scratch_load_b64 v[1:2], off, off offset:192
	v_mov_b32_e32 v3, 0
	s_delay_alu instid0(VALU_DEP_1)
	v_mov_b32_e32 v4, v3
	scratch_store_b64 off, v[3:4], off offset:192
	s_wait_loadcnt 0x0
	ds_store_b64 v155, v[1:2]
.LBB59_325:
	s_wait_alu 0xfffe
	s_or_b32 exec_lo, exec_lo, s0
	s_wait_storecnt_dscnt 0x0
	s_barrier_signal -1
	s_barrier_wait -1
	global_inv scope:SCOPE_SE
	s_clause 0x4
	scratch_load_b128 v[5:8], off, off offset:200
	scratch_load_b128 v[1:4], off, off offset:216
	;; [unrolled: 1-line block ×5, first 2 shown]
	v_mov_b32_e32 v21, 0
	ds_load_2addr_b64 v[22:25], v21 offset0:85 offset1:86
	ds_load_2addr_b64 v[26:29], v21 offset0:87 offset1:88
	;; [unrolled: 1-line block ×3, first 2 shown]
	scratch_load_b64 v[30:31], off, off offset:192
	s_mov_b32 s0, exec_lo
	s_wait_loadcnt_dscnt 0x502
	v_mul_f32_e32 v32, v23, v6
	v_dual_mul_f32 v153, v22, v6 :: v_dual_mul_f32 v154, v24, v8
	v_mul_f32_e32 v6, v25, v8
	s_wait_loadcnt_dscnt 0x300
	v_mul_f32_e32 v160, v158, v12
	v_fma_f32 v22, v22, v5, -v32
	v_dual_fmac_f32 v153, v23, v5 :: v_dual_fmac_f32 v154, v25, v7
	v_mul_f32_e32 v25, v28, v4
	v_fma_f32 v23, v24, v7, -v6
	ds_load_2addr_b64 v[5:8], v21 offset0:91 offset1:92
	v_mul_f32_e32 v24, v26, v2
	v_mul_f32_e32 v4, v29, v4
	;; [unrolled: 1-line block ×5, first 2 shown]
	v_dual_mul_f32 v2, v27, v2 :: v_dual_fmac_f32 v25, v29, v3
	v_fmac_f32_e32 v24, v27, v1
	v_fma_f32 v27, v28, v3, -v4
	v_fmac_f32_e32 v32, v157, v9
	v_fma_f32 v28, v156, v9, -v10
	;; [unrolled: 2-line block ×3, first 2 shown]
	ds_load_2addr_b64 v[9:12], v21 offset0:93 offset1:94
	s_wait_loadcnt_dscnt 0x201
	v_dual_mul_f32 v157, v7, v16 :: v_dual_mul_f32 v156, v5, v14
	v_mul_f32_e32 v14, v6, v14
	v_mul_f32_e32 v16, v8, v16
	s_delay_alu instid0(VALU_DEP_3)
	v_fmac_f32_e32 v157, v8, v15
	v_fma_f32 v26, v26, v1, -v2
	scratch_load_b128 v[1:4], off, off offset:280
	v_fmac_f32_e32 v156, v6, v13
	v_fma_f32 v13, v5, v13, -v14
	v_fma_f32 v14, v7, v15, -v16
	ds_load_2addr_b64 v[5:8], v21 offset0:95 offset1:96
	s_wait_loadcnt_dscnt 0x201
	v_mul_f32_e32 v15, v9, v18
	v_mul_f32_e32 v16, v10, v18
	;; [unrolled: 1-line block ×3, first 2 shown]
	s_delay_alu instid0(VALU_DEP_3) | instskip(NEXT) | instid1(VALU_DEP_3)
	v_dual_mul_f32 v20, v12, v20 :: v_dual_fmac_f32 v15, v10, v17
	v_fma_f32 v16, v9, v17, -v16
	s_delay_alu instid0(VALU_DEP_3) | instskip(NEXT) | instid1(VALU_DEP_3)
	v_fmac_f32_e32 v18, v12, v19
	v_fma_f32 v17, v11, v19, -v20
	scratch_load_b128 v[9:12], off, off offset:296
	s_wait_loadcnt_dscnt 0x100
	v_mul_f32_e32 v19, v5, v2
	v_mul_f32_e32 v2, v6, v2
	;; [unrolled: 1-line block ×3, first 2 shown]
	s_delay_alu instid0(VALU_DEP_3) | instskip(NEXT) | instid1(VALU_DEP_3)
	v_dual_mul_f32 v4, v8, v4 :: v_dual_fmac_f32 v19, v6, v1
	v_fma_f32 v158, v5, v1, -v2
	s_delay_alu instid0(VALU_DEP_3) | instskip(NEXT) | instid1(VALU_DEP_3)
	v_fmac_f32_e32 v20, v8, v3
	v_fma_f32 v159, v7, v3, -v4
	ds_load_2addr_b64 v[1:4], v21 offset0:97 offset1:98
	ds_load_2addr_b64 v[5:8], v21 offset0:99 offset1:100
	s_wait_loadcnt_dscnt 0x1
	v_mul_f32_e32 v161, v1, v10
	v_mul_f32_e32 v10, v2, v10
	s_delay_alu instid0(VALU_DEP_2) | instskip(NEXT) | instid1(VALU_DEP_2)
	v_dual_mul_f32 v162, v3, v12 :: v_dual_fmac_f32 v161, v2, v9
	v_fma_f32 v163, v1, v9, -v10
	v_mul_f32_e32 v1, v4, v12
	s_delay_alu instid0(VALU_DEP_3) | instskip(NEXT) | instid1(VALU_DEP_2)
	v_fmac_f32_e32 v162, v4, v11
	v_fma_f32 v164, v3, v11, -v1
	s_clause 0x1
	scratch_load_b128 v[1:4], off, off offset:312
	scratch_load_b128 v[9:12], off, off offset:328
	s_wait_loadcnt_dscnt 0x100
	v_mul_f32_e32 v165, v5, v2
	v_dual_mul_f32 v2, v6, v2 :: v_dual_mul_f32 v167, v7, v4
	s_delay_alu instid0(VALU_DEP_2) | instskip(NEXT) | instid1(VALU_DEP_2)
	v_fmac_f32_e32 v165, v6, v1
	v_fma_f32 v166, v5, v1, -v2
	v_mul_f32_e32 v1, v8, v4
	s_delay_alu instid0(VALU_DEP_4) | instskip(NEXT) | instid1(VALU_DEP_2)
	v_fmac_f32_e32 v167, v8, v3
	v_fma_f32 v168, v7, v3, -v1
	ds_load_2addr_b64 v[1:4], v21 offset0:101 offset1:102
	ds_load_2addr_b64 v[5:8], v21 offset0:103 offset1:104
	s_wait_loadcnt_dscnt 0x1
	v_mul_f32_e32 v169, v1, v10
	v_mul_f32_e32 v171, v3, v12
	s_delay_alu instid0(VALU_DEP_2) | instskip(NEXT) | instid1(VALU_DEP_2)
	v_fmac_f32_e32 v169, v2, v9
	v_dual_mul_f32 v2, v2, v10 :: v_dual_fmac_f32 v171, v4, v11
	s_delay_alu instid0(VALU_DEP_1) | instskip(SKIP_1) | instid1(VALU_DEP_1)
	v_fma_f32 v170, v1, v9, -v2
	v_mul_f32_e32 v1, v4, v12
	v_fma_f32 v172, v3, v11, -v1
	s_clause 0x1
	scratch_load_b128 v[1:4], off, off offset:344
	scratch_load_b128 v[9:12], off, off offset:360
	s_wait_loadcnt_dscnt 0x100
	v_mul_f32_e32 v173, v5, v2
	v_dual_mul_f32 v2, v6, v2 :: v_dual_mul_f32 v175, v7, v4
	s_delay_alu instid0(VALU_DEP_2) | instskip(NEXT) | instid1(VALU_DEP_2)
	v_fmac_f32_e32 v173, v6, v1
	v_fma_f32 v174, v5, v1, -v2
	v_mul_f32_e32 v1, v8, v4
	s_delay_alu instid0(VALU_DEP_4) | instskip(NEXT) | instid1(VALU_DEP_2)
	v_fmac_f32_e32 v175, v8, v3
	v_fma_f32 v176, v7, v3, -v1
	ds_load_2addr_b64 v[1:4], v21 offset0:105 offset1:106
	ds_load_2addr_b64 v[5:8], v21 offset0:107 offset1:108
	s_wait_loadcnt_dscnt 0x1
	v_mul_f32_e32 v177, v1, v10
	v_mul_f32_e32 v179, v3, v12
	s_delay_alu instid0(VALU_DEP_2) | instskip(NEXT) | instid1(VALU_DEP_2)
	v_fmac_f32_e32 v177, v2, v9
	v_dual_mul_f32 v2, v2, v10 :: v_dual_fmac_f32 v179, v4, v11
	s_delay_alu instid0(VALU_DEP_1) | instskip(SKIP_1) | instid1(VALU_DEP_1)
	v_fma_f32 v178, v1, v9, -v2
	v_mul_f32_e32 v1, v4, v12
	v_fma_f32 v180, v3, v11, -v1
	s_clause 0x1
	scratch_load_b128 v[1:4], off, off offset:376
	scratch_load_b128 v[9:12], off, off offset:392
	s_wait_loadcnt_dscnt 0x100
	v_mul_f32_e32 v181, v5, v2
	v_dual_mul_f32 v2, v6, v2 :: v_dual_mul_f32 v183, v7, v4
	s_delay_alu instid0(VALU_DEP_1) | instskip(NEXT) | instid1(VALU_DEP_2)
	v_fma_f32 v182, v5, v1, -v2
	v_dual_add_f32 v2, 0, v153 :: v_dual_fmac_f32 v183, v8, v3
	s_delay_alu instid0(VALU_DEP_4) | instskip(NEXT) | instid1(VALU_DEP_2)
	v_fmac_f32_e32 v181, v6, v1
	v_add_f32_e32 v2, v2, v154
	s_delay_alu instid0(VALU_DEP_1) | instskip(NEXT) | instid1(VALU_DEP_1)
	v_add_f32_e32 v2, v2, v24
	v_dual_mul_f32 v1, v8, v4 :: v_dual_add_f32 v2, v2, v25
	s_delay_alu instid0(VALU_DEP_1) | instskip(NEXT) | instid1(VALU_DEP_2)
	v_fma_f32 v184, v7, v3, -v1
	v_dual_add_f32 v1, 0, v22 :: v_dual_add_f32 v2, v2, v32
	s_delay_alu instid0(VALU_DEP_1) | instskip(NEXT) | instid1(VALU_DEP_1)
	v_dual_add_f32 v1, v1, v23 :: v_dual_add_f32 v2, v2, v160
	v_dual_add_f32 v1, v1, v26 :: v_dual_add_f32 v2, v2, v156
	s_delay_alu instid0(VALU_DEP_1) | instskip(SKIP_2) | instid1(VALU_DEP_1)
	v_add_f32_e32 v1, v1, v27
	scratch_load_b64 v[26:27], off, off offset:472
	v_dual_add_f32 v2, v2, v157 :: v_dual_add_f32 v1, v1, v28
	v_dual_add_f32 v2, v2, v15 :: v_dual_add_f32 v1, v1, v29
	s_delay_alu instid0(VALU_DEP_1) | instskip(NEXT) | instid1(VALU_DEP_2)
	v_add_f32_e32 v5, v2, v18
	v_add_f32_e32 v1, v1, v13
	s_delay_alu instid0(VALU_DEP_2) | instskip(NEXT) | instid1(VALU_DEP_2)
	v_add_f32_e32 v13, v5, v19
	v_add_f32_e32 v1, v1, v14
	s_delay_alu instid0(VALU_DEP_1) | instskip(NEXT) | instid1(VALU_DEP_1)
	v_add_f32_e32 v1, v1, v16
	v_add_f32_e32 v1, v1, v17
	s_delay_alu instid0(VALU_DEP_1) | instskip(SKIP_4) | instid1(VALU_DEP_1)
	v_add_f32_e32 v6, v1, v158
	scratch_load_b128 v[1:4], off, off offset:408
	v_add_f32_e32 v14, v6, v159
	ds_load_2addr_b64 v[5:8], v21 offset0:109 offset1:110
	v_dual_add_f32 v13, v13, v20 :: v_dual_add_f32 v14, v14, v163
	v_add_f32_e32 v13, v13, v161
	s_delay_alu instid0(VALU_DEP_1) | instskip(SKIP_4) | instid1(VALU_DEP_2)
	v_dual_add_f32 v17, v14, v164 :: v_dual_add_f32 v18, v13, v162
	ds_load_2addr_b64 v[13:16], v21 offset0:111 offset1:112
	v_add_f32_e32 v18, v18, v165
	s_wait_loadcnt_dscnt 0x201
	v_mul_f32_e32 v32, v5, v10
	v_dual_add_f32 v18, v18, v167 :: v_dual_add_f32 v17, v17, v166
	v_mul_f32_e32 v10, v6, v10
	s_delay_alu instid0(VALU_DEP_3) | instskip(NEXT) | instid1(VALU_DEP_3)
	v_fmac_f32_e32 v32, v6, v9
	v_dual_add_f32 v22, v18, v169 :: v_dual_mul_f32 v153, v7, v12
	v_mul_f32_e32 v12, v8, v12
	s_delay_alu instid0(VALU_DEP_4) | instskip(NEXT) | instid1(VALU_DEP_3)
	v_fma_f32 v154, v5, v9, -v10
	v_add_f32_e32 v22, v22, v171
	s_delay_alu instid0(VALU_DEP_4) | instskip(NEXT) | instid1(VALU_DEP_4)
	v_fmac_f32_e32 v153, v8, v11
	v_fma_f32 v156, v7, v11, -v12
	scratch_load_b128 v[5:8], off, off offset:424
	v_dual_add_f32 v17, v17, v168 :: v_dual_add_f32 v22, v22, v173
	scratch_load_b128 v[9:12], off, off offset:440
	v_dual_add_f32 v17, v17, v170 :: v_dual_add_f32 v22, v22, v175
	s_wait_loadcnt_dscnt 0x200
	v_mul_f32_e32 v158, v15, v4
	s_delay_alu instid0(VALU_DEP_2)
	v_add_f32_e32 v23, v17, v172
	scratch_load_b128 v[17:20], off, off offset:456
	v_mul_f32_e32 v157, v13, v2
	v_mul_f32_e32 v2, v14, v2
	;; [unrolled: 1-line block ×3, first 2 shown]
	v_dual_fmac_f32 v158, v16, v3 :: v_dual_add_f32 v23, v23, v174
	s_delay_alu instid0(VALU_DEP_4) | instskip(NEXT) | instid1(VALU_DEP_4)
	v_fmac_f32_e32 v157, v14, v1
	v_fma_f32 v159, v13, v1, -v2
	s_delay_alu instid0(VALU_DEP_4) | instskip(SKIP_2) | instid1(VALU_DEP_1)
	v_fma_f32 v160, v15, v3, -v4
	ds_load_2addr_b64 v[1:4], v21 offset0:113 offset1:114
	v_add_f32_e32 v13, v22, v177
	v_dual_add_f32 v23, v23, v176 :: v_dual_add_f32 v22, v13, v179
	s_delay_alu instid0(VALU_DEP_1) | instskip(NEXT) | instid1(VALU_DEP_1)
	v_add_f32_e32 v29, v22, v181
	v_dual_add_f32 v23, v23, v178 :: v_dual_add_f32 v162, v29, v183
	s_delay_alu instid0(VALU_DEP_1)
	v_add_f32_e32 v14, v23, v180
	ds_load_2addr_b64 v[22:25], v21 offset0:117 offset1:118
	v_add_f32_e32 v28, v14, v182
	ds_load_2addr_b64 v[13:16], v21 offset0:115 offset1:116
	v_add_f32_e32 v32, v162, v32
	s_wait_loadcnt_dscnt 0x202
	s_delay_alu instid0(VALU_DEP_1)
	v_dual_add_f32 v32, v32, v153 :: v_dual_mul_f32 v153, v3, v8
	v_add_f32_e32 v161, v28, v184
	ds_load_b64 v[28:29], v21 offset:952
	v_mul_f32_e32 v8, v4, v8
	v_dual_fmac_f32 v153, v4, v7 :: v_dual_add_f32 v154, v161, v154
	v_mul_f32_e32 v161, v1, v6
	v_mul_f32_e32 v6, v2, v6
	v_add_f32_e32 v32, v32, v157
	s_delay_alu instid0(VALU_DEP_4) | instskip(NEXT) | instid1(VALU_DEP_4)
	v_add_f32_e32 v154, v154, v156
	v_fmac_f32_e32 v161, v2, v5
	s_delay_alu instid0(VALU_DEP_4)
	v_fma_f32 v1, v1, v5, -v6
	v_fma_f32 v2, v3, v7, -v8
	s_wait_loadcnt_dscnt 0x101
	v_dual_mul_f32 v5, v16, v12 :: v_dual_add_f32 v154, v154, v159
	v_mul_f32_e32 v3, v14, v10
	v_dual_mul_f32 v156, v13, v10 :: v_dual_mul_f32 v157, v15, v12
	s_delay_alu instid0(VALU_DEP_3) | instskip(NEXT) | instid1(VALU_DEP_4)
	v_fma_f32 v5, v15, v11, -v5
	v_add_f32_e32 v154, v154, v160
	s_delay_alu instid0(VALU_DEP_4) | instskip(NEXT) | instid1(VALU_DEP_4)
	v_fma_f32 v3, v13, v9, -v3
	v_dual_fmac_f32 v156, v14, v9 :: v_dual_fmac_f32 v157, v16, v11
	s_delay_alu instid0(VALU_DEP_3) | instskip(NEXT) | instid1(VALU_DEP_1)
	v_add_f32_e32 v1, v154, v1
	v_add_f32_e32 v1, v1, v2
	s_delay_alu instid0(VALU_DEP_1) | instskip(NEXT) | instid1(VALU_DEP_1)
	v_add_f32_e32 v1, v1, v3
	v_add_f32_e32 v1, v1, v5
	s_wait_dscnt 0x0
	v_mul_f32_e32 v5, v29, v27
	s_wait_loadcnt 0x0
	v_mul_f32_e32 v159, v22, v18
	v_add_f32_e32 v32, v32, v158
	v_mul_f32_e32 v160, v24, v20
	v_dual_mul_f32 v158, v28, v27 :: v_dual_mul_f32 v3, v25, v20
	s_delay_alu instid0(VALU_DEP_4) | instskip(NEXT) | instid1(VALU_DEP_4)
	v_fmac_f32_e32 v159, v23, v17
	v_add_f32_e32 v4, v32, v161
	s_delay_alu instid0(VALU_DEP_3) | instskip(NEXT) | instid1(VALU_DEP_4)
	v_fmac_f32_e32 v158, v29, v26
	v_fma_f32 v3, v24, v19, -v3
	s_delay_alu instid0(VALU_DEP_3) | instskip(SKIP_1) | instid1(VALU_DEP_2)
	v_add_f32_e32 v2, v4, v153
	v_mul_f32_e32 v4, v23, v18
	v_add_f32_e32 v2, v2, v156
	s_delay_alu instid0(VALU_DEP_2) | instskip(NEXT) | instid1(VALU_DEP_1)
	v_fma_f32 v4, v22, v17, -v4
	v_dual_add_f32 v2, v2, v157 :: v_dual_add_f32 v1, v1, v4
	v_fma_f32 v4, v28, v26, -v5
	s_delay_alu instid0(VALU_DEP_2) | instskip(NEXT) | instid1(VALU_DEP_3)
	v_add_f32_e32 v2, v2, v159
	v_add_f32_e32 v1, v1, v3
	s_delay_alu instid0(VALU_DEP_1) | instskip(NEXT) | instid1(VALU_DEP_1)
	v_add_f32_e32 v1, v1, v4
	v_dual_fmac_f32 v160, v25, v19 :: v_dual_sub_f32 v1, v30, v1
	s_delay_alu instid0(VALU_DEP_1) | instskip(NEXT) | instid1(VALU_DEP_1)
	v_add_f32_e32 v2, v2, v160
	v_add_f32_e32 v2, v2, v158
	s_delay_alu instid0(VALU_DEP_1)
	v_sub_f32_e32 v2, v31, v2
	scratch_store_b64 off, v[1:2], off offset:192
	v_cmpx_lt_u32_e32 23, v0
	s_cbranch_execz .LBB59_327
; %bb.326:
	scratch_load_b64 v[1:2], off, off offset:184
	v_mov_b32_e32 v22, v21
	scratch_store_b64 off, v[21:22], off offset:184
	s_wait_loadcnt 0x0
	ds_store_b64 v155, v[1:2]
.LBB59_327:
	s_wait_alu 0xfffe
	s_or_b32 exec_lo, exec_lo, s0
	s_wait_storecnt_dscnt 0x0
	s_barrier_signal -1
	s_barrier_wait -1
	global_inv scope:SCOPE_SE
	s_clause 0x4
	scratch_load_b128 v[5:8], off, off offset:192
	scratch_load_b128 v[1:4], off, off offset:208
	scratch_load_b128 v[9:12], off, off offset:224
	scratch_load_b128 v[13:16], off, off offset:240
	scratch_load_b128 v[17:20], off, off offset:256
	ds_load_b128 v[22:25], v21 offset:672
	ds_load_b128 v[26:29], v21 offset:688
	;; [unrolled: 1-line block ×3, first 2 shown]
	scratch_load_b64 v[30:31], off, off offset:184
	s_mov_b32 s0, exec_lo
	s_wait_loadcnt_dscnt 0x502
	v_mul_f32_e32 v32, v23, v6
	v_dual_mul_f32 v153, v22, v6 :: v_dual_mul_f32 v154, v24, v8
	v_mul_f32_e32 v6, v25, v8
	s_wait_loadcnt_dscnt 0x300
	v_mul_f32_e32 v160, v158, v12
	v_mul_f32_e32 v12, v159, v12
	v_dual_fmac_f32 v153, v23, v5 :: v_dual_fmac_f32 v154, v25, v7
	v_fma_f32 v23, v24, v7, -v6
	v_mul_f32_e32 v25, v28, v4
	v_fma_f32 v22, v22, v5, -v32
	ds_load_b128 v[5:8], v21 offset:720
	v_mul_f32_e32 v24, v26, v2
	v_mul_f32_e32 v4, v29, v4
	;; [unrolled: 1-line block ×4, first 2 shown]
	v_dual_mul_f32 v2, v27, v2 :: v_dual_fmac_f32 v25, v29, v3
	v_fmac_f32_e32 v24, v27, v1
	v_fma_f32 v27, v28, v3, -v4
	v_fmac_f32_e32 v32, v157, v9
	v_fma_f32 v28, v156, v9, -v10
	;; [unrolled: 2-line block ×3, first 2 shown]
	ds_load_b128 v[9:12], v21 offset:736
	s_wait_loadcnt_dscnt 0x201
	v_dual_mul_f32 v157, v7, v16 :: v_dual_mul_f32 v156, v5, v14
	v_mul_f32_e32 v14, v6, v14
	v_mul_f32_e32 v16, v8, v16
	s_delay_alu instid0(VALU_DEP_3)
	v_fmac_f32_e32 v157, v8, v15
	v_fma_f32 v26, v26, v1, -v2
	scratch_load_b128 v[1:4], off, off offset:272
	v_fmac_f32_e32 v156, v6, v13
	v_fma_f32 v13, v5, v13, -v14
	v_fma_f32 v14, v7, v15, -v16
	ds_load_b128 v[5:8], v21 offset:752
	s_wait_loadcnt_dscnt 0x201
	v_mul_f32_e32 v15, v9, v18
	v_mul_f32_e32 v16, v10, v18
	;; [unrolled: 1-line block ×3, first 2 shown]
	s_delay_alu instid0(VALU_DEP_3) | instskip(NEXT) | instid1(VALU_DEP_3)
	v_dual_mul_f32 v20, v12, v20 :: v_dual_fmac_f32 v15, v10, v17
	v_fma_f32 v16, v9, v17, -v16
	s_delay_alu instid0(VALU_DEP_3) | instskip(NEXT) | instid1(VALU_DEP_3)
	v_fmac_f32_e32 v18, v12, v19
	v_fma_f32 v17, v11, v19, -v20
	scratch_load_b128 v[9:12], off, off offset:288
	s_wait_loadcnt_dscnt 0x100
	v_mul_f32_e32 v19, v5, v2
	v_mul_f32_e32 v2, v6, v2
	;; [unrolled: 1-line block ×3, first 2 shown]
	s_delay_alu instid0(VALU_DEP_3) | instskip(NEXT) | instid1(VALU_DEP_3)
	v_dual_mul_f32 v4, v8, v4 :: v_dual_fmac_f32 v19, v6, v1
	v_fma_f32 v158, v5, v1, -v2
	s_delay_alu instid0(VALU_DEP_3) | instskip(NEXT) | instid1(VALU_DEP_3)
	v_fmac_f32_e32 v20, v8, v3
	v_fma_f32 v159, v7, v3, -v4
	ds_load_b128 v[1:4], v21 offset:768
	ds_load_b128 v[5:8], v21 offset:784
	s_wait_loadcnt_dscnt 0x1
	v_mul_f32_e32 v161, v1, v10
	v_mul_f32_e32 v10, v2, v10
	s_delay_alu instid0(VALU_DEP_2) | instskip(NEXT) | instid1(VALU_DEP_2)
	v_dual_mul_f32 v162, v3, v12 :: v_dual_fmac_f32 v161, v2, v9
	v_fma_f32 v163, v1, v9, -v10
	v_mul_f32_e32 v1, v4, v12
	s_delay_alu instid0(VALU_DEP_3) | instskip(NEXT) | instid1(VALU_DEP_2)
	v_fmac_f32_e32 v162, v4, v11
	v_fma_f32 v164, v3, v11, -v1
	s_clause 0x1
	scratch_load_b128 v[1:4], off, off offset:304
	scratch_load_b128 v[9:12], off, off offset:320
	s_wait_loadcnt_dscnt 0x100
	v_mul_f32_e32 v165, v5, v2
	v_dual_mul_f32 v2, v6, v2 :: v_dual_mul_f32 v167, v7, v4
	s_delay_alu instid0(VALU_DEP_2) | instskip(NEXT) | instid1(VALU_DEP_2)
	v_fmac_f32_e32 v165, v6, v1
	v_fma_f32 v166, v5, v1, -v2
	v_mul_f32_e32 v1, v8, v4
	s_delay_alu instid0(VALU_DEP_4) | instskip(NEXT) | instid1(VALU_DEP_2)
	v_fmac_f32_e32 v167, v8, v3
	v_fma_f32 v168, v7, v3, -v1
	ds_load_b128 v[1:4], v21 offset:800
	ds_load_b128 v[5:8], v21 offset:816
	s_wait_loadcnt_dscnt 0x1
	v_mul_f32_e32 v169, v1, v10
	v_mul_f32_e32 v171, v3, v12
	s_delay_alu instid0(VALU_DEP_2) | instskip(NEXT) | instid1(VALU_DEP_2)
	v_fmac_f32_e32 v169, v2, v9
	v_dual_mul_f32 v2, v2, v10 :: v_dual_fmac_f32 v171, v4, v11
	s_delay_alu instid0(VALU_DEP_1) | instskip(SKIP_1) | instid1(VALU_DEP_1)
	v_fma_f32 v170, v1, v9, -v2
	v_mul_f32_e32 v1, v4, v12
	v_fma_f32 v172, v3, v11, -v1
	s_clause 0x1
	scratch_load_b128 v[1:4], off, off offset:336
	scratch_load_b128 v[9:12], off, off offset:352
	s_wait_loadcnt_dscnt 0x100
	v_mul_f32_e32 v173, v5, v2
	v_dual_mul_f32 v2, v6, v2 :: v_dual_mul_f32 v175, v7, v4
	s_delay_alu instid0(VALU_DEP_2) | instskip(NEXT) | instid1(VALU_DEP_2)
	v_fmac_f32_e32 v173, v6, v1
	v_fma_f32 v174, v5, v1, -v2
	v_mul_f32_e32 v1, v8, v4
	s_delay_alu instid0(VALU_DEP_4) | instskip(NEXT) | instid1(VALU_DEP_2)
	v_fmac_f32_e32 v175, v8, v3
	v_fma_f32 v176, v7, v3, -v1
	ds_load_b128 v[1:4], v21 offset:832
	ds_load_b128 v[5:8], v21 offset:848
	s_wait_loadcnt_dscnt 0x1
	v_mul_f32_e32 v177, v1, v10
	v_mul_f32_e32 v179, v3, v12
	s_delay_alu instid0(VALU_DEP_2) | instskip(NEXT) | instid1(VALU_DEP_2)
	v_fmac_f32_e32 v177, v2, v9
	v_dual_mul_f32 v2, v2, v10 :: v_dual_fmac_f32 v179, v4, v11
	s_delay_alu instid0(VALU_DEP_1) | instskip(SKIP_1) | instid1(VALU_DEP_1)
	v_fma_f32 v178, v1, v9, -v2
	v_mul_f32_e32 v1, v4, v12
	;; [unrolled: 25-line block ×3, first 2 shown]
	v_fma_f32 v188, v3, v11, -v1
	s_clause 0x1
	scratch_load_b128 v[1:4], off, off offset:400
	scratch_load_b128 v[9:12], off, off offset:416
	s_wait_loadcnt_dscnt 0x100
	v_mul_f32_e32 v189, v5, v2
	v_mul_f32_e32 v2, v6, v2
	s_delay_alu instid0(VALU_DEP_1) | instskip(SKIP_1) | instid1(VALU_DEP_1)
	v_fma_f32 v190, v5, v1, -v2
	v_add_f32_e32 v2, 0, v153
	v_add_f32_e32 v2, v2, v154
	s_delay_alu instid0(VALU_DEP_1) | instskip(NEXT) | instid1(VALU_DEP_1)
	v_add_f32_e32 v2, v2, v24
	v_add_f32_e32 v2, v2, v25
	s_delay_alu instid0(VALU_DEP_1) | instskip(SKIP_1) | instid1(VALU_DEP_2)
	v_add_f32_e32 v2, v2, v32
	v_fmac_f32_e32 v189, v6, v1
	v_add_f32_e32 v2, v2, v160
	s_delay_alu instid0(VALU_DEP_1) | instskip(NEXT) | instid1(VALU_DEP_1)
	v_add_f32_e32 v2, v2, v156
	v_dual_add_f32 v2, v2, v157 :: v_dual_mul_f32 v191, v7, v4
	s_delay_alu instid0(VALU_DEP_1) | instskip(NEXT) | instid1(VALU_DEP_1)
	v_add_f32_e32 v2, v2, v15
	v_dual_fmac_f32 v191, v8, v3 :: v_dual_add_f32 v2, v2, v18
	s_delay_alu instid0(VALU_DEP_1) | instskip(NEXT) | instid1(VALU_DEP_1)
	v_dual_mul_f32 v1, v8, v4 :: v_dual_add_f32 v2, v2, v19
	v_fma_f32 v192, v7, v3, -v1
	s_delay_alu instid0(VALU_DEP_2) | instskip(NEXT) | instid1(VALU_DEP_1)
	v_dual_add_f32 v1, 0, v22 :: v_dual_add_f32 v2, v2, v20
	v_add_f32_e32 v1, v1, v23
	s_delay_alu instid0(VALU_DEP_2) | instskip(NEXT) | instid1(VALU_DEP_2)
	v_add_f32_e32 v5, v2, v161
	v_add_f32_e32 v1, v1, v26
	s_delay_alu instid0(VALU_DEP_2) | instskip(NEXT) | instid1(VALU_DEP_2)
	v_add_f32_e32 v5, v5, v162
	;; [unrolled: 3-line block ×3, first 2 shown]
	v_add_f32_e32 v1, v1, v28
	s_delay_alu instid0(VALU_DEP_1) | instskip(NEXT) | instid1(VALU_DEP_1)
	v_add_f32_e32 v1, v1, v29
	v_add_f32_e32 v1, v1, v13
	s_delay_alu instid0(VALU_DEP_1) | instskip(SKIP_1) | instid1(VALU_DEP_1)
	v_add_f32_e32 v1, v1, v14
	v_add_f32_e32 v14, v5, v167
	v_dual_add_f32 v14, v14, v169 :: v_dual_add_f32 v1, v1, v16
	s_delay_alu instid0(VALU_DEP_1) | instskip(NEXT) | instid1(VALU_DEP_1)
	v_dual_add_f32 v14, v14, v171 :: v_dual_add_f32 v1, v1, v17
	v_add_f32_e32 v17, v14, v173
	s_delay_alu instid0(VALU_DEP_2) | instskip(NEXT) | instid1(VALU_DEP_2)
	v_add_f32_e32 v1, v1, v158
	v_add_f32_e32 v17, v17, v175
	s_delay_alu instid0(VALU_DEP_2) | instskip(NEXT) | instid1(VALU_DEP_2)
	v_add_f32_e32 v1, v1, v159
	;; [unrolled: 3-line block ×3, first 2 shown]
	v_add_f32_e32 v17, v17, v179
	s_delay_alu instid0(VALU_DEP_2) | instskip(SKIP_2) | instid1(VALU_DEP_1)
	v_add_f32_e32 v6, v1, v164
	ds_load_b128 v[1:4], v21 offset:896
	v_dual_add_f32 v23, v17, v181 :: v_dual_add_f32 v6, v6, v166
	v_add_f32_e32 v32, v23, v183
	s_delay_alu instid0(VALU_DEP_1) | instskip(NEXT) | instid1(VALU_DEP_1)
	v_add_f32_e32 v32, v32, v185
	v_dual_add_f32 v32, v32, v187 :: v_dual_add_f32 v13, v6, v168
	ds_load_b128 v[5:8], v21 offset:912
	s_wait_loadcnt_dscnt 0x1
	v_mul_f32_e32 v26, v3, v12
	v_mul_f32_e32 v12, v4, v12
	v_dual_add_f32 v32, v32, v189 :: v_dual_mul_f32 v25, v1, v10
	v_mul_f32_e32 v10, v2, v10
	s_delay_alu instid0(VALU_DEP_4) | instskip(NEXT) | instid1(VALU_DEP_4)
	v_fmac_f32_e32 v26, v4, v11
	v_fma_f32 v28, v3, v11, -v12
	s_delay_alu instid0(VALU_DEP_4) | instskip(NEXT) | instid1(VALU_DEP_4)
	v_dual_add_f32 v32, v32, v191 :: v_dual_fmac_f32 v25, v2, v9
	v_fma_f32 v27, v1, v9, -v10
	s_clause 0x1
	scratch_load_b128 v[1:4], off, off offset:432
	scratch_load_b128 v[9:12], off, off offset:448
	s_wait_loadcnt_dscnt 0x100
	v_dual_add_f32 v13, v13, v170 :: v_dual_mul_f32 v154, v7, v4
	s_delay_alu instid0(VALU_DEP_1) | instskip(SKIP_3) | instid1(VALU_DEP_4)
	v_add_f32_e32 v13, v13, v172
	v_mul_f32_e32 v153, v5, v2
	v_mul_f32_e32 v2, v6, v2
	;; [unrolled: 1-line block ×3, first 2 shown]
	v_dual_fmac_f32 v154, v8, v3 :: v_dual_add_f32 v13, v13, v174
	s_delay_alu instid0(VALU_DEP_4) | instskip(NEXT) | instid1(VALU_DEP_4)
	v_fmac_f32_e32 v153, v6, v1
	v_fma_f32 v2, v5, v1, -v2
	s_delay_alu instid0(VALU_DEP_4) | instskip(NEXT) | instid1(VALU_DEP_4)
	v_fma_f32 v3, v7, v3, -v4
	v_add_f32_e32 v18, v13, v176
	scratch_load_b128 v[13:16], off, off offset:464
	v_add_f32_e32 v18, v18, v178
	s_delay_alu instid0(VALU_DEP_1) | instskip(NEXT) | instid1(VALU_DEP_1)
	v_add_f32_e32 v18, v18, v180
	v_add_f32_e32 v22, v18, v182
	ds_load_b128 v[17:20], v21 offset:928
	s_wait_loadcnt_dscnt 0x100
	v_dual_mul_f32 v156, v17, v10 :: v_dual_add_f32 v25, v32, v25
	v_mul_f32_e32 v6, v18, v10
	v_mul_f32_e32 v4, v20, v12
	s_delay_alu instid0(VALU_DEP_3)
	v_dual_fmac_f32 v156, v18, v9 :: v_dual_add_f32 v5, v25, v26
	v_add_f32_e32 v29, v22, v184
	ds_load_b128 v[21:24], v21 offset:944
	v_fma_f32 v4, v19, v11, -v4
	v_add_f32_e32 v29, v29, v186
	s_wait_loadcnt_dscnt 0x0
	v_mul_f32_e32 v158, v21, v14
	s_delay_alu instid0(VALU_DEP_1) | instskip(SKIP_1) | instid1(VALU_DEP_1)
	v_dual_add_f32 v29, v29, v188 :: v_dual_fmac_f32 v158, v22, v13
	v_mul_f32_e32 v157, v19, v12
	v_fmac_f32_e32 v157, v20, v11
	s_delay_alu instid0(VALU_DEP_3) | instskip(NEXT) | instid1(VALU_DEP_1)
	v_add_f32_e32 v29, v29, v190
	v_add_f32_e32 v29, v29, v192
	s_delay_alu instid0(VALU_DEP_1) | instskip(SKIP_1) | instid1(VALU_DEP_2)
	v_add_f32_e32 v27, v29, v27
	v_mul_f32_e32 v29, v23, v16
	v_add_f32_e32 v1, v27, v28
	s_delay_alu instid0(VALU_DEP_2) | instskip(NEXT) | instid1(VALU_DEP_2)
	v_fmac_f32_e32 v29, v24, v15
	v_add_f32_e32 v1, v1, v2
	v_add_f32_e32 v2, v5, v153
	v_fma_f32 v5, v17, v9, -v6
	s_delay_alu instid0(VALU_DEP_2) | instskip(SKIP_1) | instid1(VALU_DEP_2)
	v_dual_add_f32 v1, v1, v3 :: v_dual_add_f32 v2, v2, v154
	v_mul_f32_e32 v3, v22, v14
	v_dual_add_f32 v1, v1, v5 :: v_dual_add_f32 v2, v2, v156
	v_mul_f32_e32 v5, v24, v16
	s_delay_alu instid0(VALU_DEP_3) | instskip(NEXT) | instid1(VALU_DEP_3)
	v_fma_f32 v3, v21, v13, -v3
	v_dual_add_f32 v1, v1, v4 :: v_dual_add_f32 v2, v2, v157
	s_delay_alu instid0(VALU_DEP_3) | instskip(NEXT) | instid1(VALU_DEP_2)
	v_fma_f32 v4, v23, v15, -v5
	v_dual_add_f32 v1, v1, v3 :: v_dual_add_f32 v2, v2, v158
	s_delay_alu instid0(VALU_DEP_1) | instskip(NEXT) | instid1(VALU_DEP_1)
	v_dual_add_f32 v1, v1, v4 :: v_dual_add_f32 v2, v2, v29
	v_dual_sub_f32 v1, v30, v1 :: v_dual_sub_f32 v2, v31, v2
	scratch_store_b64 off, v[1:2], off offset:184
	v_cmpx_lt_u32_e32 22, v0
	s_cbranch_execz .LBB59_329
; %bb.328:
	scratch_load_b64 v[1:2], off, off offset:176
	v_mov_b32_e32 v3, 0
	s_delay_alu instid0(VALU_DEP_1)
	v_mov_b32_e32 v4, v3
	scratch_store_b64 off, v[3:4], off offset:176
	s_wait_loadcnt 0x0
	ds_store_b64 v155, v[1:2]
.LBB59_329:
	s_wait_alu 0xfffe
	s_or_b32 exec_lo, exec_lo, s0
	s_wait_storecnt_dscnt 0x0
	s_barrier_signal -1
	s_barrier_wait -1
	global_inv scope:SCOPE_SE
	s_clause 0x4
	scratch_load_b128 v[5:8], off, off offset:184
	scratch_load_b128 v[1:4], off, off offset:200
	;; [unrolled: 1-line block ×5, first 2 shown]
	v_mov_b32_e32 v21, 0
	ds_load_2addr_b64 v[22:25], v21 offset0:83 offset1:84
	ds_load_2addr_b64 v[26:29], v21 offset0:85 offset1:86
	;; [unrolled: 1-line block ×3, first 2 shown]
	scratch_load_b64 v[30:31], off, off offset:176
	s_mov_b32 s0, exec_lo
	s_wait_loadcnt_dscnt 0x502
	v_mul_f32_e32 v32, v23, v6
	v_dual_mul_f32 v153, v22, v6 :: v_dual_mul_f32 v154, v24, v8
	v_mul_f32_e32 v6, v25, v8
	s_wait_loadcnt_dscnt 0x300
	v_mul_f32_e32 v160, v158, v12
	v_fma_f32 v22, v22, v5, -v32
	v_dual_fmac_f32 v153, v23, v5 :: v_dual_fmac_f32 v154, v25, v7
	v_mul_f32_e32 v25, v28, v4
	v_fma_f32 v23, v24, v7, -v6
	ds_load_2addr_b64 v[5:8], v21 offset0:89 offset1:90
	v_mul_f32_e32 v24, v26, v2
	v_mul_f32_e32 v4, v29, v4
	;; [unrolled: 1-line block ×5, first 2 shown]
	v_dual_mul_f32 v2, v27, v2 :: v_dual_fmac_f32 v25, v29, v3
	v_fmac_f32_e32 v24, v27, v1
	v_fma_f32 v27, v28, v3, -v4
	v_fmac_f32_e32 v32, v157, v9
	v_fma_f32 v28, v156, v9, -v10
	;; [unrolled: 2-line block ×3, first 2 shown]
	ds_load_2addr_b64 v[9:12], v21 offset0:91 offset1:92
	s_wait_loadcnt_dscnt 0x201
	v_dual_mul_f32 v157, v7, v16 :: v_dual_mul_f32 v156, v5, v14
	v_mul_f32_e32 v14, v6, v14
	v_mul_f32_e32 v16, v8, v16
	s_delay_alu instid0(VALU_DEP_3)
	v_fmac_f32_e32 v157, v8, v15
	v_fma_f32 v26, v26, v1, -v2
	scratch_load_b128 v[1:4], off, off offset:264
	v_fmac_f32_e32 v156, v6, v13
	v_fma_f32 v13, v5, v13, -v14
	v_fma_f32 v14, v7, v15, -v16
	ds_load_2addr_b64 v[5:8], v21 offset0:93 offset1:94
	s_wait_loadcnt_dscnt 0x201
	v_mul_f32_e32 v15, v9, v18
	v_mul_f32_e32 v16, v10, v18
	;; [unrolled: 1-line block ×3, first 2 shown]
	s_delay_alu instid0(VALU_DEP_3) | instskip(NEXT) | instid1(VALU_DEP_3)
	v_dual_mul_f32 v20, v12, v20 :: v_dual_fmac_f32 v15, v10, v17
	v_fma_f32 v16, v9, v17, -v16
	s_delay_alu instid0(VALU_DEP_3) | instskip(NEXT) | instid1(VALU_DEP_3)
	v_fmac_f32_e32 v18, v12, v19
	v_fma_f32 v17, v11, v19, -v20
	scratch_load_b128 v[9:12], off, off offset:280
	s_wait_loadcnt_dscnt 0x100
	v_mul_f32_e32 v19, v5, v2
	v_mul_f32_e32 v2, v6, v2
	;; [unrolled: 1-line block ×3, first 2 shown]
	s_delay_alu instid0(VALU_DEP_3) | instskip(NEXT) | instid1(VALU_DEP_3)
	v_dual_mul_f32 v4, v8, v4 :: v_dual_fmac_f32 v19, v6, v1
	v_fma_f32 v158, v5, v1, -v2
	s_delay_alu instid0(VALU_DEP_3) | instskip(NEXT) | instid1(VALU_DEP_3)
	v_fmac_f32_e32 v20, v8, v3
	v_fma_f32 v159, v7, v3, -v4
	ds_load_2addr_b64 v[1:4], v21 offset0:95 offset1:96
	ds_load_2addr_b64 v[5:8], v21 offset0:97 offset1:98
	s_wait_loadcnt_dscnt 0x1
	v_mul_f32_e32 v161, v1, v10
	v_mul_f32_e32 v10, v2, v10
	s_delay_alu instid0(VALU_DEP_2) | instskip(NEXT) | instid1(VALU_DEP_2)
	v_dual_mul_f32 v162, v3, v12 :: v_dual_fmac_f32 v161, v2, v9
	v_fma_f32 v163, v1, v9, -v10
	v_mul_f32_e32 v1, v4, v12
	s_delay_alu instid0(VALU_DEP_3) | instskip(NEXT) | instid1(VALU_DEP_2)
	v_fmac_f32_e32 v162, v4, v11
	v_fma_f32 v164, v3, v11, -v1
	s_clause 0x1
	scratch_load_b128 v[1:4], off, off offset:296
	scratch_load_b128 v[9:12], off, off offset:312
	s_wait_loadcnt_dscnt 0x100
	v_mul_f32_e32 v165, v5, v2
	v_dual_mul_f32 v2, v6, v2 :: v_dual_mul_f32 v167, v7, v4
	s_delay_alu instid0(VALU_DEP_2) | instskip(NEXT) | instid1(VALU_DEP_2)
	v_fmac_f32_e32 v165, v6, v1
	v_fma_f32 v166, v5, v1, -v2
	v_mul_f32_e32 v1, v8, v4
	s_delay_alu instid0(VALU_DEP_4) | instskip(NEXT) | instid1(VALU_DEP_2)
	v_fmac_f32_e32 v167, v8, v3
	v_fma_f32 v168, v7, v3, -v1
	ds_load_2addr_b64 v[1:4], v21 offset0:99 offset1:100
	ds_load_2addr_b64 v[5:8], v21 offset0:101 offset1:102
	s_wait_loadcnt_dscnt 0x1
	v_mul_f32_e32 v169, v1, v10
	v_mul_f32_e32 v171, v3, v12
	s_delay_alu instid0(VALU_DEP_2) | instskip(NEXT) | instid1(VALU_DEP_2)
	v_fmac_f32_e32 v169, v2, v9
	v_dual_mul_f32 v2, v2, v10 :: v_dual_fmac_f32 v171, v4, v11
	s_delay_alu instid0(VALU_DEP_1) | instskip(SKIP_1) | instid1(VALU_DEP_1)
	v_fma_f32 v170, v1, v9, -v2
	v_mul_f32_e32 v1, v4, v12
	v_fma_f32 v172, v3, v11, -v1
	s_clause 0x1
	scratch_load_b128 v[1:4], off, off offset:328
	scratch_load_b128 v[9:12], off, off offset:344
	s_wait_loadcnt_dscnt 0x100
	v_mul_f32_e32 v173, v5, v2
	v_dual_mul_f32 v2, v6, v2 :: v_dual_mul_f32 v175, v7, v4
	s_delay_alu instid0(VALU_DEP_2) | instskip(NEXT) | instid1(VALU_DEP_2)
	v_fmac_f32_e32 v173, v6, v1
	v_fma_f32 v174, v5, v1, -v2
	v_mul_f32_e32 v1, v8, v4
	s_delay_alu instid0(VALU_DEP_4) | instskip(NEXT) | instid1(VALU_DEP_2)
	v_fmac_f32_e32 v175, v8, v3
	v_fma_f32 v176, v7, v3, -v1
	ds_load_2addr_b64 v[1:4], v21 offset0:103 offset1:104
	ds_load_2addr_b64 v[5:8], v21 offset0:105 offset1:106
	s_wait_loadcnt_dscnt 0x1
	v_mul_f32_e32 v177, v1, v10
	v_mul_f32_e32 v179, v3, v12
	s_delay_alu instid0(VALU_DEP_2) | instskip(NEXT) | instid1(VALU_DEP_2)
	v_fmac_f32_e32 v177, v2, v9
	v_dual_mul_f32 v2, v2, v10 :: v_dual_fmac_f32 v179, v4, v11
	s_delay_alu instid0(VALU_DEP_1) | instskip(SKIP_1) | instid1(VALU_DEP_1)
	v_fma_f32 v178, v1, v9, -v2
	v_mul_f32_e32 v1, v4, v12
	v_fma_f32 v180, v3, v11, -v1
	s_clause 0x1
	scratch_load_b128 v[1:4], off, off offset:360
	scratch_load_b128 v[9:12], off, off offset:376
	s_wait_loadcnt_dscnt 0x100
	v_mul_f32_e32 v181, v5, v2
	v_dual_mul_f32 v2, v6, v2 :: v_dual_mul_f32 v183, v7, v4
	s_delay_alu instid0(VALU_DEP_2) | instskip(NEXT) | instid1(VALU_DEP_2)
	v_fmac_f32_e32 v181, v6, v1
	v_fma_f32 v182, v5, v1, -v2
	v_mul_f32_e32 v1, v8, v4
	s_delay_alu instid0(VALU_DEP_4) | instskip(NEXT) | instid1(VALU_DEP_2)
	v_fmac_f32_e32 v183, v8, v3
	v_fma_f32 v184, v7, v3, -v1
	ds_load_2addr_b64 v[1:4], v21 offset0:107 offset1:108
	ds_load_2addr_b64 v[5:8], v21 offset0:109 offset1:110
	s_wait_loadcnt_dscnt 0x1
	v_mul_f32_e32 v185, v1, v10
	v_mul_f32_e32 v187, v3, v12
	s_delay_alu instid0(VALU_DEP_2) | instskip(NEXT) | instid1(VALU_DEP_2)
	v_fmac_f32_e32 v185, v2, v9
	v_dual_mul_f32 v2, v2, v10 :: v_dual_fmac_f32 v187, v4, v11
	s_delay_alu instid0(VALU_DEP_1) | instskip(SKIP_1) | instid1(VALU_DEP_1)
	v_fma_f32 v186, v1, v9, -v2
	v_mul_f32_e32 v1, v4, v12
	v_fma_f32 v188, v3, v11, -v1
	s_clause 0x1
	scratch_load_b128 v[1:4], off, off offset:392
	scratch_load_b128 v[9:12], off, off offset:408
	s_wait_loadcnt_dscnt 0x100
	v_mul_f32_e32 v189, v5, v2
	v_mul_f32_e32 v2, v6, v2
	s_delay_alu instid0(VALU_DEP_1) | instskip(SKIP_1) | instid1(VALU_DEP_1)
	v_fma_f32 v190, v5, v1, -v2
	v_add_f32_e32 v2, 0, v153
	v_add_f32_e32 v2, v2, v154
	s_delay_alu instid0(VALU_DEP_1) | instskip(NEXT) | instid1(VALU_DEP_1)
	v_add_f32_e32 v2, v2, v24
	v_add_f32_e32 v2, v2, v25
	s_delay_alu instid0(VALU_DEP_1) | instskip(SKIP_1) | instid1(VALU_DEP_2)
	v_add_f32_e32 v2, v2, v32
	v_fmac_f32_e32 v189, v6, v1
	v_add_f32_e32 v2, v2, v160
	s_delay_alu instid0(VALU_DEP_1) | instskip(NEXT) | instid1(VALU_DEP_1)
	v_add_f32_e32 v2, v2, v156
	v_dual_add_f32 v2, v2, v157 :: v_dual_mul_f32 v191, v7, v4
	s_delay_alu instid0(VALU_DEP_1) | instskip(NEXT) | instid1(VALU_DEP_1)
	v_add_f32_e32 v2, v2, v15
	v_dual_fmac_f32 v191, v8, v3 :: v_dual_add_f32 v2, v2, v18
	s_delay_alu instid0(VALU_DEP_1) | instskip(NEXT) | instid1(VALU_DEP_1)
	v_dual_mul_f32 v1, v8, v4 :: v_dual_add_f32 v2, v2, v19
	v_fma_f32 v192, v7, v3, -v1
	s_delay_alu instid0(VALU_DEP_2) | instskip(NEXT) | instid1(VALU_DEP_1)
	v_dual_add_f32 v1, 0, v22 :: v_dual_add_f32 v2, v2, v20
	v_add_f32_e32 v1, v1, v23
	s_delay_alu instid0(VALU_DEP_1) | instskip(NEXT) | instid1(VALU_DEP_1)
	v_add_f32_e32 v1, v1, v26
	v_add_f32_e32 v1, v1, v27
	scratch_load_b64 v[26:27], off, off offset:472
	v_add_f32_e32 v1, v1, v28
	s_delay_alu instid0(VALU_DEP_1) | instskip(NEXT) | instid1(VALU_DEP_1)
	v_add_f32_e32 v1, v1, v29
	v_add_f32_e32 v1, v1, v13
	s_delay_alu instid0(VALU_DEP_1) | instskip(NEXT) | instid1(VALU_DEP_1)
	v_add_f32_e32 v1, v1, v14
	;; [unrolled: 3-line block ×7, first 2 shown]
	v_add_f32_e32 v13, v13, v174
	v_add_f32_e32 v5, v2, v161
	ds_load_2addr_b64 v[1:4], v21 offset0:111 offset1:112
	v_add_f32_e32 v18, v13, v176
	v_add_f32_e32 v5, v5, v162
	s_delay_alu instid0(VALU_DEP_1) | instskip(NEXT) | instid1(VALU_DEP_1)
	v_dual_add_f32 v18, v18, v178 :: v_dual_add_f32 v5, v5, v165
	v_add_f32_e32 v18, v18, v180
	s_delay_alu instid0(VALU_DEP_2)
	v_add_f32_e32 v14, v5, v167
	ds_load_2addr_b64 v[5:8], v21 offset0:113 offset1:114
	v_add_f32_e32 v18, v18, v182
	v_add_f32_e32 v14, v14, v169
	s_wait_loadcnt_dscnt 0x101
	v_mul_f32_e32 v32, v1, v10
	v_mul_f32_e32 v10, v2, v10
	v_add_f32_e32 v18, v18, v184
	v_add_f32_e32 v14, v14, v171
	s_delay_alu instid0(VALU_DEP_4) | instskip(NEXT) | instid1(VALU_DEP_4)
	v_fmac_f32_e32 v32, v2, v9
	v_fma_f32 v154, v1, v9, -v10
	s_delay_alu instid0(VALU_DEP_4) | instskip(NEXT) | instid1(VALU_DEP_1)
	v_add_f32_e32 v28, v18, v186
	v_add_f32_e32 v157, v28, v188
	s_delay_alu instid0(VALU_DEP_1) | instskip(NEXT) | instid1(VALU_DEP_1)
	v_add_f32_e32 v157, v157, v190
	v_add_f32_e32 v157, v157, v192
	;; [unrolled: 1-line block ×3, first 2 shown]
	scratch_load_b128 v[13:16], off, off offset:456
	v_add_f32_e32 v154, v157, v154
	v_add_f32_e32 v17, v17, v175
	s_delay_alu instid0(VALU_DEP_1) | instskip(NEXT) | instid1(VALU_DEP_1)
	v_add_f32_e32 v17, v17, v177
	v_add_f32_e32 v17, v17, v179
	s_delay_alu instid0(VALU_DEP_1) | instskip(NEXT) | instid1(VALU_DEP_1)
	v_add_f32_e32 v17, v17, v181
	v_add_f32_e32 v22, v17, v183
	ds_load_2addr_b64 v[17:20], v21 offset0:115 offset1:116
	v_add_f32_e32 v29, v22, v185
	v_mul_f32_e32 v153, v3, v12
	v_mul_f32_e32 v12, v4, v12
	ds_load_2addr_b64 v[22:25], v21 offset0:117 offset1:118
	v_add_f32_e32 v158, v29, v187
	v_fmac_f32_e32 v153, v4, v11
	v_fma_f32 v156, v3, v11, -v12
	s_clause 0x1
	scratch_load_b128 v[1:4], off, off offset:424
	scratch_load_b128 v[9:12], off, off offset:440
	v_add_f32_e32 v158, v158, v189
	ds_load_b64 v[28:29], v21 offset:952
	v_add_f32_e32 v154, v154, v156
	v_add_f32_e32 v158, v158, v191
	s_delay_alu instid0(VALU_DEP_1) | instskip(SKIP_2) | instid1(VALU_DEP_1)
	v_add_f32_e32 v32, v158, v32
	s_wait_loadcnt_dscnt 0x201
	v_dual_mul_f32 v156, v24, v16 :: v_dual_mul_f32 v161, v22, v14
	v_dual_fmac_f32 v156, v25, v15 :: v_dual_fmac_f32 v161, v23, v13
	s_wait_loadcnt 0x1
	v_mul_f32_e32 v160, v7, v4
	v_mul_f32_e32 v4, v8, v4
	v_add_f32_e32 v32, v32, v153
	s_wait_loadcnt 0x0
	v_dual_mul_f32 v158, v19, v12 :: v_dual_mul_f32 v157, v17, v10
	v_dual_fmac_f32 v160, v8, v3 :: v_dual_mul_f32 v159, v5, v2
	v_mul_f32_e32 v2, v6, v2
	s_delay_alu instid0(VALU_DEP_3) | instskip(NEXT) | instid1(VALU_DEP_3)
	v_dual_fmac_f32 v158, v20, v11 :: v_dual_fmac_f32 v157, v18, v9
	v_fmac_f32_e32 v159, v6, v1
	s_delay_alu instid0(VALU_DEP_3) | instskip(SKIP_1) | instid1(VALU_DEP_3)
	v_fma_f32 v2, v5, v1, -v2
	v_fma_f32 v1, v7, v3, -v4
	v_dual_mul_f32 v3, v18, v10 :: v_dual_add_f32 v4, v32, v159
	s_delay_alu instid0(VALU_DEP_3) | instskip(NEXT) | instid1(VALU_DEP_2)
	v_add_f32_e32 v2, v154, v2
	v_fma_f32 v3, v17, v9, -v3
	s_delay_alu instid0(VALU_DEP_2) | instskip(SKIP_2) | instid1(VALU_DEP_2)
	v_dual_add_f32 v1, v2, v1 :: v_dual_add_f32 v2, v4, v160
	s_wait_dscnt 0x0
	v_dual_mul_f32 v153, v28, v27 :: v_dual_mul_f32 v4, v23, v14
	v_dual_add_f32 v2, v2, v157 :: v_dual_mul_f32 v5, v20, v12
	s_delay_alu instid0(VALU_DEP_2) | instskip(NEXT) | instid1(VALU_DEP_3)
	v_fma_f32 v4, v22, v13, -v4
	v_fmac_f32_e32 v153, v29, v26
	s_delay_alu instid0(VALU_DEP_3) | instskip(NEXT) | instid1(VALU_DEP_4)
	v_add_f32_e32 v2, v2, v158
	v_fma_f32 v5, v19, v11, -v5
	s_delay_alu instid0(VALU_DEP_2) | instskip(NEXT) | instid1(VALU_DEP_1)
	v_dual_add_f32 v1, v1, v3 :: v_dual_add_f32 v2, v2, v161
	v_add_f32_e32 v1, v1, v5
	s_delay_alu instid0(VALU_DEP_2) | instskip(SKIP_1) | instid1(VALU_DEP_3)
	v_dual_mul_f32 v5, v29, v27 :: v_dual_add_f32 v2, v2, v156
	v_mul_f32_e32 v3, v25, v16
	v_add_f32_e32 v1, v1, v4
	s_delay_alu instid0(VALU_DEP_3) | instskip(NEXT) | instid1(VALU_DEP_4)
	v_fma_f32 v4, v28, v26, -v5
	v_add_f32_e32 v2, v2, v153
	s_delay_alu instid0(VALU_DEP_4) | instskip(NEXT) | instid1(VALU_DEP_1)
	v_fma_f32 v3, v24, v15, -v3
	v_dual_sub_f32 v2, v31, v2 :: v_dual_add_f32 v1, v1, v3
	s_delay_alu instid0(VALU_DEP_1) | instskip(NEXT) | instid1(VALU_DEP_1)
	v_add_f32_e32 v1, v1, v4
	v_sub_f32_e32 v1, v30, v1
	scratch_store_b64 off, v[1:2], off offset:176
	v_cmpx_lt_u32_e32 21, v0
	s_cbranch_execz .LBB59_331
; %bb.330:
	scratch_load_b64 v[1:2], off, off offset:168
	v_mov_b32_e32 v22, v21
	scratch_store_b64 off, v[21:22], off offset:168
	s_wait_loadcnt 0x0
	ds_store_b64 v155, v[1:2]
.LBB59_331:
	s_wait_alu 0xfffe
	s_or_b32 exec_lo, exec_lo, s0
	s_wait_storecnt_dscnt 0x0
	s_barrier_signal -1
	s_barrier_wait -1
	global_inv scope:SCOPE_SE
	s_clause 0x4
	scratch_load_b128 v[5:8], off, off offset:176
	scratch_load_b128 v[1:4], off, off offset:192
	;; [unrolled: 1-line block ×5, first 2 shown]
	ds_load_b128 v[22:25], v21 offset:656
	ds_load_b128 v[26:29], v21 offset:672
	ds_load_b128 v[156:159], v21 offset:688
	scratch_load_b64 v[30:31], off, off offset:168
	s_mov_b32 s0, exec_lo
	s_wait_loadcnt_dscnt 0x502
	v_mul_f32_e32 v32, v23, v6
	v_dual_mul_f32 v153, v22, v6 :: v_dual_mul_f32 v154, v24, v8
	v_mul_f32_e32 v6, v25, v8
	s_wait_loadcnt_dscnt 0x300
	v_mul_f32_e32 v160, v158, v12
	v_mul_f32_e32 v12, v159, v12
	v_dual_fmac_f32 v153, v23, v5 :: v_dual_fmac_f32 v154, v25, v7
	v_fma_f32 v23, v24, v7, -v6
	v_mul_f32_e32 v25, v28, v4
	v_fma_f32 v22, v22, v5, -v32
	ds_load_b128 v[5:8], v21 offset:704
	v_mul_f32_e32 v24, v26, v2
	v_mul_f32_e32 v4, v29, v4
	;; [unrolled: 1-line block ×4, first 2 shown]
	v_dual_mul_f32 v2, v27, v2 :: v_dual_fmac_f32 v25, v29, v3
	v_fmac_f32_e32 v24, v27, v1
	v_fma_f32 v27, v28, v3, -v4
	v_fmac_f32_e32 v32, v157, v9
	v_fma_f32 v28, v156, v9, -v10
	;; [unrolled: 2-line block ×3, first 2 shown]
	ds_load_b128 v[9:12], v21 offset:720
	s_wait_loadcnt_dscnt 0x201
	v_dual_mul_f32 v157, v7, v16 :: v_dual_mul_f32 v156, v5, v14
	v_mul_f32_e32 v14, v6, v14
	v_mul_f32_e32 v16, v8, v16
	s_delay_alu instid0(VALU_DEP_3)
	v_fmac_f32_e32 v157, v8, v15
	v_fma_f32 v26, v26, v1, -v2
	scratch_load_b128 v[1:4], off, off offset:256
	v_fmac_f32_e32 v156, v6, v13
	v_fma_f32 v13, v5, v13, -v14
	v_fma_f32 v14, v7, v15, -v16
	ds_load_b128 v[5:8], v21 offset:736
	s_wait_loadcnt_dscnt 0x201
	v_mul_f32_e32 v15, v9, v18
	v_mul_f32_e32 v16, v10, v18
	;; [unrolled: 1-line block ×3, first 2 shown]
	s_delay_alu instid0(VALU_DEP_3) | instskip(NEXT) | instid1(VALU_DEP_3)
	v_dual_mul_f32 v20, v12, v20 :: v_dual_fmac_f32 v15, v10, v17
	v_fma_f32 v16, v9, v17, -v16
	s_delay_alu instid0(VALU_DEP_3) | instskip(NEXT) | instid1(VALU_DEP_3)
	v_fmac_f32_e32 v18, v12, v19
	v_fma_f32 v17, v11, v19, -v20
	scratch_load_b128 v[9:12], off, off offset:272
	s_wait_loadcnt_dscnt 0x100
	v_mul_f32_e32 v19, v5, v2
	v_mul_f32_e32 v2, v6, v2
	;; [unrolled: 1-line block ×3, first 2 shown]
	s_delay_alu instid0(VALU_DEP_3) | instskip(NEXT) | instid1(VALU_DEP_3)
	v_dual_mul_f32 v4, v8, v4 :: v_dual_fmac_f32 v19, v6, v1
	v_fma_f32 v158, v5, v1, -v2
	s_delay_alu instid0(VALU_DEP_3) | instskip(NEXT) | instid1(VALU_DEP_3)
	v_fmac_f32_e32 v20, v8, v3
	v_fma_f32 v159, v7, v3, -v4
	ds_load_b128 v[1:4], v21 offset:752
	ds_load_b128 v[5:8], v21 offset:768
	s_wait_loadcnt_dscnt 0x1
	v_mul_f32_e32 v161, v1, v10
	v_mul_f32_e32 v10, v2, v10
	s_delay_alu instid0(VALU_DEP_2) | instskip(NEXT) | instid1(VALU_DEP_2)
	v_dual_mul_f32 v162, v3, v12 :: v_dual_fmac_f32 v161, v2, v9
	v_fma_f32 v163, v1, v9, -v10
	v_mul_f32_e32 v1, v4, v12
	s_delay_alu instid0(VALU_DEP_3) | instskip(NEXT) | instid1(VALU_DEP_2)
	v_fmac_f32_e32 v162, v4, v11
	v_fma_f32 v164, v3, v11, -v1
	s_clause 0x1
	scratch_load_b128 v[1:4], off, off offset:288
	scratch_load_b128 v[9:12], off, off offset:304
	s_wait_loadcnt_dscnt 0x100
	v_mul_f32_e32 v165, v5, v2
	v_dual_mul_f32 v2, v6, v2 :: v_dual_mul_f32 v167, v7, v4
	s_delay_alu instid0(VALU_DEP_2) | instskip(NEXT) | instid1(VALU_DEP_2)
	v_fmac_f32_e32 v165, v6, v1
	v_fma_f32 v166, v5, v1, -v2
	v_mul_f32_e32 v1, v8, v4
	s_delay_alu instid0(VALU_DEP_4) | instskip(NEXT) | instid1(VALU_DEP_2)
	v_fmac_f32_e32 v167, v8, v3
	v_fma_f32 v168, v7, v3, -v1
	ds_load_b128 v[1:4], v21 offset:784
	ds_load_b128 v[5:8], v21 offset:800
	s_wait_loadcnt_dscnt 0x1
	v_mul_f32_e32 v169, v1, v10
	v_mul_f32_e32 v171, v3, v12
	s_delay_alu instid0(VALU_DEP_2) | instskip(NEXT) | instid1(VALU_DEP_2)
	v_fmac_f32_e32 v169, v2, v9
	v_dual_mul_f32 v2, v2, v10 :: v_dual_fmac_f32 v171, v4, v11
	s_delay_alu instid0(VALU_DEP_1) | instskip(SKIP_1) | instid1(VALU_DEP_1)
	v_fma_f32 v170, v1, v9, -v2
	v_mul_f32_e32 v1, v4, v12
	v_fma_f32 v172, v3, v11, -v1
	s_clause 0x1
	scratch_load_b128 v[1:4], off, off offset:320
	scratch_load_b128 v[9:12], off, off offset:336
	s_wait_loadcnt_dscnt 0x100
	v_mul_f32_e32 v173, v5, v2
	v_dual_mul_f32 v2, v6, v2 :: v_dual_mul_f32 v175, v7, v4
	s_delay_alu instid0(VALU_DEP_2) | instskip(NEXT) | instid1(VALU_DEP_2)
	v_fmac_f32_e32 v173, v6, v1
	v_fma_f32 v174, v5, v1, -v2
	v_mul_f32_e32 v1, v8, v4
	s_delay_alu instid0(VALU_DEP_4) | instskip(NEXT) | instid1(VALU_DEP_2)
	v_fmac_f32_e32 v175, v8, v3
	v_fma_f32 v176, v7, v3, -v1
	ds_load_b128 v[1:4], v21 offset:816
	ds_load_b128 v[5:8], v21 offset:832
	s_wait_loadcnt_dscnt 0x1
	v_mul_f32_e32 v177, v1, v10
	v_mul_f32_e32 v179, v3, v12
	s_delay_alu instid0(VALU_DEP_2) | instskip(NEXT) | instid1(VALU_DEP_2)
	v_fmac_f32_e32 v177, v2, v9
	v_dual_mul_f32 v2, v2, v10 :: v_dual_fmac_f32 v179, v4, v11
	s_delay_alu instid0(VALU_DEP_1) | instskip(SKIP_1) | instid1(VALU_DEP_1)
	v_fma_f32 v178, v1, v9, -v2
	v_mul_f32_e32 v1, v4, v12
	;; [unrolled: 25-line block ×3, first 2 shown]
	v_fma_f32 v188, v3, v11, -v1
	s_clause 0x1
	scratch_load_b128 v[1:4], off, off offset:384
	scratch_load_b128 v[9:12], off, off offset:400
	s_wait_loadcnt_dscnt 0x100
	v_mul_f32_e32 v189, v5, v2
	v_mul_f32_e32 v2, v6, v2
	s_delay_alu instid0(VALU_DEP_1) | instskip(SKIP_1) | instid1(VALU_DEP_1)
	v_fma_f32 v190, v5, v1, -v2
	v_add_f32_e32 v2, 0, v153
	v_add_f32_e32 v2, v2, v154
	s_delay_alu instid0(VALU_DEP_1) | instskip(NEXT) | instid1(VALU_DEP_1)
	v_add_f32_e32 v2, v2, v24
	v_add_f32_e32 v2, v2, v25
	s_delay_alu instid0(VALU_DEP_1) | instskip(SKIP_1) | instid1(VALU_DEP_2)
	v_add_f32_e32 v2, v2, v32
	v_fmac_f32_e32 v189, v6, v1
	v_add_f32_e32 v2, v2, v160
	s_delay_alu instid0(VALU_DEP_1) | instskip(NEXT) | instid1(VALU_DEP_1)
	v_add_f32_e32 v2, v2, v156
	v_dual_add_f32 v2, v2, v157 :: v_dual_mul_f32 v191, v7, v4
	s_delay_alu instid0(VALU_DEP_1) | instskip(NEXT) | instid1(VALU_DEP_1)
	v_add_f32_e32 v2, v2, v15
	v_dual_fmac_f32 v191, v8, v3 :: v_dual_add_f32 v2, v2, v18
	s_delay_alu instid0(VALU_DEP_1) | instskip(NEXT) | instid1(VALU_DEP_1)
	v_dual_mul_f32 v1, v8, v4 :: v_dual_add_f32 v2, v2, v19
	v_fma_f32 v192, v7, v3, -v1
	s_delay_alu instid0(VALU_DEP_2) | instskip(NEXT) | instid1(VALU_DEP_1)
	v_dual_add_f32 v1, 0, v22 :: v_dual_add_f32 v2, v2, v20
	v_dual_add_f32 v1, v1, v23 :: v_dual_add_f32 v2, v2, v161
	s_delay_alu instid0(VALU_DEP_1) | instskip(NEXT) | instid1(VALU_DEP_2)
	v_add_f32_e32 v1, v1, v26
	v_add_f32_e32 v5, v2, v162
	s_delay_alu instid0(VALU_DEP_2) | instskip(NEXT) | instid1(VALU_DEP_1)
	v_add_f32_e32 v1, v1, v27
	v_add_f32_e32 v1, v1, v28
	s_delay_alu instid0(VALU_DEP_1) | instskip(NEXT) | instid1(VALU_DEP_1)
	v_add_f32_e32 v1, v1, v29
	v_add_f32_e32 v1, v1, v13
	v_add_f32_e32 v13, v5, v165
	s_delay_alu instid0(VALU_DEP_2) | instskip(NEXT) | instid1(VALU_DEP_2)
	v_add_f32_e32 v1, v1, v14
	v_add_f32_e32 v13, v13, v167
	s_delay_alu instid0(VALU_DEP_1) | instskip(NEXT) | instid1(VALU_DEP_1)
	v_add_f32_e32 v13, v13, v169
	v_add_f32_e32 v18, v13, v171
	s_delay_alu instid0(VALU_DEP_1) | instskip(NEXT) | instid1(VALU_DEP_1)
	v_dual_add_f32 v1, v1, v16 :: v_dual_add_f32 v18, v18, v173
	v_dual_add_f32 v1, v1, v17 :: v_dual_add_f32 v18, v18, v175
	s_delay_alu instid0(VALU_DEP_1) | instskip(NEXT) | instid1(VALU_DEP_1)
	v_dual_add_f32 v1, v1, v158 :: v_dual_add_f32 v22, v18, v177
	v_add_f32_e32 v1, v1, v159
	s_delay_alu instid0(VALU_DEP_2) | instskip(NEXT) | instid1(VALU_DEP_2)
	v_add_f32_e32 v22, v22, v179
	v_add_f32_e32 v1, v1, v163
	s_delay_alu instid0(VALU_DEP_1) | instskip(NEXT) | instid1(VALU_DEP_1)
	v_add_f32_e32 v1, v1, v164
	v_add_f32_e32 v6, v1, v166
	ds_load_b128 v[1:4], v21 offset:880
	v_add_f32_e32 v22, v22, v181
	v_add_f32_e32 v14, v6, v168
	scratch_load_b128 v[5:8], off, off offset:416
	v_add_f32_e32 v14, v14, v170
	s_delay_alu instid0(VALU_DEP_1)
	v_add_f32_e32 v17, v14, v172
	ds_load_b128 v[13:16], v21 offset:896
	v_add_f32_e32 v17, v17, v174
	s_wait_loadcnt_dscnt 0x101
	v_mul_f32_e32 v25, v1, v10
	v_mul_f32_e32 v10, v2, v10
	;; [unrolled: 1-line block ×4, first 2 shown]
	v_add_f32_e32 v17, v17, v176
	v_fmac_f32_e32 v25, v2, v9
	v_fma_f32 v27, v1, v9, -v10
	v_fmac_f32_e32 v26, v4, v11
	v_fma_f32 v28, v3, v11, -v12
	s_clause 0x1
	scratch_load_b128 v[1:4], off, off offset:432
	scratch_load_b128 v[9:12], off, off offset:448
	s_wait_loadcnt_dscnt 0x200
	v_mul_f32_e32 v29, v13, v6
	v_mul_f32_e32 v6, v14, v6
	;; [unrolled: 1-line block ×3, first 2 shown]
	s_delay_alu instid0(VALU_DEP_3) | instskip(NEXT) | instid1(VALU_DEP_3)
	v_dual_mul_f32 v8, v16, v8 :: v_dual_fmac_f32 v29, v14, v5
	v_fma_f32 v153, v13, v5, -v6
	s_delay_alu instid0(VALU_DEP_3) | instskip(NEXT) | instid1(VALU_DEP_3)
	v_fmac_f32_e32 v32, v16, v7
	v_fma_f32 v154, v15, v7, -v8
	ds_load_b128 v[5:8], v21 offset:912
	v_add_f32_e32 v17, v17, v178
	v_add_f32_e32 v13, v22, v183
	s_delay_alu instid0(VALU_DEP_2) | instskip(SKIP_2) | instid1(VALU_DEP_1)
	v_add_f32_e32 v23, v17, v180
	scratch_load_b128 v[17:20], off, off offset:464
	v_add_f32_e32 v23, v23, v182
	v_add_f32_e32 v23, v23, v184
	s_delay_alu instid0(VALU_DEP_1)
	v_dual_add_f32 v22, v23, v186 :: v_dual_add_f32 v23, v13, v185
	ds_load_b128 v[13:16], v21 offset:928
	s_wait_loadcnt_dscnt 0x201
	v_mul_f32_e32 v158, v5, v2
	v_mul_f32_e32 v2, v6, v2
	v_add_f32_e32 v156, v22, v188
	s_delay_alu instid0(VALU_DEP_3) | instskip(NEXT) | instid1(VALU_DEP_3)
	v_fmac_f32_e32 v158, v6, v1
	v_fma_f32 v2, v5, v1, -v2
	s_delay_alu instid0(VALU_DEP_3) | instskip(NEXT) | instid1(VALU_DEP_1)
	v_add_f32_e32 v156, v156, v190
	v_add_f32_e32 v156, v156, v192
	s_delay_alu instid0(VALU_DEP_1)
	v_dual_add_f32 v27, v156, v27 :: v_dual_mul_f32 v156, v7, v4
	v_mul_f32_e32 v4, v8, v4
	s_wait_loadcnt_dscnt 0x100
	v_dual_mul_f32 v6, v14, v10 :: v_dual_add_f32 v157, v23, v187
	ds_load_b128 v[21:24], v21 offset:944
	v_fmac_f32_e32 v156, v8, v3
	v_fma_f32 v3, v7, v3, -v4
	v_dual_mul_f32 v4, v16, v12 :: v_dual_add_f32 v157, v157, v189
	v_mul_f32_e32 v159, v15, v12
	s_delay_alu instid0(VALU_DEP_2) | instskip(NEXT) | instid1(VALU_DEP_3)
	v_fma_f32 v4, v15, v11, -v4
	v_add_f32_e32 v157, v157, v191
	s_delay_alu instid0(VALU_DEP_3) | instskip(NEXT) | instid1(VALU_DEP_2)
	v_fmac_f32_e32 v159, v16, v11
	v_add_f32_e32 v25, v157, v25
	s_delay_alu instid0(VALU_DEP_1) | instskip(NEXT) | instid1(VALU_DEP_1)
	v_add_f32_e32 v25, v25, v26
	v_add_f32_e32 v25, v25, v29
	s_delay_alu instid0(VALU_DEP_1) | instskip(SKIP_2) | instid1(VALU_DEP_1)
	v_add_f32_e32 v5, v25, v32
	s_wait_loadcnt_dscnt 0x0
	v_mul_f32_e32 v26, v21, v18
	v_dual_fmac_f32 v26, v22, v17 :: v_dual_add_f32 v27, v27, v28
	v_dual_mul_f32 v28, v23, v20 :: v_dual_mul_f32 v157, v13, v10
	s_delay_alu instid0(VALU_DEP_1) | instskip(NEXT) | instid1(VALU_DEP_2)
	v_dual_add_f32 v27, v27, v153 :: v_dual_fmac_f32 v28, v24, v19
	v_fmac_f32_e32 v157, v14, v9
	s_delay_alu instid0(VALU_DEP_2) | instskip(NEXT) | instid1(VALU_DEP_1)
	v_add_f32_e32 v1, v27, v154
	v_add_f32_e32 v1, v1, v2
	;; [unrolled: 1-line block ×3, first 2 shown]
	v_fma_f32 v5, v13, v9, -v6
	s_delay_alu instid0(VALU_DEP_2) | instskip(SKIP_1) | instid1(VALU_DEP_2)
	v_dual_add_f32 v1, v1, v3 :: v_dual_add_f32 v2, v2, v156
	v_mul_f32_e32 v3, v22, v18
	v_add_f32_e32 v1, v1, v5
	s_delay_alu instid0(VALU_DEP_3) | instskip(NEXT) | instid1(VALU_DEP_3)
	v_dual_add_f32 v2, v2, v157 :: v_dual_mul_f32 v5, v24, v20
	v_fma_f32 v3, v21, v17, -v3
	s_delay_alu instid0(VALU_DEP_2) | instskip(NEXT) | instid1(VALU_DEP_3)
	v_dual_add_f32 v1, v1, v4 :: v_dual_add_f32 v2, v2, v159
	v_fma_f32 v4, v23, v19, -v5
	s_delay_alu instid0(VALU_DEP_2) | instskip(NEXT) | instid1(VALU_DEP_1)
	v_dual_add_f32 v1, v1, v3 :: v_dual_add_f32 v2, v2, v26
	v_add_f32_e32 v1, v1, v4
	s_delay_alu instid0(VALU_DEP_2) | instskip(NEXT) | instid1(VALU_DEP_1)
	v_add_f32_e32 v2, v2, v28
	v_dual_sub_f32 v1, v30, v1 :: v_dual_sub_f32 v2, v31, v2
	scratch_store_b64 off, v[1:2], off offset:168
	v_cmpx_lt_u32_e32 20, v0
	s_cbranch_execz .LBB59_333
; %bb.332:
	scratch_load_b64 v[1:2], off, off offset:160
	v_mov_b32_e32 v3, 0
	s_delay_alu instid0(VALU_DEP_1)
	v_mov_b32_e32 v4, v3
	scratch_store_b64 off, v[3:4], off offset:160
	s_wait_loadcnt 0x0
	ds_store_b64 v155, v[1:2]
.LBB59_333:
	s_wait_alu 0xfffe
	s_or_b32 exec_lo, exec_lo, s0
	s_wait_storecnt_dscnt 0x0
	s_barrier_signal -1
	s_barrier_wait -1
	global_inv scope:SCOPE_SE
	s_clause 0x4
	scratch_load_b128 v[5:8], off, off offset:168
	scratch_load_b128 v[1:4], off, off offset:184
	;; [unrolled: 1-line block ×5, first 2 shown]
	v_mov_b32_e32 v21, 0
	ds_load_2addr_b64 v[22:25], v21 offset0:81 offset1:82
	ds_load_2addr_b64 v[26:29], v21 offset0:83 offset1:84
	;; [unrolled: 1-line block ×3, first 2 shown]
	scratch_load_b64 v[30:31], off, off offset:160
	s_mov_b32 s0, exec_lo
	s_wait_loadcnt_dscnt 0x502
	v_mul_f32_e32 v32, v23, v6
	v_dual_mul_f32 v153, v22, v6 :: v_dual_mul_f32 v154, v24, v8
	v_mul_f32_e32 v6, v25, v8
	s_wait_loadcnt_dscnt 0x300
	v_mul_f32_e32 v160, v158, v12
	v_fma_f32 v22, v22, v5, -v32
	v_dual_fmac_f32 v153, v23, v5 :: v_dual_fmac_f32 v154, v25, v7
	v_mul_f32_e32 v25, v28, v4
	v_fma_f32 v23, v24, v7, -v6
	ds_load_2addr_b64 v[5:8], v21 offset0:87 offset1:88
	v_mul_f32_e32 v24, v26, v2
	v_mul_f32_e32 v4, v29, v4
	;; [unrolled: 1-line block ×5, first 2 shown]
	v_dual_mul_f32 v2, v27, v2 :: v_dual_fmac_f32 v25, v29, v3
	v_fmac_f32_e32 v24, v27, v1
	v_fma_f32 v27, v28, v3, -v4
	v_fmac_f32_e32 v32, v157, v9
	v_fma_f32 v28, v156, v9, -v10
	;; [unrolled: 2-line block ×3, first 2 shown]
	ds_load_2addr_b64 v[9:12], v21 offset0:89 offset1:90
	s_wait_loadcnt_dscnt 0x201
	v_dual_mul_f32 v157, v7, v16 :: v_dual_mul_f32 v156, v5, v14
	v_mul_f32_e32 v14, v6, v14
	v_mul_f32_e32 v16, v8, v16
	s_delay_alu instid0(VALU_DEP_3)
	v_fmac_f32_e32 v157, v8, v15
	v_fma_f32 v26, v26, v1, -v2
	scratch_load_b128 v[1:4], off, off offset:248
	v_fmac_f32_e32 v156, v6, v13
	v_fma_f32 v13, v5, v13, -v14
	v_fma_f32 v14, v7, v15, -v16
	ds_load_2addr_b64 v[5:8], v21 offset0:91 offset1:92
	s_wait_loadcnt_dscnt 0x201
	v_mul_f32_e32 v15, v9, v18
	v_mul_f32_e32 v16, v10, v18
	;; [unrolled: 1-line block ×3, first 2 shown]
	s_delay_alu instid0(VALU_DEP_3) | instskip(NEXT) | instid1(VALU_DEP_3)
	v_dual_mul_f32 v20, v12, v20 :: v_dual_fmac_f32 v15, v10, v17
	v_fma_f32 v16, v9, v17, -v16
	s_delay_alu instid0(VALU_DEP_3) | instskip(NEXT) | instid1(VALU_DEP_3)
	v_fmac_f32_e32 v18, v12, v19
	v_fma_f32 v17, v11, v19, -v20
	scratch_load_b128 v[9:12], off, off offset:264
	s_wait_loadcnt_dscnt 0x100
	v_mul_f32_e32 v19, v5, v2
	v_mul_f32_e32 v2, v6, v2
	v_mul_f32_e32 v20, v7, v4
	s_delay_alu instid0(VALU_DEP_3) | instskip(NEXT) | instid1(VALU_DEP_3)
	v_dual_mul_f32 v4, v8, v4 :: v_dual_fmac_f32 v19, v6, v1
	v_fma_f32 v158, v5, v1, -v2
	s_delay_alu instid0(VALU_DEP_3) | instskip(NEXT) | instid1(VALU_DEP_3)
	v_fmac_f32_e32 v20, v8, v3
	v_fma_f32 v159, v7, v3, -v4
	ds_load_2addr_b64 v[1:4], v21 offset0:93 offset1:94
	ds_load_2addr_b64 v[5:8], v21 offset0:95 offset1:96
	s_wait_loadcnt_dscnt 0x1
	v_mul_f32_e32 v161, v1, v10
	v_mul_f32_e32 v10, v2, v10
	s_delay_alu instid0(VALU_DEP_2) | instskip(NEXT) | instid1(VALU_DEP_2)
	v_dual_mul_f32 v162, v3, v12 :: v_dual_fmac_f32 v161, v2, v9
	v_fma_f32 v163, v1, v9, -v10
	v_mul_f32_e32 v1, v4, v12
	s_delay_alu instid0(VALU_DEP_3) | instskip(NEXT) | instid1(VALU_DEP_2)
	v_fmac_f32_e32 v162, v4, v11
	v_fma_f32 v164, v3, v11, -v1
	s_clause 0x1
	scratch_load_b128 v[1:4], off, off offset:280
	scratch_load_b128 v[9:12], off, off offset:296
	s_wait_loadcnt_dscnt 0x100
	v_mul_f32_e32 v165, v5, v2
	v_dual_mul_f32 v2, v6, v2 :: v_dual_mul_f32 v167, v7, v4
	s_delay_alu instid0(VALU_DEP_2) | instskip(NEXT) | instid1(VALU_DEP_2)
	v_fmac_f32_e32 v165, v6, v1
	v_fma_f32 v166, v5, v1, -v2
	v_mul_f32_e32 v1, v8, v4
	s_delay_alu instid0(VALU_DEP_4) | instskip(NEXT) | instid1(VALU_DEP_2)
	v_fmac_f32_e32 v167, v8, v3
	v_fma_f32 v168, v7, v3, -v1
	ds_load_2addr_b64 v[1:4], v21 offset0:97 offset1:98
	ds_load_2addr_b64 v[5:8], v21 offset0:99 offset1:100
	s_wait_loadcnt_dscnt 0x1
	v_mul_f32_e32 v169, v1, v10
	v_mul_f32_e32 v171, v3, v12
	s_delay_alu instid0(VALU_DEP_2) | instskip(NEXT) | instid1(VALU_DEP_2)
	v_fmac_f32_e32 v169, v2, v9
	v_dual_mul_f32 v2, v2, v10 :: v_dual_fmac_f32 v171, v4, v11
	s_delay_alu instid0(VALU_DEP_1) | instskip(SKIP_1) | instid1(VALU_DEP_1)
	v_fma_f32 v170, v1, v9, -v2
	v_mul_f32_e32 v1, v4, v12
	v_fma_f32 v172, v3, v11, -v1
	s_clause 0x1
	scratch_load_b128 v[1:4], off, off offset:312
	scratch_load_b128 v[9:12], off, off offset:328
	s_wait_loadcnt_dscnt 0x100
	v_mul_f32_e32 v173, v5, v2
	v_dual_mul_f32 v2, v6, v2 :: v_dual_mul_f32 v175, v7, v4
	s_delay_alu instid0(VALU_DEP_2) | instskip(NEXT) | instid1(VALU_DEP_2)
	v_fmac_f32_e32 v173, v6, v1
	v_fma_f32 v174, v5, v1, -v2
	v_mul_f32_e32 v1, v8, v4
	s_delay_alu instid0(VALU_DEP_4) | instskip(NEXT) | instid1(VALU_DEP_2)
	v_fmac_f32_e32 v175, v8, v3
	v_fma_f32 v176, v7, v3, -v1
	ds_load_2addr_b64 v[1:4], v21 offset0:101 offset1:102
	ds_load_2addr_b64 v[5:8], v21 offset0:103 offset1:104
	s_wait_loadcnt_dscnt 0x1
	v_mul_f32_e32 v177, v1, v10
	v_mul_f32_e32 v179, v3, v12
	s_delay_alu instid0(VALU_DEP_2) | instskip(NEXT) | instid1(VALU_DEP_2)
	v_fmac_f32_e32 v177, v2, v9
	v_dual_mul_f32 v2, v2, v10 :: v_dual_fmac_f32 v179, v4, v11
	s_delay_alu instid0(VALU_DEP_1) | instskip(SKIP_1) | instid1(VALU_DEP_1)
	v_fma_f32 v178, v1, v9, -v2
	v_mul_f32_e32 v1, v4, v12
	;; [unrolled: 25-line block ×3, first 2 shown]
	v_fma_f32 v188, v3, v11, -v1
	s_clause 0x1
	scratch_load_b128 v[1:4], off, off offset:376
	scratch_load_b128 v[9:12], off, off offset:392
	s_wait_loadcnt_dscnt 0x100
	v_mul_f32_e32 v189, v5, v2
	v_mul_f32_e32 v2, v6, v2
	s_delay_alu instid0(VALU_DEP_1) | instskip(SKIP_1) | instid1(VALU_DEP_1)
	v_fma_f32 v190, v5, v1, -v2
	v_add_f32_e32 v2, 0, v153
	v_add_f32_e32 v2, v2, v154
	s_delay_alu instid0(VALU_DEP_1) | instskip(NEXT) | instid1(VALU_DEP_1)
	v_add_f32_e32 v2, v2, v24
	v_add_f32_e32 v2, v2, v25
	s_delay_alu instid0(VALU_DEP_1) | instskip(SKIP_1) | instid1(VALU_DEP_2)
	v_add_f32_e32 v2, v2, v32
	v_fmac_f32_e32 v189, v6, v1
	v_add_f32_e32 v2, v2, v160
	s_delay_alu instid0(VALU_DEP_1) | instskip(NEXT) | instid1(VALU_DEP_1)
	v_add_f32_e32 v2, v2, v156
	v_dual_add_f32 v2, v2, v157 :: v_dual_mul_f32 v191, v7, v4
	s_delay_alu instid0(VALU_DEP_1) | instskip(NEXT) | instid1(VALU_DEP_1)
	v_add_f32_e32 v2, v2, v15
	v_dual_fmac_f32 v191, v8, v3 :: v_dual_add_f32 v2, v2, v18
	s_delay_alu instid0(VALU_DEP_1) | instskip(NEXT) | instid1(VALU_DEP_1)
	v_dual_mul_f32 v1, v8, v4 :: v_dual_add_f32 v2, v2, v19
	v_fma_f32 v192, v7, v3, -v1
	s_delay_alu instid0(VALU_DEP_2) | instskip(NEXT) | instid1(VALU_DEP_1)
	v_dual_add_f32 v1, 0, v22 :: v_dual_add_f32 v2, v2, v20
	v_dual_add_f32 v1, v1, v23 :: v_dual_add_f32 v2, v2, v161
	s_delay_alu instid0(VALU_DEP_1) | instskip(NEXT) | instid1(VALU_DEP_2)
	v_add_f32_e32 v1, v1, v26
	v_add_f32_e32 v5, v2, v162
	s_delay_alu instid0(VALU_DEP_2) | instskip(SKIP_2) | instid1(VALU_DEP_1)
	v_add_f32_e32 v1, v1, v27
	scratch_load_b64 v[26:27], off, off offset:472
	v_add_f32_e32 v1, v1, v28
	v_add_f32_e32 v1, v1, v29
	s_delay_alu instid0(VALU_DEP_1) | instskip(SKIP_1) | instid1(VALU_DEP_2)
	v_add_f32_e32 v1, v1, v13
	v_add_f32_e32 v13, v5, v165
	;; [unrolled: 1-line block ×3, first 2 shown]
	s_delay_alu instid0(VALU_DEP_2) | instskip(NEXT) | instid1(VALU_DEP_1)
	v_add_f32_e32 v13, v13, v167
	v_add_f32_e32 v13, v13, v169
	s_delay_alu instid0(VALU_DEP_1) | instskip(NEXT) | instid1(VALU_DEP_1)
	v_add_f32_e32 v18, v13, v171
	v_dual_add_f32 v1, v1, v16 :: v_dual_add_f32 v18, v18, v173
	s_delay_alu instid0(VALU_DEP_1) | instskip(NEXT) | instid1(VALU_DEP_1)
	v_dual_add_f32 v1, v1, v17 :: v_dual_add_f32 v18, v18, v175
	v_add_f32_e32 v1, v1, v158
	s_delay_alu instid0(VALU_DEP_1) | instskip(NEXT) | instid1(VALU_DEP_1)
	v_add_f32_e32 v1, v1, v159
	v_add_f32_e32 v1, v1, v163
	s_delay_alu instid0(VALU_DEP_1) | instskip(NEXT) | instid1(VALU_DEP_1)
	v_add_f32_e32 v1, v1, v164
	v_add_f32_e32 v6, v1, v166
	scratch_load_b128 v[1:4], off, off offset:408
	v_add_f32_e32 v22, v18, v177
	v_add_f32_e32 v14, v6, v168
	ds_load_2addr_b64 v[5:8], v21 offset0:109 offset1:110
	v_add_f32_e32 v22, v22, v179
	v_add_f32_e32 v14, v14, v170
	s_delay_alu instid0(VALU_DEP_2) | instskip(NEXT) | instid1(VALU_DEP_2)
	v_add_f32_e32 v22, v22, v181
	v_add_f32_e32 v17, v14, v172
	ds_load_2addr_b64 v[13:16], v21 offset0:111 offset1:112
	v_add_f32_e32 v22, v22, v183
	s_wait_loadcnt_dscnt 0x201
	v_mul_f32_e32 v32, v5, v10
	v_dual_mul_f32 v10, v6, v10 :: v_dual_mul_f32 v153, v7, v12
	v_mul_f32_e32 v12, v8, v12
	s_delay_alu instid0(VALU_DEP_3) | instskip(NEXT) | instid1(VALU_DEP_3)
	v_fmac_f32_e32 v32, v6, v9
	v_fma_f32 v154, v5, v9, -v10
	s_delay_alu instid0(VALU_DEP_4) | instskip(NEXT) | instid1(VALU_DEP_4)
	v_fmac_f32_e32 v153, v8, v11
	v_fma_f32 v156, v7, v11, -v12
	s_clause 0x1
	scratch_load_b128 v[5:8], off, off offset:424
	scratch_load_b128 v[9:12], off, off offset:440
	s_wait_loadcnt_dscnt 0x200
	v_mul_f32_e32 v157, v13, v2
	v_mul_f32_e32 v2, v14, v2
	;; [unrolled: 1-line block ×4, first 2 shown]
	s_delay_alu instid0(VALU_DEP_3) | instskip(NEXT) | instid1(VALU_DEP_3)
	v_fma_f32 v159, v13, v1, -v2
	v_dual_add_f32 v13, v22, v185 :: v_dual_fmac_f32 v158, v16, v3
	s_delay_alu instid0(VALU_DEP_3) | instskip(NEXT) | instid1(VALU_DEP_2)
	v_fma_f32 v160, v15, v3, -v4
	v_add_f32_e32 v22, v13, v187
	v_add_f32_e32 v17, v17, v174
	s_delay_alu instid0(VALU_DEP_2) | instskip(SKIP_4) | instid1(VALU_DEP_1)
	v_add_f32_e32 v29, v22, v189
	v_fmac_f32_e32 v157, v14, v1
	ds_load_2addr_b64 v[1:4], v21 offset0:113 offset1:114
	v_add_f32_e32 v17, v17, v176
	v_add_f32_e32 v162, v29, v191
	v_dual_add_f32 v17, v17, v178 :: v_dual_add_f32 v32, v162, v32
	s_delay_alu instid0(VALU_DEP_1) | instskip(SKIP_2) | instid1(VALU_DEP_1)
	v_add_f32_e32 v23, v17, v180
	scratch_load_b128 v[17:20], off, off offset:456
	v_add_f32_e32 v23, v23, v182
	v_add_f32_e32 v23, v23, v184
	s_delay_alu instid0(VALU_DEP_1) | instskip(NEXT) | instid1(VALU_DEP_1)
	v_add_f32_e32 v23, v23, v186
	v_add_f32_e32 v14, v23, v188
	ds_load_2addr_b64 v[22:25], v21 offset0:117 offset1:118
	v_add_f32_e32 v28, v14, v190
	ds_load_2addr_b64 v[13:16], v21 offset0:115 offset1:116
	v_add_f32_e32 v161, v28, v192
	ds_load_b64 v[28:29], v21 offset:952
	v_add_f32_e32 v154, v161, v154
	v_add_f32_e32 v32, v32, v153
	s_delay_alu instid0(VALU_DEP_2) | instskip(SKIP_1) | instid1(VALU_DEP_2)
	v_add_f32_e32 v154, v154, v156
	s_wait_loadcnt_dscnt 0x203
	v_dual_add_f32 v32, v32, v157 :: v_dual_mul_f32 v153, v3, v8
	v_mul_f32_e32 v8, v4, v8
	s_delay_alu instid0(VALU_DEP_3)
	v_dual_add_f32 v154, v154, v159 :: v_dual_mul_f32 v161, v1, v6
	v_mul_f32_e32 v6, v2, v6
	s_wait_loadcnt_dscnt 0x101
	v_mul_f32_e32 v156, v13, v10
	v_add_f32_e32 v32, v32, v158
	v_add_f32_e32 v154, v154, v160
	v_fmac_f32_e32 v161, v2, v5
	v_fma_f32 v1, v1, v5, -v6
	v_fma_f32 v2, v3, v7, -v8
	v_dual_fmac_f32 v156, v14, v9 :: v_dual_fmac_f32 v153, v4, v7
	s_wait_dscnt 0x0
	v_dual_mul_f32 v157, v15, v12 :: v_dual_mul_f32 v158, v28, v27
	v_dual_add_f32 v4, v32, v161 :: v_dual_mul_f32 v3, v14, v10
	s_delay_alu instid0(VALU_DEP_2) | instskip(SKIP_3) | instid1(VALU_DEP_2)
	v_dual_fmac_f32 v157, v16, v11 :: v_dual_fmac_f32 v158, v29, v26
	s_wait_loadcnt 0x0
	v_dual_mul_f32 v159, v22, v18 :: v_dual_mul_f32 v160, v24, v20
	v_add_f32_e32 v1, v154, v1
	v_dual_fmac_f32 v159, v23, v17 :: v_dual_fmac_f32 v160, v25, v19
	s_delay_alu instid0(VALU_DEP_2) | instskip(SKIP_2) | instid1(VALU_DEP_3)
	v_dual_add_f32 v1, v1, v2 :: v_dual_add_f32 v2, v4, v153
	v_fma_f32 v3, v13, v9, -v3
	v_mul_f32_e32 v4, v23, v18
	v_add_f32_e32 v2, v2, v156
	v_mul_f32_e32 v5, v16, v12
	s_delay_alu instid0(VALU_DEP_3) | instskip(NEXT) | instid1(VALU_DEP_3)
	v_fma_f32 v4, v22, v17, -v4
	v_add_f32_e32 v2, v2, v157
	s_delay_alu instid0(VALU_DEP_3) | instskip(NEXT) | instid1(VALU_DEP_2)
	v_fma_f32 v5, v15, v11, -v5
	v_add_f32_e32 v2, v2, v159
	s_delay_alu instid0(VALU_DEP_1) | instskip(NEXT) | instid1(VALU_DEP_1)
	v_dual_add_f32 v1, v1, v3 :: v_dual_add_f32 v2, v2, v160
	v_dual_mul_f32 v3, v25, v20 :: v_dual_add_f32 v2, v2, v158
	s_delay_alu instid0(VALU_DEP_2) | instskip(SKIP_1) | instid1(VALU_DEP_3)
	v_add_f32_e32 v1, v1, v5
	v_mul_f32_e32 v5, v29, v27
	v_fma_f32 v3, v24, v19, -v3
	s_delay_alu instid0(VALU_DEP_3) | instskip(NEXT) | instid1(VALU_DEP_3)
	v_dual_sub_f32 v2, v31, v2 :: v_dual_add_f32 v1, v1, v4
	v_fma_f32 v4, v28, v26, -v5
	s_delay_alu instid0(VALU_DEP_2) | instskip(NEXT) | instid1(VALU_DEP_1)
	v_add_f32_e32 v1, v1, v3
	v_add_f32_e32 v1, v1, v4
	s_delay_alu instid0(VALU_DEP_1)
	v_sub_f32_e32 v1, v30, v1
	scratch_store_b64 off, v[1:2], off offset:160
	v_cmpx_lt_u32_e32 19, v0
	s_cbranch_execz .LBB59_335
; %bb.334:
	scratch_load_b64 v[1:2], off, off offset:152
	v_mov_b32_e32 v22, v21
	scratch_store_b64 off, v[21:22], off offset:152
	s_wait_loadcnt 0x0
	ds_store_b64 v155, v[1:2]
.LBB59_335:
	s_wait_alu 0xfffe
	s_or_b32 exec_lo, exec_lo, s0
	s_wait_storecnt_dscnt 0x0
	s_barrier_signal -1
	s_barrier_wait -1
	global_inv scope:SCOPE_SE
	s_clause 0x4
	scratch_load_b128 v[5:8], off, off offset:160
	scratch_load_b128 v[1:4], off, off offset:176
	;; [unrolled: 1-line block ×5, first 2 shown]
	ds_load_b128 v[22:25], v21 offset:640
	ds_load_b128 v[26:29], v21 offset:656
	;; [unrolled: 1-line block ×3, first 2 shown]
	scratch_load_b64 v[30:31], off, off offset:152
	s_mov_b32 s0, exec_lo
	s_wait_loadcnt_dscnt 0x502
	v_mul_f32_e32 v32, v23, v6
	v_dual_mul_f32 v153, v22, v6 :: v_dual_mul_f32 v154, v24, v8
	v_mul_f32_e32 v6, v25, v8
	s_wait_loadcnt_dscnt 0x300
	v_mul_f32_e32 v160, v158, v12
	v_mul_f32_e32 v12, v159, v12
	v_dual_fmac_f32 v153, v23, v5 :: v_dual_fmac_f32 v154, v25, v7
	v_fma_f32 v23, v24, v7, -v6
	v_mul_f32_e32 v25, v28, v4
	v_fma_f32 v22, v22, v5, -v32
	ds_load_b128 v[5:8], v21 offset:688
	v_mul_f32_e32 v24, v26, v2
	v_mul_f32_e32 v4, v29, v4
	;; [unrolled: 1-line block ×4, first 2 shown]
	v_dual_mul_f32 v2, v27, v2 :: v_dual_fmac_f32 v25, v29, v3
	v_fmac_f32_e32 v24, v27, v1
	v_fma_f32 v27, v28, v3, -v4
	v_fmac_f32_e32 v32, v157, v9
	v_fma_f32 v28, v156, v9, -v10
	;; [unrolled: 2-line block ×3, first 2 shown]
	ds_load_b128 v[9:12], v21 offset:704
	s_wait_loadcnt_dscnt 0x201
	v_dual_mul_f32 v157, v7, v16 :: v_dual_mul_f32 v156, v5, v14
	v_mul_f32_e32 v14, v6, v14
	v_mul_f32_e32 v16, v8, v16
	s_delay_alu instid0(VALU_DEP_3)
	v_fmac_f32_e32 v157, v8, v15
	v_fma_f32 v26, v26, v1, -v2
	scratch_load_b128 v[1:4], off, off offset:240
	v_fmac_f32_e32 v156, v6, v13
	v_fma_f32 v13, v5, v13, -v14
	v_fma_f32 v14, v7, v15, -v16
	ds_load_b128 v[5:8], v21 offset:720
	s_wait_loadcnt_dscnt 0x201
	v_mul_f32_e32 v15, v9, v18
	v_mul_f32_e32 v16, v10, v18
	;; [unrolled: 1-line block ×3, first 2 shown]
	s_delay_alu instid0(VALU_DEP_3) | instskip(NEXT) | instid1(VALU_DEP_3)
	v_dual_mul_f32 v20, v12, v20 :: v_dual_fmac_f32 v15, v10, v17
	v_fma_f32 v16, v9, v17, -v16
	s_delay_alu instid0(VALU_DEP_3) | instskip(NEXT) | instid1(VALU_DEP_3)
	v_fmac_f32_e32 v18, v12, v19
	v_fma_f32 v17, v11, v19, -v20
	scratch_load_b128 v[9:12], off, off offset:256
	s_wait_loadcnt_dscnt 0x100
	v_mul_f32_e32 v19, v5, v2
	v_mul_f32_e32 v2, v6, v2
	;; [unrolled: 1-line block ×3, first 2 shown]
	s_delay_alu instid0(VALU_DEP_3) | instskip(NEXT) | instid1(VALU_DEP_3)
	v_dual_mul_f32 v4, v8, v4 :: v_dual_fmac_f32 v19, v6, v1
	v_fma_f32 v158, v5, v1, -v2
	s_delay_alu instid0(VALU_DEP_3) | instskip(NEXT) | instid1(VALU_DEP_3)
	v_fmac_f32_e32 v20, v8, v3
	v_fma_f32 v159, v7, v3, -v4
	ds_load_b128 v[1:4], v21 offset:736
	ds_load_b128 v[5:8], v21 offset:752
	s_wait_loadcnt_dscnt 0x1
	v_mul_f32_e32 v161, v1, v10
	v_mul_f32_e32 v10, v2, v10
	s_delay_alu instid0(VALU_DEP_2) | instskip(NEXT) | instid1(VALU_DEP_2)
	v_dual_mul_f32 v162, v3, v12 :: v_dual_fmac_f32 v161, v2, v9
	v_fma_f32 v163, v1, v9, -v10
	v_mul_f32_e32 v1, v4, v12
	s_delay_alu instid0(VALU_DEP_3) | instskip(NEXT) | instid1(VALU_DEP_2)
	v_fmac_f32_e32 v162, v4, v11
	v_fma_f32 v164, v3, v11, -v1
	s_clause 0x1
	scratch_load_b128 v[1:4], off, off offset:272
	scratch_load_b128 v[9:12], off, off offset:288
	s_wait_loadcnt_dscnt 0x100
	v_mul_f32_e32 v165, v5, v2
	v_dual_mul_f32 v2, v6, v2 :: v_dual_mul_f32 v167, v7, v4
	s_delay_alu instid0(VALU_DEP_2) | instskip(NEXT) | instid1(VALU_DEP_2)
	v_fmac_f32_e32 v165, v6, v1
	v_fma_f32 v166, v5, v1, -v2
	v_mul_f32_e32 v1, v8, v4
	s_delay_alu instid0(VALU_DEP_4) | instskip(NEXT) | instid1(VALU_DEP_2)
	v_fmac_f32_e32 v167, v8, v3
	v_fma_f32 v168, v7, v3, -v1
	ds_load_b128 v[1:4], v21 offset:768
	ds_load_b128 v[5:8], v21 offset:784
	s_wait_loadcnt_dscnt 0x1
	v_mul_f32_e32 v169, v1, v10
	v_mul_f32_e32 v171, v3, v12
	s_delay_alu instid0(VALU_DEP_2) | instskip(NEXT) | instid1(VALU_DEP_2)
	v_fmac_f32_e32 v169, v2, v9
	v_dual_mul_f32 v2, v2, v10 :: v_dual_fmac_f32 v171, v4, v11
	s_delay_alu instid0(VALU_DEP_1) | instskip(SKIP_1) | instid1(VALU_DEP_1)
	v_fma_f32 v170, v1, v9, -v2
	v_mul_f32_e32 v1, v4, v12
	v_fma_f32 v172, v3, v11, -v1
	s_clause 0x1
	scratch_load_b128 v[1:4], off, off offset:304
	scratch_load_b128 v[9:12], off, off offset:320
	s_wait_loadcnt_dscnt 0x100
	v_mul_f32_e32 v173, v5, v2
	v_dual_mul_f32 v2, v6, v2 :: v_dual_mul_f32 v175, v7, v4
	s_delay_alu instid0(VALU_DEP_2) | instskip(NEXT) | instid1(VALU_DEP_2)
	v_fmac_f32_e32 v173, v6, v1
	v_fma_f32 v174, v5, v1, -v2
	v_mul_f32_e32 v1, v8, v4
	s_delay_alu instid0(VALU_DEP_4) | instskip(NEXT) | instid1(VALU_DEP_2)
	v_fmac_f32_e32 v175, v8, v3
	v_fma_f32 v176, v7, v3, -v1
	ds_load_b128 v[1:4], v21 offset:800
	ds_load_b128 v[5:8], v21 offset:816
	s_wait_loadcnt_dscnt 0x1
	v_mul_f32_e32 v177, v1, v10
	v_mul_f32_e32 v179, v3, v12
	s_delay_alu instid0(VALU_DEP_2) | instskip(NEXT) | instid1(VALU_DEP_2)
	v_fmac_f32_e32 v177, v2, v9
	v_dual_mul_f32 v2, v2, v10 :: v_dual_fmac_f32 v179, v4, v11
	s_delay_alu instid0(VALU_DEP_1) | instskip(SKIP_1) | instid1(VALU_DEP_1)
	v_fma_f32 v178, v1, v9, -v2
	v_mul_f32_e32 v1, v4, v12
	;; [unrolled: 25-line block ×4, first 2 shown]
	v_fma_f32 v196, v3, v11, -v1
	s_clause 0x1
	scratch_load_b128 v[1:4], off, off offset:400
	scratch_load_b128 v[9:12], off, off offset:416
	s_wait_loadcnt_dscnt 0x100
	v_mul_f32_e32 v197, v5, v2
	v_mul_f32_e32 v2, v6, v2
	s_delay_alu instid0(VALU_DEP_1) | instskip(SKIP_1) | instid1(VALU_DEP_1)
	v_fma_f32 v198, v5, v1, -v2
	v_add_f32_e32 v2, 0, v153
	v_add_f32_e32 v2, v2, v154
	s_delay_alu instid0(VALU_DEP_1) | instskip(NEXT) | instid1(VALU_DEP_1)
	v_add_f32_e32 v2, v2, v24
	v_add_f32_e32 v2, v2, v25
	s_delay_alu instid0(VALU_DEP_1) | instskip(NEXT) | instid1(VALU_DEP_1)
	;; [unrolled: 3-line block ×5, first 2 shown]
	v_add_f32_e32 v2, v2, v19
	v_add_f32_e32 v2, v2, v20
	v_mul_f32_e32 v199, v7, v4
	v_fmac_f32_e32 v197, v6, v1
	s_delay_alu instid0(VALU_DEP_2) | instskip(NEXT) | instid1(VALU_DEP_1)
	v_dual_add_f32 v2, v2, v161 :: v_dual_fmac_f32 v199, v8, v3
	v_dual_add_f32 v2, v2, v162 :: v_dual_mul_f32 v1, v8, v4
	s_delay_alu instid0(VALU_DEP_1) | instskip(NEXT) | instid1(VALU_DEP_2)
	v_add_f32_e32 v2, v2, v165
	v_fma_f32 v200, v7, v3, -v1
	s_delay_alu instid0(VALU_DEP_2) | instskip(NEXT) | instid1(VALU_DEP_1)
	v_dual_add_f32 v1, 0, v22 :: v_dual_add_f32 v2, v2, v167
	v_add_f32_e32 v1, v1, v23
	s_delay_alu instid0(VALU_DEP_1) | instskip(NEXT) | instid1(VALU_DEP_1)
	v_add_f32_e32 v1, v1, v26
	v_add_f32_e32 v1, v1, v27
	s_delay_alu instid0(VALU_DEP_1) | instskip(NEXT) | instid1(VALU_DEP_1)
	v_add_f32_e32 v1, v1, v28
	;; [unrolled: 3-line block ×10, first 2 shown]
	v_add_f32_e32 v13, v13, v180
	s_delay_alu instid0(VALU_DEP_1) | instskip(SKIP_3) | instid1(VALU_DEP_1)
	v_add_f32_e32 v13, v13, v182
	v_add_f32_e32 v5, v2, v169
	ds_load_b128 v[1:4], v21 offset:896
	v_add_f32_e32 v18, v13, v184
	v_dual_add_f32 v5, v5, v171 :: v_dual_add_f32 v18, v18, v186
	s_delay_alu instid0(VALU_DEP_1) | instskip(NEXT) | instid1(VALU_DEP_1)
	v_dual_add_f32 v5, v5, v173 :: v_dual_add_f32 v18, v18, v188
	v_add_f32_e32 v14, v5, v175
	ds_load_b128 v[5:8], v21 offset:912
	v_add_f32_e32 v22, v18, v190
	s_wait_loadcnt_dscnt 0x1
	v_dual_add_f32 v14, v14, v177 :: v_dual_mul_f32 v25, v1, v10
	v_mul_f32_e32 v26, v3, v12
	v_mul_f32_e32 v10, v2, v10
	;; [unrolled: 1-line block ×3, first 2 shown]
	s_delay_alu instid0(VALU_DEP_4) | instskip(NEXT) | instid1(VALU_DEP_4)
	v_add_f32_e32 v14, v14, v179
	v_dual_add_f32 v29, v22, v192 :: v_dual_fmac_f32 v26, v4, v11
	s_delay_alu instid0(VALU_DEP_4) | instskip(NEXT) | instid1(VALU_DEP_4)
	v_fma_f32 v27, v1, v9, -v10
	v_fma_f32 v28, v3, v11, -v12
	s_delay_alu instid0(VALU_DEP_4) | instskip(SKIP_3) | instid1(VALU_DEP_2)
	v_add_f32_e32 v17, v14, v181
	scratch_load_b128 v[13:16], off, off offset:464
	v_add_f32_e32 v29, v29, v194
	v_add_f32_e32 v17, v17, v183
	;; [unrolled: 1-line block ×3, first 2 shown]
	s_delay_alu instid0(VALU_DEP_2) | instskip(NEXT) | instid1(VALU_DEP_2)
	v_add_f32_e32 v17, v17, v185
	v_add_f32_e32 v29, v29, v198
	s_delay_alu instid0(VALU_DEP_2) | instskip(NEXT) | instid1(VALU_DEP_2)
	v_add_f32_e32 v17, v17, v187
	v_add_f32_e32 v29, v29, v200
	s_delay_alu instid0(VALU_DEP_2)
	v_add_f32_e32 v23, v17, v189
	ds_load_b128 v[17:20], v21 offset:928
	v_add_f32_e32 v27, v29, v27
	v_add_f32_e32 v32, v23, v191
	ds_load_b128 v[21:24], v21 offset:944
	v_fmac_f32_e32 v25, v2, v9
	s_clause 0x1
	scratch_load_b128 v[1:4], off, off offset:432
	scratch_load_b128 v[9:12], off, off offset:448
	v_add_f32_e32 v32, v32, v193
	s_delay_alu instid0(VALU_DEP_1) | instskip(NEXT) | instid1(VALU_DEP_1)
	v_add_f32_e32 v32, v32, v195
	v_add_f32_e32 v32, v32, v197
	s_delay_alu instid0(VALU_DEP_1) | instskip(SKIP_1) | instid1(VALU_DEP_1)
	v_add_f32_e32 v32, v32, v199
	s_wait_loadcnt_dscnt 0x200
	v_dual_mul_f32 v158, v21, v14 :: v_dual_add_f32 v25, v32, v25
	s_delay_alu instid0(VALU_DEP_1) | instskip(NEXT) | instid1(VALU_DEP_1)
	v_dual_mul_f32 v29, v23, v16 :: v_dual_fmac_f32 v158, v22, v13
	v_fmac_f32_e32 v29, v24, v15
	s_wait_loadcnt 0x1
	v_mul_f32_e32 v153, v5, v2
	v_mul_f32_e32 v2, v6, v2
	;; [unrolled: 1-line block ×4, first 2 shown]
	s_wait_loadcnt 0x0
	v_dual_mul_f32 v156, v17, v10 :: v_dual_fmac_f32 v153, v6, v1
	v_fma_f32 v2, v5, v1, -v2
	v_add_f32_e32 v1, v27, v28
	v_add_f32_e32 v5, v25, v26
	v_mul_f32_e32 v6, v18, v10
	v_fmac_f32_e32 v154, v8, v3
	v_fma_f32 v3, v7, v3, -v4
	v_add_f32_e32 v1, v1, v2
	v_dual_add_f32 v2, v5, v153 :: v_dual_mul_f32 v157, v19, v12
	v_mul_f32_e32 v4, v20, v12
	v_fmac_f32_e32 v156, v18, v9
	v_fma_f32 v5, v17, v9, -v6
	s_delay_alu instid0(VALU_DEP_4) | instskip(SKIP_3) | instid1(VALU_DEP_4)
	v_dual_add_f32 v1, v1, v3 :: v_dual_add_f32 v2, v2, v154
	v_mul_f32_e32 v3, v22, v14
	v_fmac_f32_e32 v157, v20, v11
	v_fma_f32 v4, v19, v11, -v4
	v_dual_add_f32 v1, v1, v5 :: v_dual_add_f32 v2, v2, v156
	v_mul_f32_e32 v5, v24, v16
	v_fma_f32 v3, v21, v13, -v3
	s_delay_alu instid0(VALU_DEP_3) | instskip(NEXT) | instid1(VALU_DEP_3)
	v_dual_add_f32 v1, v1, v4 :: v_dual_add_f32 v2, v2, v157
	v_fma_f32 v4, v23, v15, -v5
	s_delay_alu instid0(VALU_DEP_2) | instskip(NEXT) | instid1(VALU_DEP_1)
	v_dual_add_f32 v1, v1, v3 :: v_dual_add_f32 v2, v2, v158
	v_dual_add_f32 v1, v1, v4 :: v_dual_add_f32 v2, v2, v29
	s_delay_alu instid0(VALU_DEP_1)
	v_dual_sub_f32 v1, v30, v1 :: v_dual_sub_f32 v2, v31, v2
	scratch_store_b64 off, v[1:2], off offset:152
	v_cmpx_lt_u32_e32 18, v0
	s_cbranch_execz .LBB59_337
; %bb.336:
	scratch_load_b64 v[1:2], off, off offset:144
	v_mov_b32_e32 v3, 0
	s_delay_alu instid0(VALU_DEP_1)
	v_mov_b32_e32 v4, v3
	scratch_store_b64 off, v[3:4], off offset:144
	s_wait_loadcnt 0x0
	ds_store_b64 v155, v[1:2]
.LBB59_337:
	s_wait_alu 0xfffe
	s_or_b32 exec_lo, exec_lo, s0
	s_wait_storecnt_dscnt 0x0
	s_barrier_signal -1
	s_barrier_wait -1
	global_inv scope:SCOPE_SE
	s_clause 0x4
	scratch_load_b128 v[5:8], off, off offset:152
	scratch_load_b128 v[1:4], off, off offset:168
	;; [unrolled: 1-line block ×5, first 2 shown]
	v_mov_b32_e32 v21, 0
	ds_load_2addr_b64 v[22:25], v21 offset0:79 offset1:80
	ds_load_2addr_b64 v[26:29], v21 offset0:81 offset1:82
	;; [unrolled: 1-line block ×3, first 2 shown]
	scratch_load_b64 v[30:31], off, off offset:144
	s_mov_b32 s0, exec_lo
	s_wait_loadcnt_dscnt 0x502
	v_mul_f32_e32 v32, v23, v6
	v_dual_mul_f32 v153, v22, v6 :: v_dual_mul_f32 v154, v24, v8
	v_mul_f32_e32 v6, v25, v8
	s_wait_loadcnt_dscnt 0x300
	v_mul_f32_e32 v160, v158, v12
	v_fma_f32 v22, v22, v5, -v32
	v_dual_fmac_f32 v153, v23, v5 :: v_dual_fmac_f32 v154, v25, v7
	v_mul_f32_e32 v25, v28, v4
	v_fma_f32 v23, v24, v7, -v6
	ds_load_2addr_b64 v[5:8], v21 offset0:85 offset1:86
	v_mul_f32_e32 v24, v26, v2
	v_mul_f32_e32 v4, v29, v4
	;; [unrolled: 1-line block ×5, first 2 shown]
	v_dual_mul_f32 v2, v27, v2 :: v_dual_fmac_f32 v25, v29, v3
	v_fmac_f32_e32 v24, v27, v1
	v_fma_f32 v27, v28, v3, -v4
	v_fmac_f32_e32 v32, v157, v9
	v_fma_f32 v28, v156, v9, -v10
	;; [unrolled: 2-line block ×3, first 2 shown]
	ds_load_2addr_b64 v[9:12], v21 offset0:87 offset1:88
	s_wait_loadcnt_dscnt 0x201
	v_dual_mul_f32 v157, v7, v16 :: v_dual_mul_f32 v156, v5, v14
	v_mul_f32_e32 v14, v6, v14
	v_mul_f32_e32 v16, v8, v16
	s_delay_alu instid0(VALU_DEP_3)
	v_fmac_f32_e32 v157, v8, v15
	v_fma_f32 v26, v26, v1, -v2
	scratch_load_b128 v[1:4], off, off offset:232
	v_fmac_f32_e32 v156, v6, v13
	v_fma_f32 v13, v5, v13, -v14
	v_fma_f32 v14, v7, v15, -v16
	ds_load_2addr_b64 v[5:8], v21 offset0:89 offset1:90
	s_wait_loadcnt_dscnt 0x201
	v_mul_f32_e32 v15, v9, v18
	v_mul_f32_e32 v16, v10, v18
	;; [unrolled: 1-line block ×3, first 2 shown]
	s_delay_alu instid0(VALU_DEP_3) | instskip(NEXT) | instid1(VALU_DEP_3)
	v_dual_mul_f32 v20, v12, v20 :: v_dual_fmac_f32 v15, v10, v17
	v_fma_f32 v16, v9, v17, -v16
	s_delay_alu instid0(VALU_DEP_3) | instskip(NEXT) | instid1(VALU_DEP_3)
	v_fmac_f32_e32 v18, v12, v19
	v_fma_f32 v17, v11, v19, -v20
	scratch_load_b128 v[9:12], off, off offset:248
	s_wait_loadcnt_dscnt 0x100
	v_mul_f32_e32 v19, v5, v2
	v_mul_f32_e32 v2, v6, v2
	;; [unrolled: 1-line block ×3, first 2 shown]
	s_delay_alu instid0(VALU_DEP_3) | instskip(NEXT) | instid1(VALU_DEP_3)
	v_dual_mul_f32 v4, v8, v4 :: v_dual_fmac_f32 v19, v6, v1
	v_fma_f32 v158, v5, v1, -v2
	s_delay_alu instid0(VALU_DEP_3) | instskip(NEXT) | instid1(VALU_DEP_3)
	v_fmac_f32_e32 v20, v8, v3
	v_fma_f32 v159, v7, v3, -v4
	ds_load_2addr_b64 v[1:4], v21 offset0:91 offset1:92
	ds_load_2addr_b64 v[5:8], v21 offset0:93 offset1:94
	s_wait_loadcnt_dscnt 0x1
	v_mul_f32_e32 v161, v1, v10
	v_mul_f32_e32 v10, v2, v10
	s_delay_alu instid0(VALU_DEP_2) | instskip(NEXT) | instid1(VALU_DEP_2)
	v_dual_mul_f32 v162, v3, v12 :: v_dual_fmac_f32 v161, v2, v9
	v_fma_f32 v163, v1, v9, -v10
	v_mul_f32_e32 v1, v4, v12
	s_delay_alu instid0(VALU_DEP_3) | instskip(NEXT) | instid1(VALU_DEP_2)
	v_fmac_f32_e32 v162, v4, v11
	v_fma_f32 v164, v3, v11, -v1
	s_clause 0x1
	scratch_load_b128 v[1:4], off, off offset:264
	scratch_load_b128 v[9:12], off, off offset:280
	s_wait_loadcnt_dscnt 0x100
	v_mul_f32_e32 v165, v5, v2
	v_dual_mul_f32 v2, v6, v2 :: v_dual_mul_f32 v167, v7, v4
	s_delay_alu instid0(VALU_DEP_2) | instskip(NEXT) | instid1(VALU_DEP_2)
	v_fmac_f32_e32 v165, v6, v1
	v_fma_f32 v166, v5, v1, -v2
	v_mul_f32_e32 v1, v8, v4
	s_delay_alu instid0(VALU_DEP_4) | instskip(NEXT) | instid1(VALU_DEP_2)
	v_fmac_f32_e32 v167, v8, v3
	v_fma_f32 v168, v7, v3, -v1
	ds_load_2addr_b64 v[1:4], v21 offset0:95 offset1:96
	ds_load_2addr_b64 v[5:8], v21 offset0:97 offset1:98
	s_wait_loadcnt_dscnt 0x1
	v_mul_f32_e32 v169, v1, v10
	v_mul_f32_e32 v171, v3, v12
	s_delay_alu instid0(VALU_DEP_2) | instskip(NEXT) | instid1(VALU_DEP_2)
	v_fmac_f32_e32 v169, v2, v9
	v_dual_mul_f32 v2, v2, v10 :: v_dual_fmac_f32 v171, v4, v11
	s_delay_alu instid0(VALU_DEP_1) | instskip(SKIP_1) | instid1(VALU_DEP_1)
	v_fma_f32 v170, v1, v9, -v2
	v_mul_f32_e32 v1, v4, v12
	v_fma_f32 v172, v3, v11, -v1
	s_clause 0x1
	scratch_load_b128 v[1:4], off, off offset:296
	scratch_load_b128 v[9:12], off, off offset:312
	s_wait_loadcnt_dscnt 0x100
	v_mul_f32_e32 v173, v5, v2
	v_dual_mul_f32 v2, v6, v2 :: v_dual_mul_f32 v175, v7, v4
	s_delay_alu instid0(VALU_DEP_2) | instskip(NEXT) | instid1(VALU_DEP_2)
	v_fmac_f32_e32 v173, v6, v1
	v_fma_f32 v174, v5, v1, -v2
	v_mul_f32_e32 v1, v8, v4
	s_delay_alu instid0(VALU_DEP_4) | instskip(NEXT) | instid1(VALU_DEP_2)
	v_fmac_f32_e32 v175, v8, v3
	v_fma_f32 v176, v7, v3, -v1
	ds_load_2addr_b64 v[1:4], v21 offset0:99 offset1:100
	ds_load_2addr_b64 v[5:8], v21 offset0:101 offset1:102
	s_wait_loadcnt_dscnt 0x1
	v_mul_f32_e32 v177, v1, v10
	v_mul_f32_e32 v179, v3, v12
	s_delay_alu instid0(VALU_DEP_2) | instskip(NEXT) | instid1(VALU_DEP_2)
	v_fmac_f32_e32 v177, v2, v9
	v_dual_mul_f32 v2, v2, v10 :: v_dual_fmac_f32 v179, v4, v11
	s_delay_alu instid0(VALU_DEP_1) | instskip(SKIP_1) | instid1(VALU_DEP_1)
	v_fma_f32 v178, v1, v9, -v2
	v_mul_f32_e32 v1, v4, v12
	v_fma_f32 v180, v3, v11, -v1
	s_clause 0x1
	scratch_load_b128 v[1:4], off, off offset:328
	scratch_load_b128 v[9:12], off, off offset:344
	s_wait_loadcnt_dscnt 0x100
	v_mul_f32_e32 v181, v5, v2
	v_dual_mul_f32 v2, v6, v2 :: v_dual_mul_f32 v183, v7, v4
	s_delay_alu instid0(VALU_DEP_2) | instskip(NEXT) | instid1(VALU_DEP_2)
	v_fmac_f32_e32 v181, v6, v1
	v_fma_f32 v182, v5, v1, -v2
	v_mul_f32_e32 v1, v8, v4
	s_delay_alu instid0(VALU_DEP_4) | instskip(NEXT) | instid1(VALU_DEP_2)
	v_fmac_f32_e32 v183, v8, v3
	v_fma_f32 v184, v7, v3, -v1
	ds_load_2addr_b64 v[1:4], v21 offset0:103 offset1:104
	ds_load_2addr_b64 v[5:8], v21 offset0:105 offset1:106
	s_wait_loadcnt_dscnt 0x1
	v_mul_f32_e32 v185, v1, v10
	v_mul_f32_e32 v187, v3, v12
	s_delay_alu instid0(VALU_DEP_2) | instskip(NEXT) | instid1(VALU_DEP_2)
	v_fmac_f32_e32 v185, v2, v9
	v_dual_mul_f32 v2, v2, v10 :: v_dual_fmac_f32 v187, v4, v11
	s_delay_alu instid0(VALU_DEP_1) | instskip(SKIP_1) | instid1(VALU_DEP_1)
	v_fma_f32 v186, v1, v9, -v2
	v_mul_f32_e32 v1, v4, v12
	v_fma_f32 v188, v3, v11, -v1
	s_clause 0x1
	scratch_load_b128 v[1:4], off, off offset:360
	scratch_load_b128 v[9:12], off, off offset:376
	s_wait_loadcnt_dscnt 0x100
	v_mul_f32_e32 v189, v5, v2
	v_dual_mul_f32 v2, v6, v2 :: v_dual_mul_f32 v191, v7, v4
	s_delay_alu instid0(VALU_DEP_2) | instskip(NEXT) | instid1(VALU_DEP_2)
	v_fmac_f32_e32 v189, v6, v1
	v_fma_f32 v190, v5, v1, -v2
	v_mul_f32_e32 v1, v8, v4
	s_delay_alu instid0(VALU_DEP_4) | instskip(NEXT) | instid1(VALU_DEP_2)
	v_fmac_f32_e32 v191, v8, v3
	v_fma_f32 v192, v7, v3, -v1
	ds_load_2addr_b64 v[1:4], v21 offset0:107 offset1:108
	ds_load_2addr_b64 v[5:8], v21 offset0:109 offset1:110
	s_wait_loadcnt_dscnt 0x1
	v_mul_f32_e32 v193, v1, v10
	v_mul_f32_e32 v195, v3, v12
	s_delay_alu instid0(VALU_DEP_2) | instskip(NEXT) | instid1(VALU_DEP_2)
	v_fmac_f32_e32 v193, v2, v9
	v_dual_mul_f32 v2, v2, v10 :: v_dual_fmac_f32 v195, v4, v11
	s_delay_alu instid0(VALU_DEP_1) | instskip(SKIP_1) | instid1(VALU_DEP_1)
	v_fma_f32 v194, v1, v9, -v2
	v_mul_f32_e32 v1, v4, v12
	v_fma_f32 v196, v3, v11, -v1
	s_clause 0x1
	scratch_load_b128 v[1:4], off, off offset:392
	scratch_load_b128 v[9:12], off, off offset:408
	s_wait_loadcnt_dscnt 0x100
	v_mul_f32_e32 v197, v5, v2
	v_mul_f32_e32 v2, v6, v2
	s_delay_alu instid0(VALU_DEP_1) | instskip(SKIP_1) | instid1(VALU_DEP_1)
	v_fma_f32 v198, v5, v1, -v2
	v_add_f32_e32 v2, 0, v153
	v_add_f32_e32 v2, v2, v154
	s_delay_alu instid0(VALU_DEP_1) | instskip(NEXT) | instid1(VALU_DEP_1)
	v_add_f32_e32 v2, v2, v24
	v_add_f32_e32 v2, v2, v25
	s_delay_alu instid0(VALU_DEP_1) | instskip(NEXT) | instid1(VALU_DEP_1)
	;; [unrolled: 3-line block ×5, first 2 shown]
	v_add_f32_e32 v2, v2, v19
	v_add_f32_e32 v2, v2, v20
	v_mul_f32_e32 v199, v7, v4
	v_fmac_f32_e32 v197, v6, v1
	s_delay_alu instid0(VALU_DEP_2) | instskip(NEXT) | instid1(VALU_DEP_1)
	v_dual_add_f32 v2, v2, v161 :: v_dual_fmac_f32 v199, v8, v3
	v_dual_add_f32 v2, v2, v162 :: v_dual_mul_f32 v1, v8, v4
	s_delay_alu instid0(VALU_DEP_1) | instskip(NEXT) | instid1(VALU_DEP_2)
	v_add_f32_e32 v2, v2, v165
	v_fma_f32 v200, v7, v3, -v1
	s_delay_alu instid0(VALU_DEP_2) | instskip(NEXT) | instid1(VALU_DEP_1)
	v_dual_add_f32 v1, 0, v22 :: v_dual_add_f32 v2, v2, v167
	v_add_f32_e32 v1, v1, v23
	s_delay_alu instid0(VALU_DEP_2) | instskip(NEXT) | instid1(VALU_DEP_2)
	v_add_f32_e32 v5, v2, v169
	v_add_f32_e32 v1, v1, v26
	s_delay_alu instid0(VALU_DEP_2) | instskip(NEXT) | instid1(VALU_DEP_2)
	v_add_f32_e32 v5, v5, v171
	v_add_f32_e32 v1, v1, v27
	scratch_load_b64 v[26:27], off, off offset:472
	v_add_f32_e32 v5, v5, v173
	v_add_f32_e32 v1, v1, v28
	s_delay_alu instid0(VALU_DEP_1) | instskip(NEXT) | instid1(VALU_DEP_1)
	v_add_f32_e32 v1, v1, v29
	v_add_f32_e32 v1, v1, v13
	s_delay_alu instid0(VALU_DEP_1) | instskip(SKIP_1) | instid1(VALU_DEP_2)
	v_add_f32_e32 v1, v1, v14
	v_add_f32_e32 v14, v5, v175
	;; [unrolled: 1-line block ×3, first 2 shown]
	s_delay_alu instid0(VALU_DEP_1) | instskip(NEXT) | instid1(VALU_DEP_1)
	v_add_f32_e32 v1, v1, v17
	v_add_f32_e32 v1, v1, v158
	s_delay_alu instid0(VALU_DEP_1) | instskip(NEXT) | instid1(VALU_DEP_1)
	v_add_f32_e32 v1, v1, v159
	v_add_f32_e32 v1, v1, v163
	;; [unrolled: 3-line block ×4, first 2 shown]
	s_delay_alu instid0(VALU_DEP_1) | instskip(SKIP_3) | instid1(VALU_DEP_2)
	v_add_f32_e32 v6, v1, v172
	ds_load_2addr_b64 v[1:4], v21 offset0:111 offset1:112
	v_add_f32_e32 v14, v14, v177
	v_add_f32_e32 v6, v6, v174
	;; [unrolled: 1-line block ×3, first 2 shown]
	s_delay_alu instid0(VALU_DEP_2)
	v_add_f32_e32 v13, v6, v176
	ds_load_2addr_b64 v[5:8], v21 offset0:113 offset1:114
	s_wait_loadcnt_dscnt 0x101
	v_mul_f32_e32 v32, v1, v10
	v_dual_mul_f32 v10, v2, v10 :: v_dual_mul_f32 v153, v3, v12
	v_mul_f32_e32 v12, v4, v12
	s_delay_alu instid0(VALU_DEP_3) | instskip(NEXT) | instid1(VALU_DEP_3)
	v_fmac_f32_e32 v32, v2, v9
	v_fma_f32 v154, v1, v9, -v10
	s_delay_alu instid0(VALU_DEP_4) | instskip(NEXT) | instid1(VALU_DEP_4)
	v_fmac_f32_e32 v153, v4, v11
	v_fma_f32 v156, v3, v11, -v12
	s_clause 0x1
	scratch_load_b128 v[1:4], off, off offset:424
	scratch_load_b128 v[9:12], off, off offset:440
	v_add_f32_e32 v13, v13, v178
	s_wait_loadcnt_dscnt 0x100
	v_mul_f32_e32 v159, v5, v2
	v_mul_f32_e32 v2, v6, v2
	;; [unrolled: 1-line block ×3, first 2 shown]
	s_delay_alu instid0(VALU_DEP_3) | instskip(NEXT) | instid1(VALU_DEP_3)
	v_dual_mul_f32 v4, v8, v4 :: v_dual_fmac_f32 v159, v6, v1
	v_fma_f32 v2, v5, v1, -v2
	v_add_f32_e32 v13, v13, v180
	s_delay_alu instid0(VALU_DEP_4) | instskip(NEXT) | instid1(VALU_DEP_4)
	v_dual_add_f32 v17, v14, v181 :: v_dual_fmac_f32 v160, v8, v3
	v_fma_f32 v1, v7, v3, -v4
	s_delay_alu instid0(VALU_DEP_3) | instskip(NEXT) | instid1(VALU_DEP_3)
	v_add_f32_e32 v13, v13, v182
	v_add_f32_e32 v17, v17, v183
	s_delay_alu instid0(VALU_DEP_2) | instskip(SKIP_2) | instid1(VALU_DEP_1)
	v_add_f32_e32 v18, v13, v184
	scratch_load_b128 v[13:16], off, off offset:456
	v_dual_add_f32 v17, v17, v185 :: v_dual_add_f32 v18, v18, v186
	v_dual_add_f32 v17, v17, v187 :: v_dual_add_f32 v18, v18, v188
	s_delay_alu instid0(VALU_DEP_1) | instskip(NEXT) | instid1(VALU_DEP_1)
	v_dual_add_f32 v17, v17, v189 :: v_dual_add_f32 v18, v18, v190
	v_add_f32_e32 v22, v17, v191
	s_delay_alu instid0(VALU_DEP_2) | instskip(NEXT) | instid1(VALU_DEP_2)
	v_add_f32_e32 v18, v18, v192
	v_add_f32_e32 v29, v22, v193
	ds_load_2addr_b64 v[22:25], v21 offset0:117 offset1:118
	v_add_f32_e32 v28, v18, v194
	ds_load_2addr_b64 v[17:20], v21 offset0:115 offset1:116
	s_wait_loadcnt_dscnt 0x100
	v_mul_f32_e32 v3, v18, v10
	v_mul_f32_e32 v5, v20, v12
	s_delay_alu instid0(VALU_DEP_2) | instskip(NEXT) | instid1(VALU_DEP_2)
	v_fma_f32 v3, v17, v9, -v3
	v_fma_f32 v5, v19, v11, -v5
	s_wait_loadcnt 0x0
	v_mul_f32_e32 v161, v22, v14
	s_delay_alu instid0(VALU_DEP_1) | instskip(SKIP_1) | instid1(VALU_DEP_1)
	v_fmac_f32_e32 v161, v23, v13
	v_add_f32_e32 v157, v28, v196
	v_add_f32_e32 v157, v157, v198
	s_delay_alu instid0(VALU_DEP_1) | instskip(NEXT) | instid1(VALU_DEP_1)
	v_add_f32_e32 v157, v157, v200
	v_add_f32_e32 v154, v157, v154
	s_delay_alu instid0(VALU_DEP_1) | instskip(NEXT) | instid1(VALU_DEP_1)
	v_dual_mul_f32 v157, v17, v10 :: v_dual_add_f32 v154, v154, v156
	v_dual_mul_f32 v156, v24, v16 :: v_dual_fmac_f32 v157, v18, v9
	s_delay_alu instid0(VALU_DEP_2) | instskip(NEXT) | instid1(VALU_DEP_2)
	v_add_f32_e32 v2, v154, v2
	v_fmac_f32_e32 v156, v25, v15
	v_add_f32_e32 v158, v29, v195
	ds_load_b64 v[28:29], v21 offset:952
	v_add_f32_e32 v1, v2, v1
	s_delay_alu instid0(VALU_DEP_1) | instskip(NEXT) | instid1(VALU_DEP_1)
	v_dual_add_f32 v158, v158, v197 :: v_dual_add_f32 v1, v1, v3
	v_dual_mul_f32 v3, v25, v16 :: v_dual_add_f32 v158, v158, v199
	s_delay_alu instid0(VALU_DEP_2) | instskip(NEXT) | instid1(VALU_DEP_2)
	v_add_f32_e32 v1, v1, v5
	v_fma_f32 v3, v24, v15, -v3
	s_delay_alu instid0(VALU_DEP_3) | instskip(SKIP_1) | instid1(VALU_DEP_2)
	v_add_f32_e32 v32, v158, v32
	v_mul_f32_e32 v158, v19, v12
	v_add_f32_e32 v32, v32, v153
	s_delay_alu instid0(VALU_DEP_2) | instskip(SKIP_3) | instid1(VALU_DEP_2)
	v_fmac_f32_e32 v158, v20, v11
	s_wait_dscnt 0x0
	v_mul_f32_e32 v153, v28, v27
	v_mul_f32_e32 v5, v29, v27
	v_dual_add_f32 v4, v32, v159 :: v_dual_fmac_f32 v153, v29, v26
	s_delay_alu instid0(VALU_DEP_1) | instskip(SKIP_1) | instid1(VALU_DEP_2)
	v_add_f32_e32 v2, v4, v160
	v_mul_f32_e32 v4, v23, v14
	v_add_f32_e32 v2, v2, v157
	s_delay_alu instid0(VALU_DEP_2) | instskip(NEXT) | instid1(VALU_DEP_1)
	v_fma_f32 v4, v22, v13, -v4
	v_dual_add_f32 v2, v2, v158 :: v_dual_add_f32 v1, v1, v4
	v_fma_f32 v4, v28, v26, -v5
	s_delay_alu instid0(VALU_DEP_2) | instskip(NEXT) | instid1(VALU_DEP_1)
	v_dual_add_f32 v2, v2, v161 :: v_dual_add_f32 v1, v1, v3
	v_add_f32_e32 v2, v2, v156
	s_delay_alu instid0(VALU_DEP_1) | instskip(NEXT) | instid1(VALU_DEP_1)
	v_dual_add_f32 v1, v1, v4 :: v_dual_add_f32 v2, v2, v153
	v_dual_sub_f32 v1, v30, v1 :: v_dual_sub_f32 v2, v31, v2
	scratch_store_b64 off, v[1:2], off offset:144
	v_cmpx_lt_u32_e32 17, v0
	s_cbranch_execz .LBB59_339
; %bb.338:
	scratch_load_b64 v[1:2], off, off offset:136
	v_mov_b32_e32 v22, v21
	scratch_store_b64 off, v[21:22], off offset:136
	s_wait_loadcnt 0x0
	ds_store_b64 v155, v[1:2]
.LBB59_339:
	s_wait_alu 0xfffe
	s_or_b32 exec_lo, exec_lo, s0
	s_wait_storecnt_dscnt 0x0
	s_barrier_signal -1
	s_barrier_wait -1
	global_inv scope:SCOPE_SE
	s_clause 0x4
	scratch_load_b128 v[5:8], off, off offset:144
	scratch_load_b128 v[1:4], off, off offset:160
	;; [unrolled: 1-line block ×5, first 2 shown]
	ds_load_b128 v[22:25], v21 offset:624
	ds_load_b128 v[26:29], v21 offset:640
	;; [unrolled: 1-line block ×3, first 2 shown]
	scratch_load_b64 v[30:31], off, off offset:136
	s_mov_b32 s0, exec_lo
	s_wait_loadcnt_dscnt 0x502
	v_mul_f32_e32 v32, v23, v6
	v_dual_mul_f32 v153, v22, v6 :: v_dual_mul_f32 v154, v24, v8
	v_mul_f32_e32 v6, v25, v8
	s_wait_loadcnt_dscnt 0x300
	v_mul_f32_e32 v160, v158, v12
	v_mul_f32_e32 v12, v159, v12
	v_dual_fmac_f32 v153, v23, v5 :: v_dual_fmac_f32 v154, v25, v7
	v_fma_f32 v23, v24, v7, -v6
	v_mul_f32_e32 v25, v28, v4
	v_fma_f32 v22, v22, v5, -v32
	ds_load_b128 v[5:8], v21 offset:672
	v_mul_f32_e32 v24, v26, v2
	v_mul_f32_e32 v4, v29, v4
	;; [unrolled: 1-line block ×4, first 2 shown]
	v_dual_mul_f32 v2, v27, v2 :: v_dual_fmac_f32 v25, v29, v3
	v_fmac_f32_e32 v24, v27, v1
	v_fma_f32 v27, v28, v3, -v4
	v_fmac_f32_e32 v32, v157, v9
	v_fma_f32 v28, v156, v9, -v10
	;; [unrolled: 2-line block ×3, first 2 shown]
	ds_load_b128 v[9:12], v21 offset:688
	s_wait_loadcnt_dscnt 0x201
	v_dual_mul_f32 v157, v7, v16 :: v_dual_mul_f32 v156, v5, v14
	v_mul_f32_e32 v14, v6, v14
	v_mul_f32_e32 v16, v8, v16
	s_delay_alu instid0(VALU_DEP_3)
	v_fmac_f32_e32 v157, v8, v15
	v_fma_f32 v26, v26, v1, -v2
	scratch_load_b128 v[1:4], off, off offset:224
	v_fmac_f32_e32 v156, v6, v13
	v_fma_f32 v13, v5, v13, -v14
	v_fma_f32 v14, v7, v15, -v16
	ds_load_b128 v[5:8], v21 offset:704
	s_wait_loadcnt_dscnt 0x201
	v_mul_f32_e32 v15, v9, v18
	v_mul_f32_e32 v16, v10, v18
	;; [unrolled: 1-line block ×3, first 2 shown]
	s_delay_alu instid0(VALU_DEP_3) | instskip(NEXT) | instid1(VALU_DEP_3)
	v_dual_mul_f32 v20, v12, v20 :: v_dual_fmac_f32 v15, v10, v17
	v_fma_f32 v16, v9, v17, -v16
	s_delay_alu instid0(VALU_DEP_3) | instskip(NEXT) | instid1(VALU_DEP_3)
	v_fmac_f32_e32 v18, v12, v19
	v_fma_f32 v17, v11, v19, -v20
	scratch_load_b128 v[9:12], off, off offset:240
	s_wait_loadcnt_dscnt 0x100
	v_mul_f32_e32 v19, v5, v2
	v_mul_f32_e32 v2, v6, v2
	;; [unrolled: 1-line block ×3, first 2 shown]
	s_delay_alu instid0(VALU_DEP_3) | instskip(NEXT) | instid1(VALU_DEP_3)
	v_dual_mul_f32 v4, v8, v4 :: v_dual_fmac_f32 v19, v6, v1
	v_fma_f32 v158, v5, v1, -v2
	s_delay_alu instid0(VALU_DEP_3) | instskip(NEXT) | instid1(VALU_DEP_3)
	v_fmac_f32_e32 v20, v8, v3
	v_fma_f32 v159, v7, v3, -v4
	ds_load_b128 v[1:4], v21 offset:720
	ds_load_b128 v[5:8], v21 offset:736
	s_wait_loadcnt_dscnt 0x1
	v_mul_f32_e32 v161, v1, v10
	v_mul_f32_e32 v10, v2, v10
	s_delay_alu instid0(VALU_DEP_2) | instskip(NEXT) | instid1(VALU_DEP_2)
	v_dual_mul_f32 v162, v3, v12 :: v_dual_fmac_f32 v161, v2, v9
	v_fma_f32 v163, v1, v9, -v10
	v_mul_f32_e32 v1, v4, v12
	s_delay_alu instid0(VALU_DEP_3) | instskip(NEXT) | instid1(VALU_DEP_2)
	v_fmac_f32_e32 v162, v4, v11
	v_fma_f32 v164, v3, v11, -v1
	s_clause 0x1
	scratch_load_b128 v[1:4], off, off offset:256
	scratch_load_b128 v[9:12], off, off offset:272
	s_wait_loadcnt_dscnt 0x100
	v_mul_f32_e32 v165, v5, v2
	v_dual_mul_f32 v2, v6, v2 :: v_dual_mul_f32 v167, v7, v4
	s_delay_alu instid0(VALU_DEP_2) | instskip(NEXT) | instid1(VALU_DEP_2)
	v_fmac_f32_e32 v165, v6, v1
	v_fma_f32 v166, v5, v1, -v2
	v_mul_f32_e32 v1, v8, v4
	s_delay_alu instid0(VALU_DEP_4) | instskip(NEXT) | instid1(VALU_DEP_2)
	v_fmac_f32_e32 v167, v8, v3
	v_fma_f32 v168, v7, v3, -v1
	ds_load_b128 v[1:4], v21 offset:752
	ds_load_b128 v[5:8], v21 offset:768
	s_wait_loadcnt_dscnt 0x1
	v_mul_f32_e32 v169, v1, v10
	v_mul_f32_e32 v171, v3, v12
	s_delay_alu instid0(VALU_DEP_2) | instskip(NEXT) | instid1(VALU_DEP_2)
	v_fmac_f32_e32 v169, v2, v9
	v_dual_mul_f32 v2, v2, v10 :: v_dual_fmac_f32 v171, v4, v11
	s_delay_alu instid0(VALU_DEP_1) | instskip(SKIP_1) | instid1(VALU_DEP_1)
	v_fma_f32 v170, v1, v9, -v2
	v_mul_f32_e32 v1, v4, v12
	v_fma_f32 v172, v3, v11, -v1
	s_clause 0x1
	scratch_load_b128 v[1:4], off, off offset:288
	scratch_load_b128 v[9:12], off, off offset:304
	s_wait_loadcnt_dscnt 0x100
	v_mul_f32_e32 v173, v5, v2
	v_dual_mul_f32 v2, v6, v2 :: v_dual_mul_f32 v175, v7, v4
	s_delay_alu instid0(VALU_DEP_2) | instskip(NEXT) | instid1(VALU_DEP_2)
	v_fmac_f32_e32 v173, v6, v1
	v_fma_f32 v174, v5, v1, -v2
	v_mul_f32_e32 v1, v8, v4
	s_delay_alu instid0(VALU_DEP_4) | instskip(NEXT) | instid1(VALU_DEP_2)
	v_fmac_f32_e32 v175, v8, v3
	v_fma_f32 v176, v7, v3, -v1
	ds_load_b128 v[1:4], v21 offset:784
	ds_load_b128 v[5:8], v21 offset:800
	s_wait_loadcnt_dscnt 0x1
	v_mul_f32_e32 v177, v1, v10
	v_mul_f32_e32 v179, v3, v12
	s_delay_alu instid0(VALU_DEP_2) | instskip(NEXT) | instid1(VALU_DEP_2)
	v_fmac_f32_e32 v177, v2, v9
	v_dual_mul_f32 v2, v2, v10 :: v_dual_fmac_f32 v179, v4, v11
	s_delay_alu instid0(VALU_DEP_1) | instskip(SKIP_1) | instid1(VALU_DEP_1)
	v_fma_f32 v178, v1, v9, -v2
	v_mul_f32_e32 v1, v4, v12
	v_fma_f32 v180, v3, v11, -v1
	s_clause 0x1
	scratch_load_b128 v[1:4], off, off offset:320
	scratch_load_b128 v[9:12], off, off offset:336
	s_wait_loadcnt_dscnt 0x100
	v_mul_f32_e32 v181, v5, v2
	v_dual_mul_f32 v2, v6, v2 :: v_dual_mul_f32 v183, v7, v4
	s_delay_alu instid0(VALU_DEP_2) | instskip(NEXT) | instid1(VALU_DEP_2)
	v_fmac_f32_e32 v181, v6, v1
	v_fma_f32 v182, v5, v1, -v2
	v_mul_f32_e32 v1, v8, v4
	s_delay_alu instid0(VALU_DEP_4) | instskip(NEXT) | instid1(VALU_DEP_2)
	v_fmac_f32_e32 v183, v8, v3
	v_fma_f32 v184, v7, v3, -v1
	ds_load_b128 v[1:4], v21 offset:816
	ds_load_b128 v[5:8], v21 offset:832
	s_wait_loadcnt_dscnt 0x1
	v_mul_f32_e32 v185, v1, v10
	v_mul_f32_e32 v187, v3, v12
	s_delay_alu instid0(VALU_DEP_2) | instskip(NEXT) | instid1(VALU_DEP_2)
	v_fmac_f32_e32 v185, v2, v9
	v_dual_mul_f32 v2, v2, v10 :: v_dual_fmac_f32 v187, v4, v11
	s_delay_alu instid0(VALU_DEP_1) | instskip(SKIP_1) | instid1(VALU_DEP_1)
	v_fma_f32 v186, v1, v9, -v2
	v_mul_f32_e32 v1, v4, v12
	v_fma_f32 v188, v3, v11, -v1
	s_clause 0x1
	scratch_load_b128 v[1:4], off, off offset:352
	scratch_load_b128 v[9:12], off, off offset:368
	s_wait_loadcnt_dscnt 0x100
	v_mul_f32_e32 v189, v5, v2
	v_dual_mul_f32 v2, v6, v2 :: v_dual_mul_f32 v191, v7, v4
	s_delay_alu instid0(VALU_DEP_2) | instskip(NEXT) | instid1(VALU_DEP_2)
	v_fmac_f32_e32 v189, v6, v1
	v_fma_f32 v190, v5, v1, -v2
	v_mul_f32_e32 v1, v8, v4
	s_delay_alu instid0(VALU_DEP_4) | instskip(NEXT) | instid1(VALU_DEP_2)
	v_fmac_f32_e32 v191, v8, v3
	v_fma_f32 v192, v7, v3, -v1
	ds_load_b128 v[1:4], v21 offset:848
	ds_load_b128 v[5:8], v21 offset:864
	s_wait_loadcnt_dscnt 0x1
	v_mul_f32_e32 v193, v1, v10
	v_mul_f32_e32 v195, v3, v12
	s_delay_alu instid0(VALU_DEP_2) | instskip(NEXT) | instid1(VALU_DEP_2)
	v_fmac_f32_e32 v193, v2, v9
	v_dual_mul_f32 v2, v2, v10 :: v_dual_fmac_f32 v195, v4, v11
	s_delay_alu instid0(VALU_DEP_1) | instskip(SKIP_1) | instid1(VALU_DEP_1)
	v_fma_f32 v194, v1, v9, -v2
	v_mul_f32_e32 v1, v4, v12
	v_fma_f32 v196, v3, v11, -v1
	s_clause 0x1
	scratch_load_b128 v[1:4], off, off offset:384
	scratch_load_b128 v[9:12], off, off offset:400
	s_wait_loadcnt_dscnt 0x100
	v_mul_f32_e32 v197, v5, v2
	v_mul_f32_e32 v2, v6, v2
	s_delay_alu instid0(VALU_DEP_1) | instskip(SKIP_1) | instid1(VALU_DEP_1)
	v_fma_f32 v198, v5, v1, -v2
	v_add_f32_e32 v2, 0, v153
	v_add_f32_e32 v2, v2, v154
	s_delay_alu instid0(VALU_DEP_1) | instskip(NEXT) | instid1(VALU_DEP_1)
	v_add_f32_e32 v2, v2, v24
	v_add_f32_e32 v2, v2, v25
	s_delay_alu instid0(VALU_DEP_1) | instskip(NEXT) | instid1(VALU_DEP_1)
	;; [unrolled: 3-line block ×5, first 2 shown]
	v_add_f32_e32 v2, v2, v19
	v_add_f32_e32 v2, v2, v20
	v_mul_f32_e32 v199, v7, v4
	v_fmac_f32_e32 v197, v6, v1
	s_delay_alu instid0(VALU_DEP_2) | instskip(NEXT) | instid1(VALU_DEP_1)
	v_dual_add_f32 v2, v2, v161 :: v_dual_fmac_f32 v199, v8, v3
	v_dual_add_f32 v2, v2, v162 :: v_dual_mul_f32 v1, v8, v4
	s_delay_alu instid0(VALU_DEP_1) | instskip(NEXT) | instid1(VALU_DEP_2)
	v_add_f32_e32 v2, v2, v165
	v_fma_f32 v200, v7, v3, -v1
	s_delay_alu instid0(VALU_DEP_2) | instskip(NEXT) | instid1(VALU_DEP_1)
	v_dual_add_f32 v1, 0, v22 :: v_dual_add_f32 v2, v2, v167
	v_dual_add_f32 v1, v1, v23 :: v_dual_add_f32 v2, v2, v169
	s_delay_alu instid0(VALU_DEP_1) | instskip(NEXT) | instid1(VALU_DEP_2)
	v_add_f32_e32 v1, v1, v26
	v_add_f32_e32 v5, v2, v171
	s_delay_alu instid0(VALU_DEP_2) | instskip(NEXT) | instid1(VALU_DEP_1)
	v_add_f32_e32 v1, v1, v27
	v_add_f32_e32 v1, v1, v28
	s_delay_alu instid0(VALU_DEP_1) | instskip(NEXT) | instid1(VALU_DEP_1)
	v_add_f32_e32 v1, v1, v29
	v_add_f32_e32 v1, v1, v13
	;; [unrolled: 1-line block ×3, first 2 shown]
	s_delay_alu instid0(VALU_DEP_1) | instskip(NEXT) | instid1(VALU_DEP_1)
	v_add_f32_e32 v13, v13, v175
	v_add_f32_e32 v13, v13, v177
	s_delay_alu instid0(VALU_DEP_1) | instskip(SKIP_1) | instid1(VALU_DEP_1)
	v_add_f32_e32 v18, v13, v179
	v_add_f32_e32 v1, v1, v14
	;; [unrolled: 1-line block ×3, first 2 shown]
	s_delay_alu instid0(VALU_DEP_1) | instskip(NEXT) | instid1(VALU_DEP_1)
	v_add_f32_e32 v1, v1, v17
	v_add_f32_e32 v1, v1, v158
	s_delay_alu instid0(VALU_DEP_1) | instskip(NEXT) | instid1(VALU_DEP_1)
	v_add_f32_e32 v1, v1, v159
	v_add_f32_e32 v1, v1, v163
	;; [unrolled: 3-line block ×5, first 2 shown]
	ds_load_b128 v[1:4], v21 offset:880
	v_add_f32_e32 v18, v18, v181
	v_add_f32_e32 v14, v6, v176
	scratch_load_b128 v[5:8], off, off offset:416
	v_add_f32_e32 v18, v18, v183
	v_add_f32_e32 v14, v14, v178
	s_delay_alu instid0(VALU_DEP_2) | instskip(NEXT) | instid1(VALU_DEP_2)
	v_add_f32_e32 v22, v18, v185
	v_add_f32_e32 v17, v14, v180
	ds_load_b128 v[13:16], v21 offset:896
	s_wait_loadcnt_dscnt 0x101
	v_dual_add_f32 v22, v22, v187 :: v_dual_mul_f32 v25, v1, v10
	v_mul_f32_e32 v10, v2, v10
	v_mul_f32_e32 v26, v3, v12
	;; [unrolled: 1-line block ×3, first 2 shown]
	s_delay_alu instid0(VALU_DEP_4)
	v_add_f32_e32 v22, v22, v189
	v_fmac_f32_e32 v25, v2, v9
	v_fma_f32 v27, v1, v9, -v10
	v_fmac_f32_e32 v26, v4, v11
	v_fma_f32 v28, v3, v11, -v12
	s_clause 0x1
	scratch_load_b128 v[1:4], off, off offset:432
	scratch_load_b128 v[9:12], off, off offset:448
	s_wait_loadcnt_dscnt 0x200
	v_mul_f32_e32 v29, v13, v6
	v_mul_f32_e32 v6, v14, v6
	;; [unrolled: 1-line block ×3, first 2 shown]
	s_delay_alu instid0(VALU_DEP_3) | instskip(NEXT) | instid1(VALU_DEP_3)
	v_dual_mul_f32 v8, v16, v8 :: v_dual_fmac_f32 v29, v14, v5
	v_fma_f32 v153, v13, v5, -v6
	s_delay_alu instid0(VALU_DEP_3) | instskip(NEXT) | instid1(VALU_DEP_3)
	v_fmac_f32_e32 v32, v16, v7
	v_fma_f32 v154, v15, v7, -v8
	ds_load_b128 v[5:8], v21 offset:912
	v_add_f32_e32 v17, v17, v182
	v_add_f32_e32 v13, v22, v191
	s_delay_alu instid0(VALU_DEP_2) | instskip(NEXT) | instid1(VALU_DEP_1)
	v_add_f32_e32 v17, v17, v184
	v_add_f32_e32 v17, v17, v186
	s_delay_alu instid0(VALU_DEP_1) | instskip(SKIP_2) | instid1(VALU_DEP_1)
	v_add_f32_e32 v23, v17, v188
	scratch_load_b128 v[17:20], off, off offset:464
	v_add_f32_e32 v23, v23, v190
	v_add_f32_e32 v23, v23, v192
	s_delay_alu instid0(VALU_DEP_1)
	v_dual_add_f32 v22, v23, v194 :: v_dual_add_f32 v23, v13, v193
	ds_load_b128 v[13:16], v21 offset:928
	s_wait_loadcnt_dscnt 0x201
	v_mul_f32_e32 v158, v5, v2
	v_mul_f32_e32 v2, v6, v2
	v_dual_add_f32 v156, v22, v196 :: v_dual_add_f32 v157, v23, v195
	ds_load_b128 v[21:24], v21 offset:944
	v_fmac_f32_e32 v158, v6, v1
	v_fma_f32 v2, v5, v1, -v2
	v_add_f32_e32 v156, v156, v198
	s_delay_alu instid0(VALU_DEP_1) | instskip(NEXT) | instid1(VALU_DEP_1)
	v_add_f32_e32 v156, v156, v200
	v_dual_add_f32 v27, v156, v27 :: v_dual_mul_f32 v156, v7, v4
	v_mul_f32_e32 v4, v8, v4
	s_wait_loadcnt_dscnt 0x101
	v_dual_mul_f32 v6, v14, v10 :: v_dual_mul_f32 v159, v15, v12
	s_delay_alu instid0(VALU_DEP_3) | instskip(NEXT) | instid1(VALU_DEP_3)
	v_dual_add_f32 v27, v27, v28 :: v_dual_fmac_f32 v156, v8, v3
	v_fma_f32 v3, v7, v3, -v4
	v_mul_f32_e32 v4, v16, v12
	s_delay_alu instid0(VALU_DEP_4) | instskip(NEXT) | instid1(VALU_DEP_4)
	v_fmac_f32_e32 v159, v16, v11
	v_add_f32_e32 v27, v27, v153
	s_delay_alu instid0(VALU_DEP_3) | instskip(NEXT) | instid1(VALU_DEP_2)
	v_fma_f32 v4, v15, v11, -v4
	v_add_f32_e32 v1, v27, v154
	s_delay_alu instid0(VALU_DEP_1) | instskip(SKIP_1) | instid1(VALU_DEP_1)
	v_add_f32_e32 v1, v1, v2
	s_wait_loadcnt_dscnt 0x0
	v_dual_add_f32 v1, v1, v3 :: v_dual_mul_f32 v28, v23, v20
	s_delay_alu instid0(VALU_DEP_1) | instskip(SKIP_1) | instid1(VALU_DEP_2)
	v_dual_mul_f32 v3, v22, v18 :: v_dual_fmac_f32 v28, v24, v19
	v_add_f32_e32 v157, v157, v197
	v_fma_f32 v3, v21, v17, -v3
	s_delay_alu instid0(VALU_DEP_2) | instskip(NEXT) | instid1(VALU_DEP_1)
	v_add_f32_e32 v157, v157, v199
	v_add_f32_e32 v25, v157, v25
	v_mul_f32_e32 v157, v13, v10
	s_delay_alu instid0(VALU_DEP_2) | instskip(NEXT) | instid1(VALU_DEP_2)
	v_add_f32_e32 v25, v25, v26
	v_dual_fmac_f32 v157, v14, v9 :: v_dual_mul_f32 v26, v21, v18
	s_delay_alu instid0(VALU_DEP_2) | instskip(NEXT) | instid1(VALU_DEP_1)
	v_add_f32_e32 v25, v25, v29
	v_dual_fmac_f32 v26, v22, v17 :: v_dual_add_f32 v5, v25, v32
	s_delay_alu instid0(VALU_DEP_1) | instskip(SKIP_1) | instid1(VALU_DEP_1)
	v_add_f32_e32 v2, v5, v158
	v_fma_f32 v5, v13, v9, -v6
	v_dual_add_f32 v2, v2, v156 :: v_dual_add_f32 v1, v1, v5
	s_delay_alu instid0(VALU_DEP_1) | instskip(NEXT) | instid1(VALU_DEP_2)
	v_dual_mul_f32 v5, v24, v20 :: v_dual_add_f32 v2, v2, v157
	v_add_f32_e32 v1, v1, v4
	s_delay_alu instid0(VALU_DEP_2) | instskip(NEXT) | instid1(VALU_DEP_3)
	v_fma_f32 v4, v23, v19, -v5
	v_add_f32_e32 v2, v2, v159
	s_delay_alu instid0(VALU_DEP_1) | instskip(NEXT) | instid1(VALU_DEP_1)
	v_dual_add_f32 v1, v1, v3 :: v_dual_add_f32 v2, v2, v26
	v_add_f32_e32 v1, v1, v4
	s_delay_alu instid0(VALU_DEP_2) | instskip(NEXT) | instid1(VALU_DEP_1)
	v_add_f32_e32 v2, v2, v28
	v_dual_sub_f32 v1, v30, v1 :: v_dual_sub_f32 v2, v31, v2
	scratch_store_b64 off, v[1:2], off offset:136
	v_cmpx_lt_u32_e32 16, v0
	s_cbranch_execz .LBB59_341
; %bb.340:
	scratch_load_b64 v[1:2], off, off offset:128
	v_mov_b32_e32 v3, 0
	s_delay_alu instid0(VALU_DEP_1)
	v_mov_b32_e32 v4, v3
	scratch_store_b64 off, v[3:4], off offset:128
	s_wait_loadcnt 0x0
	ds_store_b64 v155, v[1:2]
.LBB59_341:
	s_wait_alu 0xfffe
	s_or_b32 exec_lo, exec_lo, s0
	s_wait_storecnt_dscnt 0x0
	s_barrier_signal -1
	s_barrier_wait -1
	global_inv scope:SCOPE_SE
	s_clause 0x4
	scratch_load_b128 v[5:8], off, off offset:136
	scratch_load_b128 v[1:4], off, off offset:152
	;; [unrolled: 1-line block ×5, first 2 shown]
	v_mov_b32_e32 v21, 0
	ds_load_2addr_b64 v[22:25], v21 offset0:77 offset1:78
	ds_load_2addr_b64 v[26:29], v21 offset0:79 offset1:80
	;; [unrolled: 1-line block ×3, first 2 shown]
	scratch_load_b64 v[30:31], off, off offset:128
	s_mov_b32 s0, exec_lo
	s_wait_loadcnt_dscnt 0x502
	v_mul_f32_e32 v32, v23, v6
	v_dual_mul_f32 v153, v22, v6 :: v_dual_mul_f32 v154, v24, v8
	v_mul_f32_e32 v6, v25, v8
	s_wait_loadcnt_dscnt 0x300
	v_mul_f32_e32 v160, v158, v12
	v_fma_f32 v22, v22, v5, -v32
	v_dual_fmac_f32 v153, v23, v5 :: v_dual_fmac_f32 v154, v25, v7
	v_mul_f32_e32 v25, v28, v4
	v_fma_f32 v23, v24, v7, -v6
	ds_load_2addr_b64 v[5:8], v21 offset0:83 offset1:84
	v_mul_f32_e32 v24, v26, v2
	v_mul_f32_e32 v4, v29, v4
	;; [unrolled: 1-line block ×5, first 2 shown]
	v_dual_mul_f32 v2, v27, v2 :: v_dual_fmac_f32 v25, v29, v3
	v_fmac_f32_e32 v24, v27, v1
	v_fma_f32 v27, v28, v3, -v4
	v_fmac_f32_e32 v32, v157, v9
	v_fma_f32 v28, v156, v9, -v10
	;; [unrolled: 2-line block ×3, first 2 shown]
	ds_load_2addr_b64 v[9:12], v21 offset0:85 offset1:86
	s_wait_loadcnt_dscnt 0x201
	v_dual_mul_f32 v157, v7, v16 :: v_dual_mul_f32 v156, v5, v14
	v_mul_f32_e32 v14, v6, v14
	v_mul_f32_e32 v16, v8, v16
	s_delay_alu instid0(VALU_DEP_3)
	v_fmac_f32_e32 v157, v8, v15
	v_fma_f32 v26, v26, v1, -v2
	scratch_load_b128 v[1:4], off, off offset:216
	v_fmac_f32_e32 v156, v6, v13
	v_fma_f32 v13, v5, v13, -v14
	v_fma_f32 v14, v7, v15, -v16
	ds_load_2addr_b64 v[5:8], v21 offset0:87 offset1:88
	s_wait_loadcnt_dscnt 0x201
	v_mul_f32_e32 v15, v9, v18
	v_mul_f32_e32 v16, v10, v18
	;; [unrolled: 1-line block ×3, first 2 shown]
	s_delay_alu instid0(VALU_DEP_3) | instskip(NEXT) | instid1(VALU_DEP_3)
	v_dual_mul_f32 v20, v12, v20 :: v_dual_fmac_f32 v15, v10, v17
	v_fma_f32 v16, v9, v17, -v16
	s_delay_alu instid0(VALU_DEP_3) | instskip(NEXT) | instid1(VALU_DEP_3)
	v_fmac_f32_e32 v18, v12, v19
	v_fma_f32 v17, v11, v19, -v20
	scratch_load_b128 v[9:12], off, off offset:232
	s_wait_loadcnt_dscnt 0x100
	v_mul_f32_e32 v19, v5, v2
	v_mul_f32_e32 v2, v6, v2
	;; [unrolled: 1-line block ×3, first 2 shown]
	s_delay_alu instid0(VALU_DEP_3) | instskip(NEXT) | instid1(VALU_DEP_3)
	v_dual_mul_f32 v4, v8, v4 :: v_dual_fmac_f32 v19, v6, v1
	v_fma_f32 v158, v5, v1, -v2
	s_delay_alu instid0(VALU_DEP_3) | instskip(NEXT) | instid1(VALU_DEP_3)
	v_fmac_f32_e32 v20, v8, v3
	v_fma_f32 v159, v7, v3, -v4
	ds_load_2addr_b64 v[1:4], v21 offset0:89 offset1:90
	ds_load_2addr_b64 v[5:8], v21 offset0:91 offset1:92
	s_wait_loadcnt_dscnt 0x1
	v_mul_f32_e32 v161, v1, v10
	v_mul_f32_e32 v10, v2, v10
	s_delay_alu instid0(VALU_DEP_2) | instskip(NEXT) | instid1(VALU_DEP_2)
	v_dual_mul_f32 v162, v3, v12 :: v_dual_fmac_f32 v161, v2, v9
	v_fma_f32 v163, v1, v9, -v10
	v_mul_f32_e32 v1, v4, v12
	s_delay_alu instid0(VALU_DEP_3) | instskip(NEXT) | instid1(VALU_DEP_2)
	v_fmac_f32_e32 v162, v4, v11
	v_fma_f32 v164, v3, v11, -v1
	s_clause 0x1
	scratch_load_b128 v[1:4], off, off offset:248
	scratch_load_b128 v[9:12], off, off offset:264
	s_wait_loadcnt_dscnt 0x100
	v_mul_f32_e32 v165, v5, v2
	v_dual_mul_f32 v2, v6, v2 :: v_dual_mul_f32 v167, v7, v4
	s_delay_alu instid0(VALU_DEP_2) | instskip(NEXT) | instid1(VALU_DEP_2)
	v_fmac_f32_e32 v165, v6, v1
	v_fma_f32 v166, v5, v1, -v2
	v_mul_f32_e32 v1, v8, v4
	s_delay_alu instid0(VALU_DEP_4) | instskip(NEXT) | instid1(VALU_DEP_2)
	v_fmac_f32_e32 v167, v8, v3
	v_fma_f32 v168, v7, v3, -v1
	ds_load_2addr_b64 v[1:4], v21 offset0:93 offset1:94
	ds_load_2addr_b64 v[5:8], v21 offset0:95 offset1:96
	s_wait_loadcnt_dscnt 0x1
	v_mul_f32_e32 v169, v1, v10
	v_mul_f32_e32 v171, v3, v12
	s_delay_alu instid0(VALU_DEP_2) | instskip(NEXT) | instid1(VALU_DEP_2)
	v_fmac_f32_e32 v169, v2, v9
	v_dual_mul_f32 v2, v2, v10 :: v_dual_fmac_f32 v171, v4, v11
	s_delay_alu instid0(VALU_DEP_1) | instskip(SKIP_1) | instid1(VALU_DEP_1)
	v_fma_f32 v170, v1, v9, -v2
	v_mul_f32_e32 v1, v4, v12
	v_fma_f32 v172, v3, v11, -v1
	s_clause 0x1
	scratch_load_b128 v[1:4], off, off offset:280
	scratch_load_b128 v[9:12], off, off offset:296
	s_wait_loadcnt_dscnt 0x100
	v_mul_f32_e32 v173, v5, v2
	v_dual_mul_f32 v2, v6, v2 :: v_dual_mul_f32 v175, v7, v4
	s_delay_alu instid0(VALU_DEP_2) | instskip(NEXT) | instid1(VALU_DEP_2)
	v_fmac_f32_e32 v173, v6, v1
	v_fma_f32 v174, v5, v1, -v2
	v_mul_f32_e32 v1, v8, v4
	s_delay_alu instid0(VALU_DEP_4) | instskip(NEXT) | instid1(VALU_DEP_2)
	v_fmac_f32_e32 v175, v8, v3
	v_fma_f32 v176, v7, v3, -v1
	ds_load_2addr_b64 v[1:4], v21 offset0:97 offset1:98
	ds_load_2addr_b64 v[5:8], v21 offset0:99 offset1:100
	s_wait_loadcnt_dscnt 0x1
	v_mul_f32_e32 v177, v1, v10
	v_mul_f32_e32 v179, v3, v12
	s_delay_alu instid0(VALU_DEP_2) | instskip(NEXT) | instid1(VALU_DEP_2)
	v_fmac_f32_e32 v177, v2, v9
	v_dual_mul_f32 v2, v2, v10 :: v_dual_fmac_f32 v179, v4, v11
	s_delay_alu instid0(VALU_DEP_1) | instskip(SKIP_1) | instid1(VALU_DEP_1)
	v_fma_f32 v178, v1, v9, -v2
	v_mul_f32_e32 v1, v4, v12
	;; [unrolled: 25-line block ×4, first 2 shown]
	v_fma_f32 v196, v3, v11, -v1
	s_clause 0x1
	scratch_load_b128 v[1:4], off, off offset:376
	scratch_load_b128 v[9:12], off, off offset:392
	s_wait_loadcnt_dscnt 0x100
	v_mul_f32_e32 v197, v5, v2
	v_mul_f32_e32 v2, v6, v2
	s_delay_alu instid0(VALU_DEP_1) | instskip(SKIP_1) | instid1(VALU_DEP_1)
	v_fma_f32 v198, v5, v1, -v2
	v_add_f32_e32 v2, 0, v153
	v_add_f32_e32 v2, v2, v154
	s_delay_alu instid0(VALU_DEP_1) | instskip(NEXT) | instid1(VALU_DEP_1)
	v_add_f32_e32 v2, v2, v24
	v_add_f32_e32 v2, v2, v25
	s_delay_alu instid0(VALU_DEP_1) | instskip(NEXT) | instid1(VALU_DEP_1)
	;; [unrolled: 3-line block ×5, first 2 shown]
	v_add_f32_e32 v2, v2, v19
	v_add_f32_e32 v2, v2, v20
	v_mul_f32_e32 v199, v7, v4
	v_fmac_f32_e32 v197, v6, v1
	s_delay_alu instid0(VALU_DEP_2) | instskip(NEXT) | instid1(VALU_DEP_1)
	v_dual_add_f32 v2, v2, v161 :: v_dual_fmac_f32 v199, v8, v3
	v_dual_add_f32 v2, v2, v162 :: v_dual_mul_f32 v1, v8, v4
	s_delay_alu instid0(VALU_DEP_1) | instskip(NEXT) | instid1(VALU_DEP_2)
	v_add_f32_e32 v2, v2, v165
	v_fma_f32 v200, v7, v3, -v1
	s_delay_alu instid0(VALU_DEP_2) | instskip(NEXT) | instid1(VALU_DEP_1)
	v_dual_add_f32 v1, 0, v22 :: v_dual_add_f32 v2, v2, v167
	v_dual_add_f32 v1, v1, v23 :: v_dual_add_f32 v2, v2, v169
	s_delay_alu instid0(VALU_DEP_1) | instskip(NEXT) | instid1(VALU_DEP_2)
	v_add_f32_e32 v1, v1, v26
	v_add_f32_e32 v5, v2, v171
	s_delay_alu instid0(VALU_DEP_2) | instskip(SKIP_2) | instid1(VALU_DEP_1)
	v_add_f32_e32 v1, v1, v27
	scratch_load_b64 v[26:27], off, off offset:472
	v_add_f32_e32 v1, v1, v28
	v_add_f32_e32 v1, v1, v29
	s_delay_alu instid0(VALU_DEP_1) | instskip(SKIP_1) | instid1(VALU_DEP_2)
	v_add_f32_e32 v1, v1, v13
	v_add_f32_e32 v13, v5, v173
	;; [unrolled: 1-line block ×3, first 2 shown]
	s_delay_alu instid0(VALU_DEP_2) | instskip(NEXT) | instid1(VALU_DEP_2)
	v_add_f32_e32 v13, v13, v175
	v_add_f32_e32 v1, v1, v16
	s_delay_alu instid0(VALU_DEP_1) | instskip(NEXT) | instid1(VALU_DEP_1)
	v_add_f32_e32 v1, v1, v17
	v_add_f32_e32 v1, v1, v158
	s_delay_alu instid0(VALU_DEP_1) | instskip(NEXT) | instid1(VALU_DEP_1)
	;; [unrolled: 3-line block ×5, first 2 shown]
	v_add_f32_e32 v1, v1, v172
	v_add_f32_e32 v6, v1, v174
	scratch_load_b128 v[1:4], off, off offset:408
	v_dual_add_f32 v13, v13, v177 :: v_dual_add_f32 v14, v6, v176
	ds_load_2addr_b64 v[5:8], v21 offset0:109 offset1:110
	v_add_f32_e32 v18, v13, v179
	v_add_f32_e32 v14, v14, v178
	s_delay_alu instid0(VALU_DEP_2) | instskip(NEXT) | instid1(VALU_DEP_2)
	v_add_f32_e32 v18, v18, v181
	v_add_f32_e32 v17, v14, v180
	ds_load_2addr_b64 v[13:16], v21 offset0:111 offset1:112
	v_add_f32_e32 v18, v18, v183
	s_wait_loadcnt_dscnt 0x201
	v_mul_f32_e32 v32, v5, v10
	s_delay_alu instid0(VALU_DEP_2) | instskip(SKIP_2) | instid1(VALU_DEP_4)
	v_add_f32_e32 v22, v18, v185
	v_dual_mul_f32 v10, v6, v10 :: v_dual_mul_f32 v153, v7, v12
	v_mul_f32_e32 v12, v8, v12
	v_fmac_f32_e32 v32, v6, v9
	s_delay_alu instid0(VALU_DEP_4) | instskip(NEXT) | instid1(VALU_DEP_4)
	v_add_f32_e32 v22, v22, v187
	v_fma_f32 v154, v5, v9, -v10
	v_fmac_f32_e32 v153, v8, v11
	v_fma_f32 v156, v7, v11, -v12
	scratch_load_b128 v[5:8], off, off offset:424
	v_add_f32_e32 v22, v22, v189
	scratch_load_b128 v[9:12], off, off offset:440
	s_wait_loadcnt_dscnt 0x200
	v_dual_add_f32 v22, v22, v191 :: v_dual_mul_f32 v157, v13, v2
	v_mul_f32_e32 v2, v14, v2
	v_mul_f32_e32 v158, v15, v4
	s_delay_alu instid0(VALU_DEP_3) | instskip(NEXT) | instid1(VALU_DEP_3)
	v_dual_mul_f32 v4, v16, v4 :: v_dual_fmac_f32 v157, v14, v1
	v_fma_f32 v159, v13, v1, -v2
	v_add_f32_e32 v13, v22, v193
	s_delay_alu instid0(VALU_DEP_3) | instskip(SKIP_4) | instid1(VALU_DEP_2)
	v_fma_f32 v160, v15, v3, -v4
	v_fmac_f32_e32 v158, v16, v3
	ds_load_2addr_b64 v[1:4], v21 offset0:113 offset1:114
	v_add_f32_e32 v22, v13, v195
	v_add_f32_e32 v17, v17, v182
	;; [unrolled: 1-line block ×3, first 2 shown]
	s_delay_alu instid0(VALU_DEP_1) | instskip(NEXT) | instid1(VALU_DEP_1)
	v_add_f32_e32 v162, v29, v199
	v_add_f32_e32 v32, v162, v32
	s_delay_alu instid0(VALU_DEP_1) | instskip(NEXT) | instid1(VALU_DEP_1)
	v_dual_add_f32 v32, v32, v153 :: v_dual_add_f32 v17, v17, v184
	v_dual_add_f32 v32, v32, v157 :: v_dual_add_f32 v17, v17, v186
	s_delay_alu instid0(VALU_DEP_1) | instskip(SKIP_2) | instid1(VALU_DEP_1)
	v_dual_add_f32 v32, v32, v158 :: v_dual_add_f32 v23, v17, v188
	scratch_load_b128 v[17:20], off, off offset:456
	v_add_f32_e32 v23, v23, v190
	v_add_f32_e32 v23, v23, v192
	s_delay_alu instid0(VALU_DEP_1) | instskip(NEXT) | instid1(VALU_DEP_1)
	v_add_f32_e32 v23, v23, v194
	v_add_f32_e32 v14, v23, v196
	ds_load_2addr_b64 v[22:25], v21 offset0:117 offset1:118
	v_add_f32_e32 v28, v14, v198
	ds_load_2addr_b64 v[13:16], v21 offset0:115 offset1:116
	s_wait_loadcnt_dscnt 0x100
	v_mul_f32_e32 v157, v15, v12
	s_delay_alu instid0(VALU_DEP_1) | instskip(SKIP_3) | instid1(VALU_DEP_1)
	v_fmac_f32_e32 v157, v16, v11
	v_add_f32_e32 v161, v28, v200
	ds_load_b64 v[28:29], v21 offset:952
	v_add_f32_e32 v154, v161, v154
	v_add_f32_e32 v154, v154, v156
	v_mul_f32_e32 v156, v13, v10
	s_delay_alu instid0(VALU_DEP_2) | instskip(NEXT) | instid1(VALU_DEP_2)
	v_add_f32_e32 v154, v154, v159
	v_fmac_f32_e32 v156, v14, v9
	s_delay_alu instid0(VALU_DEP_2) | instskip(SKIP_2) | instid1(VALU_DEP_1)
	v_add_f32_e32 v154, v154, v160
	s_wait_dscnt 0x0
	v_mul_f32_e32 v158, v28, v27
	v_fmac_f32_e32 v158, v29, v26
	s_wait_loadcnt 0x0
	v_dual_mul_f32 v159, v22, v18 :: v_dual_mul_f32 v160, v24, v20
	s_delay_alu instid0(VALU_DEP_1) | instskip(SKIP_2) | instid1(VALU_DEP_4)
	v_fmac_f32_e32 v159, v23, v17
	v_mul_f32_e32 v153, v3, v8
	v_mul_f32_e32 v8, v4, v8
	v_fmac_f32_e32 v160, v25, v19
	s_delay_alu instid0(VALU_DEP_3) | instskip(SKIP_2) | instid1(VALU_DEP_2)
	v_fmac_f32_e32 v153, v4, v7
	v_mul_f32_e32 v161, v1, v6
	v_mul_f32_e32 v6, v2, v6
	v_fmac_f32_e32 v161, v2, v5
	s_delay_alu instid0(VALU_DEP_2) | instskip(SKIP_1) | instid1(VALU_DEP_3)
	v_fma_f32 v1, v1, v5, -v6
	v_fma_f32 v2, v3, v7, -v8
	v_dual_mul_f32 v3, v14, v10 :: v_dual_add_f32 v4, v32, v161
	s_delay_alu instid0(VALU_DEP_3) | instskip(NEXT) | instid1(VALU_DEP_2)
	v_add_f32_e32 v1, v154, v1
	v_fma_f32 v3, v13, v9, -v3
	s_delay_alu instid0(VALU_DEP_2) | instskip(SKIP_1) | instid1(VALU_DEP_2)
	v_dual_add_f32 v1, v1, v2 :: v_dual_add_f32 v2, v4, v153
	v_mul_f32_e32 v4, v23, v18
	v_add_f32_e32 v2, v2, v156
	s_delay_alu instid0(VALU_DEP_2) | instskip(NEXT) | instid1(VALU_DEP_2)
	v_fma_f32 v4, v22, v17, -v4
	v_add_f32_e32 v2, v2, v157
	s_delay_alu instid0(VALU_DEP_1) | instskip(NEXT) | instid1(VALU_DEP_1)
	v_add_f32_e32 v2, v2, v159
	v_add_f32_e32 v2, v2, v160
	v_mul_f32_e32 v5, v16, v12
	v_add_f32_e32 v1, v1, v3
	s_delay_alu instid0(VALU_DEP_3) | instskip(NEXT) | instid1(VALU_DEP_3)
	v_dual_mul_f32 v3, v25, v20 :: v_dual_add_f32 v2, v2, v158
	v_fma_f32 v5, v15, v11, -v5
	s_delay_alu instid0(VALU_DEP_2) | instskip(NEXT) | instid1(VALU_DEP_2)
	v_fma_f32 v3, v24, v19, -v3
	v_dual_sub_f32 v2, v31, v2 :: v_dual_add_f32 v1, v1, v5
	v_mul_f32_e32 v5, v29, v27
	s_delay_alu instid0(VALU_DEP_2) | instskip(NEXT) | instid1(VALU_DEP_2)
	v_add_f32_e32 v1, v1, v4
	v_fma_f32 v4, v28, v26, -v5
	s_delay_alu instid0(VALU_DEP_2) | instskip(NEXT) | instid1(VALU_DEP_1)
	v_add_f32_e32 v1, v1, v3
	v_add_f32_e32 v1, v1, v4
	s_delay_alu instid0(VALU_DEP_1)
	v_sub_f32_e32 v1, v30, v1
	scratch_store_b64 off, v[1:2], off offset:128
	v_cmpx_lt_u32_e32 15, v0
	s_cbranch_execz .LBB59_343
; %bb.342:
	scratch_load_b64 v[1:2], off, off offset:120
	v_mov_b32_e32 v22, v21
	scratch_store_b64 off, v[21:22], off offset:120
	s_wait_loadcnt 0x0
	ds_store_b64 v155, v[1:2]
.LBB59_343:
	s_wait_alu 0xfffe
	s_or_b32 exec_lo, exec_lo, s0
	s_wait_storecnt_dscnt 0x0
	s_barrier_signal -1
	s_barrier_wait -1
	global_inv scope:SCOPE_SE
	s_clause 0x4
	scratch_load_b128 v[5:8], off, off offset:128
	scratch_load_b128 v[1:4], off, off offset:144
	;; [unrolled: 1-line block ×5, first 2 shown]
	ds_load_b128 v[22:25], v21 offset:608
	ds_load_b128 v[26:29], v21 offset:624
	;; [unrolled: 1-line block ×3, first 2 shown]
	scratch_load_b64 v[30:31], off, off offset:120
	s_mov_b32 s0, exec_lo
	s_wait_loadcnt_dscnt 0x502
	v_mul_f32_e32 v32, v23, v6
	v_dual_mul_f32 v153, v22, v6 :: v_dual_mul_f32 v154, v24, v8
	v_mul_f32_e32 v6, v25, v8
	s_wait_loadcnt_dscnt 0x300
	v_mul_f32_e32 v160, v158, v12
	v_mul_f32_e32 v12, v159, v12
	v_dual_fmac_f32 v153, v23, v5 :: v_dual_fmac_f32 v154, v25, v7
	v_fma_f32 v23, v24, v7, -v6
	v_mul_f32_e32 v25, v28, v4
	v_fma_f32 v22, v22, v5, -v32
	ds_load_b128 v[5:8], v21 offset:656
	v_mul_f32_e32 v24, v26, v2
	v_mul_f32_e32 v4, v29, v4
	;; [unrolled: 1-line block ×4, first 2 shown]
	v_dual_mul_f32 v2, v27, v2 :: v_dual_fmac_f32 v25, v29, v3
	v_fmac_f32_e32 v24, v27, v1
	v_fma_f32 v27, v28, v3, -v4
	v_fmac_f32_e32 v32, v157, v9
	v_fma_f32 v28, v156, v9, -v10
	;; [unrolled: 2-line block ×3, first 2 shown]
	ds_load_b128 v[9:12], v21 offset:672
	s_wait_loadcnt_dscnt 0x201
	v_dual_mul_f32 v157, v7, v16 :: v_dual_mul_f32 v156, v5, v14
	v_mul_f32_e32 v14, v6, v14
	v_mul_f32_e32 v16, v8, v16
	s_delay_alu instid0(VALU_DEP_3)
	v_fmac_f32_e32 v157, v8, v15
	v_fma_f32 v26, v26, v1, -v2
	scratch_load_b128 v[1:4], off, off offset:208
	v_fmac_f32_e32 v156, v6, v13
	v_fma_f32 v13, v5, v13, -v14
	v_fma_f32 v14, v7, v15, -v16
	ds_load_b128 v[5:8], v21 offset:688
	s_wait_loadcnt_dscnt 0x201
	v_mul_f32_e32 v15, v9, v18
	v_mul_f32_e32 v16, v10, v18
	;; [unrolled: 1-line block ×3, first 2 shown]
	s_delay_alu instid0(VALU_DEP_3) | instskip(NEXT) | instid1(VALU_DEP_3)
	v_dual_mul_f32 v20, v12, v20 :: v_dual_fmac_f32 v15, v10, v17
	v_fma_f32 v16, v9, v17, -v16
	s_delay_alu instid0(VALU_DEP_3) | instskip(NEXT) | instid1(VALU_DEP_3)
	v_fmac_f32_e32 v18, v12, v19
	v_fma_f32 v17, v11, v19, -v20
	scratch_load_b128 v[9:12], off, off offset:224
	s_wait_loadcnt_dscnt 0x100
	v_mul_f32_e32 v19, v5, v2
	v_mul_f32_e32 v2, v6, v2
	;; [unrolled: 1-line block ×3, first 2 shown]
	s_delay_alu instid0(VALU_DEP_3) | instskip(NEXT) | instid1(VALU_DEP_3)
	v_dual_mul_f32 v4, v8, v4 :: v_dual_fmac_f32 v19, v6, v1
	v_fma_f32 v158, v5, v1, -v2
	s_delay_alu instid0(VALU_DEP_3) | instskip(NEXT) | instid1(VALU_DEP_3)
	v_fmac_f32_e32 v20, v8, v3
	v_fma_f32 v159, v7, v3, -v4
	ds_load_b128 v[1:4], v21 offset:704
	ds_load_b128 v[5:8], v21 offset:720
	s_wait_loadcnt_dscnt 0x1
	v_mul_f32_e32 v161, v1, v10
	v_mul_f32_e32 v10, v2, v10
	s_delay_alu instid0(VALU_DEP_2) | instskip(NEXT) | instid1(VALU_DEP_2)
	v_dual_mul_f32 v162, v3, v12 :: v_dual_fmac_f32 v161, v2, v9
	v_fma_f32 v163, v1, v9, -v10
	v_mul_f32_e32 v1, v4, v12
	s_delay_alu instid0(VALU_DEP_3) | instskip(NEXT) | instid1(VALU_DEP_2)
	v_fmac_f32_e32 v162, v4, v11
	v_fma_f32 v164, v3, v11, -v1
	s_clause 0x1
	scratch_load_b128 v[1:4], off, off offset:240
	scratch_load_b128 v[9:12], off, off offset:256
	s_wait_loadcnt_dscnt 0x100
	v_mul_f32_e32 v165, v5, v2
	v_dual_mul_f32 v2, v6, v2 :: v_dual_mul_f32 v167, v7, v4
	s_delay_alu instid0(VALU_DEP_2) | instskip(NEXT) | instid1(VALU_DEP_2)
	v_fmac_f32_e32 v165, v6, v1
	v_fma_f32 v166, v5, v1, -v2
	v_mul_f32_e32 v1, v8, v4
	s_delay_alu instid0(VALU_DEP_4) | instskip(NEXT) | instid1(VALU_DEP_2)
	v_fmac_f32_e32 v167, v8, v3
	v_fma_f32 v168, v7, v3, -v1
	ds_load_b128 v[1:4], v21 offset:736
	ds_load_b128 v[5:8], v21 offset:752
	s_wait_loadcnt_dscnt 0x1
	v_mul_f32_e32 v169, v1, v10
	v_mul_f32_e32 v171, v3, v12
	s_delay_alu instid0(VALU_DEP_2) | instskip(NEXT) | instid1(VALU_DEP_2)
	v_fmac_f32_e32 v169, v2, v9
	v_dual_mul_f32 v2, v2, v10 :: v_dual_fmac_f32 v171, v4, v11
	s_delay_alu instid0(VALU_DEP_1) | instskip(SKIP_1) | instid1(VALU_DEP_1)
	v_fma_f32 v170, v1, v9, -v2
	v_mul_f32_e32 v1, v4, v12
	v_fma_f32 v172, v3, v11, -v1
	s_clause 0x1
	scratch_load_b128 v[1:4], off, off offset:272
	scratch_load_b128 v[9:12], off, off offset:288
	s_wait_loadcnt_dscnt 0x100
	v_mul_f32_e32 v173, v5, v2
	v_dual_mul_f32 v2, v6, v2 :: v_dual_mul_f32 v175, v7, v4
	s_delay_alu instid0(VALU_DEP_2) | instskip(NEXT) | instid1(VALU_DEP_2)
	v_fmac_f32_e32 v173, v6, v1
	v_fma_f32 v174, v5, v1, -v2
	v_mul_f32_e32 v1, v8, v4
	s_delay_alu instid0(VALU_DEP_4) | instskip(NEXT) | instid1(VALU_DEP_2)
	v_fmac_f32_e32 v175, v8, v3
	v_fma_f32 v176, v7, v3, -v1
	ds_load_b128 v[1:4], v21 offset:768
	ds_load_b128 v[5:8], v21 offset:784
	s_wait_loadcnt_dscnt 0x1
	v_mul_f32_e32 v177, v1, v10
	v_mul_f32_e32 v179, v3, v12
	s_delay_alu instid0(VALU_DEP_2) | instskip(NEXT) | instid1(VALU_DEP_2)
	v_fmac_f32_e32 v177, v2, v9
	v_dual_mul_f32 v2, v2, v10 :: v_dual_fmac_f32 v179, v4, v11
	s_delay_alu instid0(VALU_DEP_1) | instskip(SKIP_1) | instid1(VALU_DEP_1)
	v_fma_f32 v178, v1, v9, -v2
	v_mul_f32_e32 v1, v4, v12
	;; [unrolled: 25-line block ×5, first 2 shown]
	v_fma_f32 v204, v3, v11, -v1
	s_clause 0x1
	scratch_load_b128 v[1:4], off, off offset:400
	scratch_load_b128 v[9:12], off, off offset:416
	s_wait_loadcnt_dscnt 0x100
	v_mul_f32_e32 v205, v5, v2
	v_mul_f32_e32 v2, v6, v2
	s_delay_alu instid0(VALU_DEP_1) | instskip(SKIP_1) | instid1(VALU_DEP_1)
	v_fma_f32 v206, v5, v1, -v2
	v_add_f32_e32 v2, 0, v153
	v_add_f32_e32 v2, v2, v154
	s_delay_alu instid0(VALU_DEP_1) | instskip(NEXT) | instid1(VALU_DEP_1)
	v_add_f32_e32 v2, v2, v24
	v_add_f32_e32 v2, v2, v25
	s_delay_alu instid0(VALU_DEP_1) | instskip(NEXT) | instid1(VALU_DEP_1)
	;; [unrolled: 3-line block ×8, first 2 shown]
	v_add_f32_e32 v2, v2, v169
	v_add_f32_e32 v2, v2, v171
	v_fmac_f32_e32 v205, v6, v1
	s_delay_alu instid0(VALU_DEP_2) | instskip(NEXT) | instid1(VALU_DEP_1)
	v_dual_mul_f32 v207, v7, v4 :: v_dual_add_f32 v2, v2, v173
	v_dual_mul_f32 v1, v8, v4 :: v_dual_add_f32 v2, v2, v175
	s_delay_alu instid0(VALU_DEP_1) | instskip(SKIP_1) | instid1(VALU_DEP_3)
	v_fma_f32 v208, v7, v3, -v1
	v_add_f32_e32 v1, 0, v22
	v_add_f32_e32 v5, v2, v177
	s_delay_alu instid0(VALU_DEP_2) | instskip(NEXT) | instid1(VALU_DEP_2)
	v_add_f32_e32 v1, v1, v23
	v_add_f32_e32 v5, v5, v179
	s_delay_alu instid0(VALU_DEP_2) | instskip(NEXT) | instid1(VALU_DEP_1)
	v_add_f32_e32 v1, v1, v26
	v_add_f32_e32 v1, v1, v27
	s_delay_alu instid0(VALU_DEP_1) | instskip(NEXT) | instid1(VALU_DEP_1)
	v_add_f32_e32 v1, v1, v28
	v_add_f32_e32 v1, v1, v29
	s_delay_alu instid0(VALU_DEP_1) | instskip(NEXT) | instid1(VALU_DEP_1)
	;; [unrolled: 3-line block ×9, first 2 shown]
	v_add_f32_e32 v1, v1, v178
	v_dual_add_f32 v6, v1, v180 :: v_dual_fmac_f32 v207, v8, v3
	ds_load_b128 v[1:4], v21 offset:896
	v_dual_add_f32 v5, v5, v181 :: v_dual_add_f32 v6, v6, v182
	s_delay_alu instid0(VALU_DEP_1) | instskip(SKIP_2) | instid1(VALU_DEP_1)
	v_dual_add_f32 v14, v5, v183 :: v_dual_add_f32 v13, v6, v184
	ds_load_b128 v[5:8], v21 offset:912
	v_dual_add_f32 v14, v14, v185 :: v_dual_add_f32 v13, v13, v186
	v_dual_add_f32 v14, v14, v187 :: v_dual_add_f32 v13, v13, v188
	s_wait_loadcnt_dscnt 0x1
	v_dual_mul_f32 v25, v1, v10 :: v_dual_mul_f32 v26, v3, v12
	v_mul_f32_e32 v10, v2, v10
	s_delay_alu instid0(VALU_DEP_3) | instskip(NEXT) | instid1(VALU_DEP_3)
	v_dual_mul_f32 v12, v4, v12 :: v_dual_add_f32 v13, v13, v190
	v_dual_fmac_f32 v25, v2, v9 :: v_dual_fmac_f32 v26, v4, v11
	s_delay_alu instid0(VALU_DEP_3) | instskip(NEXT) | instid1(VALU_DEP_3)
	v_fma_f32 v27, v1, v9, -v10
	v_fma_f32 v28, v3, v11, -v12
	s_clause 0x1
	scratch_load_b128 v[1:4], off, off offset:432
	scratch_load_b128 v[9:12], off, off offset:448
	v_dual_add_f32 v17, v14, v189 :: v_dual_add_f32 v18, v13, v192
	scratch_load_b128 v[13:16], off, off offset:464
	v_dual_add_f32 v17, v17, v191 :: v_dual_add_f32 v18, v18, v194
	s_delay_alu instid0(VALU_DEP_1) | instskip(NEXT) | instid1(VALU_DEP_1)
	v_dual_add_f32 v17, v17, v193 :: v_dual_add_f32 v18, v18, v196
	v_dual_add_f32 v17, v17, v195 :: v_dual_add_f32 v22, v18, v198
	s_delay_alu instid0(VALU_DEP_1) | instskip(SKIP_2) | instid1(VALU_DEP_1)
	v_add_f32_e32 v23, v17, v197
	ds_load_b128 v[17:20], v21 offset:928
	v_add_f32_e32 v32, v23, v199
	v_add_f32_e32 v32, v32, v201
	s_delay_alu instid0(VALU_DEP_1) | instskip(NEXT) | instid1(VALU_DEP_1)
	v_add_f32_e32 v32, v32, v203
	v_add_f32_e32 v32, v32, v205
	s_delay_alu instid0(VALU_DEP_1) | instskip(NEXT) | instid1(VALU_DEP_1)
	v_add_f32_e32 v32, v32, v207
	v_add_f32_e32 v25, v32, v25
	s_wait_loadcnt_dscnt 0x201
	v_mul_f32_e32 v153, v5, v2
	v_mul_f32_e32 v2, v6, v2
	;; [unrolled: 1-line block ×4, first 2 shown]
	s_wait_loadcnt_dscnt 0x100
	v_dual_mul_f32 v156, v17, v10 :: v_dual_fmac_f32 v153, v6, v1
	v_fma_f32 v2, v5, v1, -v2
	v_add_f32_e32 v5, v25, v26
	v_add_f32_e32 v29, v22, v200
	ds_load_b128 v[21:24], v21 offset:944
	v_mul_f32_e32 v6, v18, v10
	v_fmac_f32_e32 v154, v8, v3
	v_fma_f32 v3, v7, v3, -v4
	v_add_f32_e32 v29, v29, v202
	v_mul_f32_e32 v157, v19, v12
	v_mul_f32_e32 v4, v20, v12
	s_delay_alu instid0(VALU_DEP_3) | instskip(NEXT) | instid1(VALU_DEP_3)
	v_dual_fmac_f32 v156, v18, v9 :: v_dual_add_f32 v29, v29, v204
	v_fmac_f32_e32 v157, v20, v11
	s_delay_alu instid0(VALU_DEP_3) | instskip(NEXT) | instid1(VALU_DEP_3)
	v_fma_f32 v4, v19, v11, -v4
	v_add_f32_e32 v29, v29, v206
	s_delay_alu instid0(VALU_DEP_1) | instskip(SKIP_2) | instid1(VALU_DEP_2)
	v_add_f32_e32 v29, v29, v208
	s_wait_loadcnt_dscnt 0x0
	v_mul_f32_e32 v158, v21, v14
	v_add_f32_e32 v27, v29, v27
	s_delay_alu instid0(VALU_DEP_2) | instskip(NEXT) | instid1(VALU_DEP_2)
	v_dual_mul_f32 v29, v23, v16 :: v_dual_fmac_f32 v158, v22, v13
	v_add_f32_e32 v1, v27, v28
	s_delay_alu instid0(VALU_DEP_2) | instskip(NEXT) | instid1(VALU_DEP_2)
	v_fmac_f32_e32 v29, v24, v15
	v_add_f32_e32 v1, v1, v2
	v_add_f32_e32 v2, v5, v153
	v_fma_f32 v5, v17, v9, -v6
	s_delay_alu instid0(VALU_DEP_2) | instskip(SKIP_1) | instid1(VALU_DEP_2)
	v_dual_add_f32 v1, v1, v3 :: v_dual_add_f32 v2, v2, v154
	v_mul_f32_e32 v3, v22, v14
	v_dual_add_f32 v1, v1, v5 :: v_dual_add_f32 v2, v2, v156
	v_mul_f32_e32 v5, v24, v16
	s_delay_alu instid0(VALU_DEP_3) | instskip(NEXT) | instid1(VALU_DEP_3)
	v_fma_f32 v3, v21, v13, -v3
	v_dual_add_f32 v1, v1, v4 :: v_dual_add_f32 v2, v2, v157
	s_delay_alu instid0(VALU_DEP_3) | instskip(NEXT) | instid1(VALU_DEP_2)
	v_fma_f32 v4, v23, v15, -v5
	v_dual_add_f32 v1, v1, v3 :: v_dual_add_f32 v2, v2, v158
	s_delay_alu instid0(VALU_DEP_1) | instskip(NEXT) | instid1(VALU_DEP_1)
	v_dual_add_f32 v1, v1, v4 :: v_dual_add_f32 v2, v2, v29
	v_dual_sub_f32 v1, v30, v1 :: v_dual_sub_f32 v2, v31, v2
	scratch_store_b64 off, v[1:2], off offset:120
	v_cmpx_lt_u32_e32 14, v0
	s_cbranch_execz .LBB59_345
; %bb.344:
	scratch_load_b64 v[1:2], off, off offset:112
	v_mov_b32_e32 v3, 0
	s_delay_alu instid0(VALU_DEP_1)
	v_mov_b32_e32 v4, v3
	scratch_store_b64 off, v[3:4], off offset:112
	s_wait_loadcnt 0x0
	ds_store_b64 v155, v[1:2]
.LBB59_345:
	s_wait_alu 0xfffe
	s_or_b32 exec_lo, exec_lo, s0
	s_wait_storecnt_dscnt 0x0
	s_barrier_signal -1
	s_barrier_wait -1
	global_inv scope:SCOPE_SE
	s_clause 0x4
	scratch_load_b128 v[5:8], off, off offset:120
	scratch_load_b128 v[1:4], off, off offset:136
	;; [unrolled: 1-line block ×5, first 2 shown]
	v_mov_b32_e32 v21, 0
	ds_load_2addr_b64 v[22:25], v21 offset0:75 offset1:76
	ds_load_2addr_b64 v[26:29], v21 offset0:77 offset1:78
	;; [unrolled: 1-line block ×3, first 2 shown]
	scratch_load_b64 v[30:31], off, off offset:112
	s_mov_b32 s0, exec_lo
	s_wait_loadcnt_dscnt 0x502
	v_mul_f32_e32 v32, v23, v6
	v_dual_mul_f32 v153, v22, v6 :: v_dual_mul_f32 v154, v24, v8
	v_mul_f32_e32 v6, v25, v8
	s_wait_loadcnt_dscnt 0x300
	v_mul_f32_e32 v160, v158, v12
	v_fma_f32 v22, v22, v5, -v32
	v_dual_fmac_f32 v153, v23, v5 :: v_dual_fmac_f32 v154, v25, v7
	v_mul_f32_e32 v25, v28, v4
	v_fma_f32 v23, v24, v7, -v6
	ds_load_2addr_b64 v[5:8], v21 offset0:81 offset1:82
	v_mul_f32_e32 v24, v26, v2
	v_mul_f32_e32 v4, v29, v4
	;; [unrolled: 1-line block ×5, first 2 shown]
	v_dual_mul_f32 v2, v27, v2 :: v_dual_fmac_f32 v25, v29, v3
	v_fmac_f32_e32 v24, v27, v1
	v_fma_f32 v27, v28, v3, -v4
	v_fmac_f32_e32 v32, v157, v9
	v_fma_f32 v28, v156, v9, -v10
	;; [unrolled: 2-line block ×3, first 2 shown]
	ds_load_2addr_b64 v[9:12], v21 offset0:83 offset1:84
	s_wait_loadcnt_dscnt 0x201
	v_dual_mul_f32 v157, v7, v16 :: v_dual_mul_f32 v156, v5, v14
	v_mul_f32_e32 v14, v6, v14
	v_mul_f32_e32 v16, v8, v16
	s_delay_alu instid0(VALU_DEP_3)
	v_fmac_f32_e32 v157, v8, v15
	v_fma_f32 v26, v26, v1, -v2
	scratch_load_b128 v[1:4], off, off offset:200
	v_fmac_f32_e32 v156, v6, v13
	v_fma_f32 v13, v5, v13, -v14
	v_fma_f32 v14, v7, v15, -v16
	ds_load_2addr_b64 v[5:8], v21 offset0:85 offset1:86
	s_wait_loadcnt_dscnt 0x201
	v_mul_f32_e32 v15, v9, v18
	v_mul_f32_e32 v16, v10, v18
	;; [unrolled: 1-line block ×3, first 2 shown]
	s_delay_alu instid0(VALU_DEP_3) | instskip(NEXT) | instid1(VALU_DEP_3)
	v_dual_mul_f32 v20, v12, v20 :: v_dual_fmac_f32 v15, v10, v17
	v_fma_f32 v16, v9, v17, -v16
	s_delay_alu instid0(VALU_DEP_3) | instskip(NEXT) | instid1(VALU_DEP_3)
	v_fmac_f32_e32 v18, v12, v19
	v_fma_f32 v17, v11, v19, -v20
	scratch_load_b128 v[9:12], off, off offset:216
	s_wait_loadcnt_dscnt 0x100
	v_mul_f32_e32 v19, v5, v2
	v_mul_f32_e32 v2, v6, v2
	;; [unrolled: 1-line block ×3, first 2 shown]
	s_delay_alu instid0(VALU_DEP_3) | instskip(NEXT) | instid1(VALU_DEP_3)
	v_dual_mul_f32 v4, v8, v4 :: v_dual_fmac_f32 v19, v6, v1
	v_fma_f32 v158, v5, v1, -v2
	s_delay_alu instid0(VALU_DEP_3) | instskip(NEXT) | instid1(VALU_DEP_3)
	v_fmac_f32_e32 v20, v8, v3
	v_fma_f32 v159, v7, v3, -v4
	ds_load_2addr_b64 v[1:4], v21 offset0:87 offset1:88
	ds_load_2addr_b64 v[5:8], v21 offset0:89 offset1:90
	s_wait_loadcnt_dscnt 0x1
	v_mul_f32_e32 v161, v1, v10
	v_mul_f32_e32 v10, v2, v10
	s_delay_alu instid0(VALU_DEP_2) | instskip(NEXT) | instid1(VALU_DEP_2)
	v_dual_mul_f32 v162, v3, v12 :: v_dual_fmac_f32 v161, v2, v9
	v_fma_f32 v163, v1, v9, -v10
	v_mul_f32_e32 v1, v4, v12
	s_delay_alu instid0(VALU_DEP_3) | instskip(NEXT) | instid1(VALU_DEP_2)
	v_fmac_f32_e32 v162, v4, v11
	v_fma_f32 v164, v3, v11, -v1
	s_clause 0x1
	scratch_load_b128 v[1:4], off, off offset:232
	scratch_load_b128 v[9:12], off, off offset:248
	s_wait_loadcnt_dscnt 0x100
	v_mul_f32_e32 v165, v5, v2
	v_dual_mul_f32 v2, v6, v2 :: v_dual_mul_f32 v167, v7, v4
	s_delay_alu instid0(VALU_DEP_2) | instskip(NEXT) | instid1(VALU_DEP_2)
	v_fmac_f32_e32 v165, v6, v1
	v_fma_f32 v166, v5, v1, -v2
	v_mul_f32_e32 v1, v8, v4
	s_delay_alu instid0(VALU_DEP_4) | instskip(NEXT) | instid1(VALU_DEP_2)
	v_fmac_f32_e32 v167, v8, v3
	v_fma_f32 v168, v7, v3, -v1
	ds_load_2addr_b64 v[1:4], v21 offset0:91 offset1:92
	ds_load_2addr_b64 v[5:8], v21 offset0:93 offset1:94
	s_wait_loadcnt_dscnt 0x1
	v_mul_f32_e32 v169, v1, v10
	v_mul_f32_e32 v171, v3, v12
	s_delay_alu instid0(VALU_DEP_2) | instskip(NEXT) | instid1(VALU_DEP_2)
	v_fmac_f32_e32 v169, v2, v9
	v_dual_mul_f32 v2, v2, v10 :: v_dual_fmac_f32 v171, v4, v11
	s_delay_alu instid0(VALU_DEP_1) | instskip(SKIP_1) | instid1(VALU_DEP_1)
	v_fma_f32 v170, v1, v9, -v2
	v_mul_f32_e32 v1, v4, v12
	v_fma_f32 v172, v3, v11, -v1
	s_clause 0x1
	scratch_load_b128 v[1:4], off, off offset:264
	scratch_load_b128 v[9:12], off, off offset:280
	s_wait_loadcnt_dscnt 0x100
	v_mul_f32_e32 v173, v5, v2
	v_dual_mul_f32 v2, v6, v2 :: v_dual_mul_f32 v175, v7, v4
	s_delay_alu instid0(VALU_DEP_2) | instskip(NEXT) | instid1(VALU_DEP_2)
	v_fmac_f32_e32 v173, v6, v1
	v_fma_f32 v174, v5, v1, -v2
	v_mul_f32_e32 v1, v8, v4
	s_delay_alu instid0(VALU_DEP_4) | instskip(NEXT) | instid1(VALU_DEP_2)
	v_fmac_f32_e32 v175, v8, v3
	v_fma_f32 v176, v7, v3, -v1
	ds_load_2addr_b64 v[1:4], v21 offset0:95 offset1:96
	ds_load_2addr_b64 v[5:8], v21 offset0:97 offset1:98
	s_wait_loadcnt_dscnt 0x1
	v_mul_f32_e32 v177, v1, v10
	v_mul_f32_e32 v179, v3, v12
	s_delay_alu instid0(VALU_DEP_2) | instskip(NEXT) | instid1(VALU_DEP_2)
	v_fmac_f32_e32 v177, v2, v9
	v_dual_mul_f32 v2, v2, v10 :: v_dual_fmac_f32 v179, v4, v11
	s_delay_alu instid0(VALU_DEP_1) | instskip(SKIP_1) | instid1(VALU_DEP_1)
	v_fma_f32 v178, v1, v9, -v2
	v_mul_f32_e32 v1, v4, v12
	v_fma_f32 v180, v3, v11, -v1
	s_clause 0x1
	scratch_load_b128 v[1:4], off, off offset:296
	scratch_load_b128 v[9:12], off, off offset:312
	s_wait_loadcnt_dscnt 0x100
	v_mul_f32_e32 v181, v5, v2
	v_dual_mul_f32 v2, v6, v2 :: v_dual_mul_f32 v183, v7, v4
	s_delay_alu instid0(VALU_DEP_1) | instskip(NEXT) | instid1(VALU_DEP_2)
	v_fma_f32 v182, v5, v1, -v2
	v_fmac_f32_e32 v183, v8, v3
	s_delay_alu instid0(VALU_DEP_4) | instskip(SKIP_1) | instid1(VALU_DEP_1)
	v_fmac_f32_e32 v181, v6, v1
	v_mul_f32_e32 v1, v8, v4
	v_fma_f32 v184, v7, v3, -v1
	ds_load_2addr_b64 v[1:4], v21 offset0:99 offset1:100
	ds_load_2addr_b64 v[5:8], v21 offset0:101 offset1:102
	s_wait_loadcnt_dscnt 0x1
	v_mul_f32_e32 v185, v1, v10
	v_mul_f32_e32 v187, v3, v12
	s_delay_alu instid0(VALU_DEP_2) | instskip(NEXT) | instid1(VALU_DEP_2)
	v_fmac_f32_e32 v185, v2, v9
	v_dual_mul_f32 v2, v2, v10 :: v_dual_fmac_f32 v187, v4, v11
	s_delay_alu instid0(VALU_DEP_1) | instskip(SKIP_1) | instid1(VALU_DEP_1)
	v_fma_f32 v186, v1, v9, -v2
	v_mul_f32_e32 v1, v4, v12
	v_fma_f32 v188, v3, v11, -v1
	s_clause 0x1
	scratch_load_b128 v[1:4], off, off offset:328
	scratch_load_b128 v[9:12], off, off offset:344
	s_wait_loadcnt_dscnt 0x100
	v_mul_f32_e32 v189, v5, v2
	v_dual_mul_f32 v2, v6, v2 :: v_dual_mul_f32 v191, v7, v4
	s_delay_alu instid0(VALU_DEP_2) | instskip(NEXT) | instid1(VALU_DEP_2)
	v_fmac_f32_e32 v189, v6, v1
	v_fma_f32 v190, v5, v1, -v2
	v_mul_f32_e32 v1, v8, v4
	s_delay_alu instid0(VALU_DEP_4) | instskip(NEXT) | instid1(VALU_DEP_2)
	v_fmac_f32_e32 v191, v8, v3
	v_fma_f32 v192, v7, v3, -v1
	ds_load_2addr_b64 v[1:4], v21 offset0:103 offset1:104
	ds_load_2addr_b64 v[5:8], v21 offset0:105 offset1:106
	s_wait_loadcnt_dscnt 0x1
	v_mul_f32_e32 v193, v1, v10
	v_mul_f32_e32 v195, v3, v12
	s_delay_alu instid0(VALU_DEP_2) | instskip(NEXT) | instid1(VALU_DEP_2)
	v_fmac_f32_e32 v193, v2, v9
	v_dual_mul_f32 v2, v2, v10 :: v_dual_fmac_f32 v195, v4, v11
	s_delay_alu instid0(VALU_DEP_1) | instskip(SKIP_1) | instid1(VALU_DEP_1)
	v_fma_f32 v194, v1, v9, -v2
	v_mul_f32_e32 v1, v4, v12
	v_fma_f32 v196, v3, v11, -v1
	s_clause 0x1
	scratch_load_b128 v[1:4], off, off offset:360
	scratch_load_b128 v[9:12], off, off offset:376
	s_wait_loadcnt_dscnt 0x100
	v_mul_f32_e32 v197, v5, v2
	v_dual_mul_f32 v2, v6, v2 :: v_dual_mul_f32 v199, v7, v4
	s_delay_alu instid0(VALU_DEP_1) | instskip(NEXT) | instid1(VALU_DEP_2)
	v_fma_f32 v198, v5, v1, -v2
	v_fmac_f32_e32 v199, v8, v3
	s_delay_alu instid0(VALU_DEP_4) | instskip(SKIP_1) | instid1(VALU_DEP_1)
	v_fmac_f32_e32 v197, v6, v1
	v_mul_f32_e32 v1, v8, v4
	v_fma_f32 v200, v7, v3, -v1
	ds_load_2addr_b64 v[1:4], v21 offset0:107 offset1:108
	ds_load_2addr_b64 v[5:8], v21 offset0:109 offset1:110
	s_wait_loadcnt_dscnt 0x1
	v_mul_f32_e32 v201, v1, v10
	v_mul_f32_e32 v203, v3, v12
	s_delay_alu instid0(VALU_DEP_1) | instskip(NEXT) | instid1(VALU_DEP_3)
	v_fmac_f32_e32 v203, v4, v11
	v_fmac_f32_e32 v201, v2, v9
	v_mul_f32_e32 v2, v2, v10
	s_delay_alu instid0(VALU_DEP_1) | instskip(SKIP_1) | instid1(VALU_DEP_1)
	v_fma_f32 v202, v1, v9, -v2
	v_mul_f32_e32 v1, v4, v12
	v_fma_f32 v204, v3, v11, -v1
	s_clause 0x1
	scratch_load_b128 v[1:4], off, off offset:392
	scratch_load_b128 v[9:12], off, off offset:408
	s_wait_loadcnt_dscnt 0x100
	v_mul_f32_e32 v205, v5, v2
	v_mul_f32_e32 v2, v6, v2
	s_delay_alu instid0(VALU_DEP_1) | instskip(SKIP_1) | instid1(VALU_DEP_1)
	v_fma_f32 v206, v5, v1, -v2
	v_add_f32_e32 v2, 0, v153
	v_add_f32_e32 v2, v2, v154
	s_delay_alu instid0(VALU_DEP_1) | instskip(NEXT) | instid1(VALU_DEP_1)
	v_add_f32_e32 v2, v2, v24
	v_add_f32_e32 v2, v2, v25
	s_delay_alu instid0(VALU_DEP_1) | instskip(NEXT) | instid1(VALU_DEP_1)
	;; [unrolled: 3-line block ×8, first 2 shown]
	v_add_f32_e32 v2, v2, v169
	v_add_f32_e32 v2, v2, v171
	v_fmac_f32_e32 v205, v6, v1
	s_delay_alu instid0(VALU_DEP_2) | instskip(NEXT) | instid1(VALU_DEP_1)
	v_dual_mul_f32 v207, v7, v4 :: v_dual_add_f32 v2, v2, v173
	v_dual_mul_f32 v1, v8, v4 :: v_dual_add_f32 v2, v2, v175
	s_delay_alu instid0(VALU_DEP_1) | instskip(SKIP_1) | instid1(VALU_DEP_1)
	v_fma_f32 v208, v7, v3, -v1
	v_add_f32_e32 v1, 0, v22
	v_add_f32_e32 v1, v1, v23
	s_delay_alu instid0(VALU_DEP_1) | instskip(NEXT) | instid1(VALU_DEP_1)
	v_add_f32_e32 v1, v1, v26
	v_add_f32_e32 v1, v1, v27
	scratch_load_b64 v[26:27], off, off offset:472
	v_add_f32_e32 v1, v1, v28
	s_delay_alu instid0(VALU_DEP_1) | instskip(NEXT) | instid1(VALU_DEP_1)
	v_add_f32_e32 v1, v1, v29
	v_add_f32_e32 v1, v1, v13
	s_delay_alu instid0(VALU_DEP_1) | instskip(NEXT) | instid1(VALU_DEP_1)
	v_add_f32_e32 v1, v1, v14
	;; [unrolled: 3-line block ×8, first 2 shown]
	v_add_f32_e32 v1, v1, v178
	s_delay_alu instid0(VALU_DEP_1) | instskip(NEXT) | instid1(VALU_DEP_1)
	v_dual_add_f32 v6, v1, v180 :: v_dual_fmac_f32 v207, v8, v3
	v_add_f32_e32 v6, v6, v182
	s_delay_alu instid0(VALU_DEP_1) | instskip(NEXT) | instid1(VALU_DEP_1)
	v_add_f32_e32 v13, v6, v184
	v_add_f32_e32 v13, v13, v186
	s_delay_alu instid0(VALU_DEP_1) | instskip(NEXT) | instid1(VALU_DEP_1)
	v_add_f32_e32 v13, v13, v188
	;; [unrolled: 3-line block ×6, first 2 shown]
	v_add_f32_e32 v157, v157, v206
	s_delay_alu instid0(VALU_DEP_1) | instskip(SKIP_3) | instid1(VALU_DEP_1)
	v_add_f32_e32 v157, v157, v208
	v_add_f32_e32 v5, v2, v177
	ds_load_2addr_b64 v[1:4], v21 offset0:111 offset1:112
	v_add_f32_e32 v5, v5, v179
	v_add_f32_e32 v5, v5, v181
	s_delay_alu instid0(VALU_DEP_1)
	v_add_f32_e32 v14, v5, v183
	ds_load_2addr_b64 v[5:8], v21 offset0:113 offset1:114
	s_wait_loadcnt_dscnt 0x101
	v_mul_f32_e32 v32, v1, v10
	v_dual_add_f32 v14, v14, v185 :: v_dual_mul_f32 v153, v3, v12
	v_mul_f32_e32 v12, v4, v12
	v_mul_f32_e32 v10, v2, v10
	s_delay_alu instid0(VALU_DEP_4) | instskip(NEXT) | instid1(VALU_DEP_4)
	v_fmac_f32_e32 v32, v2, v9
	v_add_f32_e32 v14, v14, v187
	s_delay_alu instid0(VALU_DEP_4) | instskip(NEXT) | instid1(VALU_DEP_4)
	v_fma_f32 v156, v3, v11, -v12
	v_fma_f32 v154, v1, v9, -v10
	s_delay_alu instid0(VALU_DEP_3) | instskip(SKIP_2) | instid1(VALU_DEP_1)
	v_add_f32_e32 v17, v14, v189
	scratch_load_b128 v[13:16], off, off offset:456
	v_add_f32_e32 v154, v157, v154
	v_dual_add_f32 v17, v17, v191 :: v_dual_add_f32 v154, v154, v156
	s_delay_alu instid0(VALU_DEP_1) | instskip(NEXT) | instid1(VALU_DEP_1)
	v_add_f32_e32 v17, v17, v193
	v_add_f32_e32 v17, v17, v195
	s_delay_alu instid0(VALU_DEP_1) | instskip(NEXT) | instid1(VALU_DEP_1)
	v_add_f32_e32 v17, v17, v197
	v_add_f32_e32 v22, v17, v199
	ds_load_2addr_b64 v[17:20], v21 offset0:115 offset1:116
	v_add_f32_e32 v29, v22, v201
	ds_load_2addr_b64 v[22:25], v21 offset0:117 offset1:118
	v_add_f32_e32 v158, v29, v203
	ds_load_b64 v[28:29], v21 offset:952
	s_wait_loadcnt_dscnt 0x1
	v_dual_mul_f32 v156, v24, v16 :: v_dual_mul_f32 v161, v22, v14
	s_delay_alu instid0(VALU_DEP_1)
	v_fmac_f32_e32 v156, v25, v15
	v_fmac_f32_e32 v153, v4, v11
	s_clause 0x1
	scratch_load_b128 v[1:4], off, off offset:424
	scratch_load_b128 v[9:12], off, off offset:440
	v_fmac_f32_e32 v161, v23, v13
	s_wait_loadcnt 0x1
	v_mul_f32_e32 v160, v7, v4
	v_dual_add_f32 v158, v158, v205 :: v_dual_mul_f32 v159, v5, v2
	v_mul_f32_e32 v2, v6, v2
	s_wait_loadcnt 0x0
	v_dual_mul_f32 v4, v8, v4 :: v_dual_mul_f32 v157, v17, v10
	s_delay_alu instid0(VALU_DEP_3)
	v_add_f32_e32 v158, v158, v207
	v_fmac_f32_e32 v159, v6, v1
	v_fma_f32 v2, v5, v1, -v2
	v_fmac_f32_e32 v160, v8, v3
	v_fma_f32 v1, v7, v3, -v4
	v_add_f32_e32 v32, v158, v32
	v_mul_f32_e32 v3, v18, v10
	v_add_f32_e32 v2, v154, v2
	v_mul_f32_e32 v158, v19, v12
	v_mul_f32_e32 v5, v20, v12
	v_add_f32_e32 v32, v32, v153
	v_fmac_f32_e32 v157, v18, v9
	v_fma_f32 v3, v17, v9, -v3
	v_dual_add_f32 v1, v2, v1 :: v_dual_fmac_f32 v158, v20, v11
	s_delay_alu instid0(VALU_DEP_4)
	v_add_f32_e32 v4, v32, v159
	v_fma_f32 v5, v19, v11, -v5
	s_wait_dscnt 0x0
	v_mul_f32_e32 v153, v28, v27
	v_add_f32_e32 v1, v1, v3
	v_mul_f32_e32 v3, v25, v16
	v_add_f32_e32 v2, v4, v160
	v_mul_f32_e32 v4, v23, v14
	v_fmac_f32_e32 v153, v29, v26
	v_add_f32_e32 v1, v1, v5
	s_delay_alu instid0(VALU_DEP_4) | instskip(NEXT) | instid1(VALU_DEP_4)
	v_dual_mul_f32 v5, v29, v27 :: v_dual_add_f32 v2, v2, v157
	v_fma_f32 v4, v22, v13, -v4
	v_fma_f32 v3, v24, v15, -v3
	s_delay_alu instid0(VALU_DEP_2) | instskip(NEXT) | instid1(VALU_DEP_4)
	v_dual_add_f32 v2, v2, v158 :: v_dual_add_f32 v1, v1, v4
	v_fma_f32 v4, v28, v26, -v5
	s_delay_alu instid0(VALU_DEP_2) | instskip(NEXT) | instid1(VALU_DEP_1)
	v_dual_add_f32 v2, v2, v161 :: v_dual_add_f32 v1, v1, v3
	v_add_f32_e32 v2, v2, v156
	s_delay_alu instid0(VALU_DEP_1) | instskip(NEXT) | instid1(VALU_DEP_1)
	v_dual_add_f32 v1, v1, v4 :: v_dual_add_f32 v2, v2, v153
	v_dual_sub_f32 v1, v30, v1 :: v_dual_sub_f32 v2, v31, v2
	scratch_store_b64 off, v[1:2], off offset:112
	v_cmpx_lt_u32_e32 13, v0
	s_cbranch_execz .LBB59_347
; %bb.346:
	scratch_load_b64 v[1:2], off, off offset:104
	v_mov_b32_e32 v22, v21
	scratch_store_b64 off, v[21:22], off offset:104
	s_wait_loadcnt 0x0
	ds_store_b64 v155, v[1:2]
.LBB59_347:
	s_wait_alu 0xfffe
	s_or_b32 exec_lo, exec_lo, s0
	s_wait_storecnt_dscnt 0x0
	s_barrier_signal -1
	s_barrier_wait -1
	global_inv scope:SCOPE_SE
	s_clause 0x4
	scratch_load_b128 v[5:8], off, off offset:112
	scratch_load_b128 v[1:4], off, off offset:128
	;; [unrolled: 1-line block ×5, first 2 shown]
	ds_load_b128 v[22:25], v21 offset:592
	ds_load_b128 v[26:29], v21 offset:608
	;; [unrolled: 1-line block ×3, first 2 shown]
	scratch_load_b64 v[30:31], off, off offset:104
	s_mov_b32 s0, exec_lo
	s_wait_loadcnt_dscnt 0x502
	v_mul_f32_e32 v32, v23, v6
	v_dual_mul_f32 v153, v22, v6 :: v_dual_mul_f32 v154, v24, v8
	v_mul_f32_e32 v6, v25, v8
	s_wait_loadcnt_dscnt 0x300
	v_mul_f32_e32 v160, v158, v12
	v_mul_f32_e32 v12, v159, v12
	v_dual_fmac_f32 v153, v23, v5 :: v_dual_fmac_f32 v154, v25, v7
	v_fma_f32 v23, v24, v7, -v6
	v_mul_f32_e32 v25, v28, v4
	v_fma_f32 v22, v22, v5, -v32
	ds_load_b128 v[5:8], v21 offset:640
	v_mul_f32_e32 v24, v26, v2
	v_mul_f32_e32 v4, v29, v4
	v_mul_f32_e32 v32, v156, v10
	v_mul_f32_e32 v10, v157, v10
	v_dual_mul_f32 v2, v27, v2 :: v_dual_fmac_f32 v25, v29, v3
	v_fmac_f32_e32 v24, v27, v1
	v_fma_f32 v27, v28, v3, -v4
	v_fmac_f32_e32 v32, v157, v9
	v_fma_f32 v28, v156, v9, -v10
	;; [unrolled: 2-line block ×3, first 2 shown]
	ds_load_b128 v[9:12], v21 offset:656
	s_wait_loadcnt_dscnt 0x201
	v_dual_mul_f32 v157, v7, v16 :: v_dual_mul_f32 v156, v5, v14
	v_mul_f32_e32 v14, v6, v14
	v_mul_f32_e32 v16, v8, v16
	s_delay_alu instid0(VALU_DEP_3)
	v_fmac_f32_e32 v157, v8, v15
	v_fma_f32 v26, v26, v1, -v2
	scratch_load_b128 v[1:4], off, off offset:192
	v_fmac_f32_e32 v156, v6, v13
	v_fma_f32 v13, v5, v13, -v14
	v_fma_f32 v14, v7, v15, -v16
	ds_load_b128 v[5:8], v21 offset:672
	s_wait_loadcnt_dscnt 0x201
	v_mul_f32_e32 v15, v9, v18
	v_mul_f32_e32 v16, v10, v18
	;; [unrolled: 1-line block ×3, first 2 shown]
	s_delay_alu instid0(VALU_DEP_3) | instskip(NEXT) | instid1(VALU_DEP_3)
	v_dual_mul_f32 v20, v12, v20 :: v_dual_fmac_f32 v15, v10, v17
	v_fma_f32 v16, v9, v17, -v16
	s_delay_alu instid0(VALU_DEP_3) | instskip(NEXT) | instid1(VALU_DEP_3)
	v_fmac_f32_e32 v18, v12, v19
	v_fma_f32 v17, v11, v19, -v20
	scratch_load_b128 v[9:12], off, off offset:208
	s_wait_loadcnt_dscnt 0x100
	v_mul_f32_e32 v19, v5, v2
	v_mul_f32_e32 v2, v6, v2
	;; [unrolled: 1-line block ×3, first 2 shown]
	s_delay_alu instid0(VALU_DEP_3) | instskip(NEXT) | instid1(VALU_DEP_3)
	v_dual_mul_f32 v4, v8, v4 :: v_dual_fmac_f32 v19, v6, v1
	v_fma_f32 v158, v5, v1, -v2
	s_delay_alu instid0(VALU_DEP_3) | instskip(NEXT) | instid1(VALU_DEP_3)
	v_fmac_f32_e32 v20, v8, v3
	v_fma_f32 v159, v7, v3, -v4
	ds_load_b128 v[1:4], v21 offset:688
	ds_load_b128 v[5:8], v21 offset:704
	s_wait_loadcnt_dscnt 0x1
	v_mul_f32_e32 v161, v1, v10
	v_mul_f32_e32 v10, v2, v10
	s_delay_alu instid0(VALU_DEP_2) | instskip(NEXT) | instid1(VALU_DEP_2)
	v_dual_mul_f32 v162, v3, v12 :: v_dual_fmac_f32 v161, v2, v9
	v_fma_f32 v163, v1, v9, -v10
	v_mul_f32_e32 v1, v4, v12
	s_delay_alu instid0(VALU_DEP_3) | instskip(NEXT) | instid1(VALU_DEP_2)
	v_fmac_f32_e32 v162, v4, v11
	v_fma_f32 v164, v3, v11, -v1
	s_clause 0x1
	scratch_load_b128 v[1:4], off, off offset:224
	scratch_load_b128 v[9:12], off, off offset:240
	s_wait_loadcnt_dscnt 0x100
	v_mul_f32_e32 v165, v5, v2
	v_dual_mul_f32 v2, v6, v2 :: v_dual_mul_f32 v167, v7, v4
	s_delay_alu instid0(VALU_DEP_2) | instskip(NEXT) | instid1(VALU_DEP_2)
	v_fmac_f32_e32 v165, v6, v1
	v_fma_f32 v166, v5, v1, -v2
	v_mul_f32_e32 v1, v8, v4
	s_delay_alu instid0(VALU_DEP_4) | instskip(NEXT) | instid1(VALU_DEP_2)
	v_fmac_f32_e32 v167, v8, v3
	v_fma_f32 v168, v7, v3, -v1
	ds_load_b128 v[1:4], v21 offset:720
	ds_load_b128 v[5:8], v21 offset:736
	s_wait_loadcnt_dscnt 0x1
	v_mul_f32_e32 v169, v1, v10
	v_mul_f32_e32 v171, v3, v12
	s_delay_alu instid0(VALU_DEP_2) | instskip(NEXT) | instid1(VALU_DEP_2)
	v_fmac_f32_e32 v169, v2, v9
	v_dual_mul_f32 v2, v2, v10 :: v_dual_fmac_f32 v171, v4, v11
	s_delay_alu instid0(VALU_DEP_1) | instskip(SKIP_1) | instid1(VALU_DEP_1)
	v_fma_f32 v170, v1, v9, -v2
	v_mul_f32_e32 v1, v4, v12
	v_fma_f32 v172, v3, v11, -v1
	s_clause 0x1
	scratch_load_b128 v[1:4], off, off offset:256
	scratch_load_b128 v[9:12], off, off offset:272
	s_wait_loadcnt_dscnt 0x100
	v_mul_f32_e32 v173, v5, v2
	v_dual_mul_f32 v2, v6, v2 :: v_dual_mul_f32 v175, v7, v4
	s_delay_alu instid0(VALU_DEP_2) | instskip(NEXT) | instid1(VALU_DEP_2)
	v_fmac_f32_e32 v173, v6, v1
	v_fma_f32 v174, v5, v1, -v2
	v_mul_f32_e32 v1, v8, v4
	s_delay_alu instid0(VALU_DEP_4) | instskip(NEXT) | instid1(VALU_DEP_2)
	v_fmac_f32_e32 v175, v8, v3
	v_fma_f32 v176, v7, v3, -v1
	ds_load_b128 v[1:4], v21 offset:752
	ds_load_b128 v[5:8], v21 offset:768
	s_wait_loadcnt_dscnt 0x1
	v_mul_f32_e32 v177, v1, v10
	v_mul_f32_e32 v179, v3, v12
	s_delay_alu instid0(VALU_DEP_2) | instskip(NEXT) | instid1(VALU_DEP_2)
	v_fmac_f32_e32 v177, v2, v9
	v_dual_mul_f32 v2, v2, v10 :: v_dual_fmac_f32 v179, v4, v11
	s_delay_alu instid0(VALU_DEP_1) | instskip(SKIP_1) | instid1(VALU_DEP_1)
	v_fma_f32 v178, v1, v9, -v2
	v_mul_f32_e32 v1, v4, v12
	v_fma_f32 v180, v3, v11, -v1
	s_clause 0x1
	scratch_load_b128 v[1:4], off, off offset:288
	scratch_load_b128 v[9:12], off, off offset:304
	s_wait_loadcnt_dscnt 0x100
	v_mul_f32_e32 v181, v5, v2
	v_dual_mul_f32 v2, v6, v2 :: v_dual_mul_f32 v183, v7, v4
	s_delay_alu instid0(VALU_DEP_1) | instskip(NEXT) | instid1(VALU_DEP_3)
	v_fma_f32 v182, v5, v1, -v2
	v_fmac_f32_e32 v181, v6, v1
	v_mul_f32_e32 v1, v8, v4
	s_delay_alu instid0(VALU_DEP_4) | instskip(NEXT) | instid1(VALU_DEP_2)
	v_fmac_f32_e32 v183, v8, v3
	v_fma_f32 v184, v7, v3, -v1
	ds_load_b128 v[1:4], v21 offset:784
	ds_load_b128 v[5:8], v21 offset:800
	s_wait_loadcnt_dscnt 0x1
	v_mul_f32_e32 v185, v1, v10
	v_mul_f32_e32 v187, v3, v12
	s_delay_alu instid0(VALU_DEP_1) | instskip(NEXT) | instid1(VALU_DEP_3)
	v_fmac_f32_e32 v187, v4, v11
	v_fmac_f32_e32 v185, v2, v9
	v_mul_f32_e32 v2, v2, v10
	s_delay_alu instid0(VALU_DEP_1) | instskip(SKIP_1) | instid1(VALU_DEP_1)
	v_fma_f32 v186, v1, v9, -v2
	v_mul_f32_e32 v1, v4, v12
	v_fma_f32 v188, v3, v11, -v1
	s_clause 0x1
	scratch_load_b128 v[1:4], off, off offset:320
	scratch_load_b128 v[9:12], off, off offset:336
	s_wait_loadcnt_dscnt 0x100
	v_mul_f32_e32 v189, v5, v2
	v_dual_mul_f32 v2, v6, v2 :: v_dual_mul_f32 v191, v7, v4
	s_delay_alu instid0(VALU_DEP_2) | instskip(NEXT) | instid1(VALU_DEP_2)
	v_fmac_f32_e32 v189, v6, v1
	v_fma_f32 v190, v5, v1, -v2
	v_mul_f32_e32 v1, v8, v4
	s_delay_alu instid0(VALU_DEP_4) | instskip(NEXT) | instid1(VALU_DEP_2)
	v_fmac_f32_e32 v191, v8, v3
	v_fma_f32 v192, v7, v3, -v1
	ds_load_b128 v[1:4], v21 offset:816
	ds_load_b128 v[5:8], v21 offset:832
	s_wait_loadcnt_dscnt 0x1
	v_mul_f32_e32 v193, v1, v10
	v_mul_f32_e32 v195, v3, v12
	s_delay_alu instid0(VALU_DEP_2) | instskip(NEXT) | instid1(VALU_DEP_2)
	v_fmac_f32_e32 v193, v2, v9
	v_dual_mul_f32 v2, v2, v10 :: v_dual_fmac_f32 v195, v4, v11
	s_delay_alu instid0(VALU_DEP_1) | instskip(SKIP_1) | instid1(VALU_DEP_1)
	v_fma_f32 v194, v1, v9, -v2
	v_mul_f32_e32 v1, v4, v12
	v_fma_f32 v196, v3, v11, -v1
	s_clause 0x1
	scratch_load_b128 v[1:4], off, off offset:352
	scratch_load_b128 v[9:12], off, off offset:368
	s_wait_loadcnt_dscnt 0x100
	v_mul_f32_e32 v197, v5, v2
	v_dual_mul_f32 v2, v6, v2 :: v_dual_mul_f32 v199, v7, v4
	s_delay_alu instid0(VALU_DEP_2) | instskip(NEXT) | instid1(VALU_DEP_2)
	v_fmac_f32_e32 v197, v6, v1
	v_fma_f32 v198, v5, v1, -v2
	v_mul_f32_e32 v1, v8, v4
	s_delay_alu instid0(VALU_DEP_4) | instskip(NEXT) | instid1(VALU_DEP_2)
	v_fmac_f32_e32 v199, v8, v3
	v_fma_f32 v200, v7, v3, -v1
	ds_load_b128 v[1:4], v21 offset:848
	ds_load_b128 v[5:8], v21 offset:864
	s_wait_loadcnt_dscnt 0x1
	v_mul_f32_e32 v201, v1, v10
	v_mul_f32_e32 v203, v3, v12
	s_delay_alu instid0(VALU_DEP_2) | instskip(NEXT) | instid1(VALU_DEP_2)
	v_fmac_f32_e32 v201, v2, v9
	v_dual_mul_f32 v2, v2, v10 :: v_dual_fmac_f32 v203, v4, v11
	s_delay_alu instid0(VALU_DEP_1) | instskip(SKIP_1) | instid1(VALU_DEP_1)
	v_fma_f32 v202, v1, v9, -v2
	v_mul_f32_e32 v1, v4, v12
	v_fma_f32 v204, v3, v11, -v1
	s_clause 0x1
	scratch_load_b128 v[1:4], off, off offset:384
	scratch_load_b128 v[9:12], off, off offset:400
	s_wait_loadcnt_dscnt 0x100
	v_mul_f32_e32 v205, v5, v2
	v_mul_f32_e32 v2, v6, v2
	s_delay_alu instid0(VALU_DEP_1) | instskip(SKIP_1) | instid1(VALU_DEP_1)
	v_fma_f32 v206, v5, v1, -v2
	v_add_f32_e32 v2, 0, v153
	v_add_f32_e32 v2, v2, v154
	s_delay_alu instid0(VALU_DEP_1) | instskip(NEXT) | instid1(VALU_DEP_1)
	v_add_f32_e32 v2, v2, v24
	v_add_f32_e32 v2, v2, v25
	s_delay_alu instid0(VALU_DEP_1) | instskip(NEXT) | instid1(VALU_DEP_1)
	;; [unrolled: 3-line block ×8, first 2 shown]
	v_add_f32_e32 v2, v2, v169
	v_add_f32_e32 v2, v2, v171
	v_fmac_f32_e32 v205, v6, v1
	s_delay_alu instid0(VALU_DEP_2) | instskip(NEXT) | instid1(VALU_DEP_1)
	v_dual_mul_f32 v207, v7, v4 :: v_dual_add_f32 v2, v2, v173
	v_dual_mul_f32 v1, v8, v4 :: v_dual_add_f32 v2, v2, v175
	s_delay_alu instid0(VALU_DEP_1) | instskip(SKIP_1) | instid1(VALU_DEP_3)
	v_fma_f32 v208, v7, v3, -v1
	v_add_f32_e32 v1, 0, v22
	v_dual_fmac_f32 v207, v8, v3 :: v_dual_add_f32 v2, v2, v177
	s_delay_alu instid0(VALU_DEP_2) | instskip(NEXT) | instid1(VALU_DEP_2)
	v_add_f32_e32 v1, v1, v23
	v_add_f32_e32 v5, v2, v179
	s_delay_alu instid0(VALU_DEP_2) | instskip(NEXT) | instid1(VALU_DEP_1)
	v_add_f32_e32 v1, v1, v26
	v_add_f32_e32 v1, v1, v27
	s_delay_alu instid0(VALU_DEP_1) | instskip(NEXT) | instid1(VALU_DEP_1)
	v_add_f32_e32 v1, v1, v28
	v_add_f32_e32 v1, v1, v29
	s_delay_alu instid0(VALU_DEP_1) | instskip(NEXT) | instid1(VALU_DEP_1)
	;; [unrolled: 3-line block ×9, first 2 shown]
	v_add_f32_e32 v1, v1, v178
	v_add_f32_e32 v1, v1, v180
	s_delay_alu instid0(VALU_DEP_1)
	v_add_f32_e32 v6, v1, v182
	v_add_f32_e32 v13, v5, v181
	ds_load_b128 v[1:4], v21 offset:880
	v_add_f32_e32 v14, v6, v184
	scratch_load_b128 v[5:8], off, off offset:416
	v_dual_add_f32 v13, v13, v183 :: v_dual_add_f32 v14, v14, v186
	s_delay_alu instid0(VALU_DEP_1) | instskip(NEXT) | instid1(VALU_DEP_1)
	v_add_f32_e32 v13, v13, v185
	v_dual_add_f32 v17, v14, v188 :: v_dual_add_f32 v18, v13, v187
	ds_load_b128 v[13:16], v21 offset:896
	v_add_f32_e32 v17, v17, v190
	s_wait_loadcnt_dscnt 0x101
	v_mul_f32_e32 v25, v1, v10
	v_mul_f32_e32 v10, v2, v10
	;; [unrolled: 1-line block ×4, first 2 shown]
	v_add_f32_e32 v18, v18, v189
	v_fmac_f32_e32 v25, v2, v9
	v_fma_f32 v27, v1, v9, -v10
	v_fmac_f32_e32 v26, v4, v11
	v_fma_f32 v28, v3, v11, -v12
	scratch_load_b128 v[1:4], off, off offset:432
	v_add_f32_e32 v17, v17, v192
	scratch_load_b128 v[9:12], off, off offset:448
	v_dual_add_f32 v18, v18, v191 :: v_dual_add_f32 v17, v17, v194
	s_delay_alu instid0(VALU_DEP_1) | instskip(SKIP_2) | instid1(VALU_DEP_1)
	v_dual_add_f32 v22, v18, v193 :: v_dual_add_f32 v23, v17, v196
	scratch_load_b128 v[17:20], off, off offset:464
	v_dual_add_f32 v22, v22, v195 :: v_dual_add_f32 v23, v23, v198
	v_dual_add_f32 v22, v22, v197 :: v_dual_add_f32 v23, v23, v200
	s_wait_loadcnt_dscnt 0x300
	v_mul_f32_e32 v29, v13, v6
	v_mul_f32_e32 v6, v14, v6
	;; [unrolled: 1-line block ×3, first 2 shown]
	s_delay_alu instid0(VALU_DEP_3) | instskip(NEXT) | instid1(VALU_DEP_3)
	v_dual_mul_f32 v8, v16, v8 :: v_dual_fmac_f32 v29, v14, v5
	v_fma_f32 v153, v13, v5, -v6
	v_dual_add_f32 v13, v22, v199 :: v_dual_add_f32 v22, v23, v202
	s_delay_alu instid0(VALU_DEP_4) | instskip(NEXT) | instid1(VALU_DEP_4)
	v_fmac_f32_e32 v32, v16, v7
	v_fma_f32 v154, v15, v7, -v8
	ds_load_b128 v[5:8], v21 offset:912
	v_dual_add_f32 v23, v13, v201 :: v_dual_add_f32 v156, v22, v204
	ds_load_b128 v[13:16], v21 offset:928
	v_dual_add_f32 v157, v23, v203 :: v_dual_add_f32 v156, v156, v206
	;; [unrolled: 2-line block ×3, first 2 shown]
	s_delay_alu instid0(VALU_DEP_1) | instskip(SKIP_1) | instid1(VALU_DEP_2)
	v_add_f32_e32 v157, v157, v207
	s_wait_loadcnt_dscnt 0x202
	v_dual_add_f32 v27, v156, v27 :: v_dual_mul_f32 v158, v5, v2
	s_delay_alu instid0(VALU_DEP_2) | instskip(NEXT) | instid1(VALU_DEP_2)
	v_add_f32_e32 v25, v157, v25
	v_dual_add_f32 v27, v27, v28 :: v_dual_mul_f32 v2, v6, v2
	v_mul_f32_e32 v156, v7, v4
	s_delay_alu instid0(VALU_DEP_3) | instskip(NEXT) | instid1(VALU_DEP_3)
	v_dual_mul_f32 v4, v8, v4 :: v_dual_add_f32 v25, v25, v26
	v_add_f32_e32 v27, v27, v153
	s_delay_alu instid0(VALU_DEP_4)
	v_fma_f32 v2, v5, v1, -v2
	s_wait_loadcnt_dscnt 0x101
	v_dual_fmac_f32 v158, v6, v1 :: v_dual_mul_f32 v157, v13, v10
	v_add_f32_e32 v25, v25, v29
	v_add_f32_e32 v1, v27, v154
	v_mul_f32_e32 v6, v14, v10
	v_fmac_f32_e32 v156, v8, v3
	v_fma_f32 v3, v7, v3, -v4
	v_add_f32_e32 v5, v25, v32
	v_add_f32_e32 v1, v1, v2
	v_mul_f32_e32 v159, v15, v12
	v_dual_mul_f32 v4, v16, v12 :: v_dual_fmac_f32 v157, v14, v9
	s_delay_alu instid0(VALU_DEP_4)
	v_add_f32_e32 v2, v5, v158
	v_fma_f32 v5, v13, v9, -v6
	v_add_f32_e32 v1, v1, v3
	s_wait_loadcnt_dscnt 0x0
	v_mul_f32_e32 v26, v21, v18
	v_mul_f32_e32 v3, v22, v18
	v_dual_add_f32 v2, v2, v156 :: v_dual_fmac_f32 v159, v16, v11
	v_fma_f32 v4, v15, v11, -v4
	v_dual_add_f32 v1, v1, v5 :: v_dual_mul_f32 v28, v23, v20
	s_delay_alu instid0(VALU_DEP_3) | instskip(SKIP_2) | instid1(VALU_DEP_3)
	v_dual_add_f32 v2, v2, v157 :: v_dual_mul_f32 v5, v24, v20
	v_fmac_f32_e32 v26, v22, v17
	v_fma_f32 v3, v21, v17, -v3
	v_dual_add_f32 v1, v1, v4 :: v_dual_add_f32 v2, v2, v159
	v_fmac_f32_e32 v28, v24, v19
	v_fma_f32 v4, v23, v19, -v5
	s_delay_alu instid0(VALU_DEP_3) | instskip(NEXT) | instid1(VALU_DEP_1)
	v_dual_add_f32 v1, v1, v3 :: v_dual_add_f32 v2, v2, v26
	v_add_f32_e32 v1, v1, v4
	s_delay_alu instid0(VALU_DEP_2) | instskip(NEXT) | instid1(VALU_DEP_1)
	v_add_f32_e32 v2, v2, v28
	v_dual_sub_f32 v1, v30, v1 :: v_dual_sub_f32 v2, v31, v2
	scratch_store_b64 off, v[1:2], off offset:104
	v_cmpx_lt_u32_e32 12, v0
	s_cbranch_execz .LBB59_349
; %bb.348:
	scratch_load_b64 v[1:2], off, off offset:96
	v_mov_b32_e32 v3, 0
	s_delay_alu instid0(VALU_DEP_1)
	v_mov_b32_e32 v4, v3
	scratch_store_b64 off, v[3:4], off offset:96
	s_wait_loadcnt 0x0
	ds_store_b64 v155, v[1:2]
.LBB59_349:
	s_wait_alu 0xfffe
	s_or_b32 exec_lo, exec_lo, s0
	s_wait_storecnt_dscnt 0x0
	s_barrier_signal -1
	s_barrier_wait -1
	global_inv scope:SCOPE_SE
	s_clause 0x4
	scratch_load_b128 v[5:8], off, off offset:104
	scratch_load_b128 v[1:4], off, off offset:120
	;; [unrolled: 1-line block ×5, first 2 shown]
	v_mov_b32_e32 v21, 0
	ds_load_2addr_b64 v[22:25], v21 offset0:73 offset1:74
	ds_load_2addr_b64 v[26:29], v21 offset0:75 offset1:76
	;; [unrolled: 1-line block ×3, first 2 shown]
	scratch_load_b64 v[30:31], off, off offset:96
	s_mov_b32 s0, exec_lo
	s_wait_loadcnt_dscnt 0x502
	v_mul_f32_e32 v32, v23, v6
	v_dual_mul_f32 v153, v22, v6 :: v_dual_mul_f32 v154, v24, v8
	v_mul_f32_e32 v6, v25, v8
	s_wait_loadcnt_dscnt 0x300
	v_mul_f32_e32 v160, v158, v12
	v_fma_f32 v22, v22, v5, -v32
	v_dual_fmac_f32 v153, v23, v5 :: v_dual_fmac_f32 v154, v25, v7
	v_mul_f32_e32 v25, v28, v4
	v_fma_f32 v23, v24, v7, -v6
	ds_load_2addr_b64 v[5:8], v21 offset0:79 offset1:80
	v_mul_f32_e32 v24, v26, v2
	v_mul_f32_e32 v4, v29, v4
	;; [unrolled: 1-line block ×5, first 2 shown]
	v_dual_mul_f32 v2, v27, v2 :: v_dual_fmac_f32 v25, v29, v3
	v_fmac_f32_e32 v24, v27, v1
	v_fma_f32 v27, v28, v3, -v4
	v_fmac_f32_e32 v32, v157, v9
	v_fma_f32 v28, v156, v9, -v10
	;; [unrolled: 2-line block ×3, first 2 shown]
	ds_load_2addr_b64 v[9:12], v21 offset0:81 offset1:82
	s_wait_loadcnt_dscnt 0x201
	v_dual_mul_f32 v157, v7, v16 :: v_dual_mul_f32 v156, v5, v14
	v_mul_f32_e32 v14, v6, v14
	v_mul_f32_e32 v16, v8, v16
	s_delay_alu instid0(VALU_DEP_3)
	v_fmac_f32_e32 v157, v8, v15
	v_fma_f32 v26, v26, v1, -v2
	scratch_load_b128 v[1:4], off, off offset:184
	v_fmac_f32_e32 v156, v6, v13
	v_fma_f32 v13, v5, v13, -v14
	v_fma_f32 v14, v7, v15, -v16
	ds_load_2addr_b64 v[5:8], v21 offset0:83 offset1:84
	s_wait_loadcnt_dscnt 0x201
	v_mul_f32_e32 v15, v9, v18
	v_mul_f32_e32 v16, v10, v18
	;; [unrolled: 1-line block ×3, first 2 shown]
	s_delay_alu instid0(VALU_DEP_3) | instskip(NEXT) | instid1(VALU_DEP_3)
	v_dual_mul_f32 v20, v12, v20 :: v_dual_fmac_f32 v15, v10, v17
	v_fma_f32 v16, v9, v17, -v16
	s_delay_alu instid0(VALU_DEP_3) | instskip(NEXT) | instid1(VALU_DEP_3)
	v_fmac_f32_e32 v18, v12, v19
	v_fma_f32 v17, v11, v19, -v20
	scratch_load_b128 v[9:12], off, off offset:200
	s_wait_loadcnt_dscnt 0x100
	v_mul_f32_e32 v19, v5, v2
	v_mul_f32_e32 v2, v6, v2
	;; [unrolled: 1-line block ×3, first 2 shown]
	s_delay_alu instid0(VALU_DEP_3) | instskip(NEXT) | instid1(VALU_DEP_3)
	v_dual_mul_f32 v4, v8, v4 :: v_dual_fmac_f32 v19, v6, v1
	v_fma_f32 v158, v5, v1, -v2
	s_delay_alu instid0(VALU_DEP_3) | instskip(NEXT) | instid1(VALU_DEP_3)
	v_fmac_f32_e32 v20, v8, v3
	v_fma_f32 v159, v7, v3, -v4
	ds_load_2addr_b64 v[1:4], v21 offset0:85 offset1:86
	ds_load_2addr_b64 v[5:8], v21 offset0:87 offset1:88
	s_wait_loadcnt_dscnt 0x1
	v_mul_f32_e32 v161, v1, v10
	v_mul_f32_e32 v10, v2, v10
	s_delay_alu instid0(VALU_DEP_2) | instskip(NEXT) | instid1(VALU_DEP_2)
	v_dual_mul_f32 v162, v3, v12 :: v_dual_fmac_f32 v161, v2, v9
	v_fma_f32 v163, v1, v9, -v10
	v_mul_f32_e32 v1, v4, v12
	s_delay_alu instid0(VALU_DEP_3) | instskip(NEXT) | instid1(VALU_DEP_2)
	v_fmac_f32_e32 v162, v4, v11
	v_fma_f32 v164, v3, v11, -v1
	s_clause 0x1
	scratch_load_b128 v[1:4], off, off offset:216
	scratch_load_b128 v[9:12], off, off offset:232
	s_wait_loadcnt_dscnt 0x100
	v_mul_f32_e32 v165, v5, v2
	v_dual_mul_f32 v2, v6, v2 :: v_dual_mul_f32 v167, v7, v4
	s_delay_alu instid0(VALU_DEP_2) | instskip(NEXT) | instid1(VALU_DEP_2)
	v_fmac_f32_e32 v165, v6, v1
	v_fma_f32 v166, v5, v1, -v2
	v_mul_f32_e32 v1, v8, v4
	s_delay_alu instid0(VALU_DEP_4) | instskip(NEXT) | instid1(VALU_DEP_2)
	v_fmac_f32_e32 v167, v8, v3
	v_fma_f32 v168, v7, v3, -v1
	ds_load_2addr_b64 v[1:4], v21 offset0:89 offset1:90
	ds_load_2addr_b64 v[5:8], v21 offset0:91 offset1:92
	s_wait_loadcnt_dscnt 0x1
	v_mul_f32_e32 v169, v1, v10
	v_mul_f32_e32 v171, v3, v12
	s_delay_alu instid0(VALU_DEP_2) | instskip(NEXT) | instid1(VALU_DEP_2)
	v_fmac_f32_e32 v169, v2, v9
	v_dual_mul_f32 v2, v2, v10 :: v_dual_fmac_f32 v171, v4, v11
	s_delay_alu instid0(VALU_DEP_1) | instskip(SKIP_1) | instid1(VALU_DEP_1)
	v_fma_f32 v170, v1, v9, -v2
	v_mul_f32_e32 v1, v4, v12
	v_fma_f32 v172, v3, v11, -v1
	s_clause 0x1
	scratch_load_b128 v[1:4], off, off offset:248
	scratch_load_b128 v[9:12], off, off offset:264
	s_wait_loadcnt_dscnt 0x100
	v_mul_f32_e32 v173, v5, v2
	v_dual_mul_f32 v2, v6, v2 :: v_dual_mul_f32 v175, v7, v4
	s_delay_alu instid0(VALU_DEP_2) | instskip(NEXT) | instid1(VALU_DEP_2)
	v_fmac_f32_e32 v173, v6, v1
	v_fma_f32 v174, v5, v1, -v2
	v_mul_f32_e32 v1, v8, v4
	s_delay_alu instid0(VALU_DEP_4) | instskip(NEXT) | instid1(VALU_DEP_2)
	v_fmac_f32_e32 v175, v8, v3
	v_fma_f32 v176, v7, v3, -v1
	ds_load_2addr_b64 v[1:4], v21 offset0:93 offset1:94
	ds_load_2addr_b64 v[5:8], v21 offset0:95 offset1:96
	s_wait_loadcnt_dscnt 0x1
	v_mul_f32_e32 v177, v1, v10
	v_mul_f32_e32 v179, v3, v12
	s_delay_alu instid0(VALU_DEP_2) | instskip(NEXT) | instid1(VALU_DEP_2)
	v_fmac_f32_e32 v177, v2, v9
	v_dual_mul_f32 v2, v2, v10 :: v_dual_fmac_f32 v179, v4, v11
	s_delay_alu instid0(VALU_DEP_1) | instskip(SKIP_1) | instid1(VALU_DEP_1)
	v_fma_f32 v178, v1, v9, -v2
	v_mul_f32_e32 v1, v4, v12
	;; [unrolled: 25-line block ×5, first 2 shown]
	v_fma_f32 v204, v3, v11, -v1
	s_clause 0x1
	scratch_load_b128 v[1:4], off, off offset:376
	scratch_load_b128 v[9:12], off, off offset:392
	s_wait_loadcnt_dscnt 0x100
	v_mul_f32_e32 v205, v5, v2
	v_mul_f32_e32 v2, v6, v2
	s_delay_alu instid0(VALU_DEP_1) | instskip(SKIP_1) | instid1(VALU_DEP_1)
	v_fma_f32 v206, v5, v1, -v2
	v_add_f32_e32 v2, 0, v153
	v_add_f32_e32 v2, v2, v154
	s_delay_alu instid0(VALU_DEP_1) | instskip(NEXT) | instid1(VALU_DEP_1)
	v_add_f32_e32 v2, v2, v24
	v_add_f32_e32 v2, v2, v25
	s_delay_alu instid0(VALU_DEP_1) | instskip(NEXT) | instid1(VALU_DEP_1)
	;; [unrolled: 3-line block ×8, first 2 shown]
	v_add_f32_e32 v2, v2, v169
	v_add_f32_e32 v2, v2, v171
	v_fmac_f32_e32 v205, v6, v1
	s_delay_alu instid0(VALU_DEP_2) | instskip(NEXT) | instid1(VALU_DEP_1)
	v_dual_mul_f32 v207, v7, v4 :: v_dual_add_f32 v2, v2, v173
	v_dual_mul_f32 v1, v8, v4 :: v_dual_add_f32 v2, v2, v175
	s_delay_alu instid0(VALU_DEP_1) | instskip(SKIP_1) | instid1(VALU_DEP_1)
	v_fma_f32 v208, v7, v3, -v1
	v_add_f32_e32 v1, 0, v22
	v_add_f32_e32 v1, v1, v23
	s_delay_alu instid0(VALU_DEP_1) | instskip(NEXT) | instid1(VALU_DEP_1)
	v_add_f32_e32 v1, v1, v26
	v_add_f32_e32 v1, v1, v27
	scratch_load_b64 v[26:27], off, off offset:472
	v_add_f32_e32 v1, v1, v28
	s_delay_alu instid0(VALU_DEP_1) | instskip(NEXT) | instid1(VALU_DEP_1)
	v_add_f32_e32 v1, v1, v29
	v_add_f32_e32 v1, v1, v13
	s_delay_alu instid0(VALU_DEP_1) | instskip(NEXT) | instid1(VALU_DEP_1)
	v_add_f32_e32 v1, v1, v14
	;; [unrolled: 3-line block ×9, first 2 shown]
	v_dual_add_f32 v6, v1, v182 :: v_dual_fmac_f32 v207, v8, v3
	v_add_f32_e32 v2, v2, v177
	s_delay_alu instid0(VALU_DEP_2) | instskip(NEXT) | instid1(VALU_DEP_2)
	v_add_f32_e32 v14, v6, v184
	v_add_f32_e32 v5, v2, v179
	scratch_load_b128 v[1:4], off, off offset:408
	v_dual_add_f32 v14, v14, v186 :: v_dual_add_f32 v13, v5, v181
	ds_load_2addr_b64 v[5:8], v21 offset0:109 offset1:110
	v_add_f32_e32 v17, v14, v188
	v_add_f32_e32 v13, v13, v183
	s_delay_alu instid0(VALU_DEP_1) | instskip(NEXT) | instid1(VALU_DEP_1)
	v_add_f32_e32 v13, v13, v185
	v_add_f32_e32 v18, v13, v187
	ds_load_2addr_b64 v[13:16], v21 offset0:111 offset1:112
	s_wait_loadcnt_dscnt 0x201
	v_mul_f32_e32 v153, v7, v12
	v_mul_f32_e32 v12, v8, v12
	v_add_f32_e32 v18, v18, v189
	v_mul_f32_e32 v32, v5, v10
	s_delay_alu instid0(VALU_DEP_4) | instskip(NEXT) | instid1(VALU_DEP_4)
	v_dual_mul_f32 v10, v6, v10 :: v_dual_fmac_f32 v153, v8, v11
	v_fma_f32 v156, v7, v11, -v12
	s_delay_alu instid0(VALU_DEP_4) | instskip(NEXT) | instid1(VALU_DEP_4)
	v_add_f32_e32 v18, v18, v191
	v_fmac_f32_e32 v32, v6, v9
	s_delay_alu instid0(VALU_DEP_4)
	v_fma_f32 v154, v5, v9, -v10
	s_clause 0x1
	scratch_load_b128 v[5:8], off, off offset:424
	scratch_load_b128 v[9:12], off, off offset:440
	s_wait_loadcnt_dscnt 0x200
	v_mul_f32_e32 v158, v15, v4
	v_add_f32_e32 v22, v18, v193
	v_dual_mul_f32 v4, v16, v4 :: v_dual_mul_f32 v157, v13, v2
	v_mul_f32_e32 v2, v14, v2
	s_delay_alu instid0(VALU_DEP_4) | instskip(NEXT) | instid1(VALU_DEP_4)
	v_fmac_f32_e32 v158, v16, v3
	v_add_f32_e32 v22, v22, v195
	s_delay_alu instid0(VALU_DEP_4) | instskip(SKIP_4) | instid1(VALU_DEP_1)
	v_fma_f32 v160, v15, v3, -v4
	v_fmac_f32_e32 v157, v14, v1
	v_fma_f32 v159, v13, v1, -v2
	ds_load_2addr_b64 v[1:4], v21 offset0:113 offset1:114
	v_add_f32_e32 v22, v22, v197
	v_add_f32_e32 v22, v22, v199
	s_delay_alu instid0(VALU_DEP_1) | instskip(NEXT) | instid1(VALU_DEP_1)
	v_add_f32_e32 v13, v22, v201
	v_add_f32_e32 v22, v13, v203
	;; [unrolled: 1-line block ×3, first 2 shown]
	s_delay_alu instid0(VALU_DEP_1) | instskip(NEXT) | instid1(VALU_DEP_1)
	v_add_f32_e32 v17, v17, v192
	v_add_f32_e32 v17, v17, v194
	s_delay_alu instid0(VALU_DEP_1) | instskip(SKIP_2) | instid1(VALU_DEP_1)
	v_add_f32_e32 v23, v17, v196
	scratch_load_b128 v[17:20], off, off offset:456
	v_add_f32_e32 v23, v23, v198
	v_add_f32_e32 v23, v23, v200
	s_delay_alu instid0(VALU_DEP_1) | instskip(NEXT) | instid1(VALU_DEP_1)
	v_add_f32_e32 v23, v23, v202
	v_dual_add_f32 v14, v23, v204 :: v_dual_add_f32 v29, v22, v205
	ds_load_2addr_b64 v[22:25], v21 offset0:117 offset1:118
	v_add_f32_e32 v28, v14, v206
	ds_load_2addr_b64 v[13:16], v21 offset0:115 offset1:116
	v_dual_add_f32 v162, v29, v207 :: v_dual_add_f32 v161, v28, v208
	ds_load_b64 v[28:29], v21 offset:952
	v_add_f32_e32 v32, v162, v32
	v_add_f32_e32 v154, v161, v154
	s_wait_loadcnt_dscnt 0x203
	v_mul_f32_e32 v161, v1, v6
	v_mul_f32_e32 v6, v2, v6
	s_delay_alu instid0(VALU_DEP_3) | instskip(NEXT) | instid1(VALU_DEP_3)
	v_add_f32_e32 v154, v154, v156
	v_fmac_f32_e32 v161, v2, v5
	s_delay_alu instid0(VALU_DEP_3) | instskip(NEXT) | instid1(VALU_DEP_3)
	v_fma_f32 v1, v1, v5, -v6
	v_add_f32_e32 v154, v154, v159
	s_wait_loadcnt_dscnt 0x101
	v_mul_f32_e32 v156, v13, v10
	v_dual_add_f32 v32, v32, v153 :: v_dual_mul_f32 v153, v3, v8
	v_mul_f32_e32 v8, v4, v8
	v_add_f32_e32 v154, v154, v160
	v_mul_f32_e32 v5, v16, v12
	s_delay_alu instid0(VALU_DEP_4) | instskip(SKIP_3) | instid1(VALU_DEP_4)
	v_add_f32_e32 v32, v32, v157
	v_fmac_f32_e32 v153, v4, v7
	v_fma_f32 v2, v3, v7, -v8
	v_mul_f32_e32 v3, v14, v10
	v_dual_add_f32 v1, v154, v1 :: v_dual_add_f32 v32, v32, v158
	v_dual_mul_f32 v157, v15, v12 :: v_dual_fmac_f32 v156, v14, v9
	s_delay_alu instid0(VALU_DEP_3) | instskip(NEXT) | instid1(VALU_DEP_3)
	v_fma_f32 v3, v13, v9, -v3
	v_dual_add_f32 v1, v1, v2 :: v_dual_add_f32 v4, v32, v161
	s_delay_alu instid0(VALU_DEP_3) | instskip(SKIP_4) | instid1(VALU_DEP_2)
	v_fmac_f32_e32 v157, v16, v11
	v_fma_f32 v5, v15, v11, -v5
	s_wait_dscnt 0x0
	v_mul_f32_e32 v158, v28, v27
	v_dual_add_f32 v1, v1, v3 :: v_dual_add_f32 v2, v4, v153
	v_fmac_f32_e32 v158, v29, v26
	s_delay_alu instid0(VALU_DEP_2) | instskip(NEXT) | instid1(VALU_DEP_1)
	v_dual_add_f32 v1, v1, v5 :: v_dual_add_f32 v2, v2, v156
	v_dual_mul_f32 v5, v29, v27 :: v_dual_add_f32 v2, v2, v157
	s_wait_loadcnt 0x0
	v_mul_f32_e32 v159, v22, v18
	v_mul_f32_e32 v4, v23, v18
	;; [unrolled: 1-line block ×4, first 2 shown]
	s_delay_alu instid0(VALU_DEP_4) | instskip(NEXT) | instid1(VALU_DEP_4)
	v_fmac_f32_e32 v159, v23, v17
	v_fma_f32 v4, v22, v17, -v4
	s_delay_alu instid0(VALU_DEP_4) | instskip(NEXT) | instid1(VALU_DEP_4)
	v_fmac_f32_e32 v160, v25, v19
	v_fma_f32 v3, v24, v19, -v3
	s_delay_alu instid0(VALU_DEP_3) | instskip(SKIP_1) | instid1(VALU_DEP_2)
	v_dual_add_f32 v2, v2, v159 :: v_dual_add_f32 v1, v1, v4
	v_fma_f32 v4, v28, v26, -v5
	v_dual_add_f32 v2, v2, v160 :: v_dual_add_f32 v1, v1, v3
	s_delay_alu instid0(VALU_DEP_1) | instskip(NEXT) | instid1(VALU_DEP_1)
	v_dual_add_f32 v2, v2, v158 :: v_dual_add_f32 v1, v1, v4
	v_dual_sub_f32 v2, v31, v2 :: v_dual_sub_f32 v1, v30, v1
	scratch_store_b64 off, v[1:2], off offset:96
	v_cmpx_lt_u32_e32 11, v0
	s_cbranch_execz .LBB59_351
; %bb.350:
	scratch_load_b64 v[1:2], off, off offset:88
	v_mov_b32_e32 v22, v21
	scratch_store_b64 off, v[21:22], off offset:88
	s_wait_loadcnt 0x0
	ds_store_b64 v155, v[1:2]
.LBB59_351:
	s_wait_alu 0xfffe
	s_or_b32 exec_lo, exec_lo, s0
	s_wait_storecnt_dscnt 0x0
	s_barrier_signal -1
	s_barrier_wait -1
	global_inv scope:SCOPE_SE
	s_clause 0x4
	scratch_load_b128 v[5:8], off, off offset:96
	scratch_load_b128 v[1:4], off, off offset:112
	;; [unrolled: 1-line block ×5, first 2 shown]
	ds_load_b128 v[22:25], v21 offset:576
	ds_load_b128 v[26:29], v21 offset:592
	ds_load_b128 v[156:159], v21 offset:608
	scratch_load_b64 v[30:31], off, off offset:88
	s_mov_b32 s0, exec_lo
	s_wait_loadcnt_dscnt 0x502
	v_mul_f32_e32 v32, v23, v6
	v_dual_mul_f32 v153, v22, v6 :: v_dual_mul_f32 v154, v24, v8
	v_mul_f32_e32 v6, v25, v8
	s_wait_loadcnt_dscnt 0x300
	v_mul_f32_e32 v160, v158, v12
	v_mul_f32_e32 v12, v159, v12
	v_dual_fmac_f32 v153, v23, v5 :: v_dual_fmac_f32 v154, v25, v7
	v_fma_f32 v23, v24, v7, -v6
	v_mul_f32_e32 v25, v28, v4
	v_fma_f32 v22, v22, v5, -v32
	ds_load_b128 v[5:8], v21 offset:624
	v_mul_f32_e32 v24, v26, v2
	v_mul_f32_e32 v4, v29, v4
	;; [unrolled: 1-line block ×4, first 2 shown]
	v_dual_mul_f32 v2, v27, v2 :: v_dual_fmac_f32 v25, v29, v3
	v_fmac_f32_e32 v24, v27, v1
	v_fma_f32 v27, v28, v3, -v4
	v_fmac_f32_e32 v32, v157, v9
	v_fma_f32 v28, v156, v9, -v10
	;; [unrolled: 2-line block ×3, first 2 shown]
	ds_load_b128 v[9:12], v21 offset:640
	s_wait_loadcnt_dscnt 0x201
	v_dual_mul_f32 v157, v7, v16 :: v_dual_mul_f32 v156, v5, v14
	v_mul_f32_e32 v14, v6, v14
	v_mul_f32_e32 v16, v8, v16
	s_delay_alu instid0(VALU_DEP_3)
	v_fmac_f32_e32 v157, v8, v15
	v_fma_f32 v26, v26, v1, -v2
	scratch_load_b128 v[1:4], off, off offset:176
	v_fmac_f32_e32 v156, v6, v13
	v_fma_f32 v13, v5, v13, -v14
	v_fma_f32 v14, v7, v15, -v16
	ds_load_b128 v[5:8], v21 offset:656
	s_wait_loadcnt_dscnt 0x201
	v_mul_f32_e32 v15, v9, v18
	v_mul_f32_e32 v16, v10, v18
	;; [unrolled: 1-line block ×3, first 2 shown]
	s_delay_alu instid0(VALU_DEP_3) | instskip(NEXT) | instid1(VALU_DEP_3)
	v_dual_mul_f32 v20, v12, v20 :: v_dual_fmac_f32 v15, v10, v17
	v_fma_f32 v16, v9, v17, -v16
	s_delay_alu instid0(VALU_DEP_3) | instskip(NEXT) | instid1(VALU_DEP_3)
	v_fmac_f32_e32 v18, v12, v19
	v_fma_f32 v17, v11, v19, -v20
	scratch_load_b128 v[9:12], off, off offset:192
	s_wait_loadcnt_dscnt 0x100
	v_mul_f32_e32 v19, v5, v2
	v_mul_f32_e32 v2, v6, v2
	;; [unrolled: 1-line block ×3, first 2 shown]
	s_delay_alu instid0(VALU_DEP_3) | instskip(NEXT) | instid1(VALU_DEP_3)
	v_dual_mul_f32 v4, v8, v4 :: v_dual_fmac_f32 v19, v6, v1
	v_fma_f32 v158, v5, v1, -v2
	s_delay_alu instid0(VALU_DEP_3) | instskip(NEXT) | instid1(VALU_DEP_3)
	v_fmac_f32_e32 v20, v8, v3
	v_fma_f32 v159, v7, v3, -v4
	ds_load_b128 v[1:4], v21 offset:672
	ds_load_b128 v[5:8], v21 offset:688
	s_wait_loadcnt_dscnt 0x1
	v_mul_f32_e32 v161, v1, v10
	v_mul_f32_e32 v10, v2, v10
	s_delay_alu instid0(VALU_DEP_2) | instskip(NEXT) | instid1(VALU_DEP_2)
	v_dual_mul_f32 v162, v3, v12 :: v_dual_fmac_f32 v161, v2, v9
	v_fma_f32 v163, v1, v9, -v10
	v_mul_f32_e32 v1, v4, v12
	s_delay_alu instid0(VALU_DEP_3) | instskip(NEXT) | instid1(VALU_DEP_2)
	v_fmac_f32_e32 v162, v4, v11
	v_fma_f32 v164, v3, v11, -v1
	s_clause 0x1
	scratch_load_b128 v[1:4], off, off offset:208
	scratch_load_b128 v[9:12], off, off offset:224
	s_wait_loadcnt_dscnt 0x100
	v_mul_f32_e32 v165, v5, v2
	v_dual_mul_f32 v2, v6, v2 :: v_dual_mul_f32 v167, v7, v4
	s_delay_alu instid0(VALU_DEP_2) | instskip(NEXT) | instid1(VALU_DEP_2)
	v_fmac_f32_e32 v165, v6, v1
	v_fma_f32 v166, v5, v1, -v2
	v_mul_f32_e32 v1, v8, v4
	s_delay_alu instid0(VALU_DEP_4) | instskip(NEXT) | instid1(VALU_DEP_2)
	v_fmac_f32_e32 v167, v8, v3
	v_fma_f32 v168, v7, v3, -v1
	ds_load_b128 v[1:4], v21 offset:704
	ds_load_b128 v[5:8], v21 offset:720
	s_wait_loadcnt_dscnt 0x1
	v_mul_f32_e32 v169, v1, v10
	v_mul_f32_e32 v171, v3, v12
	s_delay_alu instid0(VALU_DEP_2) | instskip(NEXT) | instid1(VALU_DEP_2)
	v_fmac_f32_e32 v169, v2, v9
	v_dual_mul_f32 v2, v2, v10 :: v_dual_fmac_f32 v171, v4, v11
	s_delay_alu instid0(VALU_DEP_1) | instskip(SKIP_1) | instid1(VALU_DEP_1)
	v_fma_f32 v170, v1, v9, -v2
	v_mul_f32_e32 v1, v4, v12
	v_fma_f32 v172, v3, v11, -v1
	s_clause 0x1
	scratch_load_b128 v[1:4], off, off offset:240
	scratch_load_b128 v[9:12], off, off offset:256
	s_wait_loadcnt_dscnt 0x100
	v_mul_f32_e32 v173, v5, v2
	v_dual_mul_f32 v2, v6, v2 :: v_dual_mul_f32 v175, v7, v4
	s_delay_alu instid0(VALU_DEP_2) | instskip(NEXT) | instid1(VALU_DEP_2)
	v_fmac_f32_e32 v173, v6, v1
	v_fma_f32 v174, v5, v1, -v2
	v_mul_f32_e32 v1, v8, v4
	s_delay_alu instid0(VALU_DEP_4) | instskip(NEXT) | instid1(VALU_DEP_2)
	v_fmac_f32_e32 v175, v8, v3
	v_fma_f32 v176, v7, v3, -v1
	ds_load_b128 v[1:4], v21 offset:736
	ds_load_b128 v[5:8], v21 offset:752
	s_wait_loadcnt_dscnt 0x1
	v_mul_f32_e32 v177, v1, v10
	v_mul_f32_e32 v179, v3, v12
	s_delay_alu instid0(VALU_DEP_2) | instskip(NEXT) | instid1(VALU_DEP_2)
	v_fmac_f32_e32 v177, v2, v9
	v_dual_mul_f32 v2, v2, v10 :: v_dual_fmac_f32 v179, v4, v11
	s_delay_alu instid0(VALU_DEP_1) | instskip(SKIP_1) | instid1(VALU_DEP_1)
	v_fma_f32 v178, v1, v9, -v2
	v_mul_f32_e32 v1, v4, v12
	;; [unrolled: 25-line block ×5, first 2 shown]
	v_fma_f32 v204, v3, v11, -v1
	s_clause 0x1
	scratch_load_b128 v[1:4], off, off offset:368
	scratch_load_b128 v[9:12], off, off offset:384
	s_wait_loadcnt_dscnt 0x100
	v_mul_f32_e32 v205, v5, v2
	v_dual_mul_f32 v2, v6, v2 :: v_dual_mul_f32 v207, v7, v4
	s_delay_alu instid0(VALU_DEP_1) | instskip(NEXT) | instid1(VALU_DEP_2)
	v_fma_f32 v206, v5, v1, -v2
	v_fmac_f32_e32 v207, v8, v3
	s_delay_alu instid0(VALU_DEP_4) | instskip(SKIP_1) | instid1(VALU_DEP_1)
	v_fmac_f32_e32 v205, v6, v1
	v_mul_f32_e32 v1, v8, v4
	v_fma_f32 v208, v7, v3, -v1
	ds_load_b128 v[1:4], v21 offset:864
	ds_load_b128 v[5:8], v21 offset:880
	s_wait_loadcnt_dscnt 0x1
	v_mul_f32_e32 v209, v1, v10
	v_mul_f32_e32 v211, v3, v12
	s_delay_alu instid0(VALU_DEP_1) | instskip(NEXT) | instid1(VALU_DEP_3)
	v_fmac_f32_e32 v211, v4, v11
	v_fmac_f32_e32 v209, v2, v9
	v_mul_f32_e32 v2, v2, v10
	s_delay_alu instid0(VALU_DEP_1) | instskip(SKIP_1) | instid1(VALU_DEP_1)
	v_fma_f32 v210, v1, v9, -v2
	v_mul_f32_e32 v1, v4, v12
	v_fma_f32 v212, v3, v11, -v1
	s_clause 0x1
	scratch_load_b128 v[1:4], off, off offset:400
	scratch_load_b128 v[9:12], off, off offset:416
	s_wait_loadcnt_dscnt 0x100
	v_mul_f32_e32 v213, v5, v2
	v_mul_f32_e32 v2, v6, v2
	s_delay_alu instid0(VALU_DEP_2) | instskip(NEXT) | instid1(VALU_DEP_2)
	v_fmac_f32_e32 v213, v6, v1
	v_fma_f32 v214, v5, v1, -v2
	v_dual_add_f32 v2, 0, v153 :: v_dual_mul_f32 v1, v8, v4
	s_delay_alu instid0(VALU_DEP_1) | instskip(NEXT) | instid1(VALU_DEP_2)
	v_add_f32_e32 v2, v2, v154
	v_fma_f32 v216, v7, v3, -v1
	s_delay_alu instid0(VALU_DEP_2) | instskip(NEXT) | instid1(VALU_DEP_1)
	v_add_f32_e32 v2, v2, v24
	v_add_f32_e32 v2, v2, v25
	s_delay_alu instid0(VALU_DEP_1) | instskip(NEXT) | instid1(VALU_DEP_1)
	v_add_f32_e32 v2, v2, v32
	v_dual_add_f32 v2, v2, v160 :: v_dual_add_f32 v1, 0, v22
	s_delay_alu instid0(VALU_DEP_1) | instskip(NEXT) | instid1(VALU_DEP_1)
	v_dual_add_f32 v2, v2, v156 :: v_dual_add_f32 v1, v1, v23
	v_dual_add_f32 v2, v2, v157 :: v_dual_add_f32 v1, v1, v26
	s_delay_alu instid0(VALU_DEP_1) | instskip(NEXT) | instid1(VALU_DEP_1)
	v_add_f32_e32 v2, v2, v15
	v_dual_add_f32 v1, v1, v27 :: v_dual_add_f32 v2, v2, v18
	s_delay_alu instid0(VALU_DEP_1) | instskip(NEXT) | instid1(VALU_DEP_1)
	v_dual_add_f32 v1, v1, v28 :: v_dual_add_f32 v2, v2, v19
	v_dual_add_f32 v1, v1, v29 :: v_dual_add_f32 v2, v2, v20
	s_delay_alu instid0(VALU_DEP_1) | instskip(NEXT) | instid1(VALU_DEP_1)
	v_add_f32_e32 v1, v1, v13
	v_dual_add_f32 v2, v2, v161 :: v_dual_add_f32 v1, v1, v14
	s_delay_alu instid0(VALU_DEP_1) | instskip(NEXT) | instid1(VALU_DEP_1)
	v_dual_add_f32 v2, v2, v162 :: v_dual_add_f32 v1, v1, v16
	v_add_f32_e32 v2, v2, v165
	s_delay_alu instid0(VALU_DEP_1) | instskip(NEXT) | instid1(VALU_DEP_1)
	v_dual_add_f32 v1, v1, v17 :: v_dual_add_f32 v2, v2, v167
	v_dual_add_f32 v1, v1, v158 :: v_dual_add_f32 v2, v2, v169
	s_delay_alu instid0(VALU_DEP_1) | instskip(NEXT) | instid1(VALU_DEP_2)
	v_add_f32_e32 v1, v1, v159
	v_add_f32_e32 v2, v2, v171
	s_delay_alu instid0(VALU_DEP_1) | instskip(NEXT) | instid1(VALU_DEP_1)
	v_dual_add_f32 v1, v1, v163 :: v_dual_add_f32 v2, v2, v173
	v_dual_add_f32 v1, v1, v164 :: v_dual_add_f32 v2, v2, v175
	s_delay_alu instid0(VALU_DEP_1) | instskip(NEXT) | instid1(VALU_DEP_1)
	v_dual_add_f32 v1, v1, v166 :: v_dual_add_f32 v2, v2, v177
	v_dual_add_f32 v1, v1, v168 :: v_dual_add_f32 v2, v2, v179
	s_delay_alu instid0(VALU_DEP_1) | instskip(NEXT) | instid1(VALU_DEP_1)
	v_add_f32_e32 v1, v1, v170
	v_add_f32_e32 v1, v1, v172
	s_delay_alu instid0(VALU_DEP_1) | instskip(NEXT) | instid1(VALU_DEP_1)
	v_add_f32_e32 v1, v1, v174
	v_add_f32_e32 v1, v1, v176
	;; [unrolled: 3-line block ×5, first 2 shown]
	v_dual_add_f32 v2, v2, v181 :: v_dual_mul_f32 v215, v7, v4
	s_delay_alu instid0(VALU_DEP_2) | instskip(NEXT) | instid1(VALU_DEP_2)
	v_add_f32_e32 v6, v6, v190
	v_add_f32_e32 v2, v2, v183
	s_delay_alu instid0(VALU_DEP_2) | instskip(NEXT) | instid1(VALU_DEP_2)
	v_add_f32_e32 v13, v6, v192
	v_add_f32_e32 v5, v2, v185
	;; [unrolled: 3-line block ×5, first 2 shown]
	v_fmac_f32_e32 v215, v8, v3
	ds_load_b128 v[1:4], v21 offset:896
	ds_load_b128 v[5:8], v21 offset:912
	v_add_f32_e32 v18, v13, v200
	s_delay_alu instid0(VALU_DEP_1) | instskip(NEXT) | instid1(VALU_DEP_1)
	v_add_f32_e32 v18, v18, v202
	v_add_f32_e32 v18, v18, v204
	s_delay_alu instid0(VALU_DEP_1)
	v_add_f32_e32 v22, v18, v206
	s_wait_loadcnt_dscnt 0x1
	v_dual_mul_f32 v25, v1, v10 :: v_dual_mul_f32 v26, v3, v12
	v_mul_f32_e32 v10, v2, v10
	v_mul_f32_e32 v12, v4, v12
	v_add_f32_e32 v14, v14, v193
	s_delay_alu instid0(VALU_DEP_4) | instskip(NEXT) | instid1(VALU_DEP_4)
	v_dual_fmac_f32 v25, v2, v9 :: v_dual_fmac_f32 v26, v4, v11
	v_fma_f32 v27, v1, v9, -v10
	s_delay_alu instid0(VALU_DEP_4) | instskip(SKIP_4) | instid1(VALU_DEP_1)
	v_fma_f32 v28, v3, v11, -v12
	s_clause 0x1
	scratch_load_b128 v[1:4], off, off offset:432
	scratch_load_b128 v[9:12], off, off offset:448
	v_add_f32_e32 v14, v14, v195
	v_add_f32_e32 v17, v14, v197
	scratch_load_b128 v[13:16], off, off offset:464
	v_add_f32_e32 v17, v17, v199
	s_delay_alu instid0(VALU_DEP_1) | instskip(NEXT) | instid1(VALU_DEP_1)
	v_add_f32_e32 v17, v17, v201
	v_add_f32_e32 v17, v17, v203
	s_delay_alu instid0(VALU_DEP_1) | instskip(SKIP_2) | instid1(VALU_DEP_1)
	v_add_f32_e32 v23, v17, v205
	ds_load_b128 v[17:20], v21 offset:928
	v_add_f32_e32 v32, v23, v207
	v_add_f32_e32 v32, v32, v209
	s_delay_alu instid0(VALU_DEP_1) | instskip(SKIP_2) | instid1(VALU_DEP_2)
	v_add_f32_e32 v32, v32, v211
	s_wait_loadcnt_dscnt 0x201
	v_mul_f32_e32 v154, v7, v4
	v_dual_add_f32 v32, v32, v213 :: v_dual_mul_f32 v153, v5, v2
	v_mul_f32_e32 v2, v6, v2
	v_mul_f32_e32 v4, v8, v4
	s_wait_loadcnt_dscnt 0x100
	v_mul_f32_e32 v156, v17, v10
	v_dual_add_f32 v32, v32, v215 :: v_dual_fmac_f32 v153, v6, v1
	v_fma_f32 v2, v5, v1, -v2
	v_mul_f32_e32 v6, v18, v10
	v_fmac_f32_e32 v154, v8, v3
	s_delay_alu instid0(VALU_DEP_4) | instskip(SKIP_3) | instid1(VALU_DEP_4)
	v_add_f32_e32 v25, v32, v25
	v_fma_f32 v3, v7, v3, -v4
	v_mul_f32_e32 v157, v19, v12
	v_mul_f32_e32 v4, v20, v12
	v_dual_fmac_f32 v156, v18, v9 :: v_dual_add_f32 v5, v25, v26
	v_add_f32_e32 v29, v22, v208
	ds_load_b128 v[21:24], v21 offset:944
	v_fmac_f32_e32 v157, v20, v11
	v_fma_f32 v4, v19, v11, -v4
	v_add_f32_e32 v29, v29, v210
	s_delay_alu instid0(VALU_DEP_1) | instskip(NEXT) | instid1(VALU_DEP_1)
	v_add_f32_e32 v29, v29, v212
	v_add_f32_e32 v29, v29, v214
	s_delay_alu instid0(VALU_DEP_1) | instskip(SKIP_2) | instid1(VALU_DEP_2)
	v_add_f32_e32 v29, v29, v216
	s_wait_loadcnt_dscnt 0x0
	v_mul_f32_e32 v158, v21, v14
	v_add_f32_e32 v27, v29, v27
	s_delay_alu instid0(VALU_DEP_2) | instskip(NEXT) | instid1(VALU_DEP_2)
	v_dual_mul_f32 v29, v23, v16 :: v_dual_fmac_f32 v158, v22, v13
	v_add_f32_e32 v1, v27, v28
	s_delay_alu instid0(VALU_DEP_2) | instskip(NEXT) | instid1(VALU_DEP_2)
	v_fmac_f32_e32 v29, v24, v15
	v_add_f32_e32 v1, v1, v2
	v_add_f32_e32 v2, v5, v153
	v_fma_f32 v5, v17, v9, -v6
	s_delay_alu instid0(VALU_DEP_2) | instskip(SKIP_1) | instid1(VALU_DEP_2)
	v_dual_add_f32 v1, v1, v3 :: v_dual_add_f32 v2, v2, v154
	v_mul_f32_e32 v3, v22, v14
	v_dual_add_f32 v1, v1, v5 :: v_dual_add_f32 v2, v2, v156
	v_mul_f32_e32 v5, v24, v16
	s_delay_alu instid0(VALU_DEP_3) | instskip(NEXT) | instid1(VALU_DEP_3)
	v_fma_f32 v3, v21, v13, -v3
	v_dual_add_f32 v1, v1, v4 :: v_dual_add_f32 v2, v2, v157
	s_delay_alu instid0(VALU_DEP_3) | instskip(NEXT) | instid1(VALU_DEP_2)
	v_fma_f32 v4, v23, v15, -v5
	v_dual_add_f32 v1, v1, v3 :: v_dual_add_f32 v2, v2, v158
	s_delay_alu instid0(VALU_DEP_1) | instskip(NEXT) | instid1(VALU_DEP_1)
	v_dual_add_f32 v1, v1, v4 :: v_dual_add_f32 v2, v2, v29
	v_dual_sub_f32 v1, v30, v1 :: v_dual_sub_f32 v2, v31, v2
	scratch_store_b64 off, v[1:2], off offset:88
	v_cmpx_lt_u32_e32 10, v0
	s_cbranch_execz .LBB59_353
; %bb.352:
	scratch_load_b64 v[1:2], off, off offset:80
	v_mov_b32_e32 v3, 0
	s_delay_alu instid0(VALU_DEP_1)
	v_mov_b32_e32 v4, v3
	scratch_store_b64 off, v[3:4], off offset:80
	s_wait_loadcnt 0x0
	ds_store_b64 v155, v[1:2]
.LBB59_353:
	s_wait_alu 0xfffe
	s_or_b32 exec_lo, exec_lo, s0
	s_wait_storecnt_dscnt 0x0
	s_barrier_signal -1
	s_barrier_wait -1
	global_inv scope:SCOPE_SE
	s_clause 0x4
	scratch_load_b128 v[5:8], off, off offset:88
	scratch_load_b128 v[1:4], off, off offset:104
	;; [unrolled: 1-line block ×5, first 2 shown]
	v_mov_b32_e32 v25, 0
	ds_load_2addr_b64 v[21:24], v25 offset0:71 offset1:72
	ds_load_2addr_b64 v[26:29], v25 offset0:73 offset1:74
	;; [unrolled: 1-line block ×3, first 2 shown]
	scratch_load_b64 v[30:31], off, off offset:80
	s_mov_b32 s0, exec_lo
	s_wait_loadcnt_dscnt 0x502
	v_mul_f32_e32 v32, v22, v6
	v_dual_mul_f32 v153, v21, v6 :: v_dual_mul_f32 v154, v23, v8
	v_mul_f32_e32 v6, v24, v8
	s_wait_loadcnt_dscnt 0x300
	v_mul_f32_e32 v160, v158, v12
	v_fma_f32 v21, v21, v5, -v32
	v_dual_fmac_f32 v153, v22, v5 :: v_dual_fmac_f32 v154, v24, v7
	v_fma_f32 v22, v23, v7, -v6
	ds_load_2addr_b64 v[5:8], v25 offset0:77 offset1:78
	v_dual_mul_f32 v23, v26, v2 :: v_dual_mul_f32 v24, v28, v4
	v_mul_f32_e32 v4, v29, v4
	v_mul_f32_e32 v32, v156, v10
	;; [unrolled: 1-line block ×5, first 2 shown]
	v_dual_fmac_f32 v23, v27, v1 :: v_dual_fmac_f32 v24, v29, v3
	v_fma_f32 v27, v28, v3, -v4
	v_fmac_f32_e32 v32, v157, v9
	v_fma_f32 v28, v156, v9, -v10
	v_fmac_f32_e32 v160, v159, v11
	v_fma_f32 v29, v158, v11, -v12
	ds_load_2addr_b64 v[9:12], v25 offset0:79 offset1:80
	s_wait_loadcnt_dscnt 0x201
	v_dual_mul_f32 v157, v7, v16 :: v_dual_mul_f32 v156, v5, v14
	v_mul_f32_e32 v14, v6, v14
	v_mul_f32_e32 v16, v8, v16
	s_delay_alu instid0(VALU_DEP_3)
	v_fmac_f32_e32 v157, v8, v15
	v_fma_f32 v26, v26, v1, -v2
	scratch_load_b128 v[1:4], off, off offset:168
	v_fmac_f32_e32 v156, v6, v13
	v_fma_f32 v13, v5, v13, -v14
	v_fma_f32 v14, v7, v15, -v16
	ds_load_2addr_b64 v[5:8], v25 offset0:81 offset1:82
	s_wait_loadcnt_dscnt 0x201
	v_mul_f32_e32 v15, v9, v18
	v_mul_f32_e32 v16, v10, v18
	;; [unrolled: 1-line block ×3, first 2 shown]
	s_delay_alu instid0(VALU_DEP_3) | instskip(NEXT) | instid1(VALU_DEP_3)
	v_dual_mul_f32 v20, v12, v20 :: v_dual_fmac_f32 v15, v10, v17
	v_fma_f32 v16, v9, v17, -v16
	s_delay_alu instid0(VALU_DEP_3) | instskip(NEXT) | instid1(VALU_DEP_3)
	v_fmac_f32_e32 v18, v12, v19
	v_fma_f32 v17, v11, v19, -v20
	scratch_load_b128 v[9:12], off, off offset:184
	s_wait_loadcnt_dscnt 0x100
	v_mul_f32_e32 v19, v5, v2
	v_mul_f32_e32 v2, v6, v2
	;; [unrolled: 1-line block ×3, first 2 shown]
	s_delay_alu instid0(VALU_DEP_3) | instskip(NEXT) | instid1(VALU_DEP_3)
	v_dual_mul_f32 v4, v8, v4 :: v_dual_fmac_f32 v19, v6, v1
	v_fma_f32 v158, v5, v1, -v2
	s_delay_alu instid0(VALU_DEP_3) | instskip(NEXT) | instid1(VALU_DEP_3)
	v_fmac_f32_e32 v20, v8, v3
	v_fma_f32 v159, v7, v3, -v4
	ds_load_2addr_b64 v[1:4], v25 offset0:83 offset1:84
	ds_load_2addr_b64 v[5:8], v25 offset0:85 offset1:86
	s_wait_loadcnt_dscnt 0x1
	v_mul_f32_e32 v161, v1, v10
	v_mul_f32_e32 v10, v2, v10
	s_delay_alu instid0(VALU_DEP_2) | instskip(NEXT) | instid1(VALU_DEP_2)
	v_dual_mul_f32 v162, v3, v12 :: v_dual_fmac_f32 v161, v2, v9
	v_fma_f32 v163, v1, v9, -v10
	v_mul_f32_e32 v1, v4, v12
	s_delay_alu instid0(VALU_DEP_3) | instskip(NEXT) | instid1(VALU_DEP_2)
	v_fmac_f32_e32 v162, v4, v11
	v_fma_f32 v164, v3, v11, -v1
	s_clause 0x1
	scratch_load_b128 v[1:4], off, off offset:200
	scratch_load_b128 v[9:12], off, off offset:216
	s_wait_loadcnt_dscnt 0x100
	v_mul_f32_e32 v165, v5, v2
	v_dual_mul_f32 v2, v6, v2 :: v_dual_mul_f32 v167, v7, v4
	s_delay_alu instid0(VALU_DEP_2) | instskip(NEXT) | instid1(VALU_DEP_2)
	v_fmac_f32_e32 v165, v6, v1
	v_fma_f32 v166, v5, v1, -v2
	v_mul_f32_e32 v1, v8, v4
	s_delay_alu instid0(VALU_DEP_4) | instskip(NEXT) | instid1(VALU_DEP_2)
	v_fmac_f32_e32 v167, v8, v3
	v_fma_f32 v168, v7, v3, -v1
	ds_load_2addr_b64 v[1:4], v25 offset0:87 offset1:88
	ds_load_2addr_b64 v[5:8], v25 offset0:89 offset1:90
	s_wait_loadcnt_dscnt 0x1
	v_mul_f32_e32 v169, v1, v10
	v_mul_f32_e32 v171, v3, v12
	s_delay_alu instid0(VALU_DEP_2) | instskip(NEXT) | instid1(VALU_DEP_2)
	v_fmac_f32_e32 v169, v2, v9
	v_dual_mul_f32 v2, v2, v10 :: v_dual_fmac_f32 v171, v4, v11
	s_delay_alu instid0(VALU_DEP_1) | instskip(SKIP_1) | instid1(VALU_DEP_1)
	v_fma_f32 v170, v1, v9, -v2
	v_mul_f32_e32 v1, v4, v12
	v_fma_f32 v172, v3, v11, -v1
	s_clause 0x1
	scratch_load_b128 v[1:4], off, off offset:232
	scratch_load_b128 v[9:12], off, off offset:248
	s_wait_loadcnt_dscnt 0x100
	v_mul_f32_e32 v173, v5, v2
	v_dual_mul_f32 v2, v6, v2 :: v_dual_mul_f32 v175, v7, v4
	s_delay_alu instid0(VALU_DEP_2) | instskip(NEXT) | instid1(VALU_DEP_2)
	v_fmac_f32_e32 v173, v6, v1
	v_fma_f32 v174, v5, v1, -v2
	v_mul_f32_e32 v1, v8, v4
	s_delay_alu instid0(VALU_DEP_4) | instskip(NEXT) | instid1(VALU_DEP_2)
	v_fmac_f32_e32 v175, v8, v3
	v_fma_f32 v176, v7, v3, -v1
	ds_load_2addr_b64 v[1:4], v25 offset0:91 offset1:92
	ds_load_2addr_b64 v[5:8], v25 offset0:93 offset1:94
	s_wait_loadcnt_dscnt 0x1
	v_mul_f32_e32 v177, v1, v10
	v_mul_f32_e32 v179, v3, v12
	s_delay_alu instid0(VALU_DEP_2) | instskip(NEXT) | instid1(VALU_DEP_2)
	v_fmac_f32_e32 v177, v2, v9
	v_dual_mul_f32 v2, v2, v10 :: v_dual_fmac_f32 v179, v4, v11
	s_delay_alu instid0(VALU_DEP_1) | instskip(SKIP_1) | instid1(VALU_DEP_1)
	v_fma_f32 v178, v1, v9, -v2
	v_mul_f32_e32 v1, v4, v12
	;; [unrolled: 25-line block ×6, first 2 shown]
	v_fma_f32 v212, v3, v11, -v1
	s_clause 0x1
	scratch_load_b128 v[1:4], off, off offset:392
	scratch_load_b128 v[9:12], off, off offset:408
	s_wait_loadcnt_dscnt 0x100
	v_mul_f32_e32 v213, v5, v2
	v_mul_f32_e32 v2, v6, v2
	s_delay_alu instid0(VALU_DEP_2) | instskip(NEXT) | instid1(VALU_DEP_2)
	v_fmac_f32_e32 v213, v6, v1
	v_fma_f32 v214, v5, v1, -v2
	v_dual_add_f32 v2, 0, v153 :: v_dual_mul_f32 v1, v8, v4
	s_delay_alu instid0(VALU_DEP_1) | instskip(NEXT) | instid1(VALU_DEP_2)
	v_add_f32_e32 v2, v2, v154
	v_fma_f32 v216, v7, v3, -v1
	s_delay_alu instid0(VALU_DEP_2) | instskip(NEXT) | instid1(VALU_DEP_1)
	v_add_f32_e32 v2, v2, v23
	v_add_f32_e32 v2, v2, v24
	s_delay_alu instid0(VALU_DEP_1) | instskip(NEXT) | instid1(VALU_DEP_1)
	v_add_f32_e32 v2, v2, v32
	v_dual_add_f32 v2, v2, v160 :: v_dual_add_f32 v1, 0, v21
	s_delay_alu instid0(VALU_DEP_1) | instskip(NEXT) | instid1(VALU_DEP_1)
	v_dual_add_f32 v2, v2, v156 :: v_dual_add_f32 v1, v1, v22
	v_dual_add_f32 v2, v2, v157 :: v_dual_add_f32 v1, v1, v26
	s_delay_alu instid0(VALU_DEP_1) | instskip(NEXT) | instid1(VALU_DEP_2)
	v_add_f32_e32 v2, v2, v15
	v_add_f32_e32 v1, v1, v27
	scratch_load_b64 v[26:27], off, off offset:472
	v_dual_add_f32 v2, v2, v18 :: v_dual_add_f32 v1, v1, v28
	s_delay_alu instid0(VALU_DEP_1) | instskip(NEXT) | instid1(VALU_DEP_1)
	v_dual_add_f32 v2, v2, v19 :: v_dual_add_f32 v1, v1, v29
	v_dual_add_f32 v2, v2, v20 :: v_dual_add_f32 v1, v1, v13
	s_delay_alu instid0(VALU_DEP_1) | instskip(NEXT) | instid1(VALU_DEP_1)
	v_dual_add_f32 v2, v2, v161 :: v_dual_add_f32 v1, v1, v14
	v_dual_add_f32 v2, v2, v162 :: v_dual_add_f32 v1, v1, v16
	s_delay_alu instid0(VALU_DEP_1) | instskip(NEXT) | instid1(VALU_DEP_1)
	v_add_f32_e32 v2, v2, v165
	v_dual_add_f32 v1, v1, v17 :: v_dual_add_f32 v2, v2, v167
	s_delay_alu instid0(VALU_DEP_1) | instskip(NEXT) | instid1(VALU_DEP_1)
	v_dual_add_f32 v1, v1, v158 :: v_dual_add_f32 v2, v2, v169
	v_add_f32_e32 v1, v1, v159
	s_delay_alu instid0(VALU_DEP_2) | instskip(NEXT) | instid1(VALU_DEP_1)
	v_add_f32_e32 v2, v2, v171
	v_dual_add_f32 v1, v1, v163 :: v_dual_add_f32 v2, v2, v173
	s_delay_alu instid0(VALU_DEP_1) | instskip(NEXT) | instid1(VALU_DEP_1)
	v_dual_add_f32 v1, v1, v164 :: v_dual_add_f32 v2, v2, v175
	v_add_f32_e32 v1, v1, v166
	s_delay_alu instid0(VALU_DEP_1) | instskip(NEXT) | instid1(VALU_DEP_1)
	v_add_f32_e32 v1, v1, v168
	v_add_f32_e32 v1, v1, v170
	s_delay_alu instid0(VALU_DEP_1) | instskip(NEXT) | instid1(VALU_DEP_1)
	v_add_f32_e32 v1, v1, v172
	;; [unrolled: 3-line block ×5, first 2 shown]
	v_add_f32_e32 v1, v1, v186
	s_delay_alu instid0(VALU_DEP_1) | instskip(SKIP_1) | instid1(VALU_DEP_2)
	v_add_f32_e32 v6, v1, v188
	v_dual_add_f32 v2, v2, v177 :: v_dual_mul_f32 v215, v7, v4
	v_add_f32_e32 v6, v6, v190
	s_delay_alu instid0(VALU_DEP_2) | instskip(NEXT) | instid1(VALU_DEP_3)
	v_add_f32_e32 v2, v2, v179
	v_fmac_f32_e32 v215, v8, v3
	s_delay_alu instid0(VALU_DEP_3) | instskip(NEXT) | instid1(VALU_DEP_1)
	v_add_f32_e32 v13, v6, v192
	v_dual_add_f32 v2, v2, v181 :: v_dual_add_f32 v13, v13, v194
	s_delay_alu instid0(VALU_DEP_1) | instskip(NEXT) | instid1(VALU_DEP_1)
	v_dual_add_f32 v2, v2, v183 :: v_dual_add_f32 v13, v13, v196
	v_add_f32_e32 v5, v2, v185
	ds_load_2addr_b64 v[1:4], v25 offset0:111 offset1:112
	v_add_f32_e32 v13, v13, v198
	v_add_f32_e32 v5, v5, v187
	s_delay_alu instid0(VALU_DEP_2) | instskip(NEXT) | instid1(VALU_DEP_1)
	v_add_f32_e32 v18, v13, v200
	v_dual_add_f32 v5, v5, v189 :: v_dual_add_f32 v18, v18, v202
	s_delay_alu instid0(VALU_DEP_1)
	v_add_f32_e32 v14, v5, v191
	ds_load_2addr_b64 v[5:8], v25 offset0:113 offset1:114
	v_add_f32_e32 v18, v18, v204
	v_add_f32_e32 v14, v14, v193
	s_wait_loadcnt_dscnt 0x101
	v_mul_f32_e32 v32, v1, v10
	v_dual_mul_f32 v10, v2, v10 :: v_dual_mul_f32 v153, v3, v12
	v_mul_f32_e32 v12, v4, v12
	v_add_f32_e32 v14, v14, v195
	s_delay_alu instid0(VALU_DEP_4) | instskip(NEXT) | instid1(VALU_DEP_4)
	v_fmac_f32_e32 v32, v2, v9
	v_fma_f32 v154, v1, v9, -v10
	v_fmac_f32_e32 v153, v4, v11
	v_fma_f32 v156, v3, v11, -v12
	s_clause 0x1
	scratch_load_b128 v[1:4], off, off offset:424
	scratch_load_b128 v[9:12], off, off offset:440
	v_add_f32_e32 v17, v14, v197
	scratch_load_b128 v[13:16], off, off offset:456
	v_dual_add_f32 v18, v18, v206 :: v_dual_add_f32 v17, v17, v199
	s_delay_alu instid0(VALU_DEP_1) | instskip(NEXT) | instid1(VALU_DEP_1)
	v_add_f32_e32 v18, v18, v208
	v_add_f32_e32 v28, v18, v210
	s_delay_alu instid0(VALU_DEP_1) | instskip(NEXT) | instid1(VALU_DEP_1)
	v_add_f32_e32 v157, v28, v212
	v_add_f32_e32 v157, v157, v214
	;; [unrolled: 3-line block ×3, first 2 shown]
	s_delay_alu instid0(VALU_DEP_1) | instskip(SKIP_4) | instid1(VALU_DEP_3)
	v_add_f32_e32 v154, v154, v156
	s_wait_loadcnt_dscnt 0x200
	v_dual_mul_f32 v160, v7, v4 :: v_dual_add_f32 v17, v17, v201
	v_dual_mul_f32 v4, v8, v4 :: v_dual_mul_f32 v159, v5, v2
	v_mul_f32_e32 v2, v6, v2
	v_fmac_f32_e32 v160, v8, v3
	s_delay_alu instid0(VALU_DEP_4) | instskip(NEXT) | instid1(VALU_DEP_4)
	v_add_f32_e32 v17, v17, v203
	v_fmac_f32_e32 v159, v6, v1
	s_delay_alu instid0(VALU_DEP_4) | instskip(SKIP_1) | instid1(VALU_DEP_2)
	v_fma_f32 v2, v5, v1, -v2
	v_fma_f32 v1, v7, v3, -v4
	v_dual_add_f32 v17, v17, v205 :: v_dual_add_f32 v2, v154, v2
	s_delay_alu instid0(VALU_DEP_1)
	v_add_f32_e32 v21, v17, v207
	ds_load_2addr_b64 v[17:20], v25 offset0:115 offset1:116
	v_add_f32_e32 v1, v2, v1
	v_add_f32_e32 v29, v21, v209
	ds_load_2addr_b64 v[21:24], v25 offset0:117 offset1:118
	v_add_f32_e32 v158, v29, v211
	ds_load_b64 v[28:29], v25 offset:952
	v_add_f32_e32 v158, v158, v213
	s_wait_loadcnt_dscnt 0x102
	s_delay_alu instid0(VALU_DEP_1) | instskip(SKIP_2) | instid1(VALU_DEP_3)
	v_dual_add_f32 v158, v158, v215 :: v_dual_mul_f32 v157, v17, v10
	v_mul_f32_e32 v3, v18, v10
	v_mul_f32_e32 v5, v20, v12
	v_add_f32_e32 v32, v158, v32
	s_delay_alu instid0(VALU_DEP_4) | instskip(NEXT) | instid1(VALU_DEP_4)
	v_dual_mul_f32 v158, v19, v12 :: v_dual_fmac_f32 v157, v18, v9
	v_fma_f32 v3, v17, v9, -v3
	s_wait_loadcnt_dscnt 0x1
	s_delay_alu instid0(VALU_DEP_3) | instskip(NEXT) | instid1(VALU_DEP_3)
	v_dual_mul_f32 v161, v21, v14 :: v_dual_add_f32 v32, v32, v153
	v_fmac_f32_e32 v158, v20, v11
	v_fma_f32 v5, v19, v11, -v5
	v_dual_add_f32 v1, v1, v3 :: v_dual_mul_f32 v156, v23, v16
	s_delay_alu instid0(VALU_DEP_4) | instskip(SKIP_2) | instid1(VALU_DEP_4)
	v_add_f32_e32 v4, v32, v159
	v_mul_f32_e32 v3, v24, v16
	v_fmac_f32_e32 v161, v22, v13
	v_add_f32_e32 v1, v1, v5
	s_wait_dscnt 0x0
	v_mul_f32_e32 v153, v28, v27
	v_add_f32_e32 v2, v4, v160
	v_dual_mul_f32 v4, v22, v14 :: v_dual_mul_f32 v5, v29, v27
	v_fmac_f32_e32 v156, v24, v15
	v_fma_f32 v3, v23, v15, -v3
	s_delay_alu instid0(VALU_DEP_4) | instskip(NEXT) | instid1(VALU_DEP_4)
	v_add_f32_e32 v2, v2, v157
	v_fma_f32 v4, v21, v13, -v4
	v_fmac_f32_e32 v153, v29, v26
	s_delay_alu instid0(VALU_DEP_2) | instskip(SKIP_1) | instid1(VALU_DEP_2)
	v_dual_add_f32 v2, v2, v158 :: v_dual_add_f32 v1, v1, v4
	v_fma_f32 v4, v28, v26, -v5
	v_dual_add_f32 v2, v2, v161 :: v_dual_add_f32 v1, v1, v3
	s_delay_alu instid0(VALU_DEP_1) | instskip(NEXT) | instid1(VALU_DEP_1)
	v_add_f32_e32 v2, v2, v156
	v_dual_add_f32 v1, v1, v4 :: v_dual_add_f32 v2, v2, v153
	s_delay_alu instid0(VALU_DEP_1)
	v_dual_sub_f32 v1, v30, v1 :: v_dual_sub_f32 v2, v31, v2
	scratch_store_b64 off, v[1:2], off offset:80
	v_cmpx_lt_u32_e32 9, v0
	s_cbranch_execz .LBB59_355
; %bb.354:
	scratch_load_b64 v[1:2], off, off offset:72
	v_mov_b32_e32 v26, v25
	scratch_store_b64 off, v[25:26], off offset:72
	s_wait_loadcnt 0x0
	ds_store_b64 v155, v[1:2]
.LBB59_355:
	s_wait_alu 0xfffe
	s_or_b32 exec_lo, exec_lo, s0
	s_wait_storecnt_dscnt 0x0
	s_barrier_signal -1
	s_barrier_wait -1
	global_inv scope:SCOPE_SE
	s_clause 0x4
	scratch_load_b128 v[5:8], off, off offset:80
	scratch_load_b128 v[1:4], off, off offset:96
	;; [unrolled: 1-line block ×5, first 2 shown]
	ds_load_b128 v[21:24], v25 offset:560
	ds_load_b128 v[26:29], v25 offset:576
	;; [unrolled: 1-line block ×3, first 2 shown]
	scratch_load_b64 v[30:31], off, off offset:72
	s_mov_b32 s0, exec_lo
	s_wait_loadcnt_dscnt 0x502
	v_dual_mul_f32 v32, v21, v6 :: v_dual_mul_f32 v153, v23, v8
	v_mul_f32_e32 v6, v22, v6
	v_mul_f32_e32 v8, v24, v8
	s_wait_loadcnt_dscnt 0x300
	v_mul_f32_e32 v154, v156, v10
	v_dual_fmac_f32 v32, v22, v5 :: v_dual_fmac_f32 v153, v24, v7
	v_fma_f32 v21, v21, v5, -v6
	v_fma_f32 v22, v23, v7, -v8
	ds_load_b128 v[5:8], v25 offset:608
	v_dual_mul_f32 v23, v26, v2 :: v_dual_mul_f32 v24, v28, v4
	v_mul_f32_e32 v4, v29, v4
	v_mul_f32_e32 v10, v157, v10
	;; [unrolled: 1-line block ×5, first 2 shown]
	v_dual_fmac_f32 v23, v27, v1 :: v_dual_fmac_f32 v24, v29, v3
	v_fma_f32 v27, v28, v3, -v4
	v_fmac_f32_e32 v154, v157, v9
	v_fma_f32 v28, v156, v9, -v10
	v_fmac_f32_e32 v160, v159, v11
	v_fma_f32 v29, v158, v11, -v12
	ds_load_b128 v[9:12], v25 offset:624
	s_wait_loadcnt_dscnt 0x201
	v_dual_mul_f32 v157, v7, v16 :: v_dual_mul_f32 v156, v5, v14
	v_mul_f32_e32 v14, v6, v14
	v_mul_f32_e32 v16, v8, v16
	s_delay_alu instid0(VALU_DEP_3)
	v_fmac_f32_e32 v157, v8, v15
	v_fma_f32 v26, v26, v1, -v2
	scratch_load_b128 v[1:4], off, off offset:160
	v_fmac_f32_e32 v156, v6, v13
	v_fma_f32 v13, v5, v13, -v14
	v_fma_f32 v14, v7, v15, -v16
	ds_load_b128 v[5:8], v25 offset:640
	s_wait_loadcnt_dscnt 0x201
	v_mul_f32_e32 v15, v9, v18
	v_mul_f32_e32 v16, v10, v18
	;; [unrolled: 1-line block ×3, first 2 shown]
	s_delay_alu instid0(VALU_DEP_3) | instskip(NEXT) | instid1(VALU_DEP_3)
	v_dual_mul_f32 v20, v12, v20 :: v_dual_fmac_f32 v15, v10, v17
	v_fma_f32 v16, v9, v17, -v16
	s_delay_alu instid0(VALU_DEP_3) | instskip(NEXT) | instid1(VALU_DEP_3)
	v_fmac_f32_e32 v18, v12, v19
	v_fma_f32 v17, v11, v19, -v20
	scratch_load_b128 v[9:12], off, off offset:176
	s_wait_loadcnt_dscnt 0x100
	v_mul_f32_e32 v19, v5, v2
	v_mul_f32_e32 v2, v6, v2
	;; [unrolled: 1-line block ×3, first 2 shown]
	s_delay_alu instid0(VALU_DEP_3) | instskip(NEXT) | instid1(VALU_DEP_3)
	v_dual_mul_f32 v4, v8, v4 :: v_dual_fmac_f32 v19, v6, v1
	v_fma_f32 v158, v5, v1, -v2
	s_delay_alu instid0(VALU_DEP_3) | instskip(NEXT) | instid1(VALU_DEP_3)
	v_fmac_f32_e32 v20, v8, v3
	v_fma_f32 v159, v7, v3, -v4
	ds_load_b128 v[1:4], v25 offset:656
	ds_load_b128 v[5:8], v25 offset:672
	s_wait_loadcnt_dscnt 0x1
	v_mul_f32_e32 v161, v1, v10
	v_mul_f32_e32 v10, v2, v10
	s_delay_alu instid0(VALU_DEP_2) | instskip(NEXT) | instid1(VALU_DEP_2)
	v_dual_mul_f32 v162, v3, v12 :: v_dual_fmac_f32 v161, v2, v9
	v_fma_f32 v163, v1, v9, -v10
	v_mul_f32_e32 v1, v4, v12
	s_delay_alu instid0(VALU_DEP_3) | instskip(NEXT) | instid1(VALU_DEP_2)
	v_fmac_f32_e32 v162, v4, v11
	v_fma_f32 v164, v3, v11, -v1
	s_clause 0x1
	scratch_load_b128 v[1:4], off, off offset:192
	scratch_load_b128 v[9:12], off, off offset:208
	s_wait_loadcnt_dscnt 0x100
	v_mul_f32_e32 v165, v5, v2
	v_dual_mul_f32 v2, v6, v2 :: v_dual_mul_f32 v167, v7, v4
	s_delay_alu instid0(VALU_DEP_2) | instskip(NEXT) | instid1(VALU_DEP_2)
	v_fmac_f32_e32 v165, v6, v1
	v_fma_f32 v166, v5, v1, -v2
	v_mul_f32_e32 v1, v8, v4
	s_delay_alu instid0(VALU_DEP_4) | instskip(NEXT) | instid1(VALU_DEP_2)
	v_fmac_f32_e32 v167, v8, v3
	v_fma_f32 v168, v7, v3, -v1
	ds_load_b128 v[1:4], v25 offset:688
	ds_load_b128 v[5:8], v25 offset:704
	s_wait_loadcnt_dscnt 0x1
	v_mul_f32_e32 v169, v1, v10
	v_mul_f32_e32 v171, v3, v12
	s_delay_alu instid0(VALU_DEP_2) | instskip(NEXT) | instid1(VALU_DEP_2)
	v_fmac_f32_e32 v169, v2, v9
	v_dual_mul_f32 v2, v2, v10 :: v_dual_fmac_f32 v171, v4, v11
	s_delay_alu instid0(VALU_DEP_1) | instskip(SKIP_1) | instid1(VALU_DEP_1)
	v_fma_f32 v170, v1, v9, -v2
	v_mul_f32_e32 v1, v4, v12
	v_fma_f32 v172, v3, v11, -v1
	s_clause 0x1
	scratch_load_b128 v[1:4], off, off offset:224
	scratch_load_b128 v[9:12], off, off offset:240
	s_wait_loadcnt_dscnt 0x100
	v_mul_f32_e32 v173, v5, v2
	v_dual_mul_f32 v2, v6, v2 :: v_dual_mul_f32 v175, v7, v4
	s_delay_alu instid0(VALU_DEP_2) | instskip(NEXT) | instid1(VALU_DEP_2)
	v_fmac_f32_e32 v173, v6, v1
	v_fma_f32 v174, v5, v1, -v2
	v_mul_f32_e32 v1, v8, v4
	s_delay_alu instid0(VALU_DEP_4) | instskip(NEXT) | instid1(VALU_DEP_2)
	v_fmac_f32_e32 v175, v8, v3
	v_fma_f32 v176, v7, v3, -v1
	ds_load_b128 v[1:4], v25 offset:720
	ds_load_b128 v[5:8], v25 offset:736
	s_wait_loadcnt_dscnt 0x1
	v_mul_f32_e32 v177, v1, v10
	v_mul_f32_e32 v179, v3, v12
	s_delay_alu instid0(VALU_DEP_2) | instskip(NEXT) | instid1(VALU_DEP_2)
	v_fmac_f32_e32 v177, v2, v9
	v_dual_mul_f32 v2, v2, v10 :: v_dual_fmac_f32 v179, v4, v11
	s_delay_alu instid0(VALU_DEP_1) | instskip(SKIP_1) | instid1(VALU_DEP_1)
	v_fma_f32 v178, v1, v9, -v2
	v_mul_f32_e32 v1, v4, v12
	;; [unrolled: 25-line block ×6, first 2 shown]
	v_fma_f32 v212, v3, v11, -v1
	s_clause 0x1
	scratch_load_b128 v[1:4], off, off offset:384
	scratch_load_b128 v[9:12], off, off offset:400
	s_wait_loadcnt_dscnt 0x100
	v_mul_f32_e32 v213, v5, v2
	v_mul_f32_e32 v2, v6, v2
	s_delay_alu instid0(VALU_DEP_2) | instskip(NEXT) | instid1(VALU_DEP_2)
	v_fmac_f32_e32 v213, v6, v1
	v_fma_f32 v214, v5, v1, -v2
	v_add_f32_e32 v2, 0, v32
	s_delay_alu instid0(VALU_DEP_1) | instskip(NEXT) | instid1(VALU_DEP_1)
	v_dual_mul_f32 v1, v8, v4 :: v_dual_add_f32 v2, v2, v153
	v_fma_f32 v216, v7, v3, -v1
	s_delay_alu instid0(VALU_DEP_2) | instskip(NEXT) | instid1(VALU_DEP_1)
	v_dual_add_f32 v1, 0, v21 :: v_dual_add_f32 v2, v2, v23
	v_dual_add_f32 v1, v1, v22 :: v_dual_add_f32 v2, v2, v24
	s_delay_alu instid0(VALU_DEP_1) | instskip(NEXT) | instid1(VALU_DEP_1)
	v_add_f32_e32 v1, v1, v26
	v_dual_add_f32 v2, v2, v154 :: v_dual_add_f32 v1, v1, v27
	s_delay_alu instid0(VALU_DEP_1) | instskip(NEXT) | instid1(VALU_DEP_1)
	v_add_f32_e32 v2, v2, v160
	v_add_f32_e32 v2, v2, v156
	s_delay_alu instid0(VALU_DEP_1) | instskip(NEXT) | instid1(VALU_DEP_1)
	v_add_f32_e32 v2, v2, v157
	v_add_f32_e32 v2, v2, v15
	s_delay_alu instid0(VALU_DEP_1) | instskip(NEXT) | instid1(VALU_DEP_1)
	v_dual_add_f32 v2, v2, v18 :: v_dual_add_f32 v1, v1, v28
	v_dual_add_f32 v2, v2, v19 :: v_dual_add_f32 v1, v1, v29
	s_delay_alu instid0(VALU_DEP_1) | instskip(NEXT) | instid1(VALU_DEP_1)
	v_dual_add_f32 v2, v2, v20 :: v_dual_add_f32 v1, v1, v13
	v_dual_add_f32 v2, v2, v161 :: v_dual_add_f32 v1, v1, v14
	s_delay_alu instid0(VALU_DEP_1) | instskip(NEXT) | instid1(VALU_DEP_1)
	v_dual_add_f32 v2, v2, v162 :: v_dual_add_f32 v1, v1, v16
	v_add_f32_e32 v2, v2, v165
	s_delay_alu instid0(VALU_DEP_1) | instskip(NEXT) | instid1(VALU_DEP_1)
	v_dual_add_f32 v1, v1, v17 :: v_dual_add_f32 v2, v2, v167
	v_dual_add_f32 v1, v1, v158 :: v_dual_add_f32 v2, v2, v169
	s_delay_alu instid0(VALU_DEP_1) | instskip(NEXT) | instid1(VALU_DEP_2)
	v_add_f32_e32 v1, v1, v159
	v_add_f32_e32 v2, v2, v171
	s_delay_alu instid0(VALU_DEP_1) | instskip(NEXT) | instid1(VALU_DEP_1)
	v_dual_add_f32 v1, v1, v163 :: v_dual_add_f32 v2, v2, v173
	v_dual_add_f32 v1, v1, v164 :: v_dual_add_f32 v2, v2, v175
	s_delay_alu instid0(VALU_DEP_1) | instskip(NEXT) | instid1(VALU_DEP_1)
	v_dual_add_f32 v1, v1, v166 :: v_dual_add_f32 v2, v2, v177
	v_dual_add_f32 v1, v1, v168 :: v_dual_add_f32 v2, v2, v179
	s_delay_alu instid0(VALU_DEP_1) | instskip(NEXT) | instid1(VALU_DEP_1)
	v_add_f32_e32 v1, v1, v170
	v_add_f32_e32 v1, v1, v172
	s_delay_alu instid0(VALU_DEP_1) | instskip(NEXT) | instid1(VALU_DEP_1)
	v_add_f32_e32 v1, v1, v174
	v_add_f32_e32 v1, v1, v176
	;; [unrolled: 3-line block ×5, first 2 shown]
	s_delay_alu instid0(VALU_DEP_1) | instskip(SKIP_1) | instid1(VALU_DEP_2)
	v_add_f32_e32 v6, v1, v190
	v_add_f32_e32 v2, v2, v181
	;; [unrolled: 1-line block ×3, first 2 shown]
	s_delay_alu instid0(VALU_DEP_2) | instskip(NEXT) | instid1(VALU_DEP_2)
	v_dual_add_f32 v2, v2, v183 :: v_dual_mul_f32 v215, v7, v4
	v_add_f32_e32 v14, v14, v194
	s_delay_alu instid0(VALU_DEP_2) | instskip(NEXT) | instid1(VALU_DEP_2)
	v_dual_add_f32 v2, v2, v185 :: v_dual_fmac_f32 v215, v8, v3
	v_add_f32_e32 v17, v14, v196
	s_delay_alu instid0(VALU_DEP_2)
	v_add_f32_e32 v5, v2, v187
	ds_load_b128 v[1:4], v25 offset:880
	v_add_f32_e32 v17, v17, v198
	v_add_f32_e32 v13, v5, v189
	scratch_load_b128 v[5:8], off, off offset:416
	v_add_f32_e32 v17, v17, v200
	v_add_f32_e32 v13, v13, v191
	s_delay_alu instid0(VALU_DEP_2) | instskip(NEXT) | instid1(VALU_DEP_2)
	v_add_f32_e32 v17, v17, v202
	v_add_f32_e32 v13, v13, v193
	s_delay_alu instid0(VALU_DEP_2) | instskip(NEXT) | instid1(VALU_DEP_2)
	v_add_f32_e32 v22, v17, v204
	v_add_f32_e32 v18, v13, v195
	ds_load_b128 v[13:16], v25 offset:896
	s_wait_loadcnt_dscnt 0x101
	v_mul_f32_e32 v26, v1, v10
	v_dual_mul_f32 v10, v2, v10 :: v_dual_mul_f32 v27, v3, v12
	v_mul_f32_e32 v12, v4, v12
	v_add_f32_e32 v18, v18, v197
	s_delay_alu instid0(VALU_DEP_4) | instskip(NEXT) | instid1(VALU_DEP_4)
	v_fmac_f32_e32 v26, v2, v9
	v_fma_f32 v28, v1, v9, -v10
	v_fmac_f32_e32 v27, v4, v11
	v_fma_f32 v29, v3, v11, -v12
	s_clause 0x1
	scratch_load_b128 v[1:4], off, off offset:432
	scratch_load_b128 v[9:12], off, off offset:448
	v_add_f32_e32 v18, v18, v199
	v_add_f32_e32 v22, v22, v206
	s_delay_alu instid0(VALU_DEP_1) | instskip(SKIP_1) | instid1(VALU_DEP_3)
	v_add_f32_e32 v22, v22, v208
	s_wait_loadcnt_dscnt 0x200
	v_dual_mul_f32 v32, v13, v6 :: v_dual_add_f32 v21, v18, v201
	scratch_load_b128 v[17:20], off, off offset:464
	v_dual_mul_f32 v6, v14, v6 :: v_dual_mul_f32 v153, v15, v8
	v_dual_mul_f32 v8, v16, v8 :: v_dual_add_f32 v21, v21, v203
	v_fmac_f32_e32 v32, v14, v5
	s_delay_alu instid0(VALU_DEP_3) | instskip(NEXT) | instid1(VALU_DEP_4)
	v_fma_f32 v154, v13, v5, -v6
	v_fmac_f32_e32 v153, v16, v7
	s_delay_alu instid0(VALU_DEP_4) | instskip(SKIP_3) | instid1(VALU_DEP_1)
	v_fma_f32 v156, v15, v7, -v8
	v_add_f32_e32 v21, v21, v205
	ds_load_b128 v[5:8], v25 offset:912
	v_add_f32_e32 v13, v21, v207
	v_dual_add_f32 v21, v22, v210 :: v_dual_add_f32 v22, v13, v209
	s_delay_alu instid0(VALU_DEP_1)
	v_add_f32_e32 v157, v21, v212
	ds_load_b128 v[13:16], v25 offset:928
	v_add_f32_e32 v158, v22, v211
	ds_load_b128 v[21:24], v25 offset:944
	v_add_f32_e32 v25, v157, v214
	s_wait_loadcnt_dscnt 0x202
	v_dual_add_f32 v157, v158, v213 :: v_dual_mul_f32 v158, v5, v2
	s_delay_alu instid0(VALU_DEP_2) | instskip(NEXT) | instid1(VALU_DEP_2)
	v_dual_add_f32 v25, v25, v216 :: v_dual_mul_f32 v2, v6, v2
	v_dual_add_f32 v157, v157, v215 :: v_dual_fmac_f32 v158, v6, v1
	s_delay_alu instid0(VALU_DEP_2) | instskip(SKIP_2) | instid1(VALU_DEP_4)
	v_add_f32_e32 v25, v25, v28
	v_mul_f32_e32 v28, v7, v4
	v_mul_f32_e32 v4, v8, v4
	v_add_f32_e32 v26, v157, v26
	v_fma_f32 v2, v5, v1, -v2
	v_add_f32_e32 v25, v25, v29
	s_wait_loadcnt_dscnt 0x101
	v_mul_f32_e32 v157, v13, v10
	v_mul_f32_e32 v6, v14, v10
	v_add_f32_e32 v26, v26, v27
	v_dual_fmac_f32 v28, v8, v3 :: v_dual_add_f32 v25, v25, v154
	v_fma_f32 v3, v7, v3, -v4
	v_mul_f32_e32 v159, v15, v12
	s_delay_alu instid0(VALU_DEP_4)
	v_add_f32_e32 v26, v26, v32
	v_mul_f32_e32 v4, v16, v12
	v_add_f32_e32 v1, v25, v156
	v_fmac_f32_e32 v157, v14, v9
	v_fmac_f32_e32 v159, v16, v11
	v_add_f32_e32 v5, v26, v153
	v_fma_f32 v4, v15, v11, -v4
	v_add_f32_e32 v1, v1, v2
	s_delay_alu instid0(VALU_DEP_3) | instskip(SKIP_1) | instid1(VALU_DEP_2)
	v_add_f32_e32 v2, v5, v158
	v_fma_f32 v5, v13, v9, -v6
	v_dual_add_f32 v1, v1, v3 :: v_dual_add_f32 v2, v2, v28
	s_delay_alu instid0(VALU_DEP_1) | instskip(NEXT) | instid1(VALU_DEP_1)
	v_add_f32_e32 v1, v1, v5
	v_dual_add_f32 v2, v2, v157 :: v_dual_add_f32 v1, v1, v4
	s_wait_loadcnt_dscnt 0x0
	s_delay_alu instid0(VALU_DEP_1) | instskip(SKIP_3) | instid1(VALU_DEP_4)
	v_dual_add_f32 v2, v2, v159 :: v_dual_mul_f32 v27, v21, v18
	v_mul_f32_e32 v3, v22, v18
	v_mul_f32_e32 v29, v23, v20
	;; [unrolled: 1-line block ×3, first 2 shown]
	v_fmac_f32_e32 v27, v22, v17
	s_delay_alu instid0(VALU_DEP_4) | instskip(NEXT) | instid1(VALU_DEP_4)
	v_fma_f32 v3, v21, v17, -v3
	v_fmac_f32_e32 v29, v24, v19
	s_delay_alu instid0(VALU_DEP_4) | instskip(NEXT) | instid1(VALU_DEP_4)
	v_fma_f32 v4, v23, v19, -v5
	v_add_f32_e32 v2, v2, v27
	s_delay_alu instid0(VALU_DEP_1) | instskip(NEXT) | instid1(VALU_DEP_1)
	v_dual_add_f32 v1, v1, v3 :: v_dual_add_f32 v2, v2, v29
	v_dual_add_f32 v1, v1, v4 :: v_dual_sub_f32 v2, v31, v2
	s_delay_alu instid0(VALU_DEP_1)
	v_sub_f32_e32 v1, v30, v1
	scratch_store_b64 off, v[1:2], off offset:72
	v_cmpx_lt_u32_e32 8, v0
	s_cbranch_execz .LBB59_357
; %bb.356:
	scratch_load_b64 v[1:2], off, off offset:64
	v_mov_b32_e32 v3, 0
	s_delay_alu instid0(VALU_DEP_1)
	v_mov_b32_e32 v4, v3
	scratch_store_b64 off, v[3:4], off offset:64
	s_wait_loadcnt 0x0
	ds_store_b64 v155, v[1:2]
.LBB59_357:
	s_wait_alu 0xfffe
	s_or_b32 exec_lo, exec_lo, s0
	s_wait_storecnt_dscnt 0x0
	s_barrier_signal -1
	s_barrier_wait -1
	global_inv scope:SCOPE_SE
	s_clause 0x4
	scratch_load_b128 v[5:8], off, off offset:72
	scratch_load_b128 v[1:4], off, off offset:88
	scratch_load_b128 v[9:12], off, off offset:104
	scratch_load_b128 v[13:16], off, off offset:120
	scratch_load_b128 v[17:20], off, off offset:136
	v_mov_b32_e32 v25, 0
	ds_load_2addr_b64 v[21:24], v25 offset0:69 offset1:70
	ds_load_2addr_b64 v[26:29], v25 offset0:71 offset1:72
	;; [unrolled: 1-line block ×3, first 2 shown]
	scratch_load_b64 v[30:31], off, off offset:64
	s_mov_b32 s0, exec_lo
	s_wait_loadcnt_dscnt 0x502
	v_dual_mul_f32 v32, v21, v6 :: v_dual_mul_f32 v153, v23, v8
	v_mul_f32_e32 v6, v22, v6
	v_mul_f32_e32 v8, v24, v8
	s_wait_loadcnt_dscnt 0x300
	v_mul_f32_e32 v160, v158, v12
	v_dual_fmac_f32 v32, v22, v5 :: v_dual_fmac_f32 v153, v24, v7
	v_fma_f32 v21, v21, v5, -v6
	v_fma_f32 v22, v23, v7, -v8
	ds_load_2addr_b64 v[5:8], v25 offset0:75 offset1:76
	v_dual_mul_f32 v23, v26, v2 :: v_dual_mul_f32 v24, v28, v4
	v_mul_f32_e32 v4, v29, v4
	v_mul_f32_e32 v154, v156, v10
	v_mul_f32_e32 v10, v157, v10
	v_mul_f32_e32 v12, v159, v12
	v_mul_f32_e32 v2, v27, v2
	v_dual_fmac_f32 v23, v27, v1 :: v_dual_fmac_f32 v24, v29, v3
	v_fma_f32 v27, v28, v3, -v4
	v_fmac_f32_e32 v154, v157, v9
	v_fma_f32 v28, v156, v9, -v10
	v_fmac_f32_e32 v160, v159, v11
	v_fma_f32 v29, v158, v11, -v12
	ds_load_2addr_b64 v[9:12], v25 offset0:77 offset1:78
	s_wait_loadcnt_dscnt 0x201
	v_dual_mul_f32 v157, v7, v16 :: v_dual_mul_f32 v156, v5, v14
	v_mul_f32_e32 v14, v6, v14
	v_mul_f32_e32 v16, v8, v16
	s_delay_alu instid0(VALU_DEP_3)
	v_fmac_f32_e32 v157, v8, v15
	v_fma_f32 v26, v26, v1, -v2
	scratch_load_b128 v[1:4], off, off offset:152
	v_fmac_f32_e32 v156, v6, v13
	v_fma_f32 v13, v5, v13, -v14
	v_fma_f32 v14, v7, v15, -v16
	ds_load_2addr_b64 v[5:8], v25 offset0:79 offset1:80
	s_wait_loadcnt_dscnt 0x201
	v_mul_f32_e32 v15, v9, v18
	v_mul_f32_e32 v16, v10, v18
	;; [unrolled: 1-line block ×3, first 2 shown]
	s_delay_alu instid0(VALU_DEP_3) | instskip(NEXT) | instid1(VALU_DEP_3)
	v_dual_mul_f32 v20, v12, v20 :: v_dual_fmac_f32 v15, v10, v17
	v_fma_f32 v16, v9, v17, -v16
	s_delay_alu instid0(VALU_DEP_3) | instskip(NEXT) | instid1(VALU_DEP_3)
	v_fmac_f32_e32 v18, v12, v19
	v_fma_f32 v17, v11, v19, -v20
	scratch_load_b128 v[9:12], off, off offset:168
	s_wait_loadcnt_dscnt 0x100
	v_mul_f32_e32 v19, v5, v2
	v_mul_f32_e32 v2, v6, v2
	;; [unrolled: 1-line block ×3, first 2 shown]
	s_delay_alu instid0(VALU_DEP_3) | instskip(NEXT) | instid1(VALU_DEP_3)
	v_dual_mul_f32 v4, v8, v4 :: v_dual_fmac_f32 v19, v6, v1
	v_fma_f32 v158, v5, v1, -v2
	s_delay_alu instid0(VALU_DEP_3) | instskip(NEXT) | instid1(VALU_DEP_3)
	v_fmac_f32_e32 v20, v8, v3
	v_fma_f32 v159, v7, v3, -v4
	ds_load_2addr_b64 v[1:4], v25 offset0:81 offset1:82
	ds_load_2addr_b64 v[5:8], v25 offset0:83 offset1:84
	s_wait_loadcnt_dscnt 0x1
	v_mul_f32_e32 v161, v1, v10
	v_mul_f32_e32 v10, v2, v10
	s_delay_alu instid0(VALU_DEP_2) | instskip(NEXT) | instid1(VALU_DEP_2)
	v_dual_mul_f32 v162, v3, v12 :: v_dual_fmac_f32 v161, v2, v9
	v_fma_f32 v163, v1, v9, -v10
	v_mul_f32_e32 v1, v4, v12
	s_delay_alu instid0(VALU_DEP_3) | instskip(NEXT) | instid1(VALU_DEP_2)
	v_fmac_f32_e32 v162, v4, v11
	v_fma_f32 v164, v3, v11, -v1
	s_clause 0x1
	scratch_load_b128 v[1:4], off, off offset:184
	scratch_load_b128 v[9:12], off, off offset:200
	s_wait_loadcnt_dscnt 0x100
	v_mul_f32_e32 v165, v5, v2
	v_dual_mul_f32 v2, v6, v2 :: v_dual_mul_f32 v167, v7, v4
	s_delay_alu instid0(VALU_DEP_2) | instskip(NEXT) | instid1(VALU_DEP_2)
	v_fmac_f32_e32 v165, v6, v1
	v_fma_f32 v166, v5, v1, -v2
	v_mul_f32_e32 v1, v8, v4
	s_delay_alu instid0(VALU_DEP_4) | instskip(NEXT) | instid1(VALU_DEP_2)
	v_fmac_f32_e32 v167, v8, v3
	v_fma_f32 v168, v7, v3, -v1
	ds_load_2addr_b64 v[1:4], v25 offset0:85 offset1:86
	ds_load_2addr_b64 v[5:8], v25 offset0:87 offset1:88
	s_wait_loadcnt_dscnt 0x1
	v_mul_f32_e32 v169, v1, v10
	v_mul_f32_e32 v171, v3, v12
	s_delay_alu instid0(VALU_DEP_2) | instskip(NEXT) | instid1(VALU_DEP_2)
	v_fmac_f32_e32 v169, v2, v9
	v_dual_mul_f32 v2, v2, v10 :: v_dual_fmac_f32 v171, v4, v11
	s_delay_alu instid0(VALU_DEP_1) | instskip(SKIP_1) | instid1(VALU_DEP_1)
	v_fma_f32 v170, v1, v9, -v2
	v_mul_f32_e32 v1, v4, v12
	v_fma_f32 v172, v3, v11, -v1
	s_clause 0x1
	scratch_load_b128 v[1:4], off, off offset:216
	scratch_load_b128 v[9:12], off, off offset:232
	s_wait_loadcnt_dscnt 0x100
	v_mul_f32_e32 v173, v5, v2
	v_dual_mul_f32 v2, v6, v2 :: v_dual_mul_f32 v175, v7, v4
	s_delay_alu instid0(VALU_DEP_2) | instskip(NEXT) | instid1(VALU_DEP_2)
	v_fmac_f32_e32 v173, v6, v1
	v_fma_f32 v174, v5, v1, -v2
	v_mul_f32_e32 v1, v8, v4
	s_delay_alu instid0(VALU_DEP_4) | instskip(NEXT) | instid1(VALU_DEP_2)
	v_fmac_f32_e32 v175, v8, v3
	v_fma_f32 v176, v7, v3, -v1
	ds_load_2addr_b64 v[1:4], v25 offset0:89 offset1:90
	ds_load_2addr_b64 v[5:8], v25 offset0:91 offset1:92
	s_wait_loadcnt_dscnt 0x1
	v_mul_f32_e32 v177, v1, v10
	v_mul_f32_e32 v179, v3, v12
	s_delay_alu instid0(VALU_DEP_2) | instskip(NEXT) | instid1(VALU_DEP_2)
	v_fmac_f32_e32 v177, v2, v9
	v_dual_mul_f32 v2, v2, v10 :: v_dual_fmac_f32 v179, v4, v11
	s_delay_alu instid0(VALU_DEP_1) | instskip(SKIP_1) | instid1(VALU_DEP_1)
	v_fma_f32 v178, v1, v9, -v2
	v_mul_f32_e32 v1, v4, v12
	;; [unrolled: 25-line block ×6, first 2 shown]
	v_fma_f32 v212, v3, v11, -v1
	s_clause 0x1
	scratch_load_b128 v[1:4], off, off offset:376
	scratch_load_b128 v[9:12], off, off offset:392
	s_wait_loadcnt_dscnt 0x100
	v_mul_f32_e32 v213, v5, v2
	v_dual_mul_f32 v2, v6, v2 :: v_dual_mul_f32 v215, v7, v4
	s_delay_alu instid0(VALU_DEP_1) | instskip(NEXT) | instid1(VALU_DEP_2)
	v_fma_f32 v214, v5, v1, -v2
	v_dual_add_f32 v2, 0, v32 :: v_dual_fmac_f32 v215, v8, v3
	s_delay_alu instid0(VALU_DEP_4) | instskip(NEXT) | instid1(VALU_DEP_2)
	v_fmac_f32_e32 v213, v6, v1
	v_dual_mul_f32 v1, v8, v4 :: v_dual_add_f32 v2, v2, v153
	s_delay_alu instid0(VALU_DEP_1) | instskip(NEXT) | instid1(VALU_DEP_2)
	v_fma_f32 v216, v7, v3, -v1
	v_add_f32_e32 v2, v2, v23
	s_delay_alu instid0(VALU_DEP_1) | instskip(NEXT) | instid1(VALU_DEP_1)
	v_add_f32_e32 v2, v2, v24
	v_add_f32_e32 v2, v2, v154
	s_delay_alu instid0(VALU_DEP_1) | instskip(NEXT) | instid1(VALU_DEP_1)
	v_add_f32_e32 v2, v2, v160
	;; [unrolled: 3-line block ×4, first 2 shown]
	v_add_f32_e32 v2, v2, v19
	s_delay_alu instid0(VALU_DEP_1) | instskip(NEXT) | instid1(VALU_DEP_1)
	v_dual_add_f32 v2, v2, v20 :: v_dual_add_f32 v1, 0, v21
	v_dual_add_f32 v2, v2, v161 :: v_dual_add_f32 v1, v1, v22
	s_delay_alu instid0(VALU_DEP_1) | instskip(NEXT) | instid1(VALU_DEP_1)
	v_add_f32_e32 v2, v2, v162
	v_dual_add_f32 v1, v1, v26 :: v_dual_add_f32 v2, v2, v165
	s_delay_alu instid0(VALU_DEP_1) | instskip(SKIP_2) | instid1(VALU_DEP_1)
	v_add_f32_e32 v1, v1, v27
	scratch_load_b64 v[26:27], off, off offset:472
	v_dual_add_f32 v2, v2, v167 :: v_dual_add_f32 v1, v1, v28
	v_add_f32_e32 v2, v2, v169
	s_delay_alu instid0(VALU_DEP_1) | instskip(NEXT) | instid1(VALU_DEP_1)
	v_dual_add_f32 v1, v1, v29 :: v_dual_add_f32 v2, v2, v171
	v_add_f32_e32 v1, v1, v13
	s_delay_alu instid0(VALU_DEP_1) | instskip(NEXT) | instid1(VALU_DEP_1)
	v_dual_add_f32 v2, v2, v173 :: v_dual_add_f32 v1, v1, v14
	v_dual_add_f32 v2, v2, v175 :: v_dual_add_f32 v1, v1, v16
	s_delay_alu instid0(VALU_DEP_1) | instskip(NEXT) | instid1(VALU_DEP_1)
	v_add_f32_e32 v2, v2, v177
	v_dual_add_f32 v1, v1, v17 :: v_dual_add_f32 v2, v2, v179
	s_delay_alu instid0(VALU_DEP_1) | instskip(NEXT) | instid1(VALU_DEP_1)
	v_add_f32_e32 v1, v1, v158
	v_add_f32_e32 v1, v1, v159
	s_delay_alu instid0(VALU_DEP_1) | instskip(NEXT) | instid1(VALU_DEP_1)
	v_add_f32_e32 v1, v1, v163
	v_add_f32_e32 v1, v1, v164
	;; [unrolled: 3-line block ×8, first 2 shown]
	s_delay_alu instid0(VALU_DEP_1) | instskip(SKIP_1) | instid1(VALU_DEP_2)
	v_add_f32_e32 v6, v1, v190
	v_add_f32_e32 v2, v2, v181
	;; [unrolled: 1-line block ×3, first 2 shown]
	s_delay_alu instid0(VALU_DEP_2) | instskip(NEXT) | instid1(VALU_DEP_2)
	v_add_f32_e32 v2, v2, v183
	v_add_f32_e32 v14, v14, v194
	s_delay_alu instid0(VALU_DEP_2) | instskip(NEXT) | instid1(VALU_DEP_2)
	v_add_f32_e32 v2, v2, v185
	v_add_f32_e32 v17, v14, v196
	s_delay_alu instid0(VALU_DEP_2)
	v_add_f32_e32 v5, v2, v187
	scratch_load_b128 v[1:4], off, off offset:408
	v_add_f32_e32 v17, v17, v198
	v_add_f32_e32 v13, v5, v189
	ds_load_2addr_b64 v[5:8], v25 offset0:109 offset1:110
	v_add_f32_e32 v17, v17, v200
	v_add_f32_e32 v13, v13, v191
	s_delay_alu instid0(VALU_DEP_2) | instskip(NEXT) | instid1(VALU_DEP_2)
	v_add_f32_e32 v17, v17, v202
	v_add_f32_e32 v13, v13, v193
	s_delay_alu instid0(VALU_DEP_2) | instskip(NEXT) | instid1(VALU_DEP_2)
	v_add_f32_e32 v22, v17, v204
	v_add_f32_e32 v18, v13, v195
	ds_load_2addr_b64 v[13:16], v25 offset0:111 offset1:112
	v_add_f32_e32 v22, v22, v206
	v_add_f32_e32 v18, v18, v197
	s_wait_loadcnt_dscnt 0x201
	v_mul_f32_e32 v32, v5, v10
	v_dual_mul_f32 v10, v6, v10 :: v_dual_mul_f32 v153, v7, v12
	v_mul_f32_e32 v12, v8, v12
	v_add_f32_e32 v18, v18, v199
	s_delay_alu instid0(VALU_DEP_4) | instskip(NEXT) | instid1(VALU_DEP_4)
	v_fmac_f32_e32 v32, v6, v9
	v_fma_f32 v154, v5, v9, -v10
	v_fmac_f32_e32 v153, v8, v11
	v_fma_f32 v156, v7, v11, -v12
	s_clause 0x1
	scratch_load_b128 v[5:8], off, off offset:424
	scratch_load_b128 v[9:12], off, off offset:440
	v_add_f32_e32 v22, v22, v208
	s_delay_alu instid0(VALU_DEP_1)
	v_add_f32_e32 v22, v22, v210
	s_wait_loadcnt_dscnt 0x200
	v_dual_mul_f32 v158, v15, v4 :: v_dual_add_f32 v21, v18, v201
	scratch_load_b128 v[17:20], off, off offset:456
	v_dual_mul_f32 v4, v16, v4 :: v_dual_mul_f32 v157, v13, v2
	v_dual_mul_f32 v2, v14, v2 :: v_dual_add_f32 v21, v21, v203
	v_fmac_f32_e32 v158, v16, v3
	s_delay_alu instid0(VALU_DEP_3) | instskip(NEXT) | instid1(VALU_DEP_4)
	v_fma_f32 v160, v15, v3, -v4
	v_fmac_f32_e32 v157, v14, v1
	s_delay_alu instid0(VALU_DEP_4) | instskip(SKIP_3) | instid1(VALU_DEP_1)
	v_fma_f32 v159, v13, v1, -v2
	v_dual_add_f32 v21, v21, v205 :: v_dual_add_f32 v14, v22, v212
	ds_load_2addr_b64 v[1:4], v25 offset0:113 offset1:114
	v_dual_add_f32 v21, v21, v207 :: v_dual_add_f32 v28, v14, v214
	v_add_f32_e32 v13, v21, v209
	s_delay_alu instid0(VALU_DEP_2) | instskip(NEXT) | instid1(VALU_DEP_2)
	v_add_f32_e32 v161, v28, v216
	v_add_f32_e32 v21, v13, v211
	ds_load_2addr_b64 v[13:16], v25 offset0:115 offset1:116
	v_add_f32_e32 v154, v161, v154
	v_add_f32_e32 v29, v21, v213
	ds_load_2addr_b64 v[21:24], v25 offset0:117 offset1:118
	s_wait_loadcnt_dscnt 0x202
	v_dual_add_f32 v154, v154, v156 :: v_dual_mul_f32 v161, v1, v6
	v_mul_f32_e32 v6, v2, v6
	v_add_f32_e32 v162, v29, v215
	ds_load_b64 v[28:29], v25 offset:952
	v_add_f32_e32 v154, v154, v159
	v_fmac_f32_e32 v161, v2, v5
	v_fma_f32 v1, v1, v5, -v6
	v_add_f32_e32 v32, v162, v32
	s_delay_alu instid0(VALU_DEP_4) | instskip(NEXT) | instid1(VALU_DEP_2)
	v_add_f32_e32 v154, v154, v160
	v_dual_add_f32 v32, v32, v153 :: v_dual_mul_f32 v153, v3, v8
	v_mul_f32_e32 v8, v4, v8
	s_wait_loadcnt_dscnt 0x102
	s_delay_alu instid0(VALU_DEP_3) | instskip(NEXT) | instid1(VALU_DEP_3)
	v_dual_mul_f32 v156, v13, v10 :: v_dual_add_f32 v1, v154, v1
	v_add_f32_e32 v32, v32, v157
	v_fmac_f32_e32 v153, v4, v7
	v_fma_f32 v2, v3, v7, -v8
	v_mul_f32_e32 v3, v14, v10
	s_delay_alu instid0(VALU_DEP_4) | instskip(SKIP_1) | instid1(VALU_DEP_3)
	v_dual_mul_f32 v157, v15, v12 :: v_dual_add_f32 v32, v32, v158
	v_dual_mul_f32 v5, v16, v12 :: v_dual_fmac_f32 v156, v14, v9
	v_fma_f32 v3, v13, v9, -v3
	s_delay_alu instid0(VALU_DEP_3) | instskip(NEXT) | instid1(VALU_DEP_4)
	v_dual_add_f32 v1, v1, v2 :: v_dual_add_f32 v4, v32, v161
	v_fmac_f32_e32 v157, v16, v11
	s_delay_alu instid0(VALU_DEP_4) | instskip(SKIP_3) | instid1(VALU_DEP_2)
	v_fma_f32 v5, v15, v11, -v5
	s_wait_dscnt 0x0
	v_mul_f32_e32 v158, v28, v27
	v_dual_add_f32 v1, v1, v3 :: v_dual_add_f32 v2, v4, v153
	v_fmac_f32_e32 v158, v29, v26
	s_delay_alu instid0(VALU_DEP_2) | instskip(NEXT) | instid1(VALU_DEP_1)
	v_dual_add_f32 v1, v1, v5 :: v_dual_add_f32 v2, v2, v156
	v_dual_mul_f32 v5, v29, v27 :: v_dual_add_f32 v2, v2, v157
	s_wait_loadcnt 0x0
	v_mul_f32_e32 v159, v21, v18
	v_mul_f32_e32 v4, v22, v18
	;; [unrolled: 1-line block ×4, first 2 shown]
	s_delay_alu instid0(VALU_DEP_4) | instskip(NEXT) | instid1(VALU_DEP_4)
	v_fmac_f32_e32 v159, v22, v17
	v_fma_f32 v4, v21, v17, -v4
	s_delay_alu instid0(VALU_DEP_4) | instskip(NEXT) | instid1(VALU_DEP_4)
	v_fmac_f32_e32 v160, v24, v19
	v_fma_f32 v3, v23, v19, -v3
	s_delay_alu instid0(VALU_DEP_3) | instskip(SKIP_1) | instid1(VALU_DEP_2)
	v_dual_add_f32 v2, v2, v159 :: v_dual_add_f32 v1, v1, v4
	v_fma_f32 v4, v28, v26, -v5
	v_dual_add_f32 v2, v2, v160 :: v_dual_add_f32 v1, v1, v3
	s_delay_alu instid0(VALU_DEP_1) | instskip(NEXT) | instid1(VALU_DEP_1)
	v_dual_add_f32 v2, v2, v158 :: v_dual_add_f32 v1, v1, v4
	v_dual_sub_f32 v2, v31, v2 :: v_dual_sub_f32 v1, v30, v1
	scratch_store_b64 off, v[1:2], off offset:64
	v_cmpx_lt_u32_e32 7, v0
	s_cbranch_execz .LBB59_359
; %bb.358:
	scratch_load_b64 v[1:2], off, off offset:56
	v_mov_b32_e32 v26, v25
	scratch_store_b64 off, v[25:26], off offset:56
	s_wait_loadcnt 0x0
	ds_store_b64 v155, v[1:2]
.LBB59_359:
	s_wait_alu 0xfffe
	s_or_b32 exec_lo, exec_lo, s0
	s_wait_storecnt_dscnt 0x0
	s_barrier_signal -1
	s_barrier_wait -1
	global_inv scope:SCOPE_SE
	s_clause 0x4
	scratch_load_b128 v[5:8], off, off offset:64
	scratch_load_b128 v[1:4], off, off offset:80
	;; [unrolled: 1-line block ×5, first 2 shown]
	ds_load_b128 v[21:24], v25 offset:544
	ds_load_b128 v[26:29], v25 offset:560
	;; [unrolled: 1-line block ×3, first 2 shown]
	scratch_load_b64 v[30:31], off, off offset:56
	s_mov_b32 s0, exec_lo
	s_wait_loadcnt_dscnt 0x502
	v_dual_mul_f32 v32, v21, v6 :: v_dual_mul_f32 v153, v23, v8
	v_mul_f32_e32 v6, v22, v6
	v_mul_f32_e32 v8, v24, v8
	s_wait_loadcnt_dscnt 0x300
	v_mul_f32_e32 v154, v156, v10
	v_dual_fmac_f32 v32, v22, v5 :: v_dual_fmac_f32 v153, v24, v7
	v_fma_f32 v21, v21, v5, -v6
	v_fma_f32 v22, v23, v7, -v8
	ds_load_b128 v[5:8], v25 offset:592
	v_dual_mul_f32 v23, v26, v2 :: v_dual_mul_f32 v24, v28, v4
	v_mul_f32_e32 v4, v29, v4
	v_mul_f32_e32 v10, v157, v10
	;; [unrolled: 1-line block ×5, first 2 shown]
	v_dual_fmac_f32 v23, v27, v1 :: v_dual_fmac_f32 v24, v29, v3
	v_fma_f32 v27, v28, v3, -v4
	v_fmac_f32_e32 v154, v157, v9
	v_fma_f32 v28, v156, v9, -v10
	v_fmac_f32_e32 v160, v159, v11
	v_fma_f32 v29, v158, v11, -v12
	ds_load_b128 v[9:12], v25 offset:608
	s_wait_loadcnt_dscnt 0x201
	v_dual_mul_f32 v157, v7, v16 :: v_dual_mul_f32 v156, v5, v14
	v_mul_f32_e32 v14, v6, v14
	v_mul_f32_e32 v16, v8, v16
	s_delay_alu instid0(VALU_DEP_3)
	v_fmac_f32_e32 v157, v8, v15
	v_fma_f32 v26, v26, v1, -v2
	scratch_load_b128 v[1:4], off, off offset:144
	v_fmac_f32_e32 v156, v6, v13
	v_fma_f32 v13, v5, v13, -v14
	v_fma_f32 v14, v7, v15, -v16
	ds_load_b128 v[5:8], v25 offset:624
	s_wait_loadcnt_dscnt 0x201
	v_mul_f32_e32 v15, v9, v18
	v_mul_f32_e32 v16, v10, v18
	;; [unrolled: 1-line block ×3, first 2 shown]
	s_delay_alu instid0(VALU_DEP_3) | instskip(NEXT) | instid1(VALU_DEP_3)
	v_dual_mul_f32 v20, v12, v20 :: v_dual_fmac_f32 v15, v10, v17
	v_fma_f32 v16, v9, v17, -v16
	s_delay_alu instid0(VALU_DEP_3) | instskip(NEXT) | instid1(VALU_DEP_3)
	v_fmac_f32_e32 v18, v12, v19
	v_fma_f32 v17, v11, v19, -v20
	scratch_load_b128 v[9:12], off, off offset:160
	s_wait_loadcnt_dscnt 0x100
	v_mul_f32_e32 v19, v5, v2
	v_mul_f32_e32 v2, v6, v2
	;; [unrolled: 1-line block ×3, first 2 shown]
	s_delay_alu instid0(VALU_DEP_3) | instskip(NEXT) | instid1(VALU_DEP_3)
	v_dual_mul_f32 v4, v8, v4 :: v_dual_fmac_f32 v19, v6, v1
	v_fma_f32 v158, v5, v1, -v2
	s_delay_alu instid0(VALU_DEP_3) | instskip(NEXT) | instid1(VALU_DEP_3)
	v_fmac_f32_e32 v20, v8, v3
	v_fma_f32 v159, v7, v3, -v4
	ds_load_b128 v[1:4], v25 offset:640
	ds_load_b128 v[5:8], v25 offset:656
	s_wait_loadcnt_dscnt 0x1
	v_mul_f32_e32 v161, v1, v10
	v_mul_f32_e32 v10, v2, v10
	s_delay_alu instid0(VALU_DEP_2) | instskip(NEXT) | instid1(VALU_DEP_2)
	v_dual_mul_f32 v162, v3, v12 :: v_dual_fmac_f32 v161, v2, v9
	v_fma_f32 v163, v1, v9, -v10
	v_mul_f32_e32 v1, v4, v12
	s_delay_alu instid0(VALU_DEP_3) | instskip(NEXT) | instid1(VALU_DEP_2)
	v_fmac_f32_e32 v162, v4, v11
	v_fma_f32 v164, v3, v11, -v1
	s_clause 0x1
	scratch_load_b128 v[1:4], off, off offset:176
	scratch_load_b128 v[9:12], off, off offset:192
	s_wait_loadcnt_dscnt 0x100
	v_mul_f32_e32 v165, v5, v2
	v_dual_mul_f32 v2, v6, v2 :: v_dual_mul_f32 v167, v7, v4
	s_delay_alu instid0(VALU_DEP_2) | instskip(NEXT) | instid1(VALU_DEP_2)
	v_fmac_f32_e32 v165, v6, v1
	v_fma_f32 v166, v5, v1, -v2
	v_mul_f32_e32 v1, v8, v4
	s_delay_alu instid0(VALU_DEP_4) | instskip(NEXT) | instid1(VALU_DEP_2)
	v_fmac_f32_e32 v167, v8, v3
	v_fma_f32 v168, v7, v3, -v1
	ds_load_b128 v[1:4], v25 offset:672
	ds_load_b128 v[5:8], v25 offset:688
	s_wait_loadcnt_dscnt 0x1
	v_mul_f32_e32 v169, v1, v10
	v_mul_f32_e32 v171, v3, v12
	s_delay_alu instid0(VALU_DEP_2) | instskip(NEXT) | instid1(VALU_DEP_2)
	v_fmac_f32_e32 v169, v2, v9
	v_dual_mul_f32 v2, v2, v10 :: v_dual_fmac_f32 v171, v4, v11
	s_delay_alu instid0(VALU_DEP_1) | instskip(SKIP_1) | instid1(VALU_DEP_1)
	v_fma_f32 v170, v1, v9, -v2
	v_mul_f32_e32 v1, v4, v12
	v_fma_f32 v172, v3, v11, -v1
	s_clause 0x1
	scratch_load_b128 v[1:4], off, off offset:208
	scratch_load_b128 v[9:12], off, off offset:224
	s_wait_loadcnt_dscnt 0x100
	v_mul_f32_e32 v173, v5, v2
	v_dual_mul_f32 v2, v6, v2 :: v_dual_mul_f32 v175, v7, v4
	s_delay_alu instid0(VALU_DEP_2) | instskip(NEXT) | instid1(VALU_DEP_2)
	v_fmac_f32_e32 v173, v6, v1
	v_fma_f32 v174, v5, v1, -v2
	v_mul_f32_e32 v1, v8, v4
	s_delay_alu instid0(VALU_DEP_4) | instskip(NEXT) | instid1(VALU_DEP_2)
	v_fmac_f32_e32 v175, v8, v3
	v_fma_f32 v176, v7, v3, -v1
	ds_load_b128 v[1:4], v25 offset:704
	ds_load_b128 v[5:8], v25 offset:720
	s_wait_loadcnt_dscnt 0x1
	v_mul_f32_e32 v177, v1, v10
	v_mul_f32_e32 v179, v3, v12
	s_delay_alu instid0(VALU_DEP_2) | instskip(NEXT) | instid1(VALU_DEP_2)
	v_fmac_f32_e32 v177, v2, v9
	v_dual_mul_f32 v2, v2, v10 :: v_dual_fmac_f32 v179, v4, v11
	s_delay_alu instid0(VALU_DEP_1) | instskip(SKIP_1) | instid1(VALU_DEP_1)
	v_fma_f32 v178, v1, v9, -v2
	v_mul_f32_e32 v1, v4, v12
	;; [unrolled: 25-line block ×7, first 2 shown]
	v_fma_f32 v220, v3, v11, -v1
	s_clause 0x1
	scratch_load_b128 v[1:4], off, off offset:400
	scratch_load_b128 v[9:12], off, off offset:416
	s_wait_loadcnt_dscnt 0x100
	v_mul_f32_e32 v221, v5, v2
	v_dual_mul_f32 v2, v6, v2 :: v_dual_mul_f32 v223, v7, v4
	s_delay_alu instid0(VALU_DEP_2) | instskip(NEXT) | instid1(VALU_DEP_2)
	v_fmac_f32_e32 v221, v6, v1
	v_fma_f32 v222, v5, v1, -v2
	s_delay_alu instid0(VALU_DEP_3) | instskip(NEXT) | instid1(VALU_DEP_1)
	v_dual_add_f32 v2, 0, v32 :: v_dual_fmac_f32 v223, v8, v3
	v_add_f32_e32 v2, v2, v153
	s_delay_alu instid0(VALU_DEP_1) | instskip(NEXT) | instid1(VALU_DEP_1)
	v_add_f32_e32 v2, v2, v23
	v_add_f32_e32 v2, v2, v24
	s_delay_alu instid0(VALU_DEP_1) | instskip(NEXT) | instid1(VALU_DEP_1)
	v_add_f32_e32 v2, v2, v154
	;; [unrolled: 3-line block ×5, first 2 shown]
	v_add_f32_e32 v2, v2, v20
	s_delay_alu instid0(VALU_DEP_1) | instskip(NEXT) | instid1(VALU_DEP_1)
	v_dual_mul_f32 v1, v8, v4 :: v_dual_add_f32 v2, v2, v161
	v_fma_f32 v224, v7, v3, -v1
	s_delay_alu instid0(VALU_DEP_2) | instskip(NEXT) | instid1(VALU_DEP_1)
	v_dual_add_f32 v1, 0, v21 :: v_dual_add_f32 v2, v2, v162
	v_dual_add_f32 v1, v1, v22 :: v_dual_add_f32 v2, v2, v165
	s_delay_alu instid0(VALU_DEP_1) | instskip(NEXT) | instid1(VALU_DEP_1)
	v_dual_add_f32 v1, v1, v26 :: v_dual_add_f32 v2, v2, v167
	v_dual_add_f32 v1, v1, v27 :: v_dual_add_f32 v2, v2, v169
	s_delay_alu instid0(VALU_DEP_1) | instskip(NEXT) | instid1(VALU_DEP_1)
	v_dual_add_f32 v1, v1, v28 :: v_dual_add_f32 v2, v2, v171
	v_add_f32_e32 v1, v1, v29
	s_delay_alu instid0(VALU_DEP_2) | instskip(NEXT) | instid1(VALU_DEP_1)
	v_add_f32_e32 v2, v2, v173
	v_dual_add_f32 v1, v1, v13 :: v_dual_add_f32 v2, v2, v175
	s_delay_alu instid0(VALU_DEP_1) | instskip(NEXT) | instid1(VALU_DEP_1)
	v_dual_add_f32 v1, v1, v14 :: v_dual_add_f32 v2, v2, v177
	v_dual_add_f32 v1, v1, v16 :: v_dual_add_f32 v2, v2, v179
	s_delay_alu instid0(VALU_DEP_1) | instskip(NEXT) | instid1(VALU_DEP_1)
	v_add_f32_e32 v1, v1, v17
	v_add_f32_e32 v1, v1, v158
	s_delay_alu instid0(VALU_DEP_1) | instskip(NEXT) | instid1(VALU_DEP_1)
	v_add_f32_e32 v1, v1, v159
	v_add_f32_e32 v1, v1, v163
	;; [unrolled: 3-line block ×10, first 2 shown]
	s_delay_alu instid0(VALU_DEP_1) | instskip(SKIP_1) | instid1(VALU_DEP_2)
	v_add_f32_e32 v6, v1, v196
	v_add_f32_e32 v2, v2, v181
	v_add_f32_e32 v6, v6, v198
	s_delay_alu instid0(VALU_DEP_2) | instskip(NEXT) | instid1(VALU_DEP_2)
	v_add_f32_e32 v2, v2, v183
	v_add_f32_e32 v13, v6, v200
	s_delay_alu instid0(VALU_DEP_1) | instskip(NEXT) | instid1(VALU_DEP_1)
	v_dual_add_f32 v2, v2, v185 :: v_dual_add_f32 v13, v13, v202
	v_dual_add_f32 v2, v2, v187 :: v_dual_add_f32 v13, v13, v204
	s_delay_alu instid0(VALU_DEP_1) | instskip(NEXT) | instid1(VALU_DEP_1)
	v_dual_add_f32 v2, v2, v189 :: v_dual_add_f32 v13, v13, v206
	v_add_f32_e32 v2, v2, v191
	s_delay_alu instid0(VALU_DEP_1) | instskip(SKIP_2) | instid1(VALU_DEP_1)
	v_dual_add_f32 v18, v13, v208 :: v_dual_add_f32 v5, v2, v193
	ds_load_b128 v[1:4], v25 offset:896
	v_dual_add_f32 v18, v18, v210 :: v_dual_add_f32 v5, v5, v195
	v_dual_add_f32 v18, v18, v212 :: v_dual_add_f32 v5, v5, v197
	s_delay_alu instid0(VALU_DEP_1)
	v_dual_add_f32 v21, v18, v214 :: v_dual_add_f32 v14, v5, v199
	ds_load_b128 v[5:8], v25 offset:912
	v_add_f32_e32 v32, v21, v216
	v_add_f32_e32 v14, v14, v201
	s_wait_loadcnt_dscnt 0x1
	v_dual_mul_f32 v26, v1, v10 :: v_dual_mul_f32 v27, v3, v12
	v_mul_f32_e32 v10, v2, v10
	v_mul_f32_e32 v12, v4, v12
	v_add_f32_e32 v14, v14, v203
	s_delay_alu instid0(VALU_DEP_4) | instskip(NEXT) | instid1(VALU_DEP_4)
	v_dual_fmac_f32 v26, v2, v9 :: v_dual_fmac_f32 v27, v4, v11
	v_fma_f32 v28, v1, v9, -v10
	s_delay_alu instid0(VALU_DEP_4)
	v_fma_f32 v29, v3, v11, -v12
	s_clause 0x1
	scratch_load_b128 v[1:4], off, off offset:432
	scratch_load_b128 v[9:12], off, off offset:448
	v_add_f32_e32 v17, v14, v205
	scratch_load_b128 v[13:16], off, off offset:464
	s_wait_loadcnt_dscnt 0x200
	v_dual_add_f32 v17, v17, v207 :: v_dual_mul_f32 v154, v7, v4
	s_delay_alu instid0(VALU_DEP_1) | instskip(NEXT) | instid1(VALU_DEP_2)
	v_dual_add_f32 v17, v17, v209 :: v_dual_mul_f32 v4, v8, v4
	v_fmac_f32_e32 v154, v8, v3
	s_delay_alu instid0(VALU_DEP_2) | instskip(NEXT) | instid1(VALU_DEP_3)
	v_add_f32_e32 v17, v17, v211
	v_fma_f32 v3, v7, v3, -v4
	s_delay_alu instid0(VALU_DEP_2)
	v_add_f32_e32 v22, v17, v213
	ds_load_b128 v[17:20], v25 offset:928
	v_add_f32_e32 v153, v22, v215
	ds_load_b128 v[21:24], v25 offset:944
	v_dual_add_f32 v25, v32, v218 :: v_dual_add_f32 v32, v153, v217
	v_mul_f32_e32 v153, v5, v2
	s_delay_alu instid0(VALU_DEP_2) | instskip(NEXT) | instid1(VALU_DEP_2)
	v_dual_add_f32 v25, v25, v220 :: v_dual_mul_f32 v2, v6, v2
	v_dual_add_f32 v32, v32, v219 :: v_dual_fmac_f32 v153, v6, v1
	s_delay_alu instid0(VALU_DEP_2) | instskip(NEXT) | instid1(VALU_DEP_3)
	v_add_f32_e32 v25, v25, v222
	v_fma_f32 v2, v5, v1, -v2
	s_wait_loadcnt_dscnt 0x101
	v_mul_f32_e32 v156, v17, v10
	s_delay_alu instid0(VALU_DEP_3)
	v_dual_add_f32 v25, v25, v224 :: v_dual_mul_f32 v6, v18, v10
	v_mul_f32_e32 v157, v19, v12
	v_mul_f32_e32 v4, v20, v12
	s_wait_loadcnt_dscnt 0x0
	v_mul_f32_e32 v158, v21, v14
	v_dual_add_f32 v32, v32, v221 :: v_dual_add_f32 v25, v25, v28
	v_dual_fmac_f32 v156, v18, v9 :: v_dual_fmac_f32 v157, v20, v11
	v_fma_f32 v4, v19, v11, -v4
	s_delay_alu instid0(VALU_DEP_3) | instskip(SKIP_2) | instid1(VALU_DEP_3)
	v_dual_add_f32 v32, v32, v223 :: v_dual_add_f32 v1, v25, v29
	v_mul_f32_e32 v28, v23, v16
	v_fmac_f32_e32 v158, v22, v13
	v_add_f32_e32 v26, v32, v26
	s_delay_alu instid0(VALU_DEP_3) | instskip(NEXT) | instid1(VALU_DEP_2)
	v_dual_add_f32 v1, v1, v2 :: v_dual_fmac_f32 v28, v24, v15
	v_add_f32_e32 v5, v26, v27
	s_delay_alu instid0(VALU_DEP_2) | instskip(NEXT) | instid1(VALU_DEP_2)
	v_add_f32_e32 v1, v1, v3
	v_dual_mul_f32 v3, v22, v14 :: v_dual_add_f32 v2, v5, v153
	v_fma_f32 v5, v17, v9, -v6
	s_delay_alu instid0(VALU_DEP_2) | instskip(NEXT) | instid1(VALU_DEP_2)
	v_fma_f32 v3, v21, v13, -v3
	v_dual_add_f32 v2, v2, v154 :: v_dual_add_f32 v1, v1, v5
	v_mul_f32_e32 v5, v24, v16
	s_delay_alu instid0(VALU_DEP_2) | instskip(NEXT) | instid1(VALU_DEP_3)
	v_add_f32_e32 v2, v2, v156
	v_add_f32_e32 v1, v1, v4
	s_delay_alu instid0(VALU_DEP_3) | instskip(NEXT) | instid1(VALU_DEP_2)
	v_fma_f32 v4, v23, v15, -v5
	v_dual_add_f32 v2, v2, v157 :: v_dual_add_f32 v1, v1, v3
	s_delay_alu instid0(VALU_DEP_1) | instskip(NEXT) | instid1(VALU_DEP_1)
	v_dual_add_f32 v2, v2, v158 :: v_dual_add_f32 v1, v1, v4
	v_add_f32_e32 v2, v2, v28
	s_delay_alu instid0(VALU_DEP_1)
	v_dual_sub_f32 v1, v30, v1 :: v_dual_sub_f32 v2, v31, v2
	scratch_store_b64 off, v[1:2], off offset:56
	v_cmpx_lt_u32_e32 6, v0
	s_cbranch_execz .LBB59_361
; %bb.360:
	scratch_load_b64 v[1:2], off, off offset:48
	v_mov_b32_e32 v3, 0
	s_delay_alu instid0(VALU_DEP_1)
	v_mov_b32_e32 v4, v3
	scratch_store_b64 off, v[3:4], off offset:48
	s_wait_loadcnt 0x0
	ds_store_b64 v155, v[1:2]
.LBB59_361:
	s_wait_alu 0xfffe
	s_or_b32 exec_lo, exec_lo, s0
	s_wait_storecnt_dscnt 0x0
	s_barrier_signal -1
	s_barrier_wait -1
	global_inv scope:SCOPE_SE
	s_clause 0x4
	scratch_load_b128 v[5:8], off, off offset:56
	scratch_load_b128 v[1:4], off, off offset:72
	;; [unrolled: 1-line block ×5, first 2 shown]
	v_mov_b32_e32 v25, 0
	ds_load_2addr_b64 v[21:24], v25 offset0:67 offset1:68
	ds_load_2addr_b64 v[26:29], v25 offset0:69 offset1:70
	ds_load_2addr_b64 v[156:159], v25 offset0:71 offset1:72
	scratch_load_b64 v[30:31], off, off offset:48
	s_mov_b32 s0, exec_lo
	s_wait_loadcnt_dscnt 0x502
	v_dual_mul_f32 v32, v21, v6 :: v_dual_mul_f32 v153, v23, v8
	v_mul_f32_e32 v6, v22, v6
	v_mul_f32_e32 v8, v24, v8
	s_wait_loadcnt_dscnt 0x300
	v_mul_f32_e32 v160, v158, v12
	v_dual_fmac_f32 v32, v22, v5 :: v_dual_fmac_f32 v153, v24, v7
	v_fma_f32 v21, v21, v5, -v6
	v_fma_f32 v22, v23, v7, -v8
	ds_load_2addr_b64 v[5:8], v25 offset0:73 offset1:74
	v_dual_mul_f32 v23, v26, v2 :: v_dual_mul_f32 v24, v28, v4
	v_mul_f32_e32 v4, v29, v4
	v_mul_f32_e32 v154, v156, v10
	;; [unrolled: 1-line block ×5, first 2 shown]
	v_dual_fmac_f32 v23, v27, v1 :: v_dual_fmac_f32 v24, v29, v3
	v_fma_f32 v27, v28, v3, -v4
	v_fmac_f32_e32 v154, v157, v9
	v_fmac_f32_e32 v160, v159, v11
	v_fma_f32 v28, v156, v9, -v10
	v_fma_f32 v29, v158, v11, -v12
	ds_load_2addr_b64 v[9:12], v25 offset0:75 offset1:76
	s_wait_loadcnt_dscnt 0x201
	v_dual_mul_f32 v157, v7, v16 :: v_dual_mul_f32 v156, v5, v14
	v_mul_f32_e32 v14, v6, v14
	v_mul_f32_e32 v16, v8, v16
	s_delay_alu instid0(VALU_DEP_3)
	v_fmac_f32_e32 v157, v8, v15
	v_fma_f32 v26, v26, v1, -v2
	scratch_load_b128 v[1:4], off, off offset:136
	v_fmac_f32_e32 v156, v6, v13
	v_fma_f32 v13, v5, v13, -v14
	v_fma_f32 v14, v7, v15, -v16
	ds_load_2addr_b64 v[5:8], v25 offset0:77 offset1:78
	s_wait_loadcnt_dscnt 0x201
	v_mul_f32_e32 v15, v9, v18
	v_mul_f32_e32 v16, v10, v18
	;; [unrolled: 1-line block ×3, first 2 shown]
	s_delay_alu instid0(VALU_DEP_3) | instskip(NEXT) | instid1(VALU_DEP_3)
	v_dual_mul_f32 v20, v12, v20 :: v_dual_fmac_f32 v15, v10, v17
	v_fma_f32 v16, v9, v17, -v16
	s_delay_alu instid0(VALU_DEP_3) | instskip(NEXT) | instid1(VALU_DEP_3)
	v_fmac_f32_e32 v18, v12, v19
	v_fma_f32 v17, v11, v19, -v20
	scratch_load_b128 v[9:12], off, off offset:152
	s_wait_loadcnt_dscnt 0x100
	v_mul_f32_e32 v19, v5, v2
	v_mul_f32_e32 v2, v6, v2
	;; [unrolled: 1-line block ×3, first 2 shown]
	s_delay_alu instid0(VALU_DEP_3) | instskip(NEXT) | instid1(VALU_DEP_3)
	v_dual_mul_f32 v4, v8, v4 :: v_dual_fmac_f32 v19, v6, v1
	v_fma_f32 v158, v5, v1, -v2
	s_delay_alu instid0(VALU_DEP_3) | instskip(NEXT) | instid1(VALU_DEP_3)
	v_fmac_f32_e32 v20, v8, v3
	v_fma_f32 v159, v7, v3, -v4
	ds_load_2addr_b64 v[1:4], v25 offset0:79 offset1:80
	ds_load_2addr_b64 v[5:8], v25 offset0:81 offset1:82
	s_wait_loadcnt_dscnt 0x1
	v_mul_f32_e32 v161, v1, v10
	v_mul_f32_e32 v10, v2, v10
	s_delay_alu instid0(VALU_DEP_2) | instskip(NEXT) | instid1(VALU_DEP_2)
	v_dual_mul_f32 v162, v3, v12 :: v_dual_fmac_f32 v161, v2, v9
	v_fma_f32 v163, v1, v9, -v10
	v_mul_f32_e32 v1, v4, v12
	s_delay_alu instid0(VALU_DEP_3) | instskip(NEXT) | instid1(VALU_DEP_2)
	v_fmac_f32_e32 v162, v4, v11
	v_fma_f32 v164, v3, v11, -v1
	s_clause 0x1
	scratch_load_b128 v[1:4], off, off offset:168
	scratch_load_b128 v[9:12], off, off offset:184
	s_wait_loadcnt_dscnt 0x100
	v_mul_f32_e32 v165, v5, v2
	v_dual_mul_f32 v2, v6, v2 :: v_dual_mul_f32 v167, v7, v4
	s_delay_alu instid0(VALU_DEP_2) | instskip(NEXT) | instid1(VALU_DEP_2)
	v_fmac_f32_e32 v165, v6, v1
	v_fma_f32 v166, v5, v1, -v2
	v_mul_f32_e32 v1, v8, v4
	s_delay_alu instid0(VALU_DEP_4) | instskip(NEXT) | instid1(VALU_DEP_2)
	v_fmac_f32_e32 v167, v8, v3
	v_fma_f32 v168, v7, v3, -v1
	ds_load_2addr_b64 v[1:4], v25 offset0:83 offset1:84
	ds_load_2addr_b64 v[5:8], v25 offset0:85 offset1:86
	s_wait_loadcnt_dscnt 0x1
	v_mul_f32_e32 v169, v1, v10
	v_mul_f32_e32 v171, v3, v12
	s_delay_alu instid0(VALU_DEP_2) | instskip(NEXT) | instid1(VALU_DEP_2)
	v_fmac_f32_e32 v169, v2, v9
	v_dual_mul_f32 v2, v2, v10 :: v_dual_fmac_f32 v171, v4, v11
	s_delay_alu instid0(VALU_DEP_1) | instskip(SKIP_1) | instid1(VALU_DEP_1)
	v_fma_f32 v170, v1, v9, -v2
	v_mul_f32_e32 v1, v4, v12
	v_fma_f32 v172, v3, v11, -v1
	s_clause 0x1
	scratch_load_b128 v[1:4], off, off offset:200
	scratch_load_b128 v[9:12], off, off offset:216
	s_wait_loadcnt_dscnt 0x100
	v_mul_f32_e32 v173, v5, v2
	v_dual_mul_f32 v2, v6, v2 :: v_dual_mul_f32 v175, v7, v4
	s_delay_alu instid0(VALU_DEP_2) | instskip(NEXT) | instid1(VALU_DEP_2)
	v_fmac_f32_e32 v173, v6, v1
	v_fma_f32 v174, v5, v1, -v2
	v_mul_f32_e32 v1, v8, v4
	s_delay_alu instid0(VALU_DEP_4) | instskip(NEXT) | instid1(VALU_DEP_2)
	v_fmac_f32_e32 v175, v8, v3
	v_fma_f32 v176, v7, v3, -v1
	ds_load_2addr_b64 v[1:4], v25 offset0:87 offset1:88
	ds_load_2addr_b64 v[5:8], v25 offset0:89 offset1:90
	s_wait_loadcnt_dscnt 0x1
	v_mul_f32_e32 v177, v1, v10
	v_mul_f32_e32 v179, v3, v12
	s_delay_alu instid0(VALU_DEP_2) | instskip(NEXT) | instid1(VALU_DEP_2)
	v_fmac_f32_e32 v177, v2, v9
	v_dual_mul_f32 v2, v2, v10 :: v_dual_fmac_f32 v179, v4, v11
	s_delay_alu instid0(VALU_DEP_1) | instskip(SKIP_1) | instid1(VALU_DEP_1)
	v_fma_f32 v178, v1, v9, -v2
	v_mul_f32_e32 v1, v4, v12
	;; [unrolled: 25-line block ×7, first 2 shown]
	v_fma_f32 v220, v3, v11, -v1
	s_clause 0x1
	scratch_load_b128 v[1:4], off, off offset:392
	scratch_load_b128 v[9:12], off, off offset:408
	s_wait_loadcnt_dscnt 0x100
	v_mul_f32_e32 v221, v5, v2
	v_dual_mul_f32 v2, v6, v2 :: v_dual_mul_f32 v223, v7, v4
	s_delay_alu instid0(VALU_DEP_2) | instskip(NEXT) | instid1(VALU_DEP_2)
	v_fmac_f32_e32 v221, v6, v1
	v_fma_f32 v222, v5, v1, -v2
	v_add_f32_e32 v2, 0, v32
	s_delay_alu instid0(VALU_DEP_1) | instskip(NEXT) | instid1(VALU_DEP_1)
	v_add_f32_e32 v2, v2, v153
	v_add_f32_e32 v2, v2, v23
	s_delay_alu instid0(VALU_DEP_1) | instskip(NEXT) | instid1(VALU_DEP_1)
	v_add_f32_e32 v2, v2, v24
	;; [unrolled: 3-line block ×6, first 2 shown]
	v_dual_mul_f32 v1, v8, v4 :: v_dual_add_f32 v2, v2, v161
	s_delay_alu instid0(VALU_DEP_1) | instskip(NEXT) | instid1(VALU_DEP_2)
	v_fma_f32 v224, v7, v3, -v1
	v_dual_add_f32 v1, 0, v21 :: v_dual_add_f32 v2, v2, v162
	s_delay_alu instid0(VALU_DEP_1) | instskip(NEXT) | instid1(VALU_DEP_1)
	v_dual_add_f32 v1, v1, v22 :: v_dual_add_f32 v2, v2, v165
	v_dual_add_f32 v1, v1, v26 :: v_dual_add_f32 v2, v2, v167
	s_delay_alu instid0(VALU_DEP_1) | instskip(SKIP_2) | instid1(VALU_DEP_1)
	v_add_f32_e32 v1, v1, v27
	scratch_load_b64 v[26:27], off, off offset:472
	v_dual_add_f32 v2, v2, v169 :: v_dual_add_f32 v1, v1, v28
	v_dual_add_f32 v2, v2, v171 :: v_dual_add_f32 v1, v1, v29
	s_delay_alu instid0(VALU_DEP_1) | instskip(NEXT) | instid1(VALU_DEP_1)
	v_add_f32_e32 v2, v2, v173
	v_dual_add_f32 v1, v1, v13 :: v_dual_add_f32 v2, v2, v175
	s_delay_alu instid0(VALU_DEP_1) | instskip(NEXT) | instid1(VALU_DEP_1)
	v_dual_add_f32 v1, v1, v14 :: v_dual_add_f32 v2, v2, v177
	v_dual_add_f32 v1, v1, v16 :: v_dual_add_f32 v2, v2, v179
	s_delay_alu instid0(VALU_DEP_1) | instskip(NEXT) | instid1(VALU_DEP_1)
	v_add_f32_e32 v1, v1, v17
	v_add_f32_e32 v1, v1, v158
	s_delay_alu instid0(VALU_DEP_1) | instskip(NEXT) | instid1(VALU_DEP_1)
	v_add_f32_e32 v1, v1, v159
	v_add_f32_e32 v1, v1, v163
	;; [unrolled: 3-line block ×10, first 2 shown]
	s_delay_alu instid0(VALU_DEP_1) | instskip(SKIP_1) | instid1(VALU_DEP_2)
	v_add_f32_e32 v6, v1, v196
	v_add_f32_e32 v2, v2, v181
	;; [unrolled: 1-line block ×3, first 2 shown]
	s_delay_alu instid0(VALU_DEP_2) | instskip(NEXT) | instid1(VALU_DEP_2)
	v_add_f32_e32 v2, v2, v183
	v_add_f32_e32 v13, v6, v200
	s_delay_alu instid0(VALU_DEP_1) | instskip(NEXT) | instid1(VALU_DEP_1)
	v_dual_add_f32 v2, v2, v185 :: v_dual_add_f32 v13, v13, v202
	v_dual_add_f32 v2, v2, v187 :: v_dual_add_f32 v13, v13, v204
	s_delay_alu instid0(VALU_DEP_1) | instskip(NEXT) | instid1(VALU_DEP_1)
	v_dual_add_f32 v2, v2, v189 :: v_dual_add_f32 v13, v13, v206
	v_add_f32_e32 v2, v2, v191
	s_delay_alu instid0(VALU_DEP_2) | instskip(NEXT) | instid1(VALU_DEP_2)
	v_dual_add_f32 v18, v13, v208 :: v_dual_fmac_f32 v223, v8, v3
	v_add_f32_e32 v5, v2, v193
	ds_load_2addr_b64 v[1:4], v25 offset0:111 offset1:112
	v_dual_add_f32 v18, v18, v210 :: v_dual_add_f32 v5, v5, v195
	s_delay_alu instid0(VALU_DEP_1) | instskip(NEXT) | instid1(VALU_DEP_1)
	v_dual_add_f32 v18, v18, v212 :: v_dual_add_f32 v5, v5, v197
	v_add_f32_e32 v18, v18, v214
	s_delay_alu instid0(VALU_DEP_2)
	v_add_f32_e32 v14, v5, v199
	ds_load_2addr_b64 v[5:8], v25 offset0:113 offset1:114
	v_add_f32_e32 v18, v18, v216
	v_add_f32_e32 v14, v14, v201
	s_wait_loadcnt_dscnt 0x101
	v_mul_f32_e32 v32, v1, v10
	v_dual_mul_f32 v10, v2, v10 :: v_dual_mul_f32 v153, v3, v12
	v_mul_f32_e32 v12, v4, v12
	v_add_f32_e32 v14, v14, v203
	s_delay_alu instid0(VALU_DEP_4) | instskip(NEXT) | instid1(VALU_DEP_4)
	v_fmac_f32_e32 v32, v2, v9
	v_fma_f32 v154, v1, v9, -v10
	v_fmac_f32_e32 v153, v4, v11
	v_fma_f32 v156, v3, v11, -v12
	s_clause 0x1
	scratch_load_b128 v[1:4], off, off offset:424
	scratch_load_b128 v[9:12], off, off offset:440
	v_add_f32_e32 v28, v18, v218
	s_delay_alu instid0(VALU_DEP_1) | instskip(NEXT) | instid1(VALU_DEP_1)
	v_add_f32_e32 v157, v28, v220
	v_add_f32_e32 v157, v157, v222
	s_delay_alu instid0(VALU_DEP_1) | instskip(NEXT) | instid1(VALU_DEP_1)
	v_add_f32_e32 v157, v157, v224
	v_add_f32_e32 v154, v157, v154
	s_delay_alu instid0(VALU_DEP_1)
	v_add_f32_e32 v154, v154, v156
	s_wait_loadcnt_dscnt 0x100
	v_dual_mul_f32 v160, v7, v4 :: v_dual_add_f32 v17, v14, v205
	scratch_load_b128 v[13:16], off, off offset:456
	v_dual_mul_f32 v4, v8, v4 :: v_dual_mul_f32 v159, v5, v2
	v_dual_mul_f32 v2, v6, v2 :: v_dual_add_f32 v17, v17, v207
	s_delay_alu instid0(VALU_DEP_2) | instskip(NEXT) | instid1(VALU_DEP_2)
	v_dual_fmac_f32 v160, v8, v3 :: v_dual_fmac_f32 v159, v6, v1
	v_fma_f32 v2, v5, v1, -v2
	s_delay_alu instid0(VALU_DEP_3) | instskip(SKIP_1) | instid1(VALU_DEP_2)
	v_add_f32_e32 v17, v17, v209
	v_fma_f32 v1, v7, v3, -v4
	v_dual_add_f32 v2, v154, v2 :: v_dual_add_f32 v17, v17, v211
	s_delay_alu instid0(VALU_DEP_1) | instskip(NEXT) | instid1(VALU_DEP_2)
	v_add_f32_e32 v1, v2, v1
	v_add_f32_e32 v17, v17, v213
	s_delay_alu instid0(VALU_DEP_1)
	v_add_f32_e32 v21, v17, v215
	ds_load_2addr_b64 v[17:20], v25 offset0:115 offset1:116
	v_add_f32_e32 v29, v21, v217
	ds_load_2addr_b64 v[21:24], v25 offset0:117 offset1:118
	v_add_f32_e32 v158, v29, v219
	ds_load_b64 v[28:29], v25 offset:952
	s_wait_loadcnt_dscnt 0x102
	v_mul_f32_e32 v157, v17, v10
	v_mul_f32_e32 v3, v18, v10
	;; [unrolled: 1-line block ×3, first 2 shown]
	s_delay_alu instid0(VALU_DEP_3) | instskip(NEXT) | instid1(VALU_DEP_3)
	v_fmac_f32_e32 v157, v18, v9
	v_fma_f32 v3, v17, v9, -v3
	s_delay_alu instid0(VALU_DEP_3) | instskip(NEXT) | instid1(VALU_DEP_2)
	v_fma_f32 v5, v19, v11, -v5
	v_add_f32_e32 v1, v1, v3
	s_delay_alu instid0(VALU_DEP_1) | instskip(SKIP_4) | instid1(VALU_DEP_3)
	v_add_f32_e32 v1, v1, v5
	s_wait_loadcnt_dscnt 0x0
	v_dual_mul_f32 v5, v29, v27 :: v_dual_mul_f32 v156, v23, v16
	v_dual_add_f32 v158, v158, v221 :: v_dual_mul_f32 v161, v21, v14
	v_mul_f32_e32 v3, v24, v16
	v_fmac_f32_e32 v156, v24, v15
	s_delay_alu instid0(VALU_DEP_3) | instskip(NEXT) | instid1(VALU_DEP_4)
	v_add_f32_e32 v158, v158, v223
	v_fmac_f32_e32 v161, v22, v13
	s_delay_alu instid0(VALU_DEP_4) | instskip(NEXT) | instid1(VALU_DEP_3)
	v_fma_f32 v3, v23, v15, -v3
	v_add_f32_e32 v32, v158, v32
	v_mul_f32_e32 v158, v19, v12
	s_delay_alu instid0(VALU_DEP_2) | instskip(NEXT) | instid1(VALU_DEP_2)
	v_add_f32_e32 v32, v32, v153
	v_fmac_f32_e32 v158, v20, v11
	v_mul_f32_e32 v153, v28, v27
	s_delay_alu instid0(VALU_DEP_1) | instskip(NEXT) | instid1(VALU_DEP_1)
	v_dual_add_f32 v4, v32, v159 :: v_dual_fmac_f32 v153, v29, v26
	v_add_f32_e32 v2, v4, v160
	v_mul_f32_e32 v4, v22, v14
	s_delay_alu instid0(VALU_DEP_2) | instskip(NEXT) | instid1(VALU_DEP_2)
	v_add_f32_e32 v2, v2, v157
	v_fma_f32 v4, v21, v13, -v4
	s_delay_alu instid0(VALU_DEP_1) | instskip(SKIP_1) | instid1(VALU_DEP_2)
	v_dual_add_f32 v2, v2, v158 :: v_dual_add_f32 v1, v1, v4
	v_fma_f32 v4, v28, v26, -v5
	v_dual_add_f32 v2, v2, v161 :: v_dual_add_f32 v1, v1, v3
	s_delay_alu instid0(VALU_DEP_1) | instskip(NEXT) | instid1(VALU_DEP_1)
	v_add_f32_e32 v2, v2, v156
	v_dual_add_f32 v1, v1, v4 :: v_dual_add_f32 v2, v2, v153
	s_delay_alu instid0(VALU_DEP_1)
	v_dual_sub_f32 v1, v30, v1 :: v_dual_sub_f32 v2, v31, v2
	scratch_store_b64 off, v[1:2], off offset:48
	v_cmpx_lt_u32_e32 5, v0
	s_cbranch_execz .LBB59_363
; %bb.362:
	scratch_load_b64 v[1:2], off, off offset:40
	v_mov_b32_e32 v26, v25
	scratch_store_b64 off, v[25:26], off offset:40
	s_wait_loadcnt 0x0
	ds_store_b64 v155, v[1:2]
.LBB59_363:
	s_wait_alu 0xfffe
	s_or_b32 exec_lo, exec_lo, s0
	s_wait_storecnt_dscnt 0x0
	s_barrier_signal -1
	s_barrier_wait -1
	global_inv scope:SCOPE_SE
	s_clause 0x4
	scratch_load_b128 v[5:8], off, off offset:48
	scratch_load_b128 v[1:4], off, off offset:64
	;; [unrolled: 1-line block ×5, first 2 shown]
	ds_load_b128 v[21:24], v25 offset:528
	ds_load_b128 v[26:29], v25 offset:544
	ds_load_b128 v[156:159], v25 offset:560
	scratch_load_b64 v[30:31], off, off offset:40
	s_mov_b32 s0, exec_lo
	s_wait_loadcnt_dscnt 0x502
	v_dual_mul_f32 v32, v21, v6 :: v_dual_mul_f32 v153, v23, v8
	v_mul_f32_e32 v6, v22, v6
	v_mul_f32_e32 v8, v24, v8
	s_wait_loadcnt_dscnt 0x300
	v_mul_f32_e32 v154, v156, v10
	v_dual_fmac_f32 v32, v22, v5 :: v_dual_fmac_f32 v153, v24, v7
	v_fma_f32 v21, v21, v5, -v6
	v_fma_f32 v22, v23, v7, -v8
	ds_load_b128 v[5:8], v25 offset:576
	v_dual_mul_f32 v23, v26, v2 :: v_dual_mul_f32 v24, v28, v4
	v_mul_f32_e32 v4, v29, v4
	v_mul_f32_e32 v160, v158, v12
	;; [unrolled: 1-line block ×5, first 2 shown]
	v_dual_fmac_f32 v23, v27, v1 :: v_dual_fmac_f32 v24, v29, v3
	v_fma_f32 v27, v28, v3, -v4
	v_fmac_f32_e32 v154, v157, v9
	v_fmac_f32_e32 v160, v159, v11
	v_fma_f32 v28, v156, v9, -v10
	v_fma_f32 v29, v158, v11, -v12
	ds_load_b128 v[9:12], v25 offset:592
	s_wait_loadcnt_dscnt 0x201
	v_dual_mul_f32 v157, v7, v16 :: v_dual_mul_f32 v156, v5, v14
	v_mul_f32_e32 v14, v6, v14
	v_mul_f32_e32 v16, v8, v16
	s_delay_alu instid0(VALU_DEP_3)
	v_fmac_f32_e32 v157, v8, v15
	v_fma_f32 v26, v26, v1, -v2
	scratch_load_b128 v[1:4], off, off offset:128
	v_fmac_f32_e32 v156, v6, v13
	v_fma_f32 v13, v5, v13, -v14
	v_fma_f32 v14, v7, v15, -v16
	ds_load_b128 v[5:8], v25 offset:608
	s_wait_loadcnt_dscnt 0x201
	v_mul_f32_e32 v15, v9, v18
	v_mul_f32_e32 v16, v10, v18
	;; [unrolled: 1-line block ×3, first 2 shown]
	s_delay_alu instid0(VALU_DEP_3) | instskip(NEXT) | instid1(VALU_DEP_3)
	v_dual_mul_f32 v20, v12, v20 :: v_dual_fmac_f32 v15, v10, v17
	v_fma_f32 v16, v9, v17, -v16
	s_delay_alu instid0(VALU_DEP_3) | instskip(NEXT) | instid1(VALU_DEP_3)
	v_fmac_f32_e32 v18, v12, v19
	v_fma_f32 v17, v11, v19, -v20
	scratch_load_b128 v[9:12], off, off offset:144
	s_wait_loadcnt_dscnt 0x100
	v_mul_f32_e32 v19, v5, v2
	v_mul_f32_e32 v2, v6, v2
	;; [unrolled: 1-line block ×3, first 2 shown]
	s_delay_alu instid0(VALU_DEP_3) | instskip(NEXT) | instid1(VALU_DEP_3)
	v_dual_mul_f32 v4, v8, v4 :: v_dual_fmac_f32 v19, v6, v1
	v_fma_f32 v158, v5, v1, -v2
	s_delay_alu instid0(VALU_DEP_3) | instskip(NEXT) | instid1(VALU_DEP_3)
	v_fmac_f32_e32 v20, v8, v3
	v_fma_f32 v159, v7, v3, -v4
	ds_load_b128 v[1:4], v25 offset:624
	ds_load_b128 v[5:8], v25 offset:640
	s_wait_loadcnt_dscnt 0x1
	v_mul_f32_e32 v161, v1, v10
	v_mul_f32_e32 v10, v2, v10
	s_delay_alu instid0(VALU_DEP_2) | instskip(NEXT) | instid1(VALU_DEP_2)
	v_dual_mul_f32 v162, v3, v12 :: v_dual_fmac_f32 v161, v2, v9
	v_fma_f32 v163, v1, v9, -v10
	v_mul_f32_e32 v1, v4, v12
	s_delay_alu instid0(VALU_DEP_3) | instskip(NEXT) | instid1(VALU_DEP_2)
	v_fmac_f32_e32 v162, v4, v11
	v_fma_f32 v164, v3, v11, -v1
	s_clause 0x1
	scratch_load_b128 v[1:4], off, off offset:160
	scratch_load_b128 v[9:12], off, off offset:176
	s_wait_loadcnt_dscnt 0x100
	v_mul_f32_e32 v165, v5, v2
	v_dual_mul_f32 v2, v6, v2 :: v_dual_mul_f32 v167, v7, v4
	s_delay_alu instid0(VALU_DEP_2) | instskip(NEXT) | instid1(VALU_DEP_2)
	v_fmac_f32_e32 v165, v6, v1
	v_fma_f32 v166, v5, v1, -v2
	v_mul_f32_e32 v1, v8, v4
	s_delay_alu instid0(VALU_DEP_4) | instskip(NEXT) | instid1(VALU_DEP_2)
	v_fmac_f32_e32 v167, v8, v3
	v_fma_f32 v168, v7, v3, -v1
	ds_load_b128 v[1:4], v25 offset:656
	ds_load_b128 v[5:8], v25 offset:672
	s_wait_loadcnt_dscnt 0x1
	v_mul_f32_e32 v169, v1, v10
	v_mul_f32_e32 v171, v3, v12
	s_delay_alu instid0(VALU_DEP_2) | instskip(NEXT) | instid1(VALU_DEP_2)
	v_fmac_f32_e32 v169, v2, v9
	v_dual_mul_f32 v2, v2, v10 :: v_dual_fmac_f32 v171, v4, v11
	s_delay_alu instid0(VALU_DEP_1) | instskip(SKIP_1) | instid1(VALU_DEP_1)
	v_fma_f32 v170, v1, v9, -v2
	v_mul_f32_e32 v1, v4, v12
	v_fma_f32 v172, v3, v11, -v1
	s_clause 0x1
	scratch_load_b128 v[1:4], off, off offset:192
	scratch_load_b128 v[9:12], off, off offset:208
	s_wait_loadcnt_dscnt 0x100
	v_mul_f32_e32 v173, v5, v2
	v_dual_mul_f32 v2, v6, v2 :: v_dual_mul_f32 v175, v7, v4
	s_delay_alu instid0(VALU_DEP_2) | instskip(NEXT) | instid1(VALU_DEP_2)
	v_fmac_f32_e32 v173, v6, v1
	v_fma_f32 v174, v5, v1, -v2
	v_mul_f32_e32 v1, v8, v4
	s_delay_alu instid0(VALU_DEP_4) | instskip(NEXT) | instid1(VALU_DEP_2)
	v_fmac_f32_e32 v175, v8, v3
	v_fma_f32 v176, v7, v3, -v1
	ds_load_b128 v[1:4], v25 offset:688
	ds_load_b128 v[5:8], v25 offset:704
	s_wait_loadcnt_dscnt 0x1
	v_mul_f32_e32 v177, v1, v10
	v_mul_f32_e32 v179, v3, v12
	s_delay_alu instid0(VALU_DEP_2) | instskip(NEXT) | instid1(VALU_DEP_2)
	v_fmac_f32_e32 v177, v2, v9
	v_dual_mul_f32 v2, v2, v10 :: v_dual_fmac_f32 v179, v4, v11
	s_delay_alu instid0(VALU_DEP_1) | instskip(SKIP_1) | instid1(VALU_DEP_1)
	v_fma_f32 v178, v1, v9, -v2
	v_mul_f32_e32 v1, v4, v12
	;; [unrolled: 25-line block ×7, first 2 shown]
	v_fma_f32 v220, v3, v11, -v1
	s_clause 0x1
	scratch_load_b128 v[1:4], off, off offset:384
	scratch_load_b128 v[9:12], off, off offset:400
	s_wait_loadcnt_dscnt 0x100
	v_mul_f32_e32 v221, v5, v2
	v_mul_f32_e32 v2, v6, v2
	s_delay_alu instid0(VALU_DEP_2) | instskip(NEXT) | instid1(VALU_DEP_2)
	v_fmac_f32_e32 v221, v6, v1
	v_fma_f32 v222, v5, v1, -v2
	v_add_f32_e32 v2, 0, v32
	s_delay_alu instid0(VALU_DEP_1) | instskip(NEXT) | instid1(VALU_DEP_1)
	v_dual_mul_f32 v1, v8, v4 :: v_dual_add_f32 v2, v2, v153
	v_fma_f32 v224, v7, v3, -v1
	s_delay_alu instid0(VALU_DEP_2) | instskip(NEXT) | instid1(VALU_DEP_1)
	v_add_f32_e32 v2, v2, v23
	v_add_f32_e32 v2, v2, v24
	s_delay_alu instid0(VALU_DEP_1) | instskip(NEXT) | instid1(VALU_DEP_1)
	v_add_f32_e32 v2, v2, v154
	v_add_f32_e32 v2, v2, v160
	s_delay_alu instid0(VALU_DEP_1) | instskip(NEXT) | instid1(VALU_DEP_1)
	v_add_f32_e32 v2, v2, v156
	v_add_f32_e32 v2, v2, v157
	s_delay_alu instid0(VALU_DEP_1) | instskip(NEXT) | instid1(VALU_DEP_1)
	v_add_f32_e32 v2, v2, v15
	v_add_f32_e32 v2, v2, v18
	s_delay_alu instid0(VALU_DEP_1) | instskip(NEXT) | instid1(VALU_DEP_1)
	v_add_f32_e32 v2, v2, v19
	v_add_f32_e32 v2, v2, v20
	s_delay_alu instid0(VALU_DEP_1) | instskip(NEXT) | instid1(VALU_DEP_1)
	v_add_f32_e32 v2, v2, v161
	v_add_f32_e32 v2, v2, v162
	s_delay_alu instid0(VALU_DEP_1) | instskip(NEXT) | instid1(VALU_DEP_1)
	v_add_f32_e32 v2, v2, v165
	v_add_f32_e32 v2, v2, v167
	s_delay_alu instid0(VALU_DEP_1) | instskip(NEXT) | instid1(VALU_DEP_1)
	v_add_f32_e32 v2, v2, v169
	v_dual_add_f32 v1, 0, v21 :: v_dual_add_f32 v2, v2, v171
	s_delay_alu instid0(VALU_DEP_1) | instskip(NEXT) | instid1(VALU_DEP_1)
	v_dual_add_f32 v1, v1, v22 :: v_dual_add_f32 v2, v2, v173
	v_dual_add_f32 v1, v1, v26 :: v_dual_add_f32 v2, v2, v175
	s_delay_alu instid0(VALU_DEP_1) | instskip(NEXT) | instid1(VALU_DEP_1)
	v_dual_add_f32 v1, v1, v27 :: v_dual_add_f32 v2, v2, v177
	v_dual_add_f32 v1, v1, v28 :: v_dual_add_f32 v2, v2, v179
	s_delay_alu instid0(VALU_DEP_1) | instskip(NEXT) | instid1(VALU_DEP_1)
	v_add_f32_e32 v1, v1, v29
	v_add_f32_e32 v1, v1, v13
	s_delay_alu instid0(VALU_DEP_1) | instskip(NEXT) | instid1(VALU_DEP_1)
	v_add_f32_e32 v1, v1, v14
	v_add_f32_e32 v1, v1, v16
	;; [unrolled: 3-line block ×13, first 2 shown]
	v_add_f32_e32 v2, v2, v181
	s_delay_alu instid0(VALU_DEP_2) | instskip(NEXT) | instid1(VALU_DEP_2)
	v_add_f32_e32 v14, v6, v200
	v_dual_add_f32 v2, v2, v183 :: v_dual_mul_f32 v223, v7, v4
	s_delay_alu instid0(VALU_DEP_2) | instskip(NEXT) | instid1(VALU_DEP_2)
	v_add_f32_e32 v14, v14, v202
	v_dual_add_f32 v2, v2, v185 :: v_dual_fmac_f32 v223, v8, v3
	s_delay_alu instid0(VALU_DEP_2) | instskip(NEXT) | instid1(VALU_DEP_1)
	v_add_f32_e32 v17, v14, v204
	v_dual_add_f32 v2, v2, v187 :: v_dual_add_f32 v17, v17, v206
	s_delay_alu instid0(VALU_DEP_1) | instskip(NEXT) | instid1(VALU_DEP_1)
	v_dual_add_f32 v2, v2, v189 :: v_dual_add_f32 v17, v17, v208
	v_dual_add_f32 v2, v2, v191 :: v_dual_add_f32 v17, v17, v210
	s_delay_alu instid0(VALU_DEP_1) | instskip(NEXT) | instid1(VALU_DEP_1)
	v_add_f32_e32 v2, v2, v193
	v_dual_add_f32 v22, v17, v212 :: v_dual_add_f32 v5, v2, v195
	ds_load_b128 v[1:4], v25 offset:880
	v_dual_add_f32 v22, v22, v214 :: v_dual_add_f32 v13, v5, v197
	scratch_load_b128 v[5:8], off, off offset:416
	v_dual_add_f32 v22, v22, v216 :: v_dual_add_f32 v13, v13, v199
	s_delay_alu instid0(VALU_DEP_1) | instskip(NEXT) | instid1(VALU_DEP_1)
	v_add_f32_e32 v13, v13, v201
	v_add_f32_e32 v18, v13, v203
	ds_load_b128 v[13:16], v25 offset:896
	s_wait_loadcnt_dscnt 0x101
	v_mul_f32_e32 v26, v1, v10
	v_dual_mul_f32 v10, v2, v10 :: v_dual_mul_f32 v27, v3, v12
	v_mul_f32_e32 v12, v4, v12
	s_delay_alu instid0(VALU_DEP_3) | instskip(NEXT) | instid1(VALU_DEP_3)
	v_fmac_f32_e32 v26, v2, v9
	v_fma_f32 v28, v1, v9, -v10
	s_delay_alu instid0(VALU_DEP_4) | instskip(NEXT) | instid1(VALU_DEP_4)
	v_fmac_f32_e32 v27, v4, v11
	v_fma_f32 v29, v3, v11, -v12
	s_clause 0x1
	scratch_load_b128 v[1:4], off, off offset:432
	scratch_load_b128 v[9:12], off, off offset:448
	s_wait_loadcnt_dscnt 0x200
	v_mul_f32_e32 v153, v15, v8
	v_mul_f32_e32 v8, v16, v8
	v_add_f32_e32 v18, v18, v205
	v_mul_f32_e32 v32, v13, v6
	s_delay_alu instid0(VALU_DEP_4) | instskip(NEXT) | instid1(VALU_DEP_4)
	v_dual_mul_f32 v6, v14, v6 :: v_dual_fmac_f32 v153, v16, v7
	v_fma_f32 v156, v15, v7, -v8
	s_delay_alu instid0(VALU_DEP_4) | instskip(NEXT) | instid1(VALU_DEP_4)
	v_add_f32_e32 v18, v18, v207
	v_fmac_f32_e32 v32, v14, v5
	s_delay_alu instid0(VALU_DEP_4) | instskip(SKIP_4) | instid1(VALU_DEP_1)
	v_fma_f32 v154, v13, v5, -v6
	ds_load_b128 v[5:8], v25 offset:912
	v_add_f32_e32 v21, v18, v209
	scratch_load_b128 v[17:20], off, off offset:464
	v_add_f32_e32 v21, v21, v211
	v_add_f32_e32 v21, v21, v213
	s_delay_alu instid0(VALU_DEP_1) | instskip(NEXT) | instid1(VALU_DEP_1)
	v_add_f32_e32 v13, v21, v215
	v_dual_add_f32 v21, v22, v218 :: v_dual_add_f32 v22, v13, v217
	s_delay_alu instid0(VALU_DEP_1) | instskip(SKIP_4) | instid1(VALU_DEP_1)
	v_add_f32_e32 v157, v21, v220
	ds_load_b128 v[13:16], v25 offset:928
	v_add_f32_e32 v158, v22, v219
	ds_load_b128 v[21:24], v25 offset:944
	v_add_f32_e32 v25, v157, v222
	v_add_f32_e32 v25, v25, v224
	s_delay_alu instid0(VALU_DEP_1)
	v_add_f32_e32 v25, v25, v28
	s_wait_loadcnt_dscnt 0x202
	v_mul_f32_e32 v28, v7, v4
	v_dual_mul_f32 v4, v8, v4 :: v_dual_add_f32 v157, v158, v221
	v_mul_f32_e32 v158, v5, v2
	v_dual_add_f32 v25, v25, v29 :: v_dual_mul_f32 v2, v6, v2
	s_delay_alu instid0(VALU_DEP_4) | instskip(NEXT) | instid1(VALU_DEP_3)
	v_fmac_f32_e32 v28, v8, v3
	v_dual_add_f32 v157, v157, v223 :: v_dual_fmac_f32 v158, v6, v1
	s_delay_alu instid0(VALU_DEP_3) | instskip(NEXT) | instid1(VALU_DEP_4)
	v_add_f32_e32 v25, v25, v154
	v_fma_f32 v2, v5, v1, -v2
	s_wait_loadcnt_dscnt 0x101
	v_mul_f32_e32 v6, v14, v10
	v_add_f32_e32 v26, v157, v26
	v_mul_f32_e32 v157, v13, v10
	v_add_f32_e32 v1, v25, v156
	v_fma_f32 v3, v7, v3, -v4
	s_delay_alu instid0(VALU_DEP_4) | instskip(NEXT) | instid1(VALU_DEP_3)
	v_dual_mul_f32 v159, v15, v12 :: v_dual_add_f32 v26, v26, v27
	v_dual_mul_f32 v4, v16, v12 :: v_dual_add_f32 v1, v1, v2
	v_fmac_f32_e32 v157, v14, v9
	s_delay_alu instid0(VALU_DEP_3) | instskip(NEXT) | instid1(VALU_DEP_3)
	v_dual_fmac_f32 v159, v16, v11 :: v_dual_add_f32 v26, v26, v32
	v_fma_f32 v4, v15, v11, -v4
	s_delay_alu instid0(VALU_DEP_4) | instskip(NEXT) | instid1(VALU_DEP_3)
	v_add_f32_e32 v1, v1, v3
	v_add_f32_e32 v5, v26, v153
	s_delay_alu instid0(VALU_DEP_1) | instskip(SKIP_1) | instid1(VALU_DEP_1)
	v_add_f32_e32 v2, v5, v158
	v_fma_f32 v5, v13, v9, -v6
	v_dual_add_f32 v2, v2, v28 :: v_dual_add_f32 v1, v1, v5
	s_delay_alu instid0(VALU_DEP_1) | instskip(SKIP_1) | instid1(VALU_DEP_1)
	v_dual_add_f32 v2, v2, v157 :: v_dual_add_f32 v1, v1, v4
	s_wait_loadcnt_dscnt 0x0
	v_dual_add_f32 v2, v2, v159 :: v_dual_mul_f32 v27, v21, v18
	v_mul_f32_e32 v3, v22, v18
	v_mul_f32_e32 v29, v23, v20
	;; [unrolled: 1-line block ×3, first 2 shown]
	s_delay_alu instid0(VALU_DEP_4) | instskip(NEXT) | instid1(VALU_DEP_4)
	v_fmac_f32_e32 v27, v22, v17
	v_fma_f32 v3, v21, v17, -v3
	s_delay_alu instid0(VALU_DEP_4) | instskip(NEXT) | instid1(VALU_DEP_4)
	v_fmac_f32_e32 v29, v24, v19
	v_fma_f32 v4, v23, v19, -v5
	s_delay_alu instid0(VALU_DEP_4) | instskip(NEXT) | instid1(VALU_DEP_1)
	v_add_f32_e32 v2, v2, v27
	v_dual_add_f32 v1, v1, v3 :: v_dual_add_f32 v2, v2, v29
	s_delay_alu instid0(VALU_DEP_1) | instskip(NEXT) | instid1(VALU_DEP_1)
	v_dual_add_f32 v1, v1, v4 :: v_dual_sub_f32 v2, v31, v2
	v_sub_f32_e32 v1, v30, v1
	scratch_store_b64 off, v[1:2], off offset:40
	v_cmpx_lt_u32_e32 4, v0
	s_cbranch_execz .LBB59_365
; %bb.364:
	scratch_load_b64 v[1:2], off, off offset:32
	v_mov_b32_e32 v3, 0
	s_delay_alu instid0(VALU_DEP_1)
	v_mov_b32_e32 v4, v3
	scratch_store_b64 off, v[3:4], off offset:32
	s_wait_loadcnt 0x0
	ds_store_b64 v155, v[1:2]
.LBB59_365:
	s_wait_alu 0xfffe
	s_or_b32 exec_lo, exec_lo, s0
	s_wait_storecnt_dscnt 0x0
	s_barrier_signal -1
	s_barrier_wait -1
	global_inv scope:SCOPE_SE
	s_clause 0x4
	scratch_load_b128 v[5:8], off, off offset:40
	scratch_load_b128 v[1:4], off, off offset:56
	;; [unrolled: 1-line block ×5, first 2 shown]
	v_mov_b32_e32 v29, 0
	ds_load_2addr_b64 v[21:24], v29 offset0:65 offset1:66
	ds_load_2addr_b64 v[25:28], v29 offset0:67 offset1:68
	;; [unrolled: 1-line block ×3, first 2 shown]
	scratch_load_b64 v[30:31], off, off offset:32
	s_mov_b32 s0, exec_lo
	s_wait_loadcnt_dscnt 0x502
	v_dual_mul_f32 v32, v21, v6 :: v_dual_mul_f32 v153, v23, v8
	v_mul_f32_e32 v6, v22, v6
	v_mul_f32_e32 v8, v24, v8
	s_wait_loadcnt_dscnt 0x300
	v_mul_f32_e32 v154, v156, v10
	v_dual_fmac_f32 v32, v22, v5 :: v_dual_fmac_f32 v153, v24, v7
	v_fma_f32 v21, v21, v5, -v6
	v_fma_f32 v22, v23, v7, -v8
	ds_load_2addr_b64 v[5:8], v29 offset0:71 offset1:72
	v_dual_mul_f32 v23, v25, v2 :: v_dual_mul_f32 v24, v27, v4
	v_mul_f32_e32 v4, v28, v4
	v_mul_f32_e32 v160, v158, v12
	;; [unrolled: 1-line block ×5, first 2 shown]
	v_dual_fmac_f32 v23, v26, v1 :: v_dual_fmac_f32 v24, v28, v3
	v_fma_f32 v26, v27, v3, -v4
	v_fmac_f32_e32 v154, v157, v9
	v_fmac_f32_e32 v160, v159, v11
	v_fma_f32 v27, v156, v9, -v10
	v_fma_f32 v28, v158, v11, -v12
	ds_load_2addr_b64 v[9:12], v29 offset0:73 offset1:74
	s_wait_loadcnt_dscnt 0x201
	v_mul_f32_e32 v157, v7, v16
	v_fma_f32 v25, v25, v1, -v2
	scratch_load_b128 v[1:4], off, off offset:120
	v_mul_f32_e32 v156, v5, v14
	v_mul_f32_e32 v14, v6, v14
	;; [unrolled: 1-line block ×3, first 2 shown]
	s_delay_alu instid0(VALU_DEP_3) | instskip(NEXT) | instid1(VALU_DEP_3)
	v_dual_fmac_f32 v157, v8, v15 :: v_dual_fmac_f32 v156, v6, v13
	v_fma_f32 v13, v5, v13, -v14
	s_delay_alu instid0(VALU_DEP_3)
	v_fma_f32 v14, v7, v15, -v16
	ds_load_2addr_b64 v[5:8], v29 offset0:75 offset1:76
	s_wait_loadcnt_dscnt 0x201
	v_mul_f32_e32 v15, v9, v18
	v_mul_f32_e32 v16, v10, v18
	;; [unrolled: 1-line block ×3, first 2 shown]
	s_delay_alu instid0(VALU_DEP_3) | instskip(NEXT) | instid1(VALU_DEP_3)
	v_dual_mul_f32 v20, v12, v20 :: v_dual_fmac_f32 v15, v10, v17
	v_fma_f32 v16, v9, v17, -v16
	s_delay_alu instid0(VALU_DEP_3) | instskip(NEXT) | instid1(VALU_DEP_3)
	v_fmac_f32_e32 v18, v12, v19
	v_fma_f32 v17, v11, v19, -v20
	scratch_load_b128 v[9:12], off, off offset:136
	s_wait_loadcnt_dscnt 0x100
	v_mul_f32_e32 v19, v5, v2
	v_mul_f32_e32 v2, v6, v2
	;; [unrolled: 1-line block ×3, first 2 shown]
	s_delay_alu instid0(VALU_DEP_3) | instskip(NEXT) | instid1(VALU_DEP_3)
	v_dual_mul_f32 v4, v8, v4 :: v_dual_fmac_f32 v19, v6, v1
	v_fma_f32 v158, v5, v1, -v2
	s_delay_alu instid0(VALU_DEP_3) | instskip(NEXT) | instid1(VALU_DEP_3)
	v_fmac_f32_e32 v20, v8, v3
	v_fma_f32 v159, v7, v3, -v4
	ds_load_2addr_b64 v[1:4], v29 offset0:77 offset1:78
	ds_load_2addr_b64 v[5:8], v29 offset0:79 offset1:80
	s_wait_loadcnt_dscnt 0x1
	v_mul_f32_e32 v161, v1, v10
	v_mul_f32_e32 v10, v2, v10
	s_delay_alu instid0(VALU_DEP_2) | instskip(NEXT) | instid1(VALU_DEP_2)
	v_dual_mul_f32 v162, v3, v12 :: v_dual_fmac_f32 v161, v2, v9
	v_fma_f32 v163, v1, v9, -v10
	v_mul_f32_e32 v1, v4, v12
	s_delay_alu instid0(VALU_DEP_3) | instskip(NEXT) | instid1(VALU_DEP_2)
	v_fmac_f32_e32 v162, v4, v11
	v_fma_f32 v164, v3, v11, -v1
	s_clause 0x1
	scratch_load_b128 v[1:4], off, off offset:152
	scratch_load_b128 v[9:12], off, off offset:168
	s_wait_loadcnt_dscnt 0x100
	v_mul_f32_e32 v165, v5, v2
	v_dual_mul_f32 v2, v6, v2 :: v_dual_mul_f32 v167, v7, v4
	s_delay_alu instid0(VALU_DEP_2) | instskip(NEXT) | instid1(VALU_DEP_2)
	v_fmac_f32_e32 v165, v6, v1
	v_fma_f32 v166, v5, v1, -v2
	v_mul_f32_e32 v1, v8, v4
	s_delay_alu instid0(VALU_DEP_4) | instskip(NEXT) | instid1(VALU_DEP_2)
	v_fmac_f32_e32 v167, v8, v3
	v_fma_f32 v168, v7, v3, -v1
	ds_load_2addr_b64 v[1:4], v29 offset0:81 offset1:82
	ds_load_2addr_b64 v[5:8], v29 offset0:83 offset1:84
	s_wait_loadcnt_dscnt 0x1
	v_mul_f32_e32 v169, v1, v10
	v_mul_f32_e32 v171, v3, v12
	s_delay_alu instid0(VALU_DEP_2) | instskip(NEXT) | instid1(VALU_DEP_2)
	v_fmac_f32_e32 v169, v2, v9
	v_dual_mul_f32 v2, v2, v10 :: v_dual_fmac_f32 v171, v4, v11
	s_delay_alu instid0(VALU_DEP_1) | instskip(SKIP_1) | instid1(VALU_DEP_1)
	v_fma_f32 v170, v1, v9, -v2
	v_mul_f32_e32 v1, v4, v12
	v_fma_f32 v172, v3, v11, -v1
	s_clause 0x1
	scratch_load_b128 v[1:4], off, off offset:184
	scratch_load_b128 v[9:12], off, off offset:200
	s_wait_loadcnt_dscnt 0x100
	v_mul_f32_e32 v173, v5, v2
	v_dual_mul_f32 v2, v6, v2 :: v_dual_mul_f32 v175, v7, v4
	s_delay_alu instid0(VALU_DEP_2) | instskip(NEXT) | instid1(VALU_DEP_2)
	v_fmac_f32_e32 v173, v6, v1
	v_fma_f32 v174, v5, v1, -v2
	v_mul_f32_e32 v1, v8, v4
	s_delay_alu instid0(VALU_DEP_4) | instskip(NEXT) | instid1(VALU_DEP_2)
	v_fmac_f32_e32 v175, v8, v3
	v_fma_f32 v176, v7, v3, -v1
	ds_load_2addr_b64 v[1:4], v29 offset0:85 offset1:86
	ds_load_2addr_b64 v[5:8], v29 offset0:87 offset1:88
	s_wait_loadcnt_dscnt 0x1
	v_mul_f32_e32 v177, v1, v10
	v_mul_f32_e32 v179, v3, v12
	s_delay_alu instid0(VALU_DEP_2) | instskip(NEXT) | instid1(VALU_DEP_2)
	v_fmac_f32_e32 v177, v2, v9
	v_dual_mul_f32 v2, v2, v10 :: v_dual_fmac_f32 v179, v4, v11
	s_delay_alu instid0(VALU_DEP_1) | instskip(SKIP_1) | instid1(VALU_DEP_1)
	v_fma_f32 v178, v1, v9, -v2
	v_mul_f32_e32 v1, v4, v12
	;; [unrolled: 25-line block ×7, first 2 shown]
	v_fma_f32 v220, v3, v11, -v1
	s_clause 0x1
	scratch_load_b128 v[1:4], off, off offset:376
	scratch_load_b128 v[9:12], off, off offset:392
	s_wait_loadcnt_dscnt 0x100
	v_mul_f32_e32 v221, v5, v2
	v_dual_mul_f32 v2, v6, v2 :: v_dual_mul_f32 v223, v7, v4
	s_delay_alu instid0(VALU_DEP_2) | instskip(NEXT) | instid1(VALU_DEP_2)
	v_fmac_f32_e32 v221, v6, v1
	v_fma_f32 v222, v5, v1, -v2
	v_add_f32_e32 v2, 0, v32
	s_delay_alu instid0(VALU_DEP_1) | instskip(NEXT) | instid1(VALU_DEP_1)
	v_dual_mul_f32 v1, v8, v4 :: v_dual_add_f32 v2, v2, v153
	v_fma_f32 v224, v7, v3, -v1
	s_delay_alu instid0(VALU_DEP_2) | instskip(NEXT) | instid1(VALU_DEP_1)
	v_add_f32_e32 v2, v2, v23
	v_add_f32_e32 v2, v2, v24
	s_delay_alu instid0(VALU_DEP_1) | instskip(NEXT) | instid1(VALU_DEP_1)
	v_add_f32_e32 v2, v2, v154
	v_add_f32_e32 v2, v2, v160
	s_delay_alu instid0(VALU_DEP_1) | instskip(NEXT) | instid1(VALU_DEP_1)
	;; [unrolled: 3-line block ×7, first 2 shown]
	v_add_f32_e32 v2, v2, v169
	v_dual_add_f32 v1, 0, v21 :: v_dual_add_f32 v2, v2, v171
	s_delay_alu instid0(VALU_DEP_1) | instskip(NEXT) | instid1(VALU_DEP_1)
	v_dual_add_f32 v1, v1, v22 :: v_dual_add_f32 v2, v2, v173
	v_dual_add_f32 v1, v1, v25 :: v_dual_add_f32 v2, v2, v175
	s_delay_alu instid0(VALU_DEP_1) | instskip(SKIP_2) | instid1(VALU_DEP_1)
	v_add_f32_e32 v1, v1, v26
	scratch_load_b64 v[25:26], off, off offset:472
	v_dual_add_f32 v2, v2, v177 :: v_dual_add_f32 v1, v1, v27
	v_dual_add_f32 v2, v2, v179 :: v_dual_add_f32 v1, v1, v28
	s_delay_alu instid0(VALU_DEP_1) | instskip(NEXT) | instid1(VALU_DEP_1)
	v_add_f32_e32 v1, v1, v13
	v_add_f32_e32 v1, v1, v14
	s_delay_alu instid0(VALU_DEP_1) | instskip(NEXT) | instid1(VALU_DEP_1)
	v_add_f32_e32 v1, v1, v16
	v_add_f32_e32 v1, v1, v17
	;; [unrolled: 3-line block ×12, first 2 shown]
	s_delay_alu instid0(VALU_DEP_1) | instskip(SKIP_1) | instid1(VALU_DEP_2)
	v_add_f32_e32 v6, v1, v198
	v_add_f32_e32 v2, v2, v181
	;; [unrolled: 1-line block ×3, first 2 shown]
	s_delay_alu instid0(VALU_DEP_2) | instskip(NEXT) | instid1(VALU_DEP_2)
	v_add_f32_e32 v2, v2, v183
	v_add_f32_e32 v14, v14, v202
	s_delay_alu instid0(VALU_DEP_2) | instskip(NEXT) | instid1(VALU_DEP_2)
	v_add_f32_e32 v2, v2, v185
	v_add_f32_e32 v17, v14, v204
	s_delay_alu instid0(VALU_DEP_1) | instskip(NEXT) | instid1(VALU_DEP_1)
	v_dual_add_f32 v2, v2, v187 :: v_dual_add_f32 v17, v17, v206
	v_dual_add_f32 v2, v2, v189 :: v_dual_add_f32 v17, v17, v208
	s_delay_alu instid0(VALU_DEP_1) | instskip(NEXT) | instid1(VALU_DEP_1)
	v_dual_add_f32 v2, v2, v191 :: v_dual_add_f32 v17, v17, v210
	v_add_f32_e32 v2, v2, v193
	s_delay_alu instid0(VALU_DEP_1) | instskip(NEXT) | instid1(VALU_DEP_1)
	v_dual_add_f32 v22, v17, v212 :: v_dual_add_f32 v5, v2, v195
	v_dual_add_f32 v22, v22, v214 :: v_dual_add_f32 v13, v5, v197
	s_delay_alu instid0(VALU_DEP_1) | instskip(NEXT) | instid1(VALU_DEP_1)
	v_dual_add_f32 v22, v22, v216 :: v_dual_add_f32 v13, v13, v199
	v_dual_add_f32 v22, v22, v218 :: v_dual_add_f32 v13, v13, v201
	s_delay_alu instid0(VALU_DEP_1)
	v_add_f32_e32 v18, v13, v203
	v_fmac_f32_e32 v223, v8, v3
	scratch_load_b128 v[1:4], off, off offset:408
	ds_load_2addr_b64 v[5:8], v29 offset0:109 offset1:110
	ds_load_2addr_b64 v[13:16], v29 offset0:111 offset1:112
	s_wait_loadcnt_dscnt 0x201
	v_mul_f32_e32 v32, v5, v10
	v_dual_mul_f32 v10, v6, v10 :: v_dual_mul_f32 v153, v7, v12
	v_mul_f32_e32 v12, v8, v12
	s_delay_alu instid0(VALU_DEP_3) | instskip(NEXT) | instid1(VALU_DEP_3)
	v_fmac_f32_e32 v32, v6, v9
	v_fma_f32 v154, v5, v9, -v10
	s_delay_alu instid0(VALU_DEP_4) | instskip(NEXT) | instid1(VALU_DEP_4)
	v_fmac_f32_e32 v153, v8, v11
	v_fma_f32 v156, v7, v11, -v12
	s_clause 0x1
	scratch_load_b128 v[5:8], off, off offset:424
	scratch_load_b128 v[9:12], off, off offset:440
	s_wait_loadcnt_dscnt 0x200
	v_mul_f32_e32 v158, v15, v4
	v_mul_f32_e32 v4, v16, v4
	v_dual_add_f32 v18, v18, v205 :: v_dual_mul_f32 v157, v13, v2
	v_mul_f32_e32 v2, v14, v2
	s_delay_alu instid0(VALU_DEP_4) | instskip(NEXT) | instid1(VALU_DEP_4)
	v_fmac_f32_e32 v158, v16, v3
	v_fma_f32 v160, v15, v3, -v4
	s_delay_alu instid0(VALU_DEP_4)
	v_add_f32_e32 v18, v18, v207
	v_fmac_f32_e32 v157, v14, v1
	v_add_f32_e32 v14, v22, v220
	v_fma_f32 v159, v13, v1, -v2
	ds_load_2addr_b64 v[1:4], v29 offset0:113 offset1:114
	v_add_f32_e32 v21, v18, v209
	scratch_load_b128 v[17:20], off, off offset:456
	v_add_f32_e32 v27, v14, v222
	v_add_f32_e32 v21, v21, v211
	s_delay_alu instid0(VALU_DEP_2) | instskip(NEXT) | instid1(VALU_DEP_2)
	v_add_f32_e32 v161, v27, v224
	v_add_f32_e32 v21, v21, v213
	s_delay_alu instid0(VALU_DEP_2) | instskip(NEXT) | instid1(VALU_DEP_1)
	v_add_f32_e32 v154, v161, v154
	v_dual_add_f32 v21, v21, v215 :: v_dual_add_f32 v154, v154, v156
	s_delay_alu instid0(VALU_DEP_1) | instskip(NEXT) | instid1(VALU_DEP_1)
	v_dual_add_f32 v13, v21, v217 :: v_dual_add_f32 v154, v154, v159
	v_add_f32_e32 v21, v13, v219
	ds_load_2addr_b64 v[13:16], v29 offset0:115 offset1:116
	s_wait_loadcnt_dscnt 0x201
	v_mul_f32_e32 v161, v1, v6
	v_mul_f32_e32 v6, v2, v6
	v_add_f32_e32 v154, v154, v160
	v_add_f32_e32 v28, v21, v221
	ds_load_2addr_b64 v[21:24], v29 offset0:117 offset1:118
	v_fmac_f32_e32 v161, v2, v5
	v_fma_f32 v1, v1, v5, -v6
	v_add_f32_e32 v162, v28, v223
	ds_load_b64 v[27:28], v29 offset:952
	v_add_f32_e32 v1, v154, v1
	v_add_f32_e32 v32, v162, v32
	s_delay_alu instid0(VALU_DEP_1) | instskip(SKIP_3) | instid1(VALU_DEP_3)
	v_dual_add_f32 v32, v32, v153 :: v_dual_mul_f32 v153, v3, v8
	v_mul_f32_e32 v8, v4, v8
	s_wait_loadcnt_dscnt 0x102
	v_dual_mul_f32 v156, v13, v10 :: v_dual_mul_f32 v5, v16, v12
	v_add_f32_e32 v32, v32, v157
	v_fmac_f32_e32 v153, v4, v7
	v_fma_f32 v2, v3, v7, -v8
	v_mul_f32_e32 v3, v14, v10
	s_delay_alu instid0(VALU_DEP_4) | instskip(NEXT) | instid1(VALU_DEP_3)
	v_dual_mul_f32 v157, v15, v12 :: v_dual_add_f32 v32, v32, v158
	v_dual_fmac_f32 v156, v14, v9 :: v_dual_add_f32 v1, v1, v2
	s_delay_alu instid0(VALU_DEP_3) | instskip(NEXT) | instid1(VALU_DEP_3)
	v_fma_f32 v3, v13, v9, -v3
	v_fmac_f32_e32 v157, v16, v11
	s_delay_alu instid0(VALU_DEP_4) | instskip(SKIP_3) | instid1(VALU_DEP_3)
	v_add_f32_e32 v4, v32, v161
	v_fma_f32 v5, v15, v11, -v5
	s_wait_dscnt 0x0
	v_dual_mul_f32 v158, v27, v26 :: v_dual_add_f32 v1, v1, v3
	v_add_f32_e32 v2, v4, v153
	s_delay_alu instid0(VALU_DEP_2) | instskip(NEXT) | instid1(VALU_DEP_3)
	v_fmac_f32_e32 v158, v28, v25
	v_add_f32_e32 v1, v1, v5
	s_delay_alu instid0(VALU_DEP_3) | instskip(SKIP_1) | instid1(VALU_DEP_1)
	v_dual_mul_f32 v5, v28, v26 :: v_dual_add_f32 v2, v2, v156
	s_wait_loadcnt 0x0
	v_dual_add_f32 v2, v2, v157 :: v_dual_mul_f32 v159, v21, v18
	v_mul_f32_e32 v4, v22, v18
	v_mul_f32_e32 v160, v23, v20
	v_mul_f32_e32 v3, v24, v20
	s_delay_alu instid0(VALU_DEP_4) | instskip(NEXT) | instid1(VALU_DEP_4)
	v_fmac_f32_e32 v159, v22, v17
	v_fma_f32 v4, v21, v17, -v4
	s_delay_alu instid0(VALU_DEP_4) | instskip(NEXT) | instid1(VALU_DEP_4)
	v_fmac_f32_e32 v160, v24, v19
	v_fma_f32 v3, v23, v19, -v3
	s_delay_alu instid0(VALU_DEP_3) | instskip(SKIP_1) | instid1(VALU_DEP_2)
	v_dual_add_f32 v2, v2, v159 :: v_dual_add_f32 v1, v1, v4
	v_fma_f32 v4, v27, v25, -v5
	v_dual_add_f32 v2, v2, v160 :: v_dual_add_f32 v1, v1, v3
	s_delay_alu instid0(VALU_DEP_1) | instskip(NEXT) | instid1(VALU_DEP_1)
	v_dual_add_f32 v2, v2, v158 :: v_dual_add_f32 v1, v1, v4
	v_dual_sub_f32 v2, v31, v2 :: v_dual_sub_f32 v1, v30, v1
	scratch_store_b64 off, v[1:2], off offset:32
	v_cmpx_lt_u32_e32 3, v0
	s_cbranch_execz .LBB59_367
; %bb.366:
	scratch_load_b64 v[1:2], off, off offset:24
	v_mov_b32_e32 v30, v29
	scratch_store_b64 off, v[29:30], off offset:24
	s_wait_loadcnt 0x0
	ds_store_b64 v155, v[1:2]
.LBB59_367:
	s_wait_alu 0xfffe
	s_or_b32 exec_lo, exec_lo, s0
	s_wait_storecnt_dscnt 0x0
	s_barrier_signal -1
	s_barrier_wait -1
	global_inv scope:SCOPE_SE
	s_clause 0x4
	scratch_load_b128 v[5:8], off, off offset:32
	scratch_load_b128 v[1:4], off, off offset:48
	;; [unrolled: 1-line block ×5, first 2 shown]
	ds_load_b128 v[21:24], v29 offset:512
	ds_load_b128 v[25:28], v29 offset:528
	;; [unrolled: 1-line block ×3, first 2 shown]
	scratch_load_b64 v[30:31], off, off offset:24
	s_mov_b32 s0, exec_lo
	s_wait_loadcnt_dscnt 0x502
	v_dual_mul_f32 v32, v21, v6 :: v_dual_mul_f32 v153, v23, v8
	v_mul_f32_e32 v6, v22, v6
	v_mul_f32_e32 v8, v24, v8
	s_wait_loadcnt_dscnt 0x300
	v_mul_f32_e32 v154, v156, v10
	v_dual_fmac_f32 v32, v22, v5 :: v_dual_fmac_f32 v153, v24, v7
	v_fma_f32 v21, v21, v5, -v6
	v_fma_f32 v22, v23, v7, -v8
	ds_load_b128 v[5:8], v29 offset:560
	v_dual_mul_f32 v23, v25, v2 :: v_dual_mul_f32 v24, v27, v4
	v_mul_f32_e32 v4, v28, v4
	v_mul_f32_e32 v160, v158, v12
	v_mul_f32_e32 v10, v157, v10
	v_mul_f32_e32 v12, v159, v12
	v_mul_f32_e32 v2, v26, v2
	v_dual_fmac_f32 v23, v26, v1 :: v_dual_fmac_f32 v24, v28, v3
	v_fma_f32 v26, v27, v3, -v4
	v_fmac_f32_e32 v154, v157, v9
	v_fmac_f32_e32 v160, v159, v11
	v_fma_f32 v27, v156, v9, -v10
	v_fma_f32 v28, v158, v11, -v12
	ds_load_b128 v[9:12], v29 offset:576
	s_wait_loadcnt_dscnt 0x201
	v_dual_mul_f32 v157, v7, v16 :: v_dual_mul_f32 v156, v5, v14
	v_mul_f32_e32 v14, v6, v14
	v_mul_f32_e32 v16, v8, v16
	s_delay_alu instid0(VALU_DEP_3)
	v_fmac_f32_e32 v157, v8, v15
	v_fma_f32 v25, v25, v1, -v2
	scratch_load_b128 v[1:4], off, off offset:112
	v_fmac_f32_e32 v156, v6, v13
	v_fma_f32 v13, v5, v13, -v14
	v_fma_f32 v14, v7, v15, -v16
	ds_load_b128 v[5:8], v29 offset:592
	s_wait_loadcnt_dscnt 0x201
	v_mul_f32_e32 v15, v9, v18
	v_mul_f32_e32 v16, v10, v18
	;; [unrolled: 1-line block ×3, first 2 shown]
	s_delay_alu instid0(VALU_DEP_3) | instskip(NEXT) | instid1(VALU_DEP_3)
	v_dual_mul_f32 v20, v12, v20 :: v_dual_fmac_f32 v15, v10, v17
	v_fma_f32 v16, v9, v17, -v16
	s_delay_alu instid0(VALU_DEP_3) | instskip(NEXT) | instid1(VALU_DEP_3)
	v_fmac_f32_e32 v18, v12, v19
	v_fma_f32 v17, v11, v19, -v20
	scratch_load_b128 v[9:12], off, off offset:128
	s_wait_loadcnt_dscnt 0x100
	v_mul_f32_e32 v19, v5, v2
	v_mul_f32_e32 v2, v6, v2
	;; [unrolled: 1-line block ×3, first 2 shown]
	s_delay_alu instid0(VALU_DEP_3) | instskip(NEXT) | instid1(VALU_DEP_3)
	v_dual_mul_f32 v4, v8, v4 :: v_dual_fmac_f32 v19, v6, v1
	v_fma_f32 v158, v5, v1, -v2
	s_delay_alu instid0(VALU_DEP_3) | instskip(NEXT) | instid1(VALU_DEP_3)
	v_fmac_f32_e32 v20, v8, v3
	v_fma_f32 v159, v7, v3, -v4
	ds_load_b128 v[1:4], v29 offset:608
	ds_load_b128 v[5:8], v29 offset:624
	s_wait_loadcnt_dscnt 0x1
	v_mul_f32_e32 v161, v1, v10
	v_mul_f32_e32 v10, v2, v10
	s_delay_alu instid0(VALU_DEP_2) | instskip(NEXT) | instid1(VALU_DEP_2)
	v_dual_mul_f32 v162, v3, v12 :: v_dual_fmac_f32 v161, v2, v9
	v_fma_f32 v163, v1, v9, -v10
	v_mul_f32_e32 v1, v4, v12
	s_delay_alu instid0(VALU_DEP_3) | instskip(NEXT) | instid1(VALU_DEP_2)
	v_fmac_f32_e32 v162, v4, v11
	v_fma_f32 v164, v3, v11, -v1
	s_clause 0x1
	scratch_load_b128 v[1:4], off, off offset:144
	scratch_load_b128 v[9:12], off, off offset:160
	s_wait_loadcnt_dscnt 0x100
	v_mul_f32_e32 v165, v5, v2
	v_dual_mul_f32 v2, v6, v2 :: v_dual_mul_f32 v167, v7, v4
	s_delay_alu instid0(VALU_DEP_2) | instskip(NEXT) | instid1(VALU_DEP_2)
	v_fmac_f32_e32 v165, v6, v1
	v_fma_f32 v166, v5, v1, -v2
	v_mul_f32_e32 v1, v8, v4
	s_delay_alu instid0(VALU_DEP_4) | instskip(NEXT) | instid1(VALU_DEP_2)
	v_fmac_f32_e32 v167, v8, v3
	v_fma_f32 v168, v7, v3, -v1
	ds_load_b128 v[1:4], v29 offset:640
	ds_load_b128 v[5:8], v29 offset:656
	s_wait_loadcnt_dscnt 0x1
	v_mul_f32_e32 v169, v1, v10
	v_mul_f32_e32 v171, v3, v12
	s_delay_alu instid0(VALU_DEP_2) | instskip(NEXT) | instid1(VALU_DEP_2)
	v_fmac_f32_e32 v169, v2, v9
	v_dual_mul_f32 v2, v2, v10 :: v_dual_fmac_f32 v171, v4, v11
	s_delay_alu instid0(VALU_DEP_1) | instskip(SKIP_1) | instid1(VALU_DEP_1)
	v_fma_f32 v170, v1, v9, -v2
	v_mul_f32_e32 v1, v4, v12
	v_fma_f32 v172, v3, v11, -v1
	s_clause 0x1
	scratch_load_b128 v[1:4], off, off offset:176
	scratch_load_b128 v[9:12], off, off offset:192
	s_wait_loadcnt_dscnt 0x100
	v_mul_f32_e32 v173, v5, v2
	v_dual_mul_f32 v2, v6, v2 :: v_dual_mul_f32 v175, v7, v4
	s_delay_alu instid0(VALU_DEP_2) | instskip(NEXT) | instid1(VALU_DEP_2)
	v_fmac_f32_e32 v173, v6, v1
	v_fma_f32 v174, v5, v1, -v2
	v_mul_f32_e32 v1, v8, v4
	s_delay_alu instid0(VALU_DEP_4) | instskip(NEXT) | instid1(VALU_DEP_2)
	v_fmac_f32_e32 v175, v8, v3
	v_fma_f32 v176, v7, v3, -v1
	ds_load_b128 v[1:4], v29 offset:672
	ds_load_b128 v[5:8], v29 offset:688
	s_wait_loadcnt_dscnt 0x1
	v_mul_f32_e32 v177, v1, v10
	v_mul_f32_e32 v179, v3, v12
	s_delay_alu instid0(VALU_DEP_2) | instskip(NEXT) | instid1(VALU_DEP_2)
	v_fmac_f32_e32 v177, v2, v9
	v_dual_mul_f32 v2, v2, v10 :: v_dual_fmac_f32 v179, v4, v11
	s_delay_alu instid0(VALU_DEP_1) | instskip(SKIP_1) | instid1(VALU_DEP_1)
	v_fma_f32 v178, v1, v9, -v2
	v_mul_f32_e32 v1, v4, v12
	v_fma_f32 v180, v3, v11, -v1
	s_clause 0x1
	scratch_load_b128 v[1:4], off, off offset:208
	scratch_load_b128 v[9:12], off, off offset:224
	s_wait_loadcnt_dscnt 0x100
	v_mul_f32_e32 v181, v5, v2
	v_dual_mul_f32 v2, v6, v2 :: v_dual_mul_f32 v183, v7, v4
	s_delay_alu instid0(VALU_DEP_2) | instskip(NEXT) | instid1(VALU_DEP_2)
	v_fmac_f32_e32 v181, v6, v1
	v_fma_f32 v182, v5, v1, -v2
	v_mul_f32_e32 v1, v8, v4
	s_delay_alu instid0(VALU_DEP_4) | instskip(NEXT) | instid1(VALU_DEP_2)
	v_fmac_f32_e32 v183, v8, v3
	v_fma_f32 v184, v7, v3, -v1
	ds_load_b128 v[1:4], v29 offset:704
	ds_load_b128 v[5:8], v29 offset:720
	s_wait_loadcnt_dscnt 0x1
	v_mul_f32_e32 v185, v1, v10
	v_mul_f32_e32 v187, v3, v12
	s_delay_alu instid0(VALU_DEP_2) | instskip(NEXT) | instid1(VALU_DEP_2)
	v_fmac_f32_e32 v185, v2, v9
	v_dual_mul_f32 v2, v2, v10 :: v_dual_fmac_f32 v187, v4, v11
	s_delay_alu instid0(VALU_DEP_1) | instskip(SKIP_1) | instid1(VALU_DEP_1)
	v_fma_f32 v186, v1, v9, -v2
	v_mul_f32_e32 v1, v4, v12
	v_fma_f32 v188, v3, v11, -v1
	s_clause 0x1
	scratch_load_b128 v[1:4], off, off offset:240
	scratch_load_b128 v[9:12], off, off offset:256
	s_wait_loadcnt_dscnt 0x100
	v_mul_f32_e32 v189, v5, v2
	v_dual_mul_f32 v2, v6, v2 :: v_dual_mul_f32 v191, v7, v4
	s_delay_alu instid0(VALU_DEP_2) | instskip(NEXT) | instid1(VALU_DEP_2)
	v_fmac_f32_e32 v189, v6, v1
	v_fma_f32 v190, v5, v1, -v2
	v_mul_f32_e32 v1, v8, v4
	s_delay_alu instid0(VALU_DEP_4) | instskip(NEXT) | instid1(VALU_DEP_2)
	v_fmac_f32_e32 v191, v8, v3
	v_fma_f32 v192, v7, v3, -v1
	ds_load_b128 v[1:4], v29 offset:736
	ds_load_b128 v[5:8], v29 offset:752
	s_wait_loadcnt_dscnt 0x1
	v_mul_f32_e32 v193, v1, v10
	v_mul_f32_e32 v195, v3, v12
	s_delay_alu instid0(VALU_DEP_2) | instskip(NEXT) | instid1(VALU_DEP_2)
	v_fmac_f32_e32 v193, v2, v9
	v_dual_mul_f32 v2, v2, v10 :: v_dual_fmac_f32 v195, v4, v11
	s_delay_alu instid0(VALU_DEP_1) | instskip(SKIP_1) | instid1(VALU_DEP_1)
	v_fma_f32 v194, v1, v9, -v2
	v_mul_f32_e32 v1, v4, v12
	v_fma_f32 v196, v3, v11, -v1
	s_clause 0x1
	scratch_load_b128 v[1:4], off, off offset:272
	scratch_load_b128 v[9:12], off, off offset:288
	s_wait_loadcnt_dscnt 0x100
	v_mul_f32_e32 v197, v5, v2
	v_dual_mul_f32 v2, v6, v2 :: v_dual_mul_f32 v199, v7, v4
	s_delay_alu instid0(VALU_DEP_2) | instskip(NEXT) | instid1(VALU_DEP_2)
	v_fmac_f32_e32 v197, v6, v1
	v_fma_f32 v198, v5, v1, -v2
	v_mul_f32_e32 v1, v8, v4
	s_delay_alu instid0(VALU_DEP_4) | instskip(NEXT) | instid1(VALU_DEP_2)
	v_fmac_f32_e32 v199, v8, v3
	v_fma_f32 v200, v7, v3, -v1
	ds_load_b128 v[1:4], v29 offset:768
	ds_load_b128 v[5:8], v29 offset:784
	s_wait_loadcnt_dscnt 0x1
	v_mul_f32_e32 v201, v1, v10
	v_mul_f32_e32 v203, v3, v12
	s_delay_alu instid0(VALU_DEP_2) | instskip(NEXT) | instid1(VALU_DEP_2)
	v_fmac_f32_e32 v201, v2, v9
	v_dual_mul_f32 v2, v2, v10 :: v_dual_fmac_f32 v203, v4, v11
	s_delay_alu instid0(VALU_DEP_1) | instskip(SKIP_1) | instid1(VALU_DEP_1)
	v_fma_f32 v202, v1, v9, -v2
	v_mul_f32_e32 v1, v4, v12
	v_fma_f32 v204, v3, v11, -v1
	s_clause 0x1
	scratch_load_b128 v[1:4], off, off offset:304
	scratch_load_b128 v[9:12], off, off offset:320
	s_wait_loadcnt_dscnt 0x100
	v_mul_f32_e32 v205, v5, v2
	v_dual_mul_f32 v2, v6, v2 :: v_dual_mul_f32 v207, v7, v4
	s_delay_alu instid0(VALU_DEP_2) | instskip(NEXT) | instid1(VALU_DEP_2)
	v_fmac_f32_e32 v205, v6, v1
	v_fma_f32 v206, v5, v1, -v2
	v_mul_f32_e32 v1, v8, v4
	s_delay_alu instid0(VALU_DEP_4) | instskip(NEXT) | instid1(VALU_DEP_2)
	v_fmac_f32_e32 v207, v8, v3
	v_fma_f32 v208, v7, v3, -v1
	ds_load_b128 v[1:4], v29 offset:800
	ds_load_b128 v[5:8], v29 offset:816
	s_wait_loadcnt_dscnt 0x1
	v_mul_f32_e32 v209, v1, v10
	v_mul_f32_e32 v211, v3, v12
	s_delay_alu instid0(VALU_DEP_2) | instskip(NEXT) | instid1(VALU_DEP_2)
	v_fmac_f32_e32 v209, v2, v9
	v_dual_mul_f32 v2, v2, v10 :: v_dual_fmac_f32 v211, v4, v11
	s_delay_alu instid0(VALU_DEP_1) | instskip(SKIP_1) | instid1(VALU_DEP_1)
	v_fma_f32 v210, v1, v9, -v2
	v_mul_f32_e32 v1, v4, v12
	v_fma_f32 v212, v3, v11, -v1
	s_clause 0x1
	scratch_load_b128 v[1:4], off, off offset:336
	scratch_load_b128 v[9:12], off, off offset:352
	s_wait_loadcnt_dscnt 0x100
	v_mul_f32_e32 v213, v5, v2
	v_dual_mul_f32 v2, v6, v2 :: v_dual_mul_f32 v215, v7, v4
	s_delay_alu instid0(VALU_DEP_2) | instskip(NEXT) | instid1(VALU_DEP_2)
	v_fmac_f32_e32 v213, v6, v1
	v_fma_f32 v214, v5, v1, -v2
	v_mul_f32_e32 v1, v8, v4
	s_delay_alu instid0(VALU_DEP_4) | instskip(NEXT) | instid1(VALU_DEP_2)
	v_fmac_f32_e32 v215, v8, v3
	v_fma_f32 v216, v7, v3, -v1
	ds_load_b128 v[1:4], v29 offset:832
	ds_load_b128 v[5:8], v29 offset:848
	s_wait_loadcnt_dscnt 0x1
	v_mul_f32_e32 v217, v1, v10
	v_mul_f32_e32 v219, v3, v12
	s_delay_alu instid0(VALU_DEP_2) | instskip(NEXT) | instid1(VALU_DEP_2)
	v_fmac_f32_e32 v217, v2, v9
	v_dual_mul_f32 v2, v2, v10 :: v_dual_fmac_f32 v219, v4, v11
	s_delay_alu instid0(VALU_DEP_1) | instskip(SKIP_1) | instid1(VALU_DEP_1)
	v_fma_f32 v218, v1, v9, -v2
	v_mul_f32_e32 v1, v4, v12
	v_fma_f32 v220, v3, v11, -v1
	s_clause 0x1
	scratch_load_b128 v[1:4], off, off offset:368
	scratch_load_b128 v[9:12], off, off offset:384
	s_wait_loadcnt_dscnt 0x100
	v_mul_f32_e32 v221, v5, v2
	v_dual_mul_f32 v2, v6, v2 :: v_dual_mul_f32 v223, v7, v4
	s_delay_alu instid0(VALU_DEP_2) | instskip(NEXT) | instid1(VALU_DEP_2)
	v_fmac_f32_e32 v221, v6, v1
	v_fma_f32 v222, v5, v1, -v2
	v_mul_f32_e32 v1, v8, v4
	s_delay_alu instid0(VALU_DEP_4) | instskip(NEXT) | instid1(VALU_DEP_2)
	v_fmac_f32_e32 v223, v8, v3
	v_fma_f32 v224, v7, v3, -v1
	ds_load_b128 v[1:4], v29 offset:864
	ds_load_b128 v[5:8], v29 offset:880
	s_wait_loadcnt_dscnt 0x1
	v_mul_f32_e32 v225, v1, v10
	v_mul_f32_e32 v227, v3, v12
	s_delay_alu instid0(VALU_DEP_2) | instskip(NEXT) | instid1(VALU_DEP_2)
	v_fmac_f32_e32 v225, v2, v9
	v_dual_mul_f32 v2, v2, v10 :: v_dual_fmac_f32 v227, v4, v11
	s_delay_alu instid0(VALU_DEP_1) | instskip(SKIP_1) | instid1(VALU_DEP_1)
	v_fma_f32 v226, v1, v9, -v2
	v_mul_f32_e32 v1, v4, v12
	v_fma_f32 v228, v3, v11, -v1
	s_clause 0x1
	scratch_load_b128 v[1:4], off, off offset:400
	scratch_load_b128 v[9:12], off, off offset:416
	s_wait_loadcnt_dscnt 0x100
	v_mul_f32_e32 v229, v5, v2
	v_mul_f32_e32 v2, v6, v2
	s_delay_alu instid0(VALU_DEP_2) | instskip(NEXT) | instid1(VALU_DEP_2)
	v_fmac_f32_e32 v229, v6, v1
	v_fma_f32 v230, v5, v1, -v2
	v_mul_f32_e32 v1, v8, v4
	v_add_f32_e32 v2, 0, v32
	s_delay_alu instid0(VALU_DEP_2) | instskip(SKIP_1) | instid1(VALU_DEP_1)
	v_fma_f32 v232, v7, v3, -v1
	v_add_f32_e32 v1, 0, v21
	v_dual_add_f32 v2, v2, v153 :: v_dual_add_f32 v1, v1, v22
	s_delay_alu instid0(VALU_DEP_1) | instskip(NEXT) | instid1(VALU_DEP_1)
	v_dual_add_f32 v2, v2, v23 :: v_dual_add_f32 v1, v1, v25
	v_dual_add_f32 v2, v2, v24 :: v_dual_add_f32 v1, v1, v26
	s_delay_alu instid0(VALU_DEP_1) | instskip(NEXT) | instid1(VALU_DEP_1)
	v_dual_add_f32 v2, v2, v154 :: v_dual_add_f32 v1, v1, v27
	v_add_f32_e32 v2, v2, v160
	s_delay_alu instid0(VALU_DEP_2) | instskip(NEXT) | instid1(VALU_DEP_1)
	v_add_f32_e32 v1, v1, v28
	v_dual_add_f32 v2, v2, v156 :: v_dual_add_f32 v1, v1, v13
	s_delay_alu instid0(VALU_DEP_1) | instskip(NEXT) | instid1(VALU_DEP_1)
	v_dual_add_f32 v2, v2, v157 :: v_dual_add_f32 v1, v1, v14
	v_dual_add_f32 v2, v2, v15 :: v_dual_add_f32 v1, v1, v16
	s_delay_alu instid0(VALU_DEP_1) | instskip(NEXT) | instid1(VALU_DEP_1)
	v_dual_add_f32 v2, v2, v18 :: v_dual_add_f32 v1, v1, v17
	;; [unrolled: 3-line block ×8, first 2 shown]
	v_add_f32_e32 v1, v1, v182
	s_delay_alu instid0(VALU_DEP_1) | instskip(NEXT) | instid1(VALU_DEP_1)
	v_add_f32_e32 v1, v1, v184
	v_add_f32_e32 v1, v1, v186
	s_delay_alu instid0(VALU_DEP_1) | instskip(NEXT) | instid1(VALU_DEP_1)
	v_add_f32_e32 v1, v1, v188
	;; [unrolled: 3-line block ×5, first 2 shown]
	v_add_f32_e32 v1, v1, v202
	s_delay_alu instid0(VALU_DEP_1) | instskip(SKIP_1) | instid1(VALU_DEP_2)
	v_add_f32_e32 v6, v1, v204
	v_add_f32_e32 v2, v2, v181
	;; [unrolled: 1-line block ×3, first 2 shown]
	s_delay_alu instid0(VALU_DEP_2) | instskip(NEXT) | instid1(VALU_DEP_2)
	v_add_f32_e32 v2, v2, v183
	v_add_f32_e32 v13, v6, v208
	s_delay_alu instid0(VALU_DEP_1) | instskip(NEXT) | instid1(VALU_DEP_1)
	v_dual_add_f32 v2, v2, v185 :: v_dual_add_f32 v13, v13, v210
	v_dual_add_f32 v2, v2, v187 :: v_dual_add_f32 v13, v13, v212
	s_delay_alu instid0(VALU_DEP_1) | instskip(NEXT) | instid1(VALU_DEP_1)
	v_dual_add_f32 v2, v2, v189 :: v_dual_add_f32 v13, v13, v214
	v_add_f32_e32 v2, v2, v191
	s_delay_alu instid0(VALU_DEP_2) | instskip(NEXT) | instid1(VALU_DEP_2)
	v_add_f32_e32 v18, v13, v216
	v_dual_add_f32 v2, v2, v193 :: v_dual_mul_f32 v231, v7, v4
	s_delay_alu instid0(VALU_DEP_2) | instskip(NEXT) | instid1(VALU_DEP_2)
	v_add_f32_e32 v18, v18, v218
	v_add_f32_e32 v2, v2, v195
	s_delay_alu instid0(VALU_DEP_2) | instskip(NEXT) | instid1(VALU_DEP_2)
	v_dual_fmac_f32 v231, v8, v3 :: v_dual_add_f32 v18, v18, v220
	v_add_f32_e32 v2, v2, v197
	s_delay_alu instid0(VALU_DEP_2) | instskip(NEXT) | instid1(VALU_DEP_2)
	v_add_f32_e32 v21, v18, v222
	v_add_f32_e32 v2, v2, v199
	s_delay_alu instid0(VALU_DEP_1) | instskip(SKIP_2) | instid1(VALU_DEP_1)
	v_dual_add_f32 v32, v21, v224 :: v_dual_add_f32 v5, v2, v201
	ds_load_b128 v[1:4], v29 offset:896
	v_add_f32_e32 v5, v5, v203
	v_add_f32_e32 v5, v5, v205
	s_delay_alu instid0(VALU_DEP_1)
	v_add_f32_e32 v14, v5, v207
	ds_load_b128 v[5:8], v29 offset:912
	s_wait_loadcnt_dscnt 0x1
	v_dual_add_f32 v14, v14, v209 :: v_dual_mul_f32 v25, v1, v10
	v_mul_f32_e32 v26, v3, v12
	v_mul_f32_e32 v10, v2, v10
	;; [unrolled: 1-line block ×3, first 2 shown]
	s_delay_alu instid0(VALU_DEP_4) | instskip(NEXT) | instid1(VALU_DEP_4)
	v_add_f32_e32 v14, v14, v211
	v_dual_fmac_f32 v25, v2, v9 :: v_dual_fmac_f32 v26, v4, v11
	s_delay_alu instid0(VALU_DEP_4) | instskip(NEXT) | instid1(VALU_DEP_4)
	v_fma_f32 v27, v1, v9, -v10
	v_fma_f32 v28, v3, v11, -v12
	s_clause 0x1
	scratch_load_b128 v[1:4], off, off offset:432
	scratch_load_b128 v[9:12], off, off offset:448
	s_wait_loadcnt_dscnt 0x100
	v_dual_mul_f32 v154, v7, v4 :: v_dual_add_f32 v17, v14, v213
	scratch_load_b128 v[13:16], off, off offset:464
	v_mul_f32_e32 v4, v8, v4
	v_fmac_f32_e32 v154, v8, v3
	v_add_f32_e32 v17, v17, v215
	s_delay_alu instid0(VALU_DEP_3) | instskip(NEXT) | instid1(VALU_DEP_2)
	v_fma_f32 v3, v7, v3, -v4
	v_add_f32_e32 v17, v17, v217
	s_delay_alu instid0(VALU_DEP_1) | instskip(NEXT) | instid1(VALU_DEP_1)
	v_add_f32_e32 v17, v17, v219
	v_add_f32_e32 v22, v17, v221
	ds_load_b128 v[17:20], v29 offset:928
	v_add_f32_e32 v153, v22, v223
	ds_load_b128 v[21:24], v29 offset:944
	v_add_f32_e32 v29, v32, v226
	s_delay_alu instid0(VALU_DEP_1) | instskip(NEXT) | instid1(VALU_DEP_1)
	v_add_f32_e32 v29, v29, v228
	v_add_f32_e32 v29, v29, v230
	s_wait_loadcnt_dscnt 0x101
	v_mul_f32_e32 v156, v17, v10
	s_delay_alu instid0(VALU_DEP_2) | instskip(SKIP_2) | instid1(VALU_DEP_3)
	v_add_f32_e32 v29, v29, v232
	v_mul_f32_e32 v157, v19, v12
	v_mul_f32_e32 v4, v20, v12
	v_dual_fmac_f32 v156, v18, v9 :: v_dual_add_f32 v27, v29, v27
	s_delay_alu instid0(VALU_DEP_3) | instskip(NEXT) | instid1(VALU_DEP_3)
	v_fmac_f32_e32 v157, v20, v11
	v_fma_f32 v4, v19, v11, -v4
	s_wait_loadcnt_dscnt 0x0
	v_mul_f32_e32 v158, v21, v14
	v_add_f32_e32 v32, v153, v225
	v_mul_f32_e32 v153, v5, v2
	v_dual_mul_f32 v2, v6, v2 :: v_dual_mul_f32 v29, v23, v16
	s_delay_alu instid0(VALU_DEP_4) | instskip(NEXT) | instid1(VALU_DEP_3)
	v_fmac_f32_e32 v158, v22, v13
	v_dual_add_f32 v32, v32, v227 :: v_dual_fmac_f32 v153, v6, v1
	s_delay_alu instid0(VALU_DEP_3) | instskip(SKIP_1) | instid1(VALU_DEP_3)
	v_fma_f32 v2, v5, v1, -v2
	v_dual_add_f32 v1, v27, v28 :: v_dual_mul_f32 v6, v18, v10
	v_add_f32_e32 v32, v32, v229
	v_fmac_f32_e32 v29, v24, v15
	s_delay_alu instid0(VALU_DEP_2) | instskip(NEXT) | instid1(VALU_DEP_1)
	v_dual_add_f32 v1, v1, v2 :: v_dual_add_f32 v32, v32, v231
	v_add_f32_e32 v1, v1, v3
	v_mul_f32_e32 v3, v22, v14
	s_delay_alu instid0(VALU_DEP_3) | instskip(NEXT) | instid1(VALU_DEP_2)
	v_add_f32_e32 v25, v32, v25
	v_fma_f32 v3, v21, v13, -v3
	s_delay_alu instid0(VALU_DEP_2) | instskip(NEXT) | instid1(VALU_DEP_1)
	v_add_f32_e32 v5, v25, v26
	v_add_f32_e32 v2, v5, v153
	v_fma_f32 v5, v17, v9, -v6
	s_delay_alu instid0(VALU_DEP_1) | instskip(SKIP_1) | instid1(VALU_DEP_2)
	v_dual_add_f32 v2, v2, v154 :: v_dual_add_f32 v1, v1, v5
	v_mul_f32_e32 v5, v24, v16
	v_add_f32_e32 v2, v2, v156
	s_delay_alu instid0(VALU_DEP_3) | instskip(NEXT) | instid1(VALU_DEP_3)
	v_add_f32_e32 v1, v1, v4
	v_fma_f32 v4, v23, v15, -v5
	s_delay_alu instid0(VALU_DEP_2) | instskip(NEXT) | instid1(VALU_DEP_1)
	v_dual_add_f32 v2, v2, v157 :: v_dual_add_f32 v1, v1, v3
	v_dual_add_f32 v2, v2, v158 :: v_dual_add_f32 v1, v1, v4
	s_delay_alu instid0(VALU_DEP_1) | instskip(NEXT) | instid1(VALU_DEP_1)
	v_add_f32_e32 v2, v2, v29
	v_dual_sub_f32 v1, v30, v1 :: v_dual_sub_f32 v2, v31, v2
	scratch_store_b64 off, v[1:2], off offset:24
	v_cmpx_lt_u32_e32 2, v0
	s_cbranch_execz .LBB59_369
; %bb.368:
	scratch_load_b64 v[1:2], off, off offset:16
	v_mov_b32_e32 v3, 0
	s_delay_alu instid0(VALU_DEP_1)
	v_mov_b32_e32 v4, v3
	scratch_store_b64 off, v[3:4], off offset:16
	s_wait_loadcnt 0x0
	ds_store_b64 v155, v[1:2]
.LBB59_369:
	s_wait_alu 0xfffe
	s_or_b32 exec_lo, exec_lo, s0
	s_wait_storecnt_dscnt 0x0
	s_barrier_signal -1
	s_barrier_wait -1
	global_inv scope:SCOPE_SE
	s_clause 0x4
	scratch_load_b128 v[5:8], off, off offset:24
	scratch_load_b128 v[1:4], off, off offset:40
	;; [unrolled: 1-line block ×5, first 2 shown]
	v_mov_b32_e32 v153, 0
	ds_load_2addr_b64 v[21:24], v153 offset0:63 offset1:64
	ds_load_2addr_b64 v[25:28], v153 offset0:65 offset1:66
	;; [unrolled: 1-line block ×3, first 2 shown]
	scratch_load_b64 v[156:157], off, off offset:16
	s_mov_b32 s0, exec_lo
	s_wait_loadcnt_dscnt 0x502
	v_mul_f32_e32 v154, v21, v6
	v_mul_f32_e32 v158, v23, v8
	;; [unrolled: 1-line block ×3, first 2 shown]
	s_wait_loadcnt_dscnt 0x300
	v_dual_mul_f32 v8, v24, v8 :: v_dual_mul_f32 v159, v29, v10
	v_fmac_f32_e32 v154, v22, v5
	v_mul_f32_e32 v160, v31, v12
	v_fma_f32 v21, v21, v5, -v6
	s_delay_alu instid0(VALU_DEP_4)
	v_fma_f32 v22, v23, v7, -v8
	v_dual_mul_f32 v23, v25, v2 :: v_dual_fmac_f32 v158, v24, v7
	ds_load_2addr_b64 v[5:8], v153 offset0:69 offset1:70
	v_dual_mul_f32 v24, v27, v4 :: v_dual_fmac_f32 v159, v30, v9
	v_mul_f32_e32 v2, v26, v2
	v_mul_f32_e32 v4, v28, v4
	;; [unrolled: 1-line block ×3, first 2 shown]
	s_delay_alu instid0(VALU_DEP_4) | instskip(NEXT) | instid1(VALU_DEP_4)
	v_dual_fmac_f32 v23, v26, v1 :: v_dual_fmac_f32 v24, v28, v3
	v_fma_f32 v25, v25, v1, -v2
	s_delay_alu instid0(VALU_DEP_4) | instskip(SKIP_4) | instid1(VALU_DEP_3)
	v_fma_f32 v26, v27, v3, -v4
	scratch_load_b128 v[1:4], off, off offset:104
	v_mul_f32_e32 v12, v32, v12
	v_fmac_f32_e32 v160, v32, v11
	v_fma_f32 v27, v29, v9, -v10
	v_fma_f32 v28, v31, v11, -v12
	ds_load_2addr_b64 v[9:12], v153 offset0:71 offset1:72
	s_wait_loadcnt_dscnt 0x301
	v_dual_mul_f32 v29, v5, v14 :: v_dual_mul_f32 v30, v7, v16
	v_mul_f32_e32 v14, v6, v14
	s_delay_alu instid0(VALU_DEP_2) | instskip(NEXT) | instid1(VALU_DEP_3)
	v_dual_mul_f32 v16, v8, v16 :: v_dual_fmac_f32 v29, v6, v13
	v_fmac_f32_e32 v30, v8, v15
	s_delay_alu instid0(VALU_DEP_3) | instskip(NEXT) | instid1(VALU_DEP_3)
	v_fma_f32 v13, v5, v13, -v14
	v_fma_f32 v14, v7, v15, -v16
	ds_load_2addr_b64 v[5:8], v153 offset0:73 offset1:74
	s_wait_loadcnt_dscnt 0x201
	v_dual_mul_f32 v15, v9, v18 :: v_dual_mul_f32 v16, v11, v20
	v_mul_f32_e32 v18, v10, v18
	s_delay_alu instid0(VALU_DEP_2) | instskip(NEXT) | instid1(VALU_DEP_3)
	v_dual_mul_f32 v20, v12, v20 :: v_dual_fmac_f32 v15, v10, v17
	v_fmac_f32_e32 v16, v12, v19
	s_delay_alu instid0(VALU_DEP_3) | instskip(NEXT) | instid1(VALU_DEP_3)
	v_fma_f32 v17, v9, v17, -v18
	v_fma_f32 v18, v11, v19, -v20
	scratch_load_b128 v[9:12], off, off offset:120
	s_wait_loadcnt_dscnt 0x100
	v_mul_f32_e32 v19, v5, v2
	v_mul_f32_e32 v2, v6, v2
	;; [unrolled: 1-line block ×3, first 2 shown]
	s_delay_alu instid0(VALU_DEP_3) | instskip(NEXT) | instid1(VALU_DEP_3)
	v_dual_mul_f32 v4, v8, v4 :: v_dual_fmac_f32 v19, v6, v1
	v_fma_f32 v31, v5, v1, -v2
	s_delay_alu instid0(VALU_DEP_3) | instskip(NEXT) | instid1(VALU_DEP_3)
	v_fmac_f32_e32 v20, v8, v3
	v_fma_f32 v32, v7, v3, -v4
	ds_load_2addr_b64 v[1:4], v153 offset0:75 offset1:76
	ds_load_2addr_b64 v[5:8], v153 offset0:77 offset1:78
	s_wait_loadcnt_dscnt 0x1
	v_mul_f32_e32 v161, v1, v10
	v_mul_f32_e32 v10, v2, v10
	s_delay_alu instid0(VALU_DEP_2) | instskip(NEXT) | instid1(VALU_DEP_2)
	v_dual_mul_f32 v162, v3, v12 :: v_dual_fmac_f32 v161, v2, v9
	v_fma_f32 v163, v1, v9, -v10
	v_mul_f32_e32 v1, v4, v12
	s_delay_alu instid0(VALU_DEP_3) | instskip(NEXT) | instid1(VALU_DEP_2)
	v_fmac_f32_e32 v162, v4, v11
	v_fma_f32 v164, v3, v11, -v1
	s_clause 0x1
	scratch_load_b128 v[1:4], off, off offset:136
	scratch_load_b128 v[9:12], off, off offset:152
	s_wait_loadcnt_dscnt 0x100
	v_mul_f32_e32 v165, v5, v2
	v_dual_mul_f32 v2, v6, v2 :: v_dual_mul_f32 v167, v7, v4
	s_delay_alu instid0(VALU_DEP_2) | instskip(NEXT) | instid1(VALU_DEP_2)
	v_fmac_f32_e32 v165, v6, v1
	v_fma_f32 v166, v5, v1, -v2
	v_mul_f32_e32 v1, v8, v4
	s_delay_alu instid0(VALU_DEP_4) | instskip(NEXT) | instid1(VALU_DEP_2)
	v_fmac_f32_e32 v167, v8, v3
	v_fma_f32 v168, v7, v3, -v1
	ds_load_2addr_b64 v[1:4], v153 offset0:79 offset1:80
	ds_load_2addr_b64 v[5:8], v153 offset0:81 offset1:82
	s_wait_loadcnt_dscnt 0x1
	v_mul_f32_e32 v169, v1, v10
	v_mul_f32_e32 v171, v3, v12
	s_delay_alu instid0(VALU_DEP_2) | instskip(NEXT) | instid1(VALU_DEP_2)
	v_fmac_f32_e32 v169, v2, v9
	v_dual_mul_f32 v2, v2, v10 :: v_dual_fmac_f32 v171, v4, v11
	s_delay_alu instid0(VALU_DEP_1) | instskip(SKIP_1) | instid1(VALU_DEP_1)
	v_fma_f32 v170, v1, v9, -v2
	v_mul_f32_e32 v1, v4, v12
	v_fma_f32 v172, v3, v11, -v1
	s_clause 0x1
	scratch_load_b128 v[1:4], off, off offset:168
	scratch_load_b128 v[9:12], off, off offset:184
	s_wait_loadcnt_dscnt 0x100
	v_mul_f32_e32 v173, v5, v2
	v_dual_mul_f32 v2, v6, v2 :: v_dual_mul_f32 v175, v7, v4
	s_delay_alu instid0(VALU_DEP_2) | instskip(NEXT) | instid1(VALU_DEP_2)
	v_fmac_f32_e32 v173, v6, v1
	v_fma_f32 v174, v5, v1, -v2
	v_mul_f32_e32 v1, v8, v4
	s_delay_alu instid0(VALU_DEP_4) | instskip(NEXT) | instid1(VALU_DEP_2)
	v_fmac_f32_e32 v175, v8, v3
	v_fma_f32 v176, v7, v3, -v1
	ds_load_2addr_b64 v[1:4], v153 offset0:83 offset1:84
	ds_load_2addr_b64 v[5:8], v153 offset0:85 offset1:86
	s_wait_loadcnt_dscnt 0x1
	v_mul_f32_e32 v177, v1, v10
	v_mul_f32_e32 v179, v3, v12
	s_delay_alu instid0(VALU_DEP_2) | instskip(NEXT) | instid1(VALU_DEP_2)
	v_fmac_f32_e32 v177, v2, v9
	v_dual_mul_f32 v2, v2, v10 :: v_dual_fmac_f32 v179, v4, v11
	s_delay_alu instid0(VALU_DEP_1) | instskip(SKIP_1) | instid1(VALU_DEP_1)
	v_fma_f32 v178, v1, v9, -v2
	v_mul_f32_e32 v1, v4, v12
	;; [unrolled: 25-line block ×8, first 2 shown]
	v_fma_f32 v228, v3, v11, -v1
	s_clause 0x1
	scratch_load_b128 v[1:4], off, off offset:392
	scratch_load_b128 v[9:12], off, off offset:408
	s_wait_loadcnt_dscnt 0x100
	v_mul_f32_e32 v229, v5, v2
	v_mul_f32_e32 v2, v6, v2
	s_delay_alu instid0(VALU_DEP_2) | instskip(NEXT) | instid1(VALU_DEP_2)
	v_fmac_f32_e32 v229, v6, v1
	v_fma_f32 v230, v5, v1, -v2
	v_dual_mul_f32 v1, v8, v4 :: v_dual_add_f32 v2, 0, v154
	s_delay_alu instid0(VALU_DEP_1) | instskip(NEXT) | instid1(VALU_DEP_2)
	v_fma_f32 v232, v7, v3, -v1
	v_dual_add_f32 v1, 0, v21 :: v_dual_add_f32 v2, v2, v158
	s_delay_alu instid0(VALU_DEP_1) | instskip(NEXT) | instid1(VALU_DEP_1)
	v_dual_add_f32 v1, v1, v22 :: v_dual_add_f32 v2, v2, v23
	v_dual_add_f32 v1, v1, v25 :: v_dual_add_f32 v2, v2, v24
	s_delay_alu instid0(VALU_DEP_1) | instskip(SKIP_2) | instid1(VALU_DEP_1)
	v_dual_add_f32 v1, v1, v26 :: v_dual_add_f32 v2, v2, v159
	scratch_load_b64 v[25:26], off, off offset:472
	v_dual_add_f32 v1, v1, v27 :: v_dual_add_f32 v2, v2, v160
	v_dual_add_f32 v1, v1, v28 :: v_dual_add_f32 v2, v2, v29
	s_delay_alu instid0(VALU_DEP_1) | instskip(NEXT) | instid1(VALU_DEP_1)
	v_dual_add_f32 v1, v1, v13 :: v_dual_add_f32 v2, v2, v30
	v_dual_add_f32 v1, v1, v14 :: v_dual_add_f32 v2, v2, v15
	s_delay_alu instid0(VALU_DEP_1) | instskip(NEXT) | instid1(VALU_DEP_1)
	;; [unrolled: 3-line block ×8, first 2 shown]
	v_dual_add_f32 v1, v1, v178 :: v_dual_add_f32 v2, v2, v179
	v_add_f32_e32 v1, v1, v180
	s_delay_alu instid0(VALU_DEP_1) | instskip(NEXT) | instid1(VALU_DEP_1)
	v_add_f32_e32 v1, v1, v182
	v_add_f32_e32 v1, v1, v184
	s_delay_alu instid0(VALU_DEP_1) | instskip(NEXT) | instid1(VALU_DEP_1)
	v_add_f32_e32 v1, v1, v186
	;; [unrolled: 3-line block ×6, first 2 shown]
	v_add_f32_e32 v6, v1, v204
	v_add_f32_e32 v2, v2, v181
	s_delay_alu instid0(VALU_DEP_2) | instskip(NEXT) | instid1(VALU_DEP_2)
	v_add_f32_e32 v6, v6, v206
	v_add_f32_e32 v2, v2, v183
	s_delay_alu instid0(VALU_DEP_2) | instskip(NEXT) | instid1(VALU_DEP_1)
	v_add_f32_e32 v13, v6, v208
	v_dual_add_f32 v2, v2, v185 :: v_dual_add_f32 v13, v13, v210
	s_delay_alu instid0(VALU_DEP_1) | instskip(NEXT) | instid1(VALU_DEP_1)
	v_dual_add_f32 v2, v2, v187 :: v_dual_add_f32 v13, v13, v212
	v_dual_add_f32 v2, v2, v189 :: v_dual_add_f32 v13, v13, v214
	s_delay_alu instid0(VALU_DEP_1) | instskip(NEXT) | instid1(VALU_DEP_2)
	v_add_f32_e32 v2, v2, v191
	v_add_f32_e32 v18, v13, v216
	s_delay_alu instid0(VALU_DEP_2) | instskip(NEXT) | instid1(VALU_DEP_2)
	v_dual_add_f32 v2, v2, v193 :: v_dual_mul_f32 v231, v7, v4
	v_add_f32_e32 v18, v18, v218
	s_delay_alu instid0(VALU_DEP_2) | instskip(NEXT) | instid1(VALU_DEP_2)
	v_add_f32_e32 v2, v2, v195
	v_add_f32_e32 v18, v18, v220
	s_delay_alu instid0(VALU_DEP_2) | instskip(NEXT) | instid1(VALU_DEP_2)
	v_dual_add_f32 v2, v2, v197 :: v_dual_fmac_f32 v231, v8, v3
	v_add_f32_e32 v18, v18, v222
	s_delay_alu instid0(VALU_DEP_2) | instskip(NEXT) | instid1(VALU_DEP_2)
	v_add_f32_e32 v2, v2, v199
	v_add_f32_e32 v18, v18, v224
	s_delay_alu instid0(VALU_DEP_2) | instskip(SKIP_2) | instid1(VALU_DEP_1)
	v_add_f32_e32 v5, v2, v201
	ds_load_2addr_b64 v[1:4], v153 offset0:111 offset1:112
	v_add_f32_e32 v27, v18, v226
	v_dual_add_f32 v5, v5, v203 :: v_dual_add_f32 v154, v27, v228
	s_delay_alu instid0(VALU_DEP_1) | instskip(NEXT) | instid1(VALU_DEP_1)
	v_dual_add_f32 v5, v5, v205 :: v_dual_add_f32 v154, v154, v230
	v_add_f32_e32 v14, v5, v207
	ds_load_2addr_b64 v[5:8], v153 offset0:113 offset1:114
	v_add_f32_e32 v154, v154, v232
	s_wait_loadcnt_dscnt 0x101
	v_dual_add_f32 v14, v14, v209 :: v_dual_mul_f32 v29, v1, v10
	v_mul_f32_e32 v10, v2, v10
	v_mul_f32_e32 v30, v3, v12
	;; [unrolled: 1-line block ×3, first 2 shown]
	s_delay_alu instid0(VALU_DEP_4)
	v_add_f32_e32 v14, v14, v211
	v_fmac_f32_e32 v29, v2, v9
	v_fma_f32 v31, v1, v9, -v10
	v_fmac_f32_e32 v30, v4, v11
	v_fma_f32 v32, v3, v11, -v12
	s_clause 0x1
	scratch_load_b128 v[1:4], off, off offset:424
	scratch_load_b128 v[9:12], off, off offset:440
	v_add_f32_e32 v31, v154, v31
	s_delay_alu instid0(VALU_DEP_1)
	v_add_f32_e32 v31, v31, v32
	s_wait_loadcnt_dscnt 0x100
	v_dual_mul_f32 v160, v7, v4 :: v_dual_add_f32 v17, v14, v213
	scratch_load_b128 v[13:16], off, off offset:456
	v_dual_mul_f32 v4, v8, v4 :: v_dual_mul_f32 v159, v5, v2
	v_dual_mul_f32 v2, v6, v2 :: v_dual_add_f32 v17, v17, v215
	s_delay_alu instid0(VALU_DEP_2) | instskip(NEXT) | instid1(VALU_DEP_2)
	v_dual_fmac_f32 v160, v8, v3 :: v_dual_fmac_f32 v159, v6, v1
	v_fma_f32 v2, v5, v1, -v2
	s_delay_alu instid0(VALU_DEP_3) | instskip(SKIP_1) | instid1(VALU_DEP_2)
	v_add_f32_e32 v17, v17, v217
	v_fma_f32 v1, v7, v3, -v4
	v_dual_add_f32 v2, v31, v2 :: v_dual_add_f32 v17, v17, v219
	s_delay_alu instid0(VALU_DEP_1) | instskip(NEXT) | instid1(VALU_DEP_2)
	v_add_f32_e32 v1, v2, v1
	v_add_f32_e32 v17, v17, v221
	s_delay_alu instid0(VALU_DEP_1)
	v_add_f32_e32 v21, v17, v223
	ds_load_2addr_b64 v[17:20], v153 offset0:115 offset1:116
	v_add_f32_e32 v28, v21, v225
	ds_load_2addr_b64 v[21:24], v153 offset0:117 offset1:118
	v_add_f32_e32 v158, v28, v227
	ds_load_b64 v[27:28], v153 offset:952
	s_wait_loadcnt_dscnt 0x102
	v_mul_f32_e32 v154, v17, v10
	v_mul_f32_e32 v3, v18, v10
	s_delay_alu instid0(VALU_DEP_2) | instskip(NEXT) | instid1(VALU_DEP_2)
	v_dual_mul_f32 v5, v20, v12 :: v_dual_fmac_f32 v154, v18, v9
	v_fma_f32 v3, v17, v9, -v3
	s_delay_alu instid0(VALU_DEP_2) | instskip(NEXT) | instid1(VALU_DEP_2)
	v_fma_f32 v5, v19, v11, -v5
	v_add_f32_e32 v1, v1, v3
	s_delay_alu instid0(VALU_DEP_1) | instskip(SKIP_4) | instid1(VALU_DEP_3)
	v_add_f32_e32 v1, v1, v5
	s_wait_loadcnt_dscnt 0x0
	v_dual_mul_f32 v5, v28, v26 :: v_dual_mul_f32 v32, v23, v16
	v_dual_add_f32 v158, v158, v229 :: v_dual_mul_f32 v161, v21, v14
	v_mul_f32_e32 v3, v24, v16
	v_fmac_f32_e32 v32, v24, v15
	s_delay_alu instid0(VALU_DEP_3) | instskip(NEXT) | instid1(VALU_DEP_4)
	v_add_f32_e32 v158, v158, v231
	v_fmac_f32_e32 v161, v22, v13
	s_delay_alu instid0(VALU_DEP_4) | instskip(NEXT) | instid1(VALU_DEP_3)
	v_fma_f32 v3, v23, v15, -v3
	v_dual_add_f32 v29, v158, v29 :: v_dual_mul_f32 v158, v19, v12
	s_delay_alu instid0(VALU_DEP_1) | instskip(SKIP_1) | instid1(VALU_DEP_2)
	v_dual_add_f32 v29, v29, v30 :: v_dual_fmac_f32 v158, v20, v11
	v_mul_f32_e32 v30, v27, v26
	v_add_f32_e32 v4, v29, v159
	s_delay_alu instid0(VALU_DEP_2) | instskip(NEXT) | instid1(VALU_DEP_2)
	v_fmac_f32_e32 v30, v28, v25
	v_add_f32_e32 v2, v4, v160
	v_mul_f32_e32 v4, v22, v14
	s_delay_alu instid0(VALU_DEP_2) | instskip(NEXT) | instid1(VALU_DEP_2)
	v_add_f32_e32 v2, v2, v154
	v_fma_f32 v4, v21, v13, -v4
	s_delay_alu instid0(VALU_DEP_1) | instskip(SKIP_1) | instid1(VALU_DEP_2)
	v_dual_add_f32 v2, v2, v158 :: v_dual_add_f32 v1, v1, v4
	v_fma_f32 v4, v27, v25, -v5
	v_dual_add_f32 v2, v2, v161 :: v_dual_add_f32 v1, v1, v3
	s_delay_alu instid0(VALU_DEP_1) | instskip(NEXT) | instid1(VALU_DEP_1)
	v_add_f32_e32 v2, v2, v32
	v_dual_add_f32 v1, v1, v4 :: v_dual_add_f32 v2, v2, v30
	s_delay_alu instid0(VALU_DEP_1)
	v_dual_sub_f32 v1, v156, v1 :: v_dual_sub_f32 v2, v157, v2
	scratch_store_b64 off, v[1:2], off offset:16
	v_cmpx_lt_u32_e32 1, v0
	s_cbranch_execz .LBB59_371
; %bb.370:
	scratch_load_b64 v[1:2], off, off offset:8
	v_mov_b32_e32 v154, v153
	scratch_store_b64 off, v[153:154], off offset:8
	s_wait_loadcnt 0x0
	ds_store_b64 v155, v[1:2]
.LBB59_371:
	s_wait_alu 0xfffe
	s_or_b32 exec_lo, exec_lo, s0
	s_wait_storecnt_dscnt 0x0
	s_barrier_signal -1
	s_barrier_wait -1
	global_inv scope:SCOPE_SE
	s_clause 0x4
	scratch_load_b128 v[5:8], off, off offset:16
	scratch_load_b128 v[1:4], off, off offset:32
	;; [unrolled: 1-line block ×5, first 2 shown]
	ds_load_b128 v[21:24], v153 offset:496
	ds_load_b128 v[25:28], v153 offset:512
	;; [unrolled: 1-line block ×3, first 2 shown]
	scratch_load_b64 v[156:157], off, off offset:8
	s_mov_b32 s0, exec_lo
	s_wait_loadcnt_dscnt 0x502
	v_mul_f32_e32 v154, v21, v6
	v_mul_f32_e32 v158, v23, v8
	;; [unrolled: 1-line block ×3, first 2 shown]
	s_wait_loadcnt_dscnt 0x300
	v_dual_mul_f32 v8, v24, v8 :: v_dual_mul_f32 v159, v29, v10
	v_fmac_f32_e32 v154, v22, v5
	v_mul_f32_e32 v160, v31, v12
	v_fma_f32 v21, v21, v5, -v6
	s_delay_alu instid0(VALU_DEP_4)
	v_fma_f32 v22, v23, v7, -v8
	v_dual_mul_f32 v23, v25, v2 :: v_dual_fmac_f32 v158, v24, v7
	v_fmac_f32_e32 v159, v30, v9
	ds_load_b128 v[5:8], v153 offset:544
	v_mul_f32_e32 v24, v27, v4
	v_mul_f32_e32 v2, v26, v2
	;; [unrolled: 1-line block ×4, first 2 shown]
	s_delay_alu instid0(VALU_DEP_4) | instskip(NEXT) | instid1(VALU_DEP_4)
	v_dual_fmac_f32 v23, v26, v1 :: v_dual_fmac_f32 v24, v28, v3
	v_fma_f32 v25, v25, v1, -v2
	s_delay_alu instid0(VALU_DEP_4) | instskip(SKIP_4) | instid1(VALU_DEP_3)
	v_fma_f32 v26, v27, v3, -v4
	scratch_load_b128 v[1:4], off, off offset:96
	v_mul_f32_e32 v12, v32, v12
	v_fmac_f32_e32 v160, v32, v11
	v_fma_f32 v27, v29, v9, -v10
	v_fma_f32 v28, v31, v11, -v12
	ds_load_b128 v[9:12], v153 offset:560
	s_wait_loadcnt_dscnt 0x301
	v_dual_mul_f32 v29, v5, v14 :: v_dual_mul_f32 v30, v7, v16
	v_mul_f32_e32 v14, v6, v14
	s_delay_alu instid0(VALU_DEP_2) | instskip(NEXT) | instid1(VALU_DEP_3)
	v_dual_mul_f32 v16, v8, v16 :: v_dual_fmac_f32 v29, v6, v13
	v_fmac_f32_e32 v30, v8, v15
	s_delay_alu instid0(VALU_DEP_3) | instskip(NEXT) | instid1(VALU_DEP_3)
	v_fma_f32 v13, v5, v13, -v14
	v_fma_f32 v14, v7, v15, -v16
	ds_load_b128 v[5:8], v153 offset:576
	s_wait_loadcnt_dscnt 0x201
	v_dual_mul_f32 v15, v9, v18 :: v_dual_mul_f32 v16, v11, v20
	v_mul_f32_e32 v18, v10, v18
	s_delay_alu instid0(VALU_DEP_2) | instskip(NEXT) | instid1(VALU_DEP_3)
	v_dual_mul_f32 v20, v12, v20 :: v_dual_fmac_f32 v15, v10, v17
	v_fmac_f32_e32 v16, v12, v19
	s_delay_alu instid0(VALU_DEP_3) | instskip(NEXT) | instid1(VALU_DEP_3)
	v_fma_f32 v17, v9, v17, -v18
	v_fma_f32 v18, v11, v19, -v20
	scratch_load_b128 v[9:12], off, off offset:112
	s_wait_loadcnt_dscnt 0x100
	v_mul_f32_e32 v19, v5, v2
	v_mul_f32_e32 v2, v6, v2
	;; [unrolled: 1-line block ×3, first 2 shown]
	s_delay_alu instid0(VALU_DEP_3) | instskip(NEXT) | instid1(VALU_DEP_3)
	v_dual_mul_f32 v4, v8, v4 :: v_dual_fmac_f32 v19, v6, v1
	v_fma_f32 v31, v5, v1, -v2
	s_delay_alu instid0(VALU_DEP_3) | instskip(NEXT) | instid1(VALU_DEP_3)
	v_fmac_f32_e32 v20, v8, v3
	v_fma_f32 v32, v7, v3, -v4
	ds_load_b128 v[1:4], v153 offset:592
	ds_load_b128 v[5:8], v153 offset:608
	s_wait_loadcnt_dscnt 0x1
	v_mul_f32_e32 v161, v1, v10
	v_mul_f32_e32 v10, v2, v10
	s_delay_alu instid0(VALU_DEP_2) | instskip(NEXT) | instid1(VALU_DEP_2)
	v_dual_mul_f32 v162, v3, v12 :: v_dual_fmac_f32 v161, v2, v9
	v_fma_f32 v163, v1, v9, -v10
	v_mul_f32_e32 v1, v4, v12
	s_delay_alu instid0(VALU_DEP_3) | instskip(NEXT) | instid1(VALU_DEP_2)
	v_fmac_f32_e32 v162, v4, v11
	v_fma_f32 v164, v3, v11, -v1
	s_clause 0x1
	scratch_load_b128 v[1:4], off, off offset:128
	scratch_load_b128 v[9:12], off, off offset:144
	s_wait_loadcnt_dscnt 0x100
	v_mul_f32_e32 v165, v5, v2
	v_dual_mul_f32 v2, v6, v2 :: v_dual_mul_f32 v167, v7, v4
	s_delay_alu instid0(VALU_DEP_2) | instskip(NEXT) | instid1(VALU_DEP_2)
	v_fmac_f32_e32 v165, v6, v1
	v_fma_f32 v166, v5, v1, -v2
	v_mul_f32_e32 v1, v8, v4
	s_delay_alu instid0(VALU_DEP_4) | instskip(NEXT) | instid1(VALU_DEP_2)
	v_fmac_f32_e32 v167, v8, v3
	v_fma_f32 v168, v7, v3, -v1
	ds_load_b128 v[1:4], v153 offset:624
	ds_load_b128 v[5:8], v153 offset:640
	s_wait_loadcnt_dscnt 0x1
	v_mul_f32_e32 v169, v1, v10
	v_mul_f32_e32 v171, v3, v12
	s_delay_alu instid0(VALU_DEP_2) | instskip(NEXT) | instid1(VALU_DEP_2)
	v_fmac_f32_e32 v169, v2, v9
	v_dual_mul_f32 v2, v2, v10 :: v_dual_fmac_f32 v171, v4, v11
	s_delay_alu instid0(VALU_DEP_1) | instskip(SKIP_1) | instid1(VALU_DEP_1)
	v_fma_f32 v170, v1, v9, -v2
	v_mul_f32_e32 v1, v4, v12
	v_fma_f32 v172, v3, v11, -v1
	s_clause 0x1
	scratch_load_b128 v[1:4], off, off offset:160
	scratch_load_b128 v[9:12], off, off offset:176
	s_wait_loadcnt_dscnt 0x100
	v_mul_f32_e32 v173, v5, v2
	v_dual_mul_f32 v2, v6, v2 :: v_dual_mul_f32 v175, v7, v4
	s_delay_alu instid0(VALU_DEP_2) | instskip(NEXT) | instid1(VALU_DEP_2)
	v_fmac_f32_e32 v173, v6, v1
	v_fma_f32 v174, v5, v1, -v2
	v_mul_f32_e32 v1, v8, v4
	s_delay_alu instid0(VALU_DEP_4) | instskip(NEXT) | instid1(VALU_DEP_2)
	v_fmac_f32_e32 v175, v8, v3
	v_fma_f32 v176, v7, v3, -v1
	ds_load_b128 v[1:4], v153 offset:656
	ds_load_b128 v[5:8], v153 offset:672
	s_wait_loadcnt_dscnt 0x1
	v_mul_f32_e32 v177, v1, v10
	v_mul_f32_e32 v179, v3, v12
	s_delay_alu instid0(VALU_DEP_2) | instskip(NEXT) | instid1(VALU_DEP_2)
	v_fmac_f32_e32 v177, v2, v9
	v_dual_mul_f32 v2, v2, v10 :: v_dual_fmac_f32 v179, v4, v11
	s_delay_alu instid0(VALU_DEP_1) | instskip(SKIP_1) | instid1(VALU_DEP_1)
	v_fma_f32 v178, v1, v9, -v2
	v_mul_f32_e32 v1, v4, v12
	v_fma_f32 v180, v3, v11, -v1
	s_clause 0x1
	scratch_load_b128 v[1:4], off, off offset:192
	scratch_load_b128 v[9:12], off, off offset:208
	s_wait_loadcnt_dscnt 0x100
	v_mul_f32_e32 v181, v5, v2
	v_dual_mul_f32 v2, v6, v2 :: v_dual_mul_f32 v183, v7, v4
	s_delay_alu instid0(VALU_DEP_2) | instskip(NEXT) | instid1(VALU_DEP_2)
	v_fmac_f32_e32 v181, v6, v1
	v_fma_f32 v182, v5, v1, -v2
	v_mul_f32_e32 v1, v8, v4
	s_delay_alu instid0(VALU_DEP_4) | instskip(NEXT) | instid1(VALU_DEP_2)
	v_fmac_f32_e32 v183, v8, v3
	v_fma_f32 v184, v7, v3, -v1
	ds_load_b128 v[1:4], v153 offset:688
	ds_load_b128 v[5:8], v153 offset:704
	s_wait_loadcnt_dscnt 0x1
	v_mul_f32_e32 v185, v1, v10
	v_mul_f32_e32 v187, v3, v12
	s_delay_alu instid0(VALU_DEP_2) | instskip(NEXT) | instid1(VALU_DEP_2)
	v_fmac_f32_e32 v185, v2, v9
	v_dual_mul_f32 v2, v2, v10 :: v_dual_fmac_f32 v187, v4, v11
	s_delay_alu instid0(VALU_DEP_1) | instskip(SKIP_1) | instid1(VALU_DEP_1)
	v_fma_f32 v186, v1, v9, -v2
	v_mul_f32_e32 v1, v4, v12
	v_fma_f32 v188, v3, v11, -v1
	s_clause 0x1
	scratch_load_b128 v[1:4], off, off offset:224
	scratch_load_b128 v[9:12], off, off offset:240
	s_wait_loadcnt_dscnt 0x100
	v_mul_f32_e32 v189, v5, v2
	v_dual_mul_f32 v2, v6, v2 :: v_dual_mul_f32 v191, v7, v4
	s_delay_alu instid0(VALU_DEP_2) | instskip(NEXT) | instid1(VALU_DEP_2)
	v_fmac_f32_e32 v189, v6, v1
	v_fma_f32 v190, v5, v1, -v2
	v_mul_f32_e32 v1, v8, v4
	s_delay_alu instid0(VALU_DEP_4) | instskip(NEXT) | instid1(VALU_DEP_2)
	v_fmac_f32_e32 v191, v8, v3
	v_fma_f32 v192, v7, v3, -v1
	ds_load_b128 v[1:4], v153 offset:720
	ds_load_b128 v[5:8], v153 offset:736
	s_wait_loadcnt_dscnt 0x1
	v_mul_f32_e32 v193, v1, v10
	v_mul_f32_e32 v195, v3, v12
	s_delay_alu instid0(VALU_DEP_2) | instskip(NEXT) | instid1(VALU_DEP_2)
	v_fmac_f32_e32 v193, v2, v9
	v_dual_mul_f32 v2, v2, v10 :: v_dual_fmac_f32 v195, v4, v11
	s_delay_alu instid0(VALU_DEP_1) | instskip(SKIP_1) | instid1(VALU_DEP_1)
	v_fma_f32 v194, v1, v9, -v2
	v_mul_f32_e32 v1, v4, v12
	v_fma_f32 v196, v3, v11, -v1
	s_clause 0x1
	scratch_load_b128 v[1:4], off, off offset:256
	scratch_load_b128 v[9:12], off, off offset:272
	s_wait_loadcnt_dscnt 0x100
	v_mul_f32_e32 v197, v5, v2
	v_dual_mul_f32 v2, v6, v2 :: v_dual_mul_f32 v199, v7, v4
	s_delay_alu instid0(VALU_DEP_2) | instskip(NEXT) | instid1(VALU_DEP_2)
	v_fmac_f32_e32 v197, v6, v1
	v_fma_f32 v198, v5, v1, -v2
	v_mul_f32_e32 v1, v8, v4
	s_delay_alu instid0(VALU_DEP_4) | instskip(NEXT) | instid1(VALU_DEP_2)
	v_fmac_f32_e32 v199, v8, v3
	v_fma_f32 v200, v7, v3, -v1
	ds_load_b128 v[1:4], v153 offset:752
	ds_load_b128 v[5:8], v153 offset:768
	s_wait_loadcnt_dscnt 0x1
	v_mul_f32_e32 v201, v1, v10
	v_mul_f32_e32 v203, v3, v12
	s_delay_alu instid0(VALU_DEP_2) | instskip(NEXT) | instid1(VALU_DEP_2)
	v_fmac_f32_e32 v201, v2, v9
	v_dual_mul_f32 v2, v2, v10 :: v_dual_fmac_f32 v203, v4, v11
	s_delay_alu instid0(VALU_DEP_1) | instskip(SKIP_1) | instid1(VALU_DEP_1)
	v_fma_f32 v202, v1, v9, -v2
	v_mul_f32_e32 v1, v4, v12
	v_fma_f32 v204, v3, v11, -v1
	s_clause 0x1
	scratch_load_b128 v[1:4], off, off offset:288
	scratch_load_b128 v[9:12], off, off offset:304
	s_wait_loadcnt_dscnt 0x100
	v_mul_f32_e32 v205, v5, v2
	v_dual_mul_f32 v2, v6, v2 :: v_dual_mul_f32 v207, v7, v4
	s_delay_alu instid0(VALU_DEP_2) | instskip(NEXT) | instid1(VALU_DEP_2)
	v_fmac_f32_e32 v205, v6, v1
	v_fma_f32 v206, v5, v1, -v2
	v_mul_f32_e32 v1, v8, v4
	s_delay_alu instid0(VALU_DEP_4) | instskip(NEXT) | instid1(VALU_DEP_2)
	v_fmac_f32_e32 v207, v8, v3
	v_fma_f32 v208, v7, v3, -v1
	ds_load_b128 v[1:4], v153 offset:784
	ds_load_b128 v[5:8], v153 offset:800
	s_wait_loadcnt_dscnt 0x1
	v_mul_f32_e32 v209, v1, v10
	v_mul_f32_e32 v211, v3, v12
	s_delay_alu instid0(VALU_DEP_2) | instskip(NEXT) | instid1(VALU_DEP_2)
	v_fmac_f32_e32 v209, v2, v9
	v_dual_mul_f32 v2, v2, v10 :: v_dual_fmac_f32 v211, v4, v11
	s_delay_alu instid0(VALU_DEP_1) | instskip(SKIP_1) | instid1(VALU_DEP_1)
	v_fma_f32 v210, v1, v9, -v2
	v_mul_f32_e32 v1, v4, v12
	v_fma_f32 v212, v3, v11, -v1
	s_clause 0x1
	scratch_load_b128 v[1:4], off, off offset:320
	scratch_load_b128 v[9:12], off, off offset:336
	s_wait_loadcnt_dscnt 0x100
	v_mul_f32_e32 v213, v5, v2
	v_dual_mul_f32 v2, v6, v2 :: v_dual_mul_f32 v215, v7, v4
	s_delay_alu instid0(VALU_DEP_2) | instskip(NEXT) | instid1(VALU_DEP_2)
	v_fmac_f32_e32 v213, v6, v1
	v_fma_f32 v214, v5, v1, -v2
	v_mul_f32_e32 v1, v8, v4
	s_delay_alu instid0(VALU_DEP_4) | instskip(NEXT) | instid1(VALU_DEP_2)
	v_fmac_f32_e32 v215, v8, v3
	v_fma_f32 v216, v7, v3, -v1
	ds_load_b128 v[1:4], v153 offset:816
	ds_load_b128 v[5:8], v153 offset:832
	s_wait_loadcnt_dscnt 0x1
	v_mul_f32_e32 v217, v1, v10
	v_mul_f32_e32 v219, v3, v12
	s_delay_alu instid0(VALU_DEP_2) | instskip(NEXT) | instid1(VALU_DEP_2)
	v_fmac_f32_e32 v217, v2, v9
	v_dual_mul_f32 v2, v2, v10 :: v_dual_fmac_f32 v219, v4, v11
	s_delay_alu instid0(VALU_DEP_1) | instskip(SKIP_1) | instid1(VALU_DEP_1)
	v_fma_f32 v218, v1, v9, -v2
	v_mul_f32_e32 v1, v4, v12
	v_fma_f32 v220, v3, v11, -v1
	s_clause 0x1
	scratch_load_b128 v[1:4], off, off offset:352
	scratch_load_b128 v[9:12], off, off offset:368
	s_wait_loadcnt_dscnt 0x100
	v_mul_f32_e32 v221, v5, v2
	v_dual_mul_f32 v2, v6, v2 :: v_dual_mul_f32 v223, v7, v4
	s_delay_alu instid0(VALU_DEP_2) | instskip(NEXT) | instid1(VALU_DEP_2)
	v_fmac_f32_e32 v221, v6, v1
	v_fma_f32 v222, v5, v1, -v2
	v_mul_f32_e32 v1, v8, v4
	s_delay_alu instid0(VALU_DEP_4) | instskip(NEXT) | instid1(VALU_DEP_2)
	v_fmac_f32_e32 v223, v8, v3
	v_fma_f32 v224, v7, v3, -v1
	ds_load_b128 v[1:4], v153 offset:848
	ds_load_b128 v[5:8], v153 offset:864
	s_wait_loadcnt_dscnt 0x1
	v_mul_f32_e32 v225, v1, v10
	v_mul_f32_e32 v227, v3, v12
	s_delay_alu instid0(VALU_DEP_2) | instskip(NEXT) | instid1(VALU_DEP_2)
	v_fmac_f32_e32 v225, v2, v9
	v_dual_mul_f32 v2, v2, v10 :: v_dual_fmac_f32 v227, v4, v11
	s_delay_alu instid0(VALU_DEP_1) | instskip(SKIP_1) | instid1(VALU_DEP_1)
	v_fma_f32 v226, v1, v9, -v2
	v_mul_f32_e32 v1, v4, v12
	v_fma_f32 v228, v3, v11, -v1
	s_clause 0x1
	scratch_load_b128 v[1:4], off, off offset:384
	scratch_load_b128 v[9:12], off, off offset:400
	s_wait_loadcnt_dscnt 0x100
	v_mul_f32_e32 v229, v5, v2
	v_mul_f32_e32 v2, v6, v2
	s_delay_alu instid0(VALU_DEP_2) | instskip(NEXT) | instid1(VALU_DEP_2)
	v_fmac_f32_e32 v229, v6, v1
	v_fma_f32 v230, v5, v1, -v2
	v_dual_mul_f32 v1, v8, v4 :: v_dual_add_f32 v2, 0, v154
	s_delay_alu instid0(VALU_DEP_1) | instskip(NEXT) | instid1(VALU_DEP_2)
	v_fma_f32 v232, v7, v3, -v1
	v_dual_add_f32 v1, 0, v21 :: v_dual_add_f32 v2, v2, v158
	s_delay_alu instid0(VALU_DEP_1) | instskip(NEXT) | instid1(VALU_DEP_1)
	v_dual_add_f32 v1, v1, v22 :: v_dual_add_f32 v2, v2, v23
	v_dual_add_f32 v1, v1, v25 :: v_dual_add_f32 v2, v2, v24
	s_delay_alu instid0(VALU_DEP_1) | instskip(NEXT) | instid1(VALU_DEP_1)
	v_dual_add_f32 v1, v1, v26 :: v_dual_add_f32 v2, v2, v159
	;; [unrolled: 3-line block ×10, first 2 shown]
	v_dual_add_f32 v1, v1, v178 :: v_dual_add_f32 v2, v2, v179
	s_delay_alu instid0(VALU_DEP_1) | instskip(SKIP_1) | instid1(VALU_DEP_2)
	v_dual_add_f32 v1, v1, v180 :: v_dual_add_f32 v2, v2, v181
	v_mul_f32_e32 v231, v7, v4
	v_dual_add_f32 v1, v1, v182 :: v_dual_add_f32 v2, v2, v183
	s_delay_alu instid0(VALU_DEP_1) | instskip(NEXT) | instid1(VALU_DEP_1)
	v_add_f32_e32 v1, v1, v184
	v_add_f32_e32 v1, v1, v186
	s_delay_alu instid0(VALU_DEP_1) | instskip(NEXT) | instid1(VALU_DEP_1)
	v_add_f32_e32 v1, v1, v188
	v_add_f32_e32 v1, v1, v190
	;; [unrolled: 3-line block ×6, first 2 shown]
	v_add_f32_e32 v2, v2, v185
	s_delay_alu instid0(VALU_DEP_2) | instskip(NEXT) | instid1(VALU_DEP_2)
	v_add_f32_e32 v14, v6, v208
	v_add_f32_e32 v2, v2, v187
	s_delay_alu instid0(VALU_DEP_2) | instskip(NEXT) | instid1(VALU_DEP_2)
	v_add_f32_e32 v14, v14, v210
	v_add_f32_e32 v2, v2, v189
	s_delay_alu instid0(VALU_DEP_2) | instskip(NEXT) | instid1(VALU_DEP_1)
	v_add_f32_e32 v17, v14, v212
	v_dual_add_f32 v2, v2, v191 :: v_dual_add_f32 v17, v17, v214
	s_delay_alu instid0(VALU_DEP_1) | instskip(NEXT) | instid1(VALU_DEP_1)
	v_dual_add_f32 v2, v2, v193 :: v_dual_add_f32 v17, v17, v216
	v_dual_add_f32 v2, v2, v195 :: v_dual_add_f32 v17, v17, v218
	s_delay_alu instid0(VALU_DEP_1) | instskip(NEXT) | instid1(VALU_DEP_2)
	v_add_f32_e32 v2, v2, v197
	v_add_f32_e32 v22, v17, v220
	s_delay_alu instid0(VALU_DEP_2) | instskip(NEXT) | instid1(VALU_DEP_2)
	v_add_f32_e32 v2, v2, v199
	v_dual_fmac_f32 v231, v8, v3 :: v_dual_add_f32 v22, v22, v222
	s_delay_alu instid0(VALU_DEP_2) | instskip(NEXT) | instid1(VALU_DEP_2)
	v_add_f32_e32 v2, v2, v201
	v_add_f32_e32 v22, v22, v224
	s_delay_alu instid0(VALU_DEP_2) | instskip(SKIP_4) | instid1(VALU_DEP_1)
	v_add_f32_e32 v5, v2, v203
	ds_load_b128 v[1:4], v153 offset:880
	v_add_f32_e32 v13, v5, v205
	scratch_load_b128 v[5:8], off, off offset:416
	v_add_f32_e32 v13, v13, v207
	v_add_f32_e32 v13, v13, v209
	s_delay_alu instid0(VALU_DEP_1)
	v_add_f32_e32 v18, v13, v211
	ds_load_b128 v[13:16], v153 offset:896
	s_wait_loadcnt_dscnt 0x101
	v_mul_f32_e32 v25, v1, v10
	v_mul_f32_e32 v10, v2, v10
	;; [unrolled: 1-line block ×3, first 2 shown]
	s_delay_alu instid0(VALU_DEP_3) | instskip(NEXT) | instid1(VALU_DEP_3)
	v_dual_mul_f32 v12, v4, v12 :: v_dual_fmac_f32 v25, v2, v9
	v_fma_f32 v27, v1, v9, -v10
	s_delay_alu instid0(VALU_DEP_3) | instskip(NEXT) | instid1(VALU_DEP_3)
	v_fmac_f32_e32 v26, v4, v11
	v_fma_f32 v28, v3, v11, -v12
	s_clause 0x1
	scratch_load_b128 v[1:4], off, off offset:432
	scratch_load_b128 v[9:12], off, off offset:448
	s_wait_loadcnt_dscnt 0x200
	v_mul_f32_e32 v30, v15, v8
	v_mul_f32_e32 v8, v16, v8
	v_dual_add_f32 v18, v18, v213 :: v_dual_mul_f32 v29, v13, v6
	v_mul_f32_e32 v6, v14, v6
	s_delay_alu instid0(VALU_DEP_4) | instskip(NEXT) | instid1(VALU_DEP_4)
	v_fmac_f32_e32 v30, v16, v7
	v_fma_f32 v32, v15, v7, -v8
	s_delay_alu instid0(VALU_DEP_4)
	v_add_f32_e32 v18, v18, v215
	v_fmac_f32_e32 v29, v14, v5
	v_fma_f32 v31, v13, v5, -v6
	ds_load_b128 v[5:8], v153 offset:912
	v_add_f32_e32 v21, v18, v217
	scratch_load_b128 v[17:20], off, off offset:464
	v_add_f32_e32 v21, v21, v219
	s_delay_alu instid0(VALU_DEP_1) | instskip(NEXT) | instid1(VALU_DEP_1)
	v_add_f32_e32 v21, v21, v221
	v_add_f32_e32 v13, v21, v223
	s_delay_alu instid0(VALU_DEP_1) | instskip(NEXT) | instid1(VALU_DEP_1)
	v_dual_add_f32 v21, v22, v226 :: v_dual_add_f32 v22, v13, v225
	v_add_f32_e32 v154, v21, v228
	ds_load_b128 v[13:16], v153 offset:928
	v_add_f32_e32 v158, v22, v227
	ds_load_b128 v[21:24], v153 offset:944
	v_add_f32_e32 v153, v154, v230
	v_add_f32_e32 v154, v158, v229
	s_wait_loadcnt_dscnt 0x202
	v_mul_f32_e32 v158, v5, v2
	s_delay_alu instid0(VALU_DEP_3) | instskip(NEXT) | instid1(VALU_DEP_3)
	v_dual_add_f32 v153, v153, v232 :: v_dual_mul_f32 v2, v6, v2
	v_add_f32_e32 v154, v154, v231
	s_delay_alu instid0(VALU_DEP_2) | instskip(SKIP_1) | instid1(VALU_DEP_3)
	v_dual_fmac_f32 v158, v6, v1 :: v_dual_add_f32 v27, v153, v27
	v_mul_f32_e32 v153, v7, v4
	v_dual_mul_f32 v4, v8, v4 :: v_dual_add_f32 v25, v154, v25
	v_fma_f32 v2, v5, v1, -v2
	s_wait_loadcnt_dscnt 0x101
	v_dual_add_f32 v27, v27, v28 :: v_dual_mul_f32 v154, v13, v10
	v_mul_f32_e32 v6, v14, v10
	v_add_f32_e32 v25, v25, v26
	v_fmac_f32_e32 v153, v8, v3
	s_delay_alu instid0(VALU_DEP_4) | instskip(SKIP_3) | instid1(VALU_DEP_4)
	v_add_f32_e32 v27, v27, v31
	v_fma_f32 v3, v7, v3, -v4
	v_mul_f32_e32 v159, v15, v12
	v_dual_add_f32 v25, v25, v29 :: v_dual_mul_f32 v4, v16, v12
	v_dual_add_f32 v1, v27, v32 :: v_dual_fmac_f32 v154, v14, v9
	s_delay_alu instid0(VALU_DEP_3) | instskip(NEXT) | instid1(VALU_DEP_3)
	v_fmac_f32_e32 v159, v16, v11
	v_add_f32_e32 v5, v25, v30
	s_delay_alu instid0(VALU_DEP_4) | instskip(NEXT) | instid1(VALU_DEP_4)
	v_fma_f32 v4, v15, v11, -v4
	v_add_f32_e32 v1, v1, v2
	s_delay_alu instid0(VALU_DEP_3) | instskip(SKIP_1) | instid1(VALU_DEP_2)
	v_add_f32_e32 v2, v5, v158
	v_fma_f32 v5, v13, v9, -v6
	v_dual_add_f32 v1, v1, v3 :: v_dual_add_f32 v2, v2, v153
	s_delay_alu instid0(VALU_DEP_1) | instskip(NEXT) | instid1(VALU_DEP_1)
	v_dual_add_f32 v1, v1, v5 :: v_dual_add_f32 v2, v2, v154
	v_dual_add_f32 v1, v1, v4 :: v_dual_add_f32 v2, v2, v159
	s_wait_loadcnt_dscnt 0x0
	v_mul_f32_e32 v26, v21, v18
	v_dual_mul_f32 v3, v22, v18 :: v_dual_mul_f32 v28, v23, v20
	s_delay_alu instid0(VALU_DEP_2) | instskip(NEXT) | instid1(VALU_DEP_2)
	v_dual_mul_f32 v5, v24, v20 :: v_dual_fmac_f32 v26, v22, v17
	v_fma_f32 v3, v21, v17, -v3
	s_delay_alu instid0(VALU_DEP_3) | instskip(NEXT) | instid1(VALU_DEP_3)
	v_fmac_f32_e32 v28, v24, v19
	v_fma_f32 v4, v23, v19, -v5
	s_delay_alu instid0(VALU_DEP_3) | instskip(NEXT) | instid1(VALU_DEP_1)
	v_dual_add_f32 v2, v2, v26 :: v_dual_add_f32 v1, v1, v3
	v_add_f32_e32 v2, v2, v28
	s_delay_alu instid0(VALU_DEP_2) | instskip(NEXT) | instid1(VALU_DEP_1)
	v_add_f32_e32 v1, v1, v4
	v_dual_sub_f32 v2, v157, v2 :: v_dual_sub_f32 v1, v156, v1
	scratch_store_b64 off, v[1:2], off offset:8
	v_cmpx_ne_u32_e32 0, v0
	s_cbranch_execz .LBB59_373
; %bb.372:
	scratch_load_b64 v[0:1], off, off
	v_mov_b32_e32 v2, 0
	s_delay_alu instid0(VALU_DEP_1)
	v_mov_b32_e32 v3, v2
	scratch_store_b64 off, v[2:3], off
	s_wait_loadcnt 0x0
	ds_store_b64 v155, v[0:1]
.LBB59_373:
	s_wait_alu 0xfffe
	s_or_b32 exec_lo, exec_lo, s0
	s_wait_storecnt_dscnt 0x0
	s_barrier_signal -1
	s_barrier_wait -1
	global_inv scope:SCOPE_SE
	s_clause 0x6
	scratch_load_b128 v[0:3], off, off offset:8
	scratch_load_b128 v[4:7], off, off offset:24
	;; [unrolled: 1-line block ×7, first 2 shown]
	v_mov_b32_e32 v32, 0
	scratch_load_b64 v[157:158], off, off
	s_and_b32 vcc_lo, exec_lo, s18
	ds_load_2addr_b64 v[28:31], v32 offset0:61 offset1:62
	ds_load_2addr_b64 v[153:156], v32 offset0:63 offset1:64
	s_wait_loadcnt_dscnt 0x701
	v_dual_mul_f32 v159, v28, v1 :: v_dual_mul_f32 v160, v30, v3
	v_mul_f32_e32 v1, v29, v1
	v_mul_f32_e32 v3, v31, v3
	s_delay_alu instid0(VALU_DEP_3) | instskip(NEXT) | instid1(VALU_DEP_3)
	v_dual_fmac_f32 v159, v29, v0 :: v_dual_fmac_f32 v160, v31, v2
	v_fma_f32 v28, v28, v0, -v1
	s_delay_alu instid0(VALU_DEP_3) | instskip(SKIP_4) | instid1(VALU_DEP_2)
	v_fma_f32 v29, v30, v2, -v3
	ds_load_2addr_b64 v[0:3], v32 offset0:65 offset1:66
	s_wait_loadcnt_dscnt 0x601
	v_dual_mul_f32 v30, v153, v5 :: v_dual_mul_f32 v31, v155, v7
	v_mul_f32_e32 v5, v154, v5
	v_dual_mul_f32 v7, v156, v7 :: v_dual_fmac_f32 v30, v154, v4
	s_delay_alu instid0(VALU_DEP_3) | instskip(NEXT) | instid1(VALU_DEP_3)
	v_fmac_f32_e32 v31, v156, v6
	v_fma_f32 v153, v153, v4, -v5
	s_delay_alu instid0(VALU_DEP_3) | instskip(SKIP_4) | instid1(VALU_DEP_2)
	v_fma_f32 v154, v155, v6, -v7
	ds_load_2addr_b64 v[4:7], v32 offset0:67 offset1:68
	s_wait_loadcnt_dscnt 0x501
	v_dual_mul_f32 v155, v0, v9 :: v_dual_mul_f32 v156, v2, v11
	v_mul_f32_e32 v11, v3, v11
	v_fmac_f32_e32 v156, v3, v10
	s_delay_alu instid0(VALU_DEP_2) | instskip(SKIP_2) | instid1(VALU_DEP_1)
	v_fma_f32 v162, v2, v10, -v11
	s_wait_loadcnt_dscnt 0x400
	v_dual_mul_f32 v164, v6, v15 :: v_dual_mul_f32 v9, v1, v9
	v_dual_fmac_f32 v155, v1, v8 :: v_dual_fmac_f32 v164, v7, v14
	s_delay_alu instid0(VALU_DEP_2) | instskip(SKIP_3) | instid1(VALU_DEP_2)
	v_fma_f32 v161, v0, v8, -v9
	ds_load_2addr_b64 v[0:3], v32 offset0:69 offset1:70
	v_mul_f32_e32 v163, v4, v13
	v_dual_mul_f32 v8, v5, v13 :: v_dual_mul_f32 v9, v7, v15
	v_fmac_f32_e32 v163, v5, v12
	s_delay_alu instid0(VALU_DEP_2) | instskip(NEXT) | instid1(VALU_DEP_3)
	v_fma_f32 v12, v4, v12, -v8
	v_fma_f32 v13, v6, v14, -v9
	ds_load_2addr_b64 v[4:7], v32 offset0:71 offset1:72
	s_wait_loadcnt_dscnt 0x301
	v_dual_mul_f32 v14, v0, v17 :: v_dual_mul_f32 v15, v2, v19
	v_dual_mul_f32 v8, v1, v17 :: v_dual_mul_f32 v9, v3, v19
	s_delay_alu instid0(VALU_DEP_2) | instskip(NEXT) | instid1(VALU_DEP_2)
	v_fmac_f32_e32 v14, v1, v16
	v_fma_f32 v16, v0, v16, -v8
	s_delay_alu instid0(VALU_DEP_3)
	v_fma_f32 v17, v2, v18, -v9
	s_wait_loadcnt_dscnt 0x200
	v_dual_mul_f32 v8, v5, v21 :: v_dual_fmac_f32 v15, v3, v18
	ds_load_2addr_b64 v[0:3], v32 offset0:73 offset1:74
	v_dual_mul_f32 v18, v4, v21 :: v_dual_mul_f32 v19, v6, v23
	v_mul_f32_e32 v9, v7, v23
	v_fma_f32 v21, v4, v20, -v8
	s_delay_alu instid0(VALU_DEP_3) | instskip(NEXT) | instid1(VALU_DEP_3)
	v_dual_fmac_f32 v18, v5, v20 :: v_dual_fmac_f32 v19, v7, v22
	v_fma_f32 v20, v6, v22, -v9
	ds_load_2addr_b64 v[4:7], v32 offset0:75 offset1:76
	s_wait_loadcnt_dscnt 0x101
	v_mul_f32_e32 v22, v0, v25
	v_dual_mul_f32 v8, v1, v25 :: v_dual_mul_f32 v23, v2, v27
	s_delay_alu instid0(VALU_DEP_2) | instskip(NEXT) | instid1(VALU_DEP_2)
	v_dual_mul_f32 v9, v3, v27 :: v_dual_fmac_f32 v22, v1, v24
	v_fma_f32 v24, v0, v24, -v8
	s_delay_alu instid0(VALU_DEP_3) | instskip(NEXT) | instid1(VALU_DEP_3)
	v_fmac_f32_e32 v23, v3, v26
	v_fma_f32 v25, v2, v26, -v9
	s_clause 0x1
	scratch_load_b128 v[0:3], off, off offset:120
	scratch_load_b128 v[8:11], off, off offset:136
	s_wait_loadcnt_dscnt 0x100
	v_mul_f32_e32 v26, v4, v1
	v_mul_f32_e32 v1, v5, v1
	s_delay_alu instid0(VALU_DEP_2) | instskip(NEXT) | instid1(VALU_DEP_2)
	v_dual_mul_f32 v165, v6, v3 :: v_dual_fmac_f32 v26, v5, v0
	v_fma_f32 v27, v4, v0, -v1
	v_mul_f32_e32 v0, v7, v3
	s_delay_alu instid0(VALU_DEP_3) | instskip(NEXT) | instid1(VALU_DEP_2)
	v_fmac_f32_e32 v165, v7, v2
	v_fma_f32 v166, v6, v2, -v0
	ds_load_2addr_b64 v[0:3], v32 offset0:77 offset1:78
	ds_load_2addr_b64 v[4:7], v32 offset0:79 offset1:80
	s_wait_loadcnt_dscnt 0x1
	v_mul_f32_e32 v167, v0, v9
	v_mul_f32_e32 v169, v2, v11
	s_delay_alu instid0(VALU_DEP_2) | instskip(SKIP_1) | instid1(VALU_DEP_3)
	v_fmac_f32_e32 v167, v1, v8
	v_mul_f32_e32 v1, v1, v9
	v_fmac_f32_e32 v169, v3, v10
	s_delay_alu instid0(VALU_DEP_2) | instskip(SKIP_1) | instid1(VALU_DEP_1)
	v_fma_f32 v168, v0, v8, -v1
	v_mul_f32_e32 v0, v3, v11
	v_fma_f32 v170, v2, v10, -v0
	s_clause 0x1
	scratch_load_b128 v[0:3], off, off offset:152
	scratch_load_b128 v[8:11], off, off offset:168
	s_wait_loadcnt_dscnt 0x100
	v_mul_f32_e32 v171, v4, v1
	v_mul_f32_e32 v1, v5, v1
	v_mul_f32_e32 v173, v6, v3
	s_delay_alu instid0(VALU_DEP_3) | instskip(NEXT) | instid1(VALU_DEP_3)
	v_fmac_f32_e32 v171, v5, v0
	v_fma_f32 v172, v4, v0, -v1
	v_mul_f32_e32 v0, v7, v3
	s_delay_alu instid0(VALU_DEP_4) | instskip(NEXT) | instid1(VALU_DEP_2)
	v_fmac_f32_e32 v173, v7, v2
	v_fma_f32 v174, v6, v2, -v0
	ds_load_2addr_b64 v[0:3], v32 offset0:81 offset1:82
	ds_load_2addr_b64 v[4:7], v32 offset0:83 offset1:84
	s_wait_loadcnt_dscnt 0x1
	v_mul_f32_e32 v175, v0, v9
	v_mul_f32_e32 v177, v2, v11
	s_delay_alu instid0(VALU_DEP_2) | instskip(SKIP_1) | instid1(VALU_DEP_3)
	v_fmac_f32_e32 v175, v1, v8
	v_mul_f32_e32 v1, v1, v9
	v_fmac_f32_e32 v177, v3, v10
	s_delay_alu instid0(VALU_DEP_2) | instskip(SKIP_1) | instid1(VALU_DEP_1)
	v_fma_f32 v176, v0, v8, -v1
	v_mul_f32_e32 v0, v3, v11
	v_fma_f32 v178, v2, v10, -v0
	s_clause 0x1
	scratch_load_b128 v[0:3], off, off offset:184
	scratch_load_b128 v[8:11], off, off offset:200
	s_wait_loadcnt_dscnt 0x100
	v_mul_f32_e32 v179, v4, v1
	v_mul_f32_e32 v1, v5, v1
	v_mul_f32_e32 v181, v6, v3
	s_delay_alu instid0(VALU_DEP_3) | instskip(NEXT) | instid1(VALU_DEP_3)
	v_fmac_f32_e32 v179, v5, v0
	v_fma_f32 v180, v4, v0, -v1
	v_mul_f32_e32 v0, v7, v3
	s_delay_alu instid0(VALU_DEP_4) | instskip(NEXT) | instid1(VALU_DEP_2)
	;; [unrolled: 27-line block ×7, first 2 shown]
	v_fmac_f32_e32 v221, v7, v2
	v_fma_f32 v222, v6, v2, -v0
	ds_load_2addr_b64 v[0:3], v32 offset0:105 offset1:106
	ds_load_2addr_b64 v[4:7], v32 offset0:107 offset1:108
	s_wait_loadcnt_dscnt 0x1
	v_mul_f32_e32 v223, v0, v9
	v_mul_f32_e32 v225, v2, v11
	s_delay_alu instid0(VALU_DEP_2) | instskip(SKIP_1) | instid1(VALU_DEP_3)
	v_fmac_f32_e32 v223, v1, v8
	v_mul_f32_e32 v1, v1, v9
	v_fmac_f32_e32 v225, v3, v10
	s_delay_alu instid0(VALU_DEP_2) | instskip(SKIP_1) | instid1(VALU_DEP_1)
	v_fma_f32 v224, v0, v8, -v1
	v_mul_f32_e32 v0, v3, v11
	v_fma_f32 v226, v2, v10, -v0
	s_clause 0x1
	scratch_load_b128 v[0:3], off, off offset:376
	scratch_load_b128 v[8:11], off, off offset:392
	s_wait_loadcnt_dscnt 0x100
	v_mul_f32_e32 v227, v4, v1
	v_mul_f32_e32 v1, v5, v1
	;; [unrolled: 1-line block ×3, first 2 shown]
	s_delay_alu instid0(VALU_DEP_3) | instskip(NEXT) | instid1(VALU_DEP_3)
	v_fmac_f32_e32 v227, v5, v0
	v_fma_f32 v228, v4, v0, -v1
	v_mul_f32_e32 v0, v7, v3
	v_add_f32_e32 v1, 0, v159
	v_fmac_f32_e32 v229, v7, v2
	s_delay_alu instid0(VALU_DEP_3) | instskip(SKIP_1) | instid1(VALU_DEP_1)
	v_fma_f32 v230, v6, v2, -v0
	v_add_f32_e32 v0, 0, v28
	v_dual_add_f32 v1, v1, v160 :: v_dual_add_f32 v0, v0, v29
	s_delay_alu instid0(VALU_DEP_1) | instskip(NEXT) | instid1(VALU_DEP_1)
	v_dual_add_f32 v1, v1, v30 :: v_dual_add_f32 v0, v0, v153
	v_dual_add_f32 v1, v1, v31 :: v_dual_add_f32 v0, v0, v154
	s_delay_alu instid0(VALU_DEP_1) | instskip(NEXT) | instid1(VALU_DEP_1)
	v_dual_add_f32 v1, v1, v155 :: v_dual_add_f32 v0, v0, v161
	;; [unrolled: 3-line block ×6, first 2 shown]
	v_dual_add_f32 v1, v1, v23 :: v_dual_add_f32 v0, v0, v25
	s_delay_alu instid0(VALU_DEP_1) | instskip(SKIP_2) | instid1(VALU_DEP_1)
	v_add_f32_e32 v1, v1, v26
	scratch_load_b64 v[24:25], off, off offset:472
	v_dual_add_f32 v0, v0, v27 :: v_dual_add_f32 v1, v1, v165
	v_dual_add_f32 v0, v0, v166 :: v_dual_add_f32 v1, v1, v167
	s_delay_alu instid0(VALU_DEP_1) | instskip(NEXT) | instid1(VALU_DEP_1)
	v_dual_add_f32 v0, v0, v168 :: v_dual_add_f32 v1, v1, v169
	v_dual_add_f32 v0, v0, v170 :: v_dual_add_f32 v1, v1, v171
	s_delay_alu instid0(VALU_DEP_1) | instskip(NEXT) | instid1(VALU_DEP_1)
	;; [unrolled: 3-line block ×8, first 2 shown]
	v_dual_add_f32 v0, v0, v196 :: v_dual_add_f32 v1, v1, v197
	v_add_f32_e32 v0, v0, v198
	s_delay_alu instid0(VALU_DEP_2) | instskip(NEXT) | instid1(VALU_DEP_2)
	v_add_f32_e32 v4, v1, v199
	v_add_f32_e32 v0, v0, v200
	s_delay_alu instid0(VALU_DEP_2) | instskip(NEXT) | instid1(VALU_DEP_2)
	v_add_f32_e32 v12, v4, v201
	v_add_f32_e32 v5, v0, v202
	scratch_load_b128 v[0:3], off, off offset:408
	v_dual_add_f32 v12, v12, v203 :: v_dual_add_f32 v13, v5, v204
	ds_load_2addr_b64 v[4:7], v32 offset0:109 offset1:110
	v_dual_add_f32 v12, v12, v205 :: v_dual_add_f32 v13, v13, v206
	s_delay_alu instid0(VALU_DEP_1) | instskip(SKIP_2) | instid1(VALU_DEP_1)
	v_dual_add_f32 v17, v12, v207 :: v_dual_add_f32 v16, v13, v208
	ds_load_2addr_b64 v[12:15], v32 offset0:111 offset1:112
	v_add_f32_e32 v16, v16, v210
	v_add_f32_e32 v16, v16, v212
	s_wait_loadcnt_dscnt 0x201
	v_mul_f32_e32 v28, v4, v9
	v_mul_f32_e32 v9, v5, v9
	v_mul_f32_e32 v29, v6, v11
	v_mul_f32_e32 v11, v7, v11
	v_add_f32_e32 v17, v17, v209
	v_fmac_f32_e32 v28, v5, v8
	v_fma_f32 v30, v4, v8, -v9
	v_fmac_f32_e32 v29, v7, v10
	v_fma_f32 v31, v6, v10, -v11
	s_clause 0x1
	scratch_load_b128 v[4:7], off, off offset:424
	scratch_load_b128 v[8:11], off, off offset:440
	v_dual_add_f32 v16, v16, v214 :: v_dual_add_f32 v17, v17, v211
	s_delay_alu instid0(VALU_DEP_1) | instskip(SKIP_2) | instid1(VALU_DEP_1)
	v_dual_add_f32 v21, v16, v216 :: v_dual_add_f32 v20, v17, v213
	scratch_load_b128 v[16:19], off, off offset:456
	v_dual_add_f32 v21, v21, v218 :: v_dual_add_f32 v20, v20, v215
	v_dual_add_f32 v21, v21, v220 :: v_dual_add_f32 v20, v20, v217
	s_delay_alu instid0(VALU_DEP_1) | instskip(SKIP_4) | instid1(VALU_DEP_3)
	v_add_f32_e32 v21, v21, v222
	s_wait_loadcnt_dscnt 0x300
	v_mul_f32_e32 v153, v12, v1
	v_dual_mul_f32 v1, v13, v1 :: v_dual_mul_f32 v154, v14, v3
	v_mul_f32_e32 v3, v15, v3
	v_fmac_f32_e32 v153, v13, v0
	v_add_f32_e32 v13, v21, v224
	s_delay_alu instid0(VALU_DEP_4) | instskip(SKIP_4) | instid1(VALU_DEP_1)
	v_fma_f32 v155, v12, v0, -v1
	v_fmac_f32_e32 v154, v15, v2
	v_fma_f32 v156, v14, v2, -v3
	ds_load_2addr_b64 v[0:3], v32 offset0:113 offset1:114
	v_add_f32_e32 v26, v13, v226
	v_add_f32_e32 v159, v26, v228
	s_delay_alu instid0(VALU_DEP_1) | instskip(NEXT) | instid1(VALU_DEP_1)
	v_add_f32_e32 v159, v159, v230
	v_add_f32_e32 v30, v159, v30
	s_delay_alu instid0(VALU_DEP_1) | instskip(SKIP_1) | instid1(VALU_DEP_2)
	v_add_f32_e32 v30, v30, v31
	v_add_f32_e32 v20, v20, v219
	v_add_f32_e32 v30, v30, v155
	s_delay_alu instid0(VALU_DEP_2) | instskip(NEXT) | instid1(VALU_DEP_1)
	v_add_f32_e32 v12, v20, v221
	v_add_f32_e32 v20, v12, v223
	ds_load_2addr_b64 v[12:15], v32 offset0:115 offset1:116
	s_wait_loadcnt_dscnt 0x201
	v_mul_f32_e32 v161, v0, v5
	v_mul_f32_e32 v5, v1, v5
	v_mul_f32_e32 v159, v2, v7
	v_mul_f32_e32 v7, v3, v7
	v_add_f32_e32 v27, v20, v225
	v_fmac_f32_e32 v161, v1, v4
	v_fma_f32 v0, v0, v4, -v5
	v_add_f32_e32 v1, v30, v156
	v_fma_f32 v2, v2, v6, -v7
	ds_load_2addr_b64 v[20:23], v32 offset0:117 offset1:118
	v_dual_fmac_f32 v159, v3, v6 :: v_dual_add_f32 v0, v1, v0
	s_delay_alu instid0(VALU_DEP_1)
	v_add_f32_e32 v0, v0, v2
	v_add_f32_e32 v160, v27, v227
	ds_load_b64 v[26:27], v32 offset:952
	s_wait_loadcnt_dscnt 0x102
	v_mul_f32_e32 v31, v12, v9
	v_mul_f32_e32 v5, v13, v9
	v_dual_mul_f32 v3, v15, v11 :: v_dual_add_f32 v160, v160, v229
	s_delay_alu instid0(VALU_DEP_3) | instskip(NEXT) | instid1(VALU_DEP_2)
	v_fmac_f32_e32 v31, v13, v8
	v_fma_f32 v3, v14, v10, -v3
	s_delay_alu instid0(VALU_DEP_3) | instskip(SKIP_3) | instid1(VALU_DEP_3)
	v_add_f32_e32 v28, v160, v28
	s_wait_loadcnt_dscnt 0x1
	v_mul_f32_e32 v160, v20, v17
	v_dual_mul_f32 v2, v21, v17 :: v_dual_mul_f32 v155, v22, v19
	v_dual_add_f32 v28, v28, v29 :: v_dual_mul_f32 v29, v14, v11
	s_delay_alu instid0(VALU_DEP_3) | instskip(NEXT) | instid1(VALU_DEP_3)
	v_fmac_f32_e32 v160, v21, v16
	v_fma_f32 v2, v20, v16, -v2
	s_delay_alu instid0(VALU_DEP_3) | instskip(NEXT) | instid1(VALU_DEP_4)
	v_dual_fmac_f32 v155, v23, v18 :: v_dual_add_f32 v28, v28, v153
	v_fmac_f32_e32 v29, v15, v10
	s_wait_dscnt 0x0
	s_delay_alu instid0(VALU_DEP_2) | instskip(NEXT) | instid1(VALU_DEP_1)
	v_dual_mul_f32 v153, v26, v25 :: v_dual_add_f32 v4, v28, v154
	v_fmac_f32_e32 v153, v27, v24
	s_delay_alu instid0(VALU_DEP_2) | instskip(SKIP_1) | instid1(VALU_DEP_1)
	v_add_f32_e32 v1, v4, v161
	v_fma_f32 v4, v12, v8, -v5
	v_dual_add_f32 v1, v1, v159 :: v_dual_add_f32 v0, v0, v4
	v_mul_f32_e32 v4, v23, v19
	s_delay_alu instid0(VALU_DEP_2) | instskip(NEXT) | instid1(VALU_DEP_3)
	v_add_f32_e32 v1, v1, v31
	v_dual_add_f32 v0, v0, v3 :: v_dual_mul_f32 v3, v27, v25
	s_delay_alu instid0(VALU_DEP_3) | instskip(NEXT) | instid1(VALU_DEP_2)
	v_fma_f32 v4, v22, v18, -v4
	v_dual_add_f32 v1, v1, v29 :: v_dual_add_f32 v0, v0, v2
	s_delay_alu instid0(VALU_DEP_3) | instskip(NEXT) | instid1(VALU_DEP_2)
	v_fma_f32 v2, v26, v24, -v3
	v_add_f32_e32 v1, v1, v160
	s_delay_alu instid0(VALU_DEP_1) | instskip(NEXT) | instid1(VALU_DEP_1)
	v_dual_add_f32 v0, v0, v4 :: v_dual_add_f32 v1, v1, v155
	v_dual_add_f32 v0, v0, v2 :: v_dual_add_f32 v1, v1, v153
	s_delay_alu instid0(VALU_DEP_1)
	v_dual_sub_f32 v0, v157, v0 :: v_dual_sub_f32 v1, v158, v1
	scratch_store_b64 off, v[0:1], off
	s_wait_alu 0xfffe
	s_cbranch_vccz .LBB59_492
; %bb.374:
	global_load_b32 v0, v32, s[2:3] offset:232
	s_wait_loadcnt 0x0
	v_cmp_ne_u32_e32 vcc_lo, 59, v0
	s_cbranch_vccz .LBB59_376
; %bb.375:
	v_lshlrev_b32_e32 v0, 3, v0
	s_delay_alu instid0(VALU_DEP_1)
	v_mov_b32_e32 v4, v0
	scratch_load_b64 v[0:1], v4, off offset:-8
	scratch_load_b64 v[2:3], off, off offset:464
	s_wait_loadcnt 0x1
	scratch_store_b64 off, v[0:1], off offset:464
	s_wait_loadcnt 0x0
	scratch_store_b64 v4, v[2:3], off offset:-8
.LBB59_376:
	v_mov_b32_e32 v0, 0
	global_load_b32 v1, v0, s[2:3] offset:228
	s_wait_loadcnt 0x0
	v_cmp_eq_u32_e32 vcc_lo, 58, v1
	s_cbranch_vccnz .LBB59_378
; %bb.377:
	v_lshlrev_b32_e32 v1, 3, v1
	s_delay_alu instid0(VALU_DEP_1)
	v_mov_b32_e32 v5, v1
	scratch_load_b64 v[1:2], v5, off offset:-8
	scratch_load_b64 v[3:4], off, off offset:456
	s_wait_loadcnt 0x1
	scratch_store_b64 off, v[1:2], off offset:456
	s_wait_loadcnt 0x0
	scratch_store_b64 v5, v[3:4], off offset:-8
.LBB59_378:
	global_load_b32 v0, v0, s[2:3] offset:224
	s_wait_loadcnt 0x0
	v_cmp_eq_u32_e32 vcc_lo, 57, v0
	s_cbranch_vccnz .LBB59_380
; %bb.379:
	v_lshlrev_b32_e32 v0, 3, v0
	s_delay_alu instid0(VALU_DEP_1)
	v_mov_b32_e32 v4, v0
	scratch_load_b64 v[0:1], v4, off offset:-8
	scratch_load_b64 v[2:3], off, off offset:448
	s_wait_loadcnt 0x1
	scratch_store_b64 off, v[0:1], off offset:448
	s_wait_loadcnt 0x0
	scratch_store_b64 v4, v[2:3], off offset:-8
.LBB59_380:
	v_mov_b32_e32 v0, 0
	global_load_b32 v1, v0, s[2:3] offset:220
	s_wait_loadcnt 0x0
	v_cmp_eq_u32_e32 vcc_lo, 56, v1
	s_cbranch_vccnz .LBB59_382
; %bb.381:
	v_lshlrev_b32_e32 v1, 3, v1
	s_delay_alu instid0(VALU_DEP_1)
	v_mov_b32_e32 v5, v1
	scratch_load_b64 v[1:2], v5, off offset:-8
	scratch_load_b64 v[3:4], off, off offset:440
	s_wait_loadcnt 0x1
	scratch_store_b64 off, v[1:2], off offset:440
	s_wait_loadcnt 0x0
	scratch_store_b64 v5, v[3:4], off offset:-8
.LBB59_382:
	global_load_b32 v0, v0, s[2:3] offset:216
	s_wait_loadcnt 0x0
	v_cmp_eq_u32_e32 vcc_lo, 55, v0
	s_cbranch_vccnz .LBB59_384
; %bb.383:
	v_lshlrev_b32_e32 v0, 3, v0
	s_delay_alu instid0(VALU_DEP_1)
	v_mov_b32_e32 v4, v0
	scratch_load_b64 v[0:1], v4, off offset:-8
	scratch_load_b64 v[2:3], off, off offset:432
	s_wait_loadcnt 0x1
	scratch_store_b64 off, v[0:1], off offset:432
	s_wait_loadcnt 0x0
	scratch_store_b64 v4, v[2:3], off offset:-8
.LBB59_384:
	;; [unrolled: 31-line block ×28, first 2 shown]
	v_mov_b32_e32 v0, 0
	global_load_b32 v1, v0, s[2:3] offset:4
	s_wait_loadcnt 0x0
	v_cmp_eq_u32_e32 vcc_lo, 2, v1
	s_cbranch_vccnz .LBB59_490
; %bb.489:
	v_lshlrev_b32_e32 v1, 3, v1
	s_delay_alu instid0(VALU_DEP_1)
	v_mov_b32_e32 v5, v1
	scratch_load_b64 v[1:2], v5, off offset:-8
	scratch_load_b64 v[3:4], off, off offset:8
	s_wait_loadcnt 0x1
	scratch_store_b64 off, v[1:2], off offset:8
	s_wait_loadcnt 0x0
	scratch_store_b64 v5, v[3:4], off offset:-8
.LBB59_490:
	global_load_b32 v0, v0, s[2:3]
	s_wait_loadcnt 0x0
	v_cmp_eq_u32_e32 vcc_lo, 1, v0
	s_cbranch_vccnz .LBB59_492
; %bb.491:
	v_lshlrev_b32_e32 v0, 3, v0
	s_delay_alu instid0(VALU_DEP_1)
	v_mov_b32_e32 v4, v0
	scratch_load_b64 v[0:1], v4, off offset:-8
	scratch_load_b64 v[2:3], off, off
	s_wait_loadcnt 0x1
	scratch_store_b64 off, v[0:1], off
	s_wait_loadcnt 0x0
	scratch_store_b64 v4, v[2:3], off offset:-8
.LBB59_492:
	s_clause 0x1d
	scratch_load_b128 v[0:3], off, off
	scratch_load_b128 v[4:7], off, off offset:16
	scratch_load_b128 v[8:11], off, off offset:32
	;; [unrolled: 1-line block ×29, first 2 shown]
	s_wait_loadcnt 0x1d
	s_clause 0x1
	global_store_b64 v[33:34], v[0:1], off
	global_store_b64 v[35:36], v[2:3], off
	s_wait_loadcnt 0x1c
	s_clause 0x1
	global_store_b64 v[37:38], v[4:5], off
	global_store_b64 v[39:40], v[6:7], off
	;; [unrolled: 4-line block ×30, first 2 shown]
	s_nop 0
	s_sendmsg sendmsg(MSG_DEALLOC_VGPRS)
	s_endpgm
	.section	.rodata,"a",@progbits
	.p2align	6, 0x0
	.amdhsa_kernel _ZN9rocsolver6v33100L18getri_kernel_smallILi60E19rocblas_complex_numIfEPS3_EEvT1_iilPiilS6_bb
		.amdhsa_group_segment_fixed_size 964
		.amdhsa_private_segment_fixed_size 496
		.amdhsa_kernarg_size 60
		.amdhsa_user_sgpr_count 2
		.amdhsa_user_sgpr_dispatch_ptr 0
		.amdhsa_user_sgpr_queue_ptr 0
		.amdhsa_user_sgpr_kernarg_segment_ptr 1
		.amdhsa_user_sgpr_dispatch_id 0
		.amdhsa_user_sgpr_private_segment_size 0
		.amdhsa_wavefront_size32 1
		.amdhsa_uses_dynamic_stack 0
		.amdhsa_enable_private_segment 1
		.amdhsa_system_sgpr_workgroup_id_x 1
		.amdhsa_system_sgpr_workgroup_id_y 0
		.amdhsa_system_sgpr_workgroup_id_z 0
		.amdhsa_system_sgpr_workgroup_info 0
		.amdhsa_system_vgpr_workitem_id 0
		.amdhsa_next_free_vgpr 254
		.amdhsa_next_free_sgpr 19
		.amdhsa_reserve_vcc 1
		.amdhsa_float_round_mode_32 0
		.amdhsa_float_round_mode_16_64 0
		.amdhsa_float_denorm_mode_32 3
		.amdhsa_float_denorm_mode_16_64 3
		.amdhsa_fp16_overflow 0
		.amdhsa_workgroup_processor_mode 1
		.amdhsa_memory_ordered 1
		.amdhsa_forward_progress 1
		.amdhsa_inst_pref_size 255
		.amdhsa_round_robin_scheduling 0
		.amdhsa_exception_fp_ieee_invalid_op 0
		.amdhsa_exception_fp_denorm_src 0
		.amdhsa_exception_fp_ieee_div_zero 0
		.amdhsa_exception_fp_ieee_overflow 0
		.amdhsa_exception_fp_ieee_underflow 0
		.amdhsa_exception_fp_ieee_inexact 0
		.amdhsa_exception_int_div_zero 0
	.end_amdhsa_kernel
	.section	.text._ZN9rocsolver6v33100L18getri_kernel_smallILi60E19rocblas_complex_numIfEPS3_EEvT1_iilPiilS6_bb,"axG",@progbits,_ZN9rocsolver6v33100L18getri_kernel_smallILi60E19rocblas_complex_numIfEPS3_EEvT1_iilPiilS6_bb,comdat
.Lfunc_end59:
	.size	_ZN9rocsolver6v33100L18getri_kernel_smallILi60E19rocblas_complex_numIfEPS3_EEvT1_iilPiilS6_bb, .Lfunc_end59-_ZN9rocsolver6v33100L18getri_kernel_smallILi60E19rocblas_complex_numIfEPS3_EEvT1_iilPiilS6_bb
                                        ; -- End function
	.set _ZN9rocsolver6v33100L18getri_kernel_smallILi60E19rocblas_complex_numIfEPS3_EEvT1_iilPiilS6_bb.num_vgpr, 254
	.set _ZN9rocsolver6v33100L18getri_kernel_smallILi60E19rocblas_complex_numIfEPS3_EEvT1_iilPiilS6_bb.num_agpr, 0
	.set _ZN9rocsolver6v33100L18getri_kernel_smallILi60E19rocblas_complex_numIfEPS3_EEvT1_iilPiilS6_bb.numbered_sgpr, 19
	.set _ZN9rocsolver6v33100L18getri_kernel_smallILi60E19rocblas_complex_numIfEPS3_EEvT1_iilPiilS6_bb.num_named_barrier, 0
	.set _ZN9rocsolver6v33100L18getri_kernel_smallILi60E19rocblas_complex_numIfEPS3_EEvT1_iilPiilS6_bb.private_seg_size, 496
	.set _ZN9rocsolver6v33100L18getri_kernel_smallILi60E19rocblas_complex_numIfEPS3_EEvT1_iilPiilS6_bb.uses_vcc, 1
	.set _ZN9rocsolver6v33100L18getri_kernel_smallILi60E19rocblas_complex_numIfEPS3_EEvT1_iilPiilS6_bb.uses_flat_scratch, 1
	.set _ZN9rocsolver6v33100L18getri_kernel_smallILi60E19rocblas_complex_numIfEPS3_EEvT1_iilPiilS6_bb.has_dyn_sized_stack, 0
	.set _ZN9rocsolver6v33100L18getri_kernel_smallILi60E19rocblas_complex_numIfEPS3_EEvT1_iilPiilS6_bb.has_recursion, 0
	.set _ZN9rocsolver6v33100L18getri_kernel_smallILi60E19rocblas_complex_numIfEPS3_EEvT1_iilPiilS6_bb.has_indirect_call, 0
	.section	.AMDGPU.csdata,"",@progbits
; Kernel info:
; codeLenInByte = 116212
; TotalNumSgprs: 21
; NumVgprs: 254
; ScratchSize: 496
; MemoryBound: 0
; FloatMode: 240
; IeeeMode: 1
; LDSByteSize: 964 bytes/workgroup (compile time only)
; SGPRBlocks: 0
; VGPRBlocks: 31
; NumSGPRsForWavesPerEU: 21
; NumVGPRsForWavesPerEU: 254
; Occupancy: 5
; WaveLimiterHint : 1
; COMPUTE_PGM_RSRC2:SCRATCH_EN: 1
; COMPUTE_PGM_RSRC2:USER_SGPR: 2
; COMPUTE_PGM_RSRC2:TRAP_HANDLER: 0
; COMPUTE_PGM_RSRC2:TGID_X_EN: 1
; COMPUTE_PGM_RSRC2:TGID_Y_EN: 0
; COMPUTE_PGM_RSRC2:TGID_Z_EN: 0
; COMPUTE_PGM_RSRC2:TIDIG_COMP_CNT: 0
	.section	.text._ZN9rocsolver6v33100L18getri_kernel_smallILi61E19rocblas_complex_numIfEPS3_EEvT1_iilPiilS6_bb,"axG",@progbits,_ZN9rocsolver6v33100L18getri_kernel_smallILi61E19rocblas_complex_numIfEPS3_EEvT1_iilPiilS6_bb,comdat
	.globl	_ZN9rocsolver6v33100L18getri_kernel_smallILi61E19rocblas_complex_numIfEPS3_EEvT1_iilPiilS6_bb ; -- Begin function _ZN9rocsolver6v33100L18getri_kernel_smallILi61E19rocblas_complex_numIfEPS3_EEvT1_iilPiilS6_bb
	.p2align	8
	.type	_ZN9rocsolver6v33100L18getri_kernel_smallILi61E19rocblas_complex_numIfEPS3_EEvT1_iilPiilS6_bb,@function
_ZN9rocsolver6v33100L18getri_kernel_smallILi61E19rocblas_complex_numIfEPS3_EEvT1_iilPiilS6_bb: ; @_ZN9rocsolver6v33100L18getri_kernel_smallILi61E19rocblas_complex_numIfEPS3_EEvT1_iilPiilS6_bb
; %bb.0:
	s_mov_b32 s2, exec_lo
	v_cmpx_gt_u32_e32 61, v0
	s_cbranch_execz .LBB60_258
; %bb.1:
	s_clause 0x2
	s_load_b32 s2, s[0:1], 0x38
	s_load_b128 s[12:15], s[0:1], 0x10
	s_load_b128 s[4:7], s[0:1], 0x28
	s_mov_b32 s16, ttmp9
	s_wait_kmcnt 0x0
	s_bitcmp1_b32 s2, 8
	s_cselect_b32 s18, -1, 0
	s_bfe_u32 s2, s2, 0x10008
	s_ashr_i32 s17, ttmp9, 31
	s_cmp_eq_u32 s2, 0
                                        ; implicit-def: $sgpr2_sgpr3
	s_cbranch_scc1 .LBB60_3
; %bb.2:
	s_load_b32 s2, s[0:1], 0x20
	s_mul_u64 s[4:5], s[4:5], s[16:17]
	s_delay_alu instid0(SALU_CYCLE_1) | instskip(NEXT) | instid1(SALU_CYCLE_1)
	s_lshl_b64 s[4:5], s[4:5], 2
	s_add_nc_u64 s[4:5], s[14:15], s[4:5]
	s_wait_kmcnt 0x0
	s_ashr_i32 s3, s2, 31
	s_delay_alu instid0(SALU_CYCLE_1) | instskip(NEXT) | instid1(SALU_CYCLE_1)
	s_lshl_b64 s[2:3], s[2:3], 2
	s_add_nc_u64 s[2:3], s[4:5], s[2:3]
.LBB60_3:
	s_clause 0x1
	s_load_b128 s[8:11], s[0:1], 0x0
	s_load_b32 s4, s[0:1], 0x38
	s_mul_u64 s[0:1], s[12:13], s[16:17]
	v_lshlrev_b32_e32 v21, 3, v0
	s_lshl_b64 s[0:1], s[0:1], 3
	s_wait_kmcnt 0x0
	v_add3_u32 v3, s11, s11, v0
	s_ashr_i32 s13, s10, 31
	s_mov_b32 s12, s10
	s_add_nc_u64 s[0:1], s[8:9], s[0:1]
	s_lshl_b64 s[12:13], s[12:13], 3
	v_add_nc_u32_e32 v5, s11, v3
	v_ashrrev_i32_e32 v4, 31, v3
	s_add_nc_u64 s[0:1], s[0:1], s[12:13]
	s_ashr_i32 s9, s11, 31
	v_add_co_u32 v33, s5, s0, v21
	v_add_nc_u32_e32 v7, s11, v5
	s_mov_b32 s8, s11
	v_lshlrev_b64_e32 v[3:4], 3, v[3:4]
	v_add_co_ci_u32_e64 v34, null, s1, 0, s5
	s_delay_alu instid0(VALU_DEP_3) | instskip(SKIP_3) | instid1(VALU_DEP_1)
	v_add_nc_u32_e32 v9, s11, v7
	s_lshl_b64 s[8:9], s[8:9], 3
	v_ashrrev_i32_e32 v6, 31, v5
	v_add_co_u32 v35, vcc_lo, v33, s8
	v_add_co_ci_u32_e64 v36, null, s9, v34, vcc_lo
	v_add_co_u32 v37, vcc_lo, s0, v3
	v_add_nc_u32_e32 v3, s11, v9
	v_lshlrev_b64_e32 v[5:6], 3, v[5:6]
	v_ashrrev_i32_e32 v8, 31, v7
	v_ashrrev_i32_e32 v10, 31, v9
	s_wait_alu 0xfffd
	v_add_co_ci_u32_e64 v38, null, s1, v4, vcc_lo
	v_add_nc_u32_e32 v11, s11, v3
	v_ashrrev_i32_e32 v4, 31, v3
	v_lshlrev_b64_e32 v[7:8], 3, v[7:8]
	v_add_co_u32 v39, vcc_lo, s0, v5
	s_wait_alu 0xfffd
	v_add_co_ci_u32_e64 v40, null, s1, v6, vcc_lo
	v_lshlrev_b64_e32 v[5:6], 3, v[9:10]
	v_add_nc_u32_e32 v15, s11, v11
	v_lshlrev_b64_e32 v[13:14], 3, v[3:4]
	v_ashrrev_i32_e32 v12, 31, v11
	v_add_co_u32 v41, vcc_lo, s0, v7
	s_delay_alu instid0(VALU_DEP_4)
	v_ashrrev_i32_e32 v16, 31, v15
	v_add_nc_u32_e32 v17, s11, v15
	s_wait_alu 0xfffd
	v_add_co_ci_u32_e64 v42, null, s1, v8, vcc_lo
	v_add_co_u32 v43, vcc_lo, s0, v5
	v_lshlrev_b64_e32 v[11:12], 3, v[11:12]
	s_wait_alu 0xfffd
	v_add_co_ci_u32_e64 v44, null, s1, v6, vcc_lo
	v_add_co_u32 v45, vcc_lo, s0, v13
	s_wait_alu 0xfffd
	v_add_co_ci_u32_e64 v46, null, s1, v14, vcc_lo
	v_lshlrev_b64_e32 v[13:14], 3, v[15:16]
	v_ashrrev_i32_e32 v18, 31, v17
	v_add_nc_u32_e32 v15, s11, v17
	v_add_co_u32 v47, vcc_lo, s0, v11
	s_wait_alu 0xfffd
	v_add_co_ci_u32_e64 v48, null, s1, v12, vcc_lo
	v_lshlrev_b64_e32 v[11:12], 3, v[17:18]
	v_ashrrev_i32_e32 v16, 31, v15
	v_add_nc_u32_e32 v17, s11, v15
	;; [unrolled: 6-line block ×24, first 2 shown]
	v_add_co_u32 v93, vcc_lo, s0, v13
	s_wait_alu 0xfffd
	v_add_co_ci_u32_e64 v94, null, s1, v14, vcc_lo
	v_lshlrev_b64_e32 v[13:14], 3, v[15:16]
	v_add_nc_u32_e32 v15, s11, v17
	v_ashrrev_i32_e32 v18, 31, v17
	v_add_co_u32 v95, vcc_lo, s0, v11
	s_wait_alu 0xfffd
	v_add_co_ci_u32_e64 v96, null, s1, v12, vcc_lo
	v_add_nc_u32_e32 v30, s11, v15
	v_lshlrev_b64_e32 v[11:12], 3, v[17:18]
	v_add_co_u32 v97, vcc_lo, s0, v13
	s_wait_alu 0xfffd
	v_add_co_ci_u32_e64 v98, null, s1, v14, vcc_lo
	v_ashrrev_i32_e32 v31, 31, v30
	s_delay_alu instid0(VALU_DEP_4) | instskip(SKIP_2) | instid1(VALU_DEP_3)
	v_add_co_u32 v99, vcc_lo, s0, v11
	s_wait_alu 0xfffd
	v_add_co_ci_u32_e64 v100, null, s1, v12, vcc_lo
	v_lshlrev_b64_e32 v[11:12], 3, v[30:31]
	v_add_nc_u32_e32 v30, s11, v30
	v_ashrrev_i32_e32 v16, 31, v15
	s_clause 0x4
	global_load_b64 v[1:2], v21, s[0:1]
	global_load_b64 v[3:4], v[35:36], off
	global_load_b64 v[5:6], v[37:38], off
	global_load_b64 v[7:8], v[39:40], off
	global_load_b64 v[9:10], v[41:42], off
	s_bitcmp0_b32 s4, 0
	v_add_nc_u32_e32 v107, s11, v30
	v_ashrrev_i32_e32 v31, 31, v30
	v_lshlrev_b64_e32 v[13:14], 3, v[15:16]
	s_delay_alu instid0(VALU_DEP_3) | instskip(NEXT) | instid1(VALU_DEP_3)
	v_add_nc_u32_e32 v109, s11, v107
	v_lshlrev_b64_e32 v[30:31], 3, v[30:31]
	v_ashrrev_i32_e32 v108, 31, v107
	s_delay_alu instid0(VALU_DEP_4)
	v_add_co_u32 v101, vcc_lo, s0, v13
	s_wait_alu 0xfffd
	v_add_co_ci_u32_e64 v102, null, s1, v14, vcc_lo
	v_add_co_u32 v103, vcc_lo, s0, v11
	v_add_nc_u32_e32 v111, s11, v109
	s_wait_alu 0xfffd
	v_add_co_ci_u32_e64 v104, null, s1, v12, vcc_lo
	v_add_co_u32 v105, vcc_lo, s0, v30
	s_wait_alu 0xfffd
	v_add_co_ci_u32_e64 v106, null, s1, v31, vcc_lo
	v_lshlrev_b64_e32 v[30:31], 3, v[107:108]
	v_ashrrev_i32_e32 v110, 31, v109
	v_add_nc_u32_e32 v113, s11, v111
	v_ashrrev_i32_e32 v112, 31, v111
	s_clause 0x13
	global_load_b64 v[11:12], v[43:44], off
	global_load_b64 v[13:14], v[45:46], off
	;; [unrolled: 1-line block ×20, first 2 shown]
	v_lshlrev_b64_e32 v[109:110], 3, v[109:110]
	v_add_co_u32 v107, vcc_lo, s0, v30
	v_ashrrev_i32_e32 v114, 31, v113
	s_wait_alu 0xfffd
	v_add_co_ci_u32_e64 v108, null, s1, v31, vcc_lo
	v_lshlrev_b64_e32 v[30:31], 3, v[111:112]
	v_add_nc_u32_e32 v116, s11, v113
	v_lshlrev_b64_e32 v[114:115], 3, v[113:114]
	v_add_co_u32 v109, vcc_lo, s0, v109
	s_wait_alu 0xfffd
	v_add_co_ci_u32_e64 v110, null, s1, v110, vcc_lo
	v_add_co_u32 v111, vcc_lo, s0, v30
	v_ashrrev_i32_e32 v117, 31, v116
	v_add_nc_u32_e32 v30, s11, v116
	s_wait_alu 0xfffd
	v_add_co_ci_u32_e64 v112, null, s1, v31, vcc_lo
	v_add_co_u32 v113, vcc_lo, s0, v114
	s_wait_alu 0xfffd
	v_add_co_ci_u32_e64 v114, null, s1, v115, vcc_lo
	v_lshlrev_b64_e32 v[115:116], 3, v[116:117]
	v_add_nc_u32_e32 v117, s11, v30
	v_ashrrev_i32_e32 v31, 31, v30
	s_clause 0xb
	global_load_b64 v[177:178], v[83:84], off
	global_load_b64 v[179:180], v[85:86], off
	global_load_b64 v[181:182], v[87:88], off
	global_load_b64 v[183:184], v[89:90], off
	global_load_b64 v[185:186], v[91:92], off
	global_load_b64 v[187:188], v[93:94], off
	global_load_b64 v[189:190], v[95:96], off
	global_load_b64 v[191:192], v[97:98], off
	global_load_b64 v[193:194], v[99:100], off
	global_load_b64 v[195:196], v[101:102], off
	global_load_b64 v[197:198], v[103:104], off
	global_load_b64 v[199:200], v[105:106], off
	v_add_nc_u32_e32 v119, s11, v117
	v_lshlrev_b64_e32 v[30:31], 3, v[30:31]
	v_ashrrev_i32_e32 v118, 31, v117
	v_add_co_u32 v115, vcc_lo, s0, v115
	s_delay_alu instid0(VALU_DEP_4)
	v_add_nc_u32_e32 v123, s11, v119
	v_ashrrev_i32_e32 v120, 31, v119
	s_wait_alu 0xfffd
	v_add_co_ci_u32_e64 v116, null, s1, v116, vcc_lo
	v_lshlrev_b64_e32 v[121:122], 3, v[117:118]
	v_add_co_u32 v117, vcc_lo, s0, v30
	v_add_nc_u32_e32 v125, s11, v123
	s_wait_alu 0xfffd
	v_add_co_ci_u32_e64 v118, null, s1, v31, vcc_lo
	v_lshlrev_b64_e32 v[30:31], 3, v[119:120]
	v_ashrrev_i32_e32 v124, 31, v123
	v_add_co_u32 v119, vcc_lo, s0, v121
	v_add_nc_u32_e32 v127, s11, v125
	s_wait_alu 0xfffd
	v_add_co_ci_u32_e64 v120, null, s1, v122, vcc_lo
	v_add_co_u32 v121, vcc_lo, s0, v30
	s_wait_alu 0xfffd
	v_add_co_ci_u32_e64 v122, null, s1, v31, vcc_lo
	v_lshlrev_b64_e32 v[30:31], 3, v[123:124]
	v_ashrrev_i32_e32 v126, 31, v125
	v_add_nc_u32_e32 v129, s11, v127
	v_ashrrev_i32_e32 v128, 31, v127
	s_clause 0x7
	global_load_b64 v[201:202], v[107:108], off
	global_load_b64 v[203:204], v[109:110], off
	;; [unrolled: 1-line block ×8, first 2 shown]
	v_lshlrev_b64_e32 v[125:126], 3, v[125:126]
	v_add_co_u32 v123, vcc_lo, s0, v30
	v_ashrrev_i32_e32 v130, 31, v129
	s_wait_alu 0xfffd
	v_add_co_ci_u32_e64 v124, null, s1, v31, vcc_lo
	v_lshlrev_b64_e32 v[30:31], 3, v[127:128]
	v_add_nc_u32_e32 v132, s11, v129
	v_lshlrev_b64_e32 v[130:131], 3, v[129:130]
	v_add_co_u32 v125, vcc_lo, s0, v125
	s_wait_alu 0xfffd
	v_add_co_ci_u32_e64 v126, null, s1, v126, vcc_lo
	v_add_co_u32 v127, vcc_lo, s0, v30
	v_ashrrev_i32_e32 v133, 31, v132
	v_add_nc_u32_e32 v30, s11, v132
	s_wait_alu 0xfffd
	v_add_co_ci_u32_e64 v128, null, s1, v31, vcc_lo
	v_add_co_u32 v129, vcc_lo, s0, v130
	s_wait_alu 0xfffd
	v_add_co_ci_u32_e64 v130, null, s1, v131, vcc_lo
	v_lshlrev_b64_e32 v[131:132], 3, v[132:133]
	v_add_nc_u32_e32 v133, s11, v30
	v_ashrrev_i32_e32 v31, 31, v30
	s_clause 0x3
	global_load_b64 v[217:218], v[123:124], off
	global_load_b64 v[219:220], v[125:126], off
	;; [unrolled: 1-line block ×4, first 2 shown]
	v_add_nc_u32_e32 v135, s11, v133
	v_lshlrev_b64_e32 v[30:31], 3, v[30:31]
	v_ashrrev_i32_e32 v134, 31, v133
	v_add_co_u32 v131, vcc_lo, s0, v131
	s_delay_alu instid0(VALU_DEP_4)
	v_add_nc_u32_e32 v139, s11, v135
	v_ashrrev_i32_e32 v136, 31, v135
	s_wait_alu 0xfffd
	v_add_co_ci_u32_e64 v132, null, s1, v132, vcc_lo
	v_lshlrev_b64_e32 v[137:138], 3, v[133:134]
	v_add_co_u32 v133, vcc_lo, s0, v30
	v_add_nc_u32_e32 v141, s11, v139
	s_wait_alu 0xfffd
	v_add_co_ci_u32_e64 v134, null, s1, v31, vcc_lo
	v_lshlrev_b64_e32 v[30:31], 3, v[135:136]
	v_ashrrev_i32_e32 v140, 31, v139
	v_add_co_u32 v135, vcc_lo, s0, v137
	v_add_nc_u32_e32 v143, s11, v141
	s_wait_alu 0xfffd
	v_add_co_ci_u32_e64 v136, null, s1, v138, vcc_lo
	v_add_co_u32 v137, vcc_lo, s0, v30
	s_wait_alu 0xfffd
	v_add_co_ci_u32_e64 v138, null, s1, v31, vcc_lo
	v_lshlrev_b64_e32 v[30:31], 3, v[139:140]
	v_ashrrev_i32_e32 v142, 31, v141
	v_add_nc_u32_e32 v145, s11, v143
	v_ashrrev_i32_e32 v144, 31, v143
	s_clause 0x3
	global_load_b64 v[225:226], v[131:132], off
	global_load_b64 v[227:228], v[133:134], off
	;; [unrolled: 1-line block ×4, first 2 shown]
	v_lshlrev_b64_e32 v[141:142], 3, v[141:142]
	v_add_co_u32 v139, vcc_lo, s0, v30
	v_ashrrev_i32_e32 v146, 31, v145
	s_wait_alu 0xfffd
	v_add_co_ci_u32_e64 v140, null, s1, v31, vcc_lo
	v_lshlrev_b64_e32 v[30:31], 3, v[143:144]
	v_add_nc_u32_e32 v148, s11, v145
	v_lshlrev_b64_e32 v[146:147], 3, v[145:146]
	v_add_co_u32 v141, vcc_lo, s0, v141
	s_wait_alu 0xfffd
	v_add_co_ci_u32_e64 v142, null, s1, v142, vcc_lo
	v_add_co_u32 v143, vcc_lo, s0, v30
	v_ashrrev_i32_e32 v149, 31, v148
	v_add_nc_u32_e32 v30, s11, v148
	s_wait_alu 0xfffd
	v_add_co_ci_u32_e64 v144, null, s1, v31, vcc_lo
	v_add_co_u32 v145, vcc_lo, s0, v146
	s_wait_alu 0xfffd
	v_add_co_ci_u32_e64 v146, null, s1, v147, vcc_lo
	v_lshlrev_b64_e32 v[147:148], 3, v[148:149]
	v_add_nc_u32_e32 v149, s11, v30
	v_ashrrev_i32_e32 v31, 31, v30
	s_clause 0x3
	global_load_b64 v[233:234], v[139:140], off
	global_load_b64 v[235:236], v[141:142], off
	;; [unrolled: 1-line block ×4, first 2 shown]
	v_add_nc_u32_e32 v151, s11, v149
	v_lshlrev_b64_e32 v[30:31], 3, v[30:31]
	v_ashrrev_i32_e32 v150, 31, v149
	v_add_co_u32 v147, vcc_lo, s0, v147
	s_delay_alu instid0(VALU_DEP_4)
	v_ashrrev_i32_e32 v152, 31, v151
	s_wait_alu 0xfffd
	v_add_co_ci_u32_e64 v148, null, s1, v148, vcc_lo
	v_lshlrev_b64_e32 v[153:154], 3, v[149:150]
	v_add_co_u32 v149, vcc_lo, s0, v30
	s_wait_alu 0xfffd
	v_add_co_ci_u32_e64 v150, null, s1, v31, vcc_lo
	v_lshlrev_b64_e32 v[30:31], 3, v[151:152]
	s_delay_alu instid0(VALU_DEP_4) | instskip(SKIP_2) | instid1(VALU_DEP_3)
	v_add_co_u32 v151, vcc_lo, s0, v153
	s_wait_alu 0xfffd
	v_add_co_ci_u32_e64 v152, null, s1, v154, vcc_lo
	v_add_co_u32 v153, vcc_lo, s0, v30
	s_wait_alu 0xfffd
	v_add_co_ci_u32_e64 v154, null, s1, v31, vcc_lo
	s_clause 0x3
	global_load_b64 v[241:242], v[147:148], off
	global_load_b64 v[243:244], v[149:150], off
	;; [unrolled: 1-line block ×4, first 2 shown]
	s_mov_b32 s1, -1
	s_wait_loadcnt 0x3b
	scratch_store_b128 off, v[1:4], off
	s_wait_loadcnt 0x39
	scratch_store_b128 off, v[5:8], off offset:16
	s_wait_loadcnt 0x37
	scratch_store_b128 off, v[9:12], off offset:32
	;; [unrolled: 2-line block ×29, first 2 shown]
	s_wait_loadcnt 0x0
	scratch_store_b64 off, v[30:31], off offset:480
	s_cbranch_scc1 .LBB60_256
; %bb.4:
	v_cmp_eq_u32_e64 s0, 0, v0
	s_and_saveexec_b32 s1, s0
; %bb.5:
	v_mov_b32_e32 v1, 0
	ds_store_b32 v1, v1 offset:488
; %bb.6:
	s_wait_alu 0xfffe
	s_or_b32 exec_lo, exec_lo, s1
	s_wait_storecnt_dscnt 0x0
	s_barrier_signal -1
	s_barrier_wait -1
	global_inv scope:SCOPE_SE
	scratch_load_b64 v[1:2], v21, off
	s_wait_loadcnt 0x0
	v_cmp_eq_f32_e32 vcc_lo, 0, v1
	v_cmp_eq_f32_e64 s1, 0, v2
	s_and_b32 s1, vcc_lo, s1
	s_wait_alu 0xfffe
	s_and_saveexec_b32 s4, s1
	s_cbranch_execz .LBB60_10
; %bb.7:
	v_mov_b32_e32 v1, 0
	s_mov_b32 s5, 0
	ds_load_b32 v2, v1 offset:488
	s_wait_dscnt 0x0
	v_readfirstlane_b32 s1, v2
	v_add_nc_u32_e32 v2, 1, v0
	s_cmp_eq_u32 s1, 0
	s_delay_alu instid0(VALU_DEP_1)
	v_cmp_gt_i32_e32 vcc_lo, s1, v2
	s_cselect_b32 s8, -1, 0
	s_wait_alu 0xfffe
	s_or_b32 s8, s8, vcc_lo
	s_wait_alu 0xfffe
	s_and_b32 exec_lo, exec_lo, s8
	s_cbranch_execz .LBB60_10
; %bb.8:
	v_mov_b32_e32 v3, s1
.LBB60_9:                               ; =>This Inner Loop Header: Depth=1
	ds_cmpstore_rtn_b32 v3, v1, v2, v3 offset:488
	s_wait_dscnt 0x0
	v_cmp_ne_u32_e32 vcc_lo, 0, v3
	v_cmp_le_i32_e64 s1, v3, v2
	s_and_b32 s1, vcc_lo, s1
	s_wait_alu 0xfffe
	s_and_b32 s1, exec_lo, s1
	s_wait_alu 0xfffe
	s_or_b32 s5, s1, s5
	s_wait_alu 0xfffe
	s_and_not1_b32 exec_lo, exec_lo, s5
	s_cbranch_execnz .LBB60_9
.LBB60_10:
	s_wait_alu 0xfffe
	s_or_b32 exec_lo, exec_lo, s4
	v_mov_b32_e32 v1, 0
	s_barrier_signal -1
	s_barrier_wait -1
	global_inv scope:SCOPE_SE
	ds_load_b32 v2, v1 offset:488
	s_and_saveexec_b32 s1, s0
	s_cbranch_execz .LBB60_12
; %bb.11:
	s_lshl_b64 s[4:5], s[16:17], 2
	s_wait_alu 0xfffe
	s_add_nc_u64 s[4:5], s[6:7], s[4:5]
	s_wait_dscnt 0x0
	global_store_b32 v1, v2, s[4:5]
.LBB60_12:
	s_wait_alu 0xfffe
	s_or_b32 exec_lo, exec_lo, s1
	s_wait_dscnt 0x0
	v_cmp_ne_u32_e32 vcc_lo, 0, v2
	s_mov_b32 s1, 0
	s_cbranch_vccnz .LBB60_256
; %bb.13:
	v_mov_b32_e32 v7, v21
                                        ; implicit-def: $vgpr3
                                        ; implicit-def: $vgpr5
	scratch_load_b64 v[1:2], v7, off
	s_wait_loadcnt 0x0
	v_cmp_ngt_f32_e64 s1, |v1|, |v2|
	s_wait_alu 0xfffe
	s_and_saveexec_b32 s4, s1
	s_wait_alu 0xfffe
	s_xor_b32 s1, exec_lo, s4
	s_cbranch_execz .LBB60_15
; %bb.14:
	v_div_scale_f32 v3, null, v2, v2, v1
	v_div_scale_f32 v6, vcc_lo, v1, v2, v1
	s_delay_alu instid0(VALU_DEP_2) | instskip(NEXT) | instid1(TRANS32_DEP_1)
	v_rcp_f32_e32 v4, v3
	v_fma_f32 v5, -v3, v4, 1.0
	s_delay_alu instid0(VALU_DEP_1) | instskip(NEXT) | instid1(VALU_DEP_1)
	v_fmac_f32_e32 v4, v5, v4
	v_mul_f32_e32 v5, v6, v4
	s_delay_alu instid0(VALU_DEP_1) | instskip(NEXT) | instid1(VALU_DEP_1)
	v_fma_f32 v8, -v3, v5, v6
	v_fmac_f32_e32 v5, v8, v4
	s_delay_alu instid0(VALU_DEP_1) | instskip(SKIP_1) | instid1(VALU_DEP_1)
	v_fma_f32 v3, -v3, v5, v6
	s_wait_alu 0xfffd
	v_div_fmas_f32 v3, v3, v4, v5
	s_delay_alu instid0(VALU_DEP_1) | instskip(NEXT) | instid1(VALU_DEP_1)
	v_div_fixup_f32 v3, v3, v2, v1
	v_fmac_f32_e32 v2, v1, v3
	s_delay_alu instid0(VALU_DEP_1) | instskip(NEXT) | instid1(VALU_DEP_1)
	v_div_scale_f32 v1, null, v2, v2, 1.0
	v_rcp_f32_e32 v4, v1
	s_delay_alu instid0(TRANS32_DEP_1) | instskip(NEXT) | instid1(VALU_DEP_1)
	v_fma_f32 v5, -v1, v4, 1.0
	v_fmac_f32_e32 v4, v5, v4
	v_div_scale_f32 v5, vcc_lo, 1.0, v2, 1.0
	s_delay_alu instid0(VALU_DEP_1) | instskip(NEXT) | instid1(VALU_DEP_1)
	v_mul_f32_e32 v6, v5, v4
	v_fma_f32 v8, -v1, v6, v5
	s_delay_alu instid0(VALU_DEP_1) | instskip(NEXT) | instid1(VALU_DEP_1)
	v_fmac_f32_e32 v6, v8, v4
	v_fma_f32 v1, -v1, v6, v5
	s_wait_alu 0xfffd
	s_delay_alu instid0(VALU_DEP_1) | instskip(NEXT) | instid1(VALU_DEP_1)
	v_div_fmas_f32 v1, v1, v4, v6
	v_div_fixup_f32 v1, v1, v2, 1.0
	s_delay_alu instid0(VALU_DEP_1) | instskip(SKIP_1) | instid1(VALU_DEP_2)
	v_mul_f32_e32 v3, v3, v1
	v_xor_b32_e32 v4, 0x80000000, v1
                                        ; implicit-def: $vgpr1_vgpr2
	v_xor_b32_e32 v5, 0x80000000, v3
.LBB60_15:
	s_wait_alu 0xfffe
	s_and_not1_saveexec_b32 s1, s1
	s_cbranch_execz .LBB60_17
; %bb.16:
	v_div_scale_f32 v3, null, v1, v1, v2
	v_div_scale_f32 v6, vcc_lo, v2, v1, v2
	s_delay_alu instid0(VALU_DEP_2) | instskip(NEXT) | instid1(TRANS32_DEP_1)
	v_rcp_f32_e32 v4, v3
	v_fma_f32 v5, -v3, v4, 1.0
	s_delay_alu instid0(VALU_DEP_1) | instskip(NEXT) | instid1(VALU_DEP_1)
	v_fmac_f32_e32 v4, v5, v4
	v_mul_f32_e32 v5, v6, v4
	s_delay_alu instid0(VALU_DEP_1) | instskip(NEXT) | instid1(VALU_DEP_1)
	v_fma_f32 v8, -v3, v5, v6
	v_fmac_f32_e32 v5, v8, v4
	s_delay_alu instid0(VALU_DEP_1) | instskip(SKIP_1) | instid1(VALU_DEP_1)
	v_fma_f32 v3, -v3, v5, v6
	s_wait_alu 0xfffd
	v_div_fmas_f32 v3, v3, v4, v5
	s_delay_alu instid0(VALU_DEP_1) | instskip(NEXT) | instid1(VALU_DEP_1)
	v_div_fixup_f32 v4, v3, v1, v2
	v_fmac_f32_e32 v1, v2, v4
	s_delay_alu instid0(VALU_DEP_1) | instskip(SKIP_1) | instid1(VALU_DEP_2)
	v_div_scale_f32 v2, null, v1, v1, 1.0
	v_div_scale_f32 v6, vcc_lo, 1.0, v1, 1.0
	v_rcp_f32_e32 v3, v2
	s_delay_alu instid0(TRANS32_DEP_1) | instskip(NEXT) | instid1(VALU_DEP_1)
	v_fma_f32 v5, -v2, v3, 1.0
	v_fmac_f32_e32 v3, v5, v3
	s_delay_alu instid0(VALU_DEP_1) | instskip(NEXT) | instid1(VALU_DEP_1)
	v_mul_f32_e32 v5, v6, v3
	v_fma_f32 v8, -v2, v5, v6
	s_delay_alu instid0(VALU_DEP_1) | instskip(NEXT) | instid1(VALU_DEP_1)
	v_fmac_f32_e32 v5, v8, v3
	v_fma_f32 v2, -v2, v5, v6
	s_wait_alu 0xfffd
	s_delay_alu instid0(VALU_DEP_1) | instskip(NEXT) | instid1(VALU_DEP_1)
	v_div_fmas_f32 v2, v2, v3, v5
	v_div_fixup_f32 v3, v2, v1, 1.0
	s_delay_alu instid0(VALU_DEP_1)
	v_xor_b32_e32 v5, 0x80000000, v3
	v_mul_f32_e64 v4, v4, -v3
.LBB60_17:
	s_wait_alu 0xfffe
	s_or_b32 exec_lo, exec_lo, s1
	scratch_store_b64 v7, v[3:4], off
	scratch_load_b64 v[2:3], off, off offset:8
	v_xor_b32_e32 v6, 0x80000000, v4
	v_add_nc_u32_e32 v1, 0x1f0, v21
	s_wait_loadcnt 0x0
	ds_store_2addr_b64 v21, v[5:6], v[2:3] offset1:62
	s_wait_storecnt_dscnt 0x0
	s_barrier_signal -1
	s_barrier_wait -1
	global_inv scope:SCOPE_SE
	s_and_saveexec_b32 s1, s0
	s_cbranch_execz .LBB60_19
; %bb.18:
	scratch_load_b64 v[2:3], v7, off
	ds_load_b64 v[4:5], v1
	v_mov_b32_e32 v6, 0
	ds_load_b64 v[8:9], v6 offset:8
	s_wait_loadcnt_dscnt 0x1
	v_mul_f32_e32 v6, v4, v3
	v_mul_f32_e32 v3, v5, v3
	s_delay_alu instid0(VALU_DEP_2) | instskip(NEXT) | instid1(VALU_DEP_2)
	v_fmac_f32_e32 v6, v5, v2
	v_fma_f32 v2, v4, v2, -v3
	s_delay_alu instid0(VALU_DEP_2) | instskip(SKIP_1) | instid1(VALU_DEP_1)
	v_add_f32_e32 v4, 0, v6
	s_wait_dscnt 0x0
	v_dual_add_f32 v2, 0, v2 :: v_dual_mul_f32 v5, v4, v9
	s_delay_alu instid0(VALU_DEP_1) | instskip(NEXT) | instid1(VALU_DEP_1)
	v_mul_f32_e32 v3, v2, v9
	v_fmac_f32_e32 v3, v4, v8
	s_delay_alu instid0(VALU_DEP_3)
	v_fma_f32 v2, v2, v8, -v5
	scratch_store_b64 off, v[2:3], off offset:8
.LBB60_19:
	s_wait_alu 0xfffe
	s_or_b32 exec_lo, exec_lo, s1
	s_wait_loadcnt 0x0
	s_wait_storecnt 0x0
	s_barrier_signal -1
	s_barrier_wait -1
	global_inv scope:SCOPE_SE
	scratch_load_b64 v[2:3], off, off offset:16
	s_mov_b32 s1, exec_lo
	s_wait_loadcnt 0x0
	ds_store_b64 v1, v[2:3]
	s_wait_dscnt 0x0
	s_barrier_signal -1
	s_barrier_wait -1
	global_inv scope:SCOPE_SE
	v_cmpx_gt_u32_e32 2, v0
	s_cbranch_execz .LBB60_23
; %bb.20:
	scratch_load_b64 v[2:3], v7, off
	ds_load_b64 v[4:5], v1
	s_wait_loadcnt_dscnt 0x0
	v_mul_f32_e32 v6, v5, v3
	v_mul_f32_e32 v8, v4, v3
	s_delay_alu instid0(VALU_DEP_2) | instskip(NEXT) | instid1(VALU_DEP_1)
	v_fma_f32 v3, v4, v2, -v6
	v_dual_fmac_f32 v8, v5, v2 :: v_dual_add_f32 v3, 0, v3
	s_delay_alu instid0(VALU_DEP_1)
	v_add_f32_e32 v2, 0, v8
	s_and_saveexec_b32 s4, s0
	s_cbranch_execz .LBB60_22
; %bb.21:
	scratch_load_b64 v[4:5], off, off offset:8
	v_mov_b32_e32 v6, 0
	ds_load_b64 v[8:9], v6 offset:504
	s_wait_loadcnt_dscnt 0x0
	v_mul_f32_e32 v6, v8, v5
	v_mul_f32_e32 v5, v9, v5
	s_delay_alu instid0(VALU_DEP_2) | instskip(NEXT) | instid1(VALU_DEP_2)
	v_fmac_f32_e32 v6, v9, v4
	v_fma_f32 v4, v8, v4, -v5
	s_delay_alu instid0(VALU_DEP_1)
	v_dual_add_f32 v2, v2, v6 :: v_dual_add_f32 v3, v3, v4
.LBB60_22:
	s_wait_alu 0xfffe
	s_or_b32 exec_lo, exec_lo, s4
	v_mov_b32_e32 v4, 0
	ds_load_b64 v[4:5], v4 offset:16
	s_wait_dscnt 0x0
	v_mul_f32_e32 v8, v2, v5
	v_mul_f32_e32 v6, v3, v5
	s_delay_alu instid0(VALU_DEP_2) | instskip(NEXT) | instid1(VALU_DEP_2)
	v_fma_f32 v5, v3, v4, -v8
	v_fmac_f32_e32 v6, v2, v4
	scratch_store_b64 off, v[5:6], off offset:16
.LBB60_23:
	s_wait_alu 0xfffe
	s_or_b32 exec_lo, exec_lo, s1
	s_wait_loadcnt 0x0
	s_wait_storecnt 0x0
	s_barrier_signal -1
	s_barrier_wait -1
	global_inv scope:SCOPE_SE
	scratch_load_b64 v[3:4], off, off offset:24
	v_add_nc_u32_e32 v2, -1, v0
	s_mov_b32 s0, exec_lo
	s_wait_loadcnt 0x0
	ds_store_b64 v1, v[3:4]
	s_wait_dscnt 0x0
	s_barrier_signal -1
	s_barrier_wait -1
	global_inv scope:SCOPE_SE
	v_cmpx_gt_u32_e32 3, v0
	s_cbranch_execz .LBB60_27
; %bb.24:
	v_dual_mov_b32 v3, 0 :: v_dual_add_nc_u32 v4, -1, v0
	v_dual_mov_b32 v6, v21 :: v_dual_add_nc_u32 v5, 0x1f0, v21
	v_mov_b32_e32 v8, 0
	s_mov_b32 s1, 0
.LBB60_25:                              ; =>This Inner Loop Header: Depth=1
	scratch_load_b64 v[9:10], v6, off
	ds_load_b64 v[11:12], v5
	v_add_nc_u32_e32 v6, 8, v6
	v_add_nc_u32_e32 v4, 1, v4
	v_add_nc_u32_e32 v5, 8, v5
	s_delay_alu instid0(VALU_DEP_2)
	v_cmp_lt_u32_e32 vcc_lo, 1, v4
	s_wait_alu 0xfffe
	s_or_b32 s1, vcc_lo, s1
	s_wait_loadcnt_dscnt 0x0
	v_mul_f32_e32 v13, v12, v10
	v_mul_f32_e32 v10, v11, v10
	s_delay_alu instid0(VALU_DEP_2) | instskip(NEXT) | instid1(VALU_DEP_2)
	v_fma_f32 v11, v11, v9, -v13
	v_fmac_f32_e32 v10, v12, v9
	s_delay_alu instid0(VALU_DEP_1)
	v_dual_add_f32 v8, v8, v11 :: v_dual_add_f32 v3, v3, v10
	s_wait_alu 0xfffe
	s_and_not1_b32 exec_lo, exec_lo, s1
	s_cbranch_execnz .LBB60_25
; %bb.26:
	s_or_b32 exec_lo, exec_lo, s1
	v_mov_b32_e32 v4, 0
	ds_load_b64 v[4:5], v4 offset:24
	s_wait_dscnt 0x0
	v_mul_f32_e32 v9, v3, v5
	v_mul_f32_e32 v6, v8, v5
	s_delay_alu instid0(VALU_DEP_2) | instskip(NEXT) | instid1(VALU_DEP_2)
	v_fma_f32 v5, v8, v4, -v9
	v_fmac_f32_e32 v6, v3, v4
	scratch_store_b64 off, v[5:6], off offset:24
.LBB60_27:
	s_wait_alu 0xfffe
	s_or_b32 exec_lo, exec_lo, s0
	s_wait_loadcnt 0x0
	s_wait_storecnt 0x0
	s_barrier_signal -1
	s_barrier_wait -1
	global_inv scope:SCOPE_SE
	scratch_load_b64 v[3:4], off, off offset:32
	s_mov_b32 s0, exec_lo
	s_wait_loadcnt 0x0
	ds_store_b64 v1, v[3:4]
	s_wait_dscnt 0x0
	s_barrier_signal -1
	s_barrier_wait -1
	global_inv scope:SCOPE_SE
	v_cmpx_gt_u32_e32 4, v0
	s_cbranch_execz .LBB60_31
; %bb.28:
	v_dual_mov_b32 v3, 0 :: v_dual_add_nc_u32 v4, -1, v0
	v_dual_mov_b32 v6, v21 :: v_dual_add_nc_u32 v5, 0x1f0, v21
	v_mov_b32_e32 v8, 0
	s_mov_b32 s1, 0
.LBB60_29:                              ; =>This Inner Loop Header: Depth=1
	scratch_load_b64 v[9:10], v6, off
	ds_load_b64 v[11:12], v5
	v_add_nc_u32_e32 v6, 8, v6
	v_add_nc_u32_e32 v4, 1, v4
	v_add_nc_u32_e32 v5, 8, v5
	s_delay_alu instid0(VALU_DEP_2)
	v_cmp_lt_u32_e32 vcc_lo, 2, v4
	s_wait_alu 0xfffe
	s_or_b32 s1, vcc_lo, s1
	s_wait_loadcnt_dscnt 0x0
	v_mul_f32_e32 v13, v12, v10
	v_mul_f32_e32 v10, v11, v10
	s_delay_alu instid0(VALU_DEP_2) | instskip(NEXT) | instid1(VALU_DEP_2)
	v_fma_f32 v11, v11, v9, -v13
	v_fmac_f32_e32 v10, v12, v9
	s_delay_alu instid0(VALU_DEP_1)
	v_dual_add_f32 v8, v8, v11 :: v_dual_add_f32 v3, v3, v10
	s_wait_alu 0xfffe
	s_and_not1_b32 exec_lo, exec_lo, s1
	s_cbranch_execnz .LBB60_29
; %bb.30:
	s_or_b32 exec_lo, exec_lo, s1
	v_mov_b32_e32 v4, 0
	ds_load_b64 v[4:5], v4 offset:32
	s_wait_dscnt 0x0
	v_mul_f32_e32 v9, v3, v5
	v_mul_f32_e32 v6, v8, v5
	s_delay_alu instid0(VALU_DEP_2) | instskip(NEXT) | instid1(VALU_DEP_2)
	v_fma_f32 v5, v8, v4, -v9
	v_fmac_f32_e32 v6, v3, v4
	scratch_store_b64 off, v[5:6], off offset:32
.LBB60_31:
	s_wait_alu 0xfffe
	s_or_b32 exec_lo, exec_lo, s0
	s_wait_loadcnt 0x0
	s_wait_storecnt 0x0
	s_barrier_signal -1
	s_barrier_wait -1
	global_inv scope:SCOPE_SE
	scratch_load_b64 v[3:4], off, off offset:40
	;; [unrolled: 55-line block ×19, first 2 shown]
	s_mov_b32 s0, exec_lo
	s_wait_loadcnt 0x0
	ds_store_b64 v1, v[3:4]
	s_wait_dscnt 0x0
	s_barrier_signal -1
	s_barrier_wait -1
	global_inv scope:SCOPE_SE
	v_cmpx_gt_u32_e32 22, v0
	s_cbranch_execz .LBB60_103
; %bb.100:
	v_dual_mov_b32 v3, 0 :: v_dual_add_nc_u32 v4, -1, v0
	v_dual_mov_b32 v6, v21 :: v_dual_add_nc_u32 v5, 0x1f0, v21
	v_mov_b32_e32 v8, 0
	s_mov_b32 s1, 0
.LBB60_101:                             ; =>This Inner Loop Header: Depth=1
	scratch_load_b64 v[9:10], v6, off
	ds_load_b64 v[11:12], v5
	v_add_nc_u32_e32 v6, 8, v6
	v_add_nc_u32_e32 v4, 1, v4
	v_add_nc_u32_e32 v5, 8, v5
	s_delay_alu instid0(VALU_DEP_2)
	v_cmp_lt_u32_e32 vcc_lo, 20, v4
	s_wait_alu 0xfffe
	s_or_b32 s1, vcc_lo, s1
	s_wait_loadcnt_dscnt 0x0
	v_mul_f32_e32 v13, v12, v10
	v_mul_f32_e32 v10, v11, v10
	s_delay_alu instid0(VALU_DEP_2) | instskip(NEXT) | instid1(VALU_DEP_2)
	v_fma_f32 v11, v11, v9, -v13
	v_fmac_f32_e32 v10, v12, v9
	s_delay_alu instid0(VALU_DEP_1)
	v_dual_add_f32 v8, v8, v11 :: v_dual_add_f32 v3, v3, v10
	s_wait_alu 0xfffe
	s_and_not1_b32 exec_lo, exec_lo, s1
	s_cbranch_execnz .LBB60_101
; %bb.102:
	s_or_b32 exec_lo, exec_lo, s1
	v_mov_b32_e32 v4, 0
	ds_load_b64 v[4:5], v4 offset:176
	s_wait_dscnt 0x0
	v_mul_f32_e32 v9, v3, v5
	v_mul_f32_e32 v6, v8, v5
	s_delay_alu instid0(VALU_DEP_2) | instskip(NEXT) | instid1(VALU_DEP_2)
	v_fma_f32 v5, v8, v4, -v9
	v_fmac_f32_e32 v6, v3, v4
	scratch_store_b64 off, v[5:6], off offset:176
.LBB60_103:
	s_wait_alu 0xfffe
	s_or_b32 exec_lo, exec_lo, s0
	s_wait_loadcnt 0x0
	s_wait_storecnt 0x0
	s_barrier_signal -1
	s_barrier_wait -1
	global_inv scope:SCOPE_SE
	scratch_load_b64 v[3:4], off, off offset:184
	s_mov_b32 s0, exec_lo
	s_wait_loadcnt 0x0
	ds_store_b64 v1, v[3:4]
	s_wait_dscnt 0x0
	s_barrier_signal -1
	s_barrier_wait -1
	global_inv scope:SCOPE_SE
	v_cmpx_gt_u32_e32 23, v0
	s_cbranch_execz .LBB60_107
; %bb.104:
	v_dual_mov_b32 v3, 0 :: v_dual_add_nc_u32 v4, -1, v0
	v_dual_mov_b32 v6, v21 :: v_dual_add_nc_u32 v5, 0x1f0, v21
	v_mov_b32_e32 v8, 0
	s_mov_b32 s1, 0
.LBB60_105:                             ; =>This Inner Loop Header: Depth=1
	scratch_load_b64 v[9:10], v6, off
	ds_load_b64 v[11:12], v5
	v_add_nc_u32_e32 v6, 8, v6
	v_add_nc_u32_e32 v4, 1, v4
	v_add_nc_u32_e32 v5, 8, v5
	s_delay_alu instid0(VALU_DEP_2)
	v_cmp_lt_u32_e32 vcc_lo, 21, v4
	s_wait_alu 0xfffe
	s_or_b32 s1, vcc_lo, s1
	s_wait_loadcnt_dscnt 0x0
	v_mul_f32_e32 v13, v12, v10
	v_mul_f32_e32 v10, v11, v10
	s_delay_alu instid0(VALU_DEP_2) | instskip(NEXT) | instid1(VALU_DEP_2)
	v_fma_f32 v11, v11, v9, -v13
	v_fmac_f32_e32 v10, v12, v9
	s_delay_alu instid0(VALU_DEP_1)
	v_dual_add_f32 v8, v8, v11 :: v_dual_add_f32 v3, v3, v10
	s_wait_alu 0xfffe
	s_and_not1_b32 exec_lo, exec_lo, s1
	s_cbranch_execnz .LBB60_105
; %bb.106:
	s_or_b32 exec_lo, exec_lo, s1
	v_mov_b32_e32 v4, 0
	ds_load_b64 v[4:5], v4 offset:184
	s_wait_dscnt 0x0
	v_mul_f32_e32 v9, v3, v5
	v_mul_f32_e32 v6, v8, v5
	s_delay_alu instid0(VALU_DEP_2) | instskip(NEXT) | instid1(VALU_DEP_2)
	v_fma_f32 v5, v8, v4, -v9
	v_fmac_f32_e32 v6, v3, v4
	scratch_store_b64 off, v[5:6], off offset:184
.LBB60_107:
	s_wait_alu 0xfffe
	s_or_b32 exec_lo, exec_lo, s0
	s_wait_loadcnt 0x0
	s_wait_storecnt 0x0
	s_barrier_signal -1
	s_barrier_wait -1
	global_inv scope:SCOPE_SE
	scratch_load_b64 v[3:4], off, off offset:192
	;; [unrolled: 55-line block ×38, first 2 shown]
	s_mov_b32 s0, exec_lo
	s_wait_loadcnt 0x0
	ds_store_b64 v1, v[3:4]
	s_wait_dscnt 0x0
	s_barrier_signal -1
	s_barrier_wait -1
	global_inv scope:SCOPE_SE
	v_cmpx_ne_u32_e32 60, v0
	s_cbranch_execz .LBB60_255
; %bb.252:
	v_dual_mov_b32 v3, 0 :: v_dual_mov_b32 v4, 0
	s_mov_b32 s1, 0
.LBB60_253:                             ; =>This Inner Loop Header: Depth=1
	scratch_load_b64 v[5:6], v7, off
	ds_load_b64 v[8:9], v1
	v_add_nc_u32_e32 v2, 1, v2
	v_add_nc_u32_e32 v1, 8, v1
	;; [unrolled: 1-line block ×3, first 2 shown]
	s_delay_alu instid0(VALU_DEP_3)
	v_cmp_lt_u32_e32 vcc_lo, 58, v2
	s_wait_alu 0xfffe
	s_or_b32 s1, vcc_lo, s1
	s_wait_loadcnt_dscnt 0x0
	v_mul_f32_e32 v10, v9, v6
	v_mul_f32_e32 v6, v8, v6
	s_delay_alu instid0(VALU_DEP_2) | instskip(NEXT) | instid1(VALU_DEP_2)
	v_fma_f32 v8, v8, v5, -v10
	v_fmac_f32_e32 v6, v9, v5
	s_delay_alu instid0(VALU_DEP_1)
	v_dual_add_f32 v4, v4, v8 :: v_dual_add_f32 v3, v3, v6
	s_wait_alu 0xfffe
	s_and_not1_b32 exec_lo, exec_lo, s1
	s_cbranch_execnz .LBB60_253
; %bb.254:
	s_or_b32 exec_lo, exec_lo, s1
	v_mov_b32_e32 v1, 0
	ds_load_b64 v[1:2], v1 offset:480
	s_wait_dscnt 0x0
	v_mul_f32_e32 v6, v3, v2
	v_mul_f32_e32 v5, v4, v2
	s_delay_alu instid0(VALU_DEP_2) | instskip(NEXT) | instid1(VALU_DEP_2)
	v_fma_f32 v4, v4, v1, -v6
	v_fmac_f32_e32 v5, v3, v1
	scratch_store_b64 off, v[4:5], off offset:480
.LBB60_255:
	s_wait_alu 0xfffe
	s_or_b32 exec_lo, exec_lo, s0
	s_mov_b32 s1, -1
	s_wait_loadcnt 0x0
	s_wait_storecnt 0x0
	s_barrier_signal -1
	s_barrier_wait -1
	global_inv scope:SCOPE_SE
.LBB60_256:
	s_wait_alu 0xfffe
	s_and_b32 vcc_lo, exec_lo, s1
	s_wait_alu 0xfffe
	s_cbranch_vccz .LBB60_258
; %bb.257:
	v_mov_b32_e32 v1, 0
	s_lshl_b64 s[0:1], s[16:17], 2
	s_wait_alu 0xfffe
	s_add_nc_u64 s[0:1], s[6:7], s[0:1]
	global_load_b32 v1, v1, s[0:1]
	s_wait_loadcnt 0x0
	v_cmp_ne_u32_e32 vcc_lo, 0, v1
	s_cbranch_vccz .LBB60_259
.LBB60_258:
	s_nop 0
	s_sendmsg sendmsg(MSG_DEALLOC_VGPRS)
	s_endpgm
.LBB60_259:
	v_lshl_add_u32 v157, v0, 3, 0x1f0
	s_mov_b32 s0, exec_lo
	v_cmpx_eq_u32_e32 60, v0
	s_cbranch_execz .LBB60_261
; %bb.260:
	scratch_load_b64 v[1:2], off, off offset:472
	v_mov_b32_e32 v3, 0
	s_delay_alu instid0(VALU_DEP_1)
	v_mov_b32_e32 v4, v3
	scratch_store_b64 off, v[3:4], off offset:472
	s_wait_loadcnt 0x0
	ds_store_b64 v157, v[1:2]
.LBB60_261:
	s_wait_alu 0xfffe
	s_or_b32 exec_lo, exec_lo, s0
	s_wait_storecnt_dscnt 0x0
	s_barrier_signal -1
	s_barrier_wait -1
	global_inv scope:SCOPE_SE
	s_clause 0x1
	scratch_load_b64 v[2:3], off, off offset:480
	scratch_load_b64 v[4:5], off, off offset:472
	v_mov_b32_e32 v1, 0
	s_mov_b32 s0, exec_lo
	ds_load_b64 v[6:7], v1 offset:976
	s_wait_loadcnt_dscnt 0x100
	v_mul_f32_e32 v8, v7, v3
	v_mul_f32_e32 v3, v6, v3
	s_delay_alu instid0(VALU_DEP_2) | instskip(NEXT) | instid1(VALU_DEP_2)
	v_fma_f32 v6, v6, v2, -v8
	v_fmac_f32_e32 v3, v7, v2
	s_delay_alu instid0(VALU_DEP_1) | instskip(SKIP_1) | instid1(VALU_DEP_1)
	v_dual_add_f32 v2, 0, v6 :: v_dual_add_f32 v3, 0, v3
	s_wait_loadcnt 0x0
	v_dual_sub_f32 v2, v4, v2 :: v_dual_sub_f32 v3, v5, v3
	scratch_store_b64 off, v[2:3], off offset:472
	v_cmpx_lt_u32_e32 58, v0
	s_cbranch_execz .LBB60_263
; %bb.262:
	scratch_load_b64 v[3:4], off, off offset:464
	v_mov_b32_e32 v2, v1
	scratch_store_b64 off, v[1:2], off offset:464
	s_wait_loadcnt 0x0
	ds_store_b64 v157, v[3:4]
.LBB60_263:
	s_wait_alu 0xfffe
	s_or_b32 exec_lo, exec_lo, s0
	s_wait_storecnt_dscnt 0x0
	s_barrier_signal -1
	s_barrier_wait -1
	global_inv scope:SCOPE_SE
	s_clause 0x1
	scratch_load_b128 v[2:5], off, off offset:472
	scratch_load_b64 v[10:11], off, off offset:464
	ds_load_2addr_b64 v[6:9], v1 offset0:121 offset1:122
	s_mov_b32 s0, exec_lo
	s_wait_loadcnt_dscnt 0x100
	v_dual_mul_f32 v1, v7, v3 :: v_dual_mul_f32 v12, v8, v5
	v_mul_f32_e32 v3, v6, v3
	s_delay_alu instid0(VALU_DEP_2) | instskip(NEXT) | instid1(VALU_DEP_2)
	v_fma_f32 v1, v6, v2, -v1
	v_dual_fmac_f32 v12, v9, v4 :: v_dual_fmac_f32 v3, v7, v2
	s_delay_alu instid0(VALU_DEP_2) | instskip(NEXT) | instid1(VALU_DEP_2)
	v_add_f32_e32 v1, 0, v1
	v_add_f32_e32 v3, 0, v3
	v_mul_f32_e32 v5, v9, v5
	s_delay_alu instid0(VALU_DEP_1) | instskip(NEXT) | instid1(VALU_DEP_1)
	v_fma_f32 v2, v8, v4, -v5
	v_dual_add_f32 v1, v1, v2 :: v_dual_add_f32 v2, v3, v12
	s_wait_loadcnt 0x0
	s_delay_alu instid0(VALU_DEP_1)
	v_dual_sub_f32 v1, v10, v1 :: v_dual_sub_f32 v2, v11, v2
	scratch_store_b64 off, v[1:2], off offset:464
	v_cmpx_lt_u32_e32 57, v0
	s_cbranch_execz .LBB60_265
; %bb.264:
	scratch_load_b64 v[1:2], off, off offset:456
	v_mov_b32_e32 v3, 0
	s_delay_alu instid0(VALU_DEP_1)
	v_mov_b32_e32 v4, v3
	scratch_store_b64 off, v[3:4], off offset:456
	s_wait_loadcnt 0x0
	ds_store_b64 v157, v[1:2]
.LBB60_265:
	s_wait_alu 0xfffe
	s_or_b32 exec_lo, exec_lo, s0
	s_wait_storecnt_dscnt 0x0
	s_barrier_signal -1
	s_barrier_wait -1
	global_inv scope:SCOPE_SE
	s_clause 0x2
	scratch_load_b128 v[2:5], off, off offset:464
	scratch_load_b64 v[10:11], off, off offset:480
	scratch_load_b64 v[12:13], off, off offset:456
	v_mov_b32_e32 v1, 0
	ds_load_b128 v[6:9], v1 offset:960
	ds_load_b64 v[14:15], v1 offset:976
	s_mov_b32 s0, exec_lo
	s_wait_loadcnt_dscnt 0x201
	v_dual_mul_f32 v16, v7, v3 :: v_dual_mul_f32 v17, v8, v5
	s_wait_loadcnt_dscnt 0x100
	v_mul_f32_e32 v18, v14, v11
	v_mul_f32_e32 v3, v6, v3
	;; [unrolled: 1-line block ×3, first 2 shown]
	v_fma_f32 v6, v6, v2, -v16
	s_delay_alu instid0(VALU_DEP_4) | instskip(NEXT) | instid1(VALU_DEP_4)
	v_fmac_f32_e32 v18, v15, v10
	v_fmac_f32_e32 v3, v7, v2
	v_mul_f32_e32 v2, v15, v11
	s_delay_alu instid0(VALU_DEP_1) | instskip(SKIP_3) | instid1(VALU_DEP_1)
	v_fma_f32 v2, v14, v10, -v2
	v_fmac_f32_e32 v17, v9, v4
	v_fma_f32 v4, v8, v4, -v5
	v_add_f32_e32 v5, 0, v6
	v_add_f32_e32 v4, v5, v4
	s_delay_alu instid0(VALU_DEP_1) | instskip(SKIP_1) | instid1(VALU_DEP_1)
	v_dual_add_f32 v2, v4, v2 :: v_dual_add_f32 v3, 0, v3
	s_wait_loadcnt 0x0
	v_dual_sub_f32 v2, v12, v2 :: v_dual_add_f32 v3, v3, v17
	s_delay_alu instid0(VALU_DEP_1) | instskip(NEXT) | instid1(VALU_DEP_1)
	v_add_f32_e32 v3, v3, v18
	v_sub_f32_e32 v3, v13, v3
	scratch_store_b64 off, v[2:3], off offset:456
	v_cmpx_lt_u32_e32 56, v0
	s_cbranch_execz .LBB60_267
; %bb.266:
	scratch_load_b64 v[3:4], off, off offset:448
	v_mov_b32_e32 v2, v1
	scratch_store_b64 off, v[1:2], off offset:448
	s_wait_loadcnt 0x0
	ds_store_b64 v157, v[3:4]
.LBB60_267:
	s_wait_alu 0xfffe
	s_or_b32 exec_lo, exec_lo, s0
	s_wait_storecnt_dscnt 0x0
	s_barrier_signal -1
	s_barrier_wait -1
	global_inv scope:SCOPE_SE
	s_clause 0x2
	scratch_load_b128 v[2:5], off, off offset:456
	scratch_load_b128 v[6:9], off, off offset:472
	scratch_load_b64 v[18:19], off, off offset:448
	ds_load_2addr_b64 v[10:13], v1 offset0:119 offset1:120
	ds_load_2addr_b64 v[14:17], v1 offset0:121 offset1:122
	s_mov_b32 s0, exec_lo
	s_wait_loadcnt_dscnt 0x201
	v_dual_mul_f32 v1, v10, v3 :: v_dual_mul_f32 v20, v12, v5
	s_wait_loadcnt_dscnt 0x100
	v_dual_mul_f32 v3, v11, v3 :: v_dual_mul_f32 v22, v16, v9
	v_mul_f32_e32 v5, v13, v5
	s_delay_alu instid0(VALU_DEP_3) | instskip(NEXT) | instid1(VALU_DEP_3)
	v_dual_mul_f32 v21, v14, v7 :: v_dual_fmac_f32 v20, v13, v4
	v_fma_f32 v3, v10, v2, -v3
	s_delay_alu instid0(VALU_DEP_4) | instskip(SKIP_2) | instid1(VALU_DEP_4)
	v_dual_fmac_f32 v1, v11, v2 :: v_dual_fmac_f32 v22, v17, v8
	v_mul_f32_e32 v2, v15, v7
	v_fma_f32 v4, v12, v4, -v5
	v_add_f32_e32 v3, 0, v3
	v_fmac_f32_e32 v21, v15, v6
	s_delay_alu instid0(VALU_DEP_4) | instskip(NEXT) | instid1(VALU_DEP_3)
	v_fma_f32 v2, v14, v6, -v2
	v_add_f32_e32 v3, v3, v4
	s_delay_alu instid0(VALU_DEP_1) | instskip(NEXT) | instid1(VALU_DEP_1)
	v_dual_add_f32 v1, 0, v1 :: v_dual_add_f32 v2, v3, v2
	v_add_f32_e32 v1, v1, v20
	s_delay_alu instid0(VALU_DEP_1) | instskip(NEXT) | instid1(VALU_DEP_1)
	v_add_f32_e32 v1, v1, v21
	v_add_f32_e32 v3, v1, v22
	v_mul_f32_e32 v5, v17, v9
	s_delay_alu instid0(VALU_DEP_1) | instskip(NEXT) | instid1(VALU_DEP_1)
	v_fma_f32 v4, v16, v8, -v5
	v_add_f32_e32 v2, v2, v4
	s_wait_loadcnt 0x0
	s_delay_alu instid0(VALU_DEP_1)
	v_dual_sub_f32 v1, v18, v2 :: v_dual_sub_f32 v2, v19, v3
	scratch_store_b64 off, v[1:2], off offset:448
	v_cmpx_lt_u32_e32 55, v0
	s_cbranch_execz .LBB60_269
; %bb.268:
	scratch_load_b64 v[1:2], off, off offset:440
	v_mov_b32_e32 v3, 0
	s_delay_alu instid0(VALU_DEP_1)
	v_mov_b32_e32 v4, v3
	scratch_store_b64 off, v[3:4], off offset:440
	s_wait_loadcnt 0x0
	ds_store_b64 v157, v[1:2]
.LBB60_269:
	s_wait_alu 0xfffe
	s_or_b32 exec_lo, exec_lo, s0
	s_wait_storecnt_dscnt 0x0
	s_barrier_signal -1
	s_barrier_wait -1
	global_inv scope:SCOPE_SE
	s_clause 0x3
	scratch_load_b128 v[2:5], off, off offset:448
	scratch_load_b128 v[6:9], off, off offset:464
	scratch_load_b64 v[18:19], off, off offset:480
	scratch_load_b64 v[20:21], off, off offset:440
	v_mov_b32_e32 v1, 0
	ds_load_b128 v[10:13], v1 offset:944
	ds_load_b128 v[14:17], v1 offset:960
	ds_load_b64 v[22:23], v1 offset:976
	s_mov_b32 s0, exec_lo
	s_wait_loadcnt_dscnt 0x302
	v_dual_mul_f32 v24, v10, v3 :: v_dual_mul_f32 v25, v12, v5
	s_wait_loadcnt_dscnt 0x201
	v_dual_mul_f32 v26, v14, v7 :: v_dual_mul_f32 v5, v13, v5
	;; [unrolled: 2-line block ×3, first 2 shown]
	v_dual_fmac_f32 v24, v11, v2 :: v_dual_fmac_f32 v25, v13, v4
	s_delay_alu instid0(VALU_DEP_3) | instskip(SKIP_1) | instid1(VALU_DEP_3)
	v_fmac_f32_e32 v26, v15, v6
	v_fma_f32 v4, v12, v4, -v5
	v_dual_fmac_f32 v28, v23, v18 :: v_dual_add_f32 v5, 0, v24
	v_mul_f32_e32 v3, v11, v3
	s_delay_alu instid0(VALU_DEP_1) | instskip(SKIP_1) | instid1(VALU_DEP_2)
	v_fma_f32 v3, v10, v2, -v3
	v_dual_mul_f32 v2, v15, v7 :: v_dual_mul_f32 v7, v17, v9
	v_add_f32_e32 v3, 0, v3
	s_delay_alu instid0(VALU_DEP_2) | instskip(NEXT) | instid1(VALU_DEP_3)
	v_fma_f32 v2, v14, v6, -v2
	v_fma_f32 v6, v16, v8, -v7
	s_delay_alu instid0(VALU_DEP_3) | instskip(NEXT) | instid1(VALU_DEP_1)
	v_add_f32_e32 v3, v3, v4
	v_add_f32_e32 v2, v3, v2
	;; [unrolled: 1-line block ×3, first 2 shown]
	s_delay_alu instid0(VALU_DEP_2) | instskip(NEXT) | instid1(VALU_DEP_2)
	v_dual_add_f32 v2, v2, v6 :: v_dual_mul_f32 v5, v23, v19
	v_add_f32_e32 v3, v4, v26
	s_delay_alu instid0(VALU_DEP_2) | instskip(NEXT) | instid1(VALU_DEP_1)
	v_fma_f32 v4, v22, v18, -v5
	v_add_f32_e32 v2, v2, v4
	s_wait_loadcnt 0x0
	s_delay_alu instid0(VALU_DEP_1) | instskip(NEXT) | instid1(VALU_DEP_1)
	v_dual_fmac_f32 v27, v17, v8 :: v_dual_sub_f32 v2, v20, v2
	v_add_f32_e32 v3, v3, v27
	s_delay_alu instid0(VALU_DEP_1) | instskip(NEXT) | instid1(VALU_DEP_1)
	v_add_f32_e32 v3, v3, v28
	v_sub_f32_e32 v3, v21, v3
	scratch_store_b64 off, v[2:3], off offset:440
	v_cmpx_lt_u32_e32 54, v0
	s_cbranch_execz .LBB60_271
; %bb.270:
	scratch_load_b64 v[3:4], off, off offset:432
	v_mov_b32_e32 v2, v1
	scratch_store_b64 off, v[1:2], off offset:432
	s_wait_loadcnt 0x0
	ds_store_b64 v157, v[3:4]
.LBB60_271:
	s_wait_alu 0xfffe
	s_or_b32 exec_lo, exec_lo, s0
	s_wait_storecnt_dscnt 0x0
	s_barrier_signal -1
	s_barrier_wait -1
	global_inv scope:SCOPE_SE
	s_clause 0x3
	scratch_load_b128 v[2:5], off, off offset:440
	scratch_load_b128 v[6:9], off, off offset:456
	;; [unrolled: 1-line block ×3, first 2 shown]
	scratch_load_b64 v[26:27], off, off offset:432
	ds_load_2addr_b64 v[14:17], v1 offset0:117 offset1:118
	ds_load_2addr_b64 v[18:21], v1 offset0:119 offset1:120
	ds_load_2addr_b64 v[22:25], v1 offset0:121 offset1:122
	s_mov_b32 s0, exec_lo
	s_wait_loadcnt_dscnt 0x302
	v_dual_mul_f32 v1, v14, v3 :: v_dual_mul_f32 v28, v16, v5
	s_wait_loadcnt_dscnt 0x100
	v_dual_mul_f32 v3, v15, v3 :: v_dual_mul_f32 v32, v24, v13
	v_dual_mul_f32 v29, v18, v7 :: v_dual_mul_f32 v30, v20, v9
	v_mul_f32_e32 v5, v17, v5
	s_delay_alu instid0(VALU_DEP_3)
	v_fma_f32 v3, v14, v2, -v3
	v_fmac_f32_e32 v1, v15, v2
	v_mul_f32_e32 v2, v19, v7
	v_dual_mul_f32 v31, v22, v11 :: v_dual_fmac_f32 v28, v17, v4
	v_fma_f32 v4, v16, v4, -v5
	v_fmac_f32_e32 v30, v21, v8
	s_delay_alu instid0(VALU_DEP_4) | instskip(SKIP_4) | instid1(VALU_DEP_4)
	v_fma_f32 v2, v18, v6, -v2
	v_mul_f32_e32 v5, v21, v9
	v_add_f32_e32 v1, 0, v1
	v_dual_fmac_f32 v29, v19, v6 :: v_dual_fmac_f32 v32, v25, v12
	v_fmac_f32_e32 v31, v23, v10
	v_fma_f32 v5, v20, v8, -v5
	v_add_f32_e32 v3, 0, v3
	s_delay_alu instid0(VALU_DEP_1) | instskip(SKIP_1) | instid1(VALU_DEP_2)
	v_add_f32_e32 v3, v3, v4
	v_mul_f32_e32 v4, v23, v11
	v_add_f32_e32 v2, v3, v2
	s_delay_alu instid0(VALU_DEP_2) | instskip(NEXT) | instid1(VALU_DEP_2)
	v_fma_f32 v4, v22, v10, -v4
	v_add_f32_e32 v2, v2, v5
	s_delay_alu instid0(VALU_DEP_1) | instskip(NEXT) | instid1(VALU_DEP_1)
	v_dual_mul_f32 v3, v25, v13 :: v_dual_add_f32 v2, v2, v4
	v_fma_f32 v3, v24, v12, -v3
	s_delay_alu instid0(VALU_DEP_1) | instskip(NEXT) | instid1(VALU_DEP_1)
	v_dual_add_f32 v1, v1, v28 :: v_dual_add_f32 v2, v2, v3
	v_add_f32_e32 v1, v1, v29
	s_delay_alu instid0(VALU_DEP_1) | instskip(NEXT) | instid1(VALU_DEP_1)
	v_add_f32_e32 v1, v1, v30
	v_add_f32_e32 v1, v1, v31
	s_delay_alu instid0(VALU_DEP_1) | instskip(SKIP_1) | instid1(VALU_DEP_1)
	v_add_f32_e32 v3, v1, v32
	s_wait_loadcnt 0x0
	v_dual_sub_f32 v1, v26, v2 :: v_dual_sub_f32 v2, v27, v3
	scratch_store_b64 off, v[1:2], off offset:432
	v_cmpx_lt_u32_e32 53, v0
	s_cbranch_execz .LBB60_273
; %bb.272:
	scratch_load_b64 v[1:2], off, off offset:424
	v_mov_b32_e32 v3, 0
	s_delay_alu instid0(VALU_DEP_1)
	v_mov_b32_e32 v4, v3
	scratch_store_b64 off, v[3:4], off offset:424
	s_wait_loadcnt 0x0
	ds_store_b64 v157, v[1:2]
.LBB60_273:
	s_wait_alu 0xfffe
	s_or_b32 exec_lo, exec_lo, s0
	s_wait_storecnt_dscnt 0x0
	s_barrier_signal -1
	s_barrier_wait -1
	global_inv scope:SCOPE_SE
	s_clause 0x4
	scratch_load_b128 v[2:5], off, off offset:432
	scratch_load_b128 v[6:9], off, off offset:448
	scratch_load_b128 v[10:13], off, off offset:464
	scratch_load_b64 v[26:27], off, off offset:480
	scratch_load_b64 v[28:29], off, off offset:424
	v_mov_b32_e32 v1, 0
	ds_load_b128 v[14:17], v1 offset:928
	ds_load_b128 v[18:21], v1 offset:944
	;; [unrolled: 1-line block ×3, first 2 shown]
	ds_load_b64 v[30:31], v1 offset:976
	s_mov_b32 s0, exec_lo
	s_wait_loadcnt_dscnt 0x403
	v_mul_f32_e32 v32, v14, v3
	s_wait_loadcnt_dscnt 0x302
	v_dual_mul_f32 v158, v20, v9 :: v_dual_mul_f32 v3, v15, v3
	v_dual_mul_f32 v155, v16, v5 :: v_dual_mul_f32 v156, v18, v7
	v_mul_f32_e32 v5, v17, v5
	s_wait_loadcnt_dscnt 0x100
	v_dual_mul_f32 v161, v30, v27 :: v_dual_fmac_f32 v32, v15, v2
	v_fma_f32 v3, v14, v2, -v3
	v_dual_mul_f32 v2, v19, v7 :: v_dual_fmac_f32 v155, v17, v4
	v_fmac_f32_e32 v156, v19, v6
	v_fma_f32 v4, v16, v4, -v5
	s_delay_alu instid0(VALU_DEP_4) | instskip(NEXT) | instid1(VALU_DEP_4)
	v_dual_add_f32 v3, 0, v3 :: v_dual_fmac_f32 v158, v21, v8
	v_fma_f32 v2, v18, v6, -v2
	v_dual_mul_f32 v159, v22, v11 :: v_dual_mul_f32 v160, v24, v13
	s_delay_alu instid0(VALU_DEP_3) | instskip(SKIP_1) | instid1(VALU_DEP_3)
	v_add_f32_e32 v3, v3, v4
	v_add_f32_e32 v5, 0, v32
	v_dual_fmac_f32 v159, v23, v10 :: v_dual_fmac_f32 v160, v25, v12
	s_delay_alu instid0(VALU_DEP_3) | instskip(NEXT) | instid1(VALU_DEP_3)
	v_dual_add_f32 v2, v3, v2 :: v_dual_mul_f32 v7, v21, v9
	v_add_f32_e32 v4, v5, v155
	v_mul_f32_e32 v5, v23, v11
	s_delay_alu instid0(VALU_DEP_3) | instskip(NEXT) | instid1(VALU_DEP_3)
	v_fma_f32 v6, v20, v8, -v7
	v_dual_add_f32 v3, v4, v156 :: v_dual_mul_f32 v4, v25, v13
	s_delay_alu instid0(VALU_DEP_3) | instskip(NEXT) | instid1(VALU_DEP_3)
	v_fma_f32 v5, v22, v10, -v5
	v_add_f32_e32 v2, v2, v6
	v_mul_f32_e32 v6, v31, v27
	s_delay_alu instid0(VALU_DEP_4) | instskip(SKIP_1) | instid1(VALU_DEP_4)
	v_add_f32_e32 v3, v3, v158
	v_fma_f32 v4, v24, v12, -v4
	v_add_f32_e32 v2, v2, v5
	s_delay_alu instid0(VALU_DEP_4) | instskip(NEXT) | instid1(VALU_DEP_2)
	v_fma_f32 v5, v30, v26, -v6
	v_dual_add_f32 v3, v3, v159 :: v_dual_add_f32 v2, v2, v4
	s_delay_alu instid0(VALU_DEP_1) | instskip(SKIP_1) | instid1(VALU_DEP_1)
	v_dual_fmac_f32 v161, v31, v26 :: v_dual_add_f32 v2, v2, v5
	s_wait_loadcnt 0x0
	v_dual_add_f32 v3, v3, v160 :: v_dual_sub_f32 v2, v28, v2
	s_delay_alu instid0(VALU_DEP_1) | instskip(NEXT) | instid1(VALU_DEP_1)
	v_add_f32_e32 v3, v3, v161
	v_sub_f32_e32 v3, v29, v3
	scratch_store_b64 off, v[2:3], off offset:424
	v_cmpx_lt_u32_e32 52, v0
	s_cbranch_execz .LBB60_275
; %bb.274:
	scratch_load_b64 v[3:4], off, off offset:416
	v_mov_b32_e32 v2, v1
	scratch_store_b64 off, v[1:2], off offset:416
	s_wait_loadcnt 0x0
	ds_store_b64 v157, v[3:4]
.LBB60_275:
	s_wait_alu 0xfffe
	s_or_b32 exec_lo, exec_lo, s0
	s_wait_storecnt_dscnt 0x0
	s_barrier_signal -1
	s_barrier_wait -1
	global_inv scope:SCOPE_SE
	s_clause 0x4
	scratch_load_b128 v[2:5], off, off offset:424
	scratch_load_b128 v[6:9], off, off offset:440
	;; [unrolled: 1-line block ×4, first 2 shown]
	scratch_load_b64 v[30:31], off, off offset:416
	ds_load_2addr_b64 v[18:21], v1 offset0:115 offset1:116
	ds_load_2addr_b64 v[22:25], v1 offset0:117 offset1:118
	;; [unrolled: 1-line block ×4, first 2 shown]
	s_mov_b32 s0, exec_lo
	s_wait_loadcnt_dscnt 0x403
	v_dual_mul_f32 v1, v18, v3 :: v_dual_mul_f32 v32, v20, v5
	v_mul_f32_e32 v3, v19, v3
	v_mul_f32_e32 v5, v21, v5
	s_wait_loadcnt_dscnt 0x302
	v_dual_mul_f32 v155, v22, v7 :: v_dual_mul_f32 v156, v24, v9
	v_fmac_f32_e32 v32, v21, v4
	v_fma_f32 v3, v18, v2, -v3
	s_wait_loadcnt_dscnt 0x201
	v_dual_mul_f32 v162, v26, v11 :: v_dual_mul_f32 v163, v28, v13
	v_dual_fmac_f32 v1, v19, v2 :: v_dual_fmac_f32 v156, v25, v8
	v_mul_f32_e32 v2, v23, v7
	v_fma_f32 v4, v20, v4, -v5
	s_delay_alu instid0(VALU_DEP_4) | instskip(NEXT) | instid1(VALU_DEP_4)
	v_dual_add_f32 v3, 0, v3 :: v_dual_fmac_f32 v162, v27, v10
	v_add_f32_e32 v1, 0, v1
	s_delay_alu instid0(VALU_DEP_4) | instskip(SKIP_4) | instid1(VALU_DEP_3)
	v_fma_f32 v2, v22, v6, -v2
	s_wait_loadcnt_dscnt 0x100
	v_dual_mul_f32 v164, v158, v15 :: v_dual_mul_f32 v165, v160, v17
	v_add_f32_e32 v3, v3, v4
	v_dual_mul_f32 v5, v25, v9 :: v_dual_mul_f32 v4, v27, v11
	v_dual_add_f32 v1, v1, v32 :: v_dual_fmac_f32 v164, v159, v14
	s_delay_alu instid0(VALU_DEP_3) | instskip(NEXT) | instid1(VALU_DEP_3)
	v_add_f32_e32 v2, v3, v2
	v_fma_f32 v5, v24, v8, -v5
	v_fmac_f32_e32 v155, v23, v6
	v_mul_f32_e32 v3, v29, v13
	v_fma_f32 v4, v26, v10, -v4
	s_delay_alu instid0(VALU_DEP_4) | instskip(NEXT) | instid1(VALU_DEP_4)
	v_dual_fmac_f32 v165, v161, v16 :: v_dual_add_f32 v2, v2, v5
	v_add_f32_e32 v1, v1, v155
	v_mul_f32_e32 v5, v159, v15
	v_fma_f32 v3, v28, v12, -v3
	s_delay_alu instid0(VALU_DEP_4) | instskip(NEXT) | instid1(VALU_DEP_4)
	v_add_f32_e32 v2, v2, v4
	v_add_f32_e32 v1, v1, v156
	v_mul_f32_e32 v4, v161, v17
	v_fma_f32 v5, v158, v14, -v5
	s_delay_alu instid0(VALU_DEP_4) | instskip(NEXT) | instid1(VALU_DEP_3)
	v_dual_add_f32 v2, v2, v3 :: v_dual_fmac_f32 v163, v29, v12
	v_fma_f32 v3, v160, v16, -v4
	s_delay_alu instid0(VALU_DEP_2) | instskip(NEXT) | instid1(VALU_DEP_1)
	v_dual_add_f32 v2, v2, v5 :: v_dual_add_f32 v1, v1, v162
	v_add_f32_e32 v2, v2, v3
	s_delay_alu instid0(VALU_DEP_2) | instskip(NEXT) | instid1(VALU_DEP_1)
	v_add_f32_e32 v1, v1, v163
	v_add_f32_e32 v1, v1, v164
	s_delay_alu instid0(VALU_DEP_1) | instskip(SKIP_1) | instid1(VALU_DEP_1)
	v_add_f32_e32 v3, v1, v165
	s_wait_loadcnt 0x0
	v_dual_sub_f32 v1, v30, v2 :: v_dual_sub_f32 v2, v31, v3
	scratch_store_b64 off, v[1:2], off offset:416
	v_cmpx_lt_u32_e32 51, v0
	s_cbranch_execz .LBB60_277
; %bb.276:
	scratch_load_b64 v[1:2], off, off offset:408
	v_mov_b32_e32 v3, 0
	s_delay_alu instid0(VALU_DEP_1)
	v_mov_b32_e32 v4, v3
	scratch_store_b64 off, v[3:4], off offset:408
	s_wait_loadcnt 0x0
	ds_store_b64 v157, v[1:2]
.LBB60_277:
	s_wait_alu 0xfffe
	s_or_b32 exec_lo, exec_lo, s0
	s_wait_storecnt_dscnt 0x0
	s_barrier_signal -1
	s_barrier_wait -1
	global_inv scope:SCOPE_SE
	s_clause 0x5
	scratch_load_b128 v[2:5], off, off offset:416
	scratch_load_b128 v[6:9], off, off offset:432
	;; [unrolled: 1-line block ×4, first 2 shown]
	scratch_load_b64 v[30:31], off, off offset:480
	scratch_load_b64 v[155:156], off, off offset:408
	v_mov_b32_e32 v1, 0
	ds_load_b128 v[18:21], v1 offset:912
	ds_load_b128 v[22:25], v1 offset:928
	;; [unrolled: 1-line block ×4, first 2 shown]
	ds_load_b64 v[162:163], v1 offset:976
	s_mov_b32 s0, exec_lo
	s_wait_loadcnt_dscnt 0x504
	v_mul_f32_e32 v32, v18, v3
	s_wait_loadcnt_dscnt 0x302
	v_dual_mul_f32 v3, v19, v3 :: v_dual_mul_f32 v168, v28, v13
	v_dual_mul_f32 v164, v20, v5 :: v_dual_mul_f32 v165, v22, v7
	v_mul_f32_e32 v5, v21, v5
	s_delay_alu instid0(VALU_DEP_3) | instskip(SKIP_3) | instid1(VALU_DEP_3)
	v_fma_f32 v3, v18, v2, -v3
	s_wait_loadcnt_dscnt 0x100
	v_dual_mul_f32 v171, v162, v31 :: v_dual_fmac_f32 v32, v19, v2
	v_mul_f32_e32 v2, v23, v7
	v_dual_fmac_f32 v164, v21, v4 :: v_dual_add_f32 v3, 0, v3
	v_fma_f32 v4, v20, v4, -v5
	v_dual_mul_f32 v166, v24, v9 :: v_dual_mul_f32 v167, v26, v11
	s_delay_alu instid0(VALU_DEP_4) | instskip(SKIP_1) | instid1(VALU_DEP_4)
	v_fma_f32 v2, v22, v6, -v2
	v_dual_mul_f32 v169, v158, v15 :: v_dual_mul_f32 v170, v160, v17
	v_add_f32_e32 v3, v3, v4
	v_add_f32_e32 v5, 0, v32
	v_dual_fmac_f32 v166, v25, v8 :: v_dual_fmac_f32 v167, v27, v10
	v_fmac_f32_e32 v168, v29, v12
	s_delay_alu instid0(VALU_DEP_4) | instskip(NEXT) | instid1(VALU_DEP_4)
	v_dual_add_f32 v2, v3, v2 :: v_dual_mul_f32 v7, v25, v9
	v_dual_fmac_f32 v165, v23, v6 :: v_dual_add_f32 v4, v5, v164
	v_mul_f32_e32 v5, v27, v11
	v_dual_fmac_f32 v169, v159, v14 :: v_dual_fmac_f32 v170, v161, v16
	s_delay_alu instid0(VALU_DEP_4) | instskip(NEXT) | instid1(VALU_DEP_4)
	v_fma_f32 v6, v24, v8, -v7
	v_add_f32_e32 v3, v4, v165
	v_mul_f32_e32 v4, v29, v13
	v_fma_f32 v5, v26, v10, -v5
	s_delay_alu instid0(VALU_DEP_4) | instskip(SKIP_3) | instid1(VALU_DEP_4)
	v_add_f32_e32 v2, v2, v6
	v_mul_f32_e32 v6, v159, v15
	v_add_f32_e32 v3, v3, v166
	v_fma_f32 v4, v28, v12, -v4
	v_add_f32_e32 v2, v2, v5
	v_mul_f32_e32 v5, v161, v17
	s_delay_alu instid0(VALU_DEP_4) | instskip(SKIP_1) | instid1(VALU_DEP_4)
	v_add_f32_e32 v3, v3, v167
	v_fma_f32 v6, v158, v14, -v6
	v_add_f32_e32 v2, v2, v4
	v_mul_f32_e32 v4, v163, v31
	s_delay_alu instid0(VALU_DEP_4) | instskip(SKIP_1) | instid1(VALU_DEP_4)
	v_add_f32_e32 v3, v3, v168
	v_fma_f32 v5, v160, v16, -v5
	v_add_f32_e32 v2, v2, v6
	v_fmac_f32_e32 v171, v163, v30
	v_fma_f32 v4, v162, v30, -v4
	s_delay_alu instid0(VALU_DEP_3) | instskip(NEXT) | instid1(VALU_DEP_1)
	v_add_f32_e32 v2, v2, v5
	v_dual_add_f32 v3, v3, v169 :: v_dual_add_f32 v2, v2, v4
	s_delay_alu instid0(VALU_DEP_1) | instskip(NEXT) | instid1(VALU_DEP_1)
	v_add_f32_e32 v3, v3, v170
	v_add_f32_e32 v3, v3, v171
	s_wait_loadcnt 0x0
	s_delay_alu instid0(VALU_DEP_1)
	v_dual_sub_f32 v2, v155, v2 :: v_dual_sub_f32 v3, v156, v3
	scratch_store_b64 off, v[2:3], off offset:408
	v_cmpx_lt_u32_e32 50, v0
	s_cbranch_execz .LBB60_279
; %bb.278:
	scratch_load_b64 v[3:4], off, off offset:400
	v_mov_b32_e32 v2, v1
	scratch_store_b64 off, v[1:2], off offset:400
	s_wait_loadcnt 0x0
	ds_store_b64 v157, v[3:4]
.LBB60_279:
	s_wait_alu 0xfffe
	s_or_b32 exec_lo, exec_lo, s0
	s_wait_storecnt_dscnt 0x0
	s_barrier_signal -1
	s_barrier_wait -1
	global_inv scope:SCOPE_SE
	s_clause 0x5
	scratch_load_b128 v[2:5], off, off offset:408
	scratch_load_b128 v[6:9], off, off offset:424
	;; [unrolled: 1-line block ×5, first 2 shown]
	scratch_load_b64 v[30:31], off, off offset:400
	ds_load_2addr_b64 v[22:25], v1 offset0:113 offset1:114
	ds_load_2addr_b64 v[26:29], v1 offset0:115 offset1:116
	;; [unrolled: 1-line block ×5, first 2 shown]
	s_mov_b32 s0, exec_lo
	s_wait_loadcnt_dscnt 0x504
	v_dual_mul_f32 v1, v22, v3 :: v_dual_mul_f32 v32, v24, v5
	v_mul_f32_e32 v3, v23, v3
	v_mul_f32_e32 v5, v25, v5
	s_wait_loadcnt_dscnt 0x403
	v_dual_mul_f32 v155, v26, v7 :: v_dual_mul_f32 v156, v28, v9
	v_fmac_f32_e32 v32, v25, v4
	v_fma_f32 v3, v22, v2, -v3
	s_wait_loadcnt_dscnt 0x302
	v_dual_mul_f32 v170, v158, v11 :: v_dual_mul_f32 v171, v160, v13
	v_dual_fmac_f32 v1, v23, v2 :: v_dual_fmac_f32 v156, v29, v8
	v_mul_f32_e32 v2, v27, v7
	v_fma_f32 v4, v24, v4, -v5
	s_delay_alu instid0(VALU_DEP_4) | instskip(NEXT) | instid1(VALU_DEP_4)
	v_dual_add_f32 v3, 0, v3 :: v_dual_fmac_f32 v170, v159, v10
	v_add_f32_e32 v1, 0, v1
	s_delay_alu instid0(VALU_DEP_4) | instskip(SKIP_4) | instid1(VALU_DEP_3)
	v_fma_f32 v2, v26, v6, -v2
	s_wait_loadcnt_dscnt 0x201
	v_dual_mul_f32 v172, v162, v15 :: v_dual_mul_f32 v173, v164, v17
	v_add_f32_e32 v3, v3, v4
	v_dual_mul_f32 v5, v29, v9 :: v_dual_mul_f32 v4, v159, v11
	v_dual_add_f32 v1, v1, v32 :: v_dual_fmac_f32 v172, v163, v14
	s_delay_alu instid0(VALU_DEP_3) | instskip(NEXT) | instid1(VALU_DEP_3)
	v_add_f32_e32 v2, v3, v2
	v_fma_f32 v5, v28, v8, -v5
	v_fmac_f32_e32 v155, v27, v6
	v_fma_f32 v4, v158, v10, -v4
	s_wait_loadcnt_dscnt 0x100
	v_dual_mul_f32 v174, v166, v19 :: v_dual_mul_f32 v175, v168, v21
	s_delay_alu instid0(VALU_DEP_3) | instskip(NEXT) | instid1(VALU_DEP_2)
	v_dual_add_f32 v2, v2, v5 :: v_dual_add_f32 v1, v1, v155
	v_dual_mul_f32 v3, v161, v13 :: v_dual_fmac_f32 v174, v167, v18
	v_fmac_f32_e32 v173, v165, v16
	s_delay_alu instid0(VALU_DEP_3) | instskip(SKIP_1) | instid1(VALU_DEP_4)
	v_add_f32_e32 v2, v2, v4
	v_mul_f32_e32 v4, v165, v17
	v_fma_f32 v3, v160, v12, -v3
	v_add_f32_e32 v1, v1, v156
	v_fmac_f32_e32 v175, v169, v20
	s_delay_alu instid0(VALU_DEP_4) | instskip(SKIP_3) | instid1(VALU_DEP_3)
	v_fma_f32 v4, v164, v16, -v4
	v_mul_f32_e32 v5, v163, v15
	v_add_f32_e32 v2, v2, v3
	v_mul_f32_e32 v3, v167, v19
	v_fma_f32 v5, v162, v14, -v5
	v_fmac_f32_e32 v171, v161, v12
	s_delay_alu instid0(VALU_DEP_3) | instskip(NEXT) | instid1(VALU_DEP_3)
	v_fma_f32 v3, v166, v18, -v3
	v_add_f32_e32 v2, v2, v5
	s_delay_alu instid0(VALU_DEP_1) | instskip(SKIP_1) | instid1(VALU_DEP_2)
	v_dual_mul_f32 v5, v169, v21 :: v_dual_add_f32 v2, v2, v4
	v_add_f32_e32 v1, v1, v170
	v_fma_f32 v4, v168, v20, -v5
	s_delay_alu instid0(VALU_DEP_3) | instskip(NEXT) | instid1(VALU_DEP_1)
	v_add_f32_e32 v2, v2, v3
	v_dual_add_f32 v1, v1, v171 :: v_dual_add_f32 v2, v2, v4
	s_delay_alu instid0(VALU_DEP_1) | instskip(NEXT) | instid1(VALU_DEP_1)
	v_add_f32_e32 v1, v1, v172
	v_add_f32_e32 v1, v1, v173
	s_delay_alu instid0(VALU_DEP_1) | instskip(NEXT) | instid1(VALU_DEP_1)
	v_add_f32_e32 v1, v1, v174
	v_add_f32_e32 v3, v1, v175
	s_wait_loadcnt 0x0
	s_delay_alu instid0(VALU_DEP_1)
	v_dual_sub_f32 v1, v30, v2 :: v_dual_sub_f32 v2, v31, v3
	scratch_store_b64 off, v[1:2], off offset:400
	v_cmpx_lt_u32_e32 49, v0
	s_cbranch_execz .LBB60_281
; %bb.280:
	scratch_load_b64 v[1:2], off, off offset:392
	v_mov_b32_e32 v3, 0
	s_delay_alu instid0(VALU_DEP_1)
	v_mov_b32_e32 v4, v3
	scratch_store_b64 off, v[3:4], off offset:392
	s_wait_loadcnt 0x0
	ds_store_b64 v157, v[1:2]
.LBB60_281:
	s_wait_alu 0xfffe
	s_or_b32 exec_lo, exec_lo, s0
	s_wait_storecnt_dscnt 0x0
	s_barrier_signal -1
	s_barrier_wait -1
	global_inv scope:SCOPE_SE
	s_clause 0x6
	scratch_load_b128 v[2:5], off, off offset:400
	scratch_load_b128 v[6:9], off, off offset:416
	scratch_load_b128 v[10:13], off, off offset:432
	scratch_load_b128 v[14:17], off, off offset:448
	scratch_load_b128 v[18:21], off, off offset:464
	scratch_load_b64 v[30:31], off, off offset:480
	scratch_load_b64 v[155:156], off, off offset:392
	v_mov_b32_e32 v1, 0
	ds_load_b128 v[22:25], v1 offset:896
	ds_load_b128 v[26:29], v1 offset:912
	;; [unrolled: 1-line block ×5, first 2 shown]
	ds_load_b64 v[170:171], v1 offset:976
	s_mov_b32 s0, exec_lo
	s_wait_loadcnt_dscnt 0x605
	v_mul_f32_e32 v32, v22, v3
	v_dual_mul_f32 v3, v23, v3 :: v_dual_mul_f32 v172, v24, v5
	s_wait_loadcnt_dscnt 0x302
	v_dual_mul_f32 v173, v26, v7 :: v_dual_mul_f32 v178, v164, v17
	v_mul_f32_e32 v5, v25, v5
	s_delay_alu instid0(VALU_DEP_3) | instskip(SKIP_3) | instid1(VALU_DEP_3)
	v_fma_f32 v3, v22, v2, -v3
	s_wait_loadcnt_dscnt 0x100
	v_dual_mul_f32 v181, v170, v31 :: v_dual_fmac_f32 v32, v23, v2
	v_mul_f32_e32 v2, v27, v7
	v_dual_fmac_f32 v172, v25, v4 :: v_dual_add_f32 v3, 0, v3
	v_fma_f32 v4, v24, v4, -v5
	v_dual_mul_f32 v174, v28, v9 :: v_dual_mul_f32 v175, v158, v11
	s_delay_alu instid0(VALU_DEP_4) | instskip(SKIP_1) | instid1(VALU_DEP_4)
	v_fma_f32 v2, v26, v6, -v2
	v_dual_mul_f32 v176, v160, v13 :: v_dual_mul_f32 v177, v162, v15
	v_add_f32_e32 v3, v3, v4
	v_add_f32_e32 v5, 0, v32
	v_dual_fmac_f32 v174, v29, v8 :: v_dual_fmac_f32 v175, v159, v10
	s_delay_alu instid0(VALU_DEP_4) | instskip(NEXT) | instid1(VALU_DEP_4)
	v_fmac_f32_e32 v176, v161, v12
	v_dual_add_f32 v2, v3, v2 :: v_dual_mul_f32 v7, v29, v9
	s_delay_alu instid0(VALU_DEP_4) | instskip(SKIP_2) | instid1(VALU_DEP_4)
	v_dual_fmac_f32 v173, v27, v6 :: v_dual_add_f32 v4, v5, v172
	v_mul_f32_e32 v5, v159, v11
	v_dual_fmac_f32 v177, v163, v14 :: v_dual_fmac_f32 v178, v165, v16
	v_fma_f32 v6, v28, v8, -v7
	s_delay_alu instid0(VALU_DEP_4)
	v_add_f32_e32 v3, v4, v173
	v_mul_f32_e32 v4, v161, v13
	v_fma_f32 v5, v158, v10, -v5
	v_dual_mul_f32 v179, v166, v19 :: v_dual_mul_f32 v180, v168, v21
	v_add_f32_e32 v2, v2, v6
	v_mul_f32_e32 v6, v163, v15
	v_add_f32_e32 v3, v3, v174
	v_fma_f32 v4, v160, v12, -v4
	s_delay_alu instid0(VALU_DEP_4) | instskip(SKIP_1) | instid1(VALU_DEP_4)
	v_dual_fmac_f32 v179, v167, v18 :: v_dual_add_f32 v2, v2, v5
	v_mul_f32_e32 v5, v165, v17
	v_add_f32_e32 v3, v3, v175
	v_fma_f32 v6, v162, v14, -v6
	v_fmac_f32_e32 v180, v169, v20
	v_add_f32_e32 v2, v2, v4
	v_mul_f32_e32 v4, v167, v19
	v_add_f32_e32 v3, v3, v176
	v_fma_f32 v5, v164, v16, -v5
	s_delay_alu instid0(VALU_DEP_4) | instskip(SKIP_1) | instid1(VALU_DEP_4)
	v_add_f32_e32 v2, v2, v6
	v_mul_f32_e32 v6, v169, v21
	v_add_f32_e32 v3, v3, v177
	v_fma_f32 v4, v166, v18, -v4
	s_delay_alu instid0(VALU_DEP_4) | instskip(NEXT) | instid1(VALU_DEP_4)
	v_add_f32_e32 v2, v2, v5
	v_fma_f32 v6, v168, v20, -v6
	s_delay_alu instid0(VALU_DEP_4) | instskip(NEXT) | instid1(VALU_DEP_3)
	v_add_f32_e32 v3, v3, v178
	v_dual_mul_f32 v5, v171, v31 :: v_dual_add_f32 v2, v2, v4
	s_delay_alu instid0(VALU_DEP_2) | instskip(NEXT) | instid1(VALU_DEP_2)
	v_add_f32_e32 v3, v3, v179
	v_fma_f32 v4, v170, v30, -v5
	s_delay_alu instid0(VALU_DEP_3) | instskip(SKIP_1) | instid1(VALU_DEP_4)
	v_add_f32_e32 v2, v2, v6
	v_fmac_f32_e32 v181, v171, v30
	v_add_f32_e32 v3, v3, v180
	s_delay_alu instid0(VALU_DEP_1) | instskip(SKIP_1) | instid1(VALU_DEP_1)
	v_dual_add_f32 v2, v2, v4 :: v_dual_add_f32 v3, v3, v181
	s_wait_loadcnt 0x0
	v_dual_sub_f32 v2, v155, v2 :: v_dual_sub_f32 v3, v156, v3
	scratch_store_b64 off, v[2:3], off offset:392
	v_cmpx_lt_u32_e32 48, v0
	s_cbranch_execz .LBB60_283
; %bb.282:
	scratch_load_b64 v[3:4], off, off offset:384
	v_mov_b32_e32 v2, v1
	scratch_store_b64 off, v[1:2], off offset:384
	s_wait_loadcnt 0x0
	ds_store_b64 v157, v[3:4]
.LBB60_283:
	s_wait_alu 0xfffe
	s_or_b32 exec_lo, exec_lo, s0
	s_wait_storecnt_dscnt 0x0
	s_barrier_signal -1
	s_barrier_wait -1
	global_inv scope:SCOPE_SE
	s_clause 0x6
	scratch_load_b128 v[2:5], off, off offset:392
	scratch_load_b128 v[6:9], off, off offset:408
	;; [unrolled: 1-line block ×6, first 2 shown]
	scratch_load_b64 v[30:31], off, off offset:384
	ds_load_2addr_b64 v[26:29], v1 offset0:111 offset1:112
	ds_load_2addr_b64 v[158:161], v1 offset0:113 offset1:114
	;; [unrolled: 1-line block ×6, first 2 shown]
	s_mov_b32 s0, exec_lo
	s_wait_loadcnt_dscnt 0x605
	v_dual_mul_f32 v1, v26, v3 :: v_dual_mul_f32 v32, v28, v5
	v_mul_f32_e32 v3, v27, v3
	v_mul_f32_e32 v5, v29, v5
	s_wait_loadcnt_dscnt 0x504
	v_dual_mul_f32 v155, v158, v7 :: v_dual_mul_f32 v156, v160, v9
	v_fmac_f32_e32 v32, v29, v4
	v_fma_f32 v3, v26, v2, -v3
	s_wait_loadcnt_dscnt 0x403
	v_dual_mul_f32 v178, v162, v11 :: v_dual_mul_f32 v179, v164, v13
	v_dual_fmac_f32 v1, v27, v2 :: v_dual_fmac_f32 v156, v161, v8
	v_mul_f32_e32 v2, v159, v7
	v_fma_f32 v4, v28, v4, -v5
	s_delay_alu instid0(VALU_DEP_4) | instskip(NEXT) | instid1(VALU_DEP_4)
	v_dual_add_f32 v3, 0, v3 :: v_dual_fmac_f32 v178, v163, v10
	v_add_f32_e32 v1, 0, v1
	s_delay_alu instid0(VALU_DEP_4) | instskip(SKIP_4) | instid1(VALU_DEP_3)
	v_fma_f32 v2, v158, v6, -v2
	s_wait_loadcnt_dscnt 0x302
	v_dual_mul_f32 v180, v166, v15 :: v_dual_mul_f32 v181, v168, v17
	v_add_f32_e32 v3, v3, v4
	v_dual_mul_f32 v5, v161, v9 :: v_dual_mul_f32 v4, v163, v11
	v_dual_add_f32 v1, v1, v32 :: v_dual_fmac_f32 v180, v167, v14
	s_delay_alu instid0(VALU_DEP_3) | instskip(NEXT) | instid1(VALU_DEP_3)
	v_add_f32_e32 v2, v3, v2
	v_fma_f32 v5, v160, v8, -v5
	v_fmac_f32_e32 v155, v159, v6
	v_fma_f32 v4, v162, v10, -v4
	s_wait_loadcnt_dscnt 0x201
	v_dual_mul_f32 v182, v170, v19 :: v_dual_mul_f32 v183, v172, v21
	s_delay_alu instid0(VALU_DEP_3) | instskip(NEXT) | instid1(VALU_DEP_2)
	v_dual_add_f32 v2, v2, v5 :: v_dual_add_f32 v1, v1, v155
	v_dual_mul_f32 v3, v165, v13 :: v_dual_fmac_f32 v182, v171, v18
	s_wait_loadcnt_dscnt 0x100
	v_dual_mul_f32 v184, v174, v23 :: v_dual_mul_f32 v185, v176, v25
	s_delay_alu instid0(VALU_DEP_3)
	v_add_f32_e32 v2, v2, v4
	v_mul_f32_e32 v4, v169, v17
	v_fma_f32 v3, v164, v12, -v3
	v_add_f32_e32 v1, v1, v156
	v_fmac_f32_e32 v183, v173, v20
	v_fmac_f32_e32 v185, v177, v24
	v_fma_f32 v4, v168, v16, -v4
	v_mul_f32_e32 v5, v167, v15
	v_dual_add_f32 v2, v2, v3 :: v_dual_add_f32 v1, v1, v178
	v_fmac_f32_e32 v184, v175, v22
	s_delay_alu instid0(VALU_DEP_3) | instskip(NEXT) | instid1(VALU_DEP_1)
	v_fma_f32 v5, v166, v14, -v5
	v_dual_fmac_f32 v179, v165, v12 :: v_dual_add_f32 v2, v2, v5
	s_delay_alu instid0(VALU_DEP_1) | instskip(SKIP_1) | instid1(VALU_DEP_3)
	v_add_f32_e32 v2, v2, v4
	v_mul_f32_e32 v4, v175, v23
	v_add_f32_e32 v1, v1, v179
	s_delay_alu instid0(VALU_DEP_2) | instskip(SKIP_1) | instid1(VALU_DEP_1)
	v_fma_f32 v4, v174, v22, -v4
	v_mul_f32_e32 v5, v173, v21
	v_fma_f32 v5, v172, v20, -v5
	v_mul_f32_e32 v3, v171, v19
	s_delay_alu instid0(VALU_DEP_1) | instskip(NEXT) | instid1(VALU_DEP_1)
	v_fma_f32 v3, v170, v18, -v3
	v_dual_fmac_f32 v181, v169, v16 :: v_dual_add_f32 v2, v2, v3
	v_mul_f32_e32 v3, v177, v25
	s_delay_alu instid0(VALU_DEP_2) | instskip(NEXT) | instid1(VALU_DEP_2)
	v_add_f32_e32 v2, v2, v5
	v_fma_f32 v3, v176, v24, -v3
	s_delay_alu instid0(VALU_DEP_2) | instskip(NEXT) | instid1(VALU_DEP_1)
	v_add_f32_e32 v2, v2, v4
	v_dual_add_f32 v1, v1, v180 :: v_dual_add_f32 v2, v2, v3
	s_delay_alu instid0(VALU_DEP_1) | instskip(NEXT) | instid1(VALU_DEP_1)
	v_add_f32_e32 v1, v1, v181
	v_add_f32_e32 v1, v1, v182
	s_delay_alu instid0(VALU_DEP_1) | instskip(NEXT) | instid1(VALU_DEP_1)
	v_add_f32_e32 v1, v1, v183
	v_add_f32_e32 v1, v1, v184
	s_delay_alu instid0(VALU_DEP_1) | instskip(SKIP_1) | instid1(VALU_DEP_1)
	v_add_f32_e32 v3, v1, v185
	s_wait_loadcnt 0x0
	v_dual_sub_f32 v1, v30, v2 :: v_dual_sub_f32 v2, v31, v3
	scratch_store_b64 off, v[1:2], off offset:384
	v_cmpx_lt_u32_e32 47, v0
	s_cbranch_execz .LBB60_285
; %bb.284:
	scratch_load_b64 v[1:2], off, off offset:376
	v_mov_b32_e32 v3, 0
	s_delay_alu instid0(VALU_DEP_1)
	v_mov_b32_e32 v4, v3
	scratch_store_b64 off, v[3:4], off offset:376
	s_wait_loadcnt 0x0
	ds_store_b64 v157, v[1:2]
.LBB60_285:
	s_wait_alu 0xfffe
	s_or_b32 exec_lo, exec_lo, s0
	s_wait_storecnt_dscnt 0x0
	s_barrier_signal -1
	s_barrier_wait -1
	global_inv scope:SCOPE_SE
	s_clause 0x7
	scratch_load_b128 v[2:5], off, off offset:384
	scratch_load_b128 v[6:9], off, off offset:400
	scratch_load_b128 v[10:13], off, off offset:416
	scratch_load_b128 v[14:17], off, off offset:432
	scratch_load_b128 v[18:21], off, off offset:448
	scratch_load_b128 v[22:25], off, off offset:464
	scratch_load_b64 v[30:31], off, off offset:480
	scratch_load_b64 v[155:156], off, off offset:376
	v_mov_b32_e32 v1, 0
	ds_load_b128 v[26:29], v1 offset:880
	ds_load_b128 v[158:161], v1 offset:896
	;; [unrolled: 1-line block ×6, first 2 shown]
	ds_load_b64 v[178:179], v1 offset:976
	s_mov_b32 s0, exec_lo
	s_wait_loadcnt_dscnt 0x706
	v_mul_f32_e32 v32, v26, v3
	v_dual_mul_f32 v3, v27, v3 :: v_dual_mul_f32 v180, v28, v5
	s_wait_loadcnt_dscnt 0x302
	v_dual_mul_f32 v181, v158, v7 :: v_dual_mul_f32 v188, v172, v21
	v_mul_f32_e32 v5, v29, v5
	s_delay_alu instid0(VALU_DEP_3) | instskip(SKIP_3) | instid1(VALU_DEP_3)
	v_fma_f32 v3, v26, v2, -v3
	s_wait_loadcnt_dscnt 0x100
	v_dual_mul_f32 v191, v178, v31 :: v_dual_fmac_f32 v32, v27, v2
	v_mul_f32_e32 v2, v159, v7
	v_dual_fmac_f32 v180, v29, v4 :: v_dual_add_f32 v3, 0, v3
	v_fma_f32 v4, v28, v4, -v5
	v_dual_mul_f32 v182, v160, v9 :: v_dual_mul_f32 v183, v162, v11
	s_delay_alu instid0(VALU_DEP_4) | instskip(SKIP_1) | instid1(VALU_DEP_4)
	v_fma_f32 v2, v158, v6, -v2
	v_dual_mul_f32 v184, v164, v13 :: v_dual_mul_f32 v185, v166, v15
	v_add_f32_e32 v3, v3, v4
	v_add_f32_e32 v5, 0, v32
	v_dual_fmac_f32 v182, v161, v8 :: v_dual_fmac_f32 v183, v163, v10
	s_delay_alu instid0(VALU_DEP_4) | instskip(NEXT) | instid1(VALU_DEP_4)
	v_fmac_f32_e32 v184, v165, v12
	v_dual_add_f32 v2, v3, v2 :: v_dual_mul_f32 v7, v161, v9
	s_delay_alu instid0(VALU_DEP_4) | instskip(SKIP_2) | instid1(VALU_DEP_4)
	v_dual_fmac_f32 v181, v159, v6 :: v_dual_add_f32 v4, v5, v180
	v_dual_mul_f32 v5, v163, v11 :: v_dual_mul_f32 v186, v168, v17
	v_mul_f32_e32 v187, v170, v19
	v_fma_f32 v6, v160, v8, -v7
	s_delay_alu instid0(VALU_DEP_4)
	v_add_f32_e32 v3, v4, v181
	v_mul_f32_e32 v4, v165, v13
	v_fma_f32 v5, v162, v10, -v5
	v_dual_fmac_f32 v185, v167, v14 :: v_dual_fmac_f32 v186, v169, v16
	v_add_f32_e32 v2, v2, v6
	v_mul_f32_e32 v6, v167, v15
	v_add_f32_e32 v3, v3, v182
	v_fma_f32 v4, v164, v12, -v4
	v_dual_mul_f32 v189, v174, v23 :: v_dual_mul_f32 v190, v176, v25
	s_delay_alu instid0(VALU_DEP_3) | instskip(SKIP_2) | instid1(VALU_DEP_3)
	v_dual_add_f32 v2, v2, v5 :: v_dual_add_f32 v3, v3, v183
	v_mul_f32_e32 v5, v169, v17
	v_fma_f32 v6, v166, v14, -v6
	v_dual_fmac_f32 v187, v171, v18 :: v_dual_add_f32 v2, v2, v4
	s_delay_alu instid0(VALU_DEP_4) | instskip(SKIP_3) | instid1(VALU_DEP_4)
	v_add_f32_e32 v3, v3, v184
	v_mul_f32_e32 v4, v171, v19
	v_fma_f32 v5, v168, v16, -v5
	v_fmac_f32_e32 v188, v173, v20
	v_dual_add_f32 v2, v2, v6 :: v_dual_add_f32 v3, v3, v185
	v_mul_f32_e32 v6, v173, v21
	v_fma_f32 v4, v170, v18, -v4
	v_dual_fmac_f32 v189, v175, v22 :: v_dual_fmac_f32 v190, v177, v24
	s_delay_alu instid0(VALU_DEP_4) | instskip(SKIP_2) | instid1(VALU_DEP_3)
	v_dual_add_f32 v2, v2, v5 :: v_dual_add_f32 v3, v3, v186
	v_mul_f32_e32 v5, v175, v23
	v_fma_f32 v6, v172, v20, -v6
	v_dual_fmac_f32 v191, v179, v30 :: v_dual_add_f32 v2, v2, v4
	s_delay_alu instid0(VALU_DEP_4) | instskip(NEXT) | instid1(VALU_DEP_4)
	v_dual_add_f32 v3, v3, v187 :: v_dual_mul_f32 v4, v177, v25
	v_fma_f32 v5, v174, v22, -v5
	s_delay_alu instid0(VALU_DEP_2) | instskip(SKIP_1) | instid1(VALU_DEP_4)
	v_dual_add_f32 v2, v2, v6 :: v_dual_add_f32 v3, v3, v188
	v_mul_f32_e32 v6, v179, v31
	v_fma_f32 v4, v176, v24, -v4
	s_delay_alu instid0(VALU_DEP_3) | instskip(NEXT) | instid1(VALU_DEP_4)
	v_add_f32_e32 v2, v2, v5
	v_add_f32_e32 v3, v3, v189
	s_delay_alu instid0(VALU_DEP_4) | instskip(NEXT) | instid1(VALU_DEP_2)
	v_fma_f32 v5, v178, v30, -v6
	v_dual_add_f32 v2, v2, v4 :: v_dual_add_f32 v3, v3, v190
	s_delay_alu instid0(VALU_DEP_1) | instskip(SKIP_1) | instid1(VALU_DEP_1)
	v_dual_add_f32 v2, v2, v5 :: v_dual_add_f32 v3, v3, v191
	s_wait_loadcnt 0x0
	v_dual_sub_f32 v2, v155, v2 :: v_dual_sub_f32 v3, v156, v3
	scratch_store_b64 off, v[2:3], off offset:376
	v_cmpx_lt_u32_e32 46, v0
	s_cbranch_execz .LBB60_287
; %bb.286:
	scratch_load_b64 v[3:4], off, off offset:368
	v_mov_b32_e32 v2, v1
	scratch_store_b64 off, v[1:2], off offset:368
	s_wait_loadcnt 0x0
	ds_store_b64 v157, v[3:4]
.LBB60_287:
	s_wait_alu 0xfffe
	s_or_b32 exec_lo, exec_lo, s0
	s_wait_storecnt_dscnt 0x0
	s_barrier_signal -1
	s_barrier_wait -1
	global_inv scope:SCOPE_SE
	s_clause 0x7
	scratch_load_b128 v[2:5], off, off offset:376
	scratch_load_b128 v[6:9], off, off offset:392
	;; [unrolled: 1-line block ×7, first 2 shown]
	scratch_load_b64 v[30:31], off, off offset:368
	ds_load_2addr_b64 v[158:161], v1 offset0:109 offset1:110
	ds_load_2addr_b64 v[162:165], v1 offset0:111 offset1:112
	;; [unrolled: 1-line block ×7, first 2 shown]
	s_mov_b32 s0, exec_lo
	s_wait_loadcnt_dscnt 0x706
	v_dual_mul_f32 v1, v158, v3 :: v_dual_mul_f32 v32, v160, v5
	v_mul_f32_e32 v3, v159, v3
	v_mul_f32_e32 v5, v161, v5
	s_wait_loadcnt_dscnt 0x605
	v_dual_mul_f32 v155, v162, v7 :: v_dual_mul_f32 v156, v164, v9
	v_fmac_f32_e32 v32, v161, v4
	v_fma_f32 v3, v158, v2, -v3
	s_wait_loadcnt_dscnt 0x504
	v_dual_mul_f32 v186, v166, v11 :: v_dual_mul_f32 v187, v168, v13
	v_dual_fmac_f32 v1, v159, v2 :: v_dual_fmac_f32 v156, v165, v8
	v_mul_f32_e32 v2, v163, v7
	v_fma_f32 v4, v160, v4, -v5
	s_delay_alu instid0(VALU_DEP_4) | instskip(NEXT) | instid1(VALU_DEP_4)
	v_dual_add_f32 v3, 0, v3 :: v_dual_fmac_f32 v186, v167, v10
	v_add_f32_e32 v1, 0, v1
	s_delay_alu instid0(VALU_DEP_4) | instskip(SKIP_4) | instid1(VALU_DEP_3)
	v_fma_f32 v2, v162, v6, -v2
	s_wait_loadcnt_dscnt 0x403
	v_dual_mul_f32 v188, v170, v15 :: v_dual_mul_f32 v189, v172, v17
	v_add_f32_e32 v3, v3, v4
	v_dual_mul_f32 v5, v165, v9 :: v_dual_mul_f32 v4, v167, v11
	v_dual_add_f32 v1, v1, v32 :: v_dual_fmac_f32 v188, v171, v14
	s_delay_alu instid0(VALU_DEP_3) | instskip(NEXT) | instid1(VALU_DEP_3)
	v_add_f32_e32 v2, v3, v2
	v_fma_f32 v5, v164, v8, -v5
	v_fmac_f32_e32 v155, v163, v6
	v_fma_f32 v4, v166, v10, -v4
	s_wait_loadcnt_dscnt 0x302
	v_dual_mul_f32 v190, v174, v19 :: v_dual_mul_f32 v191, v176, v21
	s_delay_alu instid0(VALU_DEP_3) | instskip(NEXT) | instid1(VALU_DEP_2)
	v_dual_add_f32 v2, v2, v5 :: v_dual_add_f32 v1, v1, v155
	v_dual_mul_f32 v3, v169, v13 :: v_dual_fmac_f32 v190, v175, v18
	s_wait_loadcnt_dscnt 0x201
	v_dual_mul_f32 v192, v178, v23 :: v_dual_mul_f32 v193, v180, v25
	s_delay_alu instid0(VALU_DEP_3)
	v_add_f32_e32 v2, v2, v4
	v_mul_f32_e32 v4, v173, v17
	v_fma_f32 v3, v168, v12, -v3
	s_wait_loadcnt_dscnt 0x100
	v_dual_add_f32 v1, v1, v156 :: v_dual_mul_f32 v194, v182, v27
	v_mul_f32_e32 v195, v184, v29
	v_fma_f32 v4, v172, v16, -v4
	v_mul_f32_e32 v5, v171, v15
	s_delay_alu instid0(VALU_DEP_4) | instskip(SKIP_1) | instid1(VALU_DEP_3)
	v_dual_add_f32 v2, v2, v3 :: v_dual_add_f32 v1, v1, v186
	v_dual_fmac_f32 v192, v179, v22 :: v_dual_fmac_f32 v193, v181, v24
	v_fma_f32 v5, v170, v14, -v5
	v_dual_fmac_f32 v187, v169, v12 :: v_dual_fmac_f32 v194, v183, v26
	s_delay_alu instid0(VALU_DEP_2) | instskip(NEXT) | instid1(VALU_DEP_1)
	v_dual_fmac_f32 v195, v185, v28 :: v_dual_add_f32 v2, v2, v5
	v_add_f32_e32 v2, v2, v4
	v_mul_f32_e32 v4, v179, v23
	s_delay_alu instid0(VALU_DEP_4) | instskip(NEXT) | instid1(VALU_DEP_2)
	v_add_f32_e32 v1, v1, v187
	v_fma_f32 v4, v178, v22, -v4
	v_mul_f32_e32 v5, v177, v21
	s_delay_alu instid0(VALU_DEP_3) | instskip(NEXT) | instid1(VALU_DEP_2)
	v_add_f32_e32 v1, v1, v188
	v_fma_f32 v5, v176, v20, -v5
	v_mul_f32_e32 v3, v175, v19
	s_delay_alu instid0(VALU_DEP_1) | instskip(NEXT) | instid1(VALU_DEP_1)
	v_fma_f32 v3, v174, v18, -v3
	v_dual_fmac_f32 v189, v173, v16 :: v_dual_add_f32 v2, v2, v3
	v_mul_f32_e32 v3, v181, v25
	s_delay_alu instid0(VALU_DEP_2) | instskip(NEXT) | instid1(VALU_DEP_2)
	v_dual_add_f32 v2, v2, v5 :: v_dual_mul_f32 v5, v183, v27
	v_fma_f32 v3, v180, v24, -v3
	s_delay_alu instid0(VALU_DEP_2) | instskip(SKIP_1) | instid1(VALU_DEP_4)
	v_dual_add_f32 v2, v2, v4 :: v_dual_add_f32 v1, v1, v189
	v_mul_f32_e32 v4, v185, v29
	v_fma_f32 v5, v182, v26, -v5
	s_delay_alu instid0(VALU_DEP_3) | instskip(NEXT) | instid1(VALU_DEP_3)
	v_dual_add_f32 v2, v2, v3 :: v_dual_fmac_f32 v191, v177, v20
	v_fma_f32 v3, v184, v28, -v4
	s_delay_alu instid0(VALU_DEP_2) | instskip(NEXT) | instid1(VALU_DEP_1)
	v_dual_add_f32 v2, v2, v5 :: v_dual_add_f32 v1, v1, v190
	v_add_f32_e32 v2, v2, v3
	s_delay_alu instid0(VALU_DEP_2) | instskip(NEXT) | instid1(VALU_DEP_1)
	v_add_f32_e32 v1, v1, v191
	v_add_f32_e32 v1, v1, v192
	s_delay_alu instid0(VALU_DEP_1) | instskip(NEXT) | instid1(VALU_DEP_1)
	v_add_f32_e32 v1, v1, v193
	v_add_f32_e32 v1, v1, v194
	s_delay_alu instid0(VALU_DEP_1) | instskip(SKIP_1) | instid1(VALU_DEP_1)
	v_add_f32_e32 v3, v1, v195
	s_wait_loadcnt 0x0
	v_dual_sub_f32 v1, v30, v2 :: v_dual_sub_f32 v2, v31, v3
	scratch_store_b64 off, v[1:2], off offset:368
	v_cmpx_lt_u32_e32 45, v0
	s_cbranch_execz .LBB60_289
; %bb.288:
	scratch_load_b64 v[1:2], off, off offset:360
	v_mov_b32_e32 v3, 0
	s_delay_alu instid0(VALU_DEP_1)
	v_mov_b32_e32 v4, v3
	scratch_store_b64 off, v[3:4], off offset:360
	s_wait_loadcnt 0x0
	ds_store_b64 v157, v[1:2]
.LBB60_289:
	s_wait_alu 0xfffe
	s_or_b32 exec_lo, exec_lo, s0
	s_wait_storecnt_dscnt 0x0
	s_barrier_signal -1
	s_barrier_wait -1
	global_inv scope:SCOPE_SE
	s_clause 0x8
	scratch_load_b128 v[2:5], off, off offset:368
	scratch_load_b128 v[6:9], off, off offset:384
	;; [unrolled: 1-line block ×7, first 2 shown]
	scratch_load_b64 v[30:31], off, off offset:480
	scratch_load_b64 v[155:156], off, off offset:360
	v_mov_b32_e32 v1, 0
	ds_load_b128 v[158:161], v1 offset:864
	ds_load_b128 v[162:165], v1 offset:880
	;; [unrolled: 1-line block ×7, first 2 shown]
	ds_load_b64 v[186:187], v1 offset:976
	s_mov_b32 s0, exec_lo
	s_wait_loadcnt_dscnt 0x807
	v_mul_f32_e32 v32, v158, v3
	v_dual_mul_f32 v3, v159, v3 :: v_dual_mul_f32 v188, v160, v5
	s_wait_loadcnt_dscnt 0x706
	v_mul_f32_e32 v189, v162, v7
	v_mul_f32_e32 v5, v161, v5
	s_wait_loadcnt_dscnt 0x302
	v_mul_f32_e32 v198, v180, v25
	v_fma_f32 v3, v158, v2, -v3
	s_wait_loadcnt_dscnt 0x100
	v_dual_mul_f32 v201, v186, v31 :: v_dual_fmac_f32 v32, v159, v2
	v_mul_f32_e32 v2, v163, v7
	s_delay_alu instid0(VALU_DEP_3) | instskip(SKIP_2) | instid1(VALU_DEP_4)
	v_dual_fmac_f32 v188, v161, v4 :: v_dual_add_f32 v3, 0, v3
	v_fma_f32 v4, v160, v4, -v5
	v_dual_mul_f32 v190, v164, v9 :: v_dual_mul_f32 v191, v166, v11
	v_fma_f32 v2, v162, v6, -v2
	v_dual_mul_f32 v192, v168, v13 :: v_dual_mul_f32 v193, v170, v15
	s_delay_alu instid0(VALU_DEP_4) | instskip(SKIP_1) | instid1(VALU_DEP_3)
	v_add_f32_e32 v3, v3, v4
	v_add_f32_e32 v5, 0, v32
	v_dual_fmac_f32 v191, v167, v10 :: v_dual_fmac_f32 v192, v169, v12
	v_fmac_f32_e32 v190, v165, v8
	s_delay_alu instid0(VALU_DEP_4) | instskip(NEXT) | instid1(VALU_DEP_4)
	v_dual_add_f32 v2, v3, v2 :: v_dual_mul_f32 v7, v165, v9
	v_dual_fmac_f32 v189, v163, v6 :: v_dual_add_f32 v4, v5, v188
	v_dual_mul_f32 v5, v167, v11 :: v_dual_mul_f32 v194, v172, v17
	v_mul_f32_e32 v195, v174, v19
	s_delay_alu instid0(VALU_DEP_4) | instskip(NEXT) | instid1(VALU_DEP_4)
	v_fma_f32 v6, v164, v8, -v7
	v_add_f32_e32 v3, v4, v189
	v_mul_f32_e32 v4, v169, v13
	v_fma_f32 v5, v166, v10, -v5
	v_dual_fmac_f32 v193, v171, v14 :: v_dual_fmac_f32 v194, v173, v16
	v_add_f32_e32 v2, v2, v6
	v_mul_f32_e32 v6, v171, v15
	v_add_f32_e32 v3, v3, v190
	v_fma_f32 v4, v168, v12, -v4
	v_dual_mul_f32 v196, v176, v21 :: v_dual_mul_f32 v197, v178, v23
	s_delay_alu instid0(VALU_DEP_3) | instskip(SKIP_2) | instid1(VALU_DEP_3)
	v_dual_add_f32 v2, v2, v5 :: v_dual_add_f32 v3, v3, v191
	v_mul_f32_e32 v5, v173, v17
	v_fma_f32 v6, v170, v14, -v6
	v_dual_fmac_f32 v195, v175, v18 :: v_dual_add_f32 v2, v2, v4
	s_delay_alu instid0(VALU_DEP_4) | instskip(SKIP_3) | instid1(VALU_DEP_4)
	v_add_f32_e32 v3, v3, v192
	v_mul_f32_e32 v4, v175, v19
	v_fma_f32 v5, v172, v16, -v5
	v_fmac_f32_e32 v196, v177, v20
	v_dual_add_f32 v2, v2, v6 :: v_dual_add_f32 v3, v3, v193
	v_mul_f32_e32 v6, v177, v21
	v_fma_f32 v4, v174, v18, -v4
	v_dual_mul_f32 v199, v182, v27 :: v_dual_mul_f32 v200, v184, v29
	s_delay_alu instid0(VALU_DEP_4) | instskip(SKIP_3) | instid1(VALU_DEP_4)
	v_dual_add_f32 v2, v2, v5 :: v_dual_add_f32 v3, v3, v194
	v_mul_f32_e32 v5, v179, v23
	v_fma_f32 v6, v176, v20, -v6
	v_dual_fmac_f32 v197, v179, v22 :: v_dual_fmac_f32 v198, v181, v24
	v_dual_add_f32 v2, v2, v4 :: v_dual_add_f32 v3, v3, v195
	v_mul_f32_e32 v4, v181, v25
	v_fma_f32 v5, v178, v22, -v5
	v_fmac_f32_e32 v199, v183, v26
	s_delay_alu instid0(VALU_DEP_4) | instskip(SKIP_3) | instid1(VALU_DEP_4)
	v_dual_add_f32 v2, v2, v6 :: v_dual_add_f32 v3, v3, v196
	v_mul_f32_e32 v6, v183, v27
	v_fma_f32 v4, v180, v24, -v4
	v_fmac_f32_e32 v200, v185, v28
	v_add_f32_e32 v2, v2, v5
	v_add_f32_e32 v3, v3, v197
	v_mul_f32_e32 v5, v185, v29
	v_fma_f32 v6, v182, v26, -v6
	s_delay_alu instid0(VALU_DEP_3) | instskip(SKIP_1) | instid1(VALU_DEP_4)
	v_dual_add_f32 v2, v2, v4 :: v_dual_add_f32 v3, v3, v198
	v_mul_f32_e32 v4, v187, v31
	v_fma_f32 v5, v184, v28, -v5
	s_delay_alu instid0(VALU_DEP_3) | instskip(SKIP_1) | instid1(VALU_DEP_4)
	v_dual_add_f32 v2, v2, v6 :: v_dual_add_f32 v3, v3, v199
	v_fmac_f32_e32 v201, v187, v30
	v_fma_f32 v4, v186, v30, -v4
	s_delay_alu instid0(VALU_DEP_3) | instskip(NEXT) | instid1(VALU_DEP_1)
	v_dual_add_f32 v2, v2, v5 :: v_dual_add_f32 v3, v3, v200
	v_dual_add_f32 v2, v2, v4 :: v_dual_add_f32 v3, v3, v201
	s_wait_loadcnt 0x0
	s_delay_alu instid0(VALU_DEP_1)
	v_dual_sub_f32 v2, v155, v2 :: v_dual_sub_f32 v3, v156, v3
	scratch_store_b64 off, v[2:3], off offset:360
	v_cmpx_lt_u32_e32 44, v0
	s_cbranch_execz .LBB60_291
; %bb.290:
	scratch_load_b64 v[3:4], off, off offset:352
	v_mov_b32_e32 v2, v1
	scratch_store_b64 off, v[1:2], off offset:352
	s_wait_loadcnt 0x0
	ds_store_b64 v157, v[3:4]
.LBB60_291:
	s_wait_alu 0xfffe
	s_or_b32 exec_lo, exec_lo, s0
	s_wait_storecnt_dscnt 0x0
	s_barrier_signal -1
	s_barrier_wait -1
	global_inv scope:SCOPE_SE
	s_clause 0x8
	scratch_load_b128 v[2:5], off, off offset:360
	scratch_load_b128 v[6:9], off, off offset:376
	;; [unrolled: 1-line block ×8, first 2 shown]
	scratch_load_b64 v[30:31], off, off offset:352
	ds_load_2addr_b64 v[162:165], v1 offset0:107 offset1:108
	ds_load_2addr_b64 v[166:169], v1 offset0:109 offset1:110
	ds_load_2addr_b64 v[170:173], v1 offset0:111 offset1:112
	ds_load_2addr_b64 v[174:177], v1 offset0:113 offset1:114
	ds_load_2addr_b64 v[178:181], v1 offset0:115 offset1:116
	ds_load_2addr_b64 v[182:185], v1 offset0:117 offset1:118
	ds_load_2addr_b64 v[186:189], v1 offset0:119 offset1:120
	ds_load_2addr_b64 v[190:193], v1 offset0:121 offset1:122
	s_mov_b32 s0, exec_lo
	s_wait_loadcnt_dscnt 0x807
	v_dual_mul_f32 v1, v162, v3 :: v_dual_mul_f32 v32, v164, v5
	v_mul_f32_e32 v3, v163, v3
	v_mul_f32_e32 v5, v165, v5
	s_wait_loadcnt_dscnt 0x706
	v_dual_mul_f32 v155, v166, v7 :: v_dual_mul_f32 v156, v168, v9
	v_fmac_f32_e32 v32, v165, v4
	v_fma_f32 v3, v162, v2, -v3
	s_wait_loadcnt_dscnt 0x605
	v_dual_mul_f32 v194, v170, v11 :: v_dual_mul_f32 v195, v172, v13
	v_dual_fmac_f32 v1, v163, v2 :: v_dual_fmac_f32 v156, v169, v8
	v_mul_f32_e32 v2, v167, v7
	v_fma_f32 v4, v164, v4, -v5
	s_delay_alu instid0(VALU_DEP_4) | instskip(NEXT) | instid1(VALU_DEP_4)
	v_dual_add_f32 v3, 0, v3 :: v_dual_fmac_f32 v194, v171, v10
	v_add_f32_e32 v1, 0, v1
	s_delay_alu instid0(VALU_DEP_4) | instskip(SKIP_4) | instid1(VALU_DEP_3)
	v_fma_f32 v2, v166, v6, -v2
	s_wait_loadcnt_dscnt 0x504
	v_dual_mul_f32 v196, v174, v15 :: v_dual_mul_f32 v197, v176, v17
	v_add_f32_e32 v3, v3, v4
	v_dual_mul_f32 v5, v169, v9 :: v_dual_mul_f32 v4, v171, v11
	v_dual_add_f32 v1, v1, v32 :: v_dual_fmac_f32 v196, v175, v14
	s_delay_alu instid0(VALU_DEP_3) | instskip(NEXT) | instid1(VALU_DEP_3)
	v_add_f32_e32 v2, v3, v2
	v_fma_f32 v5, v168, v8, -v5
	v_fmac_f32_e32 v155, v167, v6
	v_fma_f32 v4, v170, v10, -v4
	s_wait_loadcnt_dscnt 0x403
	v_dual_mul_f32 v198, v178, v19 :: v_dual_mul_f32 v199, v180, v21
	s_delay_alu instid0(VALU_DEP_3) | instskip(NEXT) | instid1(VALU_DEP_2)
	v_dual_add_f32 v2, v2, v5 :: v_dual_add_f32 v1, v1, v155
	v_dual_mul_f32 v3, v173, v13 :: v_dual_fmac_f32 v198, v179, v18
	s_wait_loadcnt_dscnt 0x302
	v_dual_mul_f32 v200, v182, v23 :: v_dual_mul_f32 v201, v184, v25
	s_delay_alu instid0(VALU_DEP_3)
	v_add_f32_e32 v2, v2, v4
	v_mul_f32_e32 v4, v177, v17
	v_fma_f32 v3, v172, v12, -v3
	s_wait_loadcnt_dscnt 0x100
	v_dual_add_f32 v1, v1, v156 :: v_dual_mul_f32 v204, v190, v159
	v_mul_f32_e32 v205, v192, v161
	v_fma_f32 v4, v176, v16, -v4
	v_mul_f32_e32 v5, v175, v15
	s_delay_alu instid0(VALU_DEP_4) | instskip(SKIP_1) | instid1(VALU_DEP_3)
	v_dual_add_f32 v2, v2, v3 :: v_dual_add_f32 v1, v1, v194
	v_dual_mul_f32 v202, v186, v27 :: v_dual_mul_f32 v203, v188, v29
	v_fma_f32 v5, v174, v14, -v5
	v_dual_fmac_f32 v195, v173, v12 :: v_dual_fmac_f32 v200, v183, v22
	s_delay_alu instid0(VALU_DEP_3) | instskip(NEXT) | instid1(VALU_DEP_3)
	v_dual_fmac_f32 v202, v187, v26 :: v_dual_fmac_f32 v203, v189, v28
	v_dual_add_f32 v2, v2, v5 :: v_dual_fmac_f32 v205, v193, v160
	v_fmac_f32_e32 v204, v191, v158
	s_delay_alu instid0(VALU_DEP_2) | instskip(SKIP_2) | instid1(VALU_DEP_2)
	v_add_f32_e32 v2, v2, v4
	v_mul_f32_e32 v4, v183, v23
	v_add_f32_e32 v1, v1, v195
	v_fma_f32 v4, v182, v22, -v4
	v_mul_f32_e32 v5, v181, v21
	s_delay_alu instid0(VALU_DEP_3) | instskip(NEXT) | instid1(VALU_DEP_2)
	v_add_f32_e32 v1, v1, v196
	v_fma_f32 v5, v180, v20, -v5
	v_mul_f32_e32 v3, v179, v19
	s_delay_alu instid0(VALU_DEP_1) | instskip(NEXT) | instid1(VALU_DEP_1)
	v_fma_f32 v3, v178, v18, -v3
	v_dual_fmac_f32 v197, v177, v16 :: v_dual_add_f32 v2, v2, v3
	v_mul_f32_e32 v3, v185, v25
	s_delay_alu instid0(VALU_DEP_2) | instskip(NEXT) | instid1(VALU_DEP_2)
	v_dual_add_f32 v2, v2, v5 :: v_dual_mul_f32 v5, v187, v27
	v_fma_f32 v3, v184, v24, -v3
	s_delay_alu instid0(VALU_DEP_2) | instskip(SKIP_1) | instid1(VALU_DEP_4)
	v_dual_add_f32 v2, v2, v4 :: v_dual_add_f32 v1, v1, v197
	v_mul_f32_e32 v4, v189, v29
	v_fma_f32 v5, v186, v26, -v5
	s_delay_alu instid0(VALU_DEP_3) | instskip(SKIP_1) | instid1(VALU_DEP_4)
	v_dual_add_f32 v2, v2, v3 :: v_dual_fmac_f32 v199, v181, v20
	v_mul_f32_e32 v3, v191, v159
	v_fma_f32 v4, v188, v28, -v4
	s_delay_alu instid0(VALU_DEP_3) | instskip(SKIP_1) | instid1(VALU_DEP_4)
	v_dual_add_f32 v2, v2, v5 :: v_dual_add_f32 v1, v1, v198
	v_mul_f32_e32 v5, v193, v161
	v_fma_f32 v3, v190, v158, -v3
	s_delay_alu instid0(VALU_DEP_3) | instskip(SKIP_1) | instid1(VALU_DEP_4)
	v_add_f32_e32 v2, v2, v4
	v_fmac_f32_e32 v201, v185, v24
	v_fma_f32 v4, v192, v160, -v5
	s_delay_alu instid0(VALU_DEP_3) | instskip(NEXT) | instid1(VALU_DEP_1)
	v_add_f32_e32 v2, v2, v3
	v_dual_add_f32 v1, v1, v199 :: v_dual_add_f32 v2, v2, v4
	s_delay_alu instid0(VALU_DEP_1) | instskip(NEXT) | instid1(VALU_DEP_1)
	v_add_f32_e32 v1, v1, v200
	v_add_f32_e32 v1, v1, v201
	s_delay_alu instid0(VALU_DEP_1) | instskip(NEXT) | instid1(VALU_DEP_1)
	v_add_f32_e32 v1, v1, v202
	v_add_f32_e32 v1, v1, v203
	;; [unrolled: 3-line block ×3, first 2 shown]
	s_wait_loadcnt 0x0
	s_delay_alu instid0(VALU_DEP_1)
	v_dual_sub_f32 v1, v30, v2 :: v_dual_sub_f32 v2, v31, v3
	scratch_store_b64 off, v[1:2], off offset:352
	v_cmpx_lt_u32_e32 43, v0
	s_cbranch_execz .LBB60_293
; %bb.292:
	scratch_load_b64 v[1:2], off, off offset:344
	v_mov_b32_e32 v3, 0
	s_delay_alu instid0(VALU_DEP_1)
	v_mov_b32_e32 v4, v3
	scratch_store_b64 off, v[3:4], off offset:344
	s_wait_loadcnt 0x0
	ds_store_b64 v157, v[1:2]
.LBB60_293:
	s_wait_alu 0xfffe
	s_or_b32 exec_lo, exec_lo, s0
	s_wait_storecnt_dscnt 0x0
	s_barrier_signal -1
	s_barrier_wait -1
	global_inv scope:SCOPE_SE
	s_clause 0x9
	scratch_load_b128 v[2:5], off, off offset:352
	scratch_load_b128 v[6:9], off, off offset:368
	;; [unrolled: 1-line block ×8, first 2 shown]
	scratch_load_b64 v[30:31], off, off offset:480
	scratch_load_b64 v[155:156], off, off offset:344
	v_mov_b32_e32 v1, 0
	ds_load_b128 v[162:165], v1 offset:848
	ds_load_b128 v[166:169], v1 offset:864
	;; [unrolled: 1-line block ×8, first 2 shown]
	ds_load_b64 v[194:195], v1 offset:976
	s_mov_b32 s0, exec_lo
	s_wait_loadcnt_dscnt 0x908
	v_mul_f32_e32 v32, v162, v3
	s_wait_loadcnt_dscnt 0x807
	v_dual_mul_f32 v196, v164, v5 :: v_dual_mul_f32 v197, v166, v7
	v_mul_f32_e32 v3, v163, v3
	s_delay_alu instid0(VALU_DEP_3)
	v_dual_mul_f32 v5, v165, v5 :: v_dual_fmac_f32 v32, v163, v2
	s_wait_loadcnt_dscnt 0x302
	v_mul_f32_e32 v208, v188, v29
	v_dual_mul_f32 v198, v168, v9 :: v_dual_mul_f32 v199, v170, v11
	v_fma_f32 v3, v162, v2, -v3
	s_wait_loadcnt_dscnt 0x100
	v_mul_f32_e32 v211, v194, v31
	v_mul_f32_e32 v2, v167, v7
	v_fmac_f32_e32 v196, v165, v4
	v_fma_f32 v4, v164, v4, -v5
	v_dual_add_f32 v3, 0, v3 :: v_dual_mul_f32 v200, v172, v13
	v_mul_f32_e32 v201, v174, v15
	v_fma_f32 v2, v166, v6, -v2
	v_fmac_f32_e32 v199, v171, v10
	s_delay_alu instid0(VALU_DEP_4)
	v_add_f32_e32 v3, v3, v4
	v_add_f32_e32 v5, 0, v32
	v_fmac_f32_e32 v200, v173, v12
	v_fmac_f32_e32 v198, v169, v8
	v_dual_mul_f32 v202, v176, v17 :: v_dual_mul_f32 v203, v178, v19
	v_dual_add_f32 v2, v3, v2 :: v_dual_mul_f32 v7, v169, v9
	v_dual_fmac_f32 v197, v167, v6 :: v_dual_add_f32 v4, v5, v196
	v_mul_f32_e32 v5, v171, v11
	s_delay_alu instid0(VALU_DEP_4) | instskip(NEXT) | instid1(VALU_DEP_4)
	v_dual_fmac_f32 v201, v175, v14 :: v_dual_fmac_f32 v202, v177, v16
	v_fma_f32 v6, v168, v8, -v7
	s_delay_alu instid0(VALU_DEP_4)
	v_add_f32_e32 v3, v4, v197
	v_mul_f32_e32 v4, v173, v13
	v_fma_f32 v5, v170, v10, -v5
	v_dual_mul_f32 v204, v180, v21 :: v_dual_mul_f32 v205, v182, v23
	v_add_f32_e32 v2, v2, v6
	v_mul_f32_e32 v6, v175, v15
	v_add_f32_e32 v3, v3, v198
	v_fma_f32 v4, v172, v12, -v4
	v_dual_mul_f32 v206, v184, v25 :: v_dual_mul_f32 v207, v186, v27
	s_delay_alu instid0(VALU_DEP_3) | instskip(SKIP_2) | instid1(VALU_DEP_3)
	v_dual_add_f32 v2, v2, v5 :: v_dual_add_f32 v3, v3, v199
	v_mul_f32_e32 v5, v177, v17
	v_fma_f32 v6, v174, v14, -v6
	v_dual_fmac_f32 v203, v179, v18 :: v_dual_add_f32 v2, v2, v4
	s_delay_alu instid0(VALU_DEP_4) | instskip(SKIP_3) | instid1(VALU_DEP_4)
	v_add_f32_e32 v3, v3, v200
	v_mul_f32_e32 v4, v179, v19
	v_fma_f32 v5, v176, v16, -v5
	v_fmac_f32_e32 v204, v181, v20
	v_dual_add_f32 v2, v2, v6 :: v_dual_add_f32 v3, v3, v201
	v_mul_f32_e32 v6, v181, v21
	v_fma_f32 v4, v178, v18, -v4
	v_dual_fmac_f32 v205, v183, v22 :: v_dual_fmac_f32 v206, v185, v24
	s_delay_alu instid0(VALU_DEP_4) | instskip(SKIP_3) | instid1(VALU_DEP_4)
	v_dual_add_f32 v2, v2, v5 :: v_dual_add_f32 v3, v3, v202
	v_mul_f32_e32 v5, v183, v23
	v_fma_f32 v6, v180, v20, -v6
	v_dual_mul_f32 v209, v190, v159 :: v_dual_mul_f32 v210, v192, v161
	v_dual_add_f32 v2, v2, v4 :: v_dual_add_f32 v3, v3, v203
	v_mul_f32_e32 v4, v185, v25
	v_fma_f32 v5, v182, v22, -v5
	v_fmac_f32_e32 v207, v187, v26
	s_delay_alu instid0(VALU_DEP_4) | instskip(SKIP_3) | instid1(VALU_DEP_4)
	v_dual_add_f32 v2, v2, v6 :: v_dual_add_f32 v3, v3, v204
	v_mul_f32_e32 v6, v187, v27
	v_fma_f32 v4, v184, v24, -v4
	v_fmac_f32_e32 v208, v189, v28
	v_add_f32_e32 v2, v2, v5
	v_add_f32_e32 v3, v3, v205
	v_mul_f32_e32 v5, v189, v29
	v_fma_f32 v6, v186, v26, -v6
	s_delay_alu instid0(VALU_DEP_4) | instskip(NEXT) | instid1(VALU_DEP_4)
	v_dual_fmac_f32 v209, v191, v158 :: v_dual_add_f32 v2, v2, v4
	v_add_f32_e32 v3, v3, v206
	v_mul_f32_e32 v4, v191, v159
	v_fma_f32 v5, v188, v28, -v5
	v_fmac_f32_e32 v210, v193, v160
	s_delay_alu instid0(VALU_DEP_4) | instskip(SKIP_2) | instid1(VALU_DEP_3)
	v_dual_add_f32 v2, v2, v6 :: v_dual_add_f32 v3, v3, v207
	v_mul_f32_e32 v6, v193, v161
	v_fma_f32 v4, v190, v158, -v4
	v_dual_add_f32 v2, v2, v5 :: v_dual_add_f32 v3, v3, v208
	v_mul_f32_e32 v5, v195, v31
	s_delay_alu instid0(VALU_DEP_4) | instskip(NEXT) | instid1(VALU_DEP_3)
	v_fma_f32 v6, v192, v160, -v6
	v_dual_add_f32 v2, v2, v4 :: v_dual_add_f32 v3, v3, v209
	s_delay_alu instid0(VALU_DEP_3) | instskip(NEXT) | instid1(VALU_DEP_2)
	v_fma_f32 v4, v194, v30, -v5
	v_add_f32_e32 v3, v3, v210
	s_delay_alu instid0(VALU_DEP_3) | instskip(NEXT) | instid1(VALU_DEP_1)
	v_add_f32_e32 v2, v2, v6
	v_dual_fmac_f32 v211, v195, v30 :: v_dual_add_f32 v2, v2, v4
	s_delay_alu instid0(VALU_DEP_1) | instskip(SKIP_1) | instid1(VALU_DEP_1)
	v_add_f32_e32 v3, v3, v211
	s_wait_loadcnt 0x0
	v_dual_sub_f32 v2, v155, v2 :: v_dual_sub_f32 v3, v156, v3
	scratch_store_b64 off, v[2:3], off offset:344
	v_cmpx_lt_u32_e32 42, v0
	s_cbranch_execz .LBB60_295
; %bb.294:
	scratch_load_b64 v[3:4], off, off offset:336
	v_mov_b32_e32 v2, v1
	scratch_store_b64 off, v[1:2], off offset:336
	s_wait_loadcnt 0x0
	ds_store_b64 v157, v[3:4]
.LBB60_295:
	s_wait_alu 0xfffe
	s_or_b32 exec_lo, exec_lo, s0
	s_wait_storecnt_dscnt 0x0
	s_barrier_signal -1
	s_barrier_wait -1
	global_inv scope:SCOPE_SE
	s_clause 0x9
	scratch_load_b128 v[2:5], off, off offset:344
	scratch_load_b128 v[6:9], off, off offset:360
	;; [unrolled: 1-line block ×9, first 2 shown]
	scratch_load_b64 v[30:31], off, off offset:336
	ds_load_2addr_b64 v[166:169], v1 offset0:105 offset1:106
	ds_load_2addr_b64 v[170:173], v1 offset0:107 offset1:108
	;; [unrolled: 1-line block ×9, first 2 shown]
	s_mov_b32 s0, exec_lo
	s_wait_loadcnt_dscnt 0x908
	v_dual_mul_f32 v1, v166, v3 :: v_dual_mul_f32 v32, v168, v5
	v_mul_f32_e32 v3, v167, v3
	v_mul_f32_e32 v5, v169, v5
	s_wait_loadcnt_dscnt 0x807
	v_dual_mul_f32 v155, v170, v7 :: v_dual_mul_f32 v156, v172, v9
	v_fmac_f32_e32 v32, v169, v4
	v_fma_f32 v3, v166, v2, -v3
	s_wait_loadcnt_dscnt 0x706
	v_dual_mul_f32 v202, v174, v11 :: v_dual_mul_f32 v203, v176, v13
	v_dual_fmac_f32 v1, v167, v2 :: v_dual_fmac_f32 v156, v173, v8
	v_mul_f32_e32 v2, v171, v7
	v_fma_f32 v4, v168, v4, -v5
	s_delay_alu instid0(VALU_DEP_4) | instskip(NEXT) | instid1(VALU_DEP_4)
	v_dual_add_f32 v3, 0, v3 :: v_dual_fmac_f32 v202, v175, v10
	v_add_f32_e32 v1, 0, v1
	s_delay_alu instid0(VALU_DEP_4) | instskip(SKIP_4) | instid1(VALU_DEP_3)
	v_fma_f32 v2, v170, v6, -v2
	s_wait_loadcnt_dscnt 0x605
	v_dual_mul_f32 v204, v178, v15 :: v_dual_mul_f32 v205, v180, v17
	v_add_f32_e32 v3, v3, v4
	v_dual_mul_f32 v5, v173, v9 :: v_dual_mul_f32 v4, v175, v11
	v_dual_add_f32 v1, v1, v32 :: v_dual_fmac_f32 v204, v179, v14
	s_delay_alu instid0(VALU_DEP_3) | instskip(NEXT) | instid1(VALU_DEP_3)
	v_add_f32_e32 v2, v3, v2
	v_fma_f32 v5, v172, v8, -v5
	v_fmac_f32_e32 v155, v171, v6
	v_fma_f32 v4, v174, v10, -v4
	s_wait_loadcnt_dscnt 0x504
	v_dual_mul_f32 v206, v182, v19 :: v_dual_mul_f32 v207, v184, v21
	s_delay_alu instid0(VALU_DEP_3) | instskip(NEXT) | instid1(VALU_DEP_2)
	v_dual_add_f32 v2, v2, v5 :: v_dual_add_f32 v1, v1, v155
	v_dual_mul_f32 v3, v177, v13 :: v_dual_fmac_f32 v206, v183, v18
	s_wait_loadcnt_dscnt 0x403
	v_dual_mul_f32 v208, v186, v23 :: v_dual_mul_f32 v209, v188, v25
	s_delay_alu instid0(VALU_DEP_3)
	v_add_f32_e32 v2, v2, v4
	v_mul_f32_e32 v4, v181, v17
	v_fma_f32 v3, v176, v12, -v3
	s_wait_loadcnt_dscnt 0x201
	v_dual_add_f32 v1, v1, v156 :: v_dual_mul_f32 v212, v194, v159
	v_mul_f32_e32 v213, v196, v161
	v_fma_f32 v4, v180, v16, -v4
	v_mul_f32_e32 v5, v179, v15
	s_delay_alu instid0(VALU_DEP_4) | instskip(SKIP_1) | instid1(VALU_DEP_3)
	v_dual_add_f32 v2, v2, v3 :: v_dual_add_f32 v1, v1, v202
	v_dual_mul_f32 v210, v190, v27 :: v_dual_mul_f32 v211, v192, v29
	v_fma_f32 v5, v178, v14, -v5
	v_dual_fmac_f32 v203, v177, v12 :: v_dual_fmac_f32 v208, v187, v22
	s_delay_alu instid0(VALU_DEP_3) | instskip(SKIP_4) | instid1(VALU_DEP_3)
	v_fmac_f32_e32 v210, v191, v26
	s_wait_loadcnt_dscnt 0x100
	v_dual_mul_f32 v214, v198, v163 :: v_dual_mul_f32 v215, v200, v165
	v_dual_add_f32 v2, v2, v5 :: v_dual_fmac_f32 v209, v189, v24
	v_dual_fmac_f32 v213, v197, v160 :: v_dual_fmac_f32 v212, v195, v158
	v_fmac_f32_e32 v215, v201, v164
	s_delay_alu instid0(VALU_DEP_3) | instskip(SKIP_2) | instid1(VALU_DEP_2)
	v_add_f32_e32 v2, v2, v4
	v_mul_f32_e32 v4, v187, v23
	v_dual_add_f32 v1, v1, v203 :: v_dual_fmac_f32 v214, v199, v162
	v_fma_f32 v4, v186, v22, -v4
	v_mul_f32_e32 v5, v185, v21
	s_delay_alu instid0(VALU_DEP_3) | instskip(NEXT) | instid1(VALU_DEP_2)
	v_add_f32_e32 v1, v1, v204
	v_fma_f32 v5, v184, v20, -v5
	v_mul_f32_e32 v3, v183, v19
	s_delay_alu instid0(VALU_DEP_1) | instskip(NEXT) | instid1(VALU_DEP_1)
	v_fma_f32 v3, v182, v18, -v3
	v_dual_fmac_f32 v205, v181, v16 :: v_dual_add_f32 v2, v2, v3
	v_mul_f32_e32 v3, v189, v25
	s_delay_alu instid0(VALU_DEP_2) | instskip(NEXT) | instid1(VALU_DEP_2)
	v_dual_add_f32 v2, v2, v5 :: v_dual_mul_f32 v5, v191, v27
	v_fma_f32 v3, v188, v24, -v3
	s_delay_alu instid0(VALU_DEP_2) | instskip(SKIP_1) | instid1(VALU_DEP_4)
	v_dual_add_f32 v2, v2, v4 :: v_dual_add_f32 v1, v1, v205
	v_mul_f32_e32 v4, v193, v29
	v_fma_f32 v5, v190, v26, -v5
	s_delay_alu instid0(VALU_DEP_3) | instskip(NEXT) | instid1(VALU_DEP_3)
	v_dual_add_f32 v2, v2, v3 :: v_dual_fmac_f32 v207, v185, v20
	v_fma_f32 v4, v192, v28, -v4
	s_delay_alu instid0(VALU_DEP_2) | instskip(SKIP_1) | instid1(VALU_DEP_2)
	v_add_f32_e32 v2, v2, v5
	v_mul_f32_e32 v5, v197, v161
	v_dual_add_f32 v1, v1, v206 :: v_dual_add_f32 v2, v2, v4
	s_delay_alu instid0(VALU_DEP_2) | instskip(SKIP_1) | instid1(VALU_DEP_3)
	v_fma_f32 v5, v196, v160, -v5
	v_mul_f32_e32 v3, v195, v159
	v_add_f32_e32 v1, v1, v207
	v_mul_f32_e32 v4, v199, v163
	s_delay_alu instid0(VALU_DEP_3) | instskip(NEXT) | instid1(VALU_DEP_3)
	v_fma_f32 v3, v194, v158, -v3
	v_add_f32_e32 v1, v1, v208
	s_delay_alu instid0(VALU_DEP_3) | instskip(NEXT) | instid1(VALU_DEP_3)
	v_fma_f32 v4, v198, v162, -v4
	v_dual_add_f32 v2, v2, v3 :: v_dual_mul_f32 v3, v201, v165
	s_delay_alu instid0(VALU_DEP_1) | instskip(NEXT) | instid1(VALU_DEP_4)
	v_add_f32_e32 v2, v2, v5
	v_add_f32_e32 v1, v1, v209
	s_delay_alu instid0(VALU_DEP_3) | instskip(NEXT) | instid1(VALU_DEP_3)
	v_fma_f32 v3, v200, v164, -v3
	v_add_f32_e32 v2, v2, v4
	v_fmac_f32_e32 v211, v193, v28
	s_delay_alu instid0(VALU_DEP_2) | instskip(NEXT) | instid1(VALU_DEP_1)
	v_dual_add_f32 v1, v1, v210 :: v_dual_add_f32 v2, v2, v3
	v_add_f32_e32 v1, v1, v211
	s_delay_alu instid0(VALU_DEP_1) | instskip(NEXT) | instid1(VALU_DEP_1)
	v_add_f32_e32 v1, v1, v212
	v_add_f32_e32 v1, v1, v213
	s_delay_alu instid0(VALU_DEP_1) | instskip(NEXT) | instid1(VALU_DEP_1)
	v_add_f32_e32 v1, v1, v214
	v_add_f32_e32 v3, v1, v215
	s_wait_loadcnt 0x0
	s_delay_alu instid0(VALU_DEP_1)
	v_dual_sub_f32 v1, v30, v2 :: v_dual_sub_f32 v2, v31, v3
	scratch_store_b64 off, v[1:2], off offset:336
	v_cmpx_lt_u32_e32 41, v0
	s_cbranch_execz .LBB60_297
; %bb.296:
	scratch_load_b64 v[1:2], off, off offset:328
	v_mov_b32_e32 v3, 0
	s_delay_alu instid0(VALU_DEP_1)
	v_mov_b32_e32 v4, v3
	scratch_store_b64 off, v[3:4], off offset:328
	s_wait_loadcnt 0x0
	ds_store_b64 v157, v[1:2]
.LBB60_297:
	s_wait_alu 0xfffe
	s_or_b32 exec_lo, exec_lo, s0
	s_wait_storecnt_dscnt 0x0
	s_barrier_signal -1
	s_barrier_wait -1
	global_inv scope:SCOPE_SE
	s_clause 0xa
	scratch_load_b128 v[2:5], off, off offset:336
	scratch_load_b128 v[6:9], off, off offset:352
	;; [unrolled: 1-line block ×9, first 2 shown]
	scratch_load_b64 v[30:31], off, off offset:480
	scratch_load_b64 v[155:156], off, off offset:328
	v_mov_b32_e32 v1, 0
	ds_load_b128 v[166:169], v1 offset:832
	ds_load_b128 v[170:173], v1 offset:848
	;; [unrolled: 1-line block ×9, first 2 shown]
	ds_load_b64 v[202:203], v1 offset:976
	s_mov_b32 s0, exec_lo
	s_wait_loadcnt_dscnt 0xa09
	v_mul_f32_e32 v32, v166, v3
	s_wait_loadcnt_dscnt 0x908
	v_dual_mul_f32 v204, v168, v5 :: v_dual_mul_f32 v205, v170, v7
	v_mul_f32_e32 v3, v167, v3
	s_delay_alu instid0(VALU_DEP_3)
	v_dual_mul_f32 v5, v169, v5 :: v_dual_fmac_f32 v32, v167, v2
	s_wait_loadcnt_dscnt 0x807
	v_dual_mul_f32 v206, v172, v9 :: v_dual_mul_f32 v207, v174, v11
	s_wait_loadcnt_dscnt 0x302
	v_mul_f32_e32 v218, v196, v161
	v_fma_f32 v3, v166, v2, -v3
	s_wait_loadcnt_dscnt 0x100
	v_mul_f32_e32 v221, v202, v31
	v_mul_f32_e32 v2, v171, v7
	v_fmac_f32_e32 v204, v169, v4
	v_fma_f32 v4, v168, v4, -v5
	v_dual_add_f32 v3, 0, v3 :: v_dual_mul_f32 v208, v176, v13
	v_mul_f32_e32 v209, v178, v15
	v_fma_f32 v2, v170, v6, -v2
	v_fmac_f32_e32 v207, v175, v10
	s_delay_alu instid0(VALU_DEP_4) | instskip(SKIP_3) | instid1(VALU_DEP_4)
	v_add_f32_e32 v3, v3, v4
	v_add_f32_e32 v5, 0, v32
	v_fmac_f32_e32 v208, v177, v12
	v_dual_mul_f32 v210, v180, v17 :: v_dual_mul_f32 v211, v182, v19
	v_dual_add_f32 v2, v3, v2 :: v_dual_mul_f32 v7, v173, v9
	s_delay_alu instid0(VALU_DEP_4) | instskip(SKIP_1) | instid1(VALU_DEP_3)
	v_dual_fmac_f32 v205, v171, v6 :: v_dual_add_f32 v4, v5, v204
	v_dual_mul_f32 v5, v175, v11 :: v_dual_fmac_f32 v206, v173, v8
	v_fma_f32 v6, v172, v8, -v7
	v_dual_fmac_f32 v209, v179, v14 :: v_dual_fmac_f32 v210, v181, v16
	s_delay_alu instid0(VALU_DEP_4)
	v_add_f32_e32 v3, v4, v205
	v_mul_f32_e32 v4, v177, v13
	v_fma_f32 v5, v174, v10, -v5
	v_add_f32_e32 v2, v2, v6
	v_mul_f32_e32 v6, v179, v15
	v_add_f32_e32 v3, v3, v206
	v_fma_f32 v4, v176, v12, -v4
	v_dual_mul_f32 v212, v184, v21 :: v_dual_mul_f32 v213, v186, v23
	s_delay_alu instid0(VALU_DEP_3) | instskip(SKIP_3) | instid1(VALU_DEP_4)
	v_dual_add_f32 v2, v2, v5 :: v_dual_add_f32 v3, v3, v207
	v_mul_f32_e32 v5, v181, v17
	v_fma_f32 v6, v178, v14, -v6
	v_dual_mul_f32 v214, v188, v25 :: v_dual_mul_f32 v215, v190, v27
	v_add_f32_e32 v2, v2, v4
	v_add_f32_e32 v3, v3, v208
	v_mul_f32_e32 v4, v183, v19
	v_fma_f32 v5, v180, v16, -v5
	v_fmac_f32_e32 v211, v183, v18
	s_delay_alu instid0(VALU_DEP_4) | instskip(SKIP_3) | instid1(VALU_DEP_4)
	v_dual_add_f32 v2, v2, v6 :: v_dual_add_f32 v3, v3, v209
	v_fmac_f32_e32 v212, v185, v20
	v_mul_f32_e32 v6, v185, v21
	v_fma_f32 v4, v182, v18, -v4
	v_dual_add_f32 v2, v2, v5 :: v_dual_add_f32 v3, v3, v210
	v_mul_f32_e32 v5, v187, v23
	s_delay_alu instid0(VALU_DEP_4) | instskip(SKIP_1) | instid1(VALU_DEP_4)
	v_fma_f32 v6, v184, v20, -v6
	v_dual_fmac_f32 v213, v187, v22 :: v_dual_fmac_f32 v214, v189, v24
	v_dual_add_f32 v2, v2, v4 :: v_dual_add_f32 v3, v3, v211
	v_mul_f32_e32 v4, v189, v25
	v_fma_f32 v5, v186, v22, -v5
	v_fmac_f32_e32 v215, v191, v26
	s_delay_alu instid0(VALU_DEP_4) | instskip(SKIP_3) | instid1(VALU_DEP_4)
	v_dual_add_f32 v2, v2, v6 :: v_dual_add_f32 v3, v3, v212
	v_mul_f32_e32 v6, v191, v27
	v_fma_f32 v4, v188, v24, -v4
	v_dual_mul_f32 v216, v192, v29 :: v_dual_mul_f32 v217, v194, v159
	v_add_f32_e32 v2, v2, v5
	v_add_f32_e32 v3, v3, v213
	v_mul_f32_e32 v5, v193, v29
	v_fma_f32 v6, v190, v26, -v6
	v_fmac_f32_e32 v216, v193, v28
	s_delay_alu instid0(VALU_DEP_4) | instskip(SKIP_3) | instid1(VALU_DEP_4)
	v_dual_add_f32 v2, v2, v4 :: v_dual_add_f32 v3, v3, v214
	v_mul_f32_e32 v4, v195, v159
	v_fma_f32 v5, v192, v28, -v5
	v_fmac_f32_e32 v217, v195, v158
	v_dual_add_f32 v2, v2, v6 :: v_dual_add_f32 v3, v3, v215
	v_mul_f32_e32 v6, v197, v161
	v_fma_f32 v4, v194, v158, -v4
	v_dual_mul_f32 v219, v198, v163 :: v_dual_mul_f32 v220, v200, v165
	s_delay_alu instid0(VALU_DEP_4) | instskip(SKIP_2) | instid1(VALU_DEP_3)
	v_dual_add_f32 v2, v2, v5 :: v_dual_add_f32 v3, v3, v216
	v_dual_mul_f32 v5, v199, v163 :: v_dual_fmac_f32 v218, v197, v160
	v_fma_f32 v6, v196, v160, -v6
	v_dual_add_f32 v2, v2, v4 :: v_dual_add_f32 v3, v3, v217
	v_dual_mul_f32 v4, v201, v165 :: v_dual_fmac_f32 v219, v199, v162
	s_delay_alu instid0(VALU_DEP_4) | instskip(NEXT) | instid1(VALU_DEP_3)
	v_fma_f32 v5, v198, v162, -v5
	v_dual_fmac_f32 v220, v201, v164 :: v_dual_add_f32 v3, v3, v218
	s_delay_alu instid0(VALU_DEP_4) | instskip(SKIP_3) | instid1(VALU_DEP_4)
	v_add_f32_e32 v2, v2, v6
	v_mul_f32_e32 v6, v203, v31
	v_fma_f32 v4, v200, v164, -v4
	v_fmac_f32_e32 v221, v203, v30
	v_dual_add_f32 v3, v3, v219 :: v_dual_add_f32 v2, v2, v5
	s_delay_alu instid0(VALU_DEP_4) | instskip(NEXT) | instid1(VALU_DEP_2)
	v_fma_f32 v5, v202, v30, -v6
	v_add_f32_e32 v3, v3, v220
	s_delay_alu instid0(VALU_DEP_1) | instskip(SKIP_1) | instid1(VALU_DEP_1)
	v_dual_add_f32 v2, v2, v4 :: v_dual_add_f32 v3, v3, v221
	s_wait_loadcnt 0x0
	v_dual_add_f32 v2, v2, v5 :: v_dual_sub_f32 v3, v156, v3
	s_delay_alu instid0(VALU_DEP_1)
	v_sub_f32_e32 v2, v155, v2
	scratch_store_b64 off, v[2:3], off offset:328
	v_cmpx_lt_u32_e32 40, v0
	s_cbranch_execz .LBB60_299
; %bb.298:
	scratch_load_b64 v[3:4], off, off offset:320
	v_mov_b32_e32 v2, v1
	scratch_store_b64 off, v[1:2], off offset:320
	s_wait_loadcnt 0x0
	ds_store_b64 v157, v[3:4]
.LBB60_299:
	s_wait_alu 0xfffe
	s_or_b32 exec_lo, exec_lo, s0
	s_wait_storecnt_dscnt 0x0
	s_barrier_signal -1
	s_barrier_wait -1
	global_inv scope:SCOPE_SE
	s_clause 0xa
	scratch_load_b128 v[2:5], off, off offset:328
	scratch_load_b128 v[6:9], off, off offset:344
	;; [unrolled: 1-line block ×10, first 2 shown]
	scratch_load_b64 v[30:31], off, off offset:320
	ds_load_2addr_b64 v[170:173], v1 offset0:103 offset1:104
	ds_load_2addr_b64 v[174:177], v1 offset0:105 offset1:106
	;; [unrolled: 1-line block ×10, first 2 shown]
	s_mov_b32 s0, exec_lo
	s_wait_loadcnt_dscnt 0xa09
	v_dual_mul_f32 v1, v170, v3 :: v_dual_mul_f32 v32, v172, v5
	v_mul_f32_e32 v3, v171, v3
	v_mul_f32_e32 v5, v173, v5
	s_wait_loadcnt_dscnt 0x908
	v_dual_mul_f32 v155, v174, v7 :: v_dual_mul_f32 v156, v176, v9
	v_fmac_f32_e32 v32, v173, v4
	v_fma_f32 v3, v170, v2, -v3
	s_wait_loadcnt_dscnt 0x807
	v_dual_mul_f32 v210, v178, v11 :: v_dual_mul_f32 v211, v180, v13
	v_dual_fmac_f32 v1, v171, v2 :: v_dual_fmac_f32 v156, v177, v8
	v_mul_f32_e32 v2, v175, v7
	v_fma_f32 v4, v172, v4, -v5
	s_delay_alu instid0(VALU_DEP_4) | instskip(NEXT) | instid1(VALU_DEP_4)
	v_dual_add_f32 v3, 0, v3 :: v_dual_fmac_f32 v210, v179, v10
	v_add_f32_e32 v1, 0, v1
	s_delay_alu instid0(VALU_DEP_4) | instskip(SKIP_4) | instid1(VALU_DEP_3)
	v_fma_f32 v2, v174, v6, -v2
	s_wait_loadcnt_dscnt 0x706
	v_dual_mul_f32 v212, v182, v15 :: v_dual_mul_f32 v213, v184, v17
	v_add_f32_e32 v3, v3, v4
	v_dual_mul_f32 v5, v177, v9 :: v_dual_mul_f32 v4, v179, v11
	v_dual_add_f32 v1, v1, v32 :: v_dual_fmac_f32 v212, v183, v14
	s_delay_alu instid0(VALU_DEP_3) | instskip(NEXT) | instid1(VALU_DEP_3)
	v_add_f32_e32 v2, v3, v2
	v_fma_f32 v5, v176, v8, -v5
	v_fmac_f32_e32 v155, v175, v6
	v_fma_f32 v4, v178, v10, -v4
	s_wait_loadcnt_dscnt 0x605
	v_dual_mul_f32 v214, v186, v19 :: v_dual_mul_f32 v215, v188, v21
	s_delay_alu instid0(VALU_DEP_3) | instskip(NEXT) | instid1(VALU_DEP_2)
	v_dual_add_f32 v2, v2, v5 :: v_dual_add_f32 v1, v1, v155
	v_dual_mul_f32 v3, v181, v13 :: v_dual_fmac_f32 v214, v187, v18
	s_wait_loadcnt_dscnt 0x504
	v_dual_mul_f32 v216, v190, v23 :: v_dual_mul_f32 v217, v192, v25
	s_delay_alu instid0(VALU_DEP_3)
	v_add_f32_e32 v2, v2, v4
	v_mul_f32_e32 v4, v185, v17
	v_fma_f32 v3, v180, v12, -v3
	s_wait_loadcnt_dscnt 0x302
	v_dual_add_f32 v1, v1, v156 :: v_dual_mul_f32 v220, v198, v159
	v_mul_f32_e32 v221, v200, v161
	v_fma_f32 v4, v184, v16, -v4
	v_mul_f32_e32 v5, v183, v15
	s_delay_alu instid0(VALU_DEP_4) | instskip(SKIP_1) | instid1(VALU_DEP_3)
	v_dual_add_f32 v2, v2, v3 :: v_dual_add_f32 v1, v1, v210
	v_dual_mul_f32 v218, v194, v27 :: v_dual_mul_f32 v219, v196, v29
	v_fma_f32 v5, v182, v14, -v5
	v_dual_fmac_f32 v211, v181, v12 :: v_dual_fmac_f32 v216, v191, v22
	s_delay_alu instid0(VALU_DEP_3)
	v_fmac_f32_e32 v218, v195, v26
	s_wait_loadcnt_dscnt 0x201
	v_dual_mul_f32 v222, v202, v163 :: v_dual_mul_f32 v223, v204, v165
	v_dual_add_f32 v2, v2, v5 :: v_dual_fmac_f32 v217, v193, v24
	s_wait_loadcnt_dscnt 0x100
	v_dual_mul_f32 v224, v206, v167 :: v_dual_mul_f32 v225, v208, v169
	v_fmac_f32_e32 v219, v197, v28
	s_delay_alu instid0(VALU_DEP_3) | instskip(SKIP_1) | instid1(VALU_DEP_4)
	v_add_f32_e32 v2, v2, v4
	v_mul_f32_e32 v4, v191, v23
	v_dual_add_f32 v1, v1, v211 :: v_dual_fmac_f32 v224, v207, v166
	v_fmac_f32_e32 v221, v201, v160
	v_fmac_f32_e32 v223, v205, v164
	s_delay_alu instid0(VALU_DEP_4) | instskip(SKIP_3) | instid1(VALU_DEP_3)
	v_fma_f32 v4, v190, v22, -v4
	v_mul_f32_e32 v5, v189, v21
	v_dual_add_f32 v1, v1, v212 :: v_dual_fmac_f32 v220, v199, v158
	v_dual_fmac_f32 v225, v209, v168 :: v_dual_fmac_f32 v222, v203, v162
	v_fma_f32 v5, v188, v20, -v5
	v_mul_f32_e32 v3, v187, v19
	s_delay_alu instid0(VALU_DEP_1) | instskip(NEXT) | instid1(VALU_DEP_1)
	v_fma_f32 v3, v186, v18, -v3
	v_dual_fmac_f32 v213, v185, v16 :: v_dual_add_f32 v2, v2, v3
	v_mul_f32_e32 v3, v193, v25
	s_delay_alu instid0(VALU_DEP_2) | instskip(NEXT) | instid1(VALU_DEP_2)
	v_dual_add_f32 v2, v2, v5 :: v_dual_mul_f32 v5, v195, v27
	v_fma_f32 v3, v192, v24, -v3
	s_delay_alu instid0(VALU_DEP_2) | instskip(SKIP_1) | instid1(VALU_DEP_4)
	v_dual_add_f32 v2, v2, v4 :: v_dual_add_f32 v1, v1, v213
	v_mul_f32_e32 v4, v197, v29
	v_fma_f32 v5, v194, v26, -v5
	s_delay_alu instid0(VALU_DEP_3) | instskip(NEXT) | instid1(VALU_DEP_3)
	v_dual_add_f32 v2, v2, v3 :: v_dual_fmac_f32 v215, v189, v20
	v_fma_f32 v4, v196, v28, -v4
	s_delay_alu instid0(VALU_DEP_2) | instskip(SKIP_1) | instid1(VALU_DEP_2)
	v_add_f32_e32 v2, v2, v5
	v_mul_f32_e32 v5, v201, v161
	v_dual_add_f32 v1, v1, v214 :: v_dual_add_f32 v2, v2, v4
	s_delay_alu instid0(VALU_DEP_2) | instskip(SKIP_1) | instid1(VALU_DEP_3)
	v_fma_f32 v5, v200, v160, -v5
	v_mul_f32_e32 v3, v199, v159
	v_add_f32_e32 v1, v1, v215
	v_mul_f32_e32 v4, v203, v163
	s_delay_alu instid0(VALU_DEP_3) | instskip(NEXT) | instid1(VALU_DEP_3)
	v_fma_f32 v3, v198, v158, -v3
	v_add_f32_e32 v1, v1, v216
	s_delay_alu instid0(VALU_DEP_3) | instskip(NEXT) | instid1(VALU_DEP_3)
	v_fma_f32 v4, v202, v162, -v4
	v_dual_add_f32 v2, v2, v3 :: v_dual_mul_f32 v3, v205, v165
	s_delay_alu instid0(VALU_DEP_1) | instskip(NEXT) | instid1(VALU_DEP_4)
	v_add_f32_e32 v2, v2, v5
	v_add_f32_e32 v1, v1, v217
	v_mul_f32_e32 v5, v207, v167
	s_delay_alu instid0(VALU_DEP_4) | instskip(NEXT) | instid1(VALU_DEP_3)
	v_fma_f32 v3, v204, v164, -v3
	v_dual_add_f32 v2, v2, v4 :: v_dual_add_f32 v1, v1, v218
	v_mul_f32_e32 v4, v209, v169
	s_delay_alu instid0(VALU_DEP_4) | instskip(NEXT) | instid1(VALU_DEP_3)
	v_fma_f32 v5, v206, v166, -v5
	v_add_f32_e32 v2, v2, v3
	s_delay_alu instid0(VALU_DEP_4) | instskip(NEXT) | instid1(VALU_DEP_4)
	v_add_f32_e32 v1, v1, v219
	v_fma_f32 v3, v208, v168, -v4
	s_delay_alu instid0(VALU_DEP_2) | instskip(NEXT) | instid1(VALU_DEP_1)
	v_dual_add_f32 v2, v2, v5 :: v_dual_add_f32 v1, v1, v220
	v_dual_add_f32 v2, v2, v3 :: v_dual_add_f32 v1, v1, v221
	s_delay_alu instid0(VALU_DEP_1) | instskip(NEXT) | instid1(VALU_DEP_1)
	v_add_f32_e32 v1, v1, v222
	v_add_f32_e32 v1, v1, v223
	s_delay_alu instid0(VALU_DEP_1) | instskip(NEXT) | instid1(VALU_DEP_1)
	v_add_f32_e32 v1, v1, v224
	v_add_f32_e32 v3, v1, v225
	s_wait_loadcnt 0x0
	s_delay_alu instid0(VALU_DEP_1)
	v_dual_sub_f32 v1, v30, v2 :: v_dual_sub_f32 v2, v31, v3
	scratch_store_b64 off, v[1:2], off offset:320
	v_cmpx_lt_u32_e32 39, v0
	s_cbranch_execz .LBB60_301
; %bb.300:
	scratch_load_b64 v[1:2], off, off offset:312
	v_mov_b32_e32 v3, 0
	s_delay_alu instid0(VALU_DEP_1)
	v_mov_b32_e32 v4, v3
	scratch_store_b64 off, v[3:4], off offset:312
	s_wait_loadcnt 0x0
	ds_store_b64 v157, v[1:2]
.LBB60_301:
	s_wait_alu 0xfffe
	s_or_b32 exec_lo, exec_lo, s0
	s_wait_storecnt_dscnt 0x0
	s_barrier_signal -1
	s_barrier_wait -1
	global_inv scope:SCOPE_SE
	s_clause 0xb
	scratch_load_b128 v[2:5], off, off offset:320
	scratch_load_b128 v[6:9], off, off offset:336
	scratch_load_b128 v[10:13], off, off offset:352
	scratch_load_b128 v[14:17], off, off offset:368
	scratch_load_b128 v[18:21], off, off offset:384
	scratch_load_b128 v[22:25], off, off offset:400
	scratch_load_b128 v[26:29], off, off offset:416
	scratch_load_b128 v[158:161], off, off offset:432
	scratch_load_b128 v[162:165], off, off offset:448
	scratch_load_b128 v[166:169], off, off offset:464
	scratch_load_b64 v[30:31], off, off offset:480
	scratch_load_b64 v[155:156], off, off offset:312
	v_mov_b32_e32 v1, 0
	ds_load_b128 v[170:173], v1 offset:816
	ds_load_b128 v[174:177], v1 offset:832
	;; [unrolled: 1-line block ×10, first 2 shown]
	ds_load_b64 v[210:211], v1 offset:976
	s_mov_b32 s0, exec_lo
	s_wait_loadcnt_dscnt 0xb0a
	v_mul_f32_e32 v32, v170, v3
	s_wait_loadcnt_dscnt 0xa09
	v_dual_mul_f32 v212, v172, v5 :: v_dual_mul_f32 v213, v174, v7
	v_mul_f32_e32 v5, v173, v5
	v_dual_mul_f32 v3, v171, v3 :: v_dual_mul_f32 v214, v176, v9
	s_wait_loadcnt_dscnt 0x908
	v_dual_mul_f32 v215, v178, v11 :: v_dual_fmac_f32 v32, v171, v2
	s_wait_loadcnt_dscnt 0x302
	v_mul_f32_e32 v228, v204, v165
	v_fma_f32 v3, v170, v2, -v3
	s_wait_loadcnt_dscnt 0x100
	v_mul_f32_e32 v231, v210, v31
	v_mul_f32_e32 v2, v175, v7
	v_fmac_f32_e32 v212, v173, v4
	v_fma_f32 v4, v172, v4, -v5
	v_dual_add_f32 v3, 0, v3 :: v_dual_mul_f32 v216, v180, v13
	v_mul_f32_e32 v217, v182, v15
	v_fma_f32 v2, v174, v6, -v2
	v_fmac_f32_e32 v215, v179, v10
	s_delay_alu instid0(VALU_DEP_4) | instskip(SKIP_3) | instid1(VALU_DEP_4)
	v_add_f32_e32 v3, v3, v4
	v_add_f32_e32 v5, 0, v32
	v_fmac_f32_e32 v216, v181, v12
	v_dual_mul_f32 v218, v184, v17 :: v_dual_mul_f32 v219, v186, v19
	v_dual_add_f32 v2, v3, v2 :: v_dual_mul_f32 v7, v177, v9
	s_delay_alu instid0(VALU_DEP_4) | instskip(SKIP_1) | instid1(VALU_DEP_3)
	v_dual_fmac_f32 v213, v175, v6 :: v_dual_add_f32 v4, v5, v212
	v_dual_mul_f32 v5, v179, v11 :: v_dual_fmac_f32 v214, v177, v8
	v_fma_f32 v6, v176, v8, -v7
	v_dual_fmac_f32 v217, v183, v14 :: v_dual_fmac_f32 v218, v185, v16
	s_delay_alu instid0(VALU_DEP_4)
	v_add_f32_e32 v3, v4, v213
	v_mul_f32_e32 v4, v181, v13
	v_fma_f32 v5, v178, v10, -v5
	v_add_f32_e32 v2, v2, v6
	v_mul_f32_e32 v6, v183, v15
	v_add_f32_e32 v3, v3, v214
	v_fma_f32 v4, v180, v12, -v4
	v_dual_mul_f32 v220, v188, v21 :: v_dual_mul_f32 v221, v190, v23
	s_delay_alu instid0(VALU_DEP_3) | instskip(SKIP_3) | instid1(VALU_DEP_4)
	v_dual_add_f32 v2, v2, v5 :: v_dual_add_f32 v3, v3, v215
	v_mul_f32_e32 v5, v185, v17
	v_fma_f32 v6, v182, v14, -v6
	v_dual_mul_f32 v222, v192, v25 :: v_dual_mul_f32 v223, v194, v27
	v_add_f32_e32 v2, v2, v4
	v_add_f32_e32 v3, v3, v216
	v_mul_f32_e32 v4, v187, v19
	v_fma_f32 v5, v184, v16, -v5
	v_fmac_f32_e32 v219, v187, v18
	s_delay_alu instid0(VALU_DEP_4) | instskip(SKIP_3) | instid1(VALU_DEP_4)
	v_dual_add_f32 v2, v2, v6 :: v_dual_add_f32 v3, v3, v217
	v_fmac_f32_e32 v220, v189, v20
	v_mul_f32_e32 v6, v189, v21
	v_fma_f32 v4, v186, v18, -v4
	v_dual_add_f32 v2, v2, v5 :: v_dual_add_f32 v3, v3, v218
	v_mul_f32_e32 v5, v191, v23
	s_delay_alu instid0(VALU_DEP_4) | instskip(SKIP_1) | instid1(VALU_DEP_4)
	v_fma_f32 v6, v188, v20, -v6
	v_dual_fmac_f32 v221, v191, v22 :: v_dual_fmac_f32 v222, v193, v24
	v_dual_add_f32 v2, v2, v4 :: v_dual_add_f32 v3, v3, v219
	v_mul_f32_e32 v4, v193, v25
	v_fma_f32 v5, v190, v22, -v5
	v_dual_mul_f32 v224, v196, v29 :: v_dual_mul_f32 v225, v198, v159
	s_delay_alu instid0(VALU_DEP_4) | instskip(SKIP_2) | instid1(VALU_DEP_3)
	v_dual_add_f32 v2, v2, v6 :: v_dual_add_f32 v3, v3, v220
	v_mul_f32_e32 v6, v195, v27
	v_fma_f32 v4, v192, v24, -v4
	v_dual_fmac_f32 v223, v195, v26 :: v_dual_add_f32 v2, v2, v5
	s_delay_alu instid0(VALU_DEP_4) | instskip(SKIP_3) | instid1(VALU_DEP_4)
	v_add_f32_e32 v3, v3, v221
	v_mul_f32_e32 v5, v197, v29
	v_fma_f32 v6, v194, v26, -v6
	v_fmac_f32_e32 v224, v197, v28
	v_dual_add_f32 v2, v2, v4 :: v_dual_add_f32 v3, v3, v222
	v_mul_f32_e32 v4, v199, v159
	v_fma_f32 v5, v196, v28, -v5
	v_dual_mul_f32 v226, v200, v161 :: v_dual_mul_f32 v227, v202, v163
	s_delay_alu instid0(VALU_DEP_4) | instskip(SKIP_2) | instid1(VALU_DEP_3)
	v_dual_add_f32 v2, v2, v6 :: v_dual_add_f32 v3, v3, v223
	v_dual_mul_f32 v6, v201, v161 :: v_dual_fmac_f32 v225, v199, v158
	v_fma_f32 v4, v198, v158, -v4
	v_dual_add_f32 v2, v2, v5 :: v_dual_add_f32 v3, v3, v224
	v_dual_mul_f32 v5, v203, v163 :: v_dual_fmac_f32 v226, v201, v160
	s_delay_alu instid0(VALU_DEP_4) | instskip(NEXT) | instid1(VALU_DEP_3)
	v_fma_f32 v6, v200, v160, -v6
	v_dual_add_f32 v2, v2, v4 :: v_dual_add_f32 v3, v3, v225
	v_dual_mul_f32 v4, v205, v165 :: v_dual_fmac_f32 v227, v203, v162
	s_delay_alu instid0(VALU_DEP_4) | instskip(NEXT) | instid1(VALU_DEP_3)
	v_fma_f32 v5, v202, v162, -v5
	v_dual_fmac_f32 v228, v205, v164 :: v_dual_add_f32 v3, v3, v226
	s_delay_alu instid0(VALU_DEP_4) | instskip(SKIP_3) | instid1(VALU_DEP_4)
	v_add_f32_e32 v2, v2, v6
	v_dual_mul_f32 v229, v206, v167 :: v_dual_mul_f32 v230, v208, v169
	v_mul_f32_e32 v6, v207, v167
	v_fma_f32 v4, v204, v164, -v4
	v_dual_add_f32 v3, v3, v227 :: v_dual_add_f32 v2, v2, v5
	s_delay_alu instid0(VALU_DEP_4) | instskip(SKIP_2) | instid1(VALU_DEP_4)
	v_fmac_f32_e32 v229, v207, v166
	v_mul_f32_e32 v5, v209, v169
	v_fma_f32 v6, v206, v166, -v6
	v_add_f32_e32 v3, v3, v228
	v_add_f32_e32 v2, v2, v4
	v_mul_f32_e32 v4, v211, v31
	v_dual_fmac_f32 v230, v209, v168 :: v_dual_fmac_f32 v231, v211, v30
	v_fma_f32 v5, v208, v168, -v5
	s_delay_alu instid0(VALU_DEP_4) | instskip(NEXT) | instid1(VALU_DEP_4)
	v_dual_add_f32 v3, v3, v229 :: v_dual_add_f32 v2, v2, v6
	v_fma_f32 v4, v210, v30, -v4
	s_delay_alu instid0(VALU_DEP_2) | instskip(NEXT) | instid1(VALU_DEP_1)
	v_dual_add_f32 v3, v3, v230 :: v_dual_add_f32 v2, v2, v5
	v_dual_add_f32 v3, v3, v231 :: v_dual_add_f32 v2, v2, v4
	s_wait_loadcnt 0x0
	s_delay_alu instid0(VALU_DEP_1)
	v_dual_sub_f32 v3, v156, v3 :: v_dual_sub_f32 v2, v155, v2
	scratch_store_b64 off, v[2:3], off offset:312
	v_cmpx_lt_u32_e32 38, v0
	s_cbranch_execz .LBB60_303
; %bb.302:
	scratch_load_b64 v[3:4], off, off offset:304
	v_mov_b32_e32 v2, v1
	scratch_store_b64 off, v[1:2], off offset:304
	s_wait_loadcnt 0x0
	ds_store_b64 v157, v[3:4]
.LBB60_303:
	s_wait_alu 0xfffe
	s_or_b32 exec_lo, exec_lo, s0
	s_wait_storecnt_dscnt 0x0
	s_barrier_signal -1
	s_barrier_wait -1
	global_inv scope:SCOPE_SE
	s_clause 0xb
	scratch_load_b128 v[2:5], off, off offset:312
	scratch_load_b128 v[6:9], off, off offset:328
	;; [unrolled: 1-line block ×11, first 2 shown]
	scratch_load_b64 v[30:31], off, off offset:304
	ds_load_2addr_b64 v[174:177], v1 offset0:101 offset1:102
	ds_load_2addr_b64 v[178:181], v1 offset0:103 offset1:104
	;; [unrolled: 1-line block ×11, first 2 shown]
	s_mov_b32 s0, exec_lo
	s_wait_loadcnt_dscnt 0xb0a
	v_dual_mul_f32 v1, v174, v3 :: v_dual_mul_f32 v32, v176, v5
	v_mul_f32_e32 v3, v175, v3
	v_mul_f32_e32 v5, v177, v5
	s_wait_loadcnt_dscnt 0xa09
	v_dual_mul_f32 v155, v178, v7 :: v_dual_mul_f32 v156, v180, v9
	v_fmac_f32_e32 v32, v177, v4
	v_fma_f32 v3, v174, v2, -v3
	s_wait_loadcnt_dscnt 0x908
	v_dual_mul_f32 v218, v182, v11 :: v_dual_mul_f32 v219, v184, v13
	v_dual_fmac_f32 v1, v175, v2 :: v_dual_fmac_f32 v156, v181, v8
	v_mul_f32_e32 v2, v179, v7
	v_fma_f32 v4, v176, v4, -v5
	s_delay_alu instid0(VALU_DEP_4) | instskip(NEXT) | instid1(VALU_DEP_4)
	v_dual_add_f32 v3, 0, v3 :: v_dual_fmac_f32 v218, v183, v10
	v_add_f32_e32 v1, 0, v1
	s_delay_alu instid0(VALU_DEP_4) | instskip(SKIP_4) | instid1(VALU_DEP_3)
	v_fma_f32 v2, v178, v6, -v2
	s_wait_loadcnt_dscnt 0x807
	v_dual_mul_f32 v220, v186, v15 :: v_dual_mul_f32 v221, v188, v17
	v_add_f32_e32 v3, v3, v4
	v_dual_mul_f32 v5, v181, v9 :: v_dual_mul_f32 v4, v183, v11
	v_dual_add_f32 v1, v1, v32 :: v_dual_fmac_f32 v220, v187, v14
	s_delay_alu instid0(VALU_DEP_3) | instskip(NEXT) | instid1(VALU_DEP_3)
	v_add_f32_e32 v2, v3, v2
	v_fma_f32 v5, v180, v8, -v5
	v_fmac_f32_e32 v155, v179, v6
	v_fma_f32 v4, v182, v10, -v4
	s_wait_loadcnt_dscnt 0x706
	v_dual_mul_f32 v222, v190, v19 :: v_dual_mul_f32 v223, v192, v21
	s_delay_alu instid0(VALU_DEP_3) | instskip(NEXT) | instid1(VALU_DEP_2)
	v_dual_add_f32 v2, v2, v5 :: v_dual_add_f32 v1, v1, v155
	v_dual_mul_f32 v3, v185, v13 :: v_dual_fmac_f32 v222, v191, v18
	s_wait_loadcnt_dscnt 0x605
	v_dual_mul_f32 v224, v194, v23 :: v_dual_mul_f32 v225, v196, v25
	s_delay_alu instid0(VALU_DEP_3)
	v_add_f32_e32 v2, v2, v4
	v_mul_f32_e32 v4, v189, v17
	v_fma_f32 v3, v184, v12, -v3
	s_wait_loadcnt_dscnt 0x403
	v_dual_add_f32 v1, v1, v156 :: v_dual_mul_f32 v228, v202, v159
	v_mul_f32_e32 v229, v204, v161
	v_fma_f32 v4, v188, v16, -v4
	v_mul_f32_e32 v5, v187, v15
	s_delay_alu instid0(VALU_DEP_4) | instskip(SKIP_1) | instid1(VALU_DEP_3)
	v_dual_add_f32 v2, v2, v3 :: v_dual_add_f32 v1, v1, v218
	v_dual_mul_f32 v226, v198, v27 :: v_dual_mul_f32 v227, v200, v29
	v_fma_f32 v5, v186, v14, -v5
	v_dual_fmac_f32 v219, v185, v12 :: v_dual_fmac_f32 v224, v195, v22
	s_delay_alu instid0(VALU_DEP_3)
	v_fmac_f32_e32 v226, v199, v26
	s_wait_loadcnt_dscnt 0x100
	v_dual_mul_f32 v234, v214, v171 :: v_dual_mul_f32 v235, v216, v173
	v_add_f32_e32 v2, v2, v5
	v_dual_mul_f32 v230, v206, v163 :: v_dual_mul_f32 v231, v208, v165
	v_dual_fmac_f32 v225, v197, v24 :: v_dual_mul_f32 v232, v210, v167
	s_delay_alu instid0(VALU_DEP_3) | instskip(SKIP_2) | instid1(VALU_DEP_4)
	v_dual_mul_f32 v233, v212, v169 :: v_dual_add_f32 v2, v2, v4
	v_mul_f32_e32 v4, v195, v23
	v_add_f32_e32 v1, v1, v219
	v_dual_fmac_f32 v227, v201, v28 :: v_dual_fmac_f32 v232, v211, v166
	v_fmac_f32_e32 v228, v203, v158
	s_delay_alu instid0(VALU_DEP_4)
	v_fma_f32 v4, v194, v22, -v4
	v_mul_f32_e32 v5, v193, v21
	v_add_f32_e32 v1, v1, v220
	v_fmac_f32_e32 v231, v209, v164
	v_fmac_f32_e32 v233, v213, v168
	;; [unrolled: 1-line block ×3, first 2 shown]
	v_fma_f32 v5, v192, v20, -v5
	v_mul_f32_e32 v3, v191, v19
	v_fmac_f32_e32 v234, v215, v170
	v_fmac_f32_e32 v230, v207, v162
	s_delay_alu instid0(VALU_DEP_3) | instskip(NEXT) | instid1(VALU_DEP_1)
	v_fma_f32 v3, v190, v18, -v3
	v_dual_fmac_f32 v221, v189, v16 :: v_dual_add_f32 v2, v2, v3
	v_mul_f32_e32 v3, v197, v25
	s_delay_alu instid0(VALU_DEP_2) | instskip(NEXT) | instid1(VALU_DEP_2)
	v_dual_add_f32 v2, v2, v5 :: v_dual_mul_f32 v5, v199, v27
	v_fma_f32 v3, v196, v24, -v3
	s_delay_alu instid0(VALU_DEP_2) | instskip(SKIP_1) | instid1(VALU_DEP_4)
	v_dual_add_f32 v2, v2, v4 :: v_dual_add_f32 v1, v1, v221
	v_mul_f32_e32 v4, v201, v29
	v_fma_f32 v5, v198, v26, -v5
	s_delay_alu instid0(VALU_DEP_3) | instskip(NEXT) | instid1(VALU_DEP_3)
	v_dual_add_f32 v2, v2, v3 :: v_dual_fmac_f32 v223, v193, v20
	v_fma_f32 v4, v200, v28, -v4
	s_delay_alu instid0(VALU_DEP_2) | instskip(SKIP_1) | instid1(VALU_DEP_2)
	v_add_f32_e32 v2, v2, v5
	v_mul_f32_e32 v5, v205, v161
	v_dual_add_f32 v1, v1, v222 :: v_dual_add_f32 v2, v2, v4
	s_delay_alu instid0(VALU_DEP_2) | instskip(SKIP_1) | instid1(VALU_DEP_3)
	v_fma_f32 v5, v204, v160, -v5
	v_mul_f32_e32 v3, v203, v159
	v_add_f32_e32 v1, v1, v223
	v_mul_f32_e32 v4, v207, v163
	s_delay_alu instid0(VALU_DEP_3) | instskip(NEXT) | instid1(VALU_DEP_3)
	v_fma_f32 v3, v202, v158, -v3
	v_add_f32_e32 v1, v1, v224
	s_delay_alu instid0(VALU_DEP_3) | instskip(NEXT) | instid1(VALU_DEP_3)
	v_fma_f32 v4, v206, v162, -v4
	v_add_f32_e32 v2, v2, v3
	s_delay_alu instid0(VALU_DEP_1) | instskip(NEXT) | instid1(VALU_DEP_4)
	v_add_f32_e32 v2, v2, v5
	v_add_f32_e32 v1, v1, v225
	s_delay_alu instid0(VALU_DEP_2) | instskip(SKIP_1) | instid1(VALU_DEP_2)
	v_dual_mul_f32 v5, v211, v167 :: v_dual_add_f32 v2, v2, v4
	v_mul_f32_e32 v4, v213, v169
	v_fma_f32 v5, v210, v166, -v5
	s_delay_alu instid0(VALU_DEP_2) | instskip(SKIP_1) | instid1(VALU_DEP_1)
	v_fma_f32 v4, v212, v168, -v4
	v_mul_f32_e32 v3, v209, v165
	v_fma_f32 v3, v208, v164, -v3
	s_delay_alu instid0(VALU_DEP_1) | instskip(NEXT) | instid1(VALU_DEP_1)
	v_dual_add_f32 v1, v1, v226 :: v_dual_add_f32 v2, v2, v3
	v_add_f32_e32 v1, v1, v227
	s_delay_alu instid0(VALU_DEP_2) | instskip(NEXT) | instid1(VALU_DEP_2)
	v_dual_mul_f32 v3, v215, v171 :: v_dual_add_f32 v2, v2, v5
	v_add_f32_e32 v1, v1, v228
	v_mul_f32_e32 v5, v217, v173
	s_delay_alu instid0(VALU_DEP_3) | instskip(NEXT) | instid1(VALU_DEP_4)
	v_fma_f32 v3, v214, v170, -v3
	v_add_f32_e32 v2, v2, v4
	v_fmac_f32_e32 v229, v205, v160
	s_delay_alu instid0(VALU_DEP_4) | instskip(NEXT) | instid1(VALU_DEP_2)
	v_fma_f32 v4, v216, v172, -v5
	v_dual_add_f32 v2, v2, v3 :: v_dual_add_f32 v1, v1, v229
	s_delay_alu instid0(VALU_DEP_1) | instskip(NEXT) | instid1(VALU_DEP_1)
	v_dual_add_f32 v2, v2, v4 :: v_dual_add_f32 v1, v1, v230
	v_add_f32_e32 v1, v1, v231
	s_delay_alu instid0(VALU_DEP_1) | instskip(NEXT) | instid1(VALU_DEP_1)
	v_add_f32_e32 v1, v1, v232
	v_add_f32_e32 v1, v1, v233
	s_delay_alu instid0(VALU_DEP_1) | instskip(NEXT) | instid1(VALU_DEP_1)
	v_add_f32_e32 v1, v1, v234
	v_add_f32_e32 v3, v1, v235
	s_wait_loadcnt 0x0
	s_delay_alu instid0(VALU_DEP_1)
	v_dual_sub_f32 v1, v30, v2 :: v_dual_sub_f32 v2, v31, v3
	scratch_store_b64 off, v[1:2], off offset:304
	v_cmpx_lt_u32_e32 37, v0
	s_cbranch_execz .LBB60_305
; %bb.304:
	scratch_load_b64 v[1:2], off, off offset:296
	v_mov_b32_e32 v3, 0
	s_delay_alu instid0(VALU_DEP_1)
	v_mov_b32_e32 v4, v3
	scratch_store_b64 off, v[3:4], off offset:296
	s_wait_loadcnt 0x0
	ds_store_b64 v157, v[1:2]
.LBB60_305:
	s_wait_alu 0xfffe
	s_or_b32 exec_lo, exec_lo, s0
	s_wait_storecnt_dscnt 0x0
	s_barrier_signal -1
	s_barrier_wait -1
	global_inv scope:SCOPE_SE
	s_clause 0xc
	scratch_load_b128 v[2:5], off, off offset:304
	scratch_load_b128 v[6:9], off, off offset:320
	;; [unrolled: 1-line block ×11, first 2 shown]
	scratch_load_b64 v[30:31], off, off offset:480
	scratch_load_b64 v[155:156], off, off offset:296
	v_mov_b32_e32 v1, 0
	ds_load_b128 v[174:177], v1 offset:800
	ds_load_b128 v[178:181], v1 offset:816
	;; [unrolled: 1-line block ×11, first 2 shown]
	ds_load_b64 v[218:219], v1 offset:976
	s_mov_b32 s0, exec_lo
	s_wait_loadcnt_dscnt 0xc0b
	v_mul_f32_e32 v32, v174, v3
	s_wait_loadcnt_dscnt 0xb0a
	v_dual_mul_f32 v220, v176, v5 :: v_dual_mul_f32 v221, v178, v7
	v_mul_f32_e32 v5, v177, v5
	s_wait_loadcnt_dscnt 0xa09
	v_dual_mul_f32 v222, v180, v9 :: v_dual_mul_f32 v223, v182, v11
	v_mul_f32_e32 v3, v175, v3
	v_fmac_f32_e32 v32, v175, v2
	s_wait_loadcnt_dscnt 0x908
	v_dual_mul_f32 v224, v184, v13 :: v_dual_mul_f32 v225, v186, v15
	s_wait_loadcnt_dscnt 0x302
	v_mul_f32_e32 v238, v212, v169
	v_fma_f32 v3, v174, v2, -v3
	s_wait_loadcnt_dscnt 0x100
	v_mul_f32_e32 v241, v218, v31
	v_mul_f32_e32 v2, v179, v7
	v_fmac_f32_e32 v220, v177, v4
	v_fma_f32 v4, v176, v4, -v5
	v_add_f32_e32 v3, 0, v3
	v_dual_fmac_f32 v223, v183, v10 :: v_dual_fmac_f32 v224, v185, v12
	v_fma_f32 v2, v178, v6, -v2
	v_dual_mul_f32 v226, v188, v17 :: v_dual_mul_f32 v227, v190, v19
	s_delay_alu instid0(VALU_DEP_4) | instskip(SKIP_1) | instid1(VALU_DEP_3)
	v_add_f32_e32 v3, v3, v4
	v_add_f32_e32 v5, 0, v32
	v_dual_fmac_f32 v225, v187, v14 :: v_dual_fmac_f32 v226, v189, v16
	v_fmac_f32_e32 v222, v181, v8
	s_delay_alu instid0(VALU_DEP_4) | instskip(NEXT) | instid1(VALU_DEP_4)
	v_dual_add_f32 v2, v3, v2 :: v_dual_mul_f32 v7, v181, v9
	v_dual_fmac_f32 v221, v179, v6 :: v_dual_add_f32 v4, v5, v220
	v_dual_mul_f32 v5, v183, v11 :: v_dual_mul_f32 v228, v192, v21
	v_mul_f32_e32 v229, v194, v23
	s_delay_alu instid0(VALU_DEP_4) | instskip(NEXT) | instid1(VALU_DEP_4)
	v_fma_f32 v6, v180, v8, -v7
	v_add_f32_e32 v3, v4, v221
	v_mul_f32_e32 v4, v185, v13
	v_fma_f32 v5, v182, v10, -v5
	v_dual_mul_f32 v230, v196, v25 :: v_dual_mul_f32 v231, v198, v27
	v_add_f32_e32 v2, v2, v6
	v_mul_f32_e32 v6, v187, v15
	v_add_f32_e32 v3, v3, v222
	v_fma_f32 v4, v184, v12, -v4
	v_dual_fmac_f32 v229, v195, v22 :: v_dual_fmac_f32 v230, v197, v24
	s_delay_alu instid0(VALU_DEP_3) | instskip(SKIP_2) | instid1(VALU_DEP_3)
	v_dual_add_f32 v2, v2, v5 :: v_dual_add_f32 v3, v3, v223
	v_mul_f32_e32 v5, v189, v17
	v_fma_f32 v6, v186, v14, -v6
	v_dual_fmac_f32 v227, v191, v18 :: v_dual_add_f32 v2, v2, v4
	s_delay_alu instid0(VALU_DEP_4) | instskip(SKIP_3) | instid1(VALU_DEP_4)
	v_add_f32_e32 v3, v3, v224
	v_mul_f32_e32 v4, v191, v19
	v_fma_f32 v5, v188, v16, -v5
	v_fmac_f32_e32 v228, v193, v20
	v_dual_add_f32 v2, v2, v6 :: v_dual_add_f32 v3, v3, v225
	v_mul_f32_e32 v6, v193, v21
	v_fma_f32 v4, v190, v18, -v4
	v_dual_mul_f32 v232, v200, v29 :: v_dual_mul_f32 v233, v202, v159
	s_delay_alu instid0(VALU_DEP_4) | instskip(SKIP_3) | instid1(VALU_DEP_4)
	v_dual_add_f32 v2, v2, v5 :: v_dual_add_f32 v3, v3, v226
	v_mul_f32_e32 v5, v195, v23
	v_fma_f32 v6, v192, v20, -v6
	v_dual_mul_f32 v234, v204, v161 :: v_dual_mul_f32 v235, v206, v163
	v_dual_add_f32 v2, v2, v4 :: v_dual_add_f32 v3, v3, v227
	v_mul_f32_e32 v4, v197, v25
	v_fma_f32 v5, v194, v22, -v5
	v_fmac_f32_e32 v231, v199, v26
	s_delay_alu instid0(VALU_DEP_4) | instskip(SKIP_3) | instid1(VALU_DEP_4)
	v_dual_add_f32 v2, v2, v6 :: v_dual_add_f32 v3, v3, v228
	v_mul_f32_e32 v6, v199, v27
	v_fma_f32 v4, v196, v24, -v4
	v_fmac_f32_e32 v232, v201, v28
	v_add_f32_e32 v2, v2, v5
	v_add_f32_e32 v3, v3, v229
	v_mul_f32_e32 v5, v201, v29
	v_fma_f32 v6, v198, v26, -v6
	s_delay_alu instid0(VALU_DEP_4) | instskip(NEXT) | instid1(VALU_DEP_4)
	v_dual_fmac_f32 v233, v203, v158 :: v_dual_add_f32 v2, v2, v4
	v_add_f32_e32 v3, v3, v230
	v_mul_f32_e32 v4, v203, v159
	v_fma_f32 v5, v200, v28, -v5
	v_dual_mul_f32 v236, v208, v165 :: v_dual_mul_f32 v237, v210, v167
	s_delay_alu instid0(VALU_DEP_4) | instskip(SKIP_3) | instid1(VALU_DEP_4)
	v_dual_add_f32 v2, v2, v6 :: v_dual_add_f32 v3, v3, v231
	v_mul_f32_e32 v6, v205, v161
	v_fma_f32 v4, v202, v158, -v4
	v_fmac_f32_e32 v234, v205, v160
	v_dual_add_f32 v2, v2, v5 :: v_dual_add_f32 v3, v3, v232
	v_mul_f32_e32 v5, v207, v163
	v_fma_f32 v6, v204, v160, -v6
	s_delay_alu instid0(VALU_DEP_3) | instskip(NEXT) | instid1(VALU_DEP_4)
	v_dual_fmac_f32 v235, v207, v162 :: v_dual_add_f32 v2, v2, v4
	v_add_f32_e32 v3, v3, v233
	v_mul_f32_e32 v4, v209, v165
	v_fma_f32 v5, v206, v162, -v5
	v_dual_fmac_f32 v236, v209, v164 :: v_dual_fmac_f32 v237, v211, v166
	s_delay_alu instid0(VALU_DEP_4) | instskip(SKIP_4) | instid1(VALU_DEP_4)
	v_add_f32_e32 v3, v3, v234
	v_add_f32_e32 v2, v2, v6
	v_mul_f32_e32 v6, v211, v167
	v_fma_f32 v4, v208, v164, -v4
	v_dual_mul_f32 v239, v214, v171 :: v_dual_mul_f32 v240, v216, v173
	v_dual_add_f32 v3, v3, v235 :: v_dual_add_f32 v2, v2, v5
	v_mul_f32_e32 v5, v213, v169
	v_fma_f32 v6, v210, v166, -v6
	s_delay_alu instid0(VALU_DEP_4) | instskip(NEXT) | instid1(VALU_DEP_4)
	v_dual_fmac_f32 v238, v213, v168 :: v_dual_fmac_f32 v239, v215, v170
	v_add_f32_e32 v3, v3, v236
	v_add_f32_e32 v2, v2, v4
	v_mul_f32_e32 v4, v215, v171
	v_fma_f32 v5, v212, v168, -v5
	v_fmac_f32_e32 v241, v219, v30
	s_delay_alu instid0(VALU_DEP_4) | instskip(SKIP_2) | instid1(VALU_DEP_3)
	v_dual_add_f32 v3, v3, v237 :: v_dual_add_f32 v2, v2, v6
	v_mul_f32_e32 v6, v217, v173
	v_fma_f32 v4, v214, v170, -v4
	v_dual_add_f32 v3, v3, v238 :: v_dual_add_f32 v2, v2, v5
	v_dual_mul_f32 v5, v219, v31 :: v_dual_fmac_f32 v240, v217, v172
	s_delay_alu instid0(VALU_DEP_4) | instskip(NEXT) | instid1(VALU_DEP_3)
	v_fma_f32 v6, v216, v172, -v6
	v_dual_add_f32 v3, v3, v239 :: v_dual_add_f32 v2, v2, v4
	s_delay_alu instid0(VALU_DEP_3) | instskip(NEXT) | instid1(VALU_DEP_2)
	v_fma_f32 v4, v218, v30, -v5
	v_dual_add_f32 v3, v3, v240 :: v_dual_add_f32 v2, v2, v6
	s_delay_alu instid0(VALU_DEP_1) | instskip(SKIP_1) | instid1(VALU_DEP_1)
	v_dual_add_f32 v3, v3, v241 :: v_dual_add_f32 v2, v2, v4
	s_wait_loadcnt 0x0
	v_dual_sub_f32 v3, v156, v3 :: v_dual_sub_f32 v2, v155, v2
	scratch_store_b64 off, v[2:3], off offset:296
	v_cmpx_lt_u32_e32 36, v0
	s_cbranch_execz .LBB60_307
; %bb.306:
	scratch_load_b64 v[3:4], off, off offset:288
	v_mov_b32_e32 v2, v1
	scratch_store_b64 off, v[1:2], off offset:288
	s_wait_loadcnt 0x0
	ds_store_b64 v157, v[3:4]
.LBB60_307:
	s_wait_alu 0xfffe
	s_or_b32 exec_lo, exec_lo, s0
	s_wait_storecnt_dscnt 0x0
	s_barrier_signal -1
	s_barrier_wait -1
	global_inv scope:SCOPE_SE
	s_clause 0xc
	scratch_load_b128 v[2:5], off, off offset:296
	scratch_load_b128 v[6:9], off, off offset:312
	;; [unrolled: 1-line block ×12, first 2 shown]
	scratch_load_b64 v[30:31], off, off offset:288
	ds_load_2addr_b64 v[178:181], v1 offset0:99 offset1:100
	ds_load_2addr_b64 v[182:185], v1 offset0:101 offset1:102
	;; [unrolled: 1-line block ×12, first 2 shown]
	s_mov_b32 s0, exec_lo
	s_wait_loadcnt_dscnt 0xc0b
	v_dual_mul_f32 v1, v178, v3 :: v_dual_mul_f32 v32, v180, v5
	v_mul_f32_e32 v3, v179, v3
	v_mul_f32_e32 v5, v181, v5
	s_wait_loadcnt_dscnt 0xb0a
	v_dual_mul_f32 v155, v182, v7 :: v_dual_mul_f32 v156, v184, v9
	v_fmac_f32_e32 v32, v181, v4
	v_fma_f32 v3, v178, v2, -v3
	s_wait_loadcnt_dscnt 0xa09
	v_dual_mul_f32 v226, v186, v11 :: v_dual_mul_f32 v227, v188, v13
	v_dual_fmac_f32 v1, v179, v2 :: v_dual_fmac_f32 v156, v185, v8
	v_mul_f32_e32 v2, v183, v7
	v_fma_f32 v4, v180, v4, -v5
	s_delay_alu instid0(VALU_DEP_4) | instskip(NEXT) | instid1(VALU_DEP_4)
	v_dual_add_f32 v3, 0, v3 :: v_dual_fmac_f32 v226, v187, v10
	v_add_f32_e32 v1, 0, v1
	s_delay_alu instid0(VALU_DEP_4) | instskip(SKIP_4) | instid1(VALU_DEP_3)
	v_fma_f32 v2, v182, v6, -v2
	s_wait_loadcnt_dscnt 0x908
	v_dual_mul_f32 v228, v190, v15 :: v_dual_mul_f32 v229, v192, v17
	v_add_f32_e32 v3, v3, v4
	v_dual_mul_f32 v5, v185, v9 :: v_dual_mul_f32 v4, v187, v11
	v_dual_add_f32 v1, v1, v32 :: v_dual_fmac_f32 v228, v191, v14
	s_delay_alu instid0(VALU_DEP_3) | instskip(NEXT) | instid1(VALU_DEP_3)
	v_add_f32_e32 v2, v3, v2
	v_fma_f32 v5, v184, v8, -v5
	v_fmac_f32_e32 v155, v183, v6
	v_fma_f32 v4, v186, v10, -v4
	s_wait_loadcnt_dscnt 0x807
	v_dual_mul_f32 v230, v194, v19 :: v_dual_mul_f32 v231, v196, v21
	s_delay_alu instid0(VALU_DEP_3) | instskip(NEXT) | instid1(VALU_DEP_2)
	v_dual_add_f32 v2, v2, v5 :: v_dual_add_f32 v1, v1, v155
	v_dual_mul_f32 v3, v189, v13 :: v_dual_fmac_f32 v230, v195, v18
	s_wait_loadcnt_dscnt 0x706
	v_dual_mul_f32 v232, v198, v23 :: v_dual_mul_f32 v233, v200, v25
	s_delay_alu instid0(VALU_DEP_3)
	v_add_f32_e32 v2, v2, v4
	v_mul_f32_e32 v4, v193, v17
	v_fma_f32 v3, v188, v12, -v3
	s_wait_loadcnt_dscnt 0x504
	v_dual_add_f32 v1, v1, v156 :: v_dual_mul_f32 v236, v206, v159
	v_mul_f32_e32 v237, v208, v161
	v_fma_f32 v4, v192, v16, -v4
	v_mul_f32_e32 v5, v191, v15
	s_delay_alu instid0(VALU_DEP_4) | instskip(SKIP_1) | instid1(VALU_DEP_3)
	v_dual_add_f32 v2, v2, v3 :: v_dual_add_f32 v1, v1, v226
	v_dual_mul_f32 v234, v202, v27 :: v_dual_mul_f32 v235, v204, v29
	v_fma_f32 v5, v190, v14, -v5
	v_dual_fmac_f32 v227, v189, v12 :: v_dual_fmac_f32 v232, v199, v22
	s_delay_alu instid0(VALU_DEP_3)
	v_fmac_f32_e32 v234, v203, v26
	s_wait_loadcnt_dscnt 0x201
	v_dual_mul_f32 v242, v218, v171 :: v_dual_mul_f32 v243, v220, v173
	v_add_f32_e32 v2, v2, v5
	v_dual_mul_f32 v238, v210, v163 :: v_dual_mul_f32 v239, v212, v165
	v_dual_fmac_f32 v233, v201, v24 :: v_dual_mul_f32 v240, v214, v167
	s_delay_alu instid0(VALU_DEP_3) | instskip(SKIP_2) | instid1(VALU_DEP_4)
	v_dual_mul_f32 v241, v216, v169 :: v_dual_add_f32 v2, v2, v4
	v_mul_f32_e32 v4, v199, v23
	v_add_f32_e32 v1, v1, v227
	v_dual_fmac_f32 v235, v205, v28 :: v_dual_fmac_f32 v240, v215, v166
	v_fmac_f32_e32 v236, v207, v158
	s_delay_alu instid0(VALU_DEP_4)
	v_fma_f32 v4, v198, v22, -v4
	v_mul_f32_e32 v5, v197, v21
	v_add_f32_e32 v1, v1, v228
	s_wait_loadcnt_dscnt 0x100
	v_dual_fmac_f32 v237, v209, v160 :: v_dual_mul_f32 v244, v222, v175
	v_mul_f32_e32 v245, v224, v177
	v_fma_f32 v5, v196, v20, -v5
	v_mul_f32_e32 v3, v195, v19
	v_dual_fmac_f32 v243, v221, v172 :: v_dual_fmac_f32 v242, v219, v170
	s_delay_alu instid0(VALU_DEP_4) | instskip(NEXT) | instid1(VALU_DEP_3)
	v_dual_fmac_f32 v245, v225, v176 :: v_dual_fmac_f32 v238, v211, v162
	v_fma_f32 v3, v194, v18, -v3
	v_dual_fmac_f32 v229, v193, v16 :: v_dual_fmac_f32 v244, v223, v174
	s_delay_alu instid0(VALU_DEP_2) | instskip(NEXT) | instid1(VALU_DEP_1)
	v_dual_add_f32 v2, v2, v3 :: v_dual_mul_f32 v3, v201, v25
	v_dual_add_f32 v2, v2, v5 :: v_dual_mul_f32 v5, v203, v27
	s_delay_alu instid0(VALU_DEP_2) | instskip(NEXT) | instid1(VALU_DEP_2)
	v_fma_f32 v3, v200, v24, -v3
	v_dual_add_f32 v2, v2, v4 :: v_dual_add_f32 v1, v1, v229
	v_mul_f32_e32 v4, v205, v29
	s_delay_alu instid0(VALU_DEP_4) | instskip(NEXT) | instid1(VALU_DEP_3)
	v_fma_f32 v5, v202, v26, -v5
	v_dual_add_f32 v2, v2, v3 :: v_dual_fmac_f32 v231, v197, v20
	s_delay_alu instid0(VALU_DEP_3) | instskip(NEXT) | instid1(VALU_DEP_2)
	v_fma_f32 v4, v204, v28, -v4
	v_add_f32_e32 v2, v2, v5
	v_mul_f32_e32 v5, v209, v161
	s_delay_alu instid0(VALU_DEP_2) | instskip(NEXT) | instid1(VALU_DEP_2)
	v_dual_add_f32 v1, v1, v230 :: v_dual_add_f32 v2, v2, v4
	v_fma_f32 v5, v208, v160, -v5
	v_mul_f32_e32 v3, v207, v159
	s_delay_alu instid0(VALU_DEP_3) | instskip(SKIP_1) | instid1(VALU_DEP_3)
	v_add_f32_e32 v1, v1, v231
	v_mul_f32_e32 v4, v211, v163
	v_fma_f32 v3, v206, v158, -v3
	s_delay_alu instid0(VALU_DEP_3) | instskip(NEXT) | instid1(VALU_DEP_3)
	v_add_f32_e32 v1, v1, v232
	v_fma_f32 v4, v210, v162, -v4
	s_delay_alu instid0(VALU_DEP_3) | instskip(NEXT) | instid1(VALU_DEP_1)
	v_add_f32_e32 v2, v2, v3
	v_add_f32_e32 v2, v2, v5
	s_delay_alu instid0(VALU_DEP_4) | instskip(NEXT) | instid1(VALU_DEP_2)
	v_add_f32_e32 v1, v1, v233
	v_dual_mul_f32 v5, v215, v167 :: v_dual_add_f32 v2, v2, v4
	v_mul_f32_e32 v4, v217, v169
	s_delay_alu instid0(VALU_DEP_2) | instskip(NEXT) | instid1(VALU_DEP_2)
	v_fma_f32 v5, v214, v166, -v5
	v_fma_f32 v4, v216, v168, -v4
	v_mul_f32_e32 v3, v213, v165
	s_delay_alu instid0(VALU_DEP_1) | instskip(NEXT) | instid1(VALU_DEP_1)
	v_fma_f32 v3, v212, v164, -v3
	v_dual_add_f32 v1, v1, v234 :: v_dual_add_f32 v2, v2, v3
	s_delay_alu instid0(VALU_DEP_1) | instskip(NEXT) | instid1(VALU_DEP_2)
	v_add_f32_e32 v1, v1, v235
	v_dual_mul_f32 v3, v219, v171 :: v_dual_add_f32 v2, v2, v5
	v_mul_f32_e32 v5, v221, v173
	s_delay_alu instid0(VALU_DEP_2) | instskip(NEXT) | instid1(VALU_DEP_3)
	v_fma_f32 v3, v218, v170, -v3
	v_add_f32_e32 v2, v2, v4
	v_dual_add_f32 v1, v1, v236 :: v_dual_mul_f32 v4, v223, v175
	s_delay_alu instid0(VALU_DEP_4) | instskip(NEXT) | instid1(VALU_DEP_2)
	v_fma_f32 v5, v220, v172, -v5
	v_dual_add_f32 v2, v2, v3 :: v_dual_add_f32 v1, v1, v237
	v_fmac_f32_e32 v239, v213, v164
	s_delay_alu instid0(VALU_DEP_4) | instskip(SKIP_1) | instid1(VALU_DEP_4)
	v_fma_f32 v4, v222, v174, -v4
	v_mul_f32_e32 v3, v225, v177
	v_dual_add_f32 v2, v2, v5 :: v_dual_add_f32 v1, v1, v238
	s_delay_alu instid0(VALU_DEP_2) | instskip(NEXT) | instid1(VALU_DEP_2)
	v_fma_f32 v3, v224, v176, -v3
	v_dual_add_f32 v2, v2, v4 :: v_dual_add_f32 v1, v1, v239
	s_delay_alu instid0(VALU_DEP_1) | instskip(NEXT) | instid1(VALU_DEP_2)
	v_dual_fmac_f32 v241, v217, v168 :: v_dual_add_f32 v2, v2, v3
	v_add_f32_e32 v1, v1, v240
	s_delay_alu instid0(VALU_DEP_1) | instskip(NEXT) | instid1(VALU_DEP_1)
	v_add_f32_e32 v1, v1, v241
	v_add_f32_e32 v1, v1, v242
	s_delay_alu instid0(VALU_DEP_1) | instskip(NEXT) | instid1(VALU_DEP_1)
	v_add_f32_e32 v1, v1, v243
	v_add_f32_e32 v1, v1, v244
	s_delay_alu instid0(VALU_DEP_1) | instskip(SKIP_1) | instid1(VALU_DEP_1)
	v_add_f32_e32 v3, v1, v245
	s_wait_loadcnt 0x0
	v_dual_sub_f32 v1, v30, v2 :: v_dual_sub_f32 v2, v31, v3
	scratch_store_b64 off, v[1:2], off offset:288
	v_cmpx_lt_u32_e32 35, v0
	s_cbranch_execz .LBB60_309
; %bb.308:
	scratch_load_b64 v[1:2], off, off offset:280
	v_mov_b32_e32 v3, 0
	s_delay_alu instid0(VALU_DEP_1)
	v_mov_b32_e32 v4, v3
	scratch_store_b64 off, v[3:4], off offset:280
	s_wait_loadcnt 0x0
	ds_store_b64 v157, v[1:2]
.LBB60_309:
	s_wait_alu 0xfffe
	s_or_b32 exec_lo, exec_lo, s0
	s_wait_storecnt_dscnt 0x0
	s_barrier_signal -1
	s_barrier_wait -1
	global_inv scope:SCOPE_SE
	s_clause 0xd
	scratch_load_b128 v[2:5], off, off offset:288
	scratch_load_b128 v[6:9], off, off offset:304
	;; [unrolled: 1-line block ×12, first 2 shown]
	scratch_load_b64 v[30:31], off, off offset:480
	scratch_load_b64 v[155:156], off, off offset:280
	v_mov_b32_e32 v1, 0
	ds_load_b128 v[178:181], v1 offset:784
	ds_load_b128 v[182:185], v1 offset:800
	;; [unrolled: 1-line block ×12, first 2 shown]
	ds_load_b64 v[226:227], v1 offset:976
	s_mov_b32 s0, exec_lo
	s_wait_loadcnt_dscnt 0xd0c
	v_mul_f32_e32 v32, v178, v3
	s_wait_loadcnt_dscnt 0xc0b
	v_dual_mul_f32 v228, v180, v5 :: v_dual_mul_f32 v229, v182, v7
	v_mul_f32_e32 v5, v181, v5
	s_wait_loadcnt_dscnt 0xb0a
	v_dual_mul_f32 v230, v184, v9 :: v_dual_mul_f32 v231, v186, v11
	v_dual_mul_f32 v3, v179, v3 :: v_dual_mul_f32 v232, v188, v13
	s_wait_loadcnt_dscnt 0xa09
	v_dual_mul_f32 v233, v190, v15 :: v_dual_fmac_f32 v32, v179, v2
	s_wait_loadcnt_dscnt 0x302
	v_mul_f32_e32 v248, v220, v173
	v_fma_f32 v3, v178, v2, -v3
	s_wait_loadcnt_dscnt 0x100
	v_mul_f32_e32 v251, v226, v31
	v_mul_f32_e32 v2, v183, v7
	v_fmac_f32_e32 v228, v181, v4
	v_fma_f32 v4, v180, v4, -v5
	v_add_f32_e32 v3, 0, v3
	v_dual_fmac_f32 v231, v187, v10 :: v_dual_fmac_f32 v232, v189, v12
	v_fma_f32 v2, v182, v6, -v2
	v_dual_mul_f32 v234, v192, v17 :: v_dual_mul_f32 v235, v194, v19
	s_delay_alu instid0(VALU_DEP_4) | instskip(SKIP_1) | instid1(VALU_DEP_3)
	v_add_f32_e32 v3, v3, v4
	v_add_f32_e32 v5, 0, v32
	v_dual_fmac_f32 v233, v191, v14 :: v_dual_fmac_f32 v234, v193, v16
	v_fmac_f32_e32 v230, v185, v8
	s_delay_alu instid0(VALU_DEP_4) | instskip(NEXT) | instid1(VALU_DEP_4)
	v_dual_add_f32 v2, v3, v2 :: v_dual_mul_f32 v7, v185, v9
	v_dual_fmac_f32 v229, v183, v6 :: v_dual_add_f32 v4, v5, v228
	v_dual_mul_f32 v5, v187, v11 :: v_dual_mul_f32 v236, v196, v21
	v_mul_f32_e32 v237, v198, v23
	s_delay_alu instid0(VALU_DEP_4) | instskip(NEXT) | instid1(VALU_DEP_4)
	v_fma_f32 v6, v184, v8, -v7
	v_add_f32_e32 v3, v4, v229
	v_mul_f32_e32 v4, v189, v13
	v_fma_f32 v5, v186, v10, -v5
	v_dual_mul_f32 v238, v200, v25 :: v_dual_mul_f32 v239, v202, v27
	v_add_f32_e32 v2, v2, v6
	v_mul_f32_e32 v6, v191, v15
	v_add_f32_e32 v3, v3, v230
	v_fma_f32 v4, v188, v12, -v4
	v_dual_fmac_f32 v237, v199, v22 :: v_dual_fmac_f32 v238, v201, v24
	s_delay_alu instid0(VALU_DEP_3) | instskip(SKIP_3) | instid1(VALU_DEP_4)
	v_dual_add_f32 v2, v2, v5 :: v_dual_add_f32 v3, v3, v231
	v_mul_f32_e32 v5, v193, v17
	v_fma_f32 v6, v190, v14, -v6
	v_dual_mul_f32 v240, v204, v29 :: v_dual_mul_f32 v241, v206, v159
	v_add_f32_e32 v2, v2, v4
	v_add_f32_e32 v3, v3, v232
	v_mul_f32_e32 v4, v195, v19
	v_fma_f32 v5, v192, v16, -v5
	v_fmac_f32_e32 v235, v195, v18
	s_delay_alu instid0(VALU_DEP_4) | instskip(SKIP_3) | instid1(VALU_DEP_4)
	v_dual_add_f32 v2, v2, v6 :: v_dual_add_f32 v3, v3, v233
	v_fmac_f32_e32 v236, v197, v20
	v_mul_f32_e32 v6, v197, v21
	v_fma_f32 v4, v194, v18, -v4
	v_dual_add_f32 v2, v2, v5 :: v_dual_add_f32 v3, v3, v234
	v_mul_f32_e32 v5, v199, v23
	s_delay_alu instid0(VALU_DEP_4) | instskip(SKIP_1) | instid1(VALU_DEP_4)
	v_fma_f32 v6, v196, v20, -v6
	v_dual_mul_f32 v242, v208, v161 :: v_dual_mul_f32 v243, v210, v163
	v_dual_add_f32 v2, v2, v4 :: v_dual_add_f32 v3, v3, v235
	v_mul_f32_e32 v4, v201, v25
	v_fma_f32 v5, v198, v22, -v5
	v_fmac_f32_e32 v239, v203, v26
	s_delay_alu instid0(VALU_DEP_4) | instskip(SKIP_3) | instid1(VALU_DEP_4)
	v_dual_add_f32 v2, v2, v6 :: v_dual_add_f32 v3, v3, v236
	v_mul_f32_e32 v6, v203, v27
	v_fma_f32 v4, v200, v24, -v4
	v_fmac_f32_e32 v240, v205, v28
	v_add_f32_e32 v2, v2, v5
	v_add_f32_e32 v3, v3, v237
	v_mul_f32_e32 v5, v205, v29
	v_fma_f32 v6, v202, v26, -v6
	s_delay_alu instid0(VALU_DEP_4) | instskip(NEXT) | instid1(VALU_DEP_4)
	v_dual_fmac_f32 v241, v207, v158 :: v_dual_add_f32 v2, v2, v4
	v_add_f32_e32 v3, v3, v238
	v_mul_f32_e32 v4, v207, v159
	v_fma_f32 v5, v204, v28, -v5
	v_dual_mul_f32 v244, v212, v165 :: v_dual_mul_f32 v245, v214, v167
	s_delay_alu instid0(VALU_DEP_4) | instskip(SKIP_3) | instid1(VALU_DEP_4)
	v_dual_add_f32 v2, v2, v6 :: v_dual_add_f32 v3, v3, v239
	v_mul_f32_e32 v6, v209, v161
	v_fma_f32 v4, v206, v158, -v4
	v_fmac_f32_e32 v242, v209, v160
	v_dual_add_f32 v2, v2, v5 :: v_dual_add_f32 v3, v3, v240
	v_mul_f32_e32 v5, v211, v163
	v_fma_f32 v6, v208, v160, -v6
	s_delay_alu instid0(VALU_DEP_3) | instskip(NEXT) | instid1(VALU_DEP_4)
	v_dual_fmac_f32 v243, v211, v162 :: v_dual_add_f32 v2, v2, v4
	v_add_f32_e32 v3, v3, v241
	v_mul_f32_e32 v4, v213, v165
	v_fma_f32 v5, v210, v162, -v5
	v_fmac_f32_e32 v244, v213, v164
	v_dual_mul_f32 v246, v216, v169 :: v_dual_mul_f32 v247, v218, v171
	v_add_f32_e32 v3, v3, v242
	v_add_f32_e32 v2, v2, v6
	v_mul_f32_e32 v6, v215, v167
	v_fma_f32 v4, v212, v164, -v4
	v_fmac_f32_e32 v245, v215, v166
	s_delay_alu instid0(VALU_DEP_4) | instskip(SKIP_3) | instid1(VALU_DEP_4)
	v_dual_add_f32 v3, v3, v243 :: v_dual_add_f32 v2, v2, v5
	v_mul_f32_e32 v5, v217, v169
	v_fma_f32 v6, v214, v166, -v6
	v_dual_fmac_f32 v246, v217, v168 :: v_dual_fmac_f32 v247, v219, v170
	v_add_f32_e32 v3, v3, v244
	v_add_f32_e32 v2, v2, v4
	v_mul_f32_e32 v4, v219, v171
	v_fma_f32 v5, v216, v168, -v5
	v_dual_mul_f32 v249, v222, v175 :: v_dual_mul_f32 v250, v224, v177
	s_delay_alu instid0(VALU_DEP_4) | instskip(SKIP_2) | instid1(VALU_DEP_4)
	v_dual_add_f32 v3, v3, v245 :: v_dual_add_f32 v2, v2, v6
	v_mul_f32_e32 v6, v221, v173
	v_fma_f32 v4, v218, v170, -v4
	v_fmac_f32_e32 v249, v223, v174
	s_delay_alu instid0(VALU_DEP_4) | instskip(SKIP_2) | instid1(VALU_DEP_3)
	v_dual_add_f32 v3, v3, v246 :: v_dual_add_f32 v2, v2, v5
	v_dual_mul_f32 v5, v223, v175 :: v_dual_fmac_f32 v248, v221, v172
	v_fma_f32 v6, v220, v172, -v6
	v_dual_add_f32 v3, v3, v247 :: v_dual_add_f32 v2, v2, v4
	v_mul_f32_e32 v4, v225, v177
	s_delay_alu instid0(VALU_DEP_4) | instskip(SKIP_1) | instid1(VALU_DEP_4)
	v_fma_f32 v5, v222, v174, -v5
	v_dual_fmac_f32 v250, v225, v176 :: v_dual_fmac_f32 v251, v227, v30
	v_dual_add_f32 v3, v3, v248 :: v_dual_add_f32 v2, v2, v6
	v_mul_f32_e32 v6, v227, v31
	v_fma_f32 v4, v224, v176, -v4
	s_delay_alu instid0(VALU_DEP_3) | instskip(NEXT) | instid1(VALU_DEP_4)
	v_add_f32_e32 v3, v3, v249
	v_add_f32_e32 v2, v2, v5
	s_delay_alu instid0(VALU_DEP_4) | instskip(NEXT) | instid1(VALU_DEP_2)
	v_fma_f32 v5, v226, v30, -v6
	v_dual_add_f32 v3, v3, v250 :: v_dual_add_f32 v2, v2, v4
	s_delay_alu instid0(VALU_DEP_1) | instskip(SKIP_1) | instid1(VALU_DEP_1)
	v_dual_add_f32 v3, v3, v251 :: v_dual_add_f32 v2, v2, v5
	s_wait_loadcnt 0x0
	v_dual_sub_f32 v3, v156, v3 :: v_dual_sub_f32 v2, v155, v2
	scratch_store_b64 off, v[2:3], off offset:280
	v_cmpx_lt_u32_e32 34, v0
	s_cbranch_execz .LBB60_311
; %bb.310:
	scratch_load_b64 v[3:4], off, off offset:272
	v_mov_b32_e32 v2, v1
	scratch_store_b64 off, v[1:2], off offset:272
	s_wait_loadcnt 0x0
	ds_store_b64 v157, v[3:4]
.LBB60_311:
	s_wait_alu 0xfffe
	s_or_b32 exec_lo, exec_lo, s0
	s_wait_storecnt_dscnt 0x0
	s_barrier_signal -1
	s_barrier_wait -1
	global_inv scope:SCOPE_SE
	s_clause 0x4
	scratch_load_b128 v[2:5], off, off offset:280
	scratch_load_b128 v[6:9], off, off offset:296
	scratch_load_b128 v[10:13], off, off offset:312
	scratch_load_b128 v[14:17], off, off offset:328
	scratch_load_b128 v[18:21], off, off offset:344
	ds_load_2addr_b64 v[22:25], v1 offset0:97 offset1:98
	ds_load_2addr_b64 v[26:29], v1 offset0:99 offset1:100
	;; [unrolled: 1-line block ×3, first 2 shown]
	scratch_load_b64 v[30:31], off, off offset:272
	s_mov_b32 s0, exec_lo
	s_wait_loadcnt_dscnt 0x502
	v_mul_f32_e32 v32, v23, v3
	v_dual_mul_f32 v155, v22, v3 :: v_dual_mul_f32 v156, v24, v5
	v_mul_f32_e32 v3, v25, v5
	s_wait_loadcnt_dscnt 0x300
	v_mul_f32_e32 v162, v160, v13
	v_fma_f32 v22, v22, v2, -v32
	v_dual_fmac_f32 v155, v23, v2 :: v_dual_fmac_f32 v156, v25, v4
	v_fma_f32 v23, v24, v4, -v3
	ds_load_2addr_b64 v[2:5], v1 offset0:103 offset1:104
	v_dual_mul_f32 v24, v26, v7 :: v_dual_mul_f32 v25, v28, v9
	v_mul_f32_e32 v7, v27, v7
	v_dual_mul_f32 v9, v29, v9 :: v_dual_mul_f32 v32, v158, v11
	v_dual_mul_f32 v11, v159, v11 :: v_dual_fmac_f32 v162, v161, v12
	s_delay_alu instid0(VALU_DEP_4) | instskip(SKIP_1) | instid1(VALU_DEP_4)
	v_dual_mul_f32 v13, v161, v13 :: v_dual_fmac_f32 v24, v27, v6
	v_fmac_f32_e32 v25, v29, v8
	v_fma_f32 v27, v28, v8, -v9
	v_fmac_f32_e32 v32, v159, v10
	v_fma_f32 v28, v158, v10, -v11
	v_fma_f32 v29, v160, v12, -v13
	ds_load_2addr_b64 v[10:13], v1 offset0:105 offset1:106
	v_fma_f32 v26, v26, v6, -v7
	scratch_load_b128 v[6:9], off, off offset:360
	s_wait_loadcnt_dscnt 0x301
	v_dual_mul_f32 v158, v2, v15 :: v_dual_mul_f32 v159, v4, v17
	v_mul_f32_e32 v15, v3, v15
	s_delay_alu instid0(VALU_DEP_2) | instskip(NEXT) | instid1(VALU_DEP_3)
	v_dual_mul_f32 v17, v5, v17 :: v_dual_fmac_f32 v158, v3, v14
	v_fmac_f32_e32 v159, v5, v16
	s_delay_alu instid0(VALU_DEP_2)
	v_fma_f32 v161, v4, v16, -v17
	s_wait_loadcnt_dscnt 0x200
	v_mul_f32_e32 v164, v12, v21
	v_fma_f32 v160, v2, v14, -v15
	v_mul_f32_e32 v163, v10, v19
	v_dual_mul_f32 v14, v11, v19 :: v_dual_mul_f32 v15, v13, v21
	ds_load_2addr_b64 v[2:5], v1 offset0:107 offset1:108
	v_dual_fmac_f32 v164, v13, v20 :: v_dual_fmac_f32 v163, v11, v18
	v_fma_f32 v18, v10, v18, -v14
	v_fma_f32 v19, v12, v20, -v15
	scratch_load_b128 v[10:13], off, off offset:376
	s_wait_loadcnt_dscnt 0x100
	v_dual_mul_f32 v166, v4, v9 :: v_dual_mul_f32 v165, v2, v7
	v_mul_f32_e32 v7, v3, v7
	v_mul_f32_e32 v9, v5, v9
	s_delay_alu instid0(VALU_DEP_3) | instskip(NEXT) | instid1(VALU_DEP_3)
	v_dual_fmac_f32 v166, v5, v8 :: v_dual_fmac_f32 v165, v3, v6
	v_fma_f32 v167, v2, v6, -v7
	s_delay_alu instid0(VALU_DEP_3)
	v_fma_f32 v168, v4, v8, -v9
	ds_load_2addr_b64 v[2:5], v1 offset0:109 offset1:110
	ds_load_2addr_b64 v[6:9], v1 offset0:111 offset1:112
	s_wait_loadcnt_dscnt 0x1
	v_mul_f32_e32 v169, v2, v11
	v_dual_mul_f32 v11, v3, v11 :: v_dual_mul_f32 v170, v4, v13
	s_delay_alu instid0(VALU_DEP_1) | instskip(NEXT) | instid1(VALU_DEP_3)
	v_fma_f32 v171, v2, v10, -v11
	v_dual_mul_f32 v2, v5, v13 :: v_dual_fmac_f32 v169, v3, v10
	s_delay_alu instid0(VALU_DEP_3) | instskip(NEXT) | instid1(VALU_DEP_2)
	v_fmac_f32_e32 v170, v5, v12
	v_fma_f32 v172, v4, v12, -v2
	s_clause 0x1
	scratch_load_b128 v[2:5], off, off offset:392
	scratch_load_b128 v[10:13], off, off offset:408
	s_wait_loadcnt_dscnt 0x100
	v_mul_f32_e32 v173, v6, v3
	v_mul_f32_e32 v3, v7, v3
	;; [unrolled: 1-line block ×3, first 2 shown]
	s_delay_alu instid0(VALU_DEP_2) | instskip(SKIP_1) | instid1(VALU_DEP_1)
	v_fma_f32 v174, v6, v2, -v3
	v_add_f32_e32 v3, 0, v155
	v_add_f32_e32 v6, v3, v156
	s_delay_alu instid0(VALU_DEP_1) | instskip(SKIP_1) | instid1(VALU_DEP_2)
	v_dual_add_f32 v14, v6, v24 :: v_dual_fmac_f32 v173, v7, v2
	v_mul_f32_e32 v2, v9, v5
	v_add_f32_e32 v14, v14, v25
	s_delay_alu instid0(VALU_DEP_2) | instskip(SKIP_1) | instid1(VALU_DEP_3)
	v_fma_f32 v176, v8, v4, -v2
	v_add_f32_e32 v2, 0, v22
	v_add_f32_e32 v14, v14, v32
	s_delay_alu instid0(VALU_DEP_2) | instskip(NEXT) | instid1(VALU_DEP_2)
	v_add_f32_e32 v2, v2, v23
	v_add_f32_e32 v21, v14, v162
	s_delay_alu instid0(VALU_DEP_2) | instskip(NEXT) | instid1(VALU_DEP_2)
	;; [unrolled: 3-line block ×3, first 2 shown]
	v_add_f32_e32 v15, v7, v27
	v_add_f32_e32 v21, v21, v159
	s_delay_alu instid0(VALU_DEP_1)
	v_dual_add_f32 v15, v15, v28 :: v_dual_add_f32 v22, v21, v163
	v_fmac_f32_e32 v175, v9, v4
	scratch_load_b128 v[6:9], off, off offset:424
	ds_load_2addr_b64 v[2:5], v1 offset0:113 offset1:114
	v_add_f32_e32 v20, v15, v29
	ds_load_2addr_b64 v[14:17], v1 offset0:115 offset1:116
	v_add_f32_e32 v22, v22, v164
	v_add_f32_e32 v20, v20, v160
	s_delay_alu instid0(VALU_DEP_2) | instskip(NEXT) | instid1(VALU_DEP_2)
	v_add_f32_e32 v22, v22, v165
	v_add_f32_e32 v20, v20, v161
	s_delay_alu instid0(VALU_DEP_1) | instskip(SKIP_4) | instid1(VALU_DEP_3)
	v_add_f32_e32 v18, v20, v18
	s_wait_loadcnt_dscnt 0x101
	v_mul_f32_e32 v26, v2, v11
	v_mul_f32_e32 v11, v3, v11
	;; [unrolled: 1-line block ×3, first 2 shown]
	v_dual_mul_f32 v13, v5, v13 :: v_dual_fmac_f32 v26, v3, v10
	s_delay_alu instid0(VALU_DEP_3) | instskip(NEXT) | instid1(VALU_DEP_3)
	v_fma_f32 v28, v2, v10, -v11
	v_fmac_f32_e32 v27, v5, v12
	s_delay_alu instid0(VALU_DEP_3)
	v_fma_f32 v29, v4, v12, -v13
	s_clause 0x1
	scratch_load_b128 v[2:5], off, off offset:440
	scratch_load_b128 v[10:13], off, off offset:456
	v_add_f32_e32 v23, v18, v19
	scratch_load_b128 v[18:21], off, off offset:472
	s_wait_loadcnt_dscnt 0x300
	v_dual_mul_f32 v32, v14, v7 :: v_dual_mul_f32 v155, v16, v9
	s_delay_alu instid0(VALU_DEP_1) | instskip(SKIP_1) | instid1(VALU_DEP_3)
	v_dual_mul_f32 v9, v17, v9 :: v_dual_fmac_f32 v32, v15, v6
	v_mul_f32_e32 v7, v15, v7
	v_fmac_f32_e32 v155, v17, v8
	s_delay_alu instid0(VALU_DEP_3) | instskip(NEXT) | instid1(VALU_DEP_3)
	v_fma_f32 v158, v16, v8, -v9
	v_fma_f32 v156, v14, v6, -v7
	ds_load_2addr_b64 v[6:9], v1 offset0:117 offset1:118
	v_dual_add_f32 v23, v23, v167 :: v_dual_add_f32 v14, v22, v166
	s_delay_alu instid0(VALU_DEP_1) | instskip(NEXT) | instid1(VALU_DEP_1)
	v_add_f32_e32 v23, v23, v168
	v_dual_add_f32 v22, v23, v171 :: v_dual_add_f32 v23, v14, v169
	ds_load_2addr_b64 v[14:17], v1 offset0:119 offset1:120
	v_dual_add_f32 v159, v22, v172 :: v_dual_add_f32 v160, v23, v170
	ds_load_2addr_b64 v[22:25], v1 offset0:121 offset1:122
	v_add_f32_e32 v1, v159, v174
	s_wait_loadcnt_dscnt 0x202
	v_dual_add_f32 v159, v160, v173 :: v_dual_mul_f32 v160, v6, v3
	v_mul_f32_e32 v3, v7, v3
	s_delay_alu instid0(VALU_DEP_2) | instskip(NEXT) | instid1(VALU_DEP_3)
	v_fmac_f32_e32 v160, v7, v2
	v_add_f32_e32 v159, v159, v175
	s_delay_alu instid0(VALU_DEP_3) | instskip(SKIP_2) | instid1(VALU_DEP_3)
	v_fma_f32 v3, v6, v2, -v3
	s_wait_loadcnt_dscnt 0x101
	v_mul_f32_e32 v6, v15, v11
	v_dual_add_f32 v26, v159, v26 :: v_dual_mul_f32 v159, v14, v11
	s_delay_alu instid0(VALU_DEP_1) | instskip(SKIP_2) | instid1(VALU_DEP_1)
	v_dual_add_f32 v26, v26, v27 :: v_dual_fmac_f32 v159, v15, v10
	s_wait_loadcnt_dscnt 0x0
	v_mul_f32_e32 v27, v22, v19
	v_dual_add_f32 v26, v26, v32 :: v_dual_fmac_f32 v27, v23, v18
	s_delay_alu instid0(VALU_DEP_1) | instskip(NEXT) | instid1(VALU_DEP_1)
	v_dual_add_f32 v2, v26, v155 :: v_dual_add_f32 v1, v1, v176
	v_dual_add_f32 v2, v2, v160 :: v_dual_mul_f32 v161, v16, v13
	s_delay_alu instid0(VALU_DEP_1) | instskip(NEXT) | instid1(VALU_DEP_3)
	v_fmac_f32_e32 v161, v17, v12
	v_dual_add_f32 v1, v1, v28 :: v_dual_mul_f32 v28, v8, v5
	v_mul_f32_e32 v5, v9, v5
	s_delay_alu instid0(VALU_DEP_2) | instskip(NEXT) | instid1(VALU_DEP_2)
	v_fmac_f32_e32 v28, v9, v4
	v_fma_f32 v4, v8, v4, -v5
	v_fma_f32 v5, v14, v10, -v6
	s_delay_alu instid0(VALU_DEP_3) | instskip(NEXT) | instid1(VALU_DEP_1)
	v_add_f32_e32 v2, v2, v28
	v_add_f32_e32 v2, v2, v159
	s_delay_alu instid0(VALU_DEP_1) | instskip(SKIP_1) | instid1(VALU_DEP_2)
	v_add_f32_e32 v2, v2, v161
	v_add_f32_e32 v1, v1, v29
	v_dual_mul_f32 v29, v24, v21 :: v_dual_add_f32 v2, v2, v27
	s_delay_alu instid0(VALU_DEP_2) | instskip(NEXT) | instid1(VALU_DEP_2)
	v_add_f32_e32 v1, v1, v156
	v_fmac_f32_e32 v29, v25, v20
	s_delay_alu instid0(VALU_DEP_1) | instskip(NEXT) | instid1(VALU_DEP_1)
	v_dual_add_f32 v1, v1, v158 :: v_dual_add_f32 v2, v2, v29
	v_add_f32_e32 v1, v1, v3
	s_delay_alu instid0(VALU_DEP_2) | instskip(NEXT) | instid1(VALU_DEP_2)
	v_dual_mul_f32 v3, v17, v13 :: v_dual_sub_f32 v2, v31, v2
	v_dual_add_f32 v1, v1, v4 :: v_dual_mul_f32 v4, v23, v19
	s_delay_alu instid0(VALU_DEP_2) | instskip(NEXT) | instid1(VALU_DEP_2)
	v_fma_f32 v3, v16, v12, -v3
	v_add_f32_e32 v1, v1, v5
	v_mul_f32_e32 v5, v25, v21
	s_delay_alu instid0(VALU_DEP_4) | instskip(NEXT) | instid1(VALU_DEP_3)
	v_fma_f32 v4, v22, v18, -v4
	v_add_f32_e32 v1, v1, v3
	s_delay_alu instid0(VALU_DEP_3) | instskip(NEXT) | instid1(VALU_DEP_2)
	v_fma_f32 v3, v24, v20, -v5
	v_add_f32_e32 v1, v1, v4
	s_delay_alu instid0(VALU_DEP_1) | instskip(NEXT) | instid1(VALU_DEP_1)
	v_add_f32_e32 v1, v1, v3
	v_sub_f32_e32 v1, v30, v1
	scratch_store_b64 off, v[1:2], off offset:272
	v_cmpx_lt_u32_e32 33, v0
	s_cbranch_execz .LBB60_313
; %bb.312:
	scratch_load_b64 v[1:2], off, off offset:264
	v_mov_b32_e32 v3, 0
	s_delay_alu instid0(VALU_DEP_1)
	v_mov_b32_e32 v4, v3
	scratch_store_b64 off, v[3:4], off offset:264
	s_wait_loadcnt 0x0
	ds_store_b64 v157, v[1:2]
.LBB60_313:
	s_wait_alu 0xfffe
	s_or_b32 exec_lo, exec_lo, s0
	s_wait_storecnt_dscnt 0x0
	s_barrier_signal -1
	s_barrier_wait -1
	global_inv scope:SCOPE_SE
	s_clause 0x4
	scratch_load_b128 v[2:5], off, off offset:272
	scratch_load_b128 v[6:9], off, off offset:288
	;; [unrolled: 1-line block ×5, first 2 shown]
	v_mov_b32_e32 v1, 0
	ds_load_b128 v[22:25], v1 offset:768
	ds_load_b128 v[26:29], v1 offset:784
	;; [unrolled: 1-line block ×3, first 2 shown]
	scratch_load_b64 v[30:31], off, off offset:264
	s_mov_b32 s0, exec_lo
	s_wait_loadcnt_dscnt 0x502
	v_mul_f32_e32 v32, v23, v3
	v_dual_mul_f32 v155, v22, v3 :: v_dual_mul_f32 v156, v24, v5
	v_mul_f32_e32 v3, v25, v5
	s_wait_loadcnt_dscnt 0x300
	v_mul_f32_e32 v162, v160, v13
	v_fma_f32 v22, v22, v2, -v32
	v_dual_fmac_f32 v155, v23, v2 :: v_dual_fmac_f32 v156, v25, v4
	v_fma_f32 v23, v24, v4, -v3
	v_mul_f32_e32 v24, v26, v7
	v_mul_f32_e32 v7, v27, v7
	v_dual_mul_f32 v25, v28, v9 :: v_dual_mul_f32 v32, v158, v11
	s_delay_alu instid0(VALU_DEP_3) | instskip(NEXT) | instid1(VALU_DEP_3)
	v_dual_mul_f32 v9, v29, v9 :: v_dual_fmac_f32 v24, v27, v6
	v_fma_f32 v26, v26, v6, -v7
	s_delay_alu instid0(VALU_DEP_3) | instskip(NEXT) | instid1(VALU_DEP_3)
	v_dual_fmac_f32 v25, v29, v8 :: v_dual_fmac_f32 v32, v159, v10
	v_fma_f32 v27, v28, v8, -v9
	scratch_load_b128 v[6:9], off, off offset:352
	ds_load_b128 v[2:5], v1 offset:816
	v_dual_mul_f32 v11, v159, v11 :: v_dual_fmac_f32 v162, v161, v12
	v_mul_f32_e32 v13, v161, v13
	s_delay_alu instid0(VALU_DEP_2) | instskip(NEXT) | instid1(VALU_DEP_2)
	v_fma_f32 v28, v158, v10, -v11
	v_fma_f32 v29, v160, v12, -v13
	ds_load_b128 v[10:13], v1 offset:832
	s_wait_loadcnt_dscnt 0x301
	v_mul_f32_e32 v158, v2, v15
	v_mul_f32_e32 v15, v3, v15
	;; [unrolled: 1-line block ×3, first 2 shown]
	s_delay_alu instid0(VALU_DEP_3) | instskip(SKIP_1) | instid1(VALU_DEP_2)
	v_dual_mul_f32 v17, v5, v17 :: v_dual_fmac_f32 v158, v3, v14
	s_wait_loadcnt_dscnt 0x200
	v_dual_fmac_f32 v159, v5, v16 :: v_dual_mul_f32 v164, v12, v21
	v_fma_f32 v160, v2, v14, -v15
	v_mul_f32_e32 v14, v11, v19
	v_fma_f32 v161, v4, v16, -v17
	ds_load_b128 v[2:5], v1 offset:848
	v_dual_mul_f32 v163, v10, v19 :: v_dual_fmac_f32 v164, v13, v20
	v_mul_f32_e32 v15, v13, v21
	s_delay_alu instid0(VALU_DEP_1) | instskip(SKIP_1) | instid1(VALU_DEP_3)
	v_fma_f32 v19, v12, v20, -v15
	s_wait_loadcnt_dscnt 0x0
	v_dual_mul_f32 v166, v4, v9 :: v_dual_fmac_f32 v163, v11, v18
	v_fma_f32 v18, v10, v18, -v14
	scratch_load_b128 v[10:13], off, off offset:368
	v_mul_f32_e32 v165, v2, v7
	v_mul_f32_e32 v7, v3, v7
	;; [unrolled: 1-line block ×3, first 2 shown]
	s_delay_alu instid0(VALU_DEP_3) | instskip(NEXT) | instid1(VALU_DEP_3)
	v_dual_fmac_f32 v166, v5, v8 :: v_dual_fmac_f32 v165, v3, v6
	v_fma_f32 v167, v2, v6, -v7
	s_delay_alu instid0(VALU_DEP_3)
	v_fma_f32 v168, v4, v8, -v9
	ds_load_b128 v[2:5], v1 offset:864
	ds_load_b128 v[6:9], v1 offset:880
	s_wait_loadcnt_dscnt 0x1
	v_mul_f32_e32 v169, v2, v11
	v_dual_mul_f32 v11, v3, v11 :: v_dual_mul_f32 v170, v4, v13
	s_delay_alu instid0(VALU_DEP_2) | instskip(NEXT) | instid1(VALU_DEP_2)
	v_fmac_f32_e32 v169, v3, v10
	v_fma_f32 v171, v2, v10, -v11
	v_mul_f32_e32 v2, v5, v13
	s_delay_alu instid0(VALU_DEP_4) | instskip(NEXT) | instid1(VALU_DEP_2)
	v_fmac_f32_e32 v170, v5, v12
	v_fma_f32 v172, v4, v12, -v2
	s_clause 0x1
	scratch_load_b128 v[2:5], off, off offset:384
	scratch_load_b128 v[10:13], off, off offset:400
	s_wait_loadcnt_dscnt 0x100
	v_mul_f32_e32 v173, v6, v3
	v_mul_f32_e32 v3, v7, v3
	;; [unrolled: 1-line block ×3, first 2 shown]
	s_delay_alu instid0(VALU_DEP_2) | instskip(SKIP_1) | instid1(VALU_DEP_1)
	v_fma_f32 v174, v6, v2, -v3
	v_add_f32_e32 v3, 0, v155
	v_add_f32_e32 v6, v3, v156
	s_delay_alu instid0(VALU_DEP_1) | instskip(NEXT) | instid1(VALU_DEP_1)
	v_add_f32_e32 v14, v6, v24
	v_dual_add_f32 v14, v14, v25 :: v_dual_fmac_f32 v173, v7, v2
	v_mul_f32_e32 v2, v9, v5
	s_delay_alu instid0(VALU_DEP_2) | instskip(NEXT) | instid1(VALU_DEP_2)
	v_add_f32_e32 v14, v14, v32
	v_fma_f32 v176, v8, v4, -v2
	v_add_f32_e32 v2, 0, v22
	s_delay_alu instid0(VALU_DEP_3) | instskip(NEXT) | instid1(VALU_DEP_1)
	v_add_f32_e32 v21, v14, v162
	v_dual_add_f32 v2, v2, v23 :: v_dual_add_f32 v21, v21, v158
	s_delay_alu instid0(VALU_DEP_1) | instskip(NEXT) | instid1(VALU_DEP_1)
	v_add_f32_e32 v21, v21, v159
	v_dual_add_f32 v7, v2, v26 :: v_dual_add_f32 v22, v21, v163
	s_delay_alu instid0(VALU_DEP_1) | instskip(SKIP_2) | instid1(VALU_DEP_1)
	v_add_f32_e32 v15, v7, v27
	scratch_load_b64 v[26:27], off, off offset:480
	v_add_f32_e32 v22, v22, v164
	v_dual_add_f32 v15, v15, v28 :: v_dual_add_f32 v22, v22, v165
	s_delay_alu instid0(VALU_DEP_1)
	v_dual_fmac_f32 v175, v9, v4 :: v_dual_add_f32 v20, v15, v29
	scratch_load_b128 v[2:5], off, off offset:416
	ds_load_b128 v[6:9], v1 offset:896
	ds_load_b128 v[14:17], v1 offset:912
	v_add_f32_e32 v22, v22, v166
	v_add_f32_e32 v20, v20, v160
	s_delay_alu instid0(VALU_DEP_1) | instskip(NEXT) | instid1(VALU_DEP_1)
	v_add_f32_e32 v20, v20, v161
	v_add_f32_e32 v18, v20, v18
	s_wait_loadcnt_dscnt 0x201
	v_mul_f32_e32 v32, v6, v11
	v_mul_f32_e32 v11, v7, v11
	;; [unrolled: 1-line block ×3, first 2 shown]
	s_delay_alu instid0(VALU_DEP_3) | instskip(NEXT) | instid1(VALU_DEP_3)
	v_dual_mul_f32 v13, v9, v13 :: v_dual_fmac_f32 v32, v7, v10
	v_fma_f32 v156, v6, v10, -v11
	s_delay_alu instid0(VALU_DEP_3) | instskip(NEXT) | instid1(VALU_DEP_3)
	v_fmac_f32_e32 v155, v9, v12
	v_fma_f32 v158, v8, v12, -v13
	s_clause 0x1
	scratch_load_b128 v[6:9], off, off offset:432
	scratch_load_b128 v[10:13], off, off offset:448
	s_wait_loadcnt_dscnt 0x200
	v_dual_mul_f32 v160, v16, v5 :: v_dual_add_f32 v23, v18, v19
	scratch_load_b128 v[18:21], off, off offset:464
	v_mul_f32_e32 v159, v14, v3
	v_dual_mul_f32 v3, v15, v3 :: v_dual_fmac_f32 v160, v17, v4
	s_delay_alu instid0(VALU_DEP_1) | instskip(SKIP_1) | instid1(VALU_DEP_1)
	v_fma_f32 v161, v14, v2, -v3
	v_add_f32_e32 v14, v22, v169
	v_add_f32_e32 v22, v14, v170
	s_delay_alu instid0(VALU_DEP_1) | instskip(NEXT) | instid1(VALU_DEP_1)
	v_add_f32_e32 v29, v22, v173
	v_dual_fmac_f32 v159, v15, v2 :: v_dual_add_f32 v164, v29, v175
	s_delay_alu instid0(VALU_DEP_1) | instskip(NEXT) | instid1(VALU_DEP_1)
	v_dual_add_f32 v23, v23, v167 :: v_dual_add_f32 v32, v164, v32
	v_add_f32_e32 v23, v23, v168
	s_delay_alu instid0(VALU_DEP_2) | instskip(NEXT) | instid1(VALU_DEP_1)
	v_dual_mul_f32 v5, v17, v5 :: v_dual_add_f32 v32, v32, v155
	v_fma_f32 v162, v16, v4, -v5
	s_delay_alu instid0(VALU_DEP_3)
	v_add_f32_e32 v23, v23, v171
	ds_load_b128 v[2:5], v1 offset:928
	v_dual_add_f32 v32, v32, v159 :: v_dual_add_f32 v15, v23, v172
	ds_load_b128 v[22:25], v1 offset:960
	v_add_f32_e32 v32, v32, v160
	v_add_f32_e32 v28, v15, v174
	ds_load_b128 v[14:17], v1 offset:944
	v_add_f32_e32 v163, v28, v176
	ds_load_b64 v[28:29], v1 offset:976
	s_wait_loadcnt_dscnt 0x203
	v_dual_add_f32 v156, v163, v156 :: v_dual_mul_f32 v163, v2, v7
	s_delay_alu instid0(VALU_DEP_1) | instskip(NEXT) | instid1(VALU_DEP_1)
	v_dual_mul_f32 v7, v3, v7 :: v_dual_add_f32 v156, v156, v158
	v_fma_f32 v2, v2, v6, -v7
	s_delay_alu instid0(VALU_DEP_2) | instskip(SKIP_2) | instid1(VALU_DEP_2)
	v_add_f32_e32 v156, v156, v161
	s_wait_loadcnt_dscnt 0x101
	v_dual_mul_f32 v158, v14, v11 :: v_dual_mul_f32 v155, v4, v9
	v_dual_mul_f32 v9, v5, v9 :: v_dual_add_f32 v156, v156, v162
	s_wait_dscnt 0x0
	v_mul_f32_e32 v160, v28, v27
	s_delay_alu instid0(VALU_DEP_3) | instskip(NEXT) | instid1(VALU_DEP_3)
	v_fmac_f32_e32 v158, v15, v10
	v_add_f32_e32 v2, v156, v2
	s_wait_loadcnt 0x0
	s_delay_alu instid0(VALU_DEP_3) | instskip(SKIP_4) | instid1(VALU_DEP_4)
	v_dual_fmac_f32 v160, v29, v26 :: v_dual_mul_f32 v161, v22, v19
	v_dual_mul_f32 v162, v24, v21 :: v_dual_fmac_f32 v163, v3, v6
	v_mul_f32_e32 v6, v17, v13
	v_fma_f32 v3, v4, v8, -v9
	v_dual_mul_f32 v4, v15, v11 :: v_dual_mul_f32 v159, v16, v13
	v_fmac_f32_e32 v162, v25, v20
	s_delay_alu instid0(VALU_DEP_4) | instskip(NEXT) | instid1(VALU_DEP_4)
	v_fma_f32 v6, v16, v12, -v6
	v_add_f32_e32 v2, v2, v3
	s_delay_alu instid0(VALU_DEP_4) | instskip(NEXT) | instid1(VALU_DEP_1)
	v_fma_f32 v4, v14, v10, -v4
	v_dual_fmac_f32 v161, v23, v18 :: v_dual_add_f32 v2, v2, v4
	v_fmac_f32_e32 v155, v5, v8
	v_dual_add_f32 v5, v32, v163 :: v_dual_mul_f32 v4, v25, v21
	s_delay_alu instid0(VALU_DEP_3) | instskip(SKIP_1) | instid1(VALU_DEP_3)
	v_add_f32_e32 v2, v2, v6
	v_mul_f32_e32 v6, v29, v27
	v_add_f32_e32 v3, v5, v155
	v_mul_f32_e32 v5, v23, v19
	v_fma_f32 v4, v24, v20, -v4
	s_delay_alu instid0(VALU_DEP_2) | instskip(NEXT) | instid1(VALU_DEP_1)
	v_fma_f32 v5, v22, v18, -v5
	v_dual_add_f32 v2, v2, v5 :: v_dual_add_f32 v3, v3, v158
	v_fma_f32 v5, v28, v26, -v6
	s_delay_alu instid0(VALU_DEP_2) | instskip(NEXT) | instid1(VALU_DEP_1)
	v_add_f32_e32 v2, v2, v4
	v_dual_fmac_f32 v159, v17, v12 :: v_dual_add_f32 v2, v2, v5
	s_delay_alu instid0(VALU_DEP_1) | instskip(NEXT) | instid1(VALU_DEP_1)
	v_dual_add_f32 v3, v3, v159 :: v_dual_sub_f32 v2, v30, v2
	v_add_f32_e32 v3, v3, v161
	s_delay_alu instid0(VALU_DEP_1) | instskip(NEXT) | instid1(VALU_DEP_1)
	v_add_f32_e32 v3, v3, v162
	v_add_f32_e32 v3, v3, v160
	s_delay_alu instid0(VALU_DEP_1)
	v_sub_f32_e32 v3, v31, v3
	scratch_store_b64 off, v[2:3], off offset:264
	v_cmpx_lt_u32_e32 32, v0
	s_cbranch_execz .LBB60_315
; %bb.314:
	scratch_load_b64 v[3:4], off, off offset:256
	v_mov_b32_e32 v2, v1
	scratch_store_b64 off, v[1:2], off offset:256
	s_wait_loadcnt 0x0
	ds_store_b64 v157, v[3:4]
.LBB60_315:
	s_wait_alu 0xfffe
	s_or_b32 exec_lo, exec_lo, s0
	s_wait_storecnt_dscnt 0x0
	s_barrier_signal -1
	s_barrier_wait -1
	global_inv scope:SCOPE_SE
	s_clause 0x4
	scratch_load_b128 v[2:5], off, off offset:264
	scratch_load_b128 v[6:9], off, off offset:280
	;; [unrolled: 1-line block ×5, first 2 shown]
	ds_load_2addr_b64 v[22:25], v1 offset0:95 offset1:96
	ds_load_2addr_b64 v[26:29], v1 offset0:97 offset1:98
	;; [unrolled: 1-line block ×3, first 2 shown]
	scratch_load_b64 v[30:31], off, off offset:256
	s_mov_b32 s0, exec_lo
	s_wait_loadcnt_dscnt 0x502
	v_mul_f32_e32 v32, v23, v3
	v_dual_mul_f32 v155, v22, v3 :: v_dual_mul_f32 v156, v24, v5
	v_mul_f32_e32 v3, v25, v5
	s_wait_loadcnt_dscnt 0x300
	v_mul_f32_e32 v162, v160, v13
	v_fma_f32 v22, v22, v2, -v32
	v_dual_fmac_f32 v155, v23, v2 :: v_dual_fmac_f32 v156, v25, v4
	v_fma_f32 v23, v24, v4, -v3
	ds_load_2addr_b64 v[2:5], v1 offset0:101 offset1:102
	v_dual_mul_f32 v24, v26, v7 :: v_dual_mul_f32 v25, v28, v9
	v_mul_f32_e32 v7, v27, v7
	v_dual_mul_f32 v9, v29, v9 :: v_dual_mul_f32 v32, v158, v11
	v_dual_mul_f32 v11, v159, v11 :: v_dual_fmac_f32 v162, v161, v12
	s_delay_alu instid0(VALU_DEP_4) | instskip(SKIP_1) | instid1(VALU_DEP_4)
	v_dual_mul_f32 v13, v161, v13 :: v_dual_fmac_f32 v24, v27, v6
	v_fmac_f32_e32 v25, v29, v8
	v_fma_f32 v27, v28, v8, -v9
	v_fmac_f32_e32 v32, v159, v10
	v_fma_f32 v28, v158, v10, -v11
	v_fma_f32 v29, v160, v12, -v13
	ds_load_2addr_b64 v[10:13], v1 offset0:103 offset1:104
	v_fma_f32 v26, v26, v6, -v7
	scratch_load_b128 v[6:9], off, off offset:344
	s_wait_loadcnt_dscnt 0x301
	v_dual_mul_f32 v158, v2, v15 :: v_dual_mul_f32 v159, v4, v17
	v_mul_f32_e32 v15, v3, v15
	s_delay_alu instid0(VALU_DEP_2) | instskip(NEXT) | instid1(VALU_DEP_3)
	v_dual_mul_f32 v17, v5, v17 :: v_dual_fmac_f32 v158, v3, v14
	v_fmac_f32_e32 v159, v5, v16
	s_delay_alu instid0(VALU_DEP_3) | instskip(NEXT) | instid1(VALU_DEP_3)
	v_fma_f32 v14, v2, v14, -v15
	v_fma_f32 v15, v4, v16, -v17
	ds_load_2addr_b64 v[2:5], v1 offset0:105 offset1:106
	s_wait_loadcnt_dscnt 0x201
	v_mul_f32_e32 v16, v10, v19
	v_mul_f32_e32 v17, v11, v19
	v_mul_f32_e32 v19, v12, v21
	s_delay_alu instid0(VALU_DEP_3) | instskip(NEXT) | instid1(VALU_DEP_3)
	v_dual_mul_f32 v21, v13, v21 :: v_dual_fmac_f32 v16, v11, v18
	v_fma_f32 v17, v10, v18, -v17
	s_delay_alu instid0(VALU_DEP_3) | instskip(NEXT) | instid1(VALU_DEP_3)
	v_fmac_f32_e32 v19, v13, v20
	v_fma_f32 v18, v12, v20, -v21
	scratch_load_b128 v[10:13], off, off offset:360
	s_wait_loadcnt_dscnt 0x100
	v_mul_f32_e32 v20, v2, v7
	v_mul_f32_e32 v7, v3, v7
	;; [unrolled: 1-line block ×3, first 2 shown]
	s_delay_alu instid0(VALU_DEP_3) | instskip(NEXT) | instid1(VALU_DEP_3)
	v_dual_mul_f32 v9, v5, v9 :: v_dual_fmac_f32 v20, v3, v6
	v_fma_f32 v160, v2, v6, -v7
	s_delay_alu instid0(VALU_DEP_3) | instskip(NEXT) | instid1(VALU_DEP_3)
	v_fmac_f32_e32 v21, v5, v8
	v_fma_f32 v161, v4, v8, -v9
	ds_load_2addr_b64 v[2:5], v1 offset0:107 offset1:108
	ds_load_2addr_b64 v[6:9], v1 offset0:109 offset1:110
	s_wait_loadcnt_dscnt 0x1
	v_mul_f32_e32 v163, v2, v11
	v_dual_mul_f32 v11, v3, v11 :: v_dual_mul_f32 v164, v4, v13
	s_delay_alu instid0(VALU_DEP_2) | instskip(NEXT) | instid1(VALU_DEP_2)
	v_fmac_f32_e32 v163, v3, v10
	v_fma_f32 v165, v2, v10, -v11
	v_mul_f32_e32 v2, v5, v13
	s_delay_alu instid0(VALU_DEP_4) | instskip(NEXT) | instid1(VALU_DEP_2)
	v_fmac_f32_e32 v164, v5, v12
	v_fma_f32 v166, v4, v12, -v2
	s_clause 0x1
	scratch_load_b128 v[2:5], off, off offset:376
	scratch_load_b128 v[10:13], off, off offset:392
	s_wait_loadcnt_dscnt 0x100
	v_mul_f32_e32 v167, v6, v3
	v_mul_f32_e32 v3, v7, v3
	;; [unrolled: 1-line block ×3, first 2 shown]
	s_delay_alu instid0(VALU_DEP_3) | instskip(NEXT) | instid1(VALU_DEP_3)
	v_fmac_f32_e32 v167, v7, v2
	v_fma_f32 v168, v6, v2, -v3
	v_mul_f32_e32 v2, v9, v5
	s_delay_alu instid0(VALU_DEP_4) | instskip(NEXT) | instid1(VALU_DEP_2)
	v_fmac_f32_e32 v169, v9, v4
	v_fma_f32 v170, v8, v4, -v2
	ds_load_2addr_b64 v[2:5], v1 offset0:111 offset1:112
	ds_load_2addr_b64 v[6:9], v1 offset0:113 offset1:114
	s_wait_loadcnt_dscnt 0x1
	v_mul_f32_e32 v171, v2, v11
	v_mul_f32_e32 v173, v4, v13
	s_delay_alu instid0(VALU_DEP_2) | instskip(SKIP_1) | instid1(VALU_DEP_3)
	v_fmac_f32_e32 v171, v3, v10
	v_mul_f32_e32 v3, v3, v11
	v_fmac_f32_e32 v173, v5, v12
	s_delay_alu instid0(VALU_DEP_2) | instskip(SKIP_1) | instid1(VALU_DEP_1)
	v_fma_f32 v172, v2, v10, -v3
	v_mul_f32_e32 v2, v5, v13
	v_fma_f32 v174, v4, v12, -v2
	s_clause 0x1
	scratch_load_b128 v[2:5], off, off offset:408
	scratch_load_b128 v[10:13], off, off offset:424
	s_wait_loadcnt_dscnt 0x100
	v_mul_f32_e32 v175, v6, v3
	v_mul_f32_e32 v3, v7, v3
	s_delay_alu instid0(VALU_DEP_2) | instskip(NEXT) | instid1(VALU_DEP_2)
	v_fmac_f32_e32 v175, v7, v2
	v_fma_f32 v176, v6, v2, -v3
	v_dual_mul_f32 v2, v9, v5 :: v_dual_add_f32 v3, 0, v155
	s_delay_alu instid0(VALU_DEP_1) | instskip(NEXT) | instid1(VALU_DEP_2)
	v_fma_f32 v178, v8, v4, -v2
	v_dual_add_f32 v2, 0, v22 :: v_dual_add_f32 v3, v3, v156
	s_delay_alu instid0(VALU_DEP_1) | instskip(NEXT) | instid1(VALU_DEP_1)
	v_add_f32_e32 v2, v2, v23
	v_add_f32_e32 v2, v2, v26
	s_delay_alu instid0(VALU_DEP_1) | instskip(NEXT) | instid1(VALU_DEP_1)
	v_add_f32_e32 v2, v2, v27
	v_add_f32_e32 v2, v2, v28
	;; [unrolled: 3-line block ×5, first 2 shown]
	v_add_f32_e32 v3, v3, v24
	s_delay_alu instid0(VALU_DEP_1) | instskip(NEXT) | instid1(VALU_DEP_1)
	v_add_f32_e32 v3, v3, v25
	v_add_f32_e32 v6, v3, v32
	s_delay_alu instid0(VALU_DEP_1) | instskip(NEXT) | instid1(VALU_DEP_1)
	v_add_f32_e32 v6, v6, v162
	;; [unrolled: 3-line block ×4, first 2 shown]
	v_dual_add_f32 v19, v14, v161 :: v_dual_add_f32 v18, v15, v20
	scratch_load_b128 v[14:17], off, off offset:472
	v_add_f32_e32 v19, v19, v165
	v_add_f32_e32 v18, v18, v21
	v_mul_f32_e32 v177, v8, v5
	s_delay_alu instid0(VALU_DEP_2) | instskip(NEXT) | instid1(VALU_DEP_1)
	v_dual_add_f32 v19, v19, v166 :: v_dual_add_f32 v18, v18, v163
	v_add_f32_e32 v22, v19, v168
	s_delay_alu instid0(VALU_DEP_3) | instskip(SKIP_4) | instid1(VALU_DEP_2)
	v_fmac_f32_e32 v177, v9, v4
	ds_load_2addr_b64 v[2:5], v1 offset0:115 offset1:116
	ds_load_2addr_b64 v[6:9], v1 offset0:117 offset1:118
	v_add_f32_e32 v18, v18, v164
	v_add_f32_e32 v32, v22, v170
	;; [unrolled: 1-line block ×3, first 2 shown]
	ds_load_2addr_b64 v[18:21], v1 offset0:119 offset1:120
	v_add_f32_e32 v155, v23, v169
	ds_load_2addr_b64 v[22:25], v1 offset0:121 offset1:122
	v_dual_add_f32 v1, v32, v172 :: v_dual_add_f32 v32, v155, v171
	s_wait_loadcnt_dscnt 0x103
	v_dual_mul_f32 v27, v4, v13 :: v_dual_mul_f32 v26, v2, v11
	v_mul_f32_e32 v11, v3, v11
	v_mul_f32_e32 v13, v5, v13
	s_delay_alu instid0(VALU_DEP_3) | instskip(NEXT) | instid1(VALU_DEP_4)
	v_dual_add_f32 v32, v32, v173 :: v_dual_fmac_f32 v27, v5, v12
	v_fmac_f32_e32 v26, v3, v10
	s_delay_alu instid0(VALU_DEP_4) | instskip(NEXT) | instid1(VALU_DEP_3)
	v_fma_f32 v28, v2, v10, -v11
	v_add_f32_e32 v32, v32, v175
	s_delay_alu instid0(VALU_DEP_1) | instskip(NEXT) | instid1(VALU_DEP_1)
	v_add_f32_e32 v32, v32, v177
	v_add_f32_e32 v26, v32, v26
	s_wait_loadcnt_dscnt 0x0
	v_mul_f32_e32 v160, v22, v15
	v_fma_f32 v29, v4, v12, -v13
	s_clause 0x1
	scratch_load_b128 v[2:5], off, off offset:440
	scratch_load_b128 v[10:13], off, off offset:456
	s_wait_loadcnt 0x1
	v_dual_fmac_f32 v160, v23, v14 :: v_dual_mul_f32 v155, v6, v3
	v_dual_mul_f32 v3, v7, v3 :: v_dual_mul_f32 v156, v8, v5
	s_wait_loadcnt 0x0
	v_dual_mul_f32 v158, v18, v11 :: v_dual_mul_f32 v159, v20, v13
	s_delay_alu instid0(VALU_DEP_3) | instskip(NEXT) | instid1(VALU_DEP_3)
	v_fmac_f32_e32 v155, v7, v2
	v_fma_f32 v3, v6, v2, -v3
	v_mul_f32_e32 v6, v19, v11
	v_add_f32_e32 v2, v26, v27
	v_fmac_f32_e32 v156, v9, v4
	v_dual_fmac_f32 v158, v19, v10 :: v_dual_fmac_f32 v159, v21, v12
	s_delay_alu instid0(VALU_DEP_3) | instskip(NEXT) | instid1(VALU_DEP_1)
	v_dual_mul_f32 v5, v9, v5 :: v_dual_add_f32 v2, v2, v155
	v_fma_f32 v4, v8, v4, -v5
	s_delay_alu instid0(VALU_DEP_2) | instskip(SKIP_1) | instid1(VALU_DEP_2)
	v_add_f32_e32 v2, v2, v156
	v_fma_f32 v5, v18, v10, -v6
	v_add_f32_e32 v2, v2, v158
	s_delay_alu instid0(VALU_DEP_1) | instskip(NEXT) | instid1(VALU_DEP_1)
	v_dual_add_f32 v1, v1, v174 :: v_dual_add_f32 v2, v2, v159
	v_add_f32_e32 v1, v1, v176
	s_delay_alu instid0(VALU_DEP_1) | instskip(NEXT) | instid1(VALU_DEP_1)
	v_dual_add_f32 v2, v2, v160 :: v_dual_add_f32 v1, v1, v178
	v_dual_add_f32 v1, v1, v28 :: v_dual_mul_f32 v28, v24, v17
	s_delay_alu instid0(VALU_DEP_1) | instskip(NEXT) | instid1(VALU_DEP_2)
	v_add_f32_e32 v1, v1, v29
	v_fmac_f32_e32 v28, v25, v16
	s_delay_alu instid0(VALU_DEP_2) | instskip(NEXT) | instid1(VALU_DEP_2)
	v_add_f32_e32 v1, v1, v3
	v_dual_mul_f32 v3, v21, v13 :: v_dual_add_f32 v2, v2, v28
	s_delay_alu instid0(VALU_DEP_2) | instskip(NEXT) | instid1(VALU_DEP_2)
	v_dual_add_f32 v1, v1, v4 :: v_dual_mul_f32 v4, v23, v15
	v_fma_f32 v3, v20, v12, -v3
	s_delay_alu instid0(VALU_DEP_2) | instskip(SKIP_1) | instid1(VALU_DEP_4)
	v_dual_sub_f32 v2, v31, v2 :: v_dual_add_f32 v1, v1, v5
	v_mul_f32_e32 v5, v25, v17
	v_fma_f32 v4, v22, v14, -v4
	s_delay_alu instid0(VALU_DEP_3) | instskip(NEXT) | instid1(VALU_DEP_3)
	v_add_f32_e32 v1, v1, v3
	v_fma_f32 v3, v24, v16, -v5
	s_delay_alu instid0(VALU_DEP_2) | instskip(NEXT) | instid1(VALU_DEP_1)
	v_add_f32_e32 v1, v1, v4
	v_add_f32_e32 v1, v1, v3
	s_delay_alu instid0(VALU_DEP_1)
	v_sub_f32_e32 v1, v30, v1
	scratch_store_b64 off, v[1:2], off offset:256
	v_cmpx_lt_u32_e32 31, v0
	s_cbranch_execz .LBB60_317
; %bb.316:
	scratch_load_b64 v[1:2], off, off offset:248
	v_mov_b32_e32 v3, 0
	s_delay_alu instid0(VALU_DEP_1)
	v_mov_b32_e32 v4, v3
	scratch_store_b64 off, v[3:4], off offset:248
	s_wait_loadcnt 0x0
	ds_store_b64 v157, v[1:2]
.LBB60_317:
	s_wait_alu 0xfffe
	s_or_b32 exec_lo, exec_lo, s0
	s_wait_storecnt_dscnt 0x0
	s_barrier_signal -1
	s_barrier_wait -1
	global_inv scope:SCOPE_SE
	s_clause 0x4
	scratch_load_b128 v[2:5], off, off offset:256
	scratch_load_b128 v[6:9], off, off offset:272
	;; [unrolled: 1-line block ×5, first 2 shown]
	v_mov_b32_e32 v1, 0
	ds_load_b128 v[22:25], v1 offset:752
	ds_load_b128 v[26:29], v1 offset:768
	;; [unrolled: 1-line block ×3, first 2 shown]
	scratch_load_b64 v[30:31], off, off offset:248
	s_mov_b32 s0, exec_lo
	s_wait_loadcnt_dscnt 0x502
	v_mul_f32_e32 v32, v23, v3
	v_dual_mul_f32 v155, v22, v3 :: v_dual_mul_f32 v156, v24, v5
	v_mul_f32_e32 v3, v25, v5
	s_wait_loadcnt_dscnt 0x300
	v_mul_f32_e32 v162, v160, v13
	v_fma_f32 v22, v22, v2, -v32
	v_dual_fmac_f32 v155, v23, v2 :: v_dual_fmac_f32 v156, v25, v4
	v_fma_f32 v23, v24, v4, -v3
	ds_load_b128 v[2:5], v1 offset:800
	v_mul_f32_e32 v24, v26, v7
	v_mul_f32_e32 v7, v27, v7
	v_dual_mul_f32 v25, v28, v9 :: v_dual_mul_f32 v32, v158, v11
	s_delay_alu instid0(VALU_DEP_3) | instskip(SKIP_2) | instid1(VALU_DEP_4)
	v_dual_mul_f32 v9, v29, v9 :: v_dual_fmac_f32 v24, v27, v6
	v_dual_mul_f32 v11, v159, v11 :: v_dual_fmac_f32 v162, v161, v12
	v_mul_f32_e32 v13, v161, v13
	v_dual_fmac_f32 v25, v29, v8 :: v_dual_fmac_f32 v32, v159, v10
	s_delay_alu instid0(VALU_DEP_4) | instskip(NEXT) | instid1(VALU_DEP_4)
	v_fma_f32 v27, v28, v8, -v9
	v_fma_f32 v28, v158, v10, -v11
	s_delay_alu instid0(VALU_DEP_4)
	v_fma_f32 v29, v160, v12, -v13
	ds_load_b128 v[10:13], v1 offset:816
	v_fma_f32 v26, v26, v6, -v7
	scratch_load_b128 v[6:9], off, off offset:336
	s_wait_loadcnt_dscnt 0x301
	v_mul_f32_e32 v158, v2, v15
	v_mul_f32_e32 v15, v3, v15
	;; [unrolled: 1-line block ×3, first 2 shown]
	s_delay_alu instid0(VALU_DEP_3) | instskip(NEXT) | instid1(VALU_DEP_3)
	v_dual_mul_f32 v17, v5, v17 :: v_dual_fmac_f32 v158, v3, v14
	v_fma_f32 v14, v2, v14, -v15
	s_delay_alu instid0(VALU_DEP_3) | instskip(NEXT) | instid1(VALU_DEP_3)
	v_fmac_f32_e32 v159, v5, v16
	v_fma_f32 v15, v4, v16, -v17
	ds_load_b128 v[2:5], v1 offset:832
	s_wait_loadcnt_dscnt 0x201
	v_mul_f32_e32 v16, v10, v19
	v_mul_f32_e32 v17, v11, v19
	;; [unrolled: 1-line block ×3, first 2 shown]
	s_delay_alu instid0(VALU_DEP_3) | instskip(NEXT) | instid1(VALU_DEP_3)
	v_dual_mul_f32 v21, v13, v21 :: v_dual_fmac_f32 v16, v11, v18
	v_fma_f32 v17, v10, v18, -v17
	s_delay_alu instid0(VALU_DEP_3) | instskip(NEXT) | instid1(VALU_DEP_3)
	v_fmac_f32_e32 v19, v13, v20
	v_fma_f32 v18, v12, v20, -v21
	scratch_load_b128 v[10:13], off, off offset:352
	s_wait_loadcnt_dscnt 0x100
	v_mul_f32_e32 v20, v2, v7
	v_mul_f32_e32 v7, v3, v7
	;; [unrolled: 1-line block ×3, first 2 shown]
	s_delay_alu instid0(VALU_DEP_3) | instskip(NEXT) | instid1(VALU_DEP_3)
	v_dual_mul_f32 v9, v5, v9 :: v_dual_fmac_f32 v20, v3, v6
	v_fma_f32 v160, v2, v6, -v7
	s_delay_alu instid0(VALU_DEP_3) | instskip(NEXT) | instid1(VALU_DEP_3)
	v_fmac_f32_e32 v21, v5, v8
	v_fma_f32 v161, v4, v8, -v9
	ds_load_b128 v[2:5], v1 offset:848
	ds_load_b128 v[6:9], v1 offset:864
	s_wait_loadcnt_dscnt 0x1
	v_mul_f32_e32 v163, v2, v11
	v_dual_mul_f32 v11, v3, v11 :: v_dual_mul_f32 v164, v4, v13
	s_delay_alu instid0(VALU_DEP_2) | instskip(NEXT) | instid1(VALU_DEP_2)
	v_fmac_f32_e32 v163, v3, v10
	v_fma_f32 v165, v2, v10, -v11
	v_mul_f32_e32 v2, v5, v13
	s_delay_alu instid0(VALU_DEP_4) | instskip(NEXT) | instid1(VALU_DEP_2)
	v_fmac_f32_e32 v164, v5, v12
	v_fma_f32 v166, v4, v12, -v2
	s_clause 0x1
	scratch_load_b128 v[2:5], off, off offset:368
	scratch_load_b128 v[10:13], off, off offset:384
	s_wait_loadcnt_dscnt 0x100
	v_mul_f32_e32 v167, v6, v3
	v_mul_f32_e32 v3, v7, v3
	v_mul_f32_e32 v169, v8, v5
	s_delay_alu instid0(VALU_DEP_3) | instskip(NEXT) | instid1(VALU_DEP_3)
	v_fmac_f32_e32 v167, v7, v2
	v_fma_f32 v168, v6, v2, -v3
	v_mul_f32_e32 v2, v9, v5
	s_delay_alu instid0(VALU_DEP_4) | instskip(NEXT) | instid1(VALU_DEP_2)
	v_fmac_f32_e32 v169, v9, v4
	v_fma_f32 v170, v8, v4, -v2
	ds_load_b128 v[2:5], v1 offset:880
	ds_load_b128 v[6:9], v1 offset:896
	s_wait_loadcnt_dscnt 0x1
	v_mul_f32_e32 v171, v2, v11
	v_mul_f32_e32 v173, v4, v13
	s_delay_alu instid0(VALU_DEP_2) | instskip(SKIP_1) | instid1(VALU_DEP_3)
	v_fmac_f32_e32 v171, v3, v10
	v_mul_f32_e32 v3, v3, v11
	v_fmac_f32_e32 v173, v5, v12
	s_delay_alu instid0(VALU_DEP_2) | instskip(SKIP_1) | instid1(VALU_DEP_1)
	v_fma_f32 v172, v2, v10, -v3
	v_mul_f32_e32 v2, v5, v13
	v_fma_f32 v174, v4, v12, -v2
	s_clause 0x1
	scratch_load_b128 v[2:5], off, off offset:400
	scratch_load_b128 v[10:13], off, off offset:416
	s_wait_loadcnt_dscnt 0x100
	v_mul_f32_e32 v175, v6, v3
	v_mul_f32_e32 v3, v7, v3
	s_delay_alu instid0(VALU_DEP_2) | instskip(NEXT) | instid1(VALU_DEP_2)
	v_fmac_f32_e32 v175, v7, v2
	v_fma_f32 v176, v6, v2, -v3
	v_mul_f32_e32 v2, v9, v5
	s_delay_alu instid0(VALU_DEP_1) | instskip(SKIP_1) | instid1(VALU_DEP_1)
	v_fma_f32 v178, v8, v4, -v2
	v_add_f32_e32 v2, 0, v22
	v_add_f32_e32 v2, v2, v23
	s_delay_alu instid0(VALU_DEP_1) | instskip(NEXT) | instid1(VALU_DEP_1)
	v_add_f32_e32 v2, v2, v26
	v_add_f32_e32 v2, v2, v27
	scratch_load_b64 v[26:27], off, off offset:480
	v_add_f32_e32 v2, v2, v28
	s_delay_alu instid0(VALU_DEP_1) | instskip(NEXT) | instid1(VALU_DEP_1)
	v_add_f32_e32 v7, v2, v29
	v_add_f32_e32 v7, v7, v14
	s_delay_alu instid0(VALU_DEP_1) | instskip(NEXT) | instid1(VALU_DEP_1)
	v_add_f32_e32 v14, v7, v15
	v_dual_add_f32 v3, 0, v155 :: v_dual_add_f32 v14, v14, v17
	s_delay_alu instid0(VALU_DEP_1) | instskip(NEXT) | instid1(VALU_DEP_1)
	v_dual_add_f32 v3, v3, v156 :: v_dual_add_f32 v14, v14, v18
	v_add_f32_e32 v14, v14, v160
	s_delay_alu instid0(VALU_DEP_2) | instskip(NEXT) | instid1(VALU_DEP_1)
	v_add_f32_e32 v3, v3, v24
	v_add_f32_e32 v3, v3, v25
	s_delay_alu instid0(VALU_DEP_1) | instskip(NEXT) | instid1(VALU_DEP_1)
	v_add_f32_e32 v6, v3, v32
	v_add_f32_e32 v6, v6, v162
	s_delay_alu instid0(VALU_DEP_1) | instskip(NEXT) | instid1(VALU_DEP_1)
	;; [unrolled: 3-line block ×4, first 2 shown]
	v_dual_add_f32 v19, v14, v161 :: v_dual_add_f32 v18, v15, v20
	v_add_f32_e32 v19, v19, v165
	scratch_load_b128 v[14:17], off, off offset:464
	v_add_f32_e32 v18, v18, v21
	v_mul_f32_e32 v177, v8, v5
	s_delay_alu instid0(VALU_DEP_2) | instskip(NEXT) | instid1(VALU_DEP_1)
	v_dual_add_f32 v19, v19, v166 :: v_dual_add_f32 v18, v18, v163
	v_add_f32_e32 v19, v19, v168
	s_delay_alu instid0(VALU_DEP_2) | instskip(NEXT) | instid1(VALU_DEP_4)
	v_add_f32_e32 v18, v18, v164
	v_fmac_f32_e32 v177, v9, v4
	ds_load_b128 v[2:5], v1 offset:912
	ds_load_b128 v[6:9], v1 offset:928
	v_dual_add_f32 v19, v19, v170 :: v_dual_add_f32 v18, v18, v167
	s_delay_alu instid0(VALU_DEP_1) | instskip(NEXT) | instid1(VALU_DEP_2)
	v_add_f32_e32 v28, v19, v172
	v_add_f32_e32 v22, v18, v169
	ds_load_b128 v[18:21], v1 offset:944
	v_add_f32_e32 v29, v22, v171
	ds_load_b128 v[22:25], v1 offset:960
	v_dual_add_f32 v159, v28, v174 :: v_dual_add_f32 v160, v29, v173
	ds_load_b64 v[28:29], v1 offset:976
	s_wait_loadcnt_dscnt 0x204
	v_mul_f32_e32 v32, v2, v11
	v_mul_f32_e32 v11, v3, v11
	v_dual_add_f32 v159, v159, v176 :: v_dual_add_f32 v160, v160, v175
	s_delay_alu instid0(VALU_DEP_3) | instskip(NEXT) | instid1(VALU_DEP_3)
	v_fmac_f32_e32 v32, v3, v10
	v_fma_f32 v156, v2, v10, -v11
	s_delay_alu instid0(VALU_DEP_3) | instskip(SKIP_2) | instid1(VALU_DEP_3)
	v_add_f32_e32 v159, v159, v178
	v_mul_f32_e32 v155, v4, v13
	v_add_f32_e32 v160, v160, v177
	v_add_f32_e32 v156, v159, v156
	s_delay_alu instid0(VALU_DEP_3) | instskip(NEXT) | instid1(VALU_DEP_3)
	v_fmac_f32_e32 v155, v5, v12
	v_dual_add_f32 v32, v160, v32 :: v_dual_mul_f32 v13, v5, v13
	s_delay_alu instid0(VALU_DEP_1) | instskip(NEXT) | instid1(VALU_DEP_2)
	v_add_f32_e32 v32, v32, v155
	v_fma_f32 v158, v4, v12, -v13
	s_clause 0x1
	scratch_load_b128 v[2:5], off, off offset:432
	scratch_load_b128 v[10:13], off, off offset:448
	s_wait_loadcnt_dscnt 0x201
	v_dual_add_f32 v156, v156, v158 :: v_dual_mul_f32 v163, v22, v15
	s_delay_alu instid0(VALU_DEP_1) | instskip(SKIP_1) | instid1(VALU_DEP_1)
	v_dual_mul_f32 v158, v24, v17 :: v_dual_fmac_f32 v163, v23, v14
	s_wait_loadcnt 0x1
	v_dual_fmac_f32 v158, v25, v16 :: v_dual_mul_f32 v161, v6, v3
	v_dual_mul_f32 v3, v7, v3 :: v_dual_mul_f32 v162, v8, v5
	v_mul_f32_e32 v5, v9, v5
	s_wait_loadcnt 0x0
	v_mul_f32_e32 v159, v18, v11
	v_fmac_f32_e32 v161, v7, v2
	v_fma_f32 v3, v6, v2, -v3
	v_fmac_f32_e32 v162, v9, v4
	v_fma_f32 v2, v8, v4, -v5
	s_delay_alu instid0(VALU_DEP_4) | instskip(NEXT) | instid1(VALU_DEP_4)
	v_dual_mul_f32 v4, v19, v11 :: v_dual_add_f32 v5, v32, v161
	v_dual_add_f32 v3, v156, v3 :: v_dual_mul_f32 v6, v21, v13
	v_mul_f32_e32 v160, v20, v13
	s_delay_alu instid0(VALU_DEP_3) | instskip(SKIP_1) | instid1(VALU_DEP_4)
	v_fma_f32 v4, v18, v10, -v4
	v_fmac_f32_e32 v159, v19, v10
	v_add_f32_e32 v2, v3, v2
	v_add_f32_e32 v3, v5, v162
	v_mul_f32_e32 v5, v23, v15
	v_fma_f32 v6, v20, v12, -v6
	v_fmac_f32_e32 v160, v21, v12
	s_delay_alu instid0(VALU_DEP_4) | instskip(SKIP_2) | instid1(VALU_DEP_3)
	v_dual_add_f32 v2, v2, v4 :: v_dual_add_f32 v3, v3, v159
	v_mul_f32_e32 v4, v25, v17
	v_fma_f32 v5, v22, v14, -v5
	v_dual_add_f32 v2, v2, v6 :: v_dual_add_f32 v3, v3, v160
	s_wait_dscnt 0x0
	v_mul_f32_e32 v6, v29, v27
	v_fma_f32 v4, v24, v16, -v4
	s_delay_alu instid0(VALU_DEP_3) | instskip(NEXT) | instid1(VALU_DEP_3)
	v_dual_add_f32 v2, v2, v5 :: v_dual_add_f32 v3, v3, v163
	v_fma_f32 v5, v28, v26, -v6
	s_delay_alu instid0(VALU_DEP_2) | instskip(NEXT) | instid1(VALU_DEP_1)
	v_dual_add_f32 v2, v2, v4 :: v_dual_mul_f32 v155, v28, v27
	v_dual_add_f32 v3, v3, v158 :: v_dual_add_f32 v2, v2, v5
	s_delay_alu instid0(VALU_DEP_2) | instskip(NEXT) | instid1(VALU_DEP_1)
	v_fmac_f32_e32 v155, v29, v26
	v_dual_sub_f32 v2, v30, v2 :: v_dual_add_f32 v3, v3, v155
	s_delay_alu instid0(VALU_DEP_1)
	v_sub_f32_e32 v3, v31, v3
	scratch_store_b64 off, v[2:3], off offset:248
	v_cmpx_lt_u32_e32 30, v0
	s_cbranch_execz .LBB60_319
; %bb.318:
	scratch_load_b64 v[3:4], off, off offset:240
	v_mov_b32_e32 v2, v1
	scratch_store_b64 off, v[1:2], off offset:240
	s_wait_loadcnt 0x0
	ds_store_b64 v157, v[3:4]
.LBB60_319:
	s_wait_alu 0xfffe
	s_or_b32 exec_lo, exec_lo, s0
	s_wait_storecnt_dscnt 0x0
	s_barrier_signal -1
	s_barrier_wait -1
	global_inv scope:SCOPE_SE
	s_clause 0x4
	scratch_load_b128 v[2:5], off, off offset:248
	scratch_load_b128 v[6:9], off, off offset:264
	scratch_load_b128 v[10:13], off, off offset:280
	scratch_load_b128 v[14:17], off, off offset:296
	scratch_load_b128 v[18:21], off, off offset:312
	ds_load_2addr_b64 v[22:25], v1 offset0:93 offset1:94
	ds_load_2addr_b64 v[26:29], v1 offset0:95 offset1:96
	ds_load_2addr_b64 v[158:161], v1 offset0:97 offset1:98
	scratch_load_b64 v[30:31], off, off offset:240
	s_mov_b32 s0, exec_lo
	s_wait_loadcnt_dscnt 0x502
	v_mul_f32_e32 v32, v23, v3
	v_dual_mul_f32 v155, v22, v3 :: v_dual_mul_f32 v156, v24, v5
	v_mul_f32_e32 v3, v25, v5
	s_wait_loadcnt_dscnt 0x300
	v_mul_f32_e32 v162, v160, v13
	v_fma_f32 v22, v22, v2, -v32
	v_dual_fmac_f32 v155, v23, v2 :: v_dual_fmac_f32 v156, v25, v4
	v_fma_f32 v23, v24, v4, -v3
	ds_load_2addr_b64 v[2:5], v1 offset0:99 offset1:100
	v_dual_mul_f32 v24, v26, v7 :: v_dual_mul_f32 v25, v28, v9
	v_mul_f32_e32 v7, v27, v7
	v_dual_mul_f32 v9, v29, v9 :: v_dual_mul_f32 v32, v158, v11
	v_dual_mul_f32 v11, v159, v11 :: v_dual_fmac_f32 v162, v161, v12
	s_delay_alu instid0(VALU_DEP_4) | instskip(SKIP_1) | instid1(VALU_DEP_4)
	v_dual_mul_f32 v13, v161, v13 :: v_dual_fmac_f32 v24, v27, v6
	v_fmac_f32_e32 v25, v29, v8
	v_fma_f32 v27, v28, v8, -v9
	v_fmac_f32_e32 v32, v159, v10
	v_fma_f32 v28, v158, v10, -v11
	v_fma_f32 v29, v160, v12, -v13
	ds_load_2addr_b64 v[10:13], v1 offset0:101 offset1:102
	v_fma_f32 v26, v26, v6, -v7
	scratch_load_b128 v[6:9], off, off offset:328
	s_wait_loadcnt_dscnt 0x301
	v_dual_mul_f32 v158, v2, v15 :: v_dual_mul_f32 v159, v4, v17
	v_mul_f32_e32 v15, v3, v15
	s_delay_alu instid0(VALU_DEP_2) | instskip(NEXT) | instid1(VALU_DEP_3)
	v_dual_mul_f32 v17, v5, v17 :: v_dual_fmac_f32 v158, v3, v14
	v_fmac_f32_e32 v159, v5, v16
	s_delay_alu instid0(VALU_DEP_3) | instskip(NEXT) | instid1(VALU_DEP_3)
	v_fma_f32 v14, v2, v14, -v15
	v_fma_f32 v15, v4, v16, -v17
	ds_load_2addr_b64 v[2:5], v1 offset0:103 offset1:104
	s_wait_loadcnt_dscnt 0x201
	v_mul_f32_e32 v16, v10, v19
	v_mul_f32_e32 v17, v11, v19
	;; [unrolled: 1-line block ×3, first 2 shown]
	s_delay_alu instid0(VALU_DEP_3) | instskip(NEXT) | instid1(VALU_DEP_3)
	v_dual_mul_f32 v21, v13, v21 :: v_dual_fmac_f32 v16, v11, v18
	v_fma_f32 v17, v10, v18, -v17
	s_delay_alu instid0(VALU_DEP_3) | instskip(NEXT) | instid1(VALU_DEP_3)
	v_fmac_f32_e32 v19, v13, v20
	v_fma_f32 v18, v12, v20, -v21
	scratch_load_b128 v[10:13], off, off offset:344
	s_wait_loadcnt_dscnt 0x100
	v_mul_f32_e32 v20, v2, v7
	v_mul_f32_e32 v7, v3, v7
	;; [unrolled: 1-line block ×3, first 2 shown]
	s_delay_alu instid0(VALU_DEP_3) | instskip(NEXT) | instid1(VALU_DEP_3)
	v_dual_mul_f32 v9, v5, v9 :: v_dual_fmac_f32 v20, v3, v6
	v_fma_f32 v160, v2, v6, -v7
	s_delay_alu instid0(VALU_DEP_3) | instskip(NEXT) | instid1(VALU_DEP_3)
	v_fmac_f32_e32 v21, v5, v8
	v_fma_f32 v161, v4, v8, -v9
	ds_load_2addr_b64 v[2:5], v1 offset0:105 offset1:106
	ds_load_2addr_b64 v[6:9], v1 offset0:107 offset1:108
	s_wait_loadcnt_dscnt 0x1
	v_mul_f32_e32 v163, v2, v11
	v_dual_mul_f32 v11, v3, v11 :: v_dual_mul_f32 v164, v4, v13
	s_delay_alu instid0(VALU_DEP_2) | instskip(NEXT) | instid1(VALU_DEP_2)
	v_fmac_f32_e32 v163, v3, v10
	v_fma_f32 v165, v2, v10, -v11
	v_mul_f32_e32 v2, v5, v13
	s_delay_alu instid0(VALU_DEP_4) | instskip(NEXT) | instid1(VALU_DEP_2)
	v_fmac_f32_e32 v164, v5, v12
	v_fma_f32 v166, v4, v12, -v2
	s_clause 0x1
	scratch_load_b128 v[2:5], off, off offset:360
	scratch_load_b128 v[10:13], off, off offset:376
	s_wait_loadcnt_dscnt 0x100
	v_mul_f32_e32 v167, v6, v3
	v_mul_f32_e32 v3, v7, v3
	;; [unrolled: 1-line block ×3, first 2 shown]
	s_delay_alu instid0(VALU_DEP_3) | instskip(NEXT) | instid1(VALU_DEP_3)
	v_fmac_f32_e32 v167, v7, v2
	v_fma_f32 v168, v6, v2, -v3
	v_mul_f32_e32 v2, v9, v5
	s_delay_alu instid0(VALU_DEP_4) | instskip(NEXT) | instid1(VALU_DEP_2)
	v_fmac_f32_e32 v169, v9, v4
	v_fma_f32 v170, v8, v4, -v2
	ds_load_2addr_b64 v[2:5], v1 offset0:109 offset1:110
	ds_load_2addr_b64 v[6:9], v1 offset0:111 offset1:112
	s_wait_loadcnt_dscnt 0x1
	v_mul_f32_e32 v171, v2, v11
	v_mul_f32_e32 v173, v4, v13
	s_delay_alu instid0(VALU_DEP_2) | instskip(SKIP_1) | instid1(VALU_DEP_3)
	v_fmac_f32_e32 v171, v3, v10
	v_mul_f32_e32 v3, v3, v11
	v_fmac_f32_e32 v173, v5, v12
	s_delay_alu instid0(VALU_DEP_2) | instskip(SKIP_1) | instid1(VALU_DEP_1)
	v_fma_f32 v172, v2, v10, -v3
	v_mul_f32_e32 v2, v5, v13
	v_fma_f32 v174, v4, v12, -v2
	s_clause 0x1
	scratch_load_b128 v[2:5], off, off offset:392
	scratch_load_b128 v[10:13], off, off offset:408
	s_wait_loadcnt_dscnt 0x100
	v_mul_f32_e32 v175, v6, v3
	v_mul_f32_e32 v3, v7, v3
	s_delay_alu instid0(VALU_DEP_2) | instskip(NEXT) | instid1(VALU_DEP_2)
	v_fmac_f32_e32 v175, v7, v2
	v_fma_f32 v176, v6, v2, -v3
	v_dual_mul_f32 v2, v9, v5 :: v_dual_add_f32 v3, 0, v155
	s_delay_alu instid0(VALU_DEP_1) | instskip(SKIP_1) | instid1(VALU_DEP_1)
	v_fma_f32 v178, v8, v4, -v2
	v_add_f32_e32 v2, 0, v22
	v_add_f32_e32 v2, v2, v23
	s_delay_alu instid0(VALU_DEP_1) | instskip(NEXT) | instid1(VALU_DEP_1)
	v_add_f32_e32 v2, v2, v26
	v_dual_add_f32 v2, v2, v27 :: v_dual_add_f32 v3, v3, v156
	s_delay_alu instid0(VALU_DEP_1) | instskip(NEXT) | instid1(VALU_DEP_1)
	v_add_f32_e32 v2, v2, v28
	v_dual_add_f32 v2, v2, v29 :: v_dual_add_f32 v3, v3, v24
	s_delay_alu instid0(VALU_DEP_1) | instskip(NEXT) | instid1(VALU_DEP_2)
	v_add_f32_e32 v7, v2, v14
	v_add_f32_e32 v3, v3, v25
	s_delay_alu instid0(VALU_DEP_2) | instskip(NEXT) | instid1(VALU_DEP_2)
	v_add_f32_e32 v15, v7, v15
	v_add_f32_e32 v3, v3, v32
	s_delay_alu instid0(VALU_DEP_2) | instskip(NEXT) | instid1(VALU_DEP_2)
	;; [unrolled: 3-line block ×6, first 2 shown]
	v_add_f32_e32 v18, v18, v165
	v_add_f32_e32 v19, v14, v19
	ds_load_2addr_b64 v[14:17], v1 offset0:115 offset1:116
	v_add_f32_e32 v19, v19, v20
	s_delay_alu instid0(VALU_DEP_1) | instskip(NEXT) | instid1(VALU_DEP_1)
	v_add_f32_e32 v19, v19, v21
	v_dual_mul_f32 v177, v8, v5 :: v_dual_add_f32 v22, v19, v163
	s_delay_alu instid0(VALU_DEP_1) | instskip(SKIP_3) | instid1(VALU_DEP_1)
	v_fmac_f32_e32 v177, v9, v4
	scratch_load_b128 v[6:9], off, off offset:424
	ds_load_2addr_b64 v[2:5], v1 offset0:113 offset1:114
	v_add_f32_e32 v22, v22, v164
	v_add_f32_e32 v22, v22, v167
	s_wait_loadcnt_dscnt 0x100
	v_mul_f32_e32 v26, v2, v11
	v_mul_f32_e32 v11, v3, v11
	s_delay_alu instid0(VALU_DEP_2) | instskip(SKIP_1) | instid1(VALU_DEP_3)
	v_dual_fmac_f32 v26, v3, v10 :: v_dual_mul_f32 v27, v4, v13
	v_mul_f32_e32 v13, v5, v13
	v_fma_f32 v28, v2, v10, -v11
	s_delay_alu instid0(VALU_DEP_3) | instskip(NEXT) | instid1(VALU_DEP_3)
	v_fmac_f32_e32 v27, v5, v12
	v_fma_f32 v29, v4, v12, -v13
	s_clause 0x1
	scratch_load_b128 v[2:5], off, off offset:440
	scratch_load_b128 v[10:13], off, off offset:456
	v_add_f32_e32 v23, v18, v166
	scratch_load_b128 v[18:21], off, off offset:472
	v_add_f32_e32 v23, v23, v168
	s_wait_loadcnt 0x3
	s_delay_alu instid0(VALU_DEP_1) | instskip(SKIP_1) | instid1(VALU_DEP_2)
	v_dual_add_f32 v23, v23, v170 :: v_dual_mul_f32 v32, v14, v7
	v_mul_f32_e32 v7, v15, v7
	v_fmac_f32_e32 v32, v15, v6
	s_delay_alu instid0(VALU_DEP_2) | instskip(SKIP_1) | instid1(VALU_DEP_1)
	v_fma_f32 v156, v14, v6, -v7
	v_add_f32_e32 v14, v22, v169
	v_dual_add_f32 v22, v23, v172 :: v_dual_add_f32 v23, v14, v171
	s_delay_alu instid0(VALU_DEP_1) | instskip(SKIP_3) | instid1(VALU_DEP_2)
	v_dual_add_f32 v159, v22, v174 :: v_dual_add_f32 v160, v23, v173
	ds_load_2addr_b64 v[22:25], v1 offset0:121 offset1:122
	v_mul_f32_e32 v155, v16, v9
	v_mul_f32_e32 v9, v17, v9
	v_fmac_f32_e32 v155, v17, v8
	s_delay_alu instid0(VALU_DEP_2) | instskip(SKIP_4) | instid1(VALU_DEP_2)
	v_fma_f32 v158, v16, v8, -v9
	ds_load_2addr_b64 v[6:9], v1 offset0:117 offset1:118
	ds_load_2addr_b64 v[14:17], v1 offset0:119 offset1:120
	v_add_f32_e32 v1, v159, v176
	v_add_f32_e32 v159, v160, v175
	;; [unrolled: 1-line block ×3, first 2 shown]
	s_delay_alu instid0(VALU_DEP_2) | instskip(NEXT) | instid1(VALU_DEP_1)
	v_add_f32_e32 v159, v159, v177
	v_dual_add_f32 v1, v1, v28 :: v_dual_add_f32 v26, v159, v26
	s_delay_alu instid0(VALU_DEP_1)
	v_dual_add_f32 v1, v1, v29 :: v_dual_add_f32 v26, v26, v27
	s_wait_loadcnt_dscnt 0x2
	v_mul_f32_e32 v27, v22, v19
	s_wait_dscnt 0x1
	v_mul_f32_e32 v160, v6, v3
	v_mul_f32_e32 v3, v7, v3
	v_add_f32_e32 v1, v1, v156
	v_add_f32_e32 v26, v26, v32
	v_mul_f32_e32 v28, v8, v5
	v_mul_f32_e32 v5, v9, v5
	v_fma_f32 v3, v6, v2, -v3
	v_fmac_f32_e32 v160, v7, v2
	v_dual_add_f32 v1, v1, v158 :: v_dual_add_f32 v2, v26, v155
	s_wait_dscnt 0x0
	v_mul_f32_e32 v159, v14, v11
	v_mul_f32_e32 v6, v15, v11
	v_fmac_f32_e32 v28, v9, v4
	v_fma_f32 v4, v8, v4, -v5
	v_dual_add_f32 v1, v1, v3 :: v_dual_add_f32 v2, v2, v160
	v_mul_f32_e32 v161, v16, v13
	v_mul_f32_e32 v3, v17, v13
	v_fmac_f32_e32 v159, v15, v10
	v_fma_f32 v5, v14, v10, -v6
	v_add_f32_e32 v1, v1, v4
	v_add_f32_e32 v2, v2, v28
	v_dual_mul_f32 v4, v23, v19 :: v_dual_fmac_f32 v161, v17, v12
	v_fma_f32 v3, v16, v12, -v3
	s_delay_alu instid0(VALU_DEP_3)
	v_dual_add_f32 v1, v1, v5 :: v_dual_add_f32 v2, v2, v159
	v_mul_f32_e32 v29, v24, v21
	v_mul_f32_e32 v5, v25, v21
	v_fmac_f32_e32 v27, v23, v18
	v_fma_f32 v4, v22, v18, -v4
	v_dual_add_f32 v1, v1, v3 :: v_dual_add_f32 v2, v2, v161
	v_fmac_f32_e32 v29, v25, v20
	v_fma_f32 v3, v24, v20, -v5
	s_delay_alu instid0(VALU_DEP_3) | instskip(NEXT) | instid1(VALU_DEP_1)
	v_dual_add_f32 v1, v1, v4 :: v_dual_add_f32 v2, v2, v27
	v_dual_add_f32 v1, v1, v3 :: v_dual_add_f32 v2, v2, v29
	s_delay_alu instid0(VALU_DEP_1)
	v_dual_sub_f32 v1, v30, v1 :: v_dual_sub_f32 v2, v31, v2
	scratch_store_b64 off, v[1:2], off offset:240
	v_cmpx_lt_u32_e32 29, v0
	s_cbranch_execz .LBB60_321
; %bb.320:
	scratch_load_b64 v[1:2], off, off offset:232
	v_mov_b32_e32 v3, 0
	s_delay_alu instid0(VALU_DEP_1)
	v_mov_b32_e32 v4, v3
	scratch_store_b64 off, v[3:4], off offset:232
	s_wait_loadcnt 0x0
	ds_store_b64 v157, v[1:2]
.LBB60_321:
	s_wait_alu 0xfffe
	s_or_b32 exec_lo, exec_lo, s0
	s_wait_storecnt_dscnt 0x0
	s_barrier_signal -1
	s_barrier_wait -1
	global_inv scope:SCOPE_SE
	s_clause 0x4
	scratch_load_b128 v[5:8], off, off offset:240
	scratch_load_b128 v[1:4], off, off offset:256
	;; [unrolled: 1-line block ×5, first 2 shown]
	v_mov_b32_e32 v21, 0
	ds_load_b128 v[22:25], v21 offset:736
	ds_load_b128 v[26:29], v21 offset:752
	;; [unrolled: 1-line block ×3, first 2 shown]
	scratch_load_b64 v[30:31], off, off offset:232
	s_mov_b32 s0, exec_lo
	s_wait_loadcnt_dscnt 0x502
	v_mul_f32_e32 v32, v23, v6
	v_dual_mul_f32 v155, v22, v6 :: v_dual_mul_f32 v156, v24, v8
	v_mul_f32_e32 v6, v25, v8
	s_wait_loadcnt_dscnt 0x300
	v_mul_f32_e32 v162, v160, v12
	v_fma_f32 v22, v22, v5, -v32
	v_dual_fmac_f32 v155, v23, v5 :: v_dual_fmac_f32 v156, v25, v7
	v_mul_f32_e32 v25, v28, v4
	v_fma_f32 v23, v24, v7, -v6
	ds_load_b128 v[5:8], v21 offset:784
	v_mul_f32_e32 v24, v26, v2
	v_mul_f32_e32 v4, v29, v4
	;; [unrolled: 1-line block ×5, first 2 shown]
	v_dual_mul_f32 v2, v27, v2 :: v_dual_fmac_f32 v25, v29, v3
	v_fmac_f32_e32 v24, v27, v1
	v_fma_f32 v27, v28, v3, -v4
	v_fmac_f32_e32 v32, v159, v9
	v_fma_f32 v28, v158, v9, -v10
	;; [unrolled: 2-line block ×3, first 2 shown]
	ds_load_b128 v[9:12], v21 offset:800
	s_wait_loadcnt_dscnt 0x201
	v_dual_mul_f32 v159, v7, v16 :: v_dual_mul_f32 v158, v5, v14
	v_mul_f32_e32 v14, v6, v14
	v_mul_f32_e32 v16, v8, v16
	s_delay_alu instid0(VALU_DEP_3)
	v_fmac_f32_e32 v159, v8, v15
	v_fma_f32 v26, v26, v1, -v2
	scratch_load_b128 v[1:4], off, off offset:320
	v_fmac_f32_e32 v158, v6, v13
	v_fma_f32 v13, v5, v13, -v14
	v_fma_f32 v14, v7, v15, -v16
	ds_load_b128 v[5:8], v21 offset:816
	s_wait_loadcnt_dscnt 0x201
	v_mul_f32_e32 v15, v9, v18
	v_mul_f32_e32 v16, v10, v18
	;; [unrolled: 1-line block ×3, first 2 shown]
	s_delay_alu instid0(VALU_DEP_3) | instskip(NEXT) | instid1(VALU_DEP_3)
	v_dual_mul_f32 v20, v12, v20 :: v_dual_fmac_f32 v15, v10, v17
	v_fma_f32 v16, v9, v17, -v16
	s_delay_alu instid0(VALU_DEP_3) | instskip(NEXT) | instid1(VALU_DEP_3)
	v_fmac_f32_e32 v18, v12, v19
	v_fma_f32 v17, v11, v19, -v20
	scratch_load_b128 v[9:12], off, off offset:336
	s_wait_loadcnt_dscnt 0x100
	v_mul_f32_e32 v19, v5, v2
	v_mul_f32_e32 v2, v6, v2
	;; [unrolled: 1-line block ×3, first 2 shown]
	s_delay_alu instid0(VALU_DEP_3) | instskip(NEXT) | instid1(VALU_DEP_3)
	v_dual_mul_f32 v4, v8, v4 :: v_dual_fmac_f32 v19, v6, v1
	v_fma_f32 v160, v5, v1, -v2
	s_delay_alu instid0(VALU_DEP_3) | instskip(NEXT) | instid1(VALU_DEP_3)
	v_fmac_f32_e32 v20, v8, v3
	v_fma_f32 v161, v7, v3, -v4
	ds_load_b128 v[1:4], v21 offset:832
	ds_load_b128 v[5:8], v21 offset:848
	s_wait_loadcnt_dscnt 0x1
	v_mul_f32_e32 v163, v1, v10
	v_mul_f32_e32 v10, v2, v10
	s_delay_alu instid0(VALU_DEP_2) | instskip(NEXT) | instid1(VALU_DEP_2)
	v_dual_mul_f32 v164, v3, v12 :: v_dual_fmac_f32 v163, v2, v9
	v_fma_f32 v165, v1, v9, -v10
	v_mul_f32_e32 v1, v4, v12
	s_delay_alu instid0(VALU_DEP_3) | instskip(NEXT) | instid1(VALU_DEP_2)
	v_fmac_f32_e32 v164, v4, v11
	v_fma_f32 v166, v3, v11, -v1
	s_clause 0x1
	scratch_load_b128 v[1:4], off, off offset:352
	scratch_load_b128 v[9:12], off, off offset:368
	s_wait_loadcnt_dscnt 0x100
	v_mul_f32_e32 v167, v5, v2
	v_dual_mul_f32 v2, v6, v2 :: v_dual_mul_f32 v169, v7, v4
	s_delay_alu instid0(VALU_DEP_2) | instskip(NEXT) | instid1(VALU_DEP_2)
	v_fmac_f32_e32 v167, v6, v1
	v_fma_f32 v168, v5, v1, -v2
	v_mul_f32_e32 v1, v8, v4
	s_delay_alu instid0(VALU_DEP_4) | instskip(NEXT) | instid1(VALU_DEP_2)
	v_fmac_f32_e32 v169, v8, v3
	v_fma_f32 v170, v7, v3, -v1
	ds_load_b128 v[1:4], v21 offset:864
	ds_load_b128 v[5:8], v21 offset:880
	s_wait_loadcnt_dscnt 0x1
	v_mul_f32_e32 v171, v1, v10
	v_mul_f32_e32 v173, v3, v12
	s_delay_alu instid0(VALU_DEP_2) | instskip(NEXT) | instid1(VALU_DEP_2)
	v_fmac_f32_e32 v171, v2, v9
	v_dual_mul_f32 v2, v2, v10 :: v_dual_fmac_f32 v173, v4, v11
	s_delay_alu instid0(VALU_DEP_1) | instskip(SKIP_1) | instid1(VALU_DEP_1)
	v_fma_f32 v172, v1, v9, -v2
	v_mul_f32_e32 v1, v4, v12
	v_fma_f32 v174, v3, v11, -v1
	s_clause 0x1
	scratch_load_b128 v[1:4], off, off offset:384
	scratch_load_b128 v[9:12], off, off offset:400
	s_wait_loadcnt_dscnt 0x100
	v_mul_f32_e32 v175, v5, v2
	v_dual_mul_f32 v2, v6, v2 :: v_dual_mul_f32 v177, v7, v4
	s_delay_alu instid0(VALU_DEP_2) | instskip(NEXT) | instid1(VALU_DEP_2)
	v_fmac_f32_e32 v175, v6, v1
	v_fma_f32 v176, v5, v1, -v2
	v_mul_f32_e32 v1, v8, v4
	s_delay_alu instid0(VALU_DEP_4) | instskip(NEXT) | instid1(VALU_DEP_2)
	v_fmac_f32_e32 v177, v8, v3
	v_fma_f32 v178, v7, v3, -v1
	v_add_f32_e32 v1, 0, v22
	s_delay_alu instid0(VALU_DEP_1) | instskip(NEXT) | instid1(VALU_DEP_1)
	v_add_f32_e32 v1, v1, v23
	v_dual_add_f32 v2, 0, v155 :: v_dual_add_f32 v1, v1, v26
	s_delay_alu instid0(VALU_DEP_1) | instskip(SKIP_2) | instid1(VALU_DEP_1)
	v_add_f32_e32 v1, v1, v27
	scratch_load_b64 v[26:27], off, off offset:480
	v_add_f32_e32 v1, v1, v28
	v_dual_add_f32 v2, v2, v156 :: v_dual_add_f32 v1, v1, v29
	s_delay_alu instid0(VALU_DEP_1) | instskip(NEXT) | instid1(VALU_DEP_2)
	v_add_f32_e32 v2, v2, v24
	v_add_f32_e32 v6, v1, v13
	s_delay_alu instid0(VALU_DEP_2) | instskip(NEXT) | instid1(VALU_DEP_2)
	v_add_f32_e32 v2, v2, v25
	v_add_f32_e32 v14, v6, v14
	s_delay_alu instid0(VALU_DEP_2) | instskip(NEXT) | instid1(VALU_DEP_2)
	v_add_f32_e32 v2, v2, v32
	v_add_f32_e32 v14, v14, v16
	s_delay_alu instid0(VALU_DEP_2) | instskip(SKIP_4) | instid1(VALU_DEP_1)
	v_add_f32_e32 v5, v2, v162
	scratch_load_b128 v[1:4], off, off offset:416
	v_add_f32_e32 v13, v5, v158
	ds_load_b128 v[5:8], v21 offset:896
	v_add_f32_e32 v13, v13, v159
	v_add_f32_e32 v13, v13, v15
	s_delay_alu instid0(VALU_DEP_1) | instskip(SKIP_4) | instid1(VALU_DEP_2)
	v_dual_add_f32 v17, v14, v17 :: v_dual_add_f32 v18, v13, v18
	ds_load_b128 v[13:16], v21 offset:912
	v_add_f32_e32 v17, v17, v160
	s_wait_loadcnt_dscnt 0x201
	v_dual_mul_f32 v32, v5, v10 :: v_dual_mul_f32 v155, v7, v12
	v_dual_mul_f32 v10, v6, v10 :: v_dual_add_f32 v17, v17, v161
	v_add_f32_e32 v18, v18, v19
	s_delay_alu instid0(VALU_DEP_3) | instskip(NEXT) | instid1(VALU_DEP_3)
	v_dual_fmac_f32 v32, v6, v9 :: v_dual_fmac_f32 v155, v8, v11
	v_fma_f32 v156, v5, v9, -v10
	s_delay_alu instid0(VALU_DEP_4) | instskip(NEXT) | instid1(VALU_DEP_1)
	v_dual_add_f32 v17, v17, v165 :: v_dual_mul_f32 v12, v8, v12
	v_add_f32_e32 v23, v17, v166
	s_delay_alu instid0(VALU_DEP_2) | instskip(SKIP_4) | instid1(VALU_DEP_1)
	v_fma_f32 v158, v7, v11, -v12
	s_clause 0x1
	scratch_load_b128 v[5:8], off, off offset:432
	scratch_load_b128 v[9:12], off, off offset:448
	v_add_f32_e32 v23, v23, v168
	v_dual_add_f32 v18, v18, v20 :: v_dual_add_f32 v23, v23, v170
	s_delay_alu instid0(VALU_DEP_1)
	v_add_f32_e32 v22, v18, v163
	scratch_load_b128 v[17:20], off, off offset:464
	v_add_f32_e32 v23, v23, v172
	s_wait_loadcnt_dscnt 0x300
	v_mul_f32_e32 v159, v13, v2
	v_mul_f32_e32 v2, v14, v2
	;; [unrolled: 1-line block ×3, first 2 shown]
	s_delay_alu instid0(VALU_DEP_3) | instskip(SKIP_1) | instid1(VALU_DEP_4)
	v_dual_mul_f32 v4, v16, v4 :: v_dual_fmac_f32 v159, v14, v1
	v_add_f32_e32 v14, v23, v174
	v_fma_f32 v161, v13, v1, -v2
	s_delay_alu instid0(VALU_DEP_4) | instskip(NEXT) | instid1(VALU_DEP_4)
	v_fmac_f32_e32 v160, v16, v3
	v_fma_f32 v162, v15, v3, -v4
	ds_load_b128 v[1:4], v21 offset:928
	v_add_f32_e32 v28, v14, v176
	s_delay_alu instid0(VALU_DEP_1) | instskip(NEXT) | instid1(VALU_DEP_1)
	v_dual_add_f32 v22, v22, v164 :: v_dual_add_f32 v163, v28, v178
	v_add_f32_e32 v22, v22, v167
	s_delay_alu instid0(VALU_DEP_1) | instskip(NEXT) | instid1(VALU_DEP_1)
	v_add_f32_e32 v22, v22, v169
	v_add_f32_e32 v13, v22, v171
	s_delay_alu instid0(VALU_DEP_1)
	v_add_f32_e32 v22, v13, v173
	ds_load_b128 v[13:16], v21 offset:944
	v_dual_add_f32 v156, v163, v156 :: v_dual_add_f32 v29, v22, v175
	ds_load_b128 v[22:25], v21 offset:960
	s_wait_loadcnt_dscnt 0x202
	v_mul_f32_e32 v163, v1, v6
	v_add_f32_e32 v164, v29, v177
	ds_load_b64 v[28:29], v21 offset:976
	v_dual_fmac_f32 v163, v2, v5 :: v_dual_add_f32 v156, v156, v158
	s_delay_alu instid0(VALU_DEP_1) | instskip(SKIP_2) | instid1(VALU_DEP_2)
	v_add_f32_e32 v156, v156, v161
	s_wait_loadcnt_dscnt 0x102
	v_mul_f32_e32 v158, v13, v10
	v_add_f32_e32 v156, v156, v162
	v_mul_f32_e32 v6, v2, v6
	s_wait_loadcnt_dscnt 0x1
	v_dual_mul_f32 v161, v22, v18 :: v_dual_add_f32 v32, v164, v32
	s_delay_alu instid0(VALU_DEP_2) | instskip(NEXT) | instid1(VALU_DEP_2)
	v_fma_f32 v1, v1, v5, -v6
	v_fmac_f32_e32 v161, v23, v17
	v_mul_f32_e32 v5, v16, v12
	s_delay_alu instid0(VALU_DEP_3) | instskip(SKIP_2) | instid1(VALU_DEP_4)
	v_add_f32_e32 v1, v156, v1
	v_dual_add_f32 v32, v32, v155 :: v_dual_mul_f32 v155, v3, v8
	v_mul_f32_e32 v8, v4, v8
	v_fma_f32 v5, v15, v11, -v5
	s_delay_alu instid0(VALU_DEP_3) | instskip(NEXT) | instid1(VALU_DEP_3)
	v_fmac_f32_e32 v155, v4, v7
	v_fma_f32 v2, v3, v7, -v8
	v_mul_f32_e32 v3, v14, v10
	s_delay_alu instid0(VALU_DEP_2) | instskip(NEXT) | instid1(VALU_DEP_2)
	v_add_f32_e32 v1, v1, v2
	v_fma_f32 v3, v13, v9, -v3
	s_delay_alu instid0(VALU_DEP_1) | instskip(SKIP_2) | instid1(VALU_DEP_2)
	v_add_f32_e32 v1, v1, v3
	v_dual_add_f32 v32, v32, v159 :: v_dual_mul_f32 v3, v25, v20
	v_dual_mul_f32 v159, v15, v12 :: v_dual_fmac_f32 v158, v14, v9
	v_dual_add_f32 v1, v1, v5 :: v_dual_add_f32 v32, v32, v160
	s_wait_dscnt 0x0
	v_mul_f32_e32 v5, v29, v27
	v_fma_f32 v3, v24, v19, -v3
	v_fmac_f32_e32 v159, v16, v11
	v_add_f32_e32 v4, v32, v163
	s_delay_alu instid0(VALU_DEP_1) | instskip(SKIP_1) | instid1(VALU_DEP_1)
	v_add_f32_e32 v2, v4, v155
	v_mul_f32_e32 v4, v23, v18
	v_fma_f32 v4, v22, v17, -v4
	s_delay_alu instid0(VALU_DEP_1) | instskip(SKIP_2) | instid1(VALU_DEP_3)
	v_dual_mul_f32 v160, v28, v27 :: v_dual_add_f32 v1, v1, v4
	v_mul_f32_e32 v162, v24, v20
	v_fma_f32 v4, v28, v26, -v5
	v_fmac_f32_e32 v160, v29, v26
	s_delay_alu instid0(VALU_DEP_4) | instskip(NEXT) | instid1(VALU_DEP_4)
	v_add_f32_e32 v1, v1, v3
	v_fmac_f32_e32 v162, v25, v19
	s_delay_alu instid0(VALU_DEP_2) | instskip(NEXT) | instid1(VALU_DEP_1)
	v_dual_add_f32 v1, v1, v4 :: v_dual_add_f32 v2, v2, v158
	v_sub_f32_e32 v1, v30, v1
	s_delay_alu instid0(VALU_DEP_2) | instskip(NEXT) | instid1(VALU_DEP_1)
	v_add_f32_e32 v2, v2, v159
	v_add_f32_e32 v2, v2, v161
	s_delay_alu instid0(VALU_DEP_1) | instskip(NEXT) | instid1(VALU_DEP_1)
	v_add_f32_e32 v2, v2, v162
	v_add_f32_e32 v2, v2, v160
	s_delay_alu instid0(VALU_DEP_1)
	v_sub_f32_e32 v2, v31, v2
	scratch_store_b64 off, v[1:2], off offset:232
	v_cmpx_lt_u32_e32 28, v0
	s_cbranch_execz .LBB60_323
; %bb.322:
	scratch_load_b64 v[1:2], off, off offset:224
	v_mov_b32_e32 v22, v21
	scratch_store_b64 off, v[21:22], off offset:224
	s_wait_loadcnt 0x0
	ds_store_b64 v157, v[1:2]
.LBB60_323:
	s_wait_alu 0xfffe
	s_or_b32 exec_lo, exec_lo, s0
	s_wait_storecnt_dscnt 0x0
	s_barrier_signal -1
	s_barrier_wait -1
	global_inv scope:SCOPE_SE
	s_clause 0x4
	scratch_load_b128 v[5:8], off, off offset:232
	scratch_load_b128 v[1:4], off, off offset:248
	;; [unrolled: 1-line block ×5, first 2 shown]
	ds_load_2addr_b64 v[22:25], v21 offset0:91 offset1:92
	ds_load_2addr_b64 v[26:29], v21 offset0:93 offset1:94
	;; [unrolled: 1-line block ×3, first 2 shown]
	scratch_load_b64 v[30:31], off, off offset:224
	s_mov_b32 s0, exec_lo
	s_wait_loadcnt_dscnt 0x502
	v_mul_f32_e32 v32, v23, v6
	v_dual_mul_f32 v155, v22, v6 :: v_dual_mul_f32 v156, v24, v8
	v_mul_f32_e32 v6, v25, v8
	s_wait_loadcnt_dscnt 0x300
	v_mul_f32_e32 v162, v160, v12
	s_delay_alu instid0(VALU_DEP_3)
	v_dual_mul_f32 v12, v161, v12 :: v_dual_fmac_f32 v155, v23, v5
	v_fmac_f32_e32 v156, v25, v7
	v_fma_f32 v23, v24, v7, -v6
	v_mul_f32_e32 v25, v28, v4
	v_fma_f32 v22, v22, v5, -v32
	ds_load_2addr_b64 v[5:8], v21 offset0:97 offset1:98
	v_mul_f32_e32 v24, v26, v2
	v_mul_f32_e32 v4, v29, v4
	v_mul_f32_e32 v32, v158, v10
	v_mul_f32_e32 v10, v159, v10
	v_dual_mul_f32 v2, v27, v2 :: v_dual_fmac_f32 v25, v29, v3
	v_fmac_f32_e32 v24, v27, v1
	v_fma_f32 v27, v28, v3, -v4
	v_fmac_f32_e32 v32, v159, v9
	v_fma_f32 v28, v158, v9, -v10
	;; [unrolled: 2-line block ×3, first 2 shown]
	ds_load_2addr_b64 v[9:12], v21 offset0:99 offset1:100
	s_wait_loadcnt_dscnt 0x201
	v_dual_mul_f32 v159, v7, v16 :: v_dual_mul_f32 v158, v5, v14
	v_mul_f32_e32 v14, v6, v14
	v_mul_f32_e32 v16, v8, v16
	s_delay_alu instid0(VALU_DEP_3)
	v_fmac_f32_e32 v159, v8, v15
	v_fma_f32 v26, v26, v1, -v2
	scratch_load_b128 v[1:4], off, off offset:312
	v_fmac_f32_e32 v158, v6, v13
	v_fma_f32 v13, v5, v13, -v14
	v_fma_f32 v14, v7, v15, -v16
	ds_load_2addr_b64 v[5:8], v21 offset0:101 offset1:102
	s_wait_loadcnt_dscnt 0x201
	v_mul_f32_e32 v15, v9, v18
	v_mul_f32_e32 v16, v10, v18
	;; [unrolled: 1-line block ×3, first 2 shown]
	s_delay_alu instid0(VALU_DEP_3) | instskip(NEXT) | instid1(VALU_DEP_3)
	v_dual_mul_f32 v20, v12, v20 :: v_dual_fmac_f32 v15, v10, v17
	v_fma_f32 v16, v9, v17, -v16
	s_delay_alu instid0(VALU_DEP_3) | instskip(NEXT) | instid1(VALU_DEP_3)
	v_fmac_f32_e32 v18, v12, v19
	v_fma_f32 v17, v11, v19, -v20
	scratch_load_b128 v[9:12], off, off offset:328
	s_wait_loadcnt_dscnt 0x100
	v_mul_f32_e32 v19, v5, v2
	v_mul_f32_e32 v2, v6, v2
	v_mul_f32_e32 v20, v7, v4
	s_delay_alu instid0(VALU_DEP_3) | instskip(NEXT) | instid1(VALU_DEP_3)
	v_dual_mul_f32 v4, v8, v4 :: v_dual_fmac_f32 v19, v6, v1
	v_fma_f32 v160, v5, v1, -v2
	s_delay_alu instid0(VALU_DEP_3) | instskip(NEXT) | instid1(VALU_DEP_3)
	v_fmac_f32_e32 v20, v8, v3
	v_fma_f32 v161, v7, v3, -v4
	ds_load_2addr_b64 v[1:4], v21 offset0:103 offset1:104
	ds_load_2addr_b64 v[5:8], v21 offset0:105 offset1:106
	s_wait_loadcnt_dscnt 0x1
	v_mul_f32_e32 v163, v1, v10
	v_mul_f32_e32 v10, v2, v10
	s_delay_alu instid0(VALU_DEP_2) | instskip(NEXT) | instid1(VALU_DEP_2)
	v_dual_mul_f32 v164, v3, v12 :: v_dual_fmac_f32 v163, v2, v9
	v_fma_f32 v165, v1, v9, -v10
	v_mul_f32_e32 v1, v4, v12
	s_delay_alu instid0(VALU_DEP_3) | instskip(NEXT) | instid1(VALU_DEP_2)
	v_fmac_f32_e32 v164, v4, v11
	v_fma_f32 v166, v3, v11, -v1
	s_clause 0x1
	scratch_load_b128 v[1:4], off, off offset:344
	scratch_load_b128 v[9:12], off, off offset:360
	s_wait_loadcnt_dscnt 0x100
	v_mul_f32_e32 v167, v5, v2
	v_dual_mul_f32 v2, v6, v2 :: v_dual_mul_f32 v169, v7, v4
	s_delay_alu instid0(VALU_DEP_2) | instskip(NEXT) | instid1(VALU_DEP_2)
	v_fmac_f32_e32 v167, v6, v1
	v_fma_f32 v168, v5, v1, -v2
	v_mul_f32_e32 v1, v8, v4
	s_delay_alu instid0(VALU_DEP_4) | instskip(NEXT) | instid1(VALU_DEP_2)
	v_fmac_f32_e32 v169, v8, v3
	v_fma_f32 v170, v7, v3, -v1
	ds_load_2addr_b64 v[1:4], v21 offset0:107 offset1:108
	ds_load_2addr_b64 v[5:8], v21 offset0:109 offset1:110
	s_wait_loadcnt_dscnt 0x1
	v_mul_f32_e32 v171, v1, v10
	v_mul_f32_e32 v173, v3, v12
	s_delay_alu instid0(VALU_DEP_2) | instskip(NEXT) | instid1(VALU_DEP_2)
	v_fmac_f32_e32 v171, v2, v9
	v_dual_mul_f32 v2, v2, v10 :: v_dual_fmac_f32 v173, v4, v11
	s_delay_alu instid0(VALU_DEP_1) | instskip(SKIP_1) | instid1(VALU_DEP_1)
	v_fma_f32 v172, v1, v9, -v2
	v_mul_f32_e32 v1, v4, v12
	v_fma_f32 v174, v3, v11, -v1
	s_clause 0x1
	scratch_load_b128 v[1:4], off, off offset:376
	scratch_load_b128 v[9:12], off, off offset:392
	s_wait_loadcnt_dscnt 0x100
	v_mul_f32_e32 v175, v5, v2
	v_dual_mul_f32 v2, v6, v2 :: v_dual_mul_f32 v177, v7, v4
	s_delay_alu instid0(VALU_DEP_2) | instskip(NEXT) | instid1(VALU_DEP_2)
	v_fmac_f32_e32 v175, v6, v1
	v_fma_f32 v176, v5, v1, -v2
	v_mul_f32_e32 v1, v8, v4
	s_delay_alu instid0(VALU_DEP_4) | instskip(NEXT) | instid1(VALU_DEP_2)
	v_fmac_f32_e32 v177, v8, v3
	v_fma_f32 v178, v7, v3, -v1
	ds_load_2addr_b64 v[1:4], v21 offset0:111 offset1:112
	ds_load_2addr_b64 v[5:8], v21 offset0:113 offset1:114
	s_wait_loadcnt_dscnt 0x1
	v_mul_f32_e32 v179, v1, v10
	v_mul_f32_e32 v181, v3, v12
	s_delay_alu instid0(VALU_DEP_2) | instskip(NEXT) | instid1(VALU_DEP_2)
	v_fmac_f32_e32 v179, v2, v9
	v_dual_mul_f32 v2, v2, v10 :: v_dual_fmac_f32 v181, v4, v11
	s_delay_alu instid0(VALU_DEP_1) | instskip(SKIP_1) | instid1(VALU_DEP_1)
	v_fma_f32 v180, v1, v9, -v2
	v_mul_f32_e32 v1, v4, v12
	v_fma_f32 v182, v3, v11, -v1
	s_clause 0x1
	scratch_load_b128 v[1:4], off, off offset:408
	scratch_load_b128 v[9:12], off, off offset:424
	s_wait_loadcnt_dscnt 0x100
	v_mul_f32_e32 v183, v5, v2
	v_dual_mul_f32 v2, v6, v2 :: v_dual_mul_f32 v185, v7, v4
	s_delay_alu instid0(VALU_DEP_1) | instskip(SKIP_1) | instid1(VALU_DEP_1)
	v_fma_f32 v184, v5, v1, -v2
	v_add_f32_e32 v2, 0, v155
	v_dual_fmac_f32 v185, v8, v3 :: v_dual_add_f32 v2, v2, v156
	s_delay_alu instid0(VALU_DEP_1) | instskip(NEXT) | instid1(VALU_DEP_1)
	v_add_f32_e32 v2, v2, v24
	v_add_f32_e32 v2, v2, v25
	s_delay_alu instid0(VALU_DEP_1) | instskip(NEXT) | instid1(VALU_DEP_1)
	v_add_f32_e32 v2, v2, v32
	v_add_f32_e32 v2, v2, v162
	;; [unrolled: 3-line block ×4, first 2 shown]
	s_delay_alu instid0(VALU_DEP_1) | instskip(SKIP_2) | instid1(VALU_DEP_1)
	v_add_f32_e32 v5, v5, v19
	v_fmac_f32_e32 v183, v6, v1
	v_mul_f32_e32 v1, v8, v4
	v_fma_f32 v186, v7, v3, -v1
	v_add_f32_e32 v1, 0, v22
	s_delay_alu instid0(VALU_DEP_1) | instskip(NEXT) | instid1(VALU_DEP_1)
	v_add_f32_e32 v1, v1, v23
	v_add_f32_e32 v1, v1, v26
	s_delay_alu instid0(VALU_DEP_1) | instskip(NEXT) | instid1(VALU_DEP_1)
	v_add_f32_e32 v1, v1, v27
	;; [unrolled: 3-line block ×3, first 2 shown]
	v_add_f32_e32 v1, v1, v13
	s_delay_alu instid0(VALU_DEP_1) | instskip(SKIP_1) | instid1(VALU_DEP_1)
	v_add_f32_e32 v1, v1, v14
	v_add_f32_e32 v14, v5, v20
	v_dual_add_f32 v1, v1, v16 :: v_dual_add_f32 v14, v14, v163
	s_delay_alu instid0(VALU_DEP_1) | instskip(NEXT) | instid1(VALU_DEP_2)
	v_add_f32_e32 v6, v1, v17
	v_add_f32_e32 v14, v14, v164
	ds_load_2addr_b64 v[1:4], v21 offset0:115 offset1:116
	v_add_f32_e32 v6, v6, v160
	v_add_f32_e32 v17, v14, v167
	s_delay_alu instid0(VALU_DEP_1) | instskip(NEXT) | instid1(VALU_DEP_1)
	v_add_f32_e32 v17, v17, v169
	v_add_f32_e32 v17, v17, v171
	s_delay_alu instid0(VALU_DEP_1) | instskip(NEXT) | instid1(VALU_DEP_1)
	v_add_f32_e32 v17, v17, v173
	v_add_f32_e32 v23, v17, v175
	s_delay_alu instid0(VALU_DEP_1)
	v_add_f32_e32 v32, v23, v177
	v_add_f32_e32 v13, v6, v161
	ds_load_2addr_b64 v[5:8], v21 offset0:117 offset1:118
	s_wait_loadcnt_dscnt 0x1
	v_mul_f32_e32 v26, v3, v12
	v_mul_f32_e32 v12, v4, v12
	v_dual_add_f32 v32, v32, v179 :: v_dual_add_f32 v13, v13, v165
	s_delay_alu instid0(VALU_DEP_3) | instskip(NEXT) | instid1(VALU_DEP_3)
	v_fmac_f32_e32 v26, v4, v11
	v_fma_f32 v28, v3, v11, -v12
	s_delay_alu instid0(VALU_DEP_3) | instskip(NEXT) | instid1(VALU_DEP_1)
	v_dual_add_f32 v32, v32, v181 :: v_dual_add_f32 v13, v13, v166
	v_dual_add_f32 v32, v32, v183 :: v_dual_add_f32 v13, v13, v168
	s_delay_alu instid0(VALU_DEP_1) | instskip(NEXT) | instid1(VALU_DEP_2)
	v_add_f32_e32 v32, v32, v185
	v_add_f32_e32 v18, v13, v170
	scratch_load_b128 v[13:16], off, off offset:472
	v_add_f32_e32 v18, v18, v172
	s_delay_alu instid0(VALU_DEP_1) | instskip(SKIP_2) | instid1(VALU_DEP_3)
	v_add_f32_e32 v18, v18, v174
	v_mul_f32_e32 v25, v1, v10
	v_mul_f32_e32 v10, v2, v10
	v_add_f32_e32 v22, v18, v176
	s_delay_alu instid0(VALU_DEP_3) | instskip(NEXT) | instid1(VALU_DEP_3)
	v_fmac_f32_e32 v25, v2, v9
	v_fma_f32 v27, v1, v9, -v10
	s_clause 0x1
	scratch_load_b128 v[1:4], off, off offset:440
	scratch_load_b128 v[9:12], off, off offset:456
	ds_load_2addr_b64 v[17:20], v21 offset0:119 offset1:120
	v_add_f32_e32 v29, v22, v178
	ds_load_2addr_b64 v[21:24], v21 offset0:121 offset1:122
	s_wait_loadcnt_dscnt 0x200
	v_dual_add_f32 v25, v32, v25 :: v_dual_mul_f32 v160, v21, v14
	s_delay_alu instid0(VALU_DEP_1)
	v_fmac_f32_e32 v160, v22, v13
	s_wait_loadcnt 0x1
	v_mul_f32_e32 v156, v7, v4
	v_mul_f32_e32 v4, v8, v4
	v_add_f32_e32 v29, v29, v180
	v_mul_f32_e32 v155, v5, v2
	v_mul_f32_e32 v2, v6, v2
	v_fmac_f32_e32 v156, v8, v3
	s_wait_loadcnt 0x0
	v_dual_mul_f32 v158, v17, v10 :: v_dual_mul_f32 v159, v19, v12
	v_add_f32_e32 v29, v29, v182
	v_fma_f32 v3, v7, v3, -v4
	v_dual_mul_f32 v4, v20, v12 :: v_dual_fmac_f32 v155, v6, v1
	s_delay_alu instid0(VALU_DEP_3)
	v_dual_mul_f32 v6, v18, v10 :: v_dual_add_f32 v29, v29, v184
	v_fmac_f32_e32 v158, v18, v9
	v_fma_f32 v2, v5, v1, -v2
	v_add_f32_e32 v5, v25, v26
	v_fmac_f32_e32 v159, v20, v11
	v_add_f32_e32 v29, v29, v186
	v_fma_f32 v4, v19, v11, -v4
	s_delay_alu instid0(VALU_DEP_2) | instskip(SKIP_1) | instid1(VALU_DEP_2)
	v_add_f32_e32 v27, v29, v27
	v_mul_f32_e32 v29, v23, v16
	v_add_f32_e32 v1, v27, v28
	s_delay_alu instid0(VALU_DEP_1) | instskip(SKIP_2) | instid1(VALU_DEP_2)
	v_add_f32_e32 v1, v1, v2
	v_add_f32_e32 v2, v5, v155
	v_fma_f32 v5, v17, v9, -v6
	v_dual_fmac_f32 v29, v24, v15 :: v_dual_add_f32 v2, v2, v156
	s_delay_alu instid0(VALU_DEP_1) | instskip(NEXT) | instid1(VALU_DEP_1)
	v_add_f32_e32 v2, v2, v158
	v_add_f32_e32 v2, v2, v159
	;; [unrolled: 1-line block ×3, first 2 shown]
	v_mul_f32_e32 v3, v22, v14
	s_delay_alu instid0(VALU_DEP_2) | instskip(SKIP_1) | instid1(VALU_DEP_3)
	v_dual_add_f32 v2, v2, v160 :: v_dual_add_f32 v1, v1, v5
	v_mul_f32_e32 v5, v24, v16
	v_fma_f32 v3, v21, v13, -v3
	s_delay_alu instid0(VALU_DEP_3) | instskip(NEXT) | instid1(VALU_DEP_3)
	v_dual_add_f32 v2, v2, v29 :: v_dual_add_f32 v1, v1, v4
	v_fma_f32 v4, v23, v15, -v5
	s_delay_alu instid0(VALU_DEP_2) | instskip(NEXT) | instid1(VALU_DEP_1)
	v_dual_sub_f32 v2, v31, v2 :: v_dual_add_f32 v1, v1, v3
	v_add_f32_e32 v1, v1, v4
	s_delay_alu instid0(VALU_DEP_1)
	v_sub_f32_e32 v1, v30, v1
	scratch_store_b64 off, v[1:2], off offset:224
	v_cmpx_lt_u32_e32 27, v0
	s_cbranch_execz .LBB60_325
; %bb.324:
	scratch_load_b64 v[1:2], off, off offset:216
	v_mov_b32_e32 v3, 0
	s_delay_alu instid0(VALU_DEP_1)
	v_mov_b32_e32 v4, v3
	scratch_store_b64 off, v[3:4], off offset:216
	s_wait_loadcnt 0x0
	ds_store_b64 v157, v[1:2]
.LBB60_325:
	s_wait_alu 0xfffe
	s_or_b32 exec_lo, exec_lo, s0
	s_wait_storecnt_dscnt 0x0
	s_barrier_signal -1
	s_barrier_wait -1
	global_inv scope:SCOPE_SE
	s_clause 0x4
	scratch_load_b128 v[5:8], off, off offset:224
	scratch_load_b128 v[1:4], off, off offset:240
	;; [unrolled: 1-line block ×5, first 2 shown]
	v_mov_b32_e32 v21, 0
	ds_load_b128 v[22:25], v21 offset:720
	ds_load_b128 v[26:29], v21 offset:736
	;; [unrolled: 1-line block ×3, first 2 shown]
	scratch_load_b64 v[30:31], off, off offset:216
	s_mov_b32 s0, exec_lo
	s_wait_loadcnt_dscnt 0x502
	v_mul_f32_e32 v32, v23, v6
	v_dual_mul_f32 v155, v22, v6 :: v_dual_mul_f32 v156, v24, v8
	v_mul_f32_e32 v6, v25, v8
	s_wait_loadcnt_dscnt 0x300
	v_mul_f32_e32 v162, v160, v12
	v_fma_f32 v22, v22, v5, -v32
	v_dual_fmac_f32 v155, v23, v5 :: v_dual_fmac_f32 v156, v25, v7
	v_mul_f32_e32 v25, v28, v4
	v_fma_f32 v23, v24, v7, -v6
	ds_load_b128 v[5:8], v21 offset:768
	v_mul_f32_e32 v24, v26, v2
	v_mul_f32_e32 v4, v29, v4
	;; [unrolled: 1-line block ×5, first 2 shown]
	v_dual_mul_f32 v2, v27, v2 :: v_dual_fmac_f32 v25, v29, v3
	v_fmac_f32_e32 v24, v27, v1
	v_fma_f32 v27, v28, v3, -v4
	v_fmac_f32_e32 v32, v159, v9
	v_fma_f32 v28, v158, v9, -v10
	;; [unrolled: 2-line block ×3, first 2 shown]
	ds_load_b128 v[9:12], v21 offset:784
	s_wait_loadcnt_dscnt 0x201
	v_dual_mul_f32 v159, v7, v16 :: v_dual_mul_f32 v158, v5, v14
	v_mul_f32_e32 v14, v6, v14
	v_mul_f32_e32 v16, v8, v16
	s_delay_alu instid0(VALU_DEP_3)
	v_fmac_f32_e32 v159, v8, v15
	v_fma_f32 v26, v26, v1, -v2
	scratch_load_b128 v[1:4], off, off offset:304
	v_fmac_f32_e32 v158, v6, v13
	v_fma_f32 v13, v5, v13, -v14
	v_fma_f32 v14, v7, v15, -v16
	ds_load_b128 v[5:8], v21 offset:800
	s_wait_loadcnt_dscnt 0x201
	v_mul_f32_e32 v15, v9, v18
	v_mul_f32_e32 v16, v10, v18
	;; [unrolled: 1-line block ×3, first 2 shown]
	s_delay_alu instid0(VALU_DEP_3) | instskip(NEXT) | instid1(VALU_DEP_3)
	v_dual_mul_f32 v20, v12, v20 :: v_dual_fmac_f32 v15, v10, v17
	v_fma_f32 v16, v9, v17, -v16
	s_delay_alu instid0(VALU_DEP_3) | instskip(NEXT) | instid1(VALU_DEP_3)
	v_fmac_f32_e32 v18, v12, v19
	v_fma_f32 v17, v11, v19, -v20
	scratch_load_b128 v[9:12], off, off offset:320
	s_wait_loadcnt_dscnt 0x100
	v_mul_f32_e32 v19, v5, v2
	v_mul_f32_e32 v2, v6, v2
	;; [unrolled: 1-line block ×3, first 2 shown]
	s_delay_alu instid0(VALU_DEP_3) | instskip(NEXT) | instid1(VALU_DEP_3)
	v_dual_mul_f32 v4, v8, v4 :: v_dual_fmac_f32 v19, v6, v1
	v_fma_f32 v160, v5, v1, -v2
	s_delay_alu instid0(VALU_DEP_3) | instskip(NEXT) | instid1(VALU_DEP_3)
	v_fmac_f32_e32 v20, v8, v3
	v_fma_f32 v161, v7, v3, -v4
	ds_load_b128 v[1:4], v21 offset:816
	ds_load_b128 v[5:8], v21 offset:832
	s_wait_loadcnt_dscnt 0x1
	v_mul_f32_e32 v163, v1, v10
	v_mul_f32_e32 v10, v2, v10
	s_delay_alu instid0(VALU_DEP_2) | instskip(NEXT) | instid1(VALU_DEP_2)
	v_dual_mul_f32 v164, v3, v12 :: v_dual_fmac_f32 v163, v2, v9
	v_fma_f32 v165, v1, v9, -v10
	v_mul_f32_e32 v1, v4, v12
	s_delay_alu instid0(VALU_DEP_3) | instskip(NEXT) | instid1(VALU_DEP_2)
	v_fmac_f32_e32 v164, v4, v11
	v_fma_f32 v166, v3, v11, -v1
	s_clause 0x1
	scratch_load_b128 v[1:4], off, off offset:336
	scratch_load_b128 v[9:12], off, off offset:352
	s_wait_loadcnt_dscnt 0x100
	v_mul_f32_e32 v167, v5, v2
	v_dual_mul_f32 v2, v6, v2 :: v_dual_mul_f32 v169, v7, v4
	s_delay_alu instid0(VALU_DEP_2) | instskip(NEXT) | instid1(VALU_DEP_2)
	v_fmac_f32_e32 v167, v6, v1
	v_fma_f32 v168, v5, v1, -v2
	v_mul_f32_e32 v1, v8, v4
	s_delay_alu instid0(VALU_DEP_4) | instskip(NEXT) | instid1(VALU_DEP_2)
	v_fmac_f32_e32 v169, v8, v3
	v_fma_f32 v170, v7, v3, -v1
	ds_load_b128 v[1:4], v21 offset:848
	ds_load_b128 v[5:8], v21 offset:864
	s_wait_loadcnt_dscnt 0x1
	v_mul_f32_e32 v171, v1, v10
	v_mul_f32_e32 v173, v3, v12
	s_delay_alu instid0(VALU_DEP_2) | instskip(NEXT) | instid1(VALU_DEP_2)
	v_fmac_f32_e32 v171, v2, v9
	v_dual_mul_f32 v2, v2, v10 :: v_dual_fmac_f32 v173, v4, v11
	s_delay_alu instid0(VALU_DEP_1) | instskip(SKIP_1) | instid1(VALU_DEP_1)
	v_fma_f32 v172, v1, v9, -v2
	v_mul_f32_e32 v1, v4, v12
	v_fma_f32 v174, v3, v11, -v1
	s_clause 0x1
	scratch_load_b128 v[1:4], off, off offset:368
	scratch_load_b128 v[9:12], off, off offset:384
	s_wait_loadcnt_dscnt 0x100
	v_mul_f32_e32 v175, v5, v2
	v_dual_mul_f32 v2, v6, v2 :: v_dual_mul_f32 v177, v7, v4
	s_delay_alu instid0(VALU_DEP_2) | instskip(NEXT) | instid1(VALU_DEP_2)
	v_fmac_f32_e32 v175, v6, v1
	v_fma_f32 v176, v5, v1, -v2
	v_mul_f32_e32 v1, v8, v4
	s_delay_alu instid0(VALU_DEP_4) | instskip(NEXT) | instid1(VALU_DEP_2)
	v_fmac_f32_e32 v177, v8, v3
	v_fma_f32 v178, v7, v3, -v1
	ds_load_b128 v[1:4], v21 offset:880
	ds_load_b128 v[5:8], v21 offset:896
	s_wait_loadcnt_dscnt 0x1
	v_mul_f32_e32 v179, v1, v10
	v_mul_f32_e32 v181, v3, v12
	s_delay_alu instid0(VALU_DEP_2) | instskip(NEXT) | instid1(VALU_DEP_2)
	v_fmac_f32_e32 v179, v2, v9
	v_dual_mul_f32 v2, v2, v10 :: v_dual_fmac_f32 v181, v4, v11
	s_delay_alu instid0(VALU_DEP_1) | instskip(SKIP_1) | instid1(VALU_DEP_1)
	v_fma_f32 v180, v1, v9, -v2
	v_mul_f32_e32 v1, v4, v12
	v_fma_f32 v182, v3, v11, -v1
	s_clause 0x1
	scratch_load_b128 v[1:4], off, off offset:400
	scratch_load_b128 v[9:12], off, off offset:416
	s_wait_loadcnt_dscnt 0x100
	v_mul_f32_e32 v183, v5, v2
	v_dual_mul_f32 v2, v6, v2 :: v_dual_mul_f32 v185, v7, v4
	s_delay_alu instid0(VALU_DEP_1) | instskip(SKIP_1) | instid1(VALU_DEP_1)
	v_fma_f32 v184, v5, v1, -v2
	v_add_f32_e32 v2, 0, v155
	v_dual_add_f32 v2, v2, v156 :: v_dual_fmac_f32 v185, v8, v3
	s_delay_alu instid0(VALU_DEP_1) | instskip(NEXT) | instid1(VALU_DEP_1)
	v_add_f32_e32 v2, v2, v24
	v_add_f32_e32 v2, v2, v25
	s_delay_alu instid0(VALU_DEP_1) | instskip(NEXT) | instid1(VALU_DEP_1)
	v_add_f32_e32 v2, v2, v32
	v_add_f32_e32 v2, v2, v162
	;; [unrolled: 3-line block ×4, first 2 shown]
	s_delay_alu instid0(VALU_DEP_1) | instskip(SKIP_2) | instid1(VALU_DEP_1)
	v_add_f32_e32 v5, v5, v19
	v_fmac_f32_e32 v183, v6, v1
	v_mul_f32_e32 v1, v8, v4
	v_fma_f32 v186, v7, v3, -v1
	v_add_f32_e32 v1, 0, v22
	s_delay_alu instid0(VALU_DEP_1) | instskip(NEXT) | instid1(VALU_DEP_1)
	v_add_f32_e32 v1, v1, v23
	v_add_f32_e32 v1, v1, v26
	s_delay_alu instid0(VALU_DEP_1) | instskip(SKIP_2) | instid1(VALU_DEP_1)
	v_add_f32_e32 v1, v1, v27
	scratch_load_b64 v[26:27], off, off offset:480
	v_add_f32_e32 v1, v1, v28
	v_add_f32_e32 v1, v1, v29
	s_delay_alu instid0(VALU_DEP_1) | instskip(NEXT) | instid1(VALU_DEP_1)
	v_add_f32_e32 v1, v1, v13
	v_add_f32_e32 v1, v1, v14
	;; [unrolled: 1-line block ×3, first 2 shown]
	s_delay_alu instid0(VALU_DEP_1) | instskip(NEXT) | instid1(VALU_DEP_1)
	v_add_f32_e32 v14, v14, v163
	v_add_f32_e32 v14, v14, v164
	s_delay_alu instid0(VALU_DEP_4) | instskip(NEXT) | instid1(VALU_DEP_1)
	v_add_f32_e32 v1, v1, v16
	v_dual_add_f32 v6, v1, v17 :: v_dual_add_f32 v17, v14, v167
	ds_load_b128 v[1:4], v21 offset:912
	v_dual_add_f32 v6, v6, v160 :: v_dual_add_f32 v17, v17, v169
	s_delay_alu instid0(VALU_DEP_1) | instskip(SKIP_2) | instid1(VALU_DEP_1)
	v_add_f32_e32 v13, v6, v161
	ds_load_b128 v[5:8], v21 offset:928
	v_add_f32_e32 v17, v17, v171
	v_add_f32_e32 v17, v17, v173
	s_delay_alu instid0(VALU_DEP_1) | instskip(SKIP_3) | instid1(VALU_DEP_3)
	v_add_f32_e32 v17, v17, v175
	s_wait_loadcnt_dscnt 0x101
	v_mul_f32_e32 v32, v1, v10
	v_dual_add_f32 v13, v13, v165 :: v_dual_mul_f32 v10, v2, v10
	v_add_f32_e32 v22, v17, v177
	s_delay_alu instid0(VALU_DEP_2) | instskip(NEXT) | instid1(VALU_DEP_3)
	v_dual_fmac_f32 v32, v2, v9 :: v_dual_add_f32 v13, v13, v166
	v_fma_f32 v156, v1, v9, -v10
	s_delay_alu instid0(VALU_DEP_3) | instskip(SKIP_2) | instid1(VALU_DEP_1)
	v_add_f32_e32 v29, v22, v179
	ds_load_b128 v[22:25], v21 offset:960
	v_add_f32_e32 v160, v29, v181
	v_dual_add_f32 v13, v13, v168 :: v_dual_add_f32 v160, v160, v183
	s_delay_alu instid0(VALU_DEP_1)
	v_dual_mul_f32 v155, v3, v12 :: v_dual_add_f32 v18, v13, v170
	v_mul_f32_e32 v12, v4, v12
	scratch_load_b128 v[13:16], off, off offset:464
	v_add_f32_e32 v160, v160, v185
	v_add_f32_e32 v18, v18, v172
	v_fma_f32 v158, v3, v11, -v12
	s_delay_alu instid0(VALU_DEP_3) | instskip(NEXT) | instid1(VALU_DEP_3)
	v_add_f32_e32 v32, v160, v32
	v_add_f32_e32 v18, v18, v174
	s_delay_alu instid0(VALU_DEP_1) | instskip(SKIP_4) | instid1(VALU_DEP_1)
	v_dual_add_f32 v18, v18, v176 :: v_dual_fmac_f32 v155, v4, v11
	s_clause 0x1
	scratch_load_b128 v[1:4], off, off offset:432
	scratch_load_b128 v[9:12], off, off offset:448
	v_add_f32_e32 v18, v18, v178
	v_add_f32_e32 v28, v18, v180
	ds_load_b128 v[17:20], v21 offset:944
	v_add_f32_e32 v159, v28, v182
	ds_load_b64 v[28:29], v21 offset:976
	v_add_f32_e32 v159, v159, v184
	s_delay_alu instid0(VALU_DEP_1) | instskip(NEXT) | instid1(VALU_DEP_1)
	v_add_f32_e32 v159, v159, v186
	v_add_f32_e32 v156, v159, v156
	s_delay_alu instid0(VALU_DEP_1) | instskip(SKIP_2) | instid1(VALU_DEP_1)
	v_add_f32_e32 v156, v156, v158
	s_wait_loadcnt_dscnt 0x202
	v_dual_mul_f32 v163, v22, v14 :: v_dual_mul_f32 v158, v24, v16
	v_fmac_f32_e32 v158, v25, v15
	s_wait_loadcnt 0x1
	v_mul_f32_e32 v161, v5, v2
	v_mul_f32_e32 v2, v6, v2
	v_mul_f32_e32 v162, v7, v4
	s_wait_loadcnt_dscnt 0x1
	v_dual_mul_f32 v4, v8, v4 :: v_dual_mul_f32 v159, v17, v10
	v_mul_f32_e32 v160, v19, v12
	v_fma_f32 v2, v5, v1, -v2
	v_dual_add_f32 v32, v32, v155 :: v_dual_fmac_f32 v161, v6, v1
	v_fmac_f32_e32 v162, v8, v3
	v_fma_f32 v1, v7, v3, -v4
	v_mul_f32_e32 v3, v18, v10
	v_dual_add_f32 v2, v156, v2 :: v_dual_fmac_f32 v159, v18, v9
	v_fmac_f32_e32 v160, v20, v11
	s_wait_dscnt 0x0
	v_mul_f32_e32 v155, v28, v27
	v_fma_f32 v3, v17, v9, -v3
	v_add_f32_e32 v1, v2, v1
	s_delay_alu instid0(VALU_DEP_1) | instskip(NEXT) | instid1(VALU_DEP_1)
	v_dual_add_f32 v4, v32, v161 :: v_dual_add_f32 v1, v1, v3
	v_add_f32_e32 v2, v4, v162
	v_dual_mul_f32 v5, v20, v12 :: v_dual_mul_f32 v4, v23, v14
	v_mul_f32_e32 v3, v25, v16
	s_delay_alu instid0(VALU_DEP_3) | instskip(NEXT) | instid1(VALU_DEP_3)
	v_dual_fmac_f32 v155, v29, v26 :: v_dual_add_f32 v2, v2, v159
	v_fma_f32 v5, v19, v11, -v5
	v_fmac_f32_e32 v163, v23, v13
	v_fma_f32 v4, v22, v13, -v4
	v_fma_f32 v3, v24, v15, -v3
	s_delay_alu instid0(VALU_DEP_4) | instskip(NEXT) | instid1(VALU_DEP_1)
	v_dual_add_f32 v2, v2, v160 :: v_dual_add_f32 v1, v1, v5
	v_add_f32_e32 v2, v2, v163
	s_delay_alu instid0(VALU_DEP_1) | instskip(NEXT) | instid1(VALU_DEP_3)
	v_dual_mul_f32 v5, v29, v27 :: v_dual_add_f32 v2, v2, v158
	v_add_f32_e32 v1, v1, v4
	s_delay_alu instid0(VALU_DEP_2) | instskip(NEXT) | instid1(VALU_DEP_3)
	v_fma_f32 v4, v28, v26, -v5
	v_add_f32_e32 v2, v2, v155
	s_delay_alu instid0(VALU_DEP_1) | instskip(NEXT) | instid1(VALU_DEP_1)
	v_dual_add_f32 v1, v1, v3 :: v_dual_sub_f32 v2, v31, v2
	v_add_f32_e32 v1, v1, v4
	s_delay_alu instid0(VALU_DEP_1)
	v_sub_f32_e32 v1, v30, v1
	scratch_store_b64 off, v[1:2], off offset:216
	v_cmpx_lt_u32_e32 26, v0
	s_cbranch_execz .LBB60_327
; %bb.326:
	scratch_load_b64 v[1:2], off, off offset:208
	v_mov_b32_e32 v22, v21
	scratch_store_b64 off, v[21:22], off offset:208
	s_wait_loadcnt 0x0
	ds_store_b64 v157, v[1:2]
.LBB60_327:
	s_wait_alu 0xfffe
	s_or_b32 exec_lo, exec_lo, s0
	s_wait_storecnt_dscnt 0x0
	s_barrier_signal -1
	s_barrier_wait -1
	global_inv scope:SCOPE_SE
	s_clause 0x4
	scratch_load_b128 v[5:8], off, off offset:216
	scratch_load_b128 v[1:4], off, off offset:232
	;; [unrolled: 1-line block ×5, first 2 shown]
	ds_load_2addr_b64 v[22:25], v21 offset0:89 offset1:90
	ds_load_2addr_b64 v[26:29], v21 offset0:91 offset1:92
	;; [unrolled: 1-line block ×3, first 2 shown]
	scratch_load_b64 v[30:31], off, off offset:208
	s_mov_b32 s0, exec_lo
	s_wait_loadcnt_dscnt 0x502
	v_mul_f32_e32 v32, v23, v6
	v_dual_mul_f32 v155, v22, v6 :: v_dual_mul_f32 v156, v24, v8
	v_mul_f32_e32 v6, v25, v8
	s_wait_loadcnt_dscnt 0x300
	v_mul_f32_e32 v162, v160, v12
	s_delay_alu instid0(VALU_DEP_3)
	v_dual_mul_f32 v12, v161, v12 :: v_dual_fmac_f32 v155, v23, v5
	v_fmac_f32_e32 v156, v25, v7
	v_fma_f32 v23, v24, v7, -v6
	v_mul_f32_e32 v25, v28, v4
	v_fma_f32 v22, v22, v5, -v32
	ds_load_2addr_b64 v[5:8], v21 offset0:95 offset1:96
	v_mul_f32_e32 v24, v26, v2
	v_mul_f32_e32 v4, v29, v4
	;; [unrolled: 1-line block ×4, first 2 shown]
	v_dual_mul_f32 v2, v27, v2 :: v_dual_fmac_f32 v25, v29, v3
	v_fmac_f32_e32 v24, v27, v1
	v_fma_f32 v27, v28, v3, -v4
	v_fmac_f32_e32 v32, v159, v9
	v_fma_f32 v28, v158, v9, -v10
	;; [unrolled: 2-line block ×3, first 2 shown]
	ds_load_2addr_b64 v[9:12], v21 offset0:97 offset1:98
	s_wait_loadcnt_dscnt 0x201
	v_dual_mul_f32 v159, v7, v16 :: v_dual_mul_f32 v158, v5, v14
	v_mul_f32_e32 v14, v6, v14
	v_mul_f32_e32 v16, v8, v16
	s_delay_alu instid0(VALU_DEP_3)
	v_fmac_f32_e32 v159, v8, v15
	v_fma_f32 v26, v26, v1, -v2
	scratch_load_b128 v[1:4], off, off offset:296
	v_fmac_f32_e32 v158, v6, v13
	v_fma_f32 v13, v5, v13, -v14
	v_fma_f32 v14, v7, v15, -v16
	ds_load_2addr_b64 v[5:8], v21 offset0:99 offset1:100
	s_wait_loadcnt_dscnt 0x201
	v_mul_f32_e32 v15, v9, v18
	v_mul_f32_e32 v16, v10, v18
	;; [unrolled: 1-line block ×3, first 2 shown]
	s_delay_alu instid0(VALU_DEP_3) | instskip(NEXT) | instid1(VALU_DEP_3)
	v_dual_mul_f32 v20, v12, v20 :: v_dual_fmac_f32 v15, v10, v17
	v_fma_f32 v16, v9, v17, -v16
	s_delay_alu instid0(VALU_DEP_3) | instskip(NEXT) | instid1(VALU_DEP_3)
	v_fmac_f32_e32 v18, v12, v19
	v_fma_f32 v17, v11, v19, -v20
	scratch_load_b128 v[9:12], off, off offset:312
	s_wait_loadcnt_dscnt 0x100
	v_mul_f32_e32 v19, v5, v2
	v_mul_f32_e32 v2, v6, v2
	;; [unrolled: 1-line block ×3, first 2 shown]
	s_delay_alu instid0(VALU_DEP_3) | instskip(NEXT) | instid1(VALU_DEP_3)
	v_dual_mul_f32 v4, v8, v4 :: v_dual_fmac_f32 v19, v6, v1
	v_fma_f32 v160, v5, v1, -v2
	s_delay_alu instid0(VALU_DEP_3) | instskip(NEXT) | instid1(VALU_DEP_3)
	v_fmac_f32_e32 v20, v8, v3
	v_fma_f32 v161, v7, v3, -v4
	ds_load_2addr_b64 v[1:4], v21 offset0:101 offset1:102
	ds_load_2addr_b64 v[5:8], v21 offset0:103 offset1:104
	s_wait_loadcnt_dscnt 0x1
	v_mul_f32_e32 v163, v1, v10
	v_mul_f32_e32 v10, v2, v10
	s_delay_alu instid0(VALU_DEP_2) | instskip(NEXT) | instid1(VALU_DEP_2)
	v_dual_mul_f32 v164, v3, v12 :: v_dual_fmac_f32 v163, v2, v9
	v_fma_f32 v165, v1, v9, -v10
	v_mul_f32_e32 v1, v4, v12
	s_delay_alu instid0(VALU_DEP_3) | instskip(NEXT) | instid1(VALU_DEP_2)
	v_fmac_f32_e32 v164, v4, v11
	v_fma_f32 v166, v3, v11, -v1
	s_clause 0x1
	scratch_load_b128 v[1:4], off, off offset:328
	scratch_load_b128 v[9:12], off, off offset:344
	s_wait_loadcnt_dscnt 0x100
	v_mul_f32_e32 v167, v5, v2
	v_dual_mul_f32 v2, v6, v2 :: v_dual_mul_f32 v169, v7, v4
	s_delay_alu instid0(VALU_DEP_2) | instskip(NEXT) | instid1(VALU_DEP_2)
	v_fmac_f32_e32 v167, v6, v1
	v_fma_f32 v168, v5, v1, -v2
	v_mul_f32_e32 v1, v8, v4
	s_delay_alu instid0(VALU_DEP_4) | instskip(NEXT) | instid1(VALU_DEP_2)
	v_fmac_f32_e32 v169, v8, v3
	v_fma_f32 v170, v7, v3, -v1
	ds_load_2addr_b64 v[1:4], v21 offset0:105 offset1:106
	ds_load_2addr_b64 v[5:8], v21 offset0:107 offset1:108
	s_wait_loadcnt_dscnt 0x1
	v_mul_f32_e32 v171, v1, v10
	v_mul_f32_e32 v173, v3, v12
	s_delay_alu instid0(VALU_DEP_2) | instskip(NEXT) | instid1(VALU_DEP_2)
	v_fmac_f32_e32 v171, v2, v9
	v_dual_mul_f32 v2, v2, v10 :: v_dual_fmac_f32 v173, v4, v11
	s_delay_alu instid0(VALU_DEP_1) | instskip(SKIP_1) | instid1(VALU_DEP_1)
	v_fma_f32 v172, v1, v9, -v2
	v_mul_f32_e32 v1, v4, v12
	v_fma_f32 v174, v3, v11, -v1
	s_clause 0x1
	scratch_load_b128 v[1:4], off, off offset:360
	scratch_load_b128 v[9:12], off, off offset:376
	s_wait_loadcnt_dscnt 0x100
	v_mul_f32_e32 v175, v5, v2
	v_dual_mul_f32 v2, v6, v2 :: v_dual_mul_f32 v177, v7, v4
	s_delay_alu instid0(VALU_DEP_2) | instskip(NEXT) | instid1(VALU_DEP_2)
	v_fmac_f32_e32 v175, v6, v1
	v_fma_f32 v176, v5, v1, -v2
	v_mul_f32_e32 v1, v8, v4
	s_delay_alu instid0(VALU_DEP_4) | instskip(NEXT) | instid1(VALU_DEP_2)
	v_fmac_f32_e32 v177, v8, v3
	v_fma_f32 v178, v7, v3, -v1
	ds_load_2addr_b64 v[1:4], v21 offset0:109 offset1:110
	ds_load_2addr_b64 v[5:8], v21 offset0:111 offset1:112
	s_wait_loadcnt_dscnt 0x1
	v_mul_f32_e32 v179, v1, v10
	v_mul_f32_e32 v181, v3, v12
	s_delay_alu instid0(VALU_DEP_2) | instskip(NEXT) | instid1(VALU_DEP_2)
	v_fmac_f32_e32 v179, v2, v9
	v_dual_mul_f32 v2, v2, v10 :: v_dual_fmac_f32 v181, v4, v11
	s_delay_alu instid0(VALU_DEP_1) | instskip(SKIP_1) | instid1(VALU_DEP_1)
	v_fma_f32 v180, v1, v9, -v2
	v_mul_f32_e32 v1, v4, v12
	v_fma_f32 v182, v3, v11, -v1
	s_clause 0x1
	scratch_load_b128 v[1:4], off, off offset:392
	scratch_load_b128 v[9:12], off, off offset:408
	s_wait_loadcnt_dscnt 0x100
	v_mul_f32_e32 v183, v5, v2
	v_dual_mul_f32 v2, v6, v2 :: v_dual_mul_f32 v185, v7, v4
	s_delay_alu instid0(VALU_DEP_1) | instskip(SKIP_1) | instid1(VALU_DEP_3)
	v_fma_f32 v184, v5, v1, -v2
	v_add_f32_e32 v2, 0, v155
	v_fmac_f32_e32 v185, v8, v3
	v_fmac_f32_e32 v183, v6, v1
	s_delay_alu instid0(VALU_DEP_3) | instskip(NEXT) | instid1(VALU_DEP_1)
	v_add_f32_e32 v2, v2, v156
	v_add_f32_e32 v2, v2, v24
	s_delay_alu instid0(VALU_DEP_1) | instskip(NEXT) | instid1(VALU_DEP_1)
	v_dual_mul_f32 v1, v8, v4 :: v_dual_add_f32 v2, v2, v25
	v_fma_f32 v186, v7, v3, -v1
	s_delay_alu instid0(VALU_DEP_2) | instskip(NEXT) | instid1(VALU_DEP_1)
	v_dual_add_f32 v1, 0, v22 :: v_dual_add_f32 v2, v2, v32
	v_dual_add_f32 v1, v1, v23 :: v_dual_add_f32 v2, v2, v162
	s_delay_alu instid0(VALU_DEP_1) | instskip(NEXT) | instid1(VALU_DEP_1)
	v_add_f32_e32 v2, v2, v158
	v_dual_add_f32 v1, v1, v26 :: v_dual_add_f32 v2, v2, v159
	s_delay_alu instid0(VALU_DEP_1) | instskip(NEXT) | instid1(VALU_DEP_1)
	v_add_f32_e32 v1, v1, v27
	v_dual_add_f32 v2, v2, v15 :: v_dual_add_f32 v1, v1, v28
	s_delay_alu instid0(VALU_DEP_1) | instskip(NEXT) | instid1(VALU_DEP_2)
	v_add_f32_e32 v5, v2, v18
	v_add_f32_e32 v1, v1, v29
	s_delay_alu instid0(VALU_DEP_1) | instskip(NEXT) | instid1(VALU_DEP_3)
	v_add_f32_e32 v1, v1, v13
	v_add_f32_e32 v13, v5, v19
	s_delay_alu instid0(VALU_DEP_1) | instskip(NEXT) | instid1(VALU_DEP_1)
	v_add_f32_e32 v13, v13, v20
	v_add_f32_e32 v13, v13, v163
	s_delay_alu instid0(VALU_DEP_1) | instskip(NEXT) | instid1(VALU_DEP_1)
	v_add_f32_e32 v18, v13, v164
	v_dual_add_f32 v18, v18, v167 :: v_dual_add_f32 v1, v1, v14
	s_delay_alu instid0(VALU_DEP_1) | instskip(NEXT) | instid1(VALU_DEP_1)
	v_dual_add_f32 v18, v18, v169 :: v_dual_add_f32 v1, v1, v16
	v_dual_add_f32 v22, v18, v171 :: v_dual_add_f32 v1, v1, v17
	s_delay_alu instid0(VALU_DEP_1) | instskip(NEXT) | instid1(VALU_DEP_2)
	v_add_f32_e32 v22, v22, v173
	v_add_f32_e32 v6, v1, v160
	ds_load_2addr_b64 v[1:4], v21 offset0:113 offset1:114
	v_add_f32_e32 v22, v22, v175
	v_add_f32_e32 v14, v6, v161
	scratch_load_b128 v[5:8], off, off offset:424
	v_add_f32_e32 v14, v14, v165
	s_delay_alu instid0(VALU_DEP_1)
	v_add_f32_e32 v17, v14, v166
	ds_load_2addr_b64 v[13:16], v21 offset0:115 offset1:116
	s_wait_loadcnt_dscnt 0x101
	v_mul_f32_e32 v25, v1, v10
	v_mul_f32_e32 v10, v2, v10
	;; [unrolled: 1-line block ×3, first 2 shown]
	s_delay_alu instid0(VALU_DEP_3) | instskip(NEXT) | instid1(VALU_DEP_3)
	v_dual_mul_f32 v12, v4, v12 :: v_dual_fmac_f32 v25, v2, v9
	v_fma_f32 v27, v1, v9, -v10
	s_delay_alu instid0(VALU_DEP_3) | instskip(NEXT) | instid1(VALU_DEP_3)
	v_fmac_f32_e32 v26, v4, v11
	v_fma_f32 v28, v3, v11, -v12
	s_clause 0x1
	scratch_load_b128 v[1:4], off, off offset:440
	scratch_load_b128 v[9:12], off, off offset:456
	s_wait_loadcnt_dscnt 0x200
	v_mul_f32_e32 v32, v15, v8
	v_add_f32_e32 v17, v17, v168
	v_mul_f32_e32 v29, v13, v6
	v_mul_f32_e32 v6, v14, v6
	;; [unrolled: 1-line block ×3, first 2 shown]
	s_delay_alu instid0(VALU_DEP_4) | instskip(NEXT) | instid1(VALU_DEP_3)
	v_dual_fmac_f32 v32, v16, v7 :: v_dual_add_f32 v17, v17, v170
	v_fma_f32 v155, v13, v5, -v6
	v_add_f32_e32 v13, v22, v177
	s_delay_alu instid0(VALU_DEP_4) | instskip(NEXT) | instid1(VALU_DEP_4)
	v_fma_f32 v156, v15, v7, -v8
	v_add_f32_e32 v17, v17, v172
	s_delay_alu instid0(VALU_DEP_1) | instskip(SKIP_2) | instid1(VALU_DEP_1)
	v_add_f32_e32 v23, v17, v174
	scratch_load_b128 v[17:20], off, off offset:472
	v_add_f32_e32 v23, v23, v176
	v_add_f32_e32 v23, v23, v178
	s_delay_alu instid0(VALU_DEP_1) | instskip(SKIP_4) | instid1(VALU_DEP_1)
	v_dual_add_f32 v22, v23, v180 :: v_dual_fmac_f32 v29, v14, v5
	ds_load_2addr_b64 v[5:8], v21 offset0:117 offset1:118
	v_add_f32_e32 v23, v13, v179
	ds_load_2addr_b64 v[13:16], v21 offset0:119 offset1:120
	v_add_f32_e32 v158, v22, v182
	v_dual_add_f32 v158, v158, v184 :: v_dual_add_f32 v159, v23, v181
	ds_load_2addr_b64 v[21:24], v21 offset0:121 offset1:122
	v_dual_add_f32 v158, v158, v186 :: v_dual_add_f32 v159, v159, v183
	s_delay_alu instid0(VALU_DEP_1) | instskip(SKIP_1) | instid1(VALU_DEP_2)
	v_add_f32_e32 v27, v158, v27
	s_wait_loadcnt_dscnt 0x202
	v_dual_add_f32 v159, v159, v185 :: v_dual_mul_f32 v160, v5, v2
	v_mul_f32_e32 v2, v6, v2
	v_mul_f32_e32 v158, v7, v4
	s_wait_loadcnt_dscnt 0x101
	v_mul_f32_e32 v161, v15, v12
	v_dual_add_f32 v25, v159, v25 :: v_dual_mul_f32 v4, v8, v4
	v_fmac_f32_e32 v160, v6, v1
	v_dual_mul_f32 v6, v14, v10 :: v_dual_add_f32 v27, v27, v28
	s_delay_alu instid0(VALU_DEP_3) | instskip(NEXT) | instid1(VALU_DEP_4)
	v_dual_fmac_f32 v158, v8, v3 :: v_dual_add_f32 v25, v25, v26
	v_fma_f32 v3, v7, v3, -v4
	v_dual_mul_f32 v4, v16, v12 :: v_dual_mul_f32 v159, v13, v10
	v_fma_f32 v2, v5, v1, -v2
	s_delay_alu instid0(VALU_DEP_4) | instskip(NEXT) | instid1(VALU_DEP_3)
	v_add_f32_e32 v25, v25, v29
	v_fma_f32 v4, v15, v11, -v4
	s_wait_loadcnt_dscnt 0x0
	v_mul_f32_e32 v26, v21, v18
	v_mul_f32_e32 v28, v23, v20
	v_add_f32_e32 v5, v25, v32
	v_fmac_f32_e32 v159, v14, v9
	s_delay_alu instid0(VALU_DEP_4) | instskip(NEXT) | instid1(VALU_DEP_4)
	v_dual_fmac_f32 v26, v22, v17 :: v_dual_add_f32 v27, v27, v155
	v_fmac_f32_e32 v28, v24, v19
	v_fmac_f32_e32 v161, v16, v11
	s_delay_alu instid0(VALU_DEP_3) | instskip(NEXT) | instid1(VALU_DEP_1)
	v_add_f32_e32 v1, v27, v156
	v_add_f32_e32 v1, v1, v2
	;; [unrolled: 1-line block ×3, first 2 shown]
	v_fma_f32 v5, v13, v9, -v6
	s_delay_alu instid0(VALU_DEP_2) | instskip(NEXT) | instid1(VALU_DEP_1)
	v_add_f32_e32 v2, v2, v158
	v_add_f32_e32 v2, v2, v159
	s_delay_alu instid0(VALU_DEP_1) | instskip(SKIP_1) | instid1(VALU_DEP_2)
	v_dual_add_f32 v2, v2, v161 :: v_dual_add_f32 v1, v1, v3
	v_mul_f32_e32 v3, v22, v18
	v_add_f32_e32 v2, v2, v26
	s_delay_alu instid0(VALU_DEP_2) | instskip(NEXT) | instid1(VALU_DEP_2)
	v_fma_f32 v3, v21, v17, -v3
	v_dual_add_f32 v2, v2, v28 :: v_dual_add_f32 v1, v1, v5
	s_delay_alu instid0(VALU_DEP_1) | instskip(NEXT) | instid1(VALU_DEP_2)
	v_dual_mul_f32 v5, v24, v20 :: v_dual_sub_f32 v2, v31, v2
	v_add_f32_e32 v1, v1, v4
	s_delay_alu instid0(VALU_DEP_2) | instskip(NEXT) | instid1(VALU_DEP_2)
	v_fma_f32 v4, v23, v19, -v5
	v_add_f32_e32 v1, v1, v3
	s_delay_alu instid0(VALU_DEP_1) | instskip(NEXT) | instid1(VALU_DEP_1)
	v_add_f32_e32 v1, v1, v4
	v_sub_f32_e32 v1, v30, v1
	scratch_store_b64 off, v[1:2], off offset:208
	v_cmpx_lt_u32_e32 25, v0
	s_cbranch_execz .LBB60_329
; %bb.328:
	scratch_load_b64 v[1:2], off, off offset:200
	v_mov_b32_e32 v3, 0
	s_delay_alu instid0(VALU_DEP_1)
	v_mov_b32_e32 v4, v3
	scratch_store_b64 off, v[3:4], off offset:200
	s_wait_loadcnt 0x0
	ds_store_b64 v157, v[1:2]
.LBB60_329:
	s_wait_alu 0xfffe
	s_or_b32 exec_lo, exec_lo, s0
	s_wait_storecnt_dscnt 0x0
	s_barrier_signal -1
	s_barrier_wait -1
	global_inv scope:SCOPE_SE
	s_clause 0x4
	scratch_load_b128 v[5:8], off, off offset:208
	scratch_load_b128 v[1:4], off, off offset:224
	;; [unrolled: 1-line block ×5, first 2 shown]
	v_mov_b32_e32 v21, 0
	ds_load_b128 v[22:25], v21 offset:704
	ds_load_b128 v[26:29], v21 offset:720
	;; [unrolled: 1-line block ×3, first 2 shown]
	scratch_load_b64 v[30:31], off, off offset:200
	s_mov_b32 s0, exec_lo
	s_wait_loadcnt_dscnt 0x502
	v_mul_f32_e32 v32, v23, v6
	v_dual_mul_f32 v155, v22, v6 :: v_dual_mul_f32 v156, v24, v8
	v_mul_f32_e32 v6, v25, v8
	s_wait_loadcnt_dscnt 0x300
	v_mul_f32_e32 v162, v160, v12
	v_fma_f32 v22, v22, v5, -v32
	v_dual_fmac_f32 v155, v23, v5 :: v_dual_fmac_f32 v156, v25, v7
	v_mul_f32_e32 v25, v28, v4
	v_fma_f32 v23, v24, v7, -v6
	ds_load_b128 v[5:8], v21 offset:752
	v_mul_f32_e32 v24, v26, v2
	v_mul_f32_e32 v4, v29, v4
	;; [unrolled: 1-line block ×5, first 2 shown]
	v_dual_mul_f32 v2, v27, v2 :: v_dual_fmac_f32 v25, v29, v3
	v_fmac_f32_e32 v24, v27, v1
	v_fma_f32 v27, v28, v3, -v4
	v_fmac_f32_e32 v32, v159, v9
	v_fma_f32 v28, v158, v9, -v10
	;; [unrolled: 2-line block ×3, first 2 shown]
	ds_load_b128 v[9:12], v21 offset:768
	s_wait_loadcnt_dscnt 0x201
	v_dual_mul_f32 v159, v7, v16 :: v_dual_mul_f32 v158, v5, v14
	v_mul_f32_e32 v14, v6, v14
	v_mul_f32_e32 v16, v8, v16
	s_delay_alu instid0(VALU_DEP_3)
	v_fmac_f32_e32 v159, v8, v15
	v_fma_f32 v26, v26, v1, -v2
	scratch_load_b128 v[1:4], off, off offset:288
	v_fmac_f32_e32 v158, v6, v13
	v_fma_f32 v13, v5, v13, -v14
	v_fma_f32 v14, v7, v15, -v16
	ds_load_b128 v[5:8], v21 offset:784
	s_wait_loadcnt_dscnt 0x201
	v_mul_f32_e32 v15, v9, v18
	v_mul_f32_e32 v16, v10, v18
	;; [unrolled: 1-line block ×3, first 2 shown]
	s_delay_alu instid0(VALU_DEP_3) | instskip(NEXT) | instid1(VALU_DEP_3)
	v_dual_mul_f32 v20, v12, v20 :: v_dual_fmac_f32 v15, v10, v17
	v_fma_f32 v16, v9, v17, -v16
	s_delay_alu instid0(VALU_DEP_3) | instskip(NEXT) | instid1(VALU_DEP_3)
	v_fmac_f32_e32 v18, v12, v19
	v_fma_f32 v17, v11, v19, -v20
	scratch_load_b128 v[9:12], off, off offset:304
	s_wait_loadcnt_dscnt 0x100
	v_mul_f32_e32 v19, v5, v2
	v_mul_f32_e32 v2, v6, v2
	;; [unrolled: 1-line block ×3, first 2 shown]
	s_delay_alu instid0(VALU_DEP_3) | instskip(NEXT) | instid1(VALU_DEP_3)
	v_dual_mul_f32 v4, v8, v4 :: v_dual_fmac_f32 v19, v6, v1
	v_fma_f32 v160, v5, v1, -v2
	s_delay_alu instid0(VALU_DEP_3) | instskip(NEXT) | instid1(VALU_DEP_3)
	v_fmac_f32_e32 v20, v8, v3
	v_fma_f32 v161, v7, v3, -v4
	ds_load_b128 v[1:4], v21 offset:800
	ds_load_b128 v[5:8], v21 offset:816
	s_wait_loadcnt_dscnt 0x1
	v_mul_f32_e32 v163, v1, v10
	v_mul_f32_e32 v10, v2, v10
	s_delay_alu instid0(VALU_DEP_2) | instskip(NEXT) | instid1(VALU_DEP_2)
	v_dual_mul_f32 v164, v3, v12 :: v_dual_fmac_f32 v163, v2, v9
	v_fma_f32 v165, v1, v9, -v10
	v_mul_f32_e32 v1, v4, v12
	s_delay_alu instid0(VALU_DEP_3) | instskip(NEXT) | instid1(VALU_DEP_2)
	v_fmac_f32_e32 v164, v4, v11
	v_fma_f32 v166, v3, v11, -v1
	s_clause 0x1
	scratch_load_b128 v[1:4], off, off offset:320
	scratch_load_b128 v[9:12], off, off offset:336
	s_wait_loadcnt_dscnt 0x100
	v_mul_f32_e32 v167, v5, v2
	v_dual_mul_f32 v2, v6, v2 :: v_dual_mul_f32 v169, v7, v4
	s_delay_alu instid0(VALU_DEP_2) | instskip(NEXT) | instid1(VALU_DEP_2)
	v_fmac_f32_e32 v167, v6, v1
	v_fma_f32 v168, v5, v1, -v2
	v_mul_f32_e32 v1, v8, v4
	s_delay_alu instid0(VALU_DEP_4) | instskip(NEXT) | instid1(VALU_DEP_2)
	v_fmac_f32_e32 v169, v8, v3
	v_fma_f32 v170, v7, v3, -v1
	ds_load_b128 v[1:4], v21 offset:832
	ds_load_b128 v[5:8], v21 offset:848
	s_wait_loadcnt_dscnt 0x1
	v_mul_f32_e32 v171, v1, v10
	v_mul_f32_e32 v173, v3, v12
	s_delay_alu instid0(VALU_DEP_2) | instskip(NEXT) | instid1(VALU_DEP_2)
	v_fmac_f32_e32 v171, v2, v9
	v_dual_mul_f32 v2, v2, v10 :: v_dual_fmac_f32 v173, v4, v11
	s_delay_alu instid0(VALU_DEP_1) | instskip(SKIP_1) | instid1(VALU_DEP_1)
	v_fma_f32 v172, v1, v9, -v2
	v_mul_f32_e32 v1, v4, v12
	v_fma_f32 v174, v3, v11, -v1
	s_clause 0x1
	scratch_load_b128 v[1:4], off, off offset:352
	scratch_load_b128 v[9:12], off, off offset:368
	s_wait_loadcnt_dscnt 0x100
	v_mul_f32_e32 v175, v5, v2
	v_dual_mul_f32 v2, v6, v2 :: v_dual_mul_f32 v177, v7, v4
	s_delay_alu instid0(VALU_DEP_2) | instskip(NEXT) | instid1(VALU_DEP_2)
	v_fmac_f32_e32 v175, v6, v1
	v_fma_f32 v176, v5, v1, -v2
	v_mul_f32_e32 v1, v8, v4
	s_delay_alu instid0(VALU_DEP_4) | instskip(NEXT) | instid1(VALU_DEP_2)
	v_fmac_f32_e32 v177, v8, v3
	v_fma_f32 v178, v7, v3, -v1
	ds_load_b128 v[1:4], v21 offset:864
	ds_load_b128 v[5:8], v21 offset:880
	s_wait_loadcnt_dscnt 0x1
	v_mul_f32_e32 v179, v1, v10
	v_mul_f32_e32 v181, v3, v12
	s_delay_alu instid0(VALU_DEP_2) | instskip(NEXT) | instid1(VALU_DEP_2)
	v_fmac_f32_e32 v179, v2, v9
	v_dual_mul_f32 v2, v2, v10 :: v_dual_fmac_f32 v181, v4, v11
	s_delay_alu instid0(VALU_DEP_1) | instskip(SKIP_1) | instid1(VALU_DEP_1)
	v_fma_f32 v180, v1, v9, -v2
	v_mul_f32_e32 v1, v4, v12
	v_fma_f32 v182, v3, v11, -v1
	s_clause 0x1
	scratch_load_b128 v[1:4], off, off offset:384
	scratch_load_b128 v[9:12], off, off offset:400
	s_wait_loadcnt_dscnt 0x100
	v_mul_f32_e32 v183, v5, v2
	v_dual_mul_f32 v2, v6, v2 :: v_dual_mul_f32 v185, v7, v4
	s_delay_alu instid0(VALU_DEP_1) | instskip(SKIP_1) | instid1(VALU_DEP_1)
	v_fma_f32 v184, v5, v1, -v2
	v_add_f32_e32 v2, 0, v155
	v_dual_add_f32 v2, v2, v156 :: v_dual_fmac_f32 v185, v8, v3
	v_fmac_f32_e32 v183, v6, v1
	s_delay_alu instid0(VALU_DEP_2) | instskip(NEXT) | instid1(VALU_DEP_1)
	v_add_f32_e32 v2, v2, v24
	v_dual_mul_f32 v1, v8, v4 :: v_dual_add_f32 v2, v2, v25
	s_delay_alu instid0(VALU_DEP_1) | instskip(NEXT) | instid1(VALU_DEP_2)
	v_fma_f32 v186, v7, v3, -v1
	v_dual_add_f32 v1, 0, v22 :: v_dual_add_f32 v2, v2, v32
	s_delay_alu instid0(VALU_DEP_1) | instskip(NEXT) | instid1(VALU_DEP_1)
	v_dual_add_f32 v1, v1, v23 :: v_dual_add_f32 v2, v2, v162
	v_add_f32_e32 v2, v2, v158
	s_delay_alu instid0(VALU_DEP_1) | instskip(NEXT) | instid1(VALU_DEP_1)
	v_dual_add_f32 v1, v1, v26 :: v_dual_add_f32 v2, v2, v159
	v_add_f32_e32 v1, v1, v27
	scratch_load_b64 v[26:27], off, off offset:480
	v_dual_add_f32 v2, v2, v15 :: v_dual_add_f32 v1, v1, v28
	s_delay_alu instid0(VALU_DEP_1) | instskip(NEXT) | instid1(VALU_DEP_2)
	v_add_f32_e32 v5, v2, v18
	v_add_f32_e32 v1, v1, v29
	s_delay_alu instid0(VALU_DEP_1) | instskip(NEXT) | instid1(VALU_DEP_3)
	v_add_f32_e32 v1, v1, v13
	v_add_f32_e32 v13, v5, v19
	s_delay_alu instid0(VALU_DEP_1) | instskip(NEXT) | instid1(VALU_DEP_1)
	v_add_f32_e32 v13, v13, v20
	v_add_f32_e32 v13, v13, v163
	s_delay_alu instid0(VALU_DEP_1) | instskip(NEXT) | instid1(VALU_DEP_1)
	v_add_f32_e32 v18, v13, v164
	v_dual_add_f32 v18, v18, v167 :: v_dual_add_f32 v1, v1, v14
	s_delay_alu instid0(VALU_DEP_1) | instskip(NEXT) | instid1(VALU_DEP_1)
	v_dual_add_f32 v18, v18, v169 :: v_dual_add_f32 v1, v1, v16
	v_dual_add_f32 v22, v18, v171 :: v_dual_add_f32 v1, v1, v17
	s_delay_alu instid0(VALU_DEP_1) | instskip(NEXT) | instid1(VALU_DEP_2)
	v_add_f32_e32 v22, v22, v173
	v_add_f32_e32 v6, v1, v160
	scratch_load_b128 v[1:4], off, off offset:416
	v_add_f32_e32 v22, v22, v175
	v_add_f32_e32 v14, v6, v161
	ds_load_b128 v[5:8], v21 offset:896
	v_add_f32_e32 v22, v22, v177
	v_add_f32_e32 v14, v14, v165
	s_delay_alu instid0(VALU_DEP_1)
	v_add_f32_e32 v17, v14, v166
	ds_load_b128 v[13:16], v21 offset:912
	s_wait_loadcnt_dscnt 0x201
	v_dual_mul_f32 v32, v5, v10 :: v_dual_mul_f32 v155, v7, v12
	v_mul_f32_e32 v10, v6, v10
	v_mul_f32_e32 v12, v8, v12
	s_delay_alu instid0(VALU_DEP_3) | instskip(NEXT) | instid1(VALU_DEP_3)
	v_dual_fmac_f32 v32, v6, v9 :: v_dual_fmac_f32 v155, v8, v11
	v_fma_f32 v156, v5, v9, -v10
	s_delay_alu instid0(VALU_DEP_3)
	v_fma_f32 v158, v7, v11, -v12
	s_clause 0x1
	scratch_load_b128 v[5:8], off, off offset:432
	scratch_load_b128 v[9:12], off, off offset:448
	s_wait_loadcnt_dscnt 0x200
	v_mul_f32_e32 v160, v15, v4
	v_add_f32_e32 v17, v17, v168
	v_mul_f32_e32 v159, v13, v2
	v_mul_f32_e32 v2, v14, v2
	;; [unrolled: 1-line block ×3, first 2 shown]
	s_delay_alu instid0(VALU_DEP_4) | instskip(NEXT) | instid1(VALU_DEP_3)
	v_dual_fmac_f32 v160, v16, v3 :: v_dual_add_f32 v17, v17, v170
	v_fma_f32 v161, v13, v1, -v2
	v_add_f32_e32 v13, v22, v179
	s_delay_alu instid0(VALU_DEP_4) | instskip(NEXT) | instid1(VALU_DEP_4)
	v_fma_f32 v162, v15, v3, -v4
	v_add_f32_e32 v17, v17, v172
	s_delay_alu instid0(VALU_DEP_3) | instskip(NEXT) | instid1(VALU_DEP_2)
	v_add_f32_e32 v22, v13, v181
	v_add_f32_e32 v23, v17, v174
	scratch_load_b128 v[17:20], off, off offset:464
	v_add_f32_e32 v29, v22, v183
	s_delay_alu instid0(VALU_DEP_1) | instskip(NEXT) | instid1(VALU_DEP_1)
	v_dual_add_f32 v23, v23, v176 :: v_dual_add_f32 v164, v29, v185
	v_dual_add_f32 v23, v23, v178 :: v_dual_add_f32 v32, v164, v32
	s_delay_alu instid0(VALU_DEP_1)
	v_add_f32_e32 v23, v23, v180
	v_fmac_f32_e32 v159, v14, v1
	ds_load_b128 v[1:4], v21 offset:928
	v_add_f32_e32 v32, v32, v155
	v_add_f32_e32 v14, v23, v182
	ds_load_b128 v[22:25], v21 offset:960
	v_add_f32_e32 v28, v14, v184
	ds_load_b128 v[13:16], v21 offset:944
	v_add_f32_e32 v163, v28, v186
	ds_load_b64 v[28:29], v21 offset:976
	s_wait_loadcnt_dscnt 0x203
	v_dual_add_f32 v156, v163, v156 :: v_dual_mul_f32 v163, v1, v6
	v_mul_f32_e32 v155, v3, v8
	v_mul_f32_e32 v8, v4, v8
	s_delay_alu instid0(VALU_DEP_3) | instskip(SKIP_3) | instid1(VALU_DEP_4)
	v_add_f32_e32 v156, v156, v158
	v_mul_f32_e32 v6, v2, v6
	v_fmac_f32_e32 v163, v2, v5
	v_fmac_f32_e32 v155, v4, v7
	v_add_f32_e32 v156, v156, v161
	s_wait_loadcnt_dscnt 0x101
	v_mul_f32_e32 v158, v13, v10
	s_delay_alu instid0(VALU_DEP_1)
	v_fmac_f32_e32 v158, v14, v9
	s_wait_loadcnt 0x0
	v_mul_f32_e32 v161, v22, v18
	v_fma_f32 v2, v3, v7, -v8
	v_dual_mul_f32 v3, v14, v10 :: v_dual_add_f32 v32, v32, v159
	v_mul_f32_e32 v159, v15, v12
	v_fma_f32 v1, v1, v5, -v6
	v_fmac_f32_e32 v161, v23, v17
	s_delay_alu instid0(VALU_DEP_4) | instskip(SKIP_4) | instid1(VALU_DEP_3)
	v_fma_f32 v3, v13, v9, -v3
	v_add_f32_e32 v156, v156, v162
	v_mul_f32_e32 v162, v24, v20
	v_fmac_f32_e32 v159, v16, v11
	v_mul_f32_e32 v5, v16, v12
	v_dual_add_f32 v1, v156, v1 :: v_dual_fmac_f32 v162, v25, v19
	s_delay_alu instid0(VALU_DEP_2) | instskip(NEXT) | instid1(VALU_DEP_2)
	v_fma_f32 v5, v15, v11, -v5
	v_add_f32_e32 v1, v1, v2
	s_delay_alu instid0(VALU_DEP_1) | instskip(SKIP_2) | instid1(VALU_DEP_2)
	v_dual_add_f32 v1, v1, v3 :: v_dual_add_f32 v32, v32, v160
	s_wait_dscnt 0x0
	v_dual_mul_f32 v160, v28, v27 :: v_dual_mul_f32 v3, v25, v20
	v_dual_add_f32 v1, v1, v5 :: v_dual_add_f32 v4, v32, v163
	s_delay_alu instid0(VALU_DEP_2) | instskip(NEXT) | instid1(VALU_DEP_3)
	v_fmac_f32_e32 v160, v29, v26
	v_fma_f32 v3, v24, v19, -v3
	s_delay_alu instid0(VALU_DEP_3) | instskip(SKIP_1) | instid1(VALU_DEP_1)
	v_add_f32_e32 v2, v4, v155
	v_mul_f32_e32 v4, v23, v18
	v_fma_f32 v4, v22, v17, -v4
	s_delay_alu instid0(VALU_DEP_1) | instskip(NEXT) | instid1(VALU_DEP_1)
	v_dual_add_f32 v1, v1, v4 :: v_dual_add_f32 v2, v2, v158
	v_add_f32_e32 v2, v2, v159
	s_delay_alu instid0(VALU_DEP_1) | instskip(NEXT) | instid1(VALU_DEP_1)
	v_dual_add_f32 v2, v2, v161 :: v_dual_mul_f32 v5, v29, v27
	v_add_f32_e32 v2, v2, v162
	s_delay_alu instid0(VALU_DEP_2) | instskip(NEXT) | instid1(VALU_DEP_2)
	v_fma_f32 v4, v28, v26, -v5
	v_dual_add_f32 v1, v1, v3 :: v_dual_add_f32 v2, v2, v160
	s_delay_alu instid0(VALU_DEP_1) | instskip(NEXT) | instid1(VALU_DEP_1)
	v_dual_add_f32 v1, v1, v4 :: v_dual_sub_f32 v2, v31, v2
	v_sub_f32_e32 v1, v30, v1
	scratch_store_b64 off, v[1:2], off offset:200
	v_cmpx_lt_u32_e32 24, v0
	s_cbranch_execz .LBB60_331
; %bb.330:
	scratch_load_b64 v[1:2], off, off offset:192
	v_mov_b32_e32 v22, v21
	scratch_store_b64 off, v[21:22], off offset:192
	s_wait_loadcnt 0x0
	ds_store_b64 v157, v[1:2]
.LBB60_331:
	s_wait_alu 0xfffe
	s_or_b32 exec_lo, exec_lo, s0
	s_wait_storecnt_dscnt 0x0
	s_barrier_signal -1
	s_barrier_wait -1
	global_inv scope:SCOPE_SE
	s_clause 0x4
	scratch_load_b128 v[5:8], off, off offset:200
	scratch_load_b128 v[1:4], off, off offset:216
	;; [unrolled: 1-line block ×5, first 2 shown]
	ds_load_2addr_b64 v[22:25], v21 offset0:87 offset1:88
	ds_load_2addr_b64 v[26:29], v21 offset0:89 offset1:90
	;; [unrolled: 1-line block ×3, first 2 shown]
	scratch_load_b64 v[30:31], off, off offset:192
	s_mov_b32 s0, exec_lo
	s_wait_loadcnt_dscnt 0x502
	v_mul_f32_e32 v32, v23, v6
	v_dual_mul_f32 v155, v22, v6 :: v_dual_mul_f32 v156, v24, v8
	v_mul_f32_e32 v6, v25, v8
	s_wait_loadcnt_dscnt 0x300
	v_mul_f32_e32 v162, v160, v12
	s_delay_alu instid0(VALU_DEP_3)
	v_dual_mul_f32 v12, v161, v12 :: v_dual_fmac_f32 v155, v23, v5
	v_fmac_f32_e32 v156, v25, v7
	v_fma_f32 v23, v24, v7, -v6
	v_mul_f32_e32 v25, v28, v4
	v_fma_f32 v22, v22, v5, -v32
	ds_load_2addr_b64 v[5:8], v21 offset0:93 offset1:94
	v_mul_f32_e32 v24, v26, v2
	v_mul_f32_e32 v4, v29, v4
	;; [unrolled: 1-line block ×4, first 2 shown]
	v_dual_mul_f32 v2, v27, v2 :: v_dual_fmac_f32 v25, v29, v3
	v_fmac_f32_e32 v24, v27, v1
	v_fma_f32 v27, v28, v3, -v4
	v_fmac_f32_e32 v32, v159, v9
	v_fma_f32 v28, v158, v9, -v10
	;; [unrolled: 2-line block ×3, first 2 shown]
	ds_load_2addr_b64 v[9:12], v21 offset0:95 offset1:96
	s_wait_loadcnt_dscnt 0x201
	v_dual_mul_f32 v159, v7, v16 :: v_dual_mul_f32 v158, v5, v14
	v_mul_f32_e32 v14, v6, v14
	v_mul_f32_e32 v16, v8, v16
	s_delay_alu instid0(VALU_DEP_3)
	v_fmac_f32_e32 v159, v8, v15
	v_fma_f32 v26, v26, v1, -v2
	scratch_load_b128 v[1:4], off, off offset:280
	v_fmac_f32_e32 v158, v6, v13
	v_fma_f32 v13, v5, v13, -v14
	v_fma_f32 v14, v7, v15, -v16
	ds_load_2addr_b64 v[5:8], v21 offset0:97 offset1:98
	s_wait_loadcnt_dscnt 0x201
	v_mul_f32_e32 v15, v9, v18
	v_mul_f32_e32 v16, v10, v18
	;; [unrolled: 1-line block ×3, first 2 shown]
	s_delay_alu instid0(VALU_DEP_3) | instskip(NEXT) | instid1(VALU_DEP_3)
	v_dual_mul_f32 v20, v12, v20 :: v_dual_fmac_f32 v15, v10, v17
	v_fma_f32 v16, v9, v17, -v16
	s_delay_alu instid0(VALU_DEP_3) | instskip(NEXT) | instid1(VALU_DEP_3)
	v_fmac_f32_e32 v18, v12, v19
	v_fma_f32 v17, v11, v19, -v20
	scratch_load_b128 v[9:12], off, off offset:296
	s_wait_loadcnt_dscnt 0x100
	v_mul_f32_e32 v19, v5, v2
	v_mul_f32_e32 v2, v6, v2
	;; [unrolled: 1-line block ×3, first 2 shown]
	s_delay_alu instid0(VALU_DEP_3) | instskip(NEXT) | instid1(VALU_DEP_3)
	v_dual_mul_f32 v4, v8, v4 :: v_dual_fmac_f32 v19, v6, v1
	v_fma_f32 v160, v5, v1, -v2
	s_delay_alu instid0(VALU_DEP_3) | instskip(NEXT) | instid1(VALU_DEP_3)
	v_fmac_f32_e32 v20, v8, v3
	v_fma_f32 v161, v7, v3, -v4
	ds_load_2addr_b64 v[1:4], v21 offset0:99 offset1:100
	ds_load_2addr_b64 v[5:8], v21 offset0:101 offset1:102
	s_wait_loadcnt_dscnt 0x1
	v_mul_f32_e32 v163, v1, v10
	v_mul_f32_e32 v10, v2, v10
	s_delay_alu instid0(VALU_DEP_2) | instskip(NEXT) | instid1(VALU_DEP_2)
	v_dual_mul_f32 v164, v3, v12 :: v_dual_fmac_f32 v163, v2, v9
	v_fma_f32 v165, v1, v9, -v10
	v_mul_f32_e32 v1, v4, v12
	s_delay_alu instid0(VALU_DEP_3) | instskip(NEXT) | instid1(VALU_DEP_2)
	v_fmac_f32_e32 v164, v4, v11
	v_fma_f32 v166, v3, v11, -v1
	s_clause 0x1
	scratch_load_b128 v[1:4], off, off offset:312
	scratch_load_b128 v[9:12], off, off offset:328
	s_wait_loadcnt_dscnt 0x100
	v_mul_f32_e32 v167, v5, v2
	v_dual_mul_f32 v2, v6, v2 :: v_dual_mul_f32 v169, v7, v4
	s_delay_alu instid0(VALU_DEP_2) | instskip(NEXT) | instid1(VALU_DEP_2)
	v_fmac_f32_e32 v167, v6, v1
	v_fma_f32 v168, v5, v1, -v2
	v_mul_f32_e32 v1, v8, v4
	s_delay_alu instid0(VALU_DEP_4) | instskip(NEXT) | instid1(VALU_DEP_2)
	v_fmac_f32_e32 v169, v8, v3
	v_fma_f32 v170, v7, v3, -v1
	ds_load_2addr_b64 v[1:4], v21 offset0:103 offset1:104
	ds_load_2addr_b64 v[5:8], v21 offset0:105 offset1:106
	s_wait_loadcnt_dscnt 0x1
	v_mul_f32_e32 v171, v1, v10
	v_mul_f32_e32 v173, v3, v12
	s_delay_alu instid0(VALU_DEP_2) | instskip(NEXT) | instid1(VALU_DEP_2)
	v_fmac_f32_e32 v171, v2, v9
	v_dual_mul_f32 v2, v2, v10 :: v_dual_fmac_f32 v173, v4, v11
	s_delay_alu instid0(VALU_DEP_1) | instskip(SKIP_1) | instid1(VALU_DEP_1)
	v_fma_f32 v172, v1, v9, -v2
	v_mul_f32_e32 v1, v4, v12
	v_fma_f32 v174, v3, v11, -v1
	s_clause 0x1
	scratch_load_b128 v[1:4], off, off offset:344
	scratch_load_b128 v[9:12], off, off offset:360
	s_wait_loadcnt_dscnt 0x100
	v_mul_f32_e32 v175, v5, v2
	v_dual_mul_f32 v2, v6, v2 :: v_dual_mul_f32 v177, v7, v4
	s_delay_alu instid0(VALU_DEP_2) | instskip(NEXT) | instid1(VALU_DEP_2)
	v_fmac_f32_e32 v175, v6, v1
	v_fma_f32 v176, v5, v1, -v2
	v_mul_f32_e32 v1, v8, v4
	s_delay_alu instid0(VALU_DEP_4) | instskip(NEXT) | instid1(VALU_DEP_2)
	v_fmac_f32_e32 v177, v8, v3
	v_fma_f32 v178, v7, v3, -v1
	ds_load_2addr_b64 v[1:4], v21 offset0:107 offset1:108
	ds_load_2addr_b64 v[5:8], v21 offset0:109 offset1:110
	s_wait_loadcnt_dscnt 0x1
	v_mul_f32_e32 v179, v1, v10
	v_mul_f32_e32 v181, v3, v12
	s_delay_alu instid0(VALU_DEP_2) | instskip(NEXT) | instid1(VALU_DEP_2)
	v_fmac_f32_e32 v179, v2, v9
	v_dual_mul_f32 v2, v2, v10 :: v_dual_fmac_f32 v181, v4, v11
	s_delay_alu instid0(VALU_DEP_1) | instskip(SKIP_1) | instid1(VALU_DEP_1)
	v_fma_f32 v180, v1, v9, -v2
	v_mul_f32_e32 v1, v4, v12
	;; [unrolled: 25-line block ×3, first 2 shown]
	v_fma_f32 v190, v3, v11, -v1
	s_clause 0x1
	scratch_load_b128 v[1:4], off, off offset:408
	scratch_load_b128 v[9:12], off, off offset:424
	s_wait_loadcnt_dscnt 0x100
	v_mul_f32_e32 v191, v5, v2
	v_mul_f32_e32 v2, v6, v2
	s_delay_alu instid0(VALU_DEP_1) | instskip(SKIP_1) | instid1(VALU_DEP_1)
	v_fma_f32 v192, v5, v1, -v2
	v_add_f32_e32 v2, 0, v155
	v_add_f32_e32 v2, v2, v156
	s_delay_alu instid0(VALU_DEP_1) | instskip(NEXT) | instid1(VALU_DEP_1)
	v_add_f32_e32 v2, v2, v24
	v_add_f32_e32 v2, v2, v25
	s_delay_alu instid0(VALU_DEP_1) | instskip(SKIP_1) | instid1(VALU_DEP_2)
	v_add_f32_e32 v2, v2, v32
	v_fmac_f32_e32 v191, v6, v1
	v_dual_add_f32 v2, v2, v162 :: v_dual_mul_f32 v193, v7, v4
	s_delay_alu instid0(VALU_DEP_1) | instskip(NEXT) | instid1(VALU_DEP_1)
	v_dual_add_f32 v2, v2, v158 :: v_dual_mul_f32 v1, v8, v4
	v_add_f32_e32 v2, v2, v159
	s_delay_alu instid0(VALU_DEP_2) | instskip(NEXT) | instid1(VALU_DEP_2)
	v_fma_f32 v194, v7, v3, -v1
	v_dual_add_f32 v1, 0, v22 :: v_dual_add_f32 v2, v2, v15
	s_delay_alu instid0(VALU_DEP_1) | instskip(NEXT) | instid1(VALU_DEP_1)
	v_dual_fmac_f32 v193, v8, v3 :: v_dual_add_f32 v2, v2, v18
	v_add_f32_e32 v2, v2, v19
	s_delay_alu instid0(VALU_DEP_1) | instskip(NEXT) | instid1(VALU_DEP_1)
	v_dual_add_f32 v1, v1, v23 :: v_dual_add_f32 v2, v2, v20
	v_add_f32_e32 v1, v1, v26
	s_delay_alu instid0(VALU_DEP_2) | instskip(NEXT) | instid1(VALU_DEP_2)
	v_add_f32_e32 v5, v2, v163
	v_add_f32_e32 v1, v1, v27
	s_delay_alu instid0(VALU_DEP_2) | instskip(NEXT) | instid1(VALU_DEP_2)
	v_add_f32_e32 v5, v5, v164
	;; [unrolled: 3-line block ×3, first 2 shown]
	v_add_f32_e32 v1, v1, v29
	s_delay_alu instid0(VALU_DEP_1) | instskip(NEXT) | instid1(VALU_DEP_1)
	v_add_f32_e32 v1, v1, v13
	v_add_f32_e32 v1, v1, v14
	s_delay_alu instid0(VALU_DEP_4) | instskip(NEXT) | instid1(VALU_DEP_1)
	v_add_f32_e32 v14, v5, v169
	v_add_f32_e32 v14, v14, v171
	s_delay_alu instid0(VALU_DEP_1) | instskip(NEXT) | instid1(VALU_DEP_1)
	v_dual_add_f32 v14, v14, v173 :: v_dual_add_f32 v1, v1, v16
	v_add_f32_e32 v1, v1, v17
	s_delay_alu instid0(VALU_DEP_2) | instskip(NEXT) | instid1(VALU_DEP_2)
	v_add_f32_e32 v17, v14, v175
	v_add_f32_e32 v1, v1, v160
	s_delay_alu instid0(VALU_DEP_1) | instskip(NEXT) | instid1(VALU_DEP_1)
	v_add_f32_e32 v1, v1, v161
	v_add_f32_e32 v1, v1, v165
	s_delay_alu instid0(VALU_DEP_1) | instskip(SKIP_2) | instid1(VALU_DEP_1)
	v_add_f32_e32 v6, v1, v166
	ds_load_2addr_b64 v[1:4], v21 offset0:115 offset1:116
	v_add_f32_e32 v6, v6, v168
	v_add_f32_e32 v13, v6, v170
	ds_load_2addr_b64 v[5:8], v21 offset0:117 offset1:118
	s_wait_loadcnt_dscnt 0x1
	v_dual_mul_f32 v25, v1, v10 :: v_dual_mul_f32 v26, v3, v12
	v_mul_f32_e32 v10, v2, v10
	s_delay_alu instid0(VALU_DEP_2) | instskip(NEXT) | instid1(VALU_DEP_3)
	v_dual_mul_f32 v12, v4, v12 :: v_dual_fmac_f32 v25, v2, v9
	v_fmac_f32_e32 v26, v4, v11
	s_delay_alu instid0(VALU_DEP_3) | instskip(NEXT) | instid1(VALU_DEP_3)
	v_fma_f32 v27, v1, v9, -v10
	v_fma_f32 v28, v3, v11, -v12
	s_clause 0x1
	scratch_load_b128 v[1:4], off, off offset:440
	scratch_load_b128 v[9:12], off, off offset:456
	v_add_f32_e32 v17, v17, v177
	s_delay_alu instid0(VALU_DEP_1) | instskip(NEXT) | instid1(VALU_DEP_1)
	v_add_f32_e32 v17, v17, v179
	v_add_f32_e32 v17, v17, v181
	s_delay_alu instid0(VALU_DEP_1) | instskip(NEXT) | instid1(VALU_DEP_1)
	v_add_f32_e32 v23, v17, v183
	;; [unrolled: 3-line block ×3, first 2 shown]
	v_add_f32_e32 v32, v32, v189
	s_delay_alu instid0(VALU_DEP_1) | instskip(NEXT) | instid1(VALU_DEP_1)
	v_dual_add_f32 v32, v32, v191 :: v_dual_add_f32 v13, v13, v172
	v_add_f32_e32 v32, v32, v193
	s_wait_loadcnt_dscnt 0x100
	s_delay_alu instid0(VALU_DEP_2) | instskip(SKIP_3) | instid1(VALU_DEP_4)
	v_dual_mul_f32 v156, v7, v4 :: v_dual_add_f32 v13, v13, v174
	v_mul_f32_e32 v155, v5, v2
	v_mul_f32_e32 v2, v6, v2
	;; [unrolled: 1-line block ×3, first 2 shown]
	v_dual_fmac_f32 v156, v8, v3 :: v_dual_add_f32 v13, v13, v176
	s_delay_alu instid0(VALU_DEP_4) | instskip(NEXT) | instid1(VALU_DEP_4)
	v_fmac_f32_e32 v155, v6, v1
	v_fma_f32 v2, v5, v1, -v2
	s_delay_alu instid0(VALU_DEP_4) | instskip(NEXT) | instid1(VALU_DEP_4)
	v_fma_f32 v3, v7, v3, -v4
	v_add_f32_e32 v18, v13, v178
	scratch_load_b128 v[13:16], off, off offset:472
	v_add_f32_e32 v18, v18, v180
	s_delay_alu instid0(VALU_DEP_1) | instskip(NEXT) | instid1(VALU_DEP_1)
	v_add_f32_e32 v18, v18, v182
	v_add_f32_e32 v22, v18, v184
	ds_load_2addr_b64 v[17:20], v21 offset0:119 offset1:120
	v_add_f32_e32 v29, v22, v186
	ds_load_2addr_b64 v[21:24], v21 offset0:121 offset1:122
	s_wait_loadcnt_dscnt 0x101
	v_dual_mul_f32 v158, v17, v10 :: v_dual_add_f32 v25, v32, v25
	v_mul_f32_e32 v6, v18, v10
	v_mul_f32_e32 v4, v20, v12
	s_delay_alu instid0(VALU_DEP_3) | instskip(NEXT) | instid1(VALU_DEP_4)
	v_dual_fmac_f32 v158, v18, v9 :: v_dual_add_f32 v29, v29, v188
	v_add_f32_e32 v5, v25, v26
	v_mul_f32_e32 v159, v19, v12
	s_delay_alu instid0(VALU_DEP_4) | instskip(SKIP_2) | instid1(VALU_DEP_1)
	v_fma_f32 v4, v19, v11, -v4
	s_wait_loadcnt_dscnt 0x0
	v_mul_f32_e32 v160, v21, v14
	v_dual_add_f32 v29, v29, v190 :: v_dual_fmac_f32 v160, v22, v13
	s_delay_alu instid0(VALU_DEP_1) | instskip(NEXT) | instid1(VALU_DEP_1)
	v_add_f32_e32 v29, v29, v192
	v_add_f32_e32 v29, v29, v194
	s_delay_alu instid0(VALU_DEP_1) | instskip(SKIP_1) | instid1(VALU_DEP_2)
	v_add_f32_e32 v27, v29, v27
	v_mul_f32_e32 v29, v23, v16
	v_add_f32_e32 v1, v27, v28
	s_delay_alu instid0(VALU_DEP_2) | instskip(NEXT) | instid1(VALU_DEP_2)
	v_fmac_f32_e32 v29, v24, v15
	v_add_f32_e32 v1, v1, v2
	v_add_f32_e32 v2, v5, v155
	v_fma_f32 v5, v17, v9, -v6
	v_fmac_f32_e32 v159, v20, v11
	s_delay_alu instid0(VALU_DEP_3) | instskip(SKIP_1) | instid1(VALU_DEP_2)
	v_dual_add_f32 v1, v1, v3 :: v_dual_add_f32 v2, v2, v156
	v_mul_f32_e32 v3, v22, v14
	v_dual_add_f32 v1, v1, v5 :: v_dual_add_f32 v2, v2, v158
	v_mul_f32_e32 v5, v24, v16
	s_delay_alu instid0(VALU_DEP_3) | instskip(NEXT) | instid1(VALU_DEP_3)
	v_fma_f32 v3, v21, v13, -v3
	v_dual_add_f32 v1, v1, v4 :: v_dual_add_f32 v2, v2, v159
	s_delay_alu instid0(VALU_DEP_3) | instskip(NEXT) | instid1(VALU_DEP_2)
	v_fma_f32 v4, v23, v15, -v5
	v_dual_add_f32 v1, v1, v3 :: v_dual_add_f32 v2, v2, v160
	s_delay_alu instid0(VALU_DEP_1) | instskip(NEXT) | instid1(VALU_DEP_1)
	v_dual_add_f32 v1, v1, v4 :: v_dual_add_f32 v2, v2, v29
	v_dual_sub_f32 v1, v30, v1 :: v_dual_sub_f32 v2, v31, v2
	scratch_store_b64 off, v[1:2], off offset:192
	v_cmpx_lt_u32_e32 23, v0
	s_cbranch_execz .LBB60_333
; %bb.332:
	scratch_load_b64 v[1:2], off, off offset:184
	v_mov_b32_e32 v3, 0
	s_delay_alu instid0(VALU_DEP_1)
	v_mov_b32_e32 v4, v3
	scratch_store_b64 off, v[3:4], off offset:184
	s_wait_loadcnt 0x0
	ds_store_b64 v157, v[1:2]
.LBB60_333:
	s_wait_alu 0xfffe
	s_or_b32 exec_lo, exec_lo, s0
	s_wait_storecnt_dscnt 0x0
	s_barrier_signal -1
	s_barrier_wait -1
	global_inv scope:SCOPE_SE
	s_clause 0x4
	scratch_load_b128 v[5:8], off, off offset:192
	scratch_load_b128 v[1:4], off, off offset:208
	;; [unrolled: 1-line block ×5, first 2 shown]
	v_mov_b32_e32 v21, 0
	ds_load_b128 v[22:25], v21 offset:688
	ds_load_b128 v[26:29], v21 offset:704
	;; [unrolled: 1-line block ×3, first 2 shown]
	scratch_load_b64 v[30:31], off, off offset:184
	s_mov_b32 s0, exec_lo
	s_wait_loadcnt_dscnt 0x502
	v_mul_f32_e32 v32, v23, v6
	v_dual_mul_f32 v155, v22, v6 :: v_dual_mul_f32 v156, v24, v8
	v_mul_f32_e32 v6, v25, v8
	s_wait_loadcnt_dscnt 0x300
	v_mul_f32_e32 v162, v160, v12
	v_fma_f32 v22, v22, v5, -v32
	v_dual_fmac_f32 v155, v23, v5 :: v_dual_fmac_f32 v156, v25, v7
	v_mul_f32_e32 v25, v28, v4
	v_fma_f32 v23, v24, v7, -v6
	ds_load_b128 v[5:8], v21 offset:736
	v_mul_f32_e32 v24, v26, v2
	v_mul_f32_e32 v4, v29, v4
	;; [unrolled: 1-line block ×5, first 2 shown]
	v_dual_mul_f32 v2, v27, v2 :: v_dual_fmac_f32 v25, v29, v3
	v_fmac_f32_e32 v24, v27, v1
	v_fma_f32 v27, v28, v3, -v4
	v_fmac_f32_e32 v32, v159, v9
	v_fma_f32 v28, v158, v9, -v10
	;; [unrolled: 2-line block ×3, first 2 shown]
	ds_load_b128 v[9:12], v21 offset:752
	s_wait_loadcnt_dscnt 0x201
	v_dual_mul_f32 v159, v7, v16 :: v_dual_mul_f32 v158, v5, v14
	v_mul_f32_e32 v14, v6, v14
	v_mul_f32_e32 v16, v8, v16
	s_delay_alu instid0(VALU_DEP_3)
	v_fmac_f32_e32 v159, v8, v15
	v_fma_f32 v26, v26, v1, -v2
	scratch_load_b128 v[1:4], off, off offset:272
	v_fmac_f32_e32 v158, v6, v13
	v_fma_f32 v13, v5, v13, -v14
	v_fma_f32 v14, v7, v15, -v16
	ds_load_b128 v[5:8], v21 offset:768
	s_wait_loadcnt_dscnt 0x201
	v_mul_f32_e32 v15, v9, v18
	v_mul_f32_e32 v16, v10, v18
	;; [unrolled: 1-line block ×3, first 2 shown]
	s_delay_alu instid0(VALU_DEP_3) | instskip(NEXT) | instid1(VALU_DEP_3)
	v_dual_mul_f32 v20, v12, v20 :: v_dual_fmac_f32 v15, v10, v17
	v_fma_f32 v16, v9, v17, -v16
	s_delay_alu instid0(VALU_DEP_3) | instskip(NEXT) | instid1(VALU_DEP_3)
	v_fmac_f32_e32 v18, v12, v19
	v_fma_f32 v17, v11, v19, -v20
	scratch_load_b128 v[9:12], off, off offset:288
	s_wait_loadcnt_dscnt 0x100
	v_mul_f32_e32 v19, v5, v2
	v_mul_f32_e32 v2, v6, v2
	;; [unrolled: 1-line block ×3, first 2 shown]
	s_delay_alu instid0(VALU_DEP_3) | instskip(NEXT) | instid1(VALU_DEP_3)
	v_dual_mul_f32 v4, v8, v4 :: v_dual_fmac_f32 v19, v6, v1
	v_fma_f32 v160, v5, v1, -v2
	s_delay_alu instid0(VALU_DEP_3) | instskip(NEXT) | instid1(VALU_DEP_3)
	v_fmac_f32_e32 v20, v8, v3
	v_fma_f32 v161, v7, v3, -v4
	ds_load_b128 v[1:4], v21 offset:784
	ds_load_b128 v[5:8], v21 offset:800
	s_wait_loadcnt_dscnt 0x1
	v_mul_f32_e32 v163, v1, v10
	v_mul_f32_e32 v10, v2, v10
	s_delay_alu instid0(VALU_DEP_2) | instskip(NEXT) | instid1(VALU_DEP_2)
	v_dual_mul_f32 v164, v3, v12 :: v_dual_fmac_f32 v163, v2, v9
	v_fma_f32 v165, v1, v9, -v10
	v_mul_f32_e32 v1, v4, v12
	s_delay_alu instid0(VALU_DEP_3) | instskip(NEXT) | instid1(VALU_DEP_2)
	v_fmac_f32_e32 v164, v4, v11
	v_fma_f32 v166, v3, v11, -v1
	s_clause 0x1
	scratch_load_b128 v[1:4], off, off offset:304
	scratch_load_b128 v[9:12], off, off offset:320
	s_wait_loadcnt_dscnt 0x100
	v_mul_f32_e32 v167, v5, v2
	v_dual_mul_f32 v2, v6, v2 :: v_dual_mul_f32 v169, v7, v4
	s_delay_alu instid0(VALU_DEP_2) | instskip(NEXT) | instid1(VALU_DEP_2)
	v_fmac_f32_e32 v167, v6, v1
	v_fma_f32 v168, v5, v1, -v2
	v_mul_f32_e32 v1, v8, v4
	s_delay_alu instid0(VALU_DEP_4) | instskip(NEXT) | instid1(VALU_DEP_2)
	v_fmac_f32_e32 v169, v8, v3
	v_fma_f32 v170, v7, v3, -v1
	ds_load_b128 v[1:4], v21 offset:816
	ds_load_b128 v[5:8], v21 offset:832
	s_wait_loadcnt_dscnt 0x1
	v_mul_f32_e32 v171, v1, v10
	v_mul_f32_e32 v173, v3, v12
	s_delay_alu instid0(VALU_DEP_2) | instskip(NEXT) | instid1(VALU_DEP_2)
	v_fmac_f32_e32 v171, v2, v9
	v_dual_mul_f32 v2, v2, v10 :: v_dual_fmac_f32 v173, v4, v11
	s_delay_alu instid0(VALU_DEP_1) | instskip(SKIP_1) | instid1(VALU_DEP_1)
	v_fma_f32 v172, v1, v9, -v2
	v_mul_f32_e32 v1, v4, v12
	v_fma_f32 v174, v3, v11, -v1
	s_clause 0x1
	scratch_load_b128 v[1:4], off, off offset:336
	scratch_load_b128 v[9:12], off, off offset:352
	s_wait_loadcnt_dscnt 0x100
	v_mul_f32_e32 v175, v5, v2
	v_dual_mul_f32 v2, v6, v2 :: v_dual_mul_f32 v177, v7, v4
	s_delay_alu instid0(VALU_DEP_2) | instskip(NEXT) | instid1(VALU_DEP_2)
	v_fmac_f32_e32 v175, v6, v1
	v_fma_f32 v176, v5, v1, -v2
	v_mul_f32_e32 v1, v8, v4
	s_delay_alu instid0(VALU_DEP_4) | instskip(NEXT) | instid1(VALU_DEP_2)
	v_fmac_f32_e32 v177, v8, v3
	v_fma_f32 v178, v7, v3, -v1
	ds_load_b128 v[1:4], v21 offset:848
	ds_load_b128 v[5:8], v21 offset:864
	s_wait_loadcnt_dscnt 0x1
	v_mul_f32_e32 v179, v1, v10
	v_mul_f32_e32 v181, v3, v12
	s_delay_alu instid0(VALU_DEP_2) | instskip(NEXT) | instid1(VALU_DEP_2)
	v_fmac_f32_e32 v179, v2, v9
	v_dual_mul_f32 v2, v2, v10 :: v_dual_fmac_f32 v181, v4, v11
	s_delay_alu instid0(VALU_DEP_1) | instskip(SKIP_1) | instid1(VALU_DEP_1)
	v_fma_f32 v180, v1, v9, -v2
	v_mul_f32_e32 v1, v4, v12
	;; [unrolled: 25-line block ×3, first 2 shown]
	v_fma_f32 v190, v3, v11, -v1
	s_clause 0x1
	scratch_load_b128 v[1:4], off, off offset:400
	scratch_load_b128 v[9:12], off, off offset:416
	s_wait_loadcnt_dscnt 0x100
	v_mul_f32_e32 v191, v5, v2
	v_mul_f32_e32 v2, v6, v2
	s_delay_alu instid0(VALU_DEP_1) | instskip(SKIP_1) | instid1(VALU_DEP_1)
	v_fma_f32 v192, v5, v1, -v2
	v_add_f32_e32 v2, 0, v155
	v_add_f32_e32 v2, v2, v156
	s_delay_alu instid0(VALU_DEP_1) | instskip(NEXT) | instid1(VALU_DEP_1)
	v_add_f32_e32 v2, v2, v24
	v_add_f32_e32 v2, v2, v25
	s_delay_alu instid0(VALU_DEP_1) | instskip(NEXT) | instid1(VALU_DEP_1)
	v_add_f32_e32 v2, v2, v32
	v_dual_add_f32 v2, v2, v162 :: v_dual_mul_f32 v193, v7, v4
	s_delay_alu instid0(VALU_DEP_1) | instskip(NEXT) | instid1(VALU_DEP_1)
	v_add_f32_e32 v2, v2, v158
	v_add_f32_e32 v2, v2, v159
	v_fmac_f32_e32 v191, v6, v1
	s_delay_alu instid0(VALU_DEP_2) | instskip(SKIP_1) | instid1(VALU_DEP_2)
	v_dual_mul_f32 v1, v8, v4 :: v_dual_add_f32 v2, v2, v15
	v_fmac_f32_e32 v193, v8, v3
	v_fma_f32 v194, v7, v3, -v1
	s_delay_alu instid0(VALU_DEP_3) | instskip(NEXT) | instid1(VALU_DEP_1)
	v_add_f32_e32 v2, v2, v18
	v_dual_add_f32 v1, 0, v22 :: v_dual_add_f32 v2, v2, v19
	s_delay_alu instid0(VALU_DEP_1) | instskip(NEXT) | instid1(VALU_DEP_1)
	v_dual_add_f32 v1, v1, v23 :: v_dual_add_f32 v2, v2, v20
	v_add_f32_e32 v1, v1, v26
	s_delay_alu instid0(VALU_DEP_2) | instskip(NEXT) | instid1(VALU_DEP_2)
	v_add_f32_e32 v5, v2, v163
	v_add_f32_e32 v1, v1, v27
	scratch_load_b64 v[26:27], off, off offset:480
	v_add_f32_e32 v5, v5, v164
	v_add_f32_e32 v1, v1, v28
	s_delay_alu instid0(VALU_DEP_2) | instskip(NEXT) | instid1(VALU_DEP_2)
	v_add_f32_e32 v5, v5, v167
	v_add_f32_e32 v1, v1, v29
	s_delay_alu instid0(VALU_DEP_1) | instskip(NEXT) | instid1(VALU_DEP_1)
	v_add_f32_e32 v1, v1, v13
	v_add_f32_e32 v1, v1, v14
	s_delay_alu instid0(VALU_DEP_4) | instskip(NEXT) | instid1(VALU_DEP_1)
	v_add_f32_e32 v14, v5, v169
	v_dual_add_f32 v14, v14, v171 :: v_dual_add_f32 v1, v1, v16
	s_delay_alu instid0(VALU_DEP_1) | instskip(NEXT) | instid1(VALU_DEP_2)
	v_add_f32_e32 v14, v14, v173
	v_add_f32_e32 v1, v1, v17
	s_delay_alu instid0(VALU_DEP_2) | instskip(NEXT) | instid1(VALU_DEP_2)
	v_add_f32_e32 v17, v14, v175
	v_add_f32_e32 v1, v1, v160
	s_delay_alu instid0(VALU_DEP_2) | instskip(NEXT) | instid1(VALU_DEP_2)
	;; [unrolled: 3-line block ×4, first 2 shown]
	v_add_f32_e32 v17, v17, v181
	v_add_f32_e32 v6, v1, v166
	ds_load_b128 v[1:4], v21 offset:912
	v_dual_add_f32 v17, v17, v183 :: v_dual_add_f32 v6, v6, v168
	s_delay_alu instid0(VALU_DEP_1)
	v_dual_add_f32 v22, v17, v185 :: v_dual_add_f32 v13, v6, v170
	ds_load_b128 v[5:8], v21 offset:928
	s_wait_loadcnt_dscnt 0x101
	v_mul_f32_e32 v32, v1, v10
	v_dual_mul_f32 v10, v2, v10 :: v_dual_mul_f32 v155, v3, v12
	v_dual_mul_f32 v12, v4, v12 :: v_dual_add_f32 v29, v22, v187
	s_delay_alu instid0(VALU_DEP_3) | instskip(NEXT) | instid1(VALU_DEP_3)
	v_fmac_f32_e32 v32, v2, v9
	v_fma_f32 v156, v1, v9, -v10
	s_delay_alu instid0(VALU_DEP_4) | instskip(NEXT) | instid1(VALU_DEP_4)
	v_fmac_f32_e32 v155, v4, v11
	v_fma_f32 v158, v3, v11, -v12
	s_clause 0x1
	scratch_load_b128 v[1:4], off, off offset:432
	scratch_load_b128 v[9:12], off, off offset:448
	v_add_f32_e32 v160, v29, v189
	v_add_f32_e32 v13, v13, v172
	ds_load_b128 v[22:25], v21 offset:960
	v_dual_add_f32 v160, v160, v191 :: v_dual_add_f32 v13, v13, v174
	s_delay_alu instid0(VALU_DEP_1) | instskip(NEXT) | instid1(VALU_DEP_1)
	v_add_f32_e32 v160, v160, v193
	v_add_f32_e32 v32, v160, v32
	s_delay_alu instid0(VALU_DEP_1) | instskip(SKIP_4) | instid1(VALU_DEP_3)
	v_add_f32_e32 v32, v32, v155
	s_wait_loadcnt_dscnt 0x101
	v_mul_f32_e32 v162, v7, v4
	v_add_f32_e32 v13, v13, v176
	v_mul_f32_e32 v4, v8, v4
	v_fmac_f32_e32 v162, v8, v3
	s_delay_alu instid0(VALU_DEP_3) | instskip(SKIP_2) | instid1(VALU_DEP_1)
	v_add_f32_e32 v18, v13, v178
	scratch_load_b128 v[13:16], off, off offset:464
	v_add_f32_e32 v18, v18, v180
	v_add_f32_e32 v18, v18, v182
	s_delay_alu instid0(VALU_DEP_1) | instskip(NEXT) | instid1(VALU_DEP_1)
	v_add_f32_e32 v18, v18, v184
	v_add_f32_e32 v18, v18, v186
	s_delay_alu instid0(VALU_DEP_1) | instskip(SKIP_4) | instid1(VALU_DEP_2)
	v_add_f32_e32 v28, v18, v188
	ds_load_b128 v[17:20], v21 offset:944
	s_wait_loadcnt_dscnt 0x100
	v_dual_mul_f32 v160, v19, v12 :: v_dual_mul_f32 v161, v5, v2
	v_mul_f32_e32 v2, v6, v2
	v_fmac_f32_e32 v160, v20, v11
	v_add_f32_e32 v159, v28, v190
	s_delay_alu instid0(VALU_DEP_4) | instskip(NEXT) | instid1(VALU_DEP_4)
	v_fmac_f32_e32 v161, v6, v1
	v_fma_f32 v2, v5, v1, -v2
	v_fma_f32 v1, v7, v3, -v4
	ds_load_b64 v[28:29], v21 offset:976
	v_dual_add_f32 v159, v159, v192 :: v_dual_add_f32 v4, v32, v161
	v_mul_f32_e32 v3, v18, v10
	s_delay_alu instid0(VALU_DEP_2) | instskip(NEXT) | instid1(VALU_DEP_2)
	v_add_f32_e32 v159, v159, v194
	v_fma_f32 v3, v17, v9, -v3
	s_delay_alu instid0(VALU_DEP_2) | instskip(NEXT) | instid1(VALU_DEP_1)
	v_add_f32_e32 v156, v159, v156
	v_add_f32_e32 v156, v156, v158
	s_wait_dscnt 0x0
	v_mul_f32_e32 v155, v28, v27
	s_delay_alu instid0(VALU_DEP_2) | instskip(NEXT) | instid1(VALU_DEP_1)
	v_add_f32_e32 v2, v156, v2
	v_dual_add_f32 v1, v2, v1 :: v_dual_add_f32 v2, v4, v162
	s_wait_loadcnt 0x0
	v_dual_mul_f32 v158, v24, v16 :: v_dual_mul_f32 v163, v22, v14
	v_mul_f32_e32 v4, v23, v14
	v_fmac_f32_e32 v155, v29, v26
	s_delay_alu instid0(VALU_DEP_3) | instskip(SKIP_1) | instid1(VALU_DEP_4)
	v_dual_fmac_f32 v158, v25, v15 :: v_dual_fmac_f32 v163, v23, v13
	v_mul_f32_e32 v159, v17, v10
	v_fma_f32 v4, v22, v13, -v4
	s_delay_alu instid0(VALU_DEP_2) | instskip(NEXT) | instid1(VALU_DEP_1)
	v_fmac_f32_e32 v159, v18, v9
	v_dual_mul_f32 v5, v20, v12 :: v_dual_add_f32 v2, v2, v159
	s_delay_alu instid0(VALU_DEP_1) | instskip(NEXT) | instid1(VALU_DEP_2)
	v_fma_f32 v5, v19, v11, -v5
	v_add_f32_e32 v2, v2, v160
	s_delay_alu instid0(VALU_DEP_1) | instskip(NEXT) | instid1(VALU_DEP_1)
	v_add_f32_e32 v2, v2, v163
	v_dual_add_f32 v1, v1, v3 :: v_dual_add_f32 v2, v2, v158
	v_mul_f32_e32 v3, v25, v16
	s_delay_alu instid0(VALU_DEP_2) | instskip(SKIP_1) | instid1(VALU_DEP_4)
	v_add_f32_e32 v1, v1, v5
	v_mul_f32_e32 v5, v29, v27
	v_add_f32_e32 v2, v2, v155
	s_delay_alu instid0(VALU_DEP_4) | instskip(NEXT) | instid1(VALU_DEP_4)
	v_fma_f32 v3, v24, v15, -v3
	v_add_f32_e32 v1, v1, v4
	s_delay_alu instid0(VALU_DEP_4) | instskip(NEXT) | instid1(VALU_DEP_2)
	v_fma_f32 v4, v28, v26, -v5
	v_dual_sub_f32 v2, v31, v2 :: v_dual_add_f32 v1, v1, v3
	s_delay_alu instid0(VALU_DEP_1) | instskip(NEXT) | instid1(VALU_DEP_1)
	v_add_f32_e32 v1, v1, v4
	v_sub_f32_e32 v1, v30, v1
	scratch_store_b64 off, v[1:2], off offset:184
	v_cmpx_lt_u32_e32 22, v0
	s_cbranch_execz .LBB60_335
; %bb.334:
	scratch_load_b64 v[1:2], off, off offset:176
	v_mov_b32_e32 v22, v21
	scratch_store_b64 off, v[21:22], off offset:176
	s_wait_loadcnt 0x0
	ds_store_b64 v157, v[1:2]
.LBB60_335:
	s_wait_alu 0xfffe
	s_or_b32 exec_lo, exec_lo, s0
	s_wait_storecnt_dscnt 0x0
	s_barrier_signal -1
	s_barrier_wait -1
	global_inv scope:SCOPE_SE
	s_clause 0x4
	scratch_load_b128 v[5:8], off, off offset:184
	scratch_load_b128 v[1:4], off, off offset:200
	;; [unrolled: 1-line block ×5, first 2 shown]
	ds_load_2addr_b64 v[22:25], v21 offset0:85 offset1:86
	ds_load_2addr_b64 v[26:29], v21 offset0:87 offset1:88
	ds_load_2addr_b64 v[158:161], v21 offset0:89 offset1:90
	scratch_load_b64 v[30:31], off, off offset:176
	s_mov_b32 s0, exec_lo
	s_wait_loadcnt_dscnt 0x502
	v_mul_f32_e32 v32, v23, v6
	v_dual_mul_f32 v155, v22, v6 :: v_dual_mul_f32 v156, v24, v8
	v_mul_f32_e32 v6, v25, v8
	s_wait_loadcnt_dscnt 0x300
	v_mul_f32_e32 v162, v160, v12
	s_delay_alu instid0(VALU_DEP_3)
	v_dual_mul_f32 v12, v161, v12 :: v_dual_fmac_f32 v155, v23, v5
	v_fmac_f32_e32 v156, v25, v7
	v_fma_f32 v23, v24, v7, -v6
	v_mul_f32_e32 v25, v28, v4
	v_fma_f32 v22, v22, v5, -v32
	ds_load_2addr_b64 v[5:8], v21 offset0:91 offset1:92
	v_mul_f32_e32 v24, v26, v2
	v_mul_f32_e32 v4, v29, v4
	;; [unrolled: 1-line block ×4, first 2 shown]
	v_dual_mul_f32 v2, v27, v2 :: v_dual_fmac_f32 v25, v29, v3
	v_fmac_f32_e32 v24, v27, v1
	v_fma_f32 v27, v28, v3, -v4
	v_fmac_f32_e32 v32, v159, v9
	v_fma_f32 v28, v158, v9, -v10
	;; [unrolled: 2-line block ×3, first 2 shown]
	ds_load_2addr_b64 v[9:12], v21 offset0:93 offset1:94
	s_wait_loadcnt_dscnt 0x201
	v_dual_mul_f32 v159, v7, v16 :: v_dual_mul_f32 v158, v5, v14
	v_mul_f32_e32 v14, v6, v14
	v_mul_f32_e32 v16, v8, v16
	s_delay_alu instid0(VALU_DEP_3)
	v_fmac_f32_e32 v159, v8, v15
	v_fma_f32 v26, v26, v1, -v2
	scratch_load_b128 v[1:4], off, off offset:264
	v_fmac_f32_e32 v158, v6, v13
	v_fma_f32 v13, v5, v13, -v14
	v_fma_f32 v14, v7, v15, -v16
	ds_load_2addr_b64 v[5:8], v21 offset0:95 offset1:96
	s_wait_loadcnt_dscnt 0x201
	v_mul_f32_e32 v15, v9, v18
	v_mul_f32_e32 v16, v10, v18
	;; [unrolled: 1-line block ×3, first 2 shown]
	s_delay_alu instid0(VALU_DEP_3) | instskip(NEXT) | instid1(VALU_DEP_3)
	v_dual_mul_f32 v20, v12, v20 :: v_dual_fmac_f32 v15, v10, v17
	v_fma_f32 v16, v9, v17, -v16
	s_delay_alu instid0(VALU_DEP_3) | instskip(NEXT) | instid1(VALU_DEP_3)
	v_fmac_f32_e32 v18, v12, v19
	v_fma_f32 v17, v11, v19, -v20
	scratch_load_b128 v[9:12], off, off offset:280
	s_wait_loadcnt_dscnt 0x100
	v_mul_f32_e32 v19, v5, v2
	v_mul_f32_e32 v2, v6, v2
	;; [unrolled: 1-line block ×3, first 2 shown]
	s_delay_alu instid0(VALU_DEP_3) | instskip(NEXT) | instid1(VALU_DEP_3)
	v_dual_mul_f32 v4, v8, v4 :: v_dual_fmac_f32 v19, v6, v1
	v_fma_f32 v160, v5, v1, -v2
	s_delay_alu instid0(VALU_DEP_3) | instskip(NEXT) | instid1(VALU_DEP_3)
	v_fmac_f32_e32 v20, v8, v3
	v_fma_f32 v161, v7, v3, -v4
	ds_load_2addr_b64 v[1:4], v21 offset0:97 offset1:98
	ds_load_2addr_b64 v[5:8], v21 offset0:99 offset1:100
	s_wait_loadcnt_dscnt 0x1
	v_mul_f32_e32 v163, v1, v10
	v_mul_f32_e32 v10, v2, v10
	s_delay_alu instid0(VALU_DEP_2) | instskip(NEXT) | instid1(VALU_DEP_2)
	v_dual_mul_f32 v164, v3, v12 :: v_dual_fmac_f32 v163, v2, v9
	v_fma_f32 v165, v1, v9, -v10
	v_mul_f32_e32 v1, v4, v12
	s_delay_alu instid0(VALU_DEP_3) | instskip(NEXT) | instid1(VALU_DEP_2)
	v_fmac_f32_e32 v164, v4, v11
	v_fma_f32 v166, v3, v11, -v1
	s_clause 0x1
	scratch_load_b128 v[1:4], off, off offset:296
	scratch_load_b128 v[9:12], off, off offset:312
	s_wait_loadcnt_dscnt 0x100
	v_mul_f32_e32 v167, v5, v2
	v_dual_mul_f32 v2, v6, v2 :: v_dual_mul_f32 v169, v7, v4
	s_delay_alu instid0(VALU_DEP_2) | instskip(NEXT) | instid1(VALU_DEP_2)
	v_fmac_f32_e32 v167, v6, v1
	v_fma_f32 v168, v5, v1, -v2
	v_mul_f32_e32 v1, v8, v4
	s_delay_alu instid0(VALU_DEP_4) | instskip(NEXT) | instid1(VALU_DEP_2)
	v_fmac_f32_e32 v169, v8, v3
	v_fma_f32 v170, v7, v3, -v1
	ds_load_2addr_b64 v[1:4], v21 offset0:101 offset1:102
	ds_load_2addr_b64 v[5:8], v21 offset0:103 offset1:104
	s_wait_loadcnt_dscnt 0x1
	v_mul_f32_e32 v171, v1, v10
	v_mul_f32_e32 v173, v3, v12
	s_delay_alu instid0(VALU_DEP_2) | instskip(NEXT) | instid1(VALU_DEP_2)
	v_fmac_f32_e32 v171, v2, v9
	v_dual_mul_f32 v2, v2, v10 :: v_dual_fmac_f32 v173, v4, v11
	s_delay_alu instid0(VALU_DEP_1) | instskip(SKIP_1) | instid1(VALU_DEP_1)
	v_fma_f32 v172, v1, v9, -v2
	v_mul_f32_e32 v1, v4, v12
	v_fma_f32 v174, v3, v11, -v1
	s_clause 0x1
	scratch_load_b128 v[1:4], off, off offset:328
	scratch_load_b128 v[9:12], off, off offset:344
	s_wait_loadcnt_dscnt 0x100
	v_mul_f32_e32 v175, v5, v2
	v_dual_mul_f32 v2, v6, v2 :: v_dual_mul_f32 v177, v7, v4
	s_delay_alu instid0(VALU_DEP_2) | instskip(NEXT) | instid1(VALU_DEP_2)
	v_fmac_f32_e32 v175, v6, v1
	v_fma_f32 v176, v5, v1, -v2
	v_mul_f32_e32 v1, v8, v4
	s_delay_alu instid0(VALU_DEP_4) | instskip(NEXT) | instid1(VALU_DEP_2)
	v_fmac_f32_e32 v177, v8, v3
	v_fma_f32 v178, v7, v3, -v1
	ds_load_2addr_b64 v[1:4], v21 offset0:105 offset1:106
	ds_load_2addr_b64 v[5:8], v21 offset0:107 offset1:108
	s_wait_loadcnt_dscnt 0x1
	v_mul_f32_e32 v179, v1, v10
	v_mul_f32_e32 v181, v3, v12
	s_delay_alu instid0(VALU_DEP_2) | instskip(NEXT) | instid1(VALU_DEP_2)
	v_fmac_f32_e32 v179, v2, v9
	v_dual_mul_f32 v2, v2, v10 :: v_dual_fmac_f32 v181, v4, v11
	s_delay_alu instid0(VALU_DEP_1) | instskip(SKIP_1) | instid1(VALU_DEP_1)
	v_fma_f32 v180, v1, v9, -v2
	v_mul_f32_e32 v1, v4, v12
	;; [unrolled: 25-line block ×3, first 2 shown]
	v_fma_f32 v190, v3, v11, -v1
	s_clause 0x1
	scratch_load_b128 v[1:4], off, off offset:392
	scratch_load_b128 v[9:12], off, off offset:408
	s_wait_loadcnt_dscnt 0x100
	v_mul_f32_e32 v191, v5, v2
	v_mul_f32_e32 v2, v6, v2
	s_delay_alu instid0(VALU_DEP_1) | instskip(SKIP_1) | instid1(VALU_DEP_1)
	v_fma_f32 v192, v5, v1, -v2
	v_add_f32_e32 v2, 0, v155
	v_add_f32_e32 v2, v2, v156
	s_delay_alu instid0(VALU_DEP_1) | instskip(NEXT) | instid1(VALU_DEP_1)
	v_add_f32_e32 v2, v2, v24
	v_add_f32_e32 v2, v2, v25
	s_delay_alu instid0(VALU_DEP_1) | instskip(SKIP_1) | instid1(VALU_DEP_2)
	v_add_f32_e32 v2, v2, v32
	v_fmac_f32_e32 v191, v6, v1
	v_dual_add_f32 v2, v2, v162 :: v_dual_mul_f32 v193, v7, v4
	s_delay_alu instid0(VALU_DEP_1) | instskip(NEXT) | instid1(VALU_DEP_1)
	v_dual_add_f32 v2, v2, v158 :: v_dual_mul_f32 v1, v8, v4
	v_add_f32_e32 v2, v2, v159
	s_delay_alu instid0(VALU_DEP_2) | instskip(NEXT) | instid1(VALU_DEP_2)
	v_fma_f32 v194, v7, v3, -v1
	v_dual_add_f32 v1, 0, v22 :: v_dual_add_f32 v2, v2, v15
	s_delay_alu instid0(VALU_DEP_1) | instskip(NEXT) | instid1(VALU_DEP_1)
	v_dual_fmac_f32 v193, v8, v3 :: v_dual_add_f32 v2, v2, v18
	v_add_f32_e32 v2, v2, v19
	s_delay_alu instid0(VALU_DEP_1) | instskip(NEXT) | instid1(VALU_DEP_1)
	v_dual_add_f32 v1, v1, v23 :: v_dual_add_f32 v2, v2, v20
	v_dual_add_f32 v1, v1, v26 :: v_dual_add_f32 v2, v2, v163
	s_delay_alu instid0(VALU_DEP_1) | instskip(NEXT) | instid1(VALU_DEP_2)
	v_add_f32_e32 v1, v1, v27
	v_add_f32_e32 v5, v2, v164
	s_delay_alu instid0(VALU_DEP_2) | instskip(NEXT) | instid1(VALU_DEP_1)
	v_add_f32_e32 v1, v1, v28
	v_add_f32_e32 v1, v1, v29
	s_delay_alu instid0(VALU_DEP_1) | instskip(NEXT) | instid1(VALU_DEP_4)
	v_add_f32_e32 v1, v1, v13
	v_add_f32_e32 v13, v5, v167
	s_delay_alu instid0(VALU_DEP_1) | instskip(NEXT) | instid1(VALU_DEP_1)
	v_add_f32_e32 v13, v13, v169
	v_add_f32_e32 v13, v13, v171
	s_delay_alu instid0(VALU_DEP_1) | instskip(NEXT) | instid1(VALU_DEP_1)
	v_add_f32_e32 v18, v13, v173
	v_dual_add_f32 v18, v18, v175 :: v_dual_add_f32 v1, v1, v14
	s_delay_alu instid0(VALU_DEP_1) | instskip(NEXT) | instid1(VALU_DEP_1)
	v_dual_add_f32 v18, v18, v177 :: v_dual_add_f32 v1, v1, v16
	v_dual_add_f32 v22, v18, v179 :: v_dual_add_f32 v1, v1, v17
	s_delay_alu instid0(VALU_DEP_1) | instskip(NEXT) | instid1(VALU_DEP_1)
	v_dual_add_f32 v22, v22, v181 :: v_dual_add_f32 v1, v1, v160
	v_add_f32_e32 v1, v1, v161
	s_delay_alu instid0(VALU_DEP_1) | instskip(NEXT) | instid1(VALU_DEP_1)
	v_add_f32_e32 v1, v1, v165
	v_add_f32_e32 v1, v1, v166
	s_delay_alu instid0(VALU_DEP_1)
	v_add_f32_e32 v6, v1, v168
	ds_load_2addr_b64 v[1:4], v21 offset0:113 offset1:114
	v_add_f32_e32 v22, v22, v183
	v_add_f32_e32 v14, v6, v170
	scratch_load_b128 v[5:8], off, off offset:424
	v_add_f32_e32 v14, v14, v172
	s_delay_alu instid0(VALU_DEP_1)
	v_add_f32_e32 v17, v14, v174
	ds_load_2addr_b64 v[13:16], v21 offset0:115 offset1:116
	s_wait_loadcnt_dscnt 0x101
	v_mul_f32_e32 v25, v1, v10
	v_mul_f32_e32 v10, v2, v10
	;; [unrolled: 1-line block ×3, first 2 shown]
	s_delay_alu instid0(VALU_DEP_3) | instskip(NEXT) | instid1(VALU_DEP_3)
	v_dual_mul_f32 v12, v4, v12 :: v_dual_fmac_f32 v25, v2, v9
	v_fma_f32 v27, v1, v9, -v10
	s_delay_alu instid0(VALU_DEP_3) | instskip(NEXT) | instid1(VALU_DEP_3)
	v_fmac_f32_e32 v26, v4, v11
	v_fma_f32 v28, v3, v11, -v12
	s_clause 0x1
	scratch_load_b128 v[1:4], off, off offset:440
	scratch_load_b128 v[9:12], off, off offset:456
	s_wait_loadcnt_dscnt 0x200
	v_dual_mul_f32 v32, v15, v8 :: v_dual_mul_f32 v29, v13, v6
	v_mul_f32_e32 v6, v14, v6
	v_mul_f32_e32 v8, v16, v8
	s_delay_alu instid0(VALU_DEP_3) | instskip(NEXT) | instid1(VALU_DEP_4)
	v_dual_fmac_f32 v32, v16, v7 :: v_dual_add_f32 v17, v17, v176
	v_fmac_f32_e32 v29, v14, v5
	s_delay_alu instid0(VALU_DEP_4) | instskip(NEXT) | instid1(VALU_DEP_4)
	v_fma_f32 v155, v13, v5, -v6
	v_fma_f32 v156, v15, v7, -v8
	ds_load_2addr_b64 v[5:8], v21 offset0:117 offset1:118
	v_add_f32_e32 v17, v17, v178
	v_add_f32_e32 v13, v22, v185
	s_delay_alu instid0(VALU_DEP_2) | instskip(NEXT) | instid1(VALU_DEP_1)
	v_add_f32_e32 v17, v17, v180
	v_add_f32_e32 v23, v17, v182
	scratch_load_b128 v[17:20], off, off offset:472
	v_add_f32_e32 v23, v23, v184
	s_delay_alu instid0(VALU_DEP_1) | instskip(NEXT) | instid1(VALU_DEP_1)
	v_add_f32_e32 v23, v23, v186
	v_dual_add_f32 v22, v23, v188 :: v_dual_add_f32 v23, v13, v187
	ds_load_2addr_b64 v[13:16], v21 offset0:119 offset1:120
	s_wait_loadcnt_dscnt 0x201
	v_mul_f32_e32 v160, v5, v2
	v_mul_f32_e32 v2, v6, v2
	v_dual_add_f32 v158, v22, v190 :: v_dual_add_f32 v159, v23, v189
	ds_load_2addr_b64 v[21:24], v21 offset0:121 offset1:122
	v_fmac_f32_e32 v160, v6, v1
	v_fma_f32 v2, v5, v1, -v2
	v_add_f32_e32 v158, v158, v192
	s_delay_alu instid0(VALU_DEP_1) | instskip(NEXT) | instid1(VALU_DEP_1)
	v_add_f32_e32 v158, v158, v194
	v_dual_add_f32 v27, v158, v27 :: v_dual_mul_f32 v158, v7, v4
	v_mul_f32_e32 v4, v8, v4
	s_wait_loadcnt_dscnt 0x101
	v_dual_mul_f32 v6, v14, v10 :: v_dual_add_f32 v159, v159, v191
	s_delay_alu instid0(VALU_DEP_3) | instskip(NEXT) | instid1(VALU_DEP_3)
	v_dual_add_f32 v27, v27, v28 :: v_dual_fmac_f32 v158, v8, v3
	v_fma_f32 v3, v7, v3, -v4
	s_delay_alu instid0(VALU_DEP_3) | instskip(NEXT) | instid1(VALU_DEP_1)
	v_dual_mul_f32 v4, v16, v12 :: v_dual_add_f32 v159, v159, v193
	v_fma_f32 v4, v15, v11, -v4
	s_delay_alu instid0(VALU_DEP_2) | instskip(SKIP_2) | instid1(VALU_DEP_1)
	v_add_f32_e32 v25, v159, v25
	s_wait_loadcnt_dscnt 0x0
	v_mul_f32_e32 v28, v23, v20
	v_dual_mul_f32 v161, v15, v12 :: v_dual_fmac_f32 v28, v24, v19
	s_delay_alu instid0(VALU_DEP_3) | instskip(SKIP_2) | instid1(VALU_DEP_4)
	v_add_f32_e32 v25, v25, v26
	v_mul_f32_e32 v26, v21, v18
	v_mul_f32_e32 v159, v13, v10
	v_fmac_f32_e32 v161, v16, v11
	s_delay_alu instid0(VALU_DEP_4) | instskip(NEXT) | instid1(VALU_DEP_4)
	v_add_f32_e32 v25, v25, v29
	v_dual_fmac_f32 v26, v22, v17 :: v_dual_add_f32 v27, v27, v155
	s_delay_alu instid0(VALU_DEP_4) | instskip(NEXT) | instid1(VALU_DEP_3)
	v_fmac_f32_e32 v159, v14, v9
	v_add_f32_e32 v5, v25, v32
	s_delay_alu instid0(VALU_DEP_3) | instskip(NEXT) | instid1(VALU_DEP_1)
	v_add_f32_e32 v1, v27, v156
	v_add_f32_e32 v1, v1, v2
	s_delay_alu instid0(VALU_DEP_3) | instskip(SKIP_1) | instid1(VALU_DEP_2)
	v_add_f32_e32 v2, v5, v160
	v_fma_f32 v5, v13, v9, -v6
	v_dual_add_f32 v1, v1, v3 :: v_dual_add_f32 v2, v2, v158
	v_mul_f32_e32 v3, v22, v18
	s_delay_alu instid0(VALU_DEP_2) | instskip(SKIP_1) | instid1(VALU_DEP_3)
	v_dual_add_f32 v1, v1, v5 :: v_dual_add_f32 v2, v2, v159
	v_mul_f32_e32 v5, v24, v20
	v_fma_f32 v3, v21, v17, -v3
	s_delay_alu instid0(VALU_DEP_3) | instskip(NEXT) | instid1(VALU_DEP_3)
	v_dual_add_f32 v1, v1, v4 :: v_dual_add_f32 v2, v2, v161
	v_fma_f32 v4, v23, v19, -v5
	s_delay_alu instid0(VALU_DEP_2) | instskip(NEXT) | instid1(VALU_DEP_1)
	v_dual_add_f32 v1, v1, v3 :: v_dual_add_f32 v2, v2, v26
	v_add_f32_e32 v1, v1, v4
	s_delay_alu instid0(VALU_DEP_2) | instskip(NEXT) | instid1(VALU_DEP_1)
	v_add_f32_e32 v2, v2, v28
	v_dual_sub_f32 v1, v30, v1 :: v_dual_sub_f32 v2, v31, v2
	scratch_store_b64 off, v[1:2], off offset:176
	v_cmpx_lt_u32_e32 21, v0
	s_cbranch_execz .LBB60_337
; %bb.336:
	scratch_load_b64 v[1:2], off, off offset:168
	v_mov_b32_e32 v3, 0
	s_delay_alu instid0(VALU_DEP_1)
	v_mov_b32_e32 v4, v3
	scratch_store_b64 off, v[3:4], off offset:168
	s_wait_loadcnt 0x0
	ds_store_b64 v157, v[1:2]
.LBB60_337:
	s_wait_alu 0xfffe
	s_or_b32 exec_lo, exec_lo, s0
	s_wait_storecnt_dscnt 0x0
	s_barrier_signal -1
	s_barrier_wait -1
	global_inv scope:SCOPE_SE
	s_clause 0x4
	scratch_load_b128 v[5:8], off, off offset:176
	scratch_load_b128 v[1:4], off, off offset:192
	;; [unrolled: 1-line block ×5, first 2 shown]
	v_mov_b32_e32 v21, 0
	ds_load_b128 v[22:25], v21 offset:672
	ds_load_b128 v[26:29], v21 offset:688
	;; [unrolled: 1-line block ×3, first 2 shown]
	scratch_load_b64 v[30:31], off, off offset:168
	s_mov_b32 s0, exec_lo
	s_wait_loadcnt_dscnt 0x502
	v_mul_f32_e32 v32, v23, v6
	v_dual_mul_f32 v155, v22, v6 :: v_dual_mul_f32 v156, v24, v8
	v_mul_f32_e32 v6, v25, v8
	s_wait_loadcnt_dscnt 0x300
	v_mul_f32_e32 v162, v160, v12
	v_fma_f32 v22, v22, v5, -v32
	v_dual_fmac_f32 v155, v23, v5 :: v_dual_fmac_f32 v156, v25, v7
	v_mul_f32_e32 v25, v28, v4
	v_fma_f32 v23, v24, v7, -v6
	ds_load_b128 v[5:8], v21 offset:720
	v_mul_f32_e32 v24, v26, v2
	v_mul_f32_e32 v4, v29, v4
	;; [unrolled: 1-line block ×5, first 2 shown]
	v_dual_mul_f32 v2, v27, v2 :: v_dual_fmac_f32 v25, v29, v3
	v_fmac_f32_e32 v24, v27, v1
	v_fma_f32 v27, v28, v3, -v4
	v_fmac_f32_e32 v32, v159, v9
	v_fma_f32 v28, v158, v9, -v10
	v_fmac_f32_e32 v162, v161, v11
	v_fma_f32 v29, v160, v11, -v12
	ds_load_b128 v[9:12], v21 offset:736
	s_wait_loadcnt_dscnt 0x201
	v_dual_mul_f32 v159, v7, v16 :: v_dual_mul_f32 v158, v5, v14
	v_mul_f32_e32 v14, v6, v14
	v_mul_f32_e32 v16, v8, v16
	s_delay_alu instid0(VALU_DEP_3)
	v_fmac_f32_e32 v159, v8, v15
	v_fma_f32 v26, v26, v1, -v2
	scratch_load_b128 v[1:4], off, off offset:256
	v_fmac_f32_e32 v158, v6, v13
	v_fma_f32 v13, v5, v13, -v14
	v_fma_f32 v14, v7, v15, -v16
	ds_load_b128 v[5:8], v21 offset:752
	s_wait_loadcnt_dscnt 0x201
	v_mul_f32_e32 v15, v9, v18
	v_mul_f32_e32 v16, v10, v18
	;; [unrolled: 1-line block ×3, first 2 shown]
	s_delay_alu instid0(VALU_DEP_3) | instskip(NEXT) | instid1(VALU_DEP_3)
	v_dual_mul_f32 v20, v12, v20 :: v_dual_fmac_f32 v15, v10, v17
	v_fma_f32 v16, v9, v17, -v16
	s_delay_alu instid0(VALU_DEP_3) | instskip(NEXT) | instid1(VALU_DEP_3)
	v_fmac_f32_e32 v18, v12, v19
	v_fma_f32 v17, v11, v19, -v20
	scratch_load_b128 v[9:12], off, off offset:272
	s_wait_loadcnt_dscnt 0x100
	v_mul_f32_e32 v19, v5, v2
	v_mul_f32_e32 v2, v6, v2
	;; [unrolled: 1-line block ×3, first 2 shown]
	s_delay_alu instid0(VALU_DEP_3) | instskip(NEXT) | instid1(VALU_DEP_3)
	v_dual_mul_f32 v4, v8, v4 :: v_dual_fmac_f32 v19, v6, v1
	v_fma_f32 v160, v5, v1, -v2
	s_delay_alu instid0(VALU_DEP_3) | instskip(NEXT) | instid1(VALU_DEP_3)
	v_fmac_f32_e32 v20, v8, v3
	v_fma_f32 v161, v7, v3, -v4
	ds_load_b128 v[1:4], v21 offset:768
	ds_load_b128 v[5:8], v21 offset:784
	s_wait_loadcnt_dscnt 0x1
	v_mul_f32_e32 v163, v1, v10
	v_mul_f32_e32 v10, v2, v10
	s_delay_alu instid0(VALU_DEP_2) | instskip(NEXT) | instid1(VALU_DEP_2)
	v_dual_mul_f32 v164, v3, v12 :: v_dual_fmac_f32 v163, v2, v9
	v_fma_f32 v165, v1, v9, -v10
	v_mul_f32_e32 v1, v4, v12
	s_delay_alu instid0(VALU_DEP_3) | instskip(NEXT) | instid1(VALU_DEP_2)
	v_fmac_f32_e32 v164, v4, v11
	v_fma_f32 v166, v3, v11, -v1
	s_clause 0x1
	scratch_load_b128 v[1:4], off, off offset:288
	scratch_load_b128 v[9:12], off, off offset:304
	s_wait_loadcnt_dscnt 0x100
	v_mul_f32_e32 v167, v5, v2
	v_dual_mul_f32 v2, v6, v2 :: v_dual_mul_f32 v169, v7, v4
	s_delay_alu instid0(VALU_DEP_2) | instskip(NEXT) | instid1(VALU_DEP_2)
	v_fmac_f32_e32 v167, v6, v1
	v_fma_f32 v168, v5, v1, -v2
	v_mul_f32_e32 v1, v8, v4
	s_delay_alu instid0(VALU_DEP_4) | instskip(NEXT) | instid1(VALU_DEP_2)
	v_fmac_f32_e32 v169, v8, v3
	v_fma_f32 v170, v7, v3, -v1
	ds_load_b128 v[1:4], v21 offset:800
	ds_load_b128 v[5:8], v21 offset:816
	s_wait_loadcnt_dscnt 0x1
	v_mul_f32_e32 v171, v1, v10
	v_mul_f32_e32 v173, v3, v12
	s_delay_alu instid0(VALU_DEP_2) | instskip(NEXT) | instid1(VALU_DEP_2)
	v_fmac_f32_e32 v171, v2, v9
	v_dual_mul_f32 v2, v2, v10 :: v_dual_fmac_f32 v173, v4, v11
	s_delay_alu instid0(VALU_DEP_1) | instskip(SKIP_1) | instid1(VALU_DEP_1)
	v_fma_f32 v172, v1, v9, -v2
	v_mul_f32_e32 v1, v4, v12
	v_fma_f32 v174, v3, v11, -v1
	s_clause 0x1
	scratch_load_b128 v[1:4], off, off offset:320
	scratch_load_b128 v[9:12], off, off offset:336
	s_wait_loadcnt_dscnt 0x100
	v_mul_f32_e32 v175, v5, v2
	v_dual_mul_f32 v2, v6, v2 :: v_dual_mul_f32 v177, v7, v4
	s_delay_alu instid0(VALU_DEP_2) | instskip(NEXT) | instid1(VALU_DEP_2)
	v_fmac_f32_e32 v175, v6, v1
	v_fma_f32 v176, v5, v1, -v2
	v_mul_f32_e32 v1, v8, v4
	s_delay_alu instid0(VALU_DEP_4) | instskip(NEXT) | instid1(VALU_DEP_2)
	v_fmac_f32_e32 v177, v8, v3
	v_fma_f32 v178, v7, v3, -v1
	ds_load_b128 v[1:4], v21 offset:832
	ds_load_b128 v[5:8], v21 offset:848
	s_wait_loadcnt_dscnt 0x1
	v_mul_f32_e32 v179, v1, v10
	v_mul_f32_e32 v181, v3, v12
	s_delay_alu instid0(VALU_DEP_2) | instskip(NEXT) | instid1(VALU_DEP_2)
	v_fmac_f32_e32 v179, v2, v9
	v_dual_mul_f32 v2, v2, v10 :: v_dual_fmac_f32 v181, v4, v11
	s_delay_alu instid0(VALU_DEP_1) | instskip(SKIP_1) | instid1(VALU_DEP_1)
	v_fma_f32 v180, v1, v9, -v2
	v_mul_f32_e32 v1, v4, v12
	;; [unrolled: 25-line block ×3, first 2 shown]
	v_fma_f32 v190, v3, v11, -v1
	s_clause 0x1
	scratch_load_b128 v[1:4], off, off offset:384
	scratch_load_b128 v[9:12], off, off offset:400
	s_wait_loadcnt_dscnt 0x100
	v_mul_f32_e32 v191, v5, v2
	v_mul_f32_e32 v2, v6, v2
	s_delay_alu instid0(VALU_DEP_1) | instskip(SKIP_1) | instid1(VALU_DEP_1)
	v_fma_f32 v192, v5, v1, -v2
	v_add_f32_e32 v2, 0, v155
	v_add_f32_e32 v2, v2, v156
	s_delay_alu instid0(VALU_DEP_1) | instskip(NEXT) | instid1(VALU_DEP_1)
	v_add_f32_e32 v2, v2, v24
	v_add_f32_e32 v2, v2, v25
	s_delay_alu instid0(VALU_DEP_1) | instskip(NEXT) | instid1(VALU_DEP_1)
	v_add_f32_e32 v2, v2, v32
	v_dual_add_f32 v2, v2, v162 :: v_dual_mul_f32 v193, v7, v4
	s_delay_alu instid0(VALU_DEP_1) | instskip(NEXT) | instid1(VALU_DEP_1)
	v_add_f32_e32 v2, v2, v158
	v_add_f32_e32 v2, v2, v159
	v_fmac_f32_e32 v191, v6, v1
	s_delay_alu instid0(VALU_DEP_2) | instskip(SKIP_1) | instid1(VALU_DEP_2)
	v_dual_mul_f32 v1, v8, v4 :: v_dual_add_f32 v2, v2, v15
	v_fmac_f32_e32 v193, v8, v3
	v_fma_f32 v194, v7, v3, -v1
	s_delay_alu instid0(VALU_DEP_3) | instskip(NEXT) | instid1(VALU_DEP_1)
	v_add_f32_e32 v2, v2, v18
	v_dual_add_f32 v1, 0, v22 :: v_dual_add_f32 v2, v2, v19
	s_delay_alu instid0(VALU_DEP_1) | instskip(NEXT) | instid1(VALU_DEP_1)
	v_dual_add_f32 v1, v1, v23 :: v_dual_add_f32 v2, v2, v20
	v_dual_add_f32 v1, v1, v26 :: v_dual_add_f32 v2, v2, v163
	s_delay_alu instid0(VALU_DEP_1) | instskip(SKIP_3) | instid1(VALU_DEP_1)
	v_add_f32_e32 v1, v1, v27
	scratch_load_b64 v[26:27], off, off offset:480
	v_add_f32_e32 v5, v2, v164
	v_add_f32_e32 v1, v1, v28
	;; [unrolled: 1-line block ×3, first 2 shown]
	s_delay_alu instid0(VALU_DEP_1) | instskip(NEXT) | instid1(VALU_DEP_4)
	v_add_f32_e32 v1, v1, v13
	v_add_f32_e32 v13, v5, v167
	s_delay_alu instid0(VALU_DEP_1) | instskip(NEXT) | instid1(VALU_DEP_1)
	v_add_f32_e32 v13, v13, v169
	v_add_f32_e32 v13, v13, v171
	s_delay_alu instid0(VALU_DEP_1) | instskip(NEXT) | instid1(VALU_DEP_1)
	v_add_f32_e32 v18, v13, v173
	v_dual_add_f32 v18, v18, v175 :: v_dual_add_f32 v1, v1, v14
	s_delay_alu instid0(VALU_DEP_1) | instskip(NEXT) | instid1(VALU_DEP_1)
	v_dual_add_f32 v18, v18, v177 :: v_dual_add_f32 v1, v1, v16
	v_dual_add_f32 v22, v18, v179 :: v_dual_add_f32 v1, v1, v17
	s_delay_alu instid0(VALU_DEP_1) | instskip(NEXT) | instid1(VALU_DEP_1)
	v_dual_add_f32 v22, v22, v181 :: v_dual_add_f32 v1, v1, v160
	v_add_f32_e32 v1, v1, v161
	s_delay_alu instid0(VALU_DEP_1) | instskip(NEXT) | instid1(VALU_DEP_1)
	v_add_f32_e32 v1, v1, v165
	v_add_f32_e32 v1, v1, v166
	s_delay_alu instid0(VALU_DEP_1)
	v_add_f32_e32 v6, v1, v168
	scratch_load_b128 v[1:4], off, off offset:416
	v_add_f32_e32 v22, v22, v183
	v_add_f32_e32 v14, v6, v170
	ds_load_b128 v[5:8], v21 offset:896
	v_add_f32_e32 v22, v22, v185
	v_add_f32_e32 v14, v14, v172
	s_delay_alu instid0(VALU_DEP_1)
	v_add_f32_e32 v17, v14, v174
	ds_load_b128 v[13:16], v21 offset:912
	s_wait_loadcnt_dscnt 0x201
	v_mul_f32_e32 v32, v5, v10
	v_dual_mul_f32 v10, v6, v10 :: v_dual_mul_f32 v155, v7, v12
	v_mul_f32_e32 v12, v8, v12
	s_delay_alu instid0(VALU_DEP_3) | instskip(NEXT) | instid1(VALU_DEP_3)
	v_fmac_f32_e32 v32, v6, v9
	v_fma_f32 v156, v5, v9, -v10
	s_delay_alu instid0(VALU_DEP_4) | instskip(NEXT) | instid1(VALU_DEP_4)
	v_fmac_f32_e32 v155, v8, v11
	v_fma_f32 v158, v7, v11, -v12
	s_clause 0x1
	scratch_load_b128 v[5:8], off, off offset:432
	scratch_load_b128 v[9:12], off, off offset:448
	s_wait_loadcnt_dscnt 0x200
	v_mul_f32_e32 v159, v13, v2
	v_mul_f32_e32 v2, v14, v2
	;; [unrolled: 1-line block ×4, first 2 shown]
	s_delay_alu instid0(VALU_DEP_3) | instskip(NEXT) | instid1(VALU_DEP_3)
	v_fma_f32 v161, v13, v1, -v2
	v_fmac_f32_e32 v160, v16, v3
	s_delay_alu instid0(VALU_DEP_3) | instskip(SKIP_2) | instid1(VALU_DEP_2)
	v_fma_f32 v162, v15, v3, -v4
	v_add_f32_e32 v13, v22, v187
	v_add_f32_e32 v17, v17, v176
	;; [unrolled: 1-line block ×3, first 2 shown]
	s_delay_alu instid0(VALU_DEP_2) | instskip(NEXT) | instid1(VALU_DEP_2)
	v_add_f32_e32 v17, v17, v178
	v_add_f32_e32 v29, v22, v191
	s_delay_alu instid0(VALU_DEP_1) | instskip(NEXT) | instid1(VALU_DEP_1)
	v_add_f32_e32 v164, v29, v193
	v_dual_add_f32 v32, v164, v32 :: v_dual_fmac_f32 v159, v14, v1
	ds_load_b128 v[1:4], v21 offset:928
	v_dual_add_f32 v17, v17, v180 :: v_dual_add_f32 v32, v32, v155
	s_delay_alu instid0(VALU_DEP_1) | instskip(SKIP_2) | instid1(VALU_DEP_1)
	v_add_f32_e32 v23, v17, v182
	scratch_load_b128 v[17:20], off, off offset:464
	v_add_f32_e32 v23, v23, v184
	v_add_f32_e32 v23, v23, v186
	s_delay_alu instid0(VALU_DEP_1) | instskip(NEXT) | instid1(VALU_DEP_1)
	v_add_f32_e32 v23, v23, v188
	v_add_f32_e32 v14, v23, v190
	ds_load_b128 v[22:25], v21 offset:960
	v_add_f32_e32 v28, v14, v192
	ds_load_b128 v[13:16], v21 offset:944
	v_add_f32_e32 v163, v28, v194
	ds_load_b64 v[28:29], v21 offset:976
	s_wait_loadcnt_dscnt 0x203
	v_mul_f32_e32 v155, v3, v8
	v_mul_f32_e32 v8, v4, v8
	v_add_f32_e32 v156, v163, v156
	s_delay_alu instid0(VALU_DEP_1) | instskip(NEXT) | instid1(VALU_DEP_1)
	v_add_f32_e32 v156, v156, v158
	v_add_f32_e32 v156, v156, v161
	s_wait_loadcnt_dscnt 0x101
	v_mul_f32_e32 v158, v13, v10
	v_dual_mul_f32 v163, v1, v6 :: v_dual_add_f32 v32, v32, v159
	v_mul_f32_e32 v6, v2, v6
	v_add_f32_e32 v156, v156, v162
	s_delay_alu instid0(VALU_DEP_4) | instskip(NEXT) | instid1(VALU_DEP_4)
	v_fmac_f32_e32 v158, v14, v9
	v_add_f32_e32 v32, v32, v160
	s_wait_dscnt 0x0
	v_mul_f32_e32 v160, v28, v27
	v_fma_f32 v1, v1, v5, -v6
	v_fmac_f32_e32 v155, v4, v7
	v_fmac_f32_e32 v163, v2, v5
	v_mul_f32_e32 v159, v15, v12
	v_fma_f32 v2, v3, v7, -v8
	v_dual_add_f32 v1, v156, v1 :: v_dual_fmac_f32 v160, v29, v26
	s_delay_alu instid0(VALU_DEP_4) | instskip(NEXT) | instid1(VALU_DEP_4)
	v_add_f32_e32 v4, v32, v163
	v_fmac_f32_e32 v159, v16, v11
	s_wait_loadcnt 0x0
	v_dual_mul_f32 v161, v22, v18 :: v_dual_mul_f32 v162, v24, v20
	v_mul_f32_e32 v3, v14, v10
	s_delay_alu instid0(VALU_DEP_2) | instskip(SKIP_1) | instid1(VALU_DEP_4)
	v_fmac_f32_e32 v161, v23, v17
	v_dual_add_f32 v1, v1, v2 :: v_dual_add_f32 v2, v4, v155
	v_fmac_f32_e32 v162, v25, v19
	s_delay_alu instid0(VALU_DEP_4) | instskip(SKIP_1) | instid1(VALU_DEP_4)
	v_fma_f32 v3, v13, v9, -v3
	v_mul_f32_e32 v4, v23, v18
	v_dual_add_f32 v2, v2, v158 :: v_dual_mul_f32 v5, v16, v12
	s_delay_alu instid0(VALU_DEP_2) | instskip(NEXT) | instid1(VALU_DEP_2)
	v_fma_f32 v4, v22, v17, -v4
	v_add_f32_e32 v2, v2, v159
	s_delay_alu instid0(VALU_DEP_3) | instskip(NEXT) | instid1(VALU_DEP_2)
	v_fma_f32 v5, v15, v11, -v5
	v_dual_add_f32 v2, v2, v161 :: v_dual_add_f32 v1, v1, v3
	s_delay_alu instid0(VALU_DEP_1) | instskip(NEXT) | instid1(VALU_DEP_1)
	v_dual_add_f32 v2, v2, v162 :: v_dual_add_f32 v1, v1, v5
	v_dual_mul_f32 v5, v29, v27 :: v_dual_add_f32 v2, v2, v160
	v_mul_f32_e32 v3, v25, v20
	s_delay_alu instid0(VALU_DEP_3) | instskip(NEXT) | instid1(VALU_DEP_3)
	v_add_f32_e32 v1, v1, v4
	v_fma_f32 v4, v28, v26, -v5
	s_delay_alu instid0(VALU_DEP_4) | instskip(NEXT) | instid1(VALU_DEP_4)
	v_sub_f32_e32 v2, v31, v2
	v_fma_f32 v3, v24, v19, -v3
	s_delay_alu instid0(VALU_DEP_1) | instskip(NEXT) | instid1(VALU_DEP_1)
	v_add_f32_e32 v1, v1, v3
	v_add_f32_e32 v1, v1, v4
	s_delay_alu instid0(VALU_DEP_1)
	v_sub_f32_e32 v1, v30, v1
	scratch_store_b64 off, v[1:2], off offset:168
	v_cmpx_lt_u32_e32 20, v0
	s_cbranch_execz .LBB60_339
; %bb.338:
	scratch_load_b64 v[1:2], off, off offset:160
	v_mov_b32_e32 v22, v21
	scratch_store_b64 off, v[21:22], off offset:160
	s_wait_loadcnt 0x0
	ds_store_b64 v157, v[1:2]
.LBB60_339:
	s_wait_alu 0xfffe
	s_or_b32 exec_lo, exec_lo, s0
	s_wait_storecnt_dscnt 0x0
	s_barrier_signal -1
	s_barrier_wait -1
	global_inv scope:SCOPE_SE
	s_clause 0x4
	scratch_load_b128 v[5:8], off, off offset:168
	scratch_load_b128 v[1:4], off, off offset:184
	;; [unrolled: 1-line block ×5, first 2 shown]
	ds_load_2addr_b64 v[22:25], v21 offset0:83 offset1:84
	ds_load_2addr_b64 v[26:29], v21 offset0:85 offset1:86
	;; [unrolled: 1-line block ×3, first 2 shown]
	scratch_load_b64 v[30:31], off, off offset:160
	s_mov_b32 s0, exec_lo
	s_wait_loadcnt_dscnt 0x502
	v_mul_f32_e32 v32, v23, v6
	v_dual_mul_f32 v155, v22, v6 :: v_dual_mul_f32 v156, v24, v8
	v_mul_f32_e32 v6, v25, v8
	s_wait_loadcnt_dscnt 0x300
	v_mul_f32_e32 v162, v160, v12
	s_delay_alu instid0(VALU_DEP_3)
	v_dual_mul_f32 v12, v161, v12 :: v_dual_fmac_f32 v155, v23, v5
	v_fmac_f32_e32 v156, v25, v7
	v_fma_f32 v23, v24, v7, -v6
	v_mul_f32_e32 v25, v28, v4
	v_fma_f32 v22, v22, v5, -v32
	ds_load_2addr_b64 v[5:8], v21 offset0:89 offset1:90
	v_mul_f32_e32 v24, v26, v2
	v_mul_f32_e32 v4, v29, v4
	;; [unrolled: 1-line block ×4, first 2 shown]
	v_dual_mul_f32 v2, v27, v2 :: v_dual_fmac_f32 v25, v29, v3
	v_fmac_f32_e32 v24, v27, v1
	v_fma_f32 v27, v28, v3, -v4
	v_fmac_f32_e32 v32, v159, v9
	v_fma_f32 v28, v158, v9, -v10
	;; [unrolled: 2-line block ×3, first 2 shown]
	ds_load_2addr_b64 v[9:12], v21 offset0:91 offset1:92
	s_wait_loadcnt_dscnt 0x201
	v_dual_mul_f32 v159, v7, v16 :: v_dual_mul_f32 v158, v5, v14
	v_mul_f32_e32 v14, v6, v14
	v_mul_f32_e32 v16, v8, v16
	s_delay_alu instid0(VALU_DEP_3)
	v_fmac_f32_e32 v159, v8, v15
	v_fma_f32 v26, v26, v1, -v2
	scratch_load_b128 v[1:4], off, off offset:248
	v_fmac_f32_e32 v158, v6, v13
	v_fma_f32 v13, v5, v13, -v14
	v_fma_f32 v14, v7, v15, -v16
	ds_load_2addr_b64 v[5:8], v21 offset0:93 offset1:94
	s_wait_loadcnt_dscnt 0x201
	v_mul_f32_e32 v15, v9, v18
	v_mul_f32_e32 v16, v10, v18
	;; [unrolled: 1-line block ×3, first 2 shown]
	s_delay_alu instid0(VALU_DEP_3) | instskip(NEXT) | instid1(VALU_DEP_3)
	v_dual_mul_f32 v20, v12, v20 :: v_dual_fmac_f32 v15, v10, v17
	v_fma_f32 v16, v9, v17, -v16
	s_delay_alu instid0(VALU_DEP_3) | instskip(NEXT) | instid1(VALU_DEP_3)
	v_fmac_f32_e32 v18, v12, v19
	v_fma_f32 v17, v11, v19, -v20
	scratch_load_b128 v[9:12], off, off offset:264
	s_wait_loadcnt_dscnt 0x100
	v_mul_f32_e32 v19, v5, v2
	v_mul_f32_e32 v2, v6, v2
	;; [unrolled: 1-line block ×3, first 2 shown]
	s_delay_alu instid0(VALU_DEP_3) | instskip(NEXT) | instid1(VALU_DEP_3)
	v_dual_mul_f32 v4, v8, v4 :: v_dual_fmac_f32 v19, v6, v1
	v_fma_f32 v160, v5, v1, -v2
	s_delay_alu instid0(VALU_DEP_3) | instskip(NEXT) | instid1(VALU_DEP_3)
	v_fmac_f32_e32 v20, v8, v3
	v_fma_f32 v161, v7, v3, -v4
	ds_load_2addr_b64 v[1:4], v21 offset0:95 offset1:96
	ds_load_2addr_b64 v[5:8], v21 offset0:97 offset1:98
	s_wait_loadcnt_dscnt 0x1
	v_mul_f32_e32 v163, v1, v10
	v_mul_f32_e32 v10, v2, v10
	s_delay_alu instid0(VALU_DEP_2) | instskip(NEXT) | instid1(VALU_DEP_2)
	v_dual_mul_f32 v164, v3, v12 :: v_dual_fmac_f32 v163, v2, v9
	v_fma_f32 v165, v1, v9, -v10
	v_mul_f32_e32 v1, v4, v12
	s_delay_alu instid0(VALU_DEP_3) | instskip(NEXT) | instid1(VALU_DEP_2)
	v_fmac_f32_e32 v164, v4, v11
	v_fma_f32 v166, v3, v11, -v1
	s_clause 0x1
	scratch_load_b128 v[1:4], off, off offset:280
	scratch_load_b128 v[9:12], off, off offset:296
	s_wait_loadcnt_dscnt 0x100
	v_mul_f32_e32 v167, v5, v2
	v_dual_mul_f32 v2, v6, v2 :: v_dual_mul_f32 v169, v7, v4
	s_delay_alu instid0(VALU_DEP_2) | instskip(NEXT) | instid1(VALU_DEP_2)
	v_fmac_f32_e32 v167, v6, v1
	v_fma_f32 v168, v5, v1, -v2
	v_mul_f32_e32 v1, v8, v4
	s_delay_alu instid0(VALU_DEP_4) | instskip(NEXT) | instid1(VALU_DEP_2)
	v_fmac_f32_e32 v169, v8, v3
	v_fma_f32 v170, v7, v3, -v1
	ds_load_2addr_b64 v[1:4], v21 offset0:99 offset1:100
	ds_load_2addr_b64 v[5:8], v21 offset0:101 offset1:102
	s_wait_loadcnt_dscnt 0x1
	v_mul_f32_e32 v171, v1, v10
	v_mul_f32_e32 v173, v3, v12
	s_delay_alu instid0(VALU_DEP_2) | instskip(NEXT) | instid1(VALU_DEP_2)
	v_fmac_f32_e32 v171, v2, v9
	v_dual_mul_f32 v2, v2, v10 :: v_dual_fmac_f32 v173, v4, v11
	s_delay_alu instid0(VALU_DEP_1) | instskip(SKIP_1) | instid1(VALU_DEP_1)
	v_fma_f32 v172, v1, v9, -v2
	v_mul_f32_e32 v1, v4, v12
	v_fma_f32 v174, v3, v11, -v1
	s_clause 0x1
	scratch_load_b128 v[1:4], off, off offset:312
	scratch_load_b128 v[9:12], off, off offset:328
	s_wait_loadcnt_dscnt 0x100
	v_mul_f32_e32 v175, v5, v2
	v_dual_mul_f32 v2, v6, v2 :: v_dual_mul_f32 v177, v7, v4
	s_delay_alu instid0(VALU_DEP_2) | instskip(NEXT) | instid1(VALU_DEP_2)
	v_fmac_f32_e32 v175, v6, v1
	v_fma_f32 v176, v5, v1, -v2
	v_mul_f32_e32 v1, v8, v4
	s_delay_alu instid0(VALU_DEP_4) | instskip(NEXT) | instid1(VALU_DEP_2)
	v_fmac_f32_e32 v177, v8, v3
	v_fma_f32 v178, v7, v3, -v1
	ds_load_2addr_b64 v[1:4], v21 offset0:103 offset1:104
	ds_load_2addr_b64 v[5:8], v21 offset0:105 offset1:106
	s_wait_loadcnt_dscnt 0x1
	v_mul_f32_e32 v179, v1, v10
	v_mul_f32_e32 v181, v3, v12
	s_delay_alu instid0(VALU_DEP_2) | instskip(NEXT) | instid1(VALU_DEP_2)
	v_fmac_f32_e32 v179, v2, v9
	v_dual_mul_f32 v2, v2, v10 :: v_dual_fmac_f32 v181, v4, v11
	s_delay_alu instid0(VALU_DEP_1) | instskip(SKIP_1) | instid1(VALU_DEP_1)
	v_fma_f32 v180, v1, v9, -v2
	v_mul_f32_e32 v1, v4, v12
	;; [unrolled: 25-line block ×4, first 2 shown]
	v_fma_f32 v198, v3, v11, -v1
	s_clause 0x1
	scratch_load_b128 v[1:4], off, off offset:408
	scratch_load_b128 v[9:12], off, off offset:424
	s_wait_loadcnt_dscnt 0x100
	v_mul_f32_e32 v199, v5, v2
	v_mul_f32_e32 v2, v6, v2
	s_delay_alu instid0(VALU_DEP_1) | instskip(SKIP_1) | instid1(VALU_DEP_1)
	v_fma_f32 v200, v5, v1, -v2
	v_add_f32_e32 v2, 0, v155
	v_add_f32_e32 v2, v2, v156
	s_delay_alu instid0(VALU_DEP_1) | instskip(NEXT) | instid1(VALU_DEP_1)
	v_add_f32_e32 v2, v2, v24
	v_add_f32_e32 v2, v2, v25
	s_delay_alu instid0(VALU_DEP_1) | instskip(NEXT) | instid1(VALU_DEP_1)
	;; [unrolled: 3-line block ×5, first 2 shown]
	v_add_f32_e32 v2, v2, v19
	v_add_f32_e32 v2, v2, v20
	v_mul_f32_e32 v201, v7, v4
	v_fmac_f32_e32 v199, v6, v1
	s_delay_alu instid0(VALU_DEP_3) | instskip(NEXT) | instid1(VALU_DEP_1)
	v_add_f32_e32 v2, v2, v163
	v_dual_fmac_f32 v201, v8, v3 :: v_dual_add_f32 v2, v2, v164
	s_delay_alu instid0(VALU_DEP_1) | instskip(NEXT) | instid1(VALU_DEP_1)
	v_dual_mul_f32 v1, v8, v4 :: v_dual_add_f32 v2, v2, v167
	v_fma_f32 v202, v7, v3, -v1
	s_delay_alu instid0(VALU_DEP_2) | instskip(NEXT) | instid1(VALU_DEP_1)
	v_dual_add_f32 v1, 0, v22 :: v_dual_add_f32 v2, v2, v169
	v_add_f32_e32 v1, v1, v23
	s_delay_alu instid0(VALU_DEP_2) | instskip(NEXT) | instid1(VALU_DEP_2)
	v_add_f32_e32 v5, v2, v171
	v_add_f32_e32 v1, v1, v26
	s_delay_alu instid0(VALU_DEP_2) | instskip(NEXT) | instid1(VALU_DEP_2)
	v_add_f32_e32 v5, v5, v173
	v_add_f32_e32 v1, v1, v27
	s_delay_alu instid0(VALU_DEP_2) | instskip(NEXT) | instid1(VALU_DEP_2)
	v_add_f32_e32 v5, v5, v175
	v_add_f32_e32 v1, v1, v28
	s_delay_alu instid0(VALU_DEP_1) | instskip(NEXT) | instid1(VALU_DEP_1)
	v_add_f32_e32 v1, v1, v29
	v_add_f32_e32 v1, v1, v13
	s_delay_alu instid0(VALU_DEP_1) | instskip(SKIP_1) | instid1(VALU_DEP_1)
	v_add_f32_e32 v1, v1, v14
	v_add_f32_e32 v14, v5, v177
	v_dual_add_f32 v1, v1, v16 :: v_dual_add_f32 v14, v14, v179
	s_delay_alu instid0(VALU_DEP_1) | instskip(NEXT) | instid1(VALU_DEP_1)
	v_add_f32_e32 v1, v1, v17
	v_dual_add_f32 v14, v14, v181 :: v_dual_add_f32 v1, v1, v160
	s_delay_alu instid0(VALU_DEP_1) | instskip(NEXT) | instid1(VALU_DEP_1)
	v_add_f32_e32 v1, v1, v161
	v_add_f32_e32 v1, v1, v165
	s_delay_alu instid0(VALU_DEP_1) | instskip(NEXT) | instid1(VALU_DEP_1)
	v_add_f32_e32 v1, v1, v166
	v_add_f32_e32 v1, v1, v168
	;; [unrolled: 3-line block ×3, first 2 shown]
	s_delay_alu instid0(VALU_DEP_1) | instskip(SKIP_2) | instid1(VALU_DEP_1)
	v_add_f32_e32 v6, v1, v174
	ds_load_2addr_b64 v[1:4], v21 offset0:115 offset1:116
	v_add_f32_e32 v17, v14, v183
	v_dual_add_f32 v6, v6, v176 :: v_dual_add_f32 v17, v17, v185
	s_delay_alu instid0(VALU_DEP_1) | instskip(SKIP_4) | instid1(VALU_DEP_2)
	v_add_f32_e32 v13, v6, v178
	ds_load_2addr_b64 v[5:8], v21 offset0:117 offset1:118
	s_wait_loadcnt_dscnt 0x1
	v_dual_mul_f32 v25, v1, v10 :: v_dual_mul_f32 v26, v3, v12
	v_mul_f32_e32 v10, v2, v10
	v_dual_mul_f32 v12, v4, v12 :: v_dual_fmac_f32 v25, v2, v9
	s_delay_alu instid0(VALU_DEP_3) | instskip(NEXT) | instid1(VALU_DEP_3)
	v_fmac_f32_e32 v26, v4, v11
	v_fma_f32 v27, v1, v9, -v10
	s_delay_alu instid0(VALU_DEP_3) | instskip(SKIP_4) | instid1(VALU_DEP_1)
	v_fma_f32 v28, v3, v11, -v12
	s_clause 0x1
	scratch_load_b128 v[1:4], off, off offset:440
	scratch_load_b128 v[9:12], off, off offset:456
	v_add_f32_e32 v13, v13, v180
	v_add_f32_e32 v13, v13, v182
	s_delay_alu instid0(VALU_DEP_1) | instskip(NEXT) | instid1(VALU_DEP_1)
	v_add_f32_e32 v13, v13, v184
	v_add_f32_e32 v18, v13, v186
	scratch_load_b128 v[13:16], off, off offset:472
	v_dual_add_f32 v17, v17, v187 :: v_dual_add_f32 v18, v18, v188
	s_delay_alu instid0(VALU_DEP_1) | instskip(NEXT) | instid1(VALU_DEP_1)
	v_dual_add_f32 v17, v17, v189 :: v_dual_add_f32 v18, v18, v190
	v_dual_add_f32 v23, v17, v191 :: v_dual_add_f32 v22, v18, v192
	ds_load_2addr_b64 v[17:20], v21 offset0:119 offset1:120
	v_add_f32_e32 v32, v23, v193
	s_delay_alu instid0(VALU_DEP_1) | instskip(NEXT) | instid1(VALU_DEP_1)
	v_add_f32_e32 v32, v32, v195
	v_add_f32_e32 v32, v32, v197
	s_delay_alu instid0(VALU_DEP_1) | instskip(SKIP_1) | instid1(VALU_DEP_1)
	v_add_f32_e32 v32, v32, v199
	s_wait_loadcnt_dscnt 0x201
	v_dual_add_f32 v32, v32, v201 :: v_dual_mul_f32 v155, v5, v2
	v_mul_f32_e32 v2, v6, v2
	v_mul_f32_e32 v156, v7, v4
	;; [unrolled: 1-line block ×3, first 2 shown]
	s_wait_loadcnt_dscnt 0x100
	v_dual_mul_f32 v158, v17, v10 :: v_dual_fmac_f32 v155, v6, v1
	v_add_f32_e32 v29, v22, v194
	ds_load_2addr_b64 v[21:24], v21 offset0:121 offset1:122
	v_fma_f32 v2, v5, v1, -v2
	v_mul_f32_e32 v6, v18, v10
	v_dual_fmac_f32 v156, v8, v3 :: v_dual_add_f32 v29, v29, v196
	v_fma_f32 v3, v7, v3, -v4
	v_mul_f32_e32 v159, v19, v12
	v_mul_f32_e32 v4, v20, v12
	s_delay_alu instid0(VALU_DEP_4) | instskip(NEXT) | instid1(VALU_DEP_3)
	v_dual_fmac_f32 v158, v18, v9 :: v_dual_add_f32 v29, v29, v198
	v_fmac_f32_e32 v159, v20, v11
	s_delay_alu instid0(VALU_DEP_3) | instskip(NEXT) | instid1(VALU_DEP_3)
	v_fma_f32 v4, v19, v11, -v4
	v_add_f32_e32 v29, v29, v200
	s_delay_alu instid0(VALU_DEP_1) | instskip(SKIP_2) | instid1(VALU_DEP_2)
	v_add_f32_e32 v29, v29, v202
	s_wait_loadcnt_dscnt 0x0
	v_dual_mul_f32 v160, v21, v14 :: v_dual_add_f32 v25, v32, v25
	v_add_f32_e32 v27, v29, v27
	v_mul_f32_e32 v29, v23, v16
	s_delay_alu instid0(VALU_DEP_3) | instskip(NEXT) | instid1(VALU_DEP_3)
	v_dual_add_f32 v5, v25, v26 :: v_dual_fmac_f32 v160, v22, v13
	v_add_f32_e32 v1, v27, v28
	s_delay_alu instid0(VALU_DEP_3) | instskip(NEXT) | instid1(VALU_DEP_2)
	v_fmac_f32_e32 v29, v24, v15
	v_add_f32_e32 v1, v1, v2
	s_delay_alu instid0(VALU_DEP_4) | instskip(SKIP_1) | instid1(VALU_DEP_2)
	v_add_f32_e32 v2, v5, v155
	v_fma_f32 v5, v17, v9, -v6
	v_dual_add_f32 v1, v1, v3 :: v_dual_add_f32 v2, v2, v156
	v_mul_f32_e32 v3, v22, v14
	s_delay_alu instid0(VALU_DEP_2) | instskip(SKIP_1) | instid1(VALU_DEP_3)
	v_dual_add_f32 v1, v1, v5 :: v_dual_add_f32 v2, v2, v158
	v_mul_f32_e32 v5, v24, v16
	v_fma_f32 v3, v21, v13, -v3
	s_delay_alu instid0(VALU_DEP_3) | instskip(NEXT) | instid1(VALU_DEP_3)
	v_dual_add_f32 v1, v1, v4 :: v_dual_add_f32 v2, v2, v159
	v_fma_f32 v4, v23, v15, -v5
	s_delay_alu instid0(VALU_DEP_2) | instskip(NEXT) | instid1(VALU_DEP_1)
	v_dual_add_f32 v1, v1, v3 :: v_dual_add_f32 v2, v2, v160
	v_dual_add_f32 v1, v1, v4 :: v_dual_add_f32 v2, v2, v29
	s_delay_alu instid0(VALU_DEP_1)
	v_dual_sub_f32 v1, v30, v1 :: v_dual_sub_f32 v2, v31, v2
	scratch_store_b64 off, v[1:2], off offset:160
	v_cmpx_lt_u32_e32 19, v0
	s_cbranch_execz .LBB60_341
; %bb.340:
	scratch_load_b64 v[1:2], off, off offset:152
	v_mov_b32_e32 v3, 0
	s_delay_alu instid0(VALU_DEP_1)
	v_mov_b32_e32 v4, v3
	scratch_store_b64 off, v[3:4], off offset:152
	s_wait_loadcnt 0x0
	ds_store_b64 v157, v[1:2]
.LBB60_341:
	s_wait_alu 0xfffe
	s_or_b32 exec_lo, exec_lo, s0
	s_wait_storecnt_dscnt 0x0
	s_barrier_signal -1
	s_barrier_wait -1
	global_inv scope:SCOPE_SE
	s_clause 0x4
	scratch_load_b128 v[5:8], off, off offset:160
	scratch_load_b128 v[1:4], off, off offset:176
	;; [unrolled: 1-line block ×5, first 2 shown]
	v_mov_b32_e32 v21, 0
	ds_load_b128 v[22:25], v21 offset:656
	ds_load_b128 v[26:29], v21 offset:672
	;; [unrolled: 1-line block ×3, first 2 shown]
	scratch_load_b64 v[30:31], off, off offset:152
	s_mov_b32 s0, exec_lo
	s_wait_loadcnt_dscnt 0x502
	v_mul_f32_e32 v32, v23, v6
	v_dual_mul_f32 v155, v22, v6 :: v_dual_mul_f32 v156, v24, v8
	v_mul_f32_e32 v6, v25, v8
	s_wait_loadcnt_dscnt 0x300
	v_mul_f32_e32 v162, v160, v12
	v_fma_f32 v22, v22, v5, -v32
	v_dual_fmac_f32 v155, v23, v5 :: v_dual_fmac_f32 v156, v25, v7
	v_mul_f32_e32 v25, v28, v4
	v_fma_f32 v23, v24, v7, -v6
	ds_load_b128 v[5:8], v21 offset:704
	v_mul_f32_e32 v24, v26, v2
	v_mul_f32_e32 v4, v29, v4
	;; [unrolled: 1-line block ×5, first 2 shown]
	v_dual_mul_f32 v2, v27, v2 :: v_dual_fmac_f32 v25, v29, v3
	v_fmac_f32_e32 v24, v27, v1
	v_fma_f32 v27, v28, v3, -v4
	v_fmac_f32_e32 v32, v159, v9
	v_fma_f32 v28, v158, v9, -v10
	;; [unrolled: 2-line block ×3, first 2 shown]
	ds_load_b128 v[9:12], v21 offset:720
	s_wait_loadcnt_dscnt 0x201
	v_dual_mul_f32 v159, v7, v16 :: v_dual_mul_f32 v158, v5, v14
	v_mul_f32_e32 v14, v6, v14
	v_mul_f32_e32 v16, v8, v16
	s_delay_alu instid0(VALU_DEP_3)
	v_fmac_f32_e32 v159, v8, v15
	v_fma_f32 v26, v26, v1, -v2
	scratch_load_b128 v[1:4], off, off offset:240
	v_fmac_f32_e32 v158, v6, v13
	v_fma_f32 v13, v5, v13, -v14
	v_fma_f32 v14, v7, v15, -v16
	ds_load_b128 v[5:8], v21 offset:736
	s_wait_loadcnt_dscnt 0x201
	v_mul_f32_e32 v15, v9, v18
	v_mul_f32_e32 v16, v10, v18
	;; [unrolled: 1-line block ×3, first 2 shown]
	s_delay_alu instid0(VALU_DEP_3) | instskip(NEXT) | instid1(VALU_DEP_3)
	v_dual_mul_f32 v20, v12, v20 :: v_dual_fmac_f32 v15, v10, v17
	v_fma_f32 v16, v9, v17, -v16
	s_delay_alu instid0(VALU_DEP_3) | instskip(NEXT) | instid1(VALU_DEP_3)
	v_fmac_f32_e32 v18, v12, v19
	v_fma_f32 v17, v11, v19, -v20
	scratch_load_b128 v[9:12], off, off offset:256
	s_wait_loadcnt_dscnt 0x100
	v_mul_f32_e32 v19, v5, v2
	v_mul_f32_e32 v2, v6, v2
	;; [unrolled: 1-line block ×3, first 2 shown]
	s_delay_alu instid0(VALU_DEP_3) | instskip(NEXT) | instid1(VALU_DEP_3)
	v_dual_mul_f32 v4, v8, v4 :: v_dual_fmac_f32 v19, v6, v1
	v_fma_f32 v160, v5, v1, -v2
	s_delay_alu instid0(VALU_DEP_3) | instskip(NEXT) | instid1(VALU_DEP_3)
	v_fmac_f32_e32 v20, v8, v3
	v_fma_f32 v161, v7, v3, -v4
	ds_load_b128 v[1:4], v21 offset:752
	ds_load_b128 v[5:8], v21 offset:768
	s_wait_loadcnt_dscnt 0x1
	v_mul_f32_e32 v163, v1, v10
	v_mul_f32_e32 v10, v2, v10
	s_delay_alu instid0(VALU_DEP_2) | instskip(NEXT) | instid1(VALU_DEP_2)
	v_dual_mul_f32 v164, v3, v12 :: v_dual_fmac_f32 v163, v2, v9
	v_fma_f32 v165, v1, v9, -v10
	v_mul_f32_e32 v1, v4, v12
	s_delay_alu instid0(VALU_DEP_3) | instskip(NEXT) | instid1(VALU_DEP_2)
	v_fmac_f32_e32 v164, v4, v11
	v_fma_f32 v166, v3, v11, -v1
	s_clause 0x1
	scratch_load_b128 v[1:4], off, off offset:272
	scratch_load_b128 v[9:12], off, off offset:288
	s_wait_loadcnt_dscnt 0x100
	v_mul_f32_e32 v167, v5, v2
	v_dual_mul_f32 v2, v6, v2 :: v_dual_mul_f32 v169, v7, v4
	s_delay_alu instid0(VALU_DEP_2) | instskip(NEXT) | instid1(VALU_DEP_2)
	v_fmac_f32_e32 v167, v6, v1
	v_fma_f32 v168, v5, v1, -v2
	v_mul_f32_e32 v1, v8, v4
	s_delay_alu instid0(VALU_DEP_4) | instskip(NEXT) | instid1(VALU_DEP_2)
	v_fmac_f32_e32 v169, v8, v3
	v_fma_f32 v170, v7, v3, -v1
	ds_load_b128 v[1:4], v21 offset:784
	ds_load_b128 v[5:8], v21 offset:800
	s_wait_loadcnt_dscnt 0x1
	v_mul_f32_e32 v171, v1, v10
	v_mul_f32_e32 v173, v3, v12
	s_delay_alu instid0(VALU_DEP_2) | instskip(NEXT) | instid1(VALU_DEP_2)
	v_fmac_f32_e32 v171, v2, v9
	v_dual_mul_f32 v2, v2, v10 :: v_dual_fmac_f32 v173, v4, v11
	s_delay_alu instid0(VALU_DEP_1) | instskip(SKIP_1) | instid1(VALU_DEP_1)
	v_fma_f32 v172, v1, v9, -v2
	v_mul_f32_e32 v1, v4, v12
	v_fma_f32 v174, v3, v11, -v1
	s_clause 0x1
	scratch_load_b128 v[1:4], off, off offset:304
	scratch_load_b128 v[9:12], off, off offset:320
	s_wait_loadcnt_dscnt 0x100
	v_mul_f32_e32 v175, v5, v2
	v_dual_mul_f32 v2, v6, v2 :: v_dual_mul_f32 v177, v7, v4
	s_delay_alu instid0(VALU_DEP_2) | instskip(NEXT) | instid1(VALU_DEP_2)
	v_fmac_f32_e32 v175, v6, v1
	v_fma_f32 v176, v5, v1, -v2
	v_mul_f32_e32 v1, v8, v4
	s_delay_alu instid0(VALU_DEP_4) | instskip(NEXT) | instid1(VALU_DEP_2)
	v_fmac_f32_e32 v177, v8, v3
	v_fma_f32 v178, v7, v3, -v1
	ds_load_b128 v[1:4], v21 offset:816
	ds_load_b128 v[5:8], v21 offset:832
	s_wait_loadcnt_dscnt 0x1
	v_mul_f32_e32 v179, v1, v10
	v_mul_f32_e32 v181, v3, v12
	s_delay_alu instid0(VALU_DEP_2) | instskip(NEXT) | instid1(VALU_DEP_2)
	v_fmac_f32_e32 v179, v2, v9
	v_dual_mul_f32 v2, v2, v10 :: v_dual_fmac_f32 v181, v4, v11
	s_delay_alu instid0(VALU_DEP_1) | instskip(SKIP_1) | instid1(VALU_DEP_1)
	v_fma_f32 v180, v1, v9, -v2
	v_mul_f32_e32 v1, v4, v12
	;; [unrolled: 25-line block ×4, first 2 shown]
	v_fma_f32 v198, v3, v11, -v1
	s_clause 0x1
	scratch_load_b128 v[1:4], off, off offset:400
	scratch_load_b128 v[9:12], off, off offset:416
	s_wait_loadcnt_dscnt 0x100
	v_mul_f32_e32 v199, v5, v2
	v_mul_f32_e32 v2, v6, v2
	s_delay_alu instid0(VALU_DEP_1) | instskip(SKIP_1) | instid1(VALU_DEP_1)
	v_fma_f32 v200, v5, v1, -v2
	v_add_f32_e32 v2, 0, v155
	v_add_f32_e32 v2, v2, v156
	s_delay_alu instid0(VALU_DEP_1) | instskip(NEXT) | instid1(VALU_DEP_1)
	v_add_f32_e32 v2, v2, v24
	v_add_f32_e32 v2, v2, v25
	s_delay_alu instid0(VALU_DEP_1) | instskip(NEXT) | instid1(VALU_DEP_1)
	v_add_f32_e32 v2, v2, v32
	v_add_f32_e32 v2, v2, v162
	s_delay_alu instid0(VALU_DEP_1) | instskip(NEXT) | instid1(VALU_DEP_1)
	v_add_f32_e32 v2, v2, v158
	v_add_f32_e32 v2, v2, v159
	s_delay_alu instid0(VALU_DEP_1) | instskip(NEXT) | instid1(VALU_DEP_1)
	v_add_f32_e32 v2, v2, v15
	v_add_f32_e32 v2, v2, v18
	s_delay_alu instid0(VALU_DEP_1) | instskip(NEXT) | instid1(VALU_DEP_1)
	v_add_f32_e32 v2, v2, v19
	v_add_f32_e32 v2, v2, v20
	s_delay_alu instid0(VALU_DEP_1) | instskip(SKIP_1) | instid1(VALU_DEP_2)
	v_add_f32_e32 v2, v2, v163
	v_fmac_f32_e32 v199, v6, v1
	v_add_f32_e32 v2, v2, v164
	s_delay_alu instid0(VALU_DEP_1) | instskip(NEXT) | instid1(VALU_DEP_1)
	v_dual_mul_f32 v201, v7, v4 :: v_dual_add_f32 v2, v2, v167
	v_dual_fmac_f32 v201, v8, v3 :: v_dual_add_f32 v2, v2, v169
	s_delay_alu instid0(VALU_DEP_1) | instskip(NEXT) | instid1(VALU_DEP_1)
	v_add_f32_e32 v5, v2, v171
	v_add_f32_e32 v5, v5, v173
	s_delay_alu instid0(VALU_DEP_1) | instskip(SKIP_1) | instid1(VALU_DEP_1)
	v_add_f32_e32 v5, v5, v175
	v_mul_f32_e32 v1, v8, v4
	v_fma_f32 v202, v7, v3, -v1
	v_add_f32_e32 v1, 0, v22
	s_delay_alu instid0(VALU_DEP_1) | instskip(NEXT) | instid1(VALU_DEP_1)
	v_add_f32_e32 v1, v1, v23
	v_add_f32_e32 v1, v1, v26
	s_delay_alu instid0(VALU_DEP_1) | instskip(SKIP_2) | instid1(VALU_DEP_1)
	v_add_f32_e32 v1, v1, v27
	scratch_load_b64 v[26:27], off, off offset:480
	v_add_f32_e32 v1, v1, v28
	v_add_f32_e32 v1, v1, v29
	s_delay_alu instid0(VALU_DEP_1) | instskip(NEXT) | instid1(VALU_DEP_1)
	v_add_f32_e32 v1, v1, v13
	v_add_f32_e32 v1, v1, v14
	;; [unrolled: 1-line block ×3, first 2 shown]
	s_delay_alu instid0(VALU_DEP_1) | instskip(NEXT) | instid1(VALU_DEP_1)
	v_dual_add_f32 v1, v1, v16 :: v_dual_add_f32 v14, v14, v179
	v_add_f32_e32 v1, v1, v17
	s_delay_alu instid0(VALU_DEP_1) | instskip(NEXT) | instid1(VALU_DEP_1)
	v_dual_add_f32 v14, v14, v181 :: v_dual_add_f32 v1, v1, v160
	v_add_f32_e32 v1, v1, v161
	s_delay_alu instid0(VALU_DEP_1) | instskip(NEXT) | instid1(VALU_DEP_1)
	v_add_f32_e32 v1, v1, v165
	v_add_f32_e32 v1, v1, v166
	s_delay_alu instid0(VALU_DEP_1) | instskip(NEXT) | instid1(VALU_DEP_1)
	v_add_f32_e32 v1, v1, v168
	v_add_f32_e32 v1, v1, v170
	s_delay_alu instid0(VALU_DEP_1) | instskip(NEXT) | instid1(VALU_DEP_1)
	v_add_f32_e32 v1, v1, v172
	v_add_f32_e32 v6, v1, v174
	ds_load_b128 v[1:4], v21 offset:912
	v_add_f32_e32 v17, v14, v183
	v_add_f32_e32 v6, v6, v176
	s_delay_alu instid0(VALU_DEP_1)
	v_add_f32_e32 v13, v6, v178
	ds_load_b128 v[5:8], v21 offset:928
	s_wait_loadcnt_dscnt 0x101
	v_mul_f32_e32 v32, v1, v10
	v_dual_mul_f32 v10, v2, v10 :: v_dual_mul_f32 v155, v3, v12
	v_mul_f32_e32 v12, v4, v12
	s_delay_alu instid0(VALU_DEP_3) | instskip(NEXT) | instid1(VALU_DEP_3)
	v_fmac_f32_e32 v32, v2, v9
	v_fma_f32 v156, v1, v9, -v10
	s_delay_alu instid0(VALU_DEP_4) | instskip(NEXT) | instid1(VALU_DEP_4)
	v_fmac_f32_e32 v155, v4, v11
	v_fma_f32 v158, v3, v11, -v12
	s_clause 0x1
	scratch_load_b128 v[1:4], off, off offset:432
	scratch_load_b128 v[9:12], off, off offset:448
	s_wait_loadcnt_dscnt 0x100
	v_mul_f32_e32 v162, v7, v4
	v_add_f32_e32 v13, v13, v180
	v_mul_f32_e32 v161, v5, v2
	v_mul_f32_e32 v2, v6, v2
	;; [unrolled: 1-line block ×3, first 2 shown]
	s_delay_alu instid0(VALU_DEP_4) | instskip(NEXT) | instid1(VALU_DEP_4)
	v_dual_fmac_f32 v162, v8, v3 :: v_dual_add_f32 v13, v13, v182
	v_fmac_f32_e32 v161, v6, v1
	v_add_f32_e32 v17, v17, v185
	v_fma_f32 v2, v5, v1, -v2
	v_fma_f32 v1, v7, v3, -v4
	v_add_f32_e32 v13, v13, v184
	s_delay_alu instid0(VALU_DEP_4) | instskip(NEXT) | instid1(VALU_DEP_2)
	v_add_f32_e32 v17, v17, v187
	v_add_f32_e32 v18, v13, v186
	scratch_load_b128 v[13:16], off, off offset:464
	v_dual_add_f32 v17, v17, v189 :: v_dual_add_f32 v18, v18, v188
	s_delay_alu instid0(VALU_DEP_1) | instskip(NEXT) | instid1(VALU_DEP_1)
	v_dual_add_f32 v17, v17, v191 :: v_dual_add_f32 v18, v18, v190
	v_add_f32_e32 v22, v17, v193
	s_delay_alu instid0(VALU_DEP_2) | instskip(NEXT) | instid1(VALU_DEP_2)
	v_add_f32_e32 v18, v18, v192
	v_add_f32_e32 v29, v22, v195
	ds_load_b128 v[22:25], v21 offset:960
	v_add_f32_e32 v18, v18, v194
	v_add_f32_e32 v160, v29, v197
	s_delay_alu instid0(VALU_DEP_2)
	v_add_f32_e32 v28, v18, v196
	ds_load_b128 v[17:20], v21 offset:944
	v_add_f32_e32 v160, v160, v199
	v_add_f32_e32 v159, v28, v198
	ds_load_b64 v[28:29], v21 offset:976
	v_add_f32_e32 v160, v160, v201
	s_delay_alu instid0(VALU_DEP_1) | instskip(SKIP_1) | instid1(VALU_DEP_1)
	v_add_f32_e32 v32, v160, v32
	s_wait_loadcnt_dscnt 0x101
	v_dual_add_f32 v32, v32, v155 :: v_dual_mul_f32 v3, v18, v10
	s_delay_alu instid0(VALU_DEP_1) | instskip(SKIP_2) | instid1(VALU_DEP_4)
	v_add_f32_e32 v4, v32, v161
	v_mul_f32_e32 v160, v19, v12
	v_mul_f32_e32 v5, v20, v12
	v_fma_f32 v3, v17, v9, -v3
	s_wait_dscnt 0x0
	v_mul_f32_e32 v155, v28, v27
	v_fmac_f32_e32 v160, v20, v11
	v_fma_f32 v5, v19, v11, -v5
	s_delay_alu instid0(VALU_DEP_3) | instskip(SKIP_2) | instid1(VALU_DEP_1)
	v_fmac_f32_e32 v155, v29, v26
	s_wait_loadcnt 0x0
	v_mul_f32_e32 v163, v22, v14
	v_fmac_f32_e32 v163, v23, v13
	v_add_f32_e32 v159, v159, v200
	s_delay_alu instid0(VALU_DEP_1) | instskip(NEXT) | instid1(VALU_DEP_1)
	v_add_f32_e32 v159, v159, v202
	v_dual_add_f32 v156, v159, v156 :: v_dual_mul_f32 v159, v17, v10
	s_delay_alu instid0(VALU_DEP_1) | instskip(SKIP_1) | instid1(VALU_DEP_2)
	v_dual_add_f32 v156, v156, v158 :: v_dual_fmac_f32 v159, v18, v9
	v_mul_f32_e32 v158, v24, v16
	v_add_f32_e32 v2, v156, v2
	s_delay_alu instid0(VALU_DEP_1) | instskip(SKIP_1) | instid1(VALU_DEP_2)
	v_dual_fmac_f32 v158, v25, v15 :: v_dual_add_f32 v1, v2, v1
	v_add_f32_e32 v2, v4, v162
	v_dual_mul_f32 v4, v23, v14 :: v_dual_add_f32 v1, v1, v3
	s_delay_alu instid0(VALU_DEP_2) | instskip(NEXT) | instid1(VALU_DEP_2)
	v_dual_add_f32 v2, v2, v159 :: v_dual_mul_f32 v3, v25, v16
	v_fma_f32 v4, v22, v13, -v4
	s_delay_alu instid0(VALU_DEP_2) | instskip(SKIP_1) | instid1(VALU_DEP_4)
	v_dual_add_f32 v1, v1, v5 :: v_dual_add_f32 v2, v2, v160
	v_mul_f32_e32 v5, v29, v27
	v_fma_f32 v3, v24, v15, -v3
	s_delay_alu instid0(VALU_DEP_3) | instskip(NEXT) | instid1(VALU_DEP_3)
	v_dual_add_f32 v1, v1, v4 :: v_dual_add_f32 v2, v2, v163
	v_fma_f32 v4, v28, v26, -v5
	s_delay_alu instid0(VALU_DEP_2) | instskip(NEXT) | instid1(VALU_DEP_1)
	v_dual_add_f32 v1, v1, v3 :: v_dual_add_f32 v2, v2, v158
	v_dual_add_f32 v1, v1, v4 :: v_dual_add_f32 v2, v2, v155
	s_delay_alu instid0(VALU_DEP_1)
	v_dual_sub_f32 v1, v30, v1 :: v_dual_sub_f32 v2, v31, v2
	scratch_store_b64 off, v[1:2], off offset:152
	v_cmpx_lt_u32_e32 18, v0
	s_cbranch_execz .LBB60_343
; %bb.342:
	scratch_load_b64 v[1:2], off, off offset:144
	v_mov_b32_e32 v22, v21
	scratch_store_b64 off, v[21:22], off offset:144
	s_wait_loadcnt 0x0
	ds_store_b64 v157, v[1:2]
.LBB60_343:
	s_wait_alu 0xfffe
	s_or_b32 exec_lo, exec_lo, s0
	s_wait_storecnt_dscnt 0x0
	s_barrier_signal -1
	s_barrier_wait -1
	global_inv scope:SCOPE_SE
	s_clause 0x4
	scratch_load_b128 v[5:8], off, off offset:152
	scratch_load_b128 v[1:4], off, off offset:168
	;; [unrolled: 1-line block ×5, first 2 shown]
	ds_load_2addr_b64 v[22:25], v21 offset0:81 offset1:82
	ds_load_2addr_b64 v[26:29], v21 offset0:83 offset1:84
	;; [unrolled: 1-line block ×3, first 2 shown]
	scratch_load_b64 v[30:31], off, off offset:144
	s_mov_b32 s0, exec_lo
	s_wait_loadcnt_dscnt 0x502
	v_mul_f32_e32 v32, v23, v6
	v_dual_mul_f32 v155, v22, v6 :: v_dual_mul_f32 v156, v24, v8
	v_mul_f32_e32 v6, v25, v8
	s_wait_loadcnt_dscnt 0x300
	v_mul_f32_e32 v162, v160, v12
	s_delay_alu instid0(VALU_DEP_3)
	v_dual_mul_f32 v12, v161, v12 :: v_dual_fmac_f32 v155, v23, v5
	v_fmac_f32_e32 v156, v25, v7
	v_fma_f32 v23, v24, v7, -v6
	v_mul_f32_e32 v25, v28, v4
	v_fma_f32 v22, v22, v5, -v32
	ds_load_2addr_b64 v[5:8], v21 offset0:87 offset1:88
	v_mul_f32_e32 v24, v26, v2
	v_mul_f32_e32 v4, v29, v4
	;; [unrolled: 1-line block ×4, first 2 shown]
	v_dual_mul_f32 v2, v27, v2 :: v_dual_fmac_f32 v25, v29, v3
	v_fmac_f32_e32 v24, v27, v1
	v_fma_f32 v27, v28, v3, -v4
	v_fmac_f32_e32 v32, v159, v9
	v_fma_f32 v28, v158, v9, -v10
	;; [unrolled: 2-line block ×3, first 2 shown]
	ds_load_2addr_b64 v[9:12], v21 offset0:89 offset1:90
	s_wait_loadcnt_dscnt 0x201
	v_dual_mul_f32 v159, v7, v16 :: v_dual_mul_f32 v158, v5, v14
	v_mul_f32_e32 v14, v6, v14
	v_mul_f32_e32 v16, v8, v16
	s_delay_alu instid0(VALU_DEP_3)
	v_fmac_f32_e32 v159, v8, v15
	v_fma_f32 v26, v26, v1, -v2
	scratch_load_b128 v[1:4], off, off offset:232
	v_fmac_f32_e32 v158, v6, v13
	v_fma_f32 v13, v5, v13, -v14
	v_fma_f32 v14, v7, v15, -v16
	ds_load_2addr_b64 v[5:8], v21 offset0:91 offset1:92
	s_wait_loadcnt_dscnt 0x201
	v_mul_f32_e32 v15, v9, v18
	v_mul_f32_e32 v16, v10, v18
	;; [unrolled: 1-line block ×3, first 2 shown]
	s_delay_alu instid0(VALU_DEP_3) | instskip(NEXT) | instid1(VALU_DEP_3)
	v_dual_mul_f32 v20, v12, v20 :: v_dual_fmac_f32 v15, v10, v17
	v_fma_f32 v16, v9, v17, -v16
	s_delay_alu instid0(VALU_DEP_3) | instskip(NEXT) | instid1(VALU_DEP_3)
	v_fmac_f32_e32 v18, v12, v19
	v_fma_f32 v17, v11, v19, -v20
	scratch_load_b128 v[9:12], off, off offset:248
	s_wait_loadcnt_dscnt 0x100
	v_mul_f32_e32 v19, v5, v2
	v_mul_f32_e32 v2, v6, v2
	v_mul_f32_e32 v20, v7, v4
	s_delay_alu instid0(VALU_DEP_3) | instskip(NEXT) | instid1(VALU_DEP_3)
	v_dual_mul_f32 v4, v8, v4 :: v_dual_fmac_f32 v19, v6, v1
	v_fma_f32 v160, v5, v1, -v2
	s_delay_alu instid0(VALU_DEP_3) | instskip(NEXT) | instid1(VALU_DEP_3)
	v_fmac_f32_e32 v20, v8, v3
	v_fma_f32 v161, v7, v3, -v4
	ds_load_2addr_b64 v[1:4], v21 offset0:93 offset1:94
	ds_load_2addr_b64 v[5:8], v21 offset0:95 offset1:96
	s_wait_loadcnt_dscnt 0x1
	v_mul_f32_e32 v163, v1, v10
	v_mul_f32_e32 v10, v2, v10
	s_delay_alu instid0(VALU_DEP_2) | instskip(NEXT) | instid1(VALU_DEP_2)
	v_dual_mul_f32 v164, v3, v12 :: v_dual_fmac_f32 v163, v2, v9
	v_fma_f32 v165, v1, v9, -v10
	v_mul_f32_e32 v1, v4, v12
	s_delay_alu instid0(VALU_DEP_3) | instskip(NEXT) | instid1(VALU_DEP_2)
	v_fmac_f32_e32 v164, v4, v11
	v_fma_f32 v166, v3, v11, -v1
	s_clause 0x1
	scratch_load_b128 v[1:4], off, off offset:264
	scratch_load_b128 v[9:12], off, off offset:280
	s_wait_loadcnt_dscnt 0x100
	v_mul_f32_e32 v167, v5, v2
	v_dual_mul_f32 v2, v6, v2 :: v_dual_mul_f32 v169, v7, v4
	s_delay_alu instid0(VALU_DEP_2) | instskip(NEXT) | instid1(VALU_DEP_2)
	v_fmac_f32_e32 v167, v6, v1
	v_fma_f32 v168, v5, v1, -v2
	v_mul_f32_e32 v1, v8, v4
	s_delay_alu instid0(VALU_DEP_4) | instskip(NEXT) | instid1(VALU_DEP_2)
	v_fmac_f32_e32 v169, v8, v3
	v_fma_f32 v170, v7, v3, -v1
	ds_load_2addr_b64 v[1:4], v21 offset0:97 offset1:98
	ds_load_2addr_b64 v[5:8], v21 offset0:99 offset1:100
	s_wait_loadcnt_dscnt 0x1
	v_mul_f32_e32 v171, v1, v10
	v_mul_f32_e32 v173, v3, v12
	s_delay_alu instid0(VALU_DEP_2) | instskip(NEXT) | instid1(VALU_DEP_2)
	v_fmac_f32_e32 v171, v2, v9
	v_dual_mul_f32 v2, v2, v10 :: v_dual_fmac_f32 v173, v4, v11
	s_delay_alu instid0(VALU_DEP_1) | instskip(SKIP_1) | instid1(VALU_DEP_1)
	v_fma_f32 v172, v1, v9, -v2
	v_mul_f32_e32 v1, v4, v12
	v_fma_f32 v174, v3, v11, -v1
	s_clause 0x1
	scratch_load_b128 v[1:4], off, off offset:296
	scratch_load_b128 v[9:12], off, off offset:312
	s_wait_loadcnt_dscnt 0x100
	v_mul_f32_e32 v175, v5, v2
	v_dual_mul_f32 v2, v6, v2 :: v_dual_mul_f32 v177, v7, v4
	s_delay_alu instid0(VALU_DEP_2) | instskip(NEXT) | instid1(VALU_DEP_2)
	v_fmac_f32_e32 v175, v6, v1
	v_fma_f32 v176, v5, v1, -v2
	v_mul_f32_e32 v1, v8, v4
	s_delay_alu instid0(VALU_DEP_4) | instskip(NEXT) | instid1(VALU_DEP_2)
	v_fmac_f32_e32 v177, v8, v3
	v_fma_f32 v178, v7, v3, -v1
	ds_load_2addr_b64 v[1:4], v21 offset0:101 offset1:102
	ds_load_2addr_b64 v[5:8], v21 offset0:103 offset1:104
	s_wait_loadcnt_dscnt 0x1
	v_mul_f32_e32 v179, v1, v10
	v_mul_f32_e32 v181, v3, v12
	s_delay_alu instid0(VALU_DEP_2) | instskip(NEXT) | instid1(VALU_DEP_2)
	v_fmac_f32_e32 v179, v2, v9
	v_dual_mul_f32 v2, v2, v10 :: v_dual_fmac_f32 v181, v4, v11
	s_delay_alu instid0(VALU_DEP_1) | instskip(SKIP_1) | instid1(VALU_DEP_1)
	v_fma_f32 v180, v1, v9, -v2
	v_mul_f32_e32 v1, v4, v12
	;; [unrolled: 25-line block ×4, first 2 shown]
	v_fma_f32 v198, v3, v11, -v1
	s_clause 0x1
	scratch_load_b128 v[1:4], off, off offset:392
	scratch_load_b128 v[9:12], off, off offset:408
	s_wait_loadcnt_dscnt 0x100
	v_mul_f32_e32 v199, v5, v2
	v_mul_f32_e32 v2, v6, v2
	s_delay_alu instid0(VALU_DEP_1) | instskip(SKIP_1) | instid1(VALU_DEP_1)
	v_fma_f32 v200, v5, v1, -v2
	v_add_f32_e32 v2, 0, v155
	v_add_f32_e32 v2, v2, v156
	s_delay_alu instid0(VALU_DEP_1) | instskip(NEXT) | instid1(VALU_DEP_1)
	v_add_f32_e32 v2, v2, v24
	v_add_f32_e32 v2, v2, v25
	s_delay_alu instid0(VALU_DEP_1) | instskip(NEXT) | instid1(VALU_DEP_1)
	;; [unrolled: 3-line block ×5, first 2 shown]
	v_add_f32_e32 v2, v2, v19
	v_add_f32_e32 v2, v2, v20
	v_mul_f32_e32 v201, v7, v4
	v_fmac_f32_e32 v199, v6, v1
	s_delay_alu instid0(VALU_DEP_3) | instskip(NEXT) | instid1(VALU_DEP_1)
	v_add_f32_e32 v2, v2, v163
	v_dual_fmac_f32 v201, v8, v3 :: v_dual_add_f32 v2, v2, v164
	s_delay_alu instid0(VALU_DEP_1) | instskip(NEXT) | instid1(VALU_DEP_1)
	v_dual_mul_f32 v1, v8, v4 :: v_dual_add_f32 v2, v2, v167
	v_fma_f32 v202, v7, v3, -v1
	s_delay_alu instid0(VALU_DEP_2) | instskip(NEXT) | instid1(VALU_DEP_1)
	v_dual_add_f32 v1, 0, v22 :: v_dual_add_f32 v2, v2, v169
	v_add_f32_e32 v1, v1, v23
	s_delay_alu instid0(VALU_DEP_1) | instskip(NEXT) | instid1(VALU_DEP_1)
	v_dual_add_f32 v2, v2, v171 :: v_dual_add_f32 v1, v1, v26
	v_add_f32_e32 v5, v2, v173
	s_delay_alu instid0(VALU_DEP_2) | instskip(NEXT) | instid1(VALU_DEP_1)
	v_add_f32_e32 v1, v1, v27
	v_add_f32_e32 v1, v1, v28
	s_delay_alu instid0(VALU_DEP_1) | instskip(NEXT) | instid1(VALU_DEP_1)
	v_add_f32_e32 v1, v1, v29
	v_add_f32_e32 v1, v1, v13
	;; [unrolled: 1-line block ×3, first 2 shown]
	s_delay_alu instid0(VALU_DEP_2) | instskip(NEXT) | instid1(VALU_DEP_2)
	v_add_f32_e32 v1, v1, v14
	v_add_f32_e32 v13, v13, v177
	s_delay_alu instid0(VALU_DEP_2) | instskip(NEXT) | instid1(VALU_DEP_2)
	v_add_f32_e32 v1, v1, v16
	v_add_f32_e32 v13, v13, v179
	;; [unrolled: 3-line block ×3, first 2 shown]
	s_delay_alu instid0(VALU_DEP_2) | instskip(NEXT) | instid1(VALU_DEP_1)
	v_add_f32_e32 v1, v1, v160
	v_add_f32_e32 v1, v1, v161
	s_delay_alu instid0(VALU_DEP_1) | instskip(NEXT) | instid1(VALU_DEP_1)
	v_add_f32_e32 v1, v1, v165
	v_add_f32_e32 v1, v1, v166
	s_delay_alu instid0(VALU_DEP_1) | instskip(NEXT) | instid1(VALU_DEP_1)
	;; [unrolled: 3-line block ×3, first 2 shown]
	v_add_f32_e32 v1, v1, v172
	v_add_f32_e32 v1, v1, v174
	s_delay_alu instid0(VALU_DEP_1)
	v_add_f32_e32 v6, v1, v176
	ds_load_2addr_b64 v[1:4], v21 offset0:113 offset1:114
	v_add_f32_e32 v18, v18, v183
	v_add_f32_e32 v14, v6, v178
	scratch_load_b128 v[5:8], off, off offset:424
	v_add_f32_e32 v18, v18, v185
	v_add_f32_e32 v14, v14, v180
	s_delay_alu instid0(VALU_DEP_1)
	v_add_f32_e32 v17, v14, v182
	ds_load_2addr_b64 v[13:16], v21 offset0:115 offset1:116
	s_wait_loadcnt_dscnt 0x101
	v_mul_f32_e32 v25, v1, v10
	v_mul_f32_e32 v10, v2, v10
	;; [unrolled: 1-line block ×4, first 2 shown]
	v_add_f32_e32 v22, v18, v187
	v_fmac_f32_e32 v25, v2, v9
	v_fma_f32 v27, v1, v9, -v10
	v_fmac_f32_e32 v26, v4, v11
	v_fma_f32 v28, v3, v11, -v12
	s_clause 0x1
	scratch_load_b128 v[1:4], off, off offset:440
	scratch_load_b128 v[9:12], off, off offset:456
	v_add_f32_e32 v22, v22, v189
	s_wait_loadcnt_dscnt 0x200
	s_delay_alu instid0(VALU_DEP_1) | instskip(SKIP_2) | instid1(VALU_DEP_3)
	v_dual_add_f32 v22, v22, v191 :: v_dual_mul_f32 v29, v13, v6
	v_mul_f32_e32 v6, v14, v6
	v_mul_f32_e32 v32, v15, v8
	v_dual_mul_f32 v8, v16, v8 :: v_dual_fmac_f32 v29, v14, v5
	s_delay_alu instid0(VALU_DEP_3) | instskip(NEXT) | instid1(VALU_DEP_3)
	v_fma_f32 v155, v13, v5, -v6
	v_fmac_f32_e32 v32, v16, v7
	s_delay_alu instid0(VALU_DEP_3) | instskip(SKIP_3) | instid1(VALU_DEP_2)
	v_fma_f32 v156, v15, v7, -v8
	ds_load_2addr_b64 v[5:8], v21 offset0:117 offset1:118
	v_add_f32_e32 v17, v17, v184
	v_add_f32_e32 v13, v22, v193
	;; [unrolled: 1-line block ×3, first 2 shown]
	s_delay_alu instid0(VALU_DEP_1) | instskip(NEXT) | instid1(VALU_DEP_1)
	v_add_f32_e32 v17, v17, v188
	v_add_f32_e32 v23, v17, v190
	scratch_load_b128 v[17:20], off, off offset:472
	v_add_f32_e32 v23, v23, v192
	s_delay_alu instid0(VALU_DEP_1) | instskip(NEXT) | instid1(VALU_DEP_1)
	v_add_f32_e32 v23, v23, v194
	v_dual_add_f32 v22, v23, v196 :: v_dual_add_f32 v23, v13, v195
	ds_load_2addr_b64 v[13:16], v21 offset0:119 offset1:120
	s_wait_loadcnt_dscnt 0x201
	v_mul_f32_e32 v160, v5, v2
	v_mul_f32_e32 v2, v6, v2
	v_dual_add_f32 v158, v22, v198 :: v_dual_add_f32 v159, v23, v197
	ds_load_2addr_b64 v[21:24], v21 offset0:121 offset1:122
	v_fmac_f32_e32 v160, v6, v1
	v_fma_f32 v2, v5, v1, -v2
	v_add_f32_e32 v158, v158, v200
	s_delay_alu instid0(VALU_DEP_1) | instskip(NEXT) | instid1(VALU_DEP_1)
	v_add_f32_e32 v158, v158, v202
	v_dual_add_f32 v27, v158, v27 :: v_dual_mul_f32 v158, v7, v4
	v_mul_f32_e32 v4, v8, v4
	s_wait_loadcnt_dscnt 0x101
	v_dual_mul_f32 v6, v14, v10 :: v_dual_mul_f32 v161, v15, v12
	s_delay_alu instid0(VALU_DEP_3) | instskip(NEXT) | instid1(VALU_DEP_3)
	v_dual_add_f32 v27, v27, v28 :: v_dual_fmac_f32 v158, v8, v3
	v_fma_f32 v3, v7, v3, -v4
	v_mul_f32_e32 v4, v16, v12
	s_delay_alu instid0(VALU_DEP_4) | instskip(NEXT) | instid1(VALU_DEP_4)
	v_fmac_f32_e32 v161, v16, v11
	v_add_f32_e32 v27, v27, v155
	s_delay_alu instid0(VALU_DEP_3) | instskip(NEXT) | instid1(VALU_DEP_2)
	v_fma_f32 v4, v15, v11, -v4
	v_add_f32_e32 v1, v27, v156
	s_delay_alu instid0(VALU_DEP_1) | instskip(SKIP_1) | instid1(VALU_DEP_1)
	v_add_f32_e32 v1, v1, v2
	s_wait_loadcnt_dscnt 0x0
	v_dual_add_f32 v1, v1, v3 :: v_dual_mul_f32 v28, v23, v20
	s_delay_alu instid0(VALU_DEP_1) | instskip(SKIP_1) | instid1(VALU_DEP_2)
	v_dual_mul_f32 v3, v22, v18 :: v_dual_fmac_f32 v28, v24, v19
	v_add_f32_e32 v159, v159, v199
	v_fma_f32 v3, v21, v17, -v3
	s_delay_alu instid0(VALU_DEP_2) | instskip(NEXT) | instid1(VALU_DEP_1)
	v_add_f32_e32 v159, v159, v201
	v_add_f32_e32 v25, v159, v25
	v_mul_f32_e32 v159, v13, v10
	s_delay_alu instid0(VALU_DEP_2) | instskip(NEXT) | instid1(VALU_DEP_2)
	v_add_f32_e32 v25, v25, v26
	v_dual_fmac_f32 v159, v14, v9 :: v_dual_mul_f32 v26, v21, v18
	s_delay_alu instid0(VALU_DEP_2) | instskip(NEXT) | instid1(VALU_DEP_1)
	v_add_f32_e32 v25, v25, v29
	v_dual_fmac_f32 v26, v22, v17 :: v_dual_add_f32 v5, v25, v32
	s_delay_alu instid0(VALU_DEP_1) | instskip(SKIP_1) | instid1(VALU_DEP_1)
	v_add_f32_e32 v2, v5, v160
	v_fma_f32 v5, v13, v9, -v6
	v_dual_add_f32 v2, v2, v158 :: v_dual_add_f32 v1, v1, v5
	s_delay_alu instid0(VALU_DEP_1) | instskip(NEXT) | instid1(VALU_DEP_2)
	v_dual_mul_f32 v5, v24, v20 :: v_dual_add_f32 v2, v2, v159
	v_add_f32_e32 v1, v1, v4
	s_delay_alu instid0(VALU_DEP_2) | instskip(NEXT) | instid1(VALU_DEP_2)
	v_fma_f32 v4, v23, v19, -v5
	v_dual_add_f32 v2, v2, v161 :: v_dual_add_f32 v1, v1, v3
	s_delay_alu instid0(VALU_DEP_1) | instskip(NEXT) | instid1(VALU_DEP_1)
	v_dual_add_f32 v2, v2, v26 :: v_dual_add_f32 v1, v1, v4
	v_add_f32_e32 v2, v2, v28
	s_delay_alu instid0(VALU_DEP_1)
	v_dual_sub_f32 v1, v30, v1 :: v_dual_sub_f32 v2, v31, v2
	scratch_store_b64 off, v[1:2], off offset:144
	v_cmpx_lt_u32_e32 17, v0
	s_cbranch_execz .LBB60_345
; %bb.344:
	scratch_load_b64 v[1:2], off, off offset:136
	v_mov_b32_e32 v3, 0
	s_delay_alu instid0(VALU_DEP_1)
	v_mov_b32_e32 v4, v3
	scratch_store_b64 off, v[3:4], off offset:136
	s_wait_loadcnt 0x0
	ds_store_b64 v157, v[1:2]
.LBB60_345:
	s_wait_alu 0xfffe
	s_or_b32 exec_lo, exec_lo, s0
	s_wait_storecnt_dscnt 0x0
	s_barrier_signal -1
	s_barrier_wait -1
	global_inv scope:SCOPE_SE
	s_clause 0x4
	scratch_load_b128 v[5:8], off, off offset:144
	scratch_load_b128 v[1:4], off, off offset:160
	;; [unrolled: 1-line block ×5, first 2 shown]
	v_mov_b32_e32 v21, 0
	ds_load_b128 v[22:25], v21 offset:640
	ds_load_b128 v[26:29], v21 offset:656
	;; [unrolled: 1-line block ×3, first 2 shown]
	scratch_load_b64 v[30:31], off, off offset:136
	s_mov_b32 s0, exec_lo
	s_wait_loadcnt_dscnt 0x502
	v_mul_f32_e32 v32, v23, v6
	v_dual_mul_f32 v155, v22, v6 :: v_dual_mul_f32 v156, v24, v8
	v_mul_f32_e32 v6, v25, v8
	s_wait_loadcnt_dscnt 0x300
	v_mul_f32_e32 v162, v160, v12
	v_fma_f32 v22, v22, v5, -v32
	v_dual_fmac_f32 v155, v23, v5 :: v_dual_fmac_f32 v156, v25, v7
	v_mul_f32_e32 v25, v28, v4
	v_fma_f32 v23, v24, v7, -v6
	ds_load_b128 v[5:8], v21 offset:688
	v_mul_f32_e32 v24, v26, v2
	v_mul_f32_e32 v4, v29, v4
	;; [unrolled: 1-line block ×5, first 2 shown]
	v_dual_mul_f32 v2, v27, v2 :: v_dual_fmac_f32 v25, v29, v3
	v_fmac_f32_e32 v24, v27, v1
	v_fma_f32 v27, v28, v3, -v4
	v_fmac_f32_e32 v32, v159, v9
	v_fma_f32 v28, v158, v9, -v10
	;; [unrolled: 2-line block ×3, first 2 shown]
	ds_load_b128 v[9:12], v21 offset:704
	s_wait_loadcnt_dscnt 0x201
	v_dual_mul_f32 v159, v7, v16 :: v_dual_mul_f32 v158, v5, v14
	v_mul_f32_e32 v14, v6, v14
	v_mul_f32_e32 v16, v8, v16
	s_delay_alu instid0(VALU_DEP_3)
	v_fmac_f32_e32 v159, v8, v15
	v_fma_f32 v26, v26, v1, -v2
	scratch_load_b128 v[1:4], off, off offset:224
	v_fmac_f32_e32 v158, v6, v13
	v_fma_f32 v13, v5, v13, -v14
	v_fma_f32 v14, v7, v15, -v16
	ds_load_b128 v[5:8], v21 offset:720
	s_wait_loadcnt_dscnt 0x201
	v_mul_f32_e32 v15, v9, v18
	v_mul_f32_e32 v16, v10, v18
	;; [unrolled: 1-line block ×3, first 2 shown]
	s_delay_alu instid0(VALU_DEP_3) | instskip(NEXT) | instid1(VALU_DEP_3)
	v_dual_mul_f32 v20, v12, v20 :: v_dual_fmac_f32 v15, v10, v17
	v_fma_f32 v16, v9, v17, -v16
	s_delay_alu instid0(VALU_DEP_3) | instskip(NEXT) | instid1(VALU_DEP_3)
	v_fmac_f32_e32 v18, v12, v19
	v_fma_f32 v17, v11, v19, -v20
	scratch_load_b128 v[9:12], off, off offset:240
	s_wait_loadcnt_dscnt 0x100
	v_mul_f32_e32 v19, v5, v2
	v_mul_f32_e32 v2, v6, v2
	;; [unrolled: 1-line block ×3, first 2 shown]
	s_delay_alu instid0(VALU_DEP_3) | instskip(NEXT) | instid1(VALU_DEP_3)
	v_dual_mul_f32 v4, v8, v4 :: v_dual_fmac_f32 v19, v6, v1
	v_fma_f32 v160, v5, v1, -v2
	s_delay_alu instid0(VALU_DEP_3) | instskip(NEXT) | instid1(VALU_DEP_3)
	v_fmac_f32_e32 v20, v8, v3
	v_fma_f32 v161, v7, v3, -v4
	ds_load_b128 v[1:4], v21 offset:736
	ds_load_b128 v[5:8], v21 offset:752
	s_wait_loadcnt_dscnt 0x1
	v_mul_f32_e32 v163, v1, v10
	v_mul_f32_e32 v10, v2, v10
	s_delay_alu instid0(VALU_DEP_2) | instskip(NEXT) | instid1(VALU_DEP_2)
	v_dual_mul_f32 v164, v3, v12 :: v_dual_fmac_f32 v163, v2, v9
	v_fma_f32 v165, v1, v9, -v10
	v_mul_f32_e32 v1, v4, v12
	s_delay_alu instid0(VALU_DEP_3) | instskip(NEXT) | instid1(VALU_DEP_2)
	v_fmac_f32_e32 v164, v4, v11
	v_fma_f32 v166, v3, v11, -v1
	s_clause 0x1
	scratch_load_b128 v[1:4], off, off offset:256
	scratch_load_b128 v[9:12], off, off offset:272
	s_wait_loadcnt_dscnt 0x100
	v_mul_f32_e32 v167, v5, v2
	v_dual_mul_f32 v2, v6, v2 :: v_dual_mul_f32 v169, v7, v4
	s_delay_alu instid0(VALU_DEP_2) | instskip(NEXT) | instid1(VALU_DEP_2)
	v_fmac_f32_e32 v167, v6, v1
	v_fma_f32 v168, v5, v1, -v2
	v_mul_f32_e32 v1, v8, v4
	s_delay_alu instid0(VALU_DEP_4) | instskip(NEXT) | instid1(VALU_DEP_2)
	v_fmac_f32_e32 v169, v8, v3
	v_fma_f32 v170, v7, v3, -v1
	ds_load_b128 v[1:4], v21 offset:768
	ds_load_b128 v[5:8], v21 offset:784
	s_wait_loadcnt_dscnt 0x1
	v_mul_f32_e32 v171, v1, v10
	v_mul_f32_e32 v173, v3, v12
	s_delay_alu instid0(VALU_DEP_2) | instskip(NEXT) | instid1(VALU_DEP_2)
	v_fmac_f32_e32 v171, v2, v9
	v_dual_mul_f32 v2, v2, v10 :: v_dual_fmac_f32 v173, v4, v11
	s_delay_alu instid0(VALU_DEP_1) | instskip(SKIP_1) | instid1(VALU_DEP_1)
	v_fma_f32 v172, v1, v9, -v2
	v_mul_f32_e32 v1, v4, v12
	v_fma_f32 v174, v3, v11, -v1
	s_clause 0x1
	scratch_load_b128 v[1:4], off, off offset:288
	scratch_load_b128 v[9:12], off, off offset:304
	s_wait_loadcnt_dscnt 0x100
	v_mul_f32_e32 v175, v5, v2
	v_dual_mul_f32 v2, v6, v2 :: v_dual_mul_f32 v177, v7, v4
	s_delay_alu instid0(VALU_DEP_2) | instskip(NEXT) | instid1(VALU_DEP_2)
	v_fmac_f32_e32 v175, v6, v1
	v_fma_f32 v176, v5, v1, -v2
	v_mul_f32_e32 v1, v8, v4
	s_delay_alu instid0(VALU_DEP_4) | instskip(NEXT) | instid1(VALU_DEP_2)
	v_fmac_f32_e32 v177, v8, v3
	v_fma_f32 v178, v7, v3, -v1
	ds_load_b128 v[1:4], v21 offset:800
	ds_load_b128 v[5:8], v21 offset:816
	s_wait_loadcnt_dscnt 0x1
	v_mul_f32_e32 v179, v1, v10
	v_mul_f32_e32 v181, v3, v12
	s_delay_alu instid0(VALU_DEP_2) | instskip(NEXT) | instid1(VALU_DEP_2)
	v_fmac_f32_e32 v179, v2, v9
	v_dual_mul_f32 v2, v2, v10 :: v_dual_fmac_f32 v181, v4, v11
	s_delay_alu instid0(VALU_DEP_1) | instskip(SKIP_1) | instid1(VALU_DEP_1)
	v_fma_f32 v180, v1, v9, -v2
	v_mul_f32_e32 v1, v4, v12
	;; [unrolled: 25-line block ×4, first 2 shown]
	v_fma_f32 v198, v3, v11, -v1
	s_clause 0x1
	scratch_load_b128 v[1:4], off, off offset:384
	scratch_load_b128 v[9:12], off, off offset:400
	s_wait_loadcnt_dscnt 0x100
	v_mul_f32_e32 v199, v5, v2
	v_mul_f32_e32 v2, v6, v2
	s_delay_alu instid0(VALU_DEP_1) | instskip(SKIP_1) | instid1(VALU_DEP_1)
	v_fma_f32 v200, v5, v1, -v2
	v_add_f32_e32 v2, 0, v155
	v_add_f32_e32 v2, v2, v156
	s_delay_alu instid0(VALU_DEP_1) | instskip(NEXT) | instid1(VALU_DEP_1)
	v_add_f32_e32 v2, v2, v24
	v_add_f32_e32 v2, v2, v25
	s_delay_alu instid0(VALU_DEP_1) | instskip(NEXT) | instid1(VALU_DEP_1)
	;; [unrolled: 3-line block ×5, first 2 shown]
	v_add_f32_e32 v2, v2, v19
	v_add_f32_e32 v2, v2, v20
	s_delay_alu instid0(VALU_DEP_1) | instskip(SKIP_1) | instid1(VALU_DEP_2)
	v_add_f32_e32 v2, v2, v163
	v_fmac_f32_e32 v199, v6, v1
	v_add_f32_e32 v2, v2, v164
	s_delay_alu instid0(VALU_DEP_1) | instskip(NEXT) | instid1(VALU_DEP_1)
	v_dual_mul_f32 v201, v7, v4 :: v_dual_add_f32 v2, v2, v167
	v_dual_fmac_f32 v201, v8, v3 :: v_dual_add_f32 v2, v2, v169
	s_delay_alu instid0(VALU_DEP_1) | instskip(NEXT) | instid1(VALU_DEP_1)
	v_dual_mul_f32 v1, v8, v4 :: v_dual_add_f32 v2, v2, v171
	v_fma_f32 v202, v7, v3, -v1
	v_add_f32_e32 v1, 0, v22
	s_delay_alu instid0(VALU_DEP_3) | instskip(NEXT) | instid1(VALU_DEP_2)
	v_add_f32_e32 v5, v2, v173
	v_add_f32_e32 v1, v1, v23
	s_delay_alu instid0(VALU_DEP_1) | instskip(NEXT) | instid1(VALU_DEP_1)
	v_add_f32_e32 v1, v1, v26
	v_add_f32_e32 v1, v1, v27
	scratch_load_b64 v[26:27], off, off offset:480
	v_add_f32_e32 v1, v1, v28
	s_delay_alu instid0(VALU_DEP_1) | instskip(NEXT) | instid1(VALU_DEP_1)
	v_add_f32_e32 v1, v1, v29
	v_add_f32_e32 v1, v1, v13
	;; [unrolled: 1-line block ×3, first 2 shown]
	s_delay_alu instid0(VALU_DEP_2) | instskip(NEXT) | instid1(VALU_DEP_2)
	v_add_f32_e32 v1, v1, v14
	v_add_f32_e32 v13, v13, v177
	s_delay_alu instid0(VALU_DEP_2) | instskip(NEXT) | instid1(VALU_DEP_2)
	v_add_f32_e32 v1, v1, v16
	v_add_f32_e32 v13, v13, v179
	;; [unrolled: 3-line block ×3, first 2 shown]
	s_delay_alu instid0(VALU_DEP_2) | instskip(NEXT) | instid1(VALU_DEP_1)
	v_add_f32_e32 v1, v1, v160
	v_add_f32_e32 v1, v1, v161
	s_delay_alu instid0(VALU_DEP_1) | instskip(NEXT) | instid1(VALU_DEP_1)
	v_add_f32_e32 v1, v1, v165
	v_add_f32_e32 v1, v1, v166
	s_delay_alu instid0(VALU_DEP_1) | instskip(NEXT) | instid1(VALU_DEP_1)
	;; [unrolled: 3-line block ×3, first 2 shown]
	v_add_f32_e32 v1, v1, v172
	v_add_f32_e32 v1, v1, v174
	s_delay_alu instid0(VALU_DEP_1)
	v_add_f32_e32 v6, v1, v176
	scratch_load_b128 v[1:4], off, off offset:416
	v_add_f32_e32 v18, v18, v183
	v_add_f32_e32 v14, v6, v178
	ds_load_b128 v[5:8], v21 offset:896
	v_add_f32_e32 v18, v18, v185
	v_add_f32_e32 v14, v14, v180
	s_delay_alu instid0(VALU_DEP_1)
	v_add_f32_e32 v17, v14, v182
	ds_load_b128 v[13:16], v21 offset:912
	s_wait_loadcnt_dscnt 0x201
	v_mul_f32_e32 v32, v5, v10
	v_add_f32_e32 v22, v18, v187
	v_dual_mul_f32 v10, v6, v10 :: v_dual_mul_f32 v155, v7, v12
	v_mul_f32_e32 v12, v8, v12
	s_delay_alu instid0(VALU_DEP_4) | instskip(NEXT) | instid1(VALU_DEP_4)
	v_fmac_f32_e32 v32, v6, v9
	v_add_f32_e32 v22, v22, v189
	s_delay_alu instid0(VALU_DEP_4)
	v_fma_f32 v156, v5, v9, -v10
	v_fmac_f32_e32 v155, v8, v11
	v_fma_f32 v158, v7, v11, -v12
	scratch_load_b128 v[5:8], off, off offset:432
	v_add_f32_e32 v22, v22, v191
	scratch_load_b128 v[9:12], off, off offset:448
	s_wait_loadcnt_dscnt 0x200
	v_dual_add_f32 v22, v22, v193 :: v_dual_mul_f32 v159, v13, v2
	v_mul_f32_e32 v2, v14, v2
	v_mul_f32_e32 v160, v15, v4
	s_delay_alu instid0(VALU_DEP_3) | instskip(NEXT) | instid1(VALU_DEP_3)
	v_dual_mul_f32 v4, v16, v4 :: v_dual_fmac_f32 v159, v14, v1
	v_fma_f32 v161, v13, v1, -v2
	v_add_f32_e32 v13, v22, v195
	s_delay_alu instid0(VALU_DEP_3) | instskip(SKIP_3) | instid1(VALU_DEP_1)
	v_fma_f32 v162, v15, v3, -v4
	v_fmac_f32_e32 v160, v16, v3
	ds_load_b128 v[1:4], v21 offset:928
	v_add_f32_e32 v22, v13, v197
	v_add_f32_e32 v29, v22, v199
	s_delay_alu instid0(VALU_DEP_1) | instskip(NEXT) | instid1(VALU_DEP_1)
	v_add_f32_e32 v164, v29, v201
	v_add_f32_e32 v32, v164, v32
	s_delay_alu instid0(VALU_DEP_1) | instskip(NEXT) | instid1(VALU_DEP_1)
	v_dual_add_f32 v32, v32, v155 :: v_dual_add_f32 v17, v17, v184
	v_dual_add_f32 v32, v32, v159 :: v_dual_add_f32 v17, v17, v186
	s_delay_alu instid0(VALU_DEP_1) | instskip(NEXT) | instid1(VALU_DEP_2)
	v_add_f32_e32 v32, v32, v160
	v_add_f32_e32 v17, v17, v188
	s_delay_alu instid0(VALU_DEP_1) | instskip(SKIP_2) | instid1(VALU_DEP_1)
	v_add_f32_e32 v23, v17, v190
	scratch_load_b128 v[17:20], off, off offset:464
	v_add_f32_e32 v23, v23, v192
	v_add_f32_e32 v23, v23, v194
	s_delay_alu instid0(VALU_DEP_1) | instskip(NEXT) | instid1(VALU_DEP_1)
	v_add_f32_e32 v23, v23, v196
	v_add_f32_e32 v14, v23, v198
	ds_load_b128 v[22:25], v21 offset:960
	v_add_f32_e32 v28, v14, v200
	ds_load_b128 v[13:16], v21 offset:944
	s_wait_loadcnt_dscnt 0x100
	v_mul_f32_e32 v159, v15, v12
	s_delay_alu instid0(VALU_DEP_1) | instskip(SKIP_3) | instid1(VALU_DEP_1)
	v_fmac_f32_e32 v159, v16, v11
	v_add_f32_e32 v163, v28, v202
	ds_load_b64 v[28:29], v21 offset:976
	v_add_f32_e32 v156, v163, v156
	v_add_f32_e32 v156, v156, v158
	v_mul_f32_e32 v158, v13, v10
	s_delay_alu instid0(VALU_DEP_2) | instskip(NEXT) | instid1(VALU_DEP_2)
	v_add_f32_e32 v156, v156, v161
	v_dual_fmac_f32 v158, v14, v9 :: v_dual_mul_f32 v155, v3, v8
	v_mul_f32_e32 v8, v4, v8
	s_delay_alu instid0(VALU_DEP_3) | instskip(SKIP_2) | instid1(VALU_DEP_1)
	v_add_f32_e32 v156, v156, v162
	s_wait_dscnt 0x0
	v_mul_f32_e32 v160, v28, v27
	v_fmac_f32_e32 v160, v29, v26
	s_wait_loadcnt 0x0
	v_dual_mul_f32 v161, v22, v18 :: v_dual_mul_f32 v162, v24, v20
	s_delay_alu instid0(VALU_DEP_1) | instskip(SKIP_2) | instid1(VALU_DEP_4)
	v_fmac_f32_e32 v161, v23, v17
	v_mul_f32_e32 v163, v1, v6
	v_mul_f32_e32 v6, v2, v6
	v_fmac_f32_e32 v162, v25, v19
	v_fmac_f32_e32 v155, v4, v7
	s_delay_alu instid0(VALU_DEP_4) | instskip(NEXT) | instid1(VALU_DEP_4)
	v_fmac_f32_e32 v163, v2, v5
	v_fma_f32 v1, v1, v5, -v6
	v_fma_f32 v2, v3, v7, -v8
	v_mul_f32_e32 v3, v14, v10
	v_mul_f32_e32 v5, v16, v12
	v_add_f32_e32 v4, v32, v163
	v_add_f32_e32 v1, v156, v1
	s_delay_alu instid0(VALU_DEP_4) | instskip(NEXT) | instid1(VALU_DEP_4)
	v_fma_f32 v3, v13, v9, -v3
	v_fma_f32 v5, v15, v11, -v5
	s_delay_alu instid0(VALU_DEP_3) | instskip(NEXT) | instid1(VALU_DEP_1)
	v_dual_add_f32 v1, v1, v2 :: v_dual_add_f32 v2, v4, v155
	v_dual_mul_f32 v4, v23, v18 :: v_dual_add_f32 v1, v1, v3
	s_delay_alu instid0(VALU_DEP_2) | instskip(NEXT) | instid1(VALU_DEP_2)
	v_dual_add_f32 v2, v2, v158 :: v_dual_mul_f32 v3, v25, v20
	v_fma_f32 v4, v22, v17, -v4
	s_delay_alu instid0(VALU_DEP_2) | instskip(SKIP_1) | instid1(VALU_DEP_4)
	v_dual_add_f32 v1, v1, v5 :: v_dual_add_f32 v2, v2, v159
	v_mul_f32_e32 v5, v29, v27
	v_fma_f32 v3, v24, v19, -v3
	s_delay_alu instid0(VALU_DEP_3) | instskip(NEXT) | instid1(VALU_DEP_3)
	v_dual_add_f32 v1, v1, v4 :: v_dual_add_f32 v2, v2, v161
	v_fma_f32 v4, v28, v26, -v5
	s_delay_alu instid0(VALU_DEP_2) | instskip(NEXT) | instid1(VALU_DEP_1)
	v_dual_add_f32 v1, v1, v3 :: v_dual_add_f32 v2, v2, v162
	v_add_f32_e32 v1, v1, v4
	s_delay_alu instid0(VALU_DEP_2) | instskip(NEXT) | instid1(VALU_DEP_1)
	v_add_f32_e32 v2, v2, v160
	v_dual_sub_f32 v1, v30, v1 :: v_dual_sub_f32 v2, v31, v2
	scratch_store_b64 off, v[1:2], off offset:136
	v_cmpx_lt_u32_e32 16, v0
	s_cbranch_execz .LBB60_347
; %bb.346:
	scratch_load_b64 v[1:2], off, off offset:128
	v_mov_b32_e32 v22, v21
	scratch_store_b64 off, v[21:22], off offset:128
	s_wait_loadcnt 0x0
	ds_store_b64 v157, v[1:2]
.LBB60_347:
	s_wait_alu 0xfffe
	s_or_b32 exec_lo, exec_lo, s0
	s_wait_storecnt_dscnt 0x0
	s_barrier_signal -1
	s_barrier_wait -1
	global_inv scope:SCOPE_SE
	s_clause 0x4
	scratch_load_b128 v[5:8], off, off offset:136
	scratch_load_b128 v[1:4], off, off offset:152
	;; [unrolled: 1-line block ×5, first 2 shown]
	ds_load_2addr_b64 v[22:25], v21 offset0:79 offset1:80
	ds_load_2addr_b64 v[26:29], v21 offset0:81 offset1:82
	;; [unrolled: 1-line block ×3, first 2 shown]
	scratch_load_b64 v[30:31], off, off offset:128
	s_mov_b32 s0, exec_lo
	s_wait_loadcnt_dscnt 0x502
	v_mul_f32_e32 v32, v23, v6
	v_dual_mul_f32 v155, v22, v6 :: v_dual_mul_f32 v156, v24, v8
	v_mul_f32_e32 v6, v25, v8
	s_wait_loadcnt_dscnt 0x300
	v_mul_f32_e32 v162, v160, v12
	s_delay_alu instid0(VALU_DEP_3)
	v_dual_mul_f32 v12, v161, v12 :: v_dual_fmac_f32 v155, v23, v5
	v_fmac_f32_e32 v156, v25, v7
	v_fma_f32 v23, v24, v7, -v6
	v_mul_f32_e32 v25, v28, v4
	v_fma_f32 v22, v22, v5, -v32
	ds_load_2addr_b64 v[5:8], v21 offset0:85 offset1:86
	v_mul_f32_e32 v24, v26, v2
	v_mul_f32_e32 v4, v29, v4
	;; [unrolled: 1-line block ×4, first 2 shown]
	v_dual_mul_f32 v2, v27, v2 :: v_dual_fmac_f32 v25, v29, v3
	v_fmac_f32_e32 v24, v27, v1
	v_fma_f32 v27, v28, v3, -v4
	v_fmac_f32_e32 v32, v159, v9
	v_fma_f32 v28, v158, v9, -v10
	;; [unrolled: 2-line block ×3, first 2 shown]
	ds_load_2addr_b64 v[9:12], v21 offset0:87 offset1:88
	s_wait_loadcnt_dscnt 0x201
	v_dual_mul_f32 v159, v7, v16 :: v_dual_mul_f32 v158, v5, v14
	v_mul_f32_e32 v14, v6, v14
	v_mul_f32_e32 v16, v8, v16
	s_delay_alu instid0(VALU_DEP_3)
	v_fmac_f32_e32 v159, v8, v15
	v_fma_f32 v26, v26, v1, -v2
	scratch_load_b128 v[1:4], off, off offset:216
	v_fmac_f32_e32 v158, v6, v13
	v_fma_f32 v13, v5, v13, -v14
	v_fma_f32 v14, v7, v15, -v16
	ds_load_2addr_b64 v[5:8], v21 offset0:89 offset1:90
	s_wait_loadcnt_dscnt 0x201
	v_mul_f32_e32 v15, v9, v18
	v_mul_f32_e32 v16, v10, v18
	;; [unrolled: 1-line block ×3, first 2 shown]
	s_delay_alu instid0(VALU_DEP_3) | instskip(NEXT) | instid1(VALU_DEP_3)
	v_dual_mul_f32 v20, v12, v20 :: v_dual_fmac_f32 v15, v10, v17
	v_fma_f32 v16, v9, v17, -v16
	s_delay_alu instid0(VALU_DEP_3) | instskip(NEXT) | instid1(VALU_DEP_3)
	v_fmac_f32_e32 v18, v12, v19
	v_fma_f32 v17, v11, v19, -v20
	scratch_load_b128 v[9:12], off, off offset:232
	s_wait_loadcnt_dscnt 0x100
	v_mul_f32_e32 v19, v5, v2
	v_mul_f32_e32 v2, v6, v2
	;; [unrolled: 1-line block ×3, first 2 shown]
	s_delay_alu instid0(VALU_DEP_3) | instskip(NEXT) | instid1(VALU_DEP_3)
	v_dual_mul_f32 v4, v8, v4 :: v_dual_fmac_f32 v19, v6, v1
	v_fma_f32 v160, v5, v1, -v2
	s_delay_alu instid0(VALU_DEP_3) | instskip(NEXT) | instid1(VALU_DEP_3)
	v_fmac_f32_e32 v20, v8, v3
	v_fma_f32 v161, v7, v3, -v4
	ds_load_2addr_b64 v[1:4], v21 offset0:91 offset1:92
	ds_load_2addr_b64 v[5:8], v21 offset0:93 offset1:94
	s_wait_loadcnt_dscnt 0x1
	v_mul_f32_e32 v163, v1, v10
	v_mul_f32_e32 v10, v2, v10
	s_delay_alu instid0(VALU_DEP_2) | instskip(NEXT) | instid1(VALU_DEP_2)
	v_dual_mul_f32 v164, v3, v12 :: v_dual_fmac_f32 v163, v2, v9
	v_fma_f32 v165, v1, v9, -v10
	v_mul_f32_e32 v1, v4, v12
	s_delay_alu instid0(VALU_DEP_3) | instskip(NEXT) | instid1(VALU_DEP_2)
	v_fmac_f32_e32 v164, v4, v11
	v_fma_f32 v166, v3, v11, -v1
	s_clause 0x1
	scratch_load_b128 v[1:4], off, off offset:248
	scratch_load_b128 v[9:12], off, off offset:264
	s_wait_loadcnt_dscnt 0x100
	v_mul_f32_e32 v167, v5, v2
	v_dual_mul_f32 v2, v6, v2 :: v_dual_mul_f32 v169, v7, v4
	s_delay_alu instid0(VALU_DEP_2) | instskip(NEXT) | instid1(VALU_DEP_2)
	v_fmac_f32_e32 v167, v6, v1
	v_fma_f32 v168, v5, v1, -v2
	v_mul_f32_e32 v1, v8, v4
	s_delay_alu instid0(VALU_DEP_4) | instskip(NEXT) | instid1(VALU_DEP_2)
	v_fmac_f32_e32 v169, v8, v3
	v_fma_f32 v170, v7, v3, -v1
	ds_load_2addr_b64 v[1:4], v21 offset0:95 offset1:96
	ds_load_2addr_b64 v[5:8], v21 offset0:97 offset1:98
	s_wait_loadcnt_dscnt 0x1
	v_mul_f32_e32 v171, v1, v10
	v_mul_f32_e32 v173, v3, v12
	s_delay_alu instid0(VALU_DEP_2) | instskip(NEXT) | instid1(VALU_DEP_2)
	v_fmac_f32_e32 v171, v2, v9
	v_dual_mul_f32 v2, v2, v10 :: v_dual_fmac_f32 v173, v4, v11
	s_delay_alu instid0(VALU_DEP_1) | instskip(SKIP_1) | instid1(VALU_DEP_1)
	v_fma_f32 v172, v1, v9, -v2
	v_mul_f32_e32 v1, v4, v12
	v_fma_f32 v174, v3, v11, -v1
	s_clause 0x1
	scratch_load_b128 v[1:4], off, off offset:280
	scratch_load_b128 v[9:12], off, off offset:296
	s_wait_loadcnt_dscnt 0x100
	v_mul_f32_e32 v175, v5, v2
	v_dual_mul_f32 v2, v6, v2 :: v_dual_mul_f32 v177, v7, v4
	s_delay_alu instid0(VALU_DEP_2) | instskip(NEXT) | instid1(VALU_DEP_2)
	v_fmac_f32_e32 v175, v6, v1
	v_fma_f32 v176, v5, v1, -v2
	v_mul_f32_e32 v1, v8, v4
	s_delay_alu instid0(VALU_DEP_4) | instskip(NEXT) | instid1(VALU_DEP_2)
	v_fmac_f32_e32 v177, v8, v3
	v_fma_f32 v178, v7, v3, -v1
	ds_load_2addr_b64 v[1:4], v21 offset0:99 offset1:100
	ds_load_2addr_b64 v[5:8], v21 offset0:101 offset1:102
	s_wait_loadcnt_dscnt 0x1
	v_mul_f32_e32 v179, v1, v10
	v_mul_f32_e32 v181, v3, v12
	s_delay_alu instid0(VALU_DEP_2) | instskip(NEXT) | instid1(VALU_DEP_2)
	v_fmac_f32_e32 v179, v2, v9
	v_dual_mul_f32 v2, v2, v10 :: v_dual_fmac_f32 v181, v4, v11
	s_delay_alu instid0(VALU_DEP_1) | instskip(SKIP_1) | instid1(VALU_DEP_1)
	v_fma_f32 v180, v1, v9, -v2
	v_mul_f32_e32 v1, v4, v12
	;; [unrolled: 25-line block ×5, first 2 shown]
	v_fma_f32 v206, v3, v11, -v1
	s_clause 0x1
	scratch_load_b128 v[1:4], off, off offset:408
	scratch_load_b128 v[9:12], off, off offset:424
	s_wait_loadcnt_dscnt 0x100
	v_mul_f32_e32 v207, v5, v2
	v_mul_f32_e32 v2, v6, v2
	s_delay_alu instid0(VALU_DEP_1) | instskip(SKIP_1) | instid1(VALU_DEP_1)
	v_fma_f32 v208, v5, v1, -v2
	v_add_f32_e32 v2, 0, v155
	v_add_f32_e32 v2, v2, v156
	s_delay_alu instid0(VALU_DEP_1) | instskip(NEXT) | instid1(VALU_DEP_1)
	v_add_f32_e32 v2, v2, v24
	v_add_f32_e32 v2, v2, v25
	s_delay_alu instid0(VALU_DEP_1) | instskip(NEXT) | instid1(VALU_DEP_1)
	;; [unrolled: 3-line block ×8, first 2 shown]
	v_add_f32_e32 v2, v2, v171
	v_add_f32_e32 v2, v2, v173
	v_fmac_f32_e32 v207, v6, v1
	v_mul_f32_e32 v1, v8, v4
	s_delay_alu instid0(VALU_DEP_3) | instskip(NEXT) | instid1(VALU_DEP_2)
	v_dual_mul_f32 v209, v7, v4 :: v_dual_add_f32 v2, v2, v175
	v_fma_f32 v210, v7, v3, -v1
	v_add_f32_e32 v1, 0, v22
	s_delay_alu instid0(VALU_DEP_3) | instskip(NEXT) | instid1(VALU_DEP_2)
	v_dual_fmac_f32 v209, v8, v3 :: v_dual_add_f32 v2, v2, v177
	v_add_f32_e32 v1, v1, v23
	s_delay_alu instid0(VALU_DEP_2) | instskip(NEXT) | instid1(VALU_DEP_2)
	v_add_f32_e32 v5, v2, v179
	v_add_f32_e32 v1, v1, v26
	s_delay_alu instid0(VALU_DEP_2) | instskip(NEXT) | instid1(VALU_DEP_2)
	v_add_f32_e32 v5, v5, v181
	v_add_f32_e32 v1, v1, v27
	s_delay_alu instid0(VALU_DEP_1) | instskip(NEXT) | instid1(VALU_DEP_1)
	v_add_f32_e32 v1, v1, v28
	v_add_f32_e32 v1, v1, v29
	s_delay_alu instid0(VALU_DEP_1) | instskip(NEXT) | instid1(VALU_DEP_1)
	;; [unrolled: 3-line block ×9, first 2 shown]
	v_add_f32_e32 v1, v1, v180
	v_add_f32_e32 v6, v1, v182
	ds_load_2addr_b64 v[1:4], v21 offset0:115 offset1:116
	v_dual_add_f32 v5, v5, v183 :: v_dual_add_f32 v6, v6, v184
	s_delay_alu instid0(VALU_DEP_1) | instskip(SKIP_3) | instid1(VALU_DEP_1)
	v_dual_add_f32 v14, v5, v185 :: v_dual_add_f32 v13, v6, v186
	ds_load_2addr_b64 v[5:8], v21 offset0:117 offset1:118
	v_add_f32_e32 v13, v13, v188
	s_wait_loadcnt_dscnt 0x1
	v_dual_add_f32 v13, v13, v190 :: v_dual_mul_f32 v26, v3, v12
	v_add_f32_e32 v14, v14, v187
	v_dual_mul_f32 v12, v4, v12 :: v_dual_mul_f32 v25, v1, v10
	s_delay_alu instid0(VALU_DEP_3) | instskip(NEXT) | instid1(VALU_DEP_3)
	v_dual_add_f32 v13, v13, v192 :: v_dual_fmac_f32 v26, v4, v11
	v_add_f32_e32 v14, v14, v189
	v_mul_f32_e32 v10, v2, v10
	s_delay_alu instid0(VALU_DEP_4) | instskip(NEXT) | instid1(VALU_DEP_3)
	v_fma_f32 v28, v3, v11, -v12
	v_dual_add_f32 v18, v13, v194 :: v_dual_add_f32 v17, v14, v191
	s_delay_alu instid0(VALU_DEP_3) | instskip(SKIP_2) | instid1(VALU_DEP_1)
	v_fma_f32 v27, v1, v9, -v10
	scratch_load_b128 v[13:16], off, off offset:472
	v_dual_add_f32 v18, v18, v196 :: v_dual_add_f32 v17, v17, v193
	v_dual_add_f32 v18, v18, v198 :: v_dual_add_f32 v17, v17, v195
	s_delay_alu instid0(VALU_DEP_1) | instskip(NEXT) | instid1(VALU_DEP_1)
	v_dual_add_f32 v22, v18, v200 :: v_dual_add_f32 v17, v17, v197
	v_add_f32_e32 v29, v22, v202
	s_delay_alu instid0(VALU_DEP_2)
	v_add_f32_e32 v23, v17, v199
	ds_load_2addr_b64 v[17:20], v21 offset0:119 offset1:120
	v_dual_add_f32 v29, v29, v204 :: v_dual_add_f32 v32, v23, v201
	ds_load_2addr_b64 v[21:24], v21 offset0:121 offset1:122
	v_fmac_f32_e32 v25, v2, v9
	s_clause 0x1
	scratch_load_b128 v[1:4], off, off offset:440
	scratch_load_b128 v[9:12], off, off offset:456
	v_dual_add_f32 v32, v32, v203 :: v_dual_add_f32 v29, v29, v206
	s_delay_alu instid0(VALU_DEP_1) | instskip(NEXT) | instid1(VALU_DEP_1)
	v_dual_add_f32 v32, v32, v205 :: v_dual_add_f32 v29, v29, v208
	v_dual_add_f32 v32, v32, v207 :: v_dual_add_f32 v29, v29, v210
	s_delay_alu instid0(VALU_DEP_1) | instskip(SKIP_1) | instid1(VALU_DEP_1)
	v_dual_add_f32 v32, v32, v209 :: v_dual_add_f32 v27, v29, v27
	s_wait_loadcnt_dscnt 0x200
	v_dual_mul_f32 v160, v21, v14 :: v_dual_add_f32 v25, v32, v25
	s_delay_alu instid0(VALU_DEP_1) | instskip(NEXT) | instid1(VALU_DEP_1)
	v_dual_mul_f32 v29, v23, v16 :: v_dual_fmac_f32 v160, v22, v13
	v_fmac_f32_e32 v29, v24, v15
	s_wait_loadcnt 0x1
	v_mul_f32_e32 v155, v5, v2
	v_mul_f32_e32 v2, v6, v2
	;; [unrolled: 1-line block ×4, first 2 shown]
	s_wait_loadcnt 0x0
	v_dual_mul_f32 v158, v17, v10 :: v_dual_fmac_f32 v155, v6, v1
	v_fma_f32 v2, v5, v1, -v2
	v_add_f32_e32 v1, v27, v28
	v_add_f32_e32 v5, v25, v26
	v_mul_f32_e32 v6, v18, v10
	v_fmac_f32_e32 v156, v8, v3
	v_fma_f32 v3, v7, v3, -v4
	v_add_f32_e32 v1, v1, v2
	v_dual_add_f32 v2, v5, v155 :: v_dual_mul_f32 v159, v19, v12
	v_mul_f32_e32 v4, v20, v12
	v_fmac_f32_e32 v158, v18, v9
	v_fma_f32 v5, v17, v9, -v6
	s_delay_alu instid0(VALU_DEP_4) | instskip(SKIP_3) | instid1(VALU_DEP_4)
	v_dual_add_f32 v1, v1, v3 :: v_dual_add_f32 v2, v2, v156
	v_mul_f32_e32 v3, v22, v14
	v_fmac_f32_e32 v159, v20, v11
	v_fma_f32 v4, v19, v11, -v4
	v_dual_add_f32 v1, v1, v5 :: v_dual_add_f32 v2, v2, v158
	v_mul_f32_e32 v5, v24, v16
	v_fma_f32 v3, v21, v13, -v3
	s_delay_alu instid0(VALU_DEP_3) | instskip(NEXT) | instid1(VALU_DEP_3)
	v_dual_add_f32 v1, v1, v4 :: v_dual_add_f32 v2, v2, v159
	v_fma_f32 v4, v23, v15, -v5
	s_delay_alu instid0(VALU_DEP_2) | instskip(NEXT) | instid1(VALU_DEP_1)
	v_dual_add_f32 v1, v1, v3 :: v_dual_add_f32 v2, v2, v160
	v_dual_add_f32 v1, v1, v4 :: v_dual_add_f32 v2, v2, v29
	s_delay_alu instid0(VALU_DEP_1)
	v_dual_sub_f32 v1, v30, v1 :: v_dual_sub_f32 v2, v31, v2
	scratch_store_b64 off, v[1:2], off offset:128
	v_cmpx_lt_u32_e32 15, v0
	s_cbranch_execz .LBB60_349
; %bb.348:
	scratch_load_b64 v[1:2], off, off offset:120
	v_mov_b32_e32 v3, 0
	s_delay_alu instid0(VALU_DEP_1)
	v_mov_b32_e32 v4, v3
	scratch_store_b64 off, v[3:4], off offset:120
	s_wait_loadcnt 0x0
	ds_store_b64 v157, v[1:2]
.LBB60_349:
	s_wait_alu 0xfffe
	s_or_b32 exec_lo, exec_lo, s0
	s_wait_storecnt_dscnt 0x0
	s_barrier_signal -1
	s_barrier_wait -1
	global_inv scope:SCOPE_SE
	s_clause 0x4
	scratch_load_b128 v[5:8], off, off offset:128
	scratch_load_b128 v[1:4], off, off offset:144
	;; [unrolled: 1-line block ×5, first 2 shown]
	v_mov_b32_e32 v21, 0
	ds_load_b128 v[22:25], v21 offset:624
	ds_load_b128 v[26:29], v21 offset:640
	;; [unrolled: 1-line block ×3, first 2 shown]
	scratch_load_b64 v[30:31], off, off offset:120
	s_mov_b32 s0, exec_lo
	s_wait_loadcnt_dscnt 0x502
	v_mul_f32_e32 v32, v23, v6
	v_dual_mul_f32 v155, v22, v6 :: v_dual_mul_f32 v156, v24, v8
	v_mul_f32_e32 v6, v25, v8
	s_wait_loadcnt_dscnt 0x300
	v_mul_f32_e32 v162, v160, v12
	v_fma_f32 v22, v22, v5, -v32
	v_dual_fmac_f32 v155, v23, v5 :: v_dual_fmac_f32 v156, v25, v7
	v_mul_f32_e32 v25, v28, v4
	v_fma_f32 v23, v24, v7, -v6
	ds_load_b128 v[5:8], v21 offset:672
	v_mul_f32_e32 v24, v26, v2
	v_mul_f32_e32 v4, v29, v4
	;; [unrolled: 1-line block ×5, first 2 shown]
	v_dual_mul_f32 v2, v27, v2 :: v_dual_fmac_f32 v25, v29, v3
	v_fmac_f32_e32 v24, v27, v1
	v_fma_f32 v27, v28, v3, -v4
	v_fmac_f32_e32 v32, v159, v9
	v_fma_f32 v28, v158, v9, -v10
	;; [unrolled: 2-line block ×3, first 2 shown]
	ds_load_b128 v[9:12], v21 offset:688
	s_wait_loadcnt_dscnt 0x201
	v_dual_mul_f32 v159, v7, v16 :: v_dual_mul_f32 v158, v5, v14
	v_mul_f32_e32 v14, v6, v14
	v_mul_f32_e32 v16, v8, v16
	s_delay_alu instid0(VALU_DEP_3)
	v_fmac_f32_e32 v159, v8, v15
	v_fma_f32 v26, v26, v1, -v2
	scratch_load_b128 v[1:4], off, off offset:208
	v_fmac_f32_e32 v158, v6, v13
	v_fma_f32 v13, v5, v13, -v14
	v_fma_f32 v14, v7, v15, -v16
	ds_load_b128 v[5:8], v21 offset:704
	s_wait_loadcnt_dscnt 0x201
	v_mul_f32_e32 v15, v9, v18
	v_mul_f32_e32 v16, v10, v18
	;; [unrolled: 1-line block ×3, first 2 shown]
	s_delay_alu instid0(VALU_DEP_3) | instskip(NEXT) | instid1(VALU_DEP_3)
	v_dual_mul_f32 v20, v12, v20 :: v_dual_fmac_f32 v15, v10, v17
	v_fma_f32 v16, v9, v17, -v16
	s_delay_alu instid0(VALU_DEP_3) | instskip(NEXT) | instid1(VALU_DEP_3)
	v_fmac_f32_e32 v18, v12, v19
	v_fma_f32 v17, v11, v19, -v20
	scratch_load_b128 v[9:12], off, off offset:224
	s_wait_loadcnt_dscnt 0x100
	v_mul_f32_e32 v19, v5, v2
	v_mul_f32_e32 v2, v6, v2
	;; [unrolled: 1-line block ×3, first 2 shown]
	s_delay_alu instid0(VALU_DEP_3) | instskip(NEXT) | instid1(VALU_DEP_3)
	v_dual_mul_f32 v4, v8, v4 :: v_dual_fmac_f32 v19, v6, v1
	v_fma_f32 v160, v5, v1, -v2
	s_delay_alu instid0(VALU_DEP_3) | instskip(NEXT) | instid1(VALU_DEP_3)
	v_fmac_f32_e32 v20, v8, v3
	v_fma_f32 v161, v7, v3, -v4
	ds_load_b128 v[1:4], v21 offset:720
	ds_load_b128 v[5:8], v21 offset:736
	s_wait_loadcnt_dscnt 0x1
	v_mul_f32_e32 v163, v1, v10
	v_mul_f32_e32 v10, v2, v10
	s_delay_alu instid0(VALU_DEP_2) | instskip(NEXT) | instid1(VALU_DEP_2)
	v_dual_mul_f32 v164, v3, v12 :: v_dual_fmac_f32 v163, v2, v9
	v_fma_f32 v165, v1, v9, -v10
	v_mul_f32_e32 v1, v4, v12
	s_delay_alu instid0(VALU_DEP_3) | instskip(NEXT) | instid1(VALU_DEP_2)
	v_fmac_f32_e32 v164, v4, v11
	v_fma_f32 v166, v3, v11, -v1
	s_clause 0x1
	scratch_load_b128 v[1:4], off, off offset:240
	scratch_load_b128 v[9:12], off, off offset:256
	s_wait_loadcnt_dscnt 0x100
	v_mul_f32_e32 v167, v5, v2
	v_dual_mul_f32 v2, v6, v2 :: v_dual_mul_f32 v169, v7, v4
	s_delay_alu instid0(VALU_DEP_2) | instskip(NEXT) | instid1(VALU_DEP_2)
	v_fmac_f32_e32 v167, v6, v1
	v_fma_f32 v168, v5, v1, -v2
	v_mul_f32_e32 v1, v8, v4
	s_delay_alu instid0(VALU_DEP_4) | instskip(NEXT) | instid1(VALU_DEP_2)
	v_fmac_f32_e32 v169, v8, v3
	v_fma_f32 v170, v7, v3, -v1
	ds_load_b128 v[1:4], v21 offset:752
	ds_load_b128 v[5:8], v21 offset:768
	s_wait_loadcnt_dscnt 0x1
	v_mul_f32_e32 v171, v1, v10
	v_mul_f32_e32 v173, v3, v12
	s_delay_alu instid0(VALU_DEP_2) | instskip(NEXT) | instid1(VALU_DEP_2)
	v_fmac_f32_e32 v171, v2, v9
	v_dual_mul_f32 v2, v2, v10 :: v_dual_fmac_f32 v173, v4, v11
	s_delay_alu instid0(VALU_DEP_1) | instskip(SKIP_1) | instid1(VALU_DEP_1)
	v_fma_f32 v172, v1, v9, -v2
	v_mul_f32_e32 v1, v4, v12
	v_fma_f32 v174, v3, v11, -v1
	s_clause 0x1
	scratch_load_b128 v[1:4], off, off offset:272
	scratch_load_b128 v[9:12], off, off offset:288
	s_wait_loadcnt_dscnt 0x100
	v_mul_f32_e32 v175, v5, v2
	v_dual_mul_f32 v2, v6, v2 :: v_dual_mul_f32 v177, v7, v4
	s_delay_alu instid0(VALU_DEP_2) | instskip(NEXT) | instid1(VALU_DEP_2)
	v_fmac_f32_e32 v175, v6, v1
	v_fma_f32 v176, v5, v1, -v2
	v_mul_f32_e32 v1, v8, v4
	s_delay_alu instid0(VALU_DEP_4) | instskip(NEXT) | instid1(VALU_DEP_2)
	v_fmac_f32_e32 v177, v8, v3
	v_fma_f32 v178, v7, v3, -v1
	ds_load_b128 v[1:4], v21 offset:784
	ds_load_b128 v[5:8], v21 offset:800
	s_wait_loadcnt_dscnt 0x1
	v_mul_f32_e32 v179, v1, v10
	v_mul_f32_e32 v181, v3, v12
	s_delay_alu instid0(VALU_DEP_2) | instskip(NEXT) | instid1(VALU_DEP_2)
	v_fmac_f32_e32 v179, v2, v9
	v_dual_mul_f32 v2, v2, v10 :: v_dual_fmac_f32 v181, v4, v11
	s_delay_alu instid0(VALU_DEP_1) | instskip(SKIP_1) | instid1(VALU_DEP_1)
	v_fma_f32 v180, v1, v9, -v2
	v_mul_f32_e32 v1, v4, v12
	;; [unrolled: 25-line block ×5, first 2 shown]
	v_fma_f32 v206, v3, v11, -v1
	s_clause 0x1
	scratch_load_b128 v[1:4], off, off offset:400
	scratch_load_b128 v[9:12], off, off offset:416
	s_wait_loadcnt_dscnt 0x100
	v_mul_f32_e32 v207, v5, v2
	v_mul_f32_e32 v2, v6, v2
	s_delay_alu instid0(VALU_DEP_1) | instskip(SKIP_1) | instid1(VALU_DEP_1)
	v_fma_f32 v208, v5, v1, -v2
	v_add_f32_e32 v2, 0, v155
	v_add_f32_e32 v2, v2, v156
	s_delay_alu instid0(VALU_DEP_1) | instskip(NEXT) | instid1(VALU_DEP_1)
	v_add_f32_e32 v2, v2, v24
	v_add_f32_e32 v2, v2, v25
	s_delay_alu instid0(VALU_DEP_1) | instskip(NEXT) | instid1(VALU_DEP_1)
	;; [unrolled: 3-line block ×8, first 2 shown]
	v_add_f32_e32 v2, v2, v171
	v_add_f32_e32 v2, v2, v173
	s_delay_alu instid0(VALU_DEP_1) | instskip(SKIP_2) | instid1(VALU_DEP_3)
	v_add_f32_e32 v2, v2, v175
	v_fmac_f32_e32 v207, v6, v1
	v_mul_f32_e32 v1, v8, v4
	v_dual_mul_f32 v209, v7, v4 :: v_dual_add_f32 v2, v2, v177
	s_delay_alu instid0(VALU_DEP_2) | instskip(SKIP_1) | instid1(VALU_DEP_3)
	v_fma_f32 v210, v7, v3, -v1
	v_add_f32_e32 v1, 0, v22
	v_add_f32_e32 v5, v2, v179
	s_delay_alu instid0(VALU_DEP_2) | instskip(NEXT) | instid1(VALU_DEP_2)
	v_add_f32_e32 v1, v1, v23
	v_add_f32_e32 v5, v5, v181
	s_delay_alu instid0(VALU_DEP_2) | instskip(NEXT) | instid1(VALU_DEP_1)
	v_add_f32_e32 v1, v1, v26
	v_add_f32_e32 v1, v1, v27
	scratch_load_b64 v[26:27], off, off offset:480
	v_add_f32_e32 v1, v1, v28
	s_delay_alu instid0(VALU_DEP_1) | instskip(NEXT) | instid1(VALU_DEP_1)
	v_add_f32_e32 v1, v1, v29
	v_add_f32_e32 v1, v1, v13
	s_delay_alu instid0(VALU_DEP_1) | instskip(NEXT) | instid1(VALU_DEP_1)
	v_add_f32_e32 v1, v1, v14
	;; [unrolled: 3-line block ×8, first 2 shown]
	v_add_f32_e32 v1, v1, v180
	s_delay_alu instid0(VALU_DEP_1) | instskip(SKIP_2) | instid1(VALU_DEP_1)
	v_dual_add_f32 v6, v1, v182 :: v_dual_fmac_f32 v209, v8, v3
	ds_load_b128 v[1:4], v21 offset:912
	v_dual_add_f32 v5, v5, v183 :: v_dual_add_f32 v6, v6, v184
	v_dual_add_f32 v14, v5, v185 :: v_dual_add_f32 v13, v6, v186
	ds_load_b128 v[5:8], v21 offset:928
	s_wait_loadcnt_dscnt 0x101
	v_mul_f32_e32 v32, v1, v10
	v_dual_mul_f32 v10, v2, v10 :: v_dual_mul_f32 v155, v3, v12
	v_mul_f32_e32 v12, v4, v12
	v_add_f32_e32 v14, v14, v187
	s_delay_alu instid0(VALU_DEP_4) | instskip(NEXT) | instid1(VALU_DEP_4)
	v_fmac_f32_e32 v32, v2, v9
	v_fma_f32 v156, v1, v9, -v10
	v_fmac_f32_e32 v155, v4, v11
	v_fma_f32 v158, v3, v11, -v12
	s_clause 0x1
	scratch_load_b128 v[1:4], off, off offset:432
	scratch_load_b128 v[9:12], off, off offset:448
	v_dual_add_f32 v13, v13, v188 :: v_dual_add_f32 v14, v14, v189
	s_delay_alu instid0(VALU_DEP_1) | instskip(NEXT) | instid1(VALU_DEP_2)
	v_add_f32_e32 v13, v13, v190
	v_add_f32_e32 v17, v14, v191
	s_delay_alu instid0(VALU_DEP_2) | instskip(NEXT) | instid1(VALU_DEP_2)
	v_add_f32_e32 v13, v13, v192
	v_add_f32_e32 v17, v17, v193
	s_delay_alu instid0(VALU_DEP_2) | instskip(SKIP_2) | instid1(VALU_DEP_1)
	v_add_f32_e32 v18, v13, v194
	scratch_load_b128 v[13:16], off, off offset:464
	v_dual_add_f32 v17, v17, v195 :: v_dual_add_f32 v18, v18, v196
	v_dual_add_f32 v17, v17, v197 :: v_dual_add_f32 v18, v18, v198
	s_delay_alu instid0(VALU_DEP_1) | instskip(NEXT) | instid1(VALU_DEP_1)
	v_dual_add_f32 v17, v17, v199 :: v_dual_add_f32 v18, v18, v200
	v_add_f32_e32 v22, v17, v201
	s_delay_alu instid0(VALU_DEP_2) | instskip(NEXT) | instid1(VALU_DEP_1)
	v_add_f32_e32 v18, v18, v202
	v_add_f32_e32 v28, v18, v204
	ds_load_b128 v[17:20], v21 offset:944
	s_wait_loadcnt_dscnt 0x201
	v_dual_mul_f32 v162, v7, v4 :: v_dual_add_f32 v29, v22, v203
	ds_load_b128 v[22:25], v21 offset:960
	v_add_f32_e32 v159, v28, v206
	v_dual_mul_f32 v4, v8, v4 :: v_dual_mul_f32 v161, v5, v2
	v_add_f32_e32 v160, v29, v205
	s_delay_alu instid0(VALU_DEP_3)
	v_dual_mul_f32 v2, v6, v2 :: v_dual_add_f32 v159, v159, v208
	ds_load_b64 v[28:29], v21 offset:976
	v_dual_fmac_f32 v161, v6, v1 :: v_dual_add_f32 v160, v160, v207
	v_fma_f32 v2, v5, v1, -v2
	v_dual_add_f32 v159, v159, v210 :: v_dual_fmac_f32 v162, v8, v3
	v_fma_f32 v1, v7, v3, -v4
	s_wait_loadcnt_dscnt 0x102
	v_dual_add_f32 v160, v160, v209 :: v_dual_mul_f32 v3, v18, v10
	s_delay_alu instid0(VALU_DEP_3) | instskip(SKIP_1) | instid1(VALU_DEP_3)
	v_dual_add_f32 v156, v159, v156 :: v_dual_mul_f32 v159, v17, v10
	v_mul_f32_e32 v5, v20, v12
	v_add_f32_e32 v32, v160, v32
	v_mul_f32_e32 v160, v19, v12
	s_delay_alu instid0(VALU_DEP_4) | instskip(SKIP_3) | instid1(VALU_DEP_3)
	v_dual_add_f32 v156, v156, v158 :: v_dual_fmac_f32 v159, v18, v9
	v_fma_f32 v3, v17, v9, -v3
	s_wait_loadcnt_dscnt 0x1
	v_dual_add_f32 v32, v32, v155 :: v_dual_mul_f32 v163, v22, v14
	v_add_f32_e32 v2, v156, v2
	v_fmac_f32_e32 v160, v20, v11
	v_fma_f32 v5, v19, v11, -v5
	s_delay_alu instid0(VALU_DEP_4) | instskip(NEXT) | instid1(VALU_DEP_4)
	v_add_f32_e32 v4, v32, v161
	v_dual_mul_f32 v158, v24, v16 :: v_dual_add_f32 v1, v2, v1
	v_fmac_f32_e32 v163, v23, v13
	s_wait_dscnt 0x0
	v_mul_f32_e32 v155, v28, v27
	v_add_f32_e32 v2, v4, v162
	v_dual_mul_f32 v4, v23, v14 :: v_dual_add_f32 v1, v1, v3
	v_mul_f32_e32 v3, v25, v16
	v_fmac_f32_e32 v158, v25, v15
	s_delay_alu instid0(VALU_DEP_4) | instskip(NEXT) | instid1(VALU_DEP_4)
	v_add_f32_e32 v2, v2, v159
	v_fma_f32 v4, v22, v13, -v4
	v_add_f32_e32 v1, v1, v5
	v_mul_f32_e32 v5, v29, v27
	v_fma_f32 v3, v24, v15, -v3
	v_dual_add_f32 v2, v2, v160 :: v_dual_fmac_f32 v155, v29, v26
	s_delay_alu instid0(VALU_DEP_4) | instskip(NEXT) | instid1(VALU_DEP_4)
	v_add_f32_e32 v1, v1, v4
	v_fma_f32 v4, v28, v26, -v5
	s_delay_alu instid0(VALU_DEP_3) | instskip(NEXT) | instid1(VALU_DEP_1)
	v_add_f32_e32 v2, v2, v163
	v_dual_add_f32 v1, v1, v3 :: v_dual_add_f32 v2, v2, v158
	s_delay_alu instid0(VALU_DEP_1) | instskip(NEXT) | instid1(VALU_DEP_1)
	v_dual_add_f32 v1, v1, v4 :: v_dual_add_f32 v2, v2, v155
	v_dual_sub_f32 v1, v30, v1 :: v_dual_sub_f32 v2, v31, v2
	scratch_store_b64 off, v[1:2], off offset:120
	v_cmpx_lt_u32_e32 14, v0
	s_cbranch_execz .LBB60_351
; %bb.350:
	scratch_load_b64 v[1:2], off, off offset:112
	v_mov_b32_e32 v22, v21
	scratch_store_b64 off, v[21:22], off offset:112
	s_wait_loadcnt 0x0
	ds_store_b64 v157, v[1:2]
.LBB60_351:
	s_wait_alu 0xfffe
	s_or_b32 exec_lo, exec_lo, s0
	s_wait_storecnt_dscnt 0x0
	s_barrier_signal -1
	s_barrier_wait -1
	global_inv scope:SCOPE_SE
	s_clause 0x4
	scratch_load_b128 v[5:8], off, off offset:120
	scratch_load_b128 v[1:4], off, off offset:136
	;; [unrolled: 1-line block ×5, first 2 shown]
	ds_load_2addr_b64 v[22:25], v21 offset0:77 offset1:78
	ds_load_2addr_b64 v[26:29], v21 offset0:79 offset1:80
	;; [unrolled: 1-line block ×3, first 2 shown]
	scratch_load_b64 v[30:31], off, off offset:112
	s_mov_b32 s0, exec_lo
	s_wait_loadcnt_dscnt 0x502
	v_mul_f32_e32 v32, v23, v6
	v_dual_mul_f32 v155, v22, v6 :: v_dual_mul_f32 v156, v24, v8
	v_mul_f32_e32 v6, v25, v8
	s_wait_loadcnt_dscnt 0x300
	v_mul_f32_e32 v162, v160, v12
	s_delay_alu instid0(VALU_DEP_3)
	v_dual_mul_f32 v12, v161, v12 :: v_dual_fmac_f32 v155, v23, v5
	v_fmac_f32_e32 v156, v25, v7
	v_fma_f32 v23, v24, v7, -v6
	v_mul_f32_e32 v25, v28, v4
	v_fma_f32 v22, v22, v5, -v32
	ds_load_2addr_b64 v[5:8], v21 offset0:83 offset1:84
	v_mul_f32_e32 v24, v26, v2
	v_mul_f32_e32 v4, v29, v4
	v_mul_f32_e32 v32, v158, v10
	v_mul_f32_e32 v10, v159, v10
	v_dual_mul_f32 v2, v27, v2 :: v_dual_fmac_f32 v25, v29, v3
	v_fmac_f32_e32 v24, v27, v1
	v_fma_f32 v27, v28, v3, -v4
	v_fmac_f32_e32 v32, v159, v9
	v_fma_f32 v28, v158, v9, -v10
	;; [unrolled: 2-line block ×3, first 2 shown]
	ds_load_2addr_b64 v[9:12], v21 offset0:85 offset1:86
	s_wait_loadcnt_dscnt 0x201
	v_dual_mul_f32 v159, v7, v16 :: v_dual_mul_f32 v158, v5, v14
	v_mul_f32_e32 v14, v6, v14
	v_mul_f32_e32 v16, v8, v16
	s_delay_alu instid0(VALU_DEP_3)
	v_fmac_f32_e32 v159, v8, v15
	v_fma_f32 v26, v26, v1, -v2
	scratch_load_b128 v[1:4], off, off offset:200
	v_fmac_f32_e32 v158, v6, v13
	v_fma_f32 v13, v5, v13, -v14
	v_fma_f32 v14, v7, v15, -v16
	ds_load_2addr_b64 v[5:8], v21 offset0:87 offset1:88
	s_wait_loadcnt_dscnt 0x201
	v_mul_f32_e32 v15, v9, v18
	v_mul_f32_e32 v16, v10, v18
	;; [unrolled: 1-line block ×3, first 2 shown]
	s_delay_alu instid0(VALU_DEP_3) | instskip(NEXT) | instid1(VALU_DEP_3)
	v_dual_mul_f32 v20, v12, v20 :: v_dual_fmac_f32 v15, v10, v17
	v_fma_f32 v16, v9, v17, -v16
	s_delay_alu instid0(VALU_DEP_3) | instskip(NEXT) | instid1(VALU_DEP_3)
	v_fmac_f32_e32 v18, v12, v19
	v_fma_f32 v17, v11, v19, -v20
	scratch_load_b128 v[9:12], off, off offset:216
	s_wait_loadcnt_dscnt 0x100
	v_mul_f32_e32 v19, v5, v2
	v_mul_f32_e32 v2, v6, v2
	v_mul_f32_e32 v20, v7, v4
	s_delay_alu instid0(VALU_DEP_3) | instskip(NEXT) | instid1(VALU_DEP_3)
	v_dual_mul_f32 v4, v8, v4 :: v_dual_fmac_f32 v19, v6, v1
	v_fma_f32 v160, v5, v1, -v2
	s_delay_alu instid0(VALU_DEP_3) | instskip(NEXT) | instid1(VALU_DEP_3)
	v_fmac_f32_e32 v20, v8, v3
	v_fma_f32 v161, v7, v3, -v4
	ds_load_2addr_b64 v[1:4], v21 offset0:89 offset1:90
	ds_load_2addr_b64 v[5:8], v21 offset0:91 offset1:92
	s_wait_loadcnt_dscnt 0x1
	v_mul_f32_e32 v163, v1, v10
	v_mul_f32_e32 v10, v2, v10
	s_delay_alu instid0(VALU_DEP_2) | instskip(NEXT) | instid1(VALU_DEP_2)
	v_dual_mul_f32 v164, v3, v12 :: v_dual_fmac_f32 v163, v2, v9
	v_fma_f32 v165, v1, v9, -v10
	v_mul_f32_e32 v1, v4, v12
	s_delay_alu instid0(VALU_DEP_3) | instskip(NEXT) | instid1(VALU_DEP_2)
	v_fmac_f32_e32 v164, v4, v11
	v_fma_f32 v166, v3, v11, -v1
	s_clause 0x1
	scratch_load_b128 v[1:4], off, off offset:232
	scratch_load_b128 v[9:12], off, off offset:248
	s_wait_loadcnt_dscnt 0x100
	v_mul_f32_e32 v167, v5, v2
	v_dual_mul_f32 v2, v6, v2 :: v_dual_mul_f32 v169, v7, v4
	s_delay_alu instid0(VALU_DEP_2) | instskip(NEXT) | instid1(VALU_DEP_2)
	v_fmac_f32_e32 v167, v6, v1
	v_fma_f32 v168, v5, v1, -v2
	v_mul_f32_e32 v1, v8, v4
	s_delay_alu instid0(VALU_DEP_4) | instskip(NEXT) | instid1(VALU_DEP_2)
	v_fmac_f32_e32 v169, v8, v3
	v_fma_f32 v170, v7, v3, -v1
	ds_load_2addr_b64 v[1:4], v21 offset0:93 offset1:94
	ds_load_2addr_b64 v[5:8], v21 offset0:95 offset1:96
	s_wait_loadcnt_dscnt 0x1
	v_mul_f32_e32 v171, v1, v10
	v_mul_f32_e32 v173, v3, v12
	s_delay_alu instid0(VALU_DEP_2) | instskip(NEXT) | instid1(VALU_DEP_2)
	v_fmac_f32_e32 v171, v2, v9
	v_dual_mul_f32 v2, v2, v10 :: v_dual_fmac_f32 v173, v4, v11
	s_delay_alu instid0(VALU_DEP_1) | instskip(SKIP_1) | instid1(VALU_DEP_1)
	v_fma_f32 v172, v1, v9, -v2
	v_mul_f32_e32 v1, v4, v12
	v_fma_f32 v174, v3, v11, -v1
	s_clause 0x1
	scratch_load_b128 v[1:4], off, off offset:264
	scratch_load_b128 v[9:12], off, off offset:280
	s_wait_loadcnt_dscnt 0x100
	v_mul_f32_e32 v175, v5, v2
	v_dual_mul_f32 v2, v6, v2 :: v_dual_mul_f32 v177, v7, v4
	s_delay_alu instid0(VALU_DEP_2) | instskip(NEXT) | instid1(VALU_DEP_2)
	v_fmac_f32_e32 v175, v6, v1
	v_fma_f32 v176, v5, v1, -v2
	v_mul_f32_e32 v1, v8, v4
	s_delay_alu instid0(VALU_DEP_4) | instskip(NEXT) | instid1(VALU_DEP_2)
	v_fmac_f32_e32 v177, v8, v3
	v_fma_f32 v178, v7, v3, -v1
	ds_load_2addr_b64 v[1:4], v21 offset0:97 offset1:98
	ds_load_2addr_b64 v[5:8], v21 offset0:99 offset1:100
	s_wait_loadcnt_dscnt 0x1
	v_mul_f32_e32 v179, v1, v10
	v_mul_f32_e32 v181, v3, v12
	s_delay_alu instid0(VALU_DEP_2) | instskip(NEXT) | instid1(VALU_DEP_2)
	v_fmac_f32_e32 v179, v2, v9
	v_dual_mul_f32 v2, v2, v10 :: v_dual_fmac_f32 v181, v4, v11
	s_delay_alu instid0(VALU_DEP_1) | instskip(SKIP_1) | instid1(VALU_DEP_1)
	v_fma_f32 v180, v1, v9, -v2
	v_mul_f32_e32 v1, v4, v12
	v_fma_f32 v182, v3, v11, -v1
	s_clause 0x1
	scratch_load_b128 v[1:4], off, off offset:296
	scratch_load_b128 v[9:12], off, off offset:312
	s_wait_loadcnt_dscnt 0x100
	v_mul_f32_e32 v183, v5, v2
	v_dual_mul_f32 v2, v6, v2 :: v_dual_mul_f32 v185, v7, v4
	s_delay_alu instid0(VALU_DEP_1) | instskip(NEXT) | instid1(VALU_DEP_3)
	v_fma_f32 v184, v5, v1, -v2
	v_fmac_f32_e32 v183, v6, v1
	v_mul_f32_e32 v1, v8, v4
	s_delay_alu instid0(VALU_DEP_4) | instskip(NEXT) | instid1(VALU_DEP_2)
	v_fmac_f32_e32 v185, v8, v3
	v_fma_f32 v186, v7, v3, -v1
	ds_load_2addr_b64 v[1:4], v21 offset0:101 offset1:102
	ds_load_2addr_b64 v[5:8], v21 offset0:103 offset1:104
	s_wait_loadcnt_dscnt 0x1
	v_mul_f32_e32 v187, v1, v10
	v_mul_f32_e32 v189, v3, v12
	s_delay_alu instid0(VALU_DEP_2) | instskip(NEXT) | instid1(VALU_DEP_2)
	v_fmac_f32_e32 v187, v2, v9
	v_dual_mul_f32 v2, v2, v10 :: v_dual_fmac_f32 v189, v4, v11
	s_delay_alu instid0(VALU_DEP_1) | instskip(SKIP_1) | instid1(VALU_DEP_1)
	v_fma_f32 v188, v1, v9, -v2
	v_mul_f32_e32 v1, v4, v12
	v_fma_f32 v190, v3, v11, -v1
	s_clause 0x1
	scratch_load_b128 v[1:4], off, off offset:328
	scratch_load_b128 v[9:12], off, off offset:344
	s_wait_loadcnt_dscnt 0x100
	v_mul_f32_e32 v191, v5, v2
	v_dual_mul_f32 v2, v6, v2 :: v_dual_mul_f32 v193, v7, v4
	s_delay_alu instid0(VALU_DEP_2) | instskip(NEXT) | instid1(VALU_DEP_2)
	v_fmac_f32_e32 v191, v6, v1
	v_fma_f32 v192, v5, v1, -v2
	v_mul_f32_e32 v1, v8, v4
	s_delay_alu instid0(VALU_DEP_4) | instskip(NEXT) | instid1(VALU_DEP_2)
	v_fmac_f32_e32 v193, v8, v3
	v_fma_f32 v194, v7, v3, -v1
	ds_load_2addr_b64 v[1:4], v21 offset0:105 offset1:106
	ds_load_2addr_b64 v[5:8], v21 offset0:107 offset1:108
	s_wait_loadcnt_dscnt 0x1
	v_mul_f32_e32 v195, v1, v10
	v_mul_f32_e32 v197, v3, v12
	s_delay_alu instid0(VALU_DEP_2) | instskip(NEXT) | instid1(VALU_DEP_2)
	v_fmac_f32_e32 v195, v2, v9
	v_dual_mul_f32 v2, v2, v10 :: v_dual_fmac_f32 v197, v4, v11
	s_delay_alu instid0(VALU_DEP_1) | instskip(SKIP_1) | instid1(VALU_DEP_1)
	v_fma_f32 v196, v1, v9, -v2
	v_mul_f32_e32 v1, v4, v12
	v_fma_f32 v198, v3, v11, -v1
	s_clause 0x1
	scratch_load_b128 v[1:4], off, off offset:360
	scratch_load_b128 v[9:12], off, off offset:376
	s_wait_loadcnt_dscnt 0x100
	v_mul_f32_e32 v199, v5, v2
	v_dual_mul_f32 v2, v6, v2 :: v_dual_mul_f32 v201, v7, v4
	s_delay_alu instid0(VALU_DEP_2) | instskip(NEXT) | instid1(VALU_DEP_2)
	v_fmac_f32_e32 v199, v6, v1
	v_fma_f32 v200, v5, v1, -v2
	v_mul_f32_e32 v1, v8, v4
	s_delay_alu instid0(VALU_DEP_4) | instskip(NEXT) | instid1(VALU_DEP_2)
	v_fmac_f32_e32 v201, v8, v3
	v_fma_f32 v202, v7, v3, -v1
	ds_load_2addr_b64 v[1:4], v21 offset0:109 offset1:110
	ds_load_2addr_b64 v[5:8], v21 offset0:111 offset1:112
	s_wait_loadcnt_dscnt 0x1
	v_mul_f32_e32 v203, v1, v10
	v_mul_f32_e32 v205, v3, v12
	s_delay_alu instid0(VALU_DEP_2) | instskip(NEXT) | instid1(VALU_DEP_2)
	v_fmac_f32_e32 v203, v2, v9
	v_dual_mul_f32 v2, v2, v10 :: v_dual_fmac_f32 v205, v4, v11
	s_delay_alu instid0(VALU_DEP_1) | instskip(SKIP_1) | instid1(VALU_DEP_1)
	v_fma_f32 v204, v1, v9, -v2
	v_mul_f32_e32 v1, v4, v12
	v_fma_f32 v206, v3, v11, -v1
	s_clause 0x1
	scratch_load_b128 v[1:4], off, off offset:392
	scratch_load_b128 v[9:12], off, off offset:408
	s_wait_loadcnt_dscnt 0x100
	v_mul_f32_e32 v207, v5, v2
	v_mul_f32_e32 v2, v6, v2
	s_delay_alu instid0(VALU_DEP_1) | instskip(SKIP_1) | instid1(VALU_DEP_1)
	v_fma_f32 v208, v5, v1, -v2
	v_add_f32_e32 v2, 0, v155
	v_add_f32_e32 v2, v2, v156
	s_delay_alu instid0(VALU_DEP_1) | instskip(NEXT) | instid1(VALU_DEP_1)
	v_add_f32_e32 v2, v2, v24
	v_add_f32_e32 v2, v2, v25
	s_delay_alu instid0(VALU_DEP_1) | instskip(NEXT) | instid1(VALU_DEP_1)
	;; [unrolled: 3-line block ×8, first 2 shown]
	v_add_f32_e32 v2, v2, v171
	v_dual_add_f32 v2, v2, v173 :: v_dual_mul_f32 v209, v7, v4
	v_fmac_f32_e32 v207, v6, v1
	s_delay_alu instid0(VALU_DEP_2) | instskip(NEXT) | instid1(VALU_DEP_1)
	v_add_f32_e32 v2, v2, v175
	v_dual_fmac_f32 v209, v8, v3 :: v_dual_add_f32 v2, v2, v177
	s_delay_alu instid0(VALU_DEP_1) | instskip(NEXT) | instid1(VALU_DEP_1)
	v_dual_mul_f32 v1, v8, v4 :: v_dual_add_f32 v2, v2, v179
	v_fma_f32 v210, v7, v3, -v1
	v_add_f32_e32 v1, 0, v22
	s_delay_alu instid0(VALU_DEP_3) | instskip(NEXT) | instid1(VALU_DEP_2)
	v_add_f32_e32 v5, v2, v181
	v_add_f32_e32 v1, v1, v23
	s_delay_alu instid0(VALU_DEP_1) | instskip(NEXT) | instid1(VALU_DEP_1)
	v_add_f32_e32 v1, v1, v26
	v_add_f32_e32 v1, v1, v27
	s_delay_alu instid0(VALU_DEP_1) | instskip(NEXT) | instid1(VALU_DEP_1)
	;; [unrolled: 3-line block ×10, first 2 shown]
	v_add_f32_e32 v1, v1, v180
	v_add_f32_e32 v1, v1, v182
	s_delay_alu instid0(VALU_DEP_1)
	v_add_f32_e32 v6, v1, v184
	v_add_f32_e32 v13, v5, v183
	ds_load_2addr_b64 v[1:4], v21 offset0:113 offset1:114
	v_add_f32_e32 v14, v6, v186
	scratch_load_b128 v[5:8], off, off offset:424
	v_dual_add_f32 v13, v13, v185 :: v_dual_add_f32 v14, v14, v188
	s_delay_alu instid0(VALU_DEP_1) | instskip(NEXT) | instid1(VALU_DEP_1)
	v_add_f32_e32 v13, v13, v187
	v_dual_add_f32 v17, v14, v190 :: v_dual_add_f32 v18, v13, v189
	ds_load_2addr_b64 v[13:16], v21 offset0:115 offset1:116
	v_add_f32_e32 v17, v17, v192
	s_wait_loadcnt_dscnt 0x101
	v_mul_f32_e32 v25, v1, v10
	v_mul_f32_e32 v10, v2, v10
	;; [unrolled: 1-line block ×4, first 2 shown]
	v_add_f32_e32 v18, v18, v191
	v_fmac_f32_e32 v25, v2, v9
	v_fma_f32 v27, v1, v9, -v10
	v_fmac_f32_e32 v26, v4, v11
	v_fma_f32 v28, v3, v11, -v12
	scratch_load_b128 v[1:4], off, off offset:440
	v_add_f32_e32 v17, v17, v194
	scratch_load_b128 v[9:12], off, off offset:456
	v_dual_add_f32 v18, v18, v193 :: v_dual_add_f32 v17, v17, v196
	s_delay_alu instid0(VALU_DEP_1) | instskip(SKIP_2) | instid1(VALU_DEP_1)
	v_dual_add_f32 v22, v18, v195 :: v_dual_add_f32 v23, v17, v198
	scratch_load_b128 v[17:20], off, off offset:472
	v_dual_add_f32 v22, v22, v197 :: v_dual_add_f32 v23, v23, v200
	v_add_f32_e32 v23, v23, v202
	s_wait_loadcnt_dscnt 0x300
	v_mul_f32_e32 v29, v13, v6
	v_mul_f32_e32 v6, v14, v6
	;; [unrolled: 1-line block ×3, first 2 shown]
	v_add_f32_e32 v22, v22, v199
	s_delay_alu instid0(VALU_DEP_4) | instskip(NEXT) | instid1(VALU_DEP_4)
	v_dual_mul_f32 v8, v16, v8 :: v_dual_fmac_f32 v29, v14, v5
	v_fma_f32 v155, v13, v5, -v6
	s_delay_alu instid0(VALU_DEP_3) | instskip(NEXT) | instid1(VALU_DEP_3)
	v_dual_fmac_f32 v32, v16, v7 :: v_dual_add_f32 v13, v22, v201
	v_fma_f32 v156, v15, v7, -v8
	ds_load_2addr_b64 v[5:8], v21 offset0:117 offset1:118
	v_dual_add_f32 v22, v23, v204 :: v_dual_add_f32 v23, v13, v203
	ds_load_2addr_b64 v[13:16], v21 offset0:119 offset1:120
	v_dual_add_f32 v158, v22, v206 :: v_dual_add_f32 v159, v23, v205
	;; [unrolled: 2-line block ×3, first 2 shown]
	s_delay_alu instid0(VALU_DEP_1) | instskip(SKIP_1) | instid1(VALU_DEP_1)
	v_dual_add_f32 v158, v158, v210 :: v_dual_add_f32 v159, v159, v209
	s_wait_loadcnt_dscnt 0x202
	v_dual_mul_f32 v160, v5, v2 :: v_dual_add_f32 v27, v158, v27
	s_delay_alu instid0(VALU_DEP_2) | instskip(SKIP_2) | instid1(VALU_DEP_4)
	v_dual_mul_f32 v2, v6, v2 :: v_dual_add_f32 v25, v159, v25
	v_mul_f32_e32 v158, v7, v4
	v_mul_f32_e32 v4, v8, v4
	v_add_f32_e32 v27, v27, v28
	s_delay_alu instid0(VALU_DEP_4) | instskip(SKIP_4) | instid1(VALU_DEP_3)
	v_fma_f32 v2, v5, v1, -v2
	v_dual_add_f32 v25, v25, v26 :: v_dual_fmac_f32 v160, v6, v1
	s_wait_loadcnt_dscnt 0x101
	v_mul_f32_e32 v159, v13, v10
	v_dual_add_f32 v27, v27, v155 :: v_dual_mul_f32 v6, v14, v10
	v_dual_add_f32 v25, v25, v29 :: v_dual_fmac_f32 v158, v8, v3
	v_fma_f32 v3, v7, v3, -v4
	s_delay_alu instid0(VALU_DEP_3) | instskip(SKIP_1) | instid1(VALU_DEP_4)
	v_add_f32_e32 v1, v27, v156
	v_mul_f32_e32 v161, v15, v12
	v_add_f32_e32 v5, v25, v32
	v_dual_mul_f32 v4, v16, v12 :: v_dual_fmac_f32 v159, v14, v9
	s_delay_alu instid0(VALU_DEP_4)
	v_add_f32_e32 v1, v1, v2
	s_wait_loadcnt_dscnt 0x0
	v_mul_f32_e32 v26, v21, v18
	v_add_f32_e32 v2, v5, v160
	v_fma_f32 v5, v13, v9, -v6
	v_fmac_f32_e32 v161, v16, v11
	v_add_f32_e32 v1, v1, v3
	v_mul_f32_e32 v3, v22, v18
	v_add_f32_e32 v2, v2, v158
	v_fma_f32 v4, v15, v11, -v4
	s_delay_alu instid0(VALU_DEP_4) | instskip(NEXT) | instid1(VALU_DEP_3)
	v_dual_mul_f32 v28, v23, v20 :: v_dual_add_f32 v1, v1, v5
	v_dual_mul_f32 v5, v24, v20 :: v_dual_add_f32 v2, v2, v159
	v_fmac_f32_e32 v26, v22, v17
	v_fma_f32 v3, v21, v17, -v3
	s_delay_alu instid0(VALU_DEP_4) | instskip(NEXT) | instid1(VALU_DEP_4)
	v_dual_add_f32 v1, v1, v4 :: v_dual_fmac_f32 v28, v24, v19
	v_add_f32_e32 v2, v2, v161
	v_fma_f32 v4, v23, v19, -v5
	s_delay_alu instid0(VALU_DEP_2) | instskip(NEXT) | instid1(VALU_DEP_1)
	v_dual_add_f32 v1, v1, v3 :: v_dual_add_f32 v2, v2, v26
	v_add_f32_e32 v1, v1, v4
	s_delay_alu instid0(VALU_DEP_2) | instskip(NEXT) | instid1(VALU_DEP_1)
	v_add_f32_e32 v2, v2, v28
	v_dual_sub_f32 v1, v30, v1 :: v_dual_sub_f32 v2, v31, v2
	scratch_store_b64 off, v[1:2], off offset:112
	v_cmpx_lt_u32_e32 13, v0
	s_cbranch_execz .LBB60_353
; %bb.352:
	scratch_load_b64 v[1:2], off, off offset:104
	v_mov_b32_e32 v3, 0
	s_delay_alu instid0(VALU_DEP_1)
	v_mov_b32_e32 v4, v3
	scratch_store_b64 off, v[3:4], off offset:104
	s_wait_loadcnt 0x0
	ds_store_b64 v157, v[1:2]
.LBB60_353:
	s_wait_alu 0xfffe
	s_or_b32 exec_lo, exec_lo, s0
	s_wait_storecnt_dscnt 0x0
	s_barrier_signal -1
	s_barrier_wait -1
	global_inv scope:SCOPE_SE
	s_clause 0x4
	scratch_load_b128 v[5:8], off, off offset:112
	scratch_load_b128 v[1:4], off, off offset:128
	;; [unrolled: 1-line block ×5, first 2 shown]
	v_mov_b32_e32 v21, 0
	ds_load_b128 v[22:25], v21 offset:608
	ds_load_b128 v[26:29], v21 offset:624
	;; [unrolled: 1-line block ×3, first 2 shown]
	scratch_load_b64 v[30:31], off, off offset:104
	s_mov_b32 s0, exec_lo
	s_wait_loadcnt_dscnt 0x502
	v_mul_f32_e32 v32, v23, v6
	v_dual_mul_f32 v155, v22, v6 :: v_dual_mul_f32 v156, v24, v8
	v_mul_f32_e32 v6, v25, v8
	s_wait_loadcnt_dscnt 0x300
	v_mul_f32_e32 v162, v160, v12
	v_fma_f32 v22, v22, v5, -v32
	v_dual_fmac_f32 v155, v23, v5 :: v_dual_fmac_f32 v156, v25, v7
	v_mul_f32_e32 v25, v28, v4
	v_fma_f32 v23, v24, v7, -v6
	ds_load_b128 v[5:8], v21 offset:656
	v_mul_f32_e32 v24, v26, v2
	v_mul_f32_e32 v4, v29, v4
	;; [unrolled: 1-line block ×5, first 2 shown]
	v_dual_mul_f32 v2, v27, v2 :: v_dual_fmac_f32 v25, v29, v3
	v_fmac_f32_e32 v24, v27, v1
	v_fma_f32 v27, v28, v3, -v4
	v_fmac_f32_e32 v32, v159, v9
	v_fma_f32 v28, v158, v9, -v10
	;; [unrolled: 2-line block ×3, first 2 shown]
	ds_load_b128 v[9:12], v21 offset:672
	s_wait_loadcnt_dscnt 0x201
	v_dual_mul_f32 v159, v7, v16 :: v_dual_mul_f32 v158, v5, v14
	v_mul_f32_e32 v14, v6, v14
	v_mul_f32_e32 v16, v8, v16
	s_delay_alu instid0(VALU_DEP_3)
	v_fmac_f32_e32 v159, v8, v15
	v_fma_f32 v26, v26, v1, -v2
	scratch_load_b128 v[1:4], off, off offset:192
	v_fmac_f32_e32 v158, v6, v13
	v_fma_f32 v13, v5, v13, -v14
	v_fma_f32 v14, v7, v15, -v16
	ds_load_b128 v[5:8], v21 offset:688
	s_wait_loadcnt_dscnt 0x201
	v_mul_f32_e32 v15, v9, v18
	v_mul_f32_e32 v16, v10, v18
	;; [unrolled: 1-line block ×3, first 2 shown]
	s_delay_alu instid0(VALU_DEP_3) | instskip(NEXT) | instid1(VALU_DEP_3)
	v_dual_mul_f32 v20, v12, v20 :: v_dual_fmac_f32 v15, v10, v17
	v_fma_f32 v16, v9, v17, -v16
	s_delay_alu instid0(VALU_DEP_3) | instskip(NEXT) | instid1(VALU_DEP_3)
	v_fmac_f32_e32 v18, v12, v19
	v_fma_f32 v17, v11, v19, -v20
	scratch_load_b128 v[9:12], off, off offset:208
	s_wait_loadcnt_dscnt 0x100
	v_mul_f32_e32 v19, v5, v2
	v_mul_f32_e32 v2, v6, v2
	;; [unrolled: 1-line block ×3, first 2 shown]
	s_delay_alu instid0(VALU_DEP_3) | instskip(NEXT) | instid1(VALU_DEP_3)
	v_dual_mul_f32 v4, v8, v4 :: v_dual_fmac_f32 v19, v6, v1
	v_fma_f32 v160, v5, v1, -v2
	s_delay_alu instid0(VALU_DEP_3) | instskip(NEXT) | instid1(VALU_DEP_3)
	v_fmac_f32_e32 v20, v8, v3
	v_fma_f32 v161, v7, v3, -v4
	ds_load_b128 v[1:4], v21 offset:704
	ds_load_b128 v[5:8], v21 offset:720
	s_wait_loadcnt_dscnt 0x1
	v_mul_f32_e32 v163, v1, v10
	v_mul_f32_e32 v10, v2, v10
	s_delay_alu instid0(VALU_DEP_2) | instskip(NEXT) | instid1(VALU_DEP_2)
	v_dual_mul_f32 v164, v3, v12 :: v_dual_fmac_f32 v163, v2, v9
	v_fma_f32 v165, v1, v9, -v10
	v_mul_f32_e32 v1, v4, v12
	s_delay_alu instid0(VALU_DEP_3) | instskip(NEXT) | instid1(VALU_DEP_2)
	v_fmac_f32_e32 v164, v4, v11
	v_fma_f32 v166, v3, v11, -v1
	s_clause 0x1
	scratch_load_b128 v[1:4], off, off offset:224
	scratch_load_b128 v[9:12], off, off offset:240
	s_wait_loadcnt_dscnt 0x100
	v_mul_f32_e32 v167, v5, v2
	v_dual_mul_f32 v2, v6, v2 :: v_dual_mul_f32 v169, v7, v4
	s_delay_alu instid0(VALU_DEP_2) | instskip(NEXT) | instid1(VALU_DEP_2)
	v_fmac_f32_e32 v167, v6, v1
	v_fma_f32 v168, v5, v1, -v2
	v_mul_f32_e32 v1, v8, v4
	s_delay_alu instid0(VALU_DEP_4) | instskip(NEXT) | instid1(VALU_DEP_2)
	v_fmac_f32_e32 v169, v8, v3
	v_fma_f32 v170, v7, v3, -v1
	ds_load_b128 v[1:4], v21 offset:736
	ds_load_b128 v[5:8], v21 offset:752
	s_wait_loadcnt_dscnt 0x1
	v_mul_f32_e32 v171, v1, v10
	v_mul_f32_e32 v173, v3, v12
	s_delay_alu instid0(VALU_DEP_2) | instskip(NEXT) | instid1(VALU_DEP_2)
	v_fmac_f32_e32 v171, v2, v9
	v_dual_mul_f32 v2, v2, v10 :: v_dual_fmac_f32 v173, v4, v11
	s_delay_alu instid0(VALU_DEP_1) | instskip(SKIP_1) | instid1(VALU_DEP_1)
	v_fma_f32 v172, v1, v9, -v2
	v_mul_f32_e32 v1, v4, v12
	v_fma_f32 v174, v3, v11, -v1
	s_clause 0x1
	scratch_load_b128 v[1:4], off, off offset:256
	scratch_load_b128 v[9:12], off, off offset:272
	s_wait_loadcnt_dscnt 0x100
	v_mul_f32_e32 v175, v5, v2
	v_dual_mul_f32 v2, v6, v2 :: v_dual_mul_f32 v177, v7, v4
	s_delay_alu instid0(VALU_DEP_2) | instskip(NEXT) | instid1(VALU_DEP_2)
	v_fmac_f32_e32 v175, v6, v1
	v_fma_f32 v176, v5, v1, -v2
	v_mul_f32_e32 v1, v8, v4
	s_delay_alu instid0(VALU_DEP_4) | instskip(NEXT) | instid1(VALU_DEP_2)
	v_fmac_f32_e32 v177, v8, v3
	v_fma_f32 v178, v7, v3, -v1
	ds_load_b128 v[1:4], v21 offset:768
	ds_load_b128 v[5:8], v21 offset:784
	s_wait_loadcnt_dscnt 0x1
	v_mul_f32_e32 v179, v1, v10
	v_mul_f32_e32 v181, v3, v12
	s_delay_alu instid0(VALU_DEP_2) | instskip(NEXT) | instid1(VALU_DEP_2)
	v_fmac_f32_e32 v179, v2, v9
	v_dual_mul_f32 v2, v2, v10 :: v_dual_fmac_f32 v181, v4, v11
	s_delay_alu instid0(VALU_DEP_1) | instskip(SKIP_1) | instid1(VALU_DEP_1)
	v_fma_f32 v180, v1, v9, -v2
	v_mul_f32_e32 v1, v4, v12
	v_fma_f32 v182, v3, v11, -v1
	s_clause 0x1
	scratch_load_b128 v[1:4], off, off offset:288
	scratch_load_b128 v[9:12], off, off offset:304
	s_wait_loadcnt_dscnt 0x100
	v_mul_f32_e32 v183, v5, v2
	v_dual_mul_f32 v2, v6, v2 :: v_dual_mul_f32 v185, v7, v4
	s_delay_alu instid0(VALU_DEP_1) | instskip(NEXT) | instid1(VALU_DEP_3)
	v_fma_f32 v184, v5, v1, -v2
	v_fmac_f32_e32 v183, v6, v1
	v_mul_f32_e32 v1, v8, v4
	s_delay_alu instid0(VALU_DEP_4) | instskip(NEXT) | instid1(VALU_DEP_2)
	v_fmac_f32_e32 v185, v8, v3
	v_fma_f32 v186, v7, v3, -v1
	ds_load_b128 v[1:4], v21 offset:800
	ds_load_b128 v[5:8], v21 offset:816
	s_wait_loadcnt_dscnt 0x1
	v_mul_f32_e32 v187, v1, v10
	v_mul_f32_e32 v189, v3, v12
	s_delay_alu instid0(VALU_DEP_2) | instskip(NEXT) | instid1(VALU_DEP_2)
	v_fmac_f32_e32 v187, v2, v9
	v_dual_mul_f32 v2, v2, v10 :: v_dual_fmac_f32 v189, v4, v11
	s_delay_alu instid0(VALU_DEP_1) | instskip(SKIP_1) | instid1(VALU_DEP_1)
	v_fma_f32 v188, v1, v9, -v2
	v_mul_f32_e32 v1, v4, v12
	v_fma_f32 v190, v3, v11, -v1
	s_clause 0x1
	scratch_load_b128 v[1:4], off, off offset:320
	scratch_load_b128 v[9:12], off, off offset:336
	s_wait_loadcnt_dscnt 0x100
	v_mul_f32_e32 v191, v5, v2
	v_dual_mul_f32 v2, v6, v2 :: v_dual_mul_f32 v193, v7, v4
	s_delay_alu instid0(VALU_DEP_2) | instskip(NEXT) | instid1(VALU_DEP_2)
	v_fmac_f32_e32 v191, v6, v1
	v_fma_f32 v192, v5, v1, -v2
	v_mul_f32_e32 v1, v8, v4
	s_delay_alu instid0(VALU_DEP_4) | instskip(NEXT) | instid1(VALU_DEP_2)
	v_fmac_f32_e32 v193, v8, v3
	v_fma_f32 v194, v7, v3, -v1
	ds_load_b128 v[1:4], v21 offset:832
	ds_load_b128 v[5:8], v21 offset:848
	s_wait_loadcnt_dscnt 0x1
	v_mul_f32_e32 v195, v1, v10
	v_mul_f32_e32 v197, v3, v12
	s_delay_alu instid0(VALU_DEP_2) | instskip(NEXT) | instid1(VALU_DEP_2)
	v_fmac_f32_e32 v195, v2, v9
	v_dual_mul_f32 v2, v2, v10 :: v_dual_fmac_f32 v197, v4, v11
	s_delay_alu instid0(VALU_DEP_1) | instskip(SKIP_1) | instid1(VALU_DEP_1)
	v_fma_f32 v196, v1, v9, -v2
	v_mul_f32_e32 v1, v4, v12
	v_fma_f32 v198, v3, v11, -v1
	s_clause 0x1
	scratch_load_b128 v[1:4], off, off offset:352
	scratch_load_b128 v[9:12], off, off offset:368
	s_wait_loadcnt_dscnt 0x100
	v_mul_f32_e32 v199, v5, v2
	v_dual_mul_f32 v2, v6, v2 :: v_dual_mul_f32 v201, v7, v4
	s_delay_alu instid0(VALU_DEP_2) | instskip(NEXT) | instid1(VALU_DEP_2)
	v_fmac_f32_e32 v199, v6, v1
	v_fma_f32 v200, v5, v1, -v2
	v_mul_f32_e32 v1, v8, v4
	s_delay_alu instid0(VALU_DEP_4) | instskip(NEXT) | instid1(VALU_DEP_2)
	v_fmac_f32_e32 v201, v8, v3
	v_fma_f32 v202, v7, v3, -v1
	ds_load_b128 v[1:4], v21 offset:864
	ds_load_b128 v[5:8], v21 offset:880
	s_wait_loadcnt_dscnt 0x1
	v_mul_f32_e32 v203, v1, v10
	v_mul_f32_e32 v205, v3, v12
	s_delay_alu instid0(VALU_DEP_2) | instskip(NEXT) | instid1(VALU_DEP_2)
	v_fmac_f32_e32 v203, v2, v9
	v_dual_mul_f32 v2, v2, v10 :: v_dual_fmac_f32 v205, v4, v11
	s_delay_alu instid0(VALU_DEP_1) | instskip(SKIP_1) | instid1(VALU_DEP_1)
	v_fma_f32 v204, v1, v9, -v2
	v_mul_f32_e32 v1, v4, v12
	v_fma_f32 v206, v3, v11, -v1
	s_clause 0x1
	scratch_load_b128 v[1:4], off, off offset:384
	scratch_load_b128 v[9:12], off, off offset:400
	s_wait_loadcnt_dscnt 0x100
	v_mul_f32_e32 v207, v5, v2
	v_mul_f32_e32 v2, v6, v2
	s_delay_alu instid0(VALU_DEP_1) | instskip(SKIP_1) | instid1(VALU_DEP_1)
	v_fma_f32 v208, v5, v1, -v2
	v_add_f32_e32 v2, 0, v155
	v_add_f32_e32 v2, v2, v156
	s_delay_alu instid0(VALU_DEP_1) | instskip(NEXT) | instid1(VALU_DEP_1)
	v_add_f32_e32 v2, v2, v24
	v_add_f32_e32 v2, v2, v25
	s_delay_alu instid0(VALU_DEP_1) | instskip(NEXT) | instid1(VALU_DEP_1)
	;; [unrolled: 3-line block ×8, first 2 shown]
	v_add_f32_e32 v2, v2, v171
	v_add_f32_e32 v2, v2, v173
	s_delay_alu instid0(VALU_DEP_1) | instskip(SKIP_1) | instid1(VALU_DEP_2)
	v_add_f32_e32 v2, v2, v175
	v_fmac_f32_e32 v207, v6, v1
	v_dual_mul_f32 v209, v7, v4 :: v_dual_add_f32 v2, v2, v177
	s_delay_alu instid0(VALU_DEP_1) | instskip(NEXT) | instid1(VALU_DEP_1)
	v_dual_mul_f32 v1, v8, v4 :: v_dual_add_f32 v2, v2, v179
	v_fma_f32 v210, v7, v3, -v1
	v_add_f32_e32 v1, 0, v22
	s_delay_alu instid0(VALU_DEP_3) | instskip(NEXT) | instid1(VALU_DEP_2)
	v_add_f32_e32 v5, v2, v181
	v_add_f32_e32 v1, v1, v23
	s_delay_alu instid0(VALU_DEP_1) | instskip(NEXT) | instid1(VALU_DEP_1)
	v_add_f32_e32 v1, v1, v26
	v_add_f32_e32 v1, v1, v27
	scratch_load_b64 v[26:27], off, off offset:480
	v_add_f32_e32 v1, v1, v28
	s_delay_alu instid0(VALU_DEP_1) | instskip(NEXT) | instid1(VALU_DEP_1)
	v_add_f32_e32 v1, v1, v29
	v_add_f32_e32 v1, v1, v13
	s_delay_alu instid0(VALU_DEP_1) | instskip(NEXT) | instid1(VALU_DEP_1)
	v_add_f32_e32 v1, v1, v14
	;; [unrolled: 3-line block ×9, first 2 shown]
	v_dual_add_f32 v6, v1, v184 :: v_dual_fmac_f32 v209, v8, v3
	scratch_load_b128 v[1:4], off, off offset:416
	v_dual_add_f32 v13, v5, v183 :: v_dual_add_f32 v14, v6, v186
	ds_load_b128 v[5:8], v21 offset:896
	v_dual_add_f32 v13, v13, v185 :: v_dual_add_f32 v14, v14, v188
	s_delay_alu instid0(VALU_DEP_1) | instskip(NEXT) | instid1(VALU_DEP_1)
	v_add_f32_e32 v13, v13, v187
	v_dual_add_f32 v17, v14, v190 :: v_dual_add_f32 v18, v13, v189
	ds_load_b128 v[13:16], v21 offset:912
	v_add_f32_e32 v17, v17, v192
	s_delay_alu instid0(VALU_DEP_1)
	v_add_f32_e32 v17, v17, v194
	s_wait_loadcnt_dscnt 0x201
	v_mul_f32_e32 v155, v7, v12
	v_mul_f32_e32 v12, v8, v12
	v_add_f32_e32 v18, v18, v191
	v_mul_f32_e32 v32, v5, v10
	v_dual_mul_f32 v10, v6, v10 :: v_dual_add_f32 v17, v17, v196
	s_delay_alu instid0(VALU_DEP_3) | instskip(NEXT) | instid1(VALU_DEP_3)
	v_dual_fmac_f32 v155, v8, v11 :: v_dual_add_f32 v18, v18, v193
	v_fmac_f32_e32 v32, v6, v9
	s_delay_alu instid0(VALU_DEP_3)
	v_fma_f32 v156, v5, v9, -v10
	v_fma_f32 v158, v7, v11, -v12
	s_clause 0x1
	scratch_load_b128 v[5:8], off, off offset:432
	scratch_load_b128 v[9:12], off, off offset:448
	s_wait_loadcnt_dscnt 0x200
	v_dual_add_f32 v23, v17, v198 :: v_dual_mul_f32 v160, v15, v4
	v_add_f32_e32 v22, v18, v195
	scratch_load_b128 v[17:20], off, off offset:464
	v_add_f32_e32 v23, v23, v200
	v_dual_mul_f32 v4, v16, v4 :: v_dual_mul_f32 v159, v13, v2
	v_add_f32_e32 v22, v22, v197
	v_mul_f32_e32 v2, v14, v2
	s_delay_alu instid0(VALU_DEP_4) | instskip(NEXT) | instid1(VALU_DEP_4)
	v_dual_add_f32 v23, v23, v202 :: v_dual_fmac_f32 v160, v16, v3
	v_fmac_f32_e32 v159, v14, v1
	s_delay_alu instid0(VALU_DEP_4) | instskip(NEXT) | instid1(VALU_DEP_4)
	v_add_f32_e32 v22, v22, v199
	v_fma_f32 v161, v13, v1, -v2
	s_delay_alu instid0(VALU_DEP_4) | instskip(SKIP_3) | instid1(VALU_DEP_1)
	v_add_f32_e32 v23, v23, v204
	v_fma_f32 v162, v15, v3, -v4
	ds_load_b128 v[1:4], v21 offset:928
	v_add_f32_e32 v22, v22, v201
	v_dual_add_f32 v14, v23, v206 :: v_dual_add_f32 v13, v22, v203
	s_delay_alu instid0(VALU_DEP_1) | instskip(NEXT) | instid1(VALU_DEP_2)
	v_add_f32_e32 v28, v14, v208
	v_add_f32_e32 v22, v13, v205
	ds_load_b128 v[13:16], v21 offset:944
	v_add_f32_e32 v163, v28, v210
	v_add_f32_e32 v29, v22, v207
	ds_load_b128 v[22:25], v21 offset:960
	s_wait_loadcnt_dscnt 0x202
	v_dual_add_f32 v156, v163, v156 :: v_dual_mul_f32 v163, v1, v6
	v_add_f32_e32 v164, v29, v209
	ds_load_b64 v[28:29], v21 offset:976
	v_add_f32_e32 v156, v156, v158
	v_mul_f32_e32 v6, v2, v6
	v_dual_fmac_f32 v163, v2, v5 :: v_dual_add_f32 v32, v164, v32
	s_delay_alu instid0(VALU_DEP_3) | instskip(NEXT) | instid1(VALU_DEP_3)
	v_add_f32_e32 v156, v156, v161
	v_fma_f32 v1, v1, v5, -v6
	s_delay_alu instid0(VALU_DEP_3)
	v_add_f32_e32 v32, v32, v155
	s_wait_loadcnt_dscnt 0x102
	v_mul_f32_e32 v158, v13, v10
	v_add_f32_e32 v156, v156, v162
	v_mul_f32_e32 v5, v16, v12
	v_dual_add_f32 v32, v32, v159 :: v_dual_mul_f32 v159, v15, v12
	s_delay_alu instid0(VALU_DEP_3) | instskip(SKIP_1) | instid1(VALU_DEP_4)
	v_add_f32_e32 v1, v156, v1
	v_fmac_f32_e32 v158, v14, v9
	v_fma_f32 v5, v15, v11, -v5
	s_delay_alu instid0(VALU_DEP_4) | instskip(SKIP_3) | instid1(VALU_DEP_1)
	v_add_f32_e32 v32, v32, v160
	v_fmac_f32_e32 v159, v16, v11
	s_wait_dscnt 0x0
	v_mul_f32_e32 v160, v28, v27
	v_fmac_f32_e32 v160, v29, v26
	s_wait_loadcnt 0x0
	v_dual_mul_f32 v162, v24, v20 :: v_dual_mul_f32 v161, v22, v18
	s_delay_alu instid0(VALU_DEP_1) | instskip(NEXT) | instid1(VALU_DEP_2)
	v_dual_fmac_f32 v162, v25, v19 :: v_dual_mul_f32 v155, v3, v8
	v_dual_mul_f32 v8, v4, v8 :: v_dual_fmac_f32 v161, v23, v17
	s_delay_alu instid0(VALU_DEP_2) | instskip(NEXT) | instid1(VALU_DEP_2)
	v_fmac_f32_e32 v155, v4, v7
	v_fma_f32 v2, v3, v7, -v8
	v_dual_mul_f32 v3, v14, v10 :: v_dual_add_f32 v4, v32, v163
	s_delay_alu instid0(VALU_DEP_2) | instskip(NEXT) | instid1(VALU_DEP_2)
	v_add_f32_e32 v1, v1, v2
	v_fma_f32 v3, v13, v9, -v3
	s_delay_alu instid0(VALU_DEP_3) | instskip(NEXT) | instid1(VALU_DEP_2)
	v_add_f32_e32 v2, v4, v155
	v_dual_mul_f32 v4, v23, v18 :: v_dual_add_f32 v1, v1, v3
	s_delay_alu instid0(VALU_DEP_2) | instskip(NEXT) | instid1(VALU_DEP_2)
	v_dual_add_f32 v2, v2, v158 :: v_dual_mul_f32 v3, v25, v20
	v_fma_f32 v4, v22, v17, -v4
	s_delay_alu instid0(VALU_DEP_2) | instskip(SKIP_1) | instid1(VALU_DEP_4)
	v_dual_add_f32 v1, v1, v5 :: v_dual_add_f32 v2, v2, v159
	v_mul_f32_e32 v5, v29, v27
	v_fma_f32 v3, v24, v19, -v3
	s_delay_alu instid0(VALU_DEP_3) | instskip(NEXT) | instid1(VALU_DEP_3)
	v_dual_add_f32 v1, v1, v4 :: v_dual_add_f32 v2, v2, v161
	v_fma_f32 v4, v28, v26, -v5
	s_delay_alu instid0(VALU_DEP_2) | instskip(NEXT) | instid1(VALU_DEP_1)
	v_dual_add_f32 v1, v1, v3 :: v_dual_add_f32 v2, v2, v162
	v_add_f32_e32 v1, v1, v4
	s_delay_alu instid0(VALU_DEP_2) | instskip(NEXT) | instid1(VALU_DEP_1)
	v_add_f32_e32 v2, v2, v160
	v_dual_sub_f32 v1, v30, v1 :: v_dual_sub_f32 v2, v31, v2
	scratch_store_b64 off, v[1:2], off offset:104
	v_cmpx_lt_u32_e32 12, v0
	s_cbranch_execz .LBB60_355
; %bb.354:
	scratch_load_b64 v[1:2], off, off offset:96
	v_mov_b32_e32 v22, v21
	scratch_store_b64 off, v[21:22], off offset:96
	s_wait_loadcnt 0x0
	ds_store_b64 v157, v[1:2]
.LBB60_355:
	s_wait_alu 0xfffe
	s_or_b32 exec_lo, exec_lo, s0
	s_wait_storecnt_dscnt 0x0
	s_barrier_signal -1
	s_barrier_wait -1
	global_inv scope:SCOPE_SE
	s_clause 0x4
	scratch_load_b128 v[5:8], off, off offset:104
	scratch_load_b128 v[1:4], off, off offset:120
	;; [unrolled: 1-line block ×5, first 2 shown]
	ds_load_2addr_b64 v[22:25], v21 offset0:75 offset1:76
	ds_load_2addr_b64 v[26:29], v21 offset0:77 offset1:78
	;; [unrolled: 1-line block ×3, first 2 shown]
	scratch_load_b64 v[30:31], off, off offset:96
	s_mov_b32 s0, exec_lo
	s_wait_loadcnt_dscnt 0x502
	v_mul_f32_e32 v32, v23, v6
	v_dual_mul_f32 v155, v22, v6 :: v_dual_mul_f32 v156, v24, v8
	v_mul_f32_e32 v6, v25, v8
	s_wait_loadcnt_dscnt 0x300
	v_mul_f32_e32 v162, v160, v12
	s_delay_alu instid0(VALU_DEP_3)
	v_dual_mul_f32 v12, v161, v12 :: v_dual_fmac_f32 v155, v23, v5
	v_fmac_f32_e32 v156, v25, v7
	v_fma_f32 v23, v24, v7, -v6
	v_mul_f32_e32 v25, v28, v4
	v_fma_f32 v22, v22, v5, -v32
	ds_load_2addr_b64 v[5:8], v21 offset0:81 offset1:82
	v_mul_f32_e32 v24, v26, v2
	v_mul_f32_e32 v4, v29, v4
	;; [unrolled: 1-line block ×4, first 2 shown]
	v_dual_mul_f32 v2, v27, v2 :: v_dual_fmac_f32 v25, v29, v3
	v_fmac_f32_e32 v24, v27, v1
	v_fma_f32 v27, v28, v3, -v4
	v_fmac_f32_e32 v32, v159, v9
	v_fma_f32 v28, v158, v9, -v10
	;; [unrolled: 2-line block ×3, first 2 shown]
	ds_load_2addr_b64 v[9:12], v21 offset0:83 offset1:84
	s_wait_loadcnt_dscnt 0x201
	v_dual_mul_f32 v159, v7, v16 :: v_dual_mul_f32 v158, v5, v14
	v_mul_f32_e32 v14, v6, v14
	v_mul_f32_e32 v16, v8, v16
	s_delay_alu instid0(VALU_DEP_3)
	v_fmac_f32_e32 v159, v8, v15
	v_fma_f32 v26, v26, v1, -v2
	scratch_load_b128 v[1:4], off, off offset:184
	v_fmac_f32_e32 v158, v6, v13
	v_fma_f32 v13, v5, v13, -v14
	v_fma_f32 v14, v7, v15, -v16
	ds_load_2addr_b64 v[5:8], v21 offset0:85 offset1:86
	s_wait_loadcnt_dscnt 0x201
	v_mul_f32_e32 v15, v9, v18
	v_mul_f32_e32 v16, v10, v18
	;; [unrolled: 1-line block ×3, first 2 shown]
	s_delay_alu instid0(VALU_DEP_3) | instskip(NEXT) | instid1(VALU_DEP_3)
	v_dual_mul_f32 v20, v12, v20 :: v_dual_fmac_f32 v15, v10, v17
	v_fma_f32 v16, v9, v17, -v16
	s_delay_alu instid0(VALU_DEP_3) | instskip(NEXT) | instid1(VALU_DEP_3)
	v_fmac_f32_e32 v18, v12, v19
	v_fma_f32 v17, v11, v19, -v20
	scratch_load_b128 v[9:12], off, off offset:200
	s_wait_loadcnt_dscnt 0x100
	v_mul_f32_e32 v19, v5, v2
	v_mul_f32_e32 v2, v6, v2
	;; [unrolled: 1-line block ×3, first 2 shown]
	s_delay_alu instid0(VALU_DEP_3) | instskip(NEXT) | instid1(VALU_DEP_3)
	v_dual_mul_f32 v4, v8, v4 :: v_dual_fmac_f32 v19, v6, v1
	v_fma_f32 v160, v5, v1, -v2
	s_delay_alu instid0(VALU_DEP_3) | instskip(NEXT) | instid1(VALU_DEP_3)
	v_fmac_f32_e32 v20, v8, v3
	v_fma_f32 v161, v7, v3, -v4
	ds_load_2addr_b64 v[1:4], v21 offset0:87 offset1:88
	ds_load_2addr_b64 v[5:8], v21 offset0:89 offset1:90
	s_wait_loadcnt_dscnt 0x1
	v_mul_f32_e32 v163, v1, v10
	v_mul_f32_e32 v10, v2, v10
	s_delay_alu instid0(VALU_DEP_2) | instskip(NEXT) | instid1(VALU_DEP_2)
	v_dual_mul_f32 v164, v3, v12 :: v_dual_fmac_f32 v163, v2, v9
	v_fma_f32 v165, v1, v9, -v10
	v_mul_f32_e32 v1, v4, v12
	s_delay_alu instid0(VALU_DEP_3) | instskip(NEXT) | instid1(VALU_DEP_2)
	v_fmac_f32_e32 v164, v4, v11
	v_fma_f32 v166, v3, v11, -v1
	s_clause 0x1
	scratch_load_b128 v[1:4], off, off offset:216
	scratch_load_b128 v[9:12], off, off offset:232
	s_wait_loadcnt_dscnt 0x100
	v_mul_f32_e32 v167, v5, v2
	v_dual_mul_f32 v2, v6, v2 :: v_dual_mul_f32 v169, v7, v4
	s_delay_alu instid0(VALU_DEP_2) | instskip(NEXT) | instid1(VALU_DEP_2)
	v_fmac_f32_e32 v167, v6, v1
	v_fma_f32 v168, v5, v1, -v2
	v_mul_f32_e32 v1, v8, v4
	s_delay_alu instid0(VALU_DEP_4) | instskip(NEXT) | instid1(VALU_DEP_2)
	v_fmac_f32_e32 v169, v8, v3
	v_fma_f32 v170, v7, v3, -v1
	ds_load_2addr_b64 v[1:4], v21 offset0:91 offset1:92
	ds_load_2addr_b64 v[5:8], v21 offset0:93 offset1:94
	s_wait_loadcnt_dscnt 0x1
	v_mul_f32_e32 v171, v1, v10
	v_mul_f32_e32 v173, v3, v12
	s_delay_alu instid0(VALU_DEP_2) | instskip(NEXT) | instid1(VALU_DEP_2)
	v_fmac_f32_e32 v171, v2, v9
	v_dual_mul_f32 v2, v2, v10 :: v_dual_fmac_f32 v173, v4, v11
	s_delay_alu instid0(VALU_DEP_1) | instskip(SKIP_1) | instid1(VALU_DEP_1)
	v_fma_f32 v172, v1, v9, -v2
	v_mul_f32_e32 v1, v4, v12
	v_fma_f32 v174, v3, v11, -v1
	s_clause 0x1
	scratch_load_b128 v[1:4], off, off offset:248
	scratch_load_b128 v[9:12], off, off offset:264
	s_wait_loadcnt_dscnt 0x100
	v_mul_f32_e32 v175, v5, v2
	v_dual_mul_f32 v2, v6, v2 :: v_dual_mul_f32 v177, v7, v4
	s_delay_alu instid0(VALU_DEP_2) | instskip(NEXT) | instid1(VALU_DEP_2)
	v_fmac_f32_e32 v175, v6, v1
	v_fma_f32 v176, v5, v1, -v2
	v_mul_f32_e32 v1, v8, v4
	s_delay_alu instid0(VALU_DEP_4) | instskip(NEXT) | instid1(VALU_DEP_2)
	v_fmac_f32_e32 v177, v8, v3
	v_fma_f32 v178, v7, v3, -v1
	ds_load_2addr_b64 v[1:4], v21 offset0:95 offset1:96
	ds_load_2addr_b64 v[5:8], v21 offset0:97 offset1:98
	s_wait_loadcnt_dscnt 0x1
	v_mul_f32_e32 v179, v1, v10
	v_mul_f32_e32 v181, v3, v12
	s_delay_alu instid0(VALU_DEP_2) | instskip(NEXT) | instid1(VALU_DEP_2)
	v_fmac_f32_e32 v179, v2, v9
	v_dual_mul_f32 v2, v2, v10 :: v_dual_fmac_f32 v181, v4, v11
	s_delay_alu instid0(VALU_DEP_1) | instskip(SKIP_1) | instid1(VALU_DEP_1)
	v_fma_f32 v180, v1, v9, -v2
	v_mul_f32_e32 v1, v4, v12
	;; [unrolled: 25-line block ×6, first 2 shown]
	v_fma_f32 v214, v3, v11, -v1
	s_clause 0x1
	scratch_load_b128 v[1:4], off, off offset:408
	scratch_load_b128 v[9:12], off, off offset:424
	s_wait_loadcnt_dscnt 0x100
	v_mul_f32_e32 v215, v5, v2
	v_mul_f32_e32 v2, v6, v2
	s_delay_alu instid0(VALU_DEP_2) | instskip(NEXT) | instid1(VALU_DEP_2)
	v_fmac_f32_e32 v215, v6, v1
	v_fma_f32 v216, v5, v1, -v2
	v_dual_add_f32 v2, 0, v155 :: v_dual_mul_f32 v1, v8, v4
	s_delay_alu instid0(VALU_DEP_1) | instskip(NEXT) | instid1(VALU_DEP_2)
	v_add_f32_e32 v2, v2, v156
	v_fma_f32 v218, v7, v3, -v1
	s_delay_alu instid0(VALU_DEP_2) | instskip(NEXT) | instid1(VALU_DEP_1)
	v_add_f32_e32 v2, v2, v24
	v_add_f32_e32 v2, v2, v25
	s_delay_alu instid0(VALU_DEP_1) | instskip(NEXT) | instid1(VALU_DEP_1)
	v_dual_add_f32 v2, v2, v32 :: v_dual_add_f32 v1, 0, v22
	v_dual_add_f32 v2, v2, v162 :: v_dual_add_f32 v1, v1, v23
	s_delay_alu instid0(VALU_DEP_1) | instskip(NEXT) | instid1(VALU_DEP_1)
	v_add_f32_e32 v2, v2, v158
	v_dual_add_f32 v1, v1, v26 :: v_dual_add_f32 v2, v2, v159
	s_delay_alu instid0(VALU_DEP_1) | instskip(NEXT) | instid1(VALU_DEP_2)
	v_add_f32_e32 v1, v1, v27
	v_add_f32_e32 v2, v2, v15
	s_delay_alu instid0(VALU_DEP_1) | instskip(NEXT) | instid1(VALU_DEP_1)
	v_add_f32_e32 v2, v2, v18
	v_add_f32_e32 v2, v2, v19
	s_delay_alu instid0(VALU_DEP_1) | instskip(NEXT) | instid1(VALU_DEP_1)
	;; [unrolled: 3-line block ×5, first 2 shown]
	v_dual_add_f32 v2, v2, v173 :: v_dual_add_f32 v1, v1, v28
	v_dual_add_f32 v2, v2, v175 :: v_dual_add_f32 v1, v1, v29
	s_delay_alu instid0(VALU_DEP_1) | instskip(NEXT) | instid1(VALU_DEP_1)
	v_add_f32_e32 v2, v2, v177
	v_dual_add_f32 v1, v1, v13 :: v_dual_add_f32 v2, v2, v179
	s_delay_alu instid0(VALU_DEP_1) | instskip(NEXT) | instid1(VALU_DEP_1)
	v_dual_add_f32 v2, v2, v181 :: v_dual_add_f32 v1, v1, v14
	v_add_f32_e32 v1, v1, v16
	s_delay_alu instid0(VALU_DEP_1) | instskip(NEXT) | instid1(VALU_DEP_1)
	v_add_f32_e32 v1, v1, v17
	v_add_f32_e32 v1, v1, v160
	s_delay_alu instid0(VALU_DEP_1) | instskip(NEXT) | instid1(VALU_DEP_1)
	v_add_f32_e32 v1, v1, v161
	;; [unrolled: 3-line block ×8, first 2 shown]
	v_add_f32_e32 v1, v1, v188
	s_delay_alu instid0(VALU_DEP_1) | instskip(SKIP_1) | instid1(VALU_DEP_2)
	v_add_f32_e32 v6, v1, v190
	v_add_f32_e32 v2, v2, v183
	;; [unrolled: 1-line block ×3, first 2 shown]
	s_delay_alu instid0(VALU_DEP_2) | instskip(NEXT) | instid1(VALU_DEP_2)
	v_add_f32_e32 v2, v2, v185
	v_add_f32_e32 v13, v6, v194
	s_delay_alu instid0(VALU_DEP_2) | instskip(NEXT) | instid1(VALU_DEP_2)
	v_add_f32_e32 v5, v2, v187
	v_add_f32_e32 v13, v13, v196
	;; [unrolled: 3-line block ×3, first 2 shown]
	s_delay_alu instid0(VALU_DEP_2) | instskip(SKIP_1) | instid1(VALU_DEP_3)
	v_add_f32_e32 v5, v5, v191
	v_mul_f32_e32 v217, v7, v4
	v_add_f32_e32 v13, v13, v200
	s_delay_alu instid0(VALU_DEP_2) | instskip(SKIP_3) | instid1(VALU_DEP_1)
	v_dual_add_f32 v14, v5, v193 :: v_dual_fmac_f32 v217, v8, v3
	ds_load_2addr_b64 v[1:4], v21 offset0:115 offset1:116
	ds_load_2addr_b64 v[5:8], v21 offset0:117 offset1:118
	v_add_f32_e32 v18, v13, v202
	v_add_f32_e32 v18, v18, v204
	s_delay_alu instid0(VALU_DEP_1) | instskip(SKIP_1) | instid1(VALU_DEP_1)
	v_add_f32_e32 v18, v18, v206
	s_wait_loadcnt_dscnt 0x1
	v_dual_add_f32 v22, v18, v208 :: v_dual_mul_f32 v25, v1, v10
	v_mul_f32_e32 v26, v3, v12
	v_mul_f32_e32 v10, v2, v10
	s_delay_alu instid0(VALU_DEP_3) | instskip(NEXT) | instid1(VALU_DEP_3)
	v_dual_mul_f32 v12, v4, v12 :: v_dual_add_f32 v29, v22, v210
	v_dual_fmac_f32 v25, v2, v9 :: v_dual_fmac_f32 v26, v4, v11
	s_delay_alu instid0(VALU_DEP_3) | instskip(NEXT) | instid1(VALU_DEP_3)
	v_fma_f32 v27, v1, v9, -v10
	v_fma_f32 v28, v3, v11, -v12
	s_clause 0x1
	scratch_load_b128 v[1:4], off, off offset:440
	scratch_load_b128 v[9:12], off, off offset:456
	v_dual_add_f32 v14, v14, v195 :: v_dual_add_f32 v29, v29, v212
	s_delay_alu instid0(VALU_DEP_1) | instskip(NEXT) | instid1(VALU_DEP_1)
	v_dual_add_f32 v14, v14, v197 :: v_dual_add_f32 v29, v29, v214
	v_add_f32_e32 v17, v14, v199
	scratch_load_b128 v[13:16], off, off offset:472
	v_add_f32_e32 v29, v29, v216
	v_add_f32_e32 v17, v17, v201
	s_delay_alu instid0(VALU_DEP_2) | instskip(NEXT) | instid1(VALU_DEP_2)
	v_add_f32_e32 v29, v29, v218
	v_add_f32_e32 v17, v17, v203
	s_delay_alu instid0(VALU_DEP_2) | instskip(NEXT) | instid1(VALU_DEP_2)
	v_add_f32_e32 v27, v29, v27
	v_add_f32_e32 v17, v17, v205
	s_delay_alu instid0(VALU_DEP_1)
	v_add_f32_e32 v23, v17, v207
	ds_load_2addr_b64 v[17:20], v21 offset0:119 offset1:120
	v_add_f32_e32 v32, v23, v209
	ds_load_2addr_b64 v[21:24], v21 offset0:121 offset1:122
	s_wait_loadcnt_dscnt 0x202
	v_mul_f32_e32 v156, v7, v4
	v_add_f32_e32 v32, v32, v211
	s_wait_loadcnt_dscnt 0x101
	v_mul_f32_e32 v158, v17, v10
	v_mul_f32_e32 v155, v5, v2
	;; [unrolled: 1-line block ×4, first 2 shown]
	v_add_f32_e32 v32, v32, v213
	s_delay_alu instid0(VALU_DEP_4) | instskip(NEXT) | instid1(VALU_DEP_4)
	v_dual_fmac_f32 v156, v8, v3 :: v_dual_fmac_f32 v155, v6, v1
	v_fma_f32 v2, v5, v1, -v2
	s_delay_alu instid0(VALU_DEP_3) | instskip(SKIP_3) | instid1(VALU_DEP_4)
	v_dual_add_f32 v1, v27, v28 :: v_dual_add_f32 v32, v32, v215
	v_mul_f32_e32 v6, v18, v10
	v_fma_f32 v3, v7, v3, -v4
	v_mul_f32_e32 v159, v19, v12
	v_dual_add_f32 v1, v1, v2 :: v_dual_add_f32 v32, v32, v217
	v_mul_f32_e32 v4, v20, v12
	v_fmac_f32_e32 v158, v18, v9
	s_wait_loadcnt_dscnt 0x0
	v_mul_f32_e32 v160, v21, v14
	v_add_f32_e32 v1, v1, v3
	v_add_f32_e32 v25, v32, v25
	v_mul_f32_e32 v3, v22, v14
	v_fmac_f32_e32 v159, v20, v11
	v_fma_f32 v4, v19, v11, -v4
	v_mul_f32_e32 v29, v23, v16
	v_dual_add_f32 v5, v25, v26 :: v_dual_fmac_f32 v160, v22, v13
	v_fma_f32 v3, v21, v13, -v3
	s_delay_alu instid0(VALU_DEP_3) | instskip(NEXT) | instid1(VALU_DEP_3)
	v_fmac_f32_e32 v29, v24, v15
	v_add_f32_e32 v2, v5, v155
	v_fma_f32 v5, v17, v9, -v6
	s_delay_alu instid0(VALU_DEP_1) | instskip(NEXT) | instid1(VALU_DEP_1)
	v_dual_add_f32 v2, v2, v156 :: v_dual_add_f32 v1, v1, v5
	v_dual_mul_f32 v5, v24, v16 :: v_dual_add_f32 v2, v2, v158
	s_delay_alu instid0(VALU_DEP_2) | instskip(NEXT) | instid1(VALU_DEP_2)
	v_add_f32_e32 v1, v1, v4
	v_fma_f32 v4, v23, v15, -v5
	s_delay_alu instid0(VALU_DEP_3) | instskip(NEXT) | instid1(VALU_DEP_1)
	v_add_f32_e32 v2, v2, v159
	v_dual_add_f32 v1, v1, v3 :: v_dual_add_f32 v2, v2, v160
	s_delay_alu instid0(VALU_DEP_1) | instskip(NEXT) | instid1(VALU_DEP_1)
	v_dual_add_f32 v1, v1, v4 :: v_dual_add_f32 v2, v2, v29
	v_dual_sub_f32 v1, v30, v1 :: v_dual_sub_f32 v2, v31, v2
	scratch_store_b64 off, v[1:2], off offset:96
	v_cmpx_lt_u32_e32 11, v0
	s_cbranch_execz .LBB60_357
; %bb.356:
	scratch_load_b64 v[1:2], off, off offset:88
	v_mov_b32_e32 v3, 0
	s_delay_alu instid0(VALU_DEP_1)
	v_mov_b32_e32 v4, v3
	scratch_store_b64 off, v[3:4], off offset:88
	s_wait_loadcnt 0x0
	ds_store_b64 v157, v[1:2]
.LBB60_357:
	s_wait_alu 0xfffe
	s_or_b32 exec_lo, exec_lo, s0
	s_wait_storecnt_dscnt 0x0
	s_barrier_signal -1
	s_barrier_wait -1
	global_inv scope:SCOPE_SE
	s_clause 0x4
	scratch_load_b128 v[5:8], off, off offset:96
	scratch_load_b128 v[1:4], off, off offset:112
	;; [unrolled: 1-line block ×5, first 2 shown]
	v_mov_b32_e32 v25, 0
	ds_load_b128 v[21:24], v25 offset:592
	ds_load_b128 v[26:29], v25 offset:608
	;; [unrolled: 1-line block ×3, first 2 shown]
	scratch_load_b64 v[30:31], off, off offset:88
	s_mov_b32 s0, exec_lo
	s_wait_loadcnt_dscnt 0x502
	v_mul_f32_e32 v32, v22, v6
	v_dual_mul_f32 v155, v21, v6 :: v_dual_mul_f32 v156, v23, v8
	v_mul_f32_e32 v6, v24, v8
	s_wait_loadcnt_dscnt 0x300
	v_mul_f32_e32 v162, v160, v12
	v_fma_f32 v21, v21, v5, -v32
	v_dual_fmac_f32 v155, v22, v5 :: v_dual_fmac_f32 v156, v24, v7
	v_fma_f32 v22, v23, v7, -v6
	ds_load_b128 v[5:8], v25 offset:640
	v_dual_mul_f32 v23, v26, v2 :: v_dual_mul_f32 v24, v28, v4
	v_mul_f32_e32 v4, v29, v4
	v_mul_f32_e32 v32, v158, v10
	v_mul_f32_e32 v10, v159, v10
	v_mul_f32_e32 v12, v161, v12
	v_mul_f32_e32 v2, v27, v2
	v_dual_fmac_f32 v23, v27, v1 :: v_dual_fmac_f32 v24, v29, v3
	v_fma_f32 v27, v28, v3, -v4
	v_fmac_f32_e32 v32, v159, v9
	v_fma_f32 v28, v158, v9, -v10
	v_fmac_f32_e32 v162, v161, v11
	v_fma_f32 v29, v160, v11, -v12
	ds_load_b128 v[9:12], v25 offset:656
	s_wait_loadcnt_dscnt 0x201
	v_dual_mul_f32 v159, v7, v16 :: v_dual_mul_f32 v158, v5, v14
	v_mul_f32_e32 v14, v6, v14
	v_mul_f32_e32 v16, v8, v16
	s_delay_alu instid0(VALU_DEP_3)
	v_fmac_f32_e32 v159, v8, v15
	v_fma_f32 v26, v26, v1, -v2
	scratch_load_b128 v[1:4], off, off offset:176
	v_fmac_f32_e32 v158, v6, v13
	v_fma_f32 v13, v5, v13, -v14
	v_fma_f32 v14, v7, v15, -v16
	ds_load_b128 v[5:8], v25 offset:672
	s_wait_loadcnt_dscnt 0x201
	v_mul_f32_e32 v15, v9, v18
	v_mul_f32_e32 v16, v10, v18
	;; [unrolled: 1-line block ×3, first 2 shown]
	s_delay_alu instid0(VALU_DEP_3) | instskip(NEXT) | instid1(VALU_DEP_3)
	v_dual_mul_f32 v20, v12, v20 :: v_dual_fmac_f32 v15, v10, v17
	v_fma_f32 v16, v9, v17, -v16
	s_delay_alu instid0(VALU_DEP_3) | instskip(NEXT) | instid1(VALU_DEP_3)
	v_fmac_f32_e32 v18, v12, v19
	v_fma_f32 v17, v11, v19, -v20
	scratch_load_b128 v[9:12], off, off offset:192
	s_wait_loadcnt_dscnt 0x100
	v_mul_f32_e32 v19, v5, v2
	v_mul_f32_e32 v2, v6, v2
	;; [unrolled: 1-line block ×3, first 2 shown]
	s_delay_alu instid0(VALU_DEP_3) | instskip(NEXT) | instid1(VALU_DEP_3)
	v_dual_mul_f32 v4, v8, v4 :: v_dual_fmac_f32 v19, v6, v1
	v_fma_f32 v160, v5, v1, -v2
	s_delay_alu instid0(VALU_DEP_3) | instskip(NEXT) | instid1(VALU_DEP_3)
	v_fmac_f32_e32 v20, v8, v3
	v_fma_f32 v161, v7, v3, -v4
	ds_load_b128 v[1:4], v25 offset:688
	ds_load_b128 v[5:8], v25 offset:704
	s_wait_loadcnt_dscnt 0x1
	v_mul_f32_e32 v163, v1, v10
	v_mul_f32_e32 v10, v2, v10
	s_delay_alu instid0(VALU_DEP_2) | instskip(NEXT) | instid1(VALU_DEP_2)
	v_dual_mul_f32 v164, v3, v12 :: v_dual_fmac_f32 v163, v2, v9
	v_fma_f32 v165, v1, v9, -v10
	v_mul_f32_e32 v1, v4, v12
	s_delay_alu instid0(VALU_DEP_3) | instskip(NEXT) | instid1(VALU_DEP_2)
	v_fmac_f32_e32 v164, v4, v11
	v_fma_f32 v166, v3, v11, -v1
	s_clause 0x1
	scratch_load_b128 v[1:4], off, off offset:208
	scratch_load_b128 v[9:12], off, off offset:224
	s_wait_loadcnt_dscnt 0x100
	v_mul_f32_e32 v167, v5, v2
	v_dual_mul_f32 v2, v6, v2 :: v_dual_mul_f32 v169, v7, v4
	s_delay_alu instid0(VALU_DEP_2) | instskip(NEXT) | instid1(VALU_DEP_2)
	v_fmac_f32_e32 v167, v6, v1
	v_fma_f32 v168, v5, v1, -v2
	v_mul_f32_e32 v1, v8, v4
	s_delay_alu instid0(VALU_DEP_4) | instskip(NEXT) | instid1(VALU_DEP_2)
	v_fmac_f32_e32 v169, v8, v3
	v_fma_f32 v170, v7, v3, -v1
	ds_load_b128 v[1:4], v25 offset:720
	ds_load_b128 v[5:8], v25 offset:736
	s_wait_loadcnt_dscnt 0x1
	v_mul_f32_e32 v171, v1, v10
	v_mul_f32_e32 v173, v3, v12
	s_delay_alu instid0(VALU_DEP_2) | instskip(NEXT) | instid1(VALU_DEP_2)
	v_fmac_f32_e32 v171, v2, v9
	v_dual_mul_f32 v2, v2, v10 :: v_dual_fmac_f32 v173, v4, v11
	s_delay_alu instid0(VALU_DEP_1) | instskip(SKIP_1) | instid1(VALU_DEP_1)
	v_fma_f32 v172, v1, v9, -v2
	v_mul_f32_e32 v1, v4, v12
	v_fma_f32 v174, v3, v11, -v1
	s_clause 0x1
	scratch_load_b128 v[1:4], off, off offset:240
	scratch_load_b128 v[9:12], off, off offset:256
	s_wait_loadcnt_dscnt 0x100
	v_mul_f32_e32 v175, v5, v2
	v_dual_mul_f32 v2, v6, v2 :: v_dual_mul_f32 v177, v7, v4
	s_delay_alu instid0(VALU_DEP_2) | instskip(NEXT) | instid1(VALU_DEP_2)
	v_fmac_f32_e32 v175, v6, v1
	v_fma_f32 v176, v5, v1, -v2
	v_mul_f32_e32 v1, v8, v4
	s_delay_alu instid0(VALU_DEP_4) | instskip(NEXT) | instid1(VALU_DEP_2)
	v_fmac_f32_e32 v177, v8, v3
	v_fma_f32 v178, v7, v3, -v1
	ds_load_b128 v[1:4], v25 offset:752
	ds_load_b128 v[5:8], v25 offset:768
	s_wait_loadcnt_dscnt 0x1
	v_mul_f32_e32 v179, v1, v10
	v_mul_f32_e32 v181, v3, v12
	s_delay_alu instid0(VALU_DEP_2) | instskip(NEXT) | instid1(VALU_DEP_2)
	v_fmac_f32_e32 v179, v2, v9
	v_dual_mul_f32 v2, v2, v10 :: v_dual_fmac_f32 v181, v4, v11
	s_delay_alu instid0(VALU_DEP_1) | instskip(SKIP_1) | instid1(VALU_DEP_1)
	v_fma_f32 v180, v1, v9, -v2
	v_mul_f32_e32 v1, v4, v12
	;; [unrolled: 25-line block ×6, first 2 shown]
	v_fma_f32 v214, v3, v11, -v1
	s_clause 0x1
	scratch_load_b128 v[1:4], off, off offset:400
	scratch_load_b128 v[9:12], off, off offset:416
	s_wait_loadcnt_dscnt 0x100
	v_mul_f32_e32 v215, v5, v2
	v_mul_f32_e32 v2, v6, v2
	s_delay_alu instid0(VALU_DEP_2) | instskip(NEXT) | instid1(VALU_DEP_2)
	v_fmac_f32_e32 v215, v6, v1
	v_fma_f32 v216, v5, v1, -v2
	v_dual_add_f32 v2, 0, v155 :: v_dual_mul_f32 v1, v8, v4
	s_delay_alu instid0(VALU_DEP_1) | instskip(NEXT) | instid1(VALU_DEP_2)
	v_add_f32_e32 v2, v2, v156
	v_fma_f32 v218, v7, v3, -v1
	s_delay_alu instid0(VALU_DEP_2) | instskip(NEXT) | instid1(VALU_DEP_1)
	v_dual_add_f32 v1, 0, v21 :: v_dual_add_f32 v2, v2, v23
	v_dual_add_f32 v1, v1, v22 :: v_dual_add_f32 v2, v2, v24
	s_delay_alu instid0(VALU_DEP_1) | instskip(NEXT) | instid1(VALU_DEP_1)
	v_add_f32_e32 v2, v2, v32
	v_add_f32_e32 v2, v2, v162
	s_delay_alu instid0(VALU_DEP_1) | instskip(NEXT) | instid1(VALU_DEP_1)
	v_add_f32_e32 v2, v2, v158
	v_dual_add_f32 v1, v1, v26 :: v_dual_add_f32 v2, v2, v159
	s_delay_alu instid0(VALU_DEP_1) | instskip(SKIP_2) | instid1(VALU_DEP_1)
	v_add_f32_e32 v1, v1, v27
	scratch_load_b64 v[26:27], off, off offset:480
	v_dual_add_f32 v2, v2, v15 :: v_dual_add_f32 v1, v1, v28
	v_dual_add_f32 v2, v2, v18 :: v_dual_add_f32 v1, v1, v29
	s_delay_alu instid0(VALU_DEP_1) | instskip(NEXT) | instid1(VALU_DEP_1)
	v_dual_add_f32 v2, v2, v19 :: v_dual_add_f32 v1, v1, v13
	v_dual_add_f32 v2, v2, v20 :: v_dual_add_f32 v1, v1, v14
	s_delay_alu instid0(VALU_DEP_1) | instskip(NEXT) | instid1(VALU_DEP_1)
	;; [unrolled: 3-line block ×3, first 2 shown]
	v_dual_add_f32 v2, v2, v167 :: v_dual_add_f32 v1, v1, v160
	v_add_f32_e32 v2, v2, v169
	s_delay_alu instid0(VALU_DEP_1) | instskip(NEXT) | instid1(VALU_DEP_1)
	v_dual_add_f32 v1, v1, v161 :: v_dual_add_f32 v2, v2, v171
	v_add_f32_e32 v1, v1, v165
	s_delay_alu instid0(VALU_DEP_1) | instskip(NEXT) | instid1(VALU_DEP_1)
	v_dual_add_f32 v2, v2, v173 :: v_dual_add_f32 v1, v1, v166
	v_dual_add_f32 v2, v2, v175 :: v_dual_add_f32 v1, v1, v168
	s_delay_alu instid0(VALU_DEP_1) | instskip(NEXT) | instid1(VALU_DEP_1)
	v_dual_add_f32 v2, v2, v177 :: v_dual_add_f32 v1, v1, v170
	v_dual_add_f32 v2, v2, v179 :: v_dual_add_f32 v1, v1, v172
	s_delay_alu instid0(VALU_DEP_1) | instskip(NEXT) | instid1(VALU_DEP_1)
	v_dual_add_f32 v2, v2, v181 :: v_dual_add_f32 v1, v1, v174
	v_add_f32_e32 v1, v1, v176
	s_delay_alu instid0(VALU_DEP_1) | instskip(NEXT) | instid1(VALU_DEP_1)
	v_add_f32_e32 v1, v1, v178
	v_add_f32_e32 v1, v1, v180
	s_delay_alu instid0(VALU_DEP_1) | instskip(NEXT) | instid1(VALU_DEP_1)
	v_add_f32_e32 v1, v1, v182
	v_add_f32_e32 v1, v1, v184
	s_delay_alu instid0(VALU_DEP_1) | instskip(NEXT) | instid1(VALU_DEP_1)
	v_add_f32_e32 v1, v1, v186
	v_add_f32_e32 v1, v1, v188
	s_delay_alu instid0(VALU_DEP_1) | instskip(SKIP_1) | instid1(VALU_DEP_2)
	v_add_f32_e32 v6, v1, v190
	v_add_f32_e32 v2, v2, v183
	;; [unrolled: 1-line block ×3, first 2 shown]
	s_delay_alu instid0(VALU_DEP_2) | instskip(NEXT) | instid1(VALU_DEP_2)
	v_add_f32_e32 v2, v2, v185
	v_add_f32_e32 v13, v6, v194
	s_delay_alu instid0(VALU_DEP_2) | instskip(NEXT) | instid1(VALU_DEP_2)
	v_add_f32_e32 v5, v2, v187
	v_add_f32_e32 v13, v13, v196
	;; [unrolled: 3-line block ×3, first 2 shown]
	s_delay_alu instid0(VALU_DEP_2) | instskip(SKIP_1) | instid1(VALU_DEP_3)
	v_add_f32_e32 v5, v5, v191
	v_mul_f32_e32 v217, v7, v4
	v_add_f32_e32 v13, v13, v200
	s_delay_alu instid0(VALU_DEP_2) | instskip(SKIP_4) | instid1(VALU_DEP_2)
	v_dual_add_f32 v14, v5, v193 :: v_dual_fmac_f32 v217, v8, v3
	ds_load_b128 v[1:4], v25 offset:912
	ds_load_b128 v[5:8], v25 offset:928
	v_add_f32_e32 v18, v13, v202
	v_add_f32_e32 v14, v14, v195
	;; [unrolled: 1-line block ×3, first 2 shown]
	s_delay_alu instid0(VALU_DEP_2) | instskip(NEXT) | instid1(VALU_DEP_2)
	v_add_f32_e32 v14, v14, v197
	v_add_f32_e32 v18, v18, v206
	s_delay_alu instid0(VALU_DEP_2)
	v_add_f32_e32 v17, v14, v199
	scratch_load_b128 v[13:16], off, off offset:464
	v_dual_add_f32 v18, v18, v208 :: v_dual_add_f32 v17, v17, v201
	s_wait_loadcnt_dscnt 0x201
	v_mul_f32_e32 v32, v1, v10
	v_dual_mul_f32 v10, v2, v10 :: v_dual_mul_f32 v155, v3, v12
	v_mul_f32_e32 v12, v4, v12
	v_add_f32_e32 v18, v18, v210
	s_delay_alu instid0(VALU_DEP_4) | instskip(NEXT) | instid1(VALU_DEP_4)
	v_fmac_f32_e32 v32, v2, v9
	v_fma_f32 v156, v1, v9, -v10
	v_fmac_f32_e32 v155, v4, v11
	v_fma_f32 v158, v3, v11, -v12
	s_clause 0x1
	scratch_load_b128 v[1:4], off, off offset:432
	scratch_load_b128 v[9:12], off, off offset:448
	v_add_f32_e32 v28, v18, v212
	s_delay_alu instid0(VALU_DEP_1) | instskip(NEXT) | instid1(VALU_DEP_1)
	v_add_f32_e32 v159, v28, v214
	v_add_f32_e32 v159, v159, v216
	s_delay_alu instid0(VALU_DEP_1) | instskip(NEXT) | instid1(VALU_DEP_1)
	v_add_f32_e32 v159, v159, v218
	v_add_f32_e32 v156, v159, v156
	s_delay_alu instid0(VALU_DEP_1) | instskip(SKIP_4) | instid1(VALU_DEP_3)
	v_add_f32_e32 v156, v156, v158
	s_wait_loadcnt_dscnt 0x100
	v_dual_mul_f32 v162, v7, v4 :: v_dual_add_f32 v17, v17, v203
	v_dual_mul_f32 v4, v8, v4 :: v_dual_mul_f32 v161, v5, v2
	v_mul_f32_e32 v2, v6, v2
	v_dual_fmac_f32 v162, v8, v3 :: v_dual_add_f32 v17, v17, v205
	s_delay_alu instid0(VALU_DEP_3) | instskip(NEXT) | instid1(VALU_DEP_3)
	v_fmac_f32_e32 v161, v6, v1
	v_fma_f32 v2, v5, v1, -v2
	v_fma_f32 v1, v7, v3, -v4
	s_delay_alu instid0(VALU_DEP_2) | instskip(NEXT) | instid1(VALU_DEP_1)
	v_dual_add_f32 v17, v17, v207 :: v_dual_add_f32 v2, v156, v2
	v_add_f32_e32 v21, v17, v209
	ds_load_b128 v[17:20], v25 offset:944
	v_add_f32_e32 v1, v2, v1
	v_add_f32_e32 v29, v21, v211
	ds_load_b128 v[21:24], v25 offset:960
	v_add_f32_e32 v160, v29, v213
	ds_load_b64 v[28:29], v25 offset:976
	v_add_f32_e32 v160, v160, v215
	s_wait_loadcnt_dscnt 0x2
	s_delay_alu instid0(VALU_DEP_1) | instskip(SKIP_2) | instid1(VALU_DEP_3)
	v_dual_add_f32 v160, v160, v217 :: v_dual_mul_f32 v159, v17, v10
	v_mul_f32_e32 v3, v18, v10
	v_mul_f32_e32 v5, v20, v12
	v_add_f32_e32 v32, v160, v32
	s_delay_alu instid0(VALU_DEP_4) | instskip(NEXT) | instid1(VALU_DEP_4)
	v_dual_mul_f32 v160, v19, v12 :: v_dual_fmac_f32 v159, v18, v9
	v_fma_f32 v3, v17, v9, -v3
	s_wait_dscnt 0x1
	s_delay_alu instid0(VALU_DEP_3) | instskip(NEXT) | instid1(VALU_DEP_3)
	v_dual_mul_f32 v163, v21, v14 :: v_dual_add_f32 v32, v32, v155
	v_fmac_f32_e32 v160, v20, v11
	v_fma_f32 v5, v19, v11, -v5
	v_dual_add_f32 v1, v1, v3 :: v_dual_mul_f32 v158, v23, v16
	s_delay_alu instid0(VALU_DEP_4) | instskip(SKIP_2) | instid1(VALU_DEP_4)
	v_add_f32_e32 v4, v32, v161
	v_mul_f32_e32 v3, v24, v16
	v_fmac_f32_e32 v163, v22, v13
	v_add_f32_e32 v1, v1, v5
	s_wait_dscnt 0x0
	v_mul_f32_e32 v155, v28, v27
	v_add_f32_e32 v2, v4, v162
	v_dual_mul_f32 v4, v22, v14 :: v_dual_mul_f32 v5, v29, v27
	v_fmac_f32_e32 v158, v24, v15
	v_fma_f32 v3, v23, v15, -v3
	s_delay_alu instid0(VALU_DEP_4) | instskip(NEXT) | instid1(VALU_DEP_4)
	v_add_f32_e32 v2, v2, v159
	v_fma_f32 v4, v21, v13, -v4
	s_delay_alu instid0(VALU_DEP_2) | instskip(NEXT) | instid1(VALU_DEP_2)
	v_dual_fmac_f32 v155, v29, v26 :: v_dual_add_f32 v2, v2, v160
	v_add_f32_e32 v1, v1, v4
	v_fma_f32 v4, v28, v26, -v5
	s_delay_alu instid0(VALU_DEP_3) | instskip(NEXT) | instid1(VALU_DEP_1)
	v_add_f32_e32 v2, v2, v163
	v_dual_add_f32 v1, v1, v3 :: v_dual_add_f32 v2, v2, v158
	s_delay_alu instid0(VALU_DEP_1) | instskip(NEXT) | instid1(VALU_DEP_1)
	v_dual_add_f32 v1, v1, v4 :: v_dual_add_f32 v2, v2, v155
	v_dual_sub_f32 v1, v30, v1 :: v_dual_sub_f32 v2, v31, v2
	scratch_store_b64 off, v[1:2], off offset:88
	v_cmpx_lt_u32_e32 10, v0
	s_cbranch_execz .LBB60_359
; %bb.358:
	scratch_load_b64 v[1:2], off, off offset:80
	v_mov_b32_e32 v26, v25
	scratch_store_b64 off, v[25:26], off offset:80
	s_wait_loadcnt 0x0
	ds_store_b64 v157, v[1:2]
.LBB60_359:
	s_wait_alu 0xfffe
	s_or_b32 exec_lo, exec_lo, s0
	s_wait_storecnt_dscnt 0x0
	s_barrier_signal -1
	s_barrier_wait -1
	global_inv scope:SCOPE_SE
	s_clause 0x4
	scratch_load_b128 v[5:8], off, off offset:88
	scratch_load_b128 v[1:4], off, off offset:104
	;; [unrolled: 1-line block ×5, first 2 shown]
	ds_load_2addr_b64 v[21:24], v25 offset0:73 offset1:74
	ds_load_2addr_b64 v[26:29], v25 offset0:75 offset1:76
	;; [unrolled: 1-line block ×3, first 2 shown]
	scratch_load_b64 v[30:31], off, off offset:80
	s_mov_b32 s0, exec_lo
	s_wait_loadcnt_dscnt 0x502
	v_dual_mul_f32 v32, v21, v6 :: v_dual_mul_f32 v155, v23, v8
	v_mul_f32_e32 v6, v22, v6
	v_mul_f32_e32 v8, v24, v8
	s_wait_loadcnt_dscnt 0x300
	v_mul_f32_e32 v156, v158, v10
	v_dual_fmac_f32 v32, v22, v5 :: v_dual_fmac_f32 v155, v24, v7
	v_fma_f32 v21, v21, v5, -v6
	v_fma_f32 v22, v23, v7, -v8
	ds_load_2addr_b64 v[5:8], v25 offset0:79 offset1:80
	v_dual_mul_f32 v23, v26, v2 :: v_dual_mul_f32 v24, v28, v4
	v_mul_f32_e32 v4, v29, v4
	v_mul_f32_e32 v10, v159, v10
	v_mul_f32_e32 v162, v160, v12
	v_mul_f32_e32 v12, v161, v12
	v_mul_f32_e32 v2, v27, v2
	v_dual_fmac_f32 v23, v27, v1 :: v_dual_fmac_f32 v24, v29, v3
	v_fma_f32 v27, v28, v3, -v4
	v_fmac_f32_e32 v156, v159, v9
	v_fma_f32 v28, v158, v9, -v10
	v_fmac_f32_e32 v162, v161, v11
	v_fma_f32 v29, v160, v11, -v12
	ds_load_2addr_b64 v[9:12], v25 offset0:81 offset1:82
	s_wait_loadcnt_dscnt 0x201
	v_dual_mul_f32 v159, v7, v16 :: v_dual_mul_f32 v158, v5, v14
	v_mul_f32_e32 v14, v6, v14
	v_mul_f32_e32 v16, v8, v16
	s_delay_alu instid0(VALU_DEP_3)
	v_fmac_f32_e32 v159, v8, v15
	v_fma_f32 v26, v26, v1, -v2
	scratch_load_b128 v[1:4], off, off offset:168
	v_fmac_f32_e32 v158, v6, v13
	v_fma_f32 v13, v5, v13, -v14
	v_fma_f32 v14, v7, v15, -v16
	ds_load_2addr_b64 v[5:8], v25 offset0:83 offset1:84
	s_wait_loadcnt_dscnt 0x201
	v_mul_f32_e32 v15, v9, v18
	v_mul_f32_e32 v16, v10, v18
	;; [unrolled: 1-line block ×3, first 2 shown]
	s_delay_alu instid0(VALU_DEP_3) | instskip(NEXT) | instid1(VALU_DEP_3)
	v_dual_mul_f32 v20, v12, v20 :: v_dual_fmac_f32 v15, v10, v17
	v_fma_f32 v16, v9, v17, -v16
	s_delay_alu instid0(VALU_DEP_3) | instskip(NEXT) | instid1(VALU_DEP_3)
	v_fmac_f32_e32 v18, v12, v19
	v_fma_f32 v17, v11, v19, -v20
	scratch_load_b128 v[9:12], off, off offset:184
	s_wait_loadcnt_dscnt 0x100
	v_mul_f32_e32 v19, v5, v2
	v_mul_f32_e32 v2, v6, v2
	;; [unrolled: 1-line block ×3, first 2 shown]
	s_delay_alu instid0(VALU_DEP_3) | instskip(NEXT) | instid1(VALU_DEP_3)
	v_dual_mul_f32 v4, v8, v4 :: v_dual_fmac_f32 v19, v6, v1
	v_fma_f32 v160, v5, v1, -v2
	s_delay_alu instid0(VALU_DEP_3) | instskip(NEXT) | instid1(VALU_DEP_3)
	v_fmac_f32_e32 v20, v8, v3
	v_fma_f32 v161, v7, v3, -v4
	ds_load_2addr_b64 v[1:4], v25 offset0:85 offset1:86
	ds_load_2addr_b64 v[5:8], v25 offset0:87 offset1:88
	s_wait_loadcnt_dscnt 0x1
	v_mul_f32_e32 v163, v1, v10
	v_mul_f32_e32 v10, v2, v10
	s_delay_alu instid0(VALU_DEP_2) | instskip(NEXT) | instid1(VALU_DEP_2)
	v_dual_mul_f32 v164, v3, v12 :: v_dual_fmac_f32 v163, v2, v9
	v_fma_f32 v165, v1, v9, -v10
	v_mul_f32_e32 v1, v4, v12
	s_delay_alu instid0(VALU_DEP_3) | instskip(NEXT) | instid1(VALU_DEP_2)
	v_fmac_f32_e32 v164, v4, v11
	v_fma_f32 v166, v3, v11, -v1
	s_clause 0x1
	scratch_load_b128 v[1:4], off, off offset:200
	scratch_load_b128 v[9:12], off, off offset:216
	s_wait_loadcnt_dscnt 0x100
	v_mul_f32_e32 v167, v5, v2
	v_dual_mul_f32 v2, v6, v2 :: v_dual_mul_f32 v169, v7, v4
	s_delay_alu instid0(VALU_DEP_2) | instskip(NEXT) | instid1(VALU_DEP_2)
	v_fmac_f32_e32 v167, v6, v1
	v_fma_f32 v168, v5, v1, -v2
	v_mul_f32_e32 v1, v8, v4
	s_delay_alu instid0(VALU_DEP_4) | instskip(NEXT) | instid1(VALU_DEP_2)
	v_fmac_f32_e32 v169, v8, v3
	v_fma_f32 v170, v7, v3, -v1
	ds_load_2addr_b64 v[1:4], v25 offset0:89 offset1:90
	ds_load_2addr_b64 v[5:8], v25 offset0:91 offset1:92
	s_wait_loadcnt_dscnt 0x1
	v_mul_f32_e32 v171, v1, v10
	v_mul_f32_e32 v173, v3, v12
	s_delay_alu instid0(VALU_DEP_2) | instskip(NEXT) | instid1(VALU_DEP_2)
	v_fmac_f32_e32 v171, v2, v9
	v_dual_mul_f32 v2, v2, v10 :: v_dual_fmac_f32 v173, v4, v11
	s_delay_alu instid0(VALU_DEP_1) | instskip(SKIP_1) | instid1(VALU_DEP_1)
	v_fma_f32 v172, v1, v9, -v2
	v_mul_f32_e32 v1, v4, v12
	v_fma_f32 v174, v3, v11, -v1
	s_clause 0x1
	scratch_load_b128 v[1:4], off, off offset:232
	scratch_load_b128 v[9:12], off, off offset:248
	s_wait_loadcnt_dscnt 0x100
	v_mul_f32_e32 v175, v5, v2
	v_dual_mul_f32 v2, v6, v2 :: v_dual_mul_f32 v177, v7, v4
	s_delay_alu instid0(VALU_DEP_2) | instskip(NEXT) | instid1(VALU_DEP_2)
	v_fmac_f32_e32 v175, v6, v1
	v_fma_f32 v176, v5, v1, -v2
	v_mul_f32_e32 v1, v8, v4
	s_delay_alu instid0(VALU_DEP_4) | instskip(NEXT) | instid1(VALU_DEP_2)
	v_fmac_f32_e32 v177, v8, v3
	v_fma_f32 v178, v7, v3, -v1
	ds_load_2addr_b64 v[1:4], v25 offset0:93 offset1:94
	ds_load_2addr_b64 v[5:8], v25 offset0:95 offset1:96
	s_wait_loadcnt_dscnt 0x1
	v_mul_f32_e32 v179, v1, v10
	v_mul_f32_e32 v181, v3, v12
	s_delay_alu instid0(VALU_DEP_2) | instskip(NEXT) | instid1(VALU_DEP_2)
	v_fmac_f32_e32 v179, v2, v9
	v_dual_mul_f32 v2, v2, v10 :: v_dual_fmac_f32 v181, v4, v11
	s_delay_alu instid0(VALU_DEP_1) | instskip(SKIP_1) | instid1(VALU_DEP_1)
	v_fma_f32 v180, v1, v9, -v2
	v_mul_f32_e32 v1, v4, v12
	;; [unrolled: 25-line block ×6, first 2 shown]
	v_fma_f32 v214, v3, v11, -v1
	s_clause 0x1
	scratch_load_b128 v[1:4], off, off offset:392
	scratch_load_b128 v[9:12], off, off offset:408
	s_wait_loadcnt_dscnt 0x100
	v_mul_f32_e32 v215, v5, v2
	v_mul_f32_e32 v2, v6, v2
	s_delay_alu instid0(VALU_DEP_2) | instskip(NEXT) | instid1(VALU_DEP_2)
	v_fmac_f32_e32 v215, v6, v1
	v_fma_f32 v216, v5, v1, -v2
	v_add_f32_e32 v2, 0, v32
	s_delay_alu instid0(VALU_DEP_1) | instskip(NEXT) | instid1(VALU_DEP_1)
	v_add_f32_e32 v2, v2, v155
	v_add_f32_e32 v2, v2, v23
	s_delay_alu instid0(VALU_DEP_1) | instskip(NEXT) | instid1(VALU_DEP_1)
	v_add_f32_e32 v2, v2, v24
	v_add_f32_e32 v2, v2, v156
	s_delay_alu instid0(VALU_DEP_1) | instskip(NEXT) | instid1(VALU_DEP_1)
	v_dual_mul_f32 v1, v8, v4 :: v_dual_add_f32 v2, v2, v162
	v_fma_f32 v218, v7, v3, -v1
	s_delay_alu instid0(VALU_DEP_2) | instskip(NEXT) | instid1(VALU_DEP_1)
	v_dual_add_f32 v1, 0, v21 :: v_dual_add_f32 v2, v2, v158
	v_dual_add_f32 v1, v1, v22 :: v_dual_add_f32 v2, v2, v159
	s_delay_alu instid0(VALU_DEP_1) | instskip(NEXT) | instid1(VALU_DEP_1)
	v_dual_add_f32 v1, v1, v26 :: v_dual_add_f32 v2, v2, v15
	v_dual_add_f32 v1, v1, v27 :: v_dual_add_f32 v2, v2, v18
	s_delay_alu instid0(VALU_DEP_1) | instskip(NEXT) | instid1(VALU_DEP_1)
	;; [unrolled: 3-line block ×4, first 2 shown]
	v_dual_add_f32 v1, v1, v16 :: v_dual_add_f32 v2, v2, v167
	v_add_f32_e32 v1, v1, v17
	s_delay_alu instid0(VALU_DEP_2) | instskip(NEXT) | instid1(VALU_DEP_1)
	v_add_f32_e32 v2, v2, v169
	v_add_f32_e32 v2, v2, v171
	s_delay_alu instid0(VALU_DEP_1) | instskip(NEXT) | instid1(VALU_DEP_1)
	v_add_f32_e32 v2, v2, v173
	v_add_f32_e32 v2, v2, v175
	s_delay_alu instid0(VALU_DEP_1) | instskip(NEXT) | instid1(VALU_DEP_1)
	;; [unrolled: 3-line block ×3, first 2 shown]
	v_dual_add_f32 v2, v2, v181 :: v_dual_add_f32 v1, v1, v160
	v_add_f32_e32 v1, v1, v161
	s_delay_alu instid0(VALU_DEP_1) | instskip(NEXT) | instid1(VALU_DEP_1)
	v_add_f32_e32 v1, v1, v165
	v_add_f32_e32 v1, v1, v166
	s_delay_alu instid0(VALU_DEP_1) | instskip(NEXT) | instid1(VALU_DEP_1)
	v_add_f32_e32 v1, v1, v168
	;; [unrolled: 3-line block ×7, first 2 shown]
	v_add_f32_e32 v1, v1, v190
	s_delay_alu instid0(VALU_DEP_1) | instskip(SKIP_1) | instid1(VALU_DEP_2)
	v_add_f32_e32 v6, v1, v192
	v_add_f32_e32 v2, v2, v183
	;; [unrolled: 1-line block ×3, first 2 shown]
	s_delay_alu instid0(VALU_DEP_2) | instskip(NEXT) | instid1(VALU_DEP_2)
	v_dual_add_f32 v2, v2, v185 :: v_dual_mul_f32 v217, v7, v4
	v_add_f32_e32 v14, v14, v196
	s_delay_alu instid0(VALU_DEP_2) | instskip(NEXT) | instid1(VALU_DEP_3)
	v_add_f32_e32 v2, v2, v187
	v_fmac_f32_e32 v217, v8, v3
	s_delay_alu instid0(VALU_DEP_3) | instskip(NEXT) | instid1(VALU_DEP_3)
	v_add_f32_e32 v17, v14, v198
	v_add_f32_e32 v5, v2, v189
	ds_load_2addr_b64 v[1:4], v25 offset0:113 offset1:114
	v_add_f32_e32 v17, v17, v200
	v_add_f32_e32 v13, v5, v191
	scratch_load_b128 v[5:8], off, off offset:424
	v_add_f32_e32 v17, v17, v202
	v_add_f32_e32 v13, v13, v193
	s_delay_alu instid0(VALU_DEP_2) | instskip(NEXT) | instid1(VALU_DEP_1)
	v_add_f32_e32 v17, v17, v204
	v_add_f32_e32 v22, v17, v206
	s_delay_alu instid0(VALU_DEP_1) | instskip(NEXT) | instid1(VALU_DEP_1)
	v_dual_add_f32 v13, v13, v195 :: v_dual_add_f32 v22, v22, v208
	v_add_f32_e32 v18, v13, v197
	ds_load_2addr_b64 v[13:16], v25 offset0:115 offset1:116
	s_wait_loadcnt_dscnt 0x101
	v_mul_f32_e32 v26, v1, v10
	v_dual_mul_f32 v10, v2, v10 :: v_dual_mul_f32 v27, v3, v12
	v_mul_f32_e32 v12, v4, v12
	v_add_f32_e32 v22, v22, v210
	s_delay_alu instid0(VALU_DEP_4) | instskip(NEXT) | instid1(VALU_DEP_4)
	v_fmac_f32_e32 v26, v2, v9
	v_fma_f32 v28, v1, v9, -v10
	v_fmac_f32_e32 v27, v4, v11
	v_fma_f32 v29, v3, v11, -v12
	s_clause 0x1
	scratch_load_b128 v[1:4], off, off offset:440
	scratch_load_b128 v[9:12], off, off offset:456
	s_wait_loadcnt_dscnt 0x200
	v_mul_f32_e32 v32, v13, v6
	v_dual_add_f32 v18, v18, v199 :: v_dual_mul_f32 v155, v15, v8
	v_mul_f32_e32 v8, v16, v8
	v_mul_f32_e32 v6, v14, v6
	s_delay_alu instid0(VALU_DEP_4) | instskip(NEXT) | instid1(VALU_DEP_4)
	v_fmac_f32_e32 v32, v14, v5
	v_dual_add_f32 v18, v18, v201 :: v_dual_fmac_f32 v155, v16, v7
	s_delay_alu instid0(VALU_DEP_4) | instskip(NEXT) | instid1(VALU_DEP_4)
	v_fma_f32 v158, v15, v7, -v8
	v_fma_f32 v156, v13, v5, -v6
	ds_load_2addr_b64 v[5:8], v25 offset0:117 offset1:118
	v_add_f32_e32 v21, v18, v203
	scratch_load_b128 v[17:20], off, off offset:472
	v_add_f32_e32 v21, v21, v205
	s_delay_alu instid0(VALU_DEP_1) | instskip(NEXT) | instid1(VALU_DEP_1)
	v_add_f32_e32 v21, v21, v207
	v_add_f32_e32 v13, v21, v209
	s_delay_alu instid0(VALU_DEP_1) | instskip(NEXT) | instid1(VALU_DEP_1)
	v_dual_add_f32 v21, v22, v212 :: v_dual_add_f32 v22, v13, v211
	v_add_f32_e32 v159, v21, v214
	ds_load_2addr_b64 v[13:16], v25 offset0:119 offset1:120
	v_add_f32_e32 v160, v22, v213
	ds_load_2addr_b64 v[21:24], v25 offset0:121 offset1:122
	v_add_f32_e32 v25, v159, v216
	s_wait_loadcnt_dscnt 0x202
	v_dual_add_f32 v159, v160, v215 :: v_dual_mul_f32 v160, v5, v2
	s_delay_alu instid0(VALU_DEP_2) | instskip(NEXT) | instid1(VALU_DEP_2)
	v_add_f32_e32 v25, v25, v218
	v_dual_mul_f32 v2, v6, v2 :: v_dual_add_f32 v159, v159, v217
	s_delay_alu instid0(VALU_DEP_2) | instskip(SKIP_2) | instid1(VALU_DEP_4)
	v_dual_fmac_f32 v160, v6, v1 :: v_dual_add_f32 v25, v25, v28
	v_mul_f32_e32 v28, v7, v4
	v_mul_f32_e32 v4, v8, v4
	v_add_f32_e32 v26, v159, v26
	v_fma_f32 v2, v5, v1, -v2
	v_add_f32_e32 v25, v25, v29
	s_wait_loadcnt_dscnt 0x101
	v_mul_f32_e32 v159, v13, v10
	v_mul_f32_e32 v6, v14, v10
	v_add_f32_e32 v26, v26, v27
	v_dual_fmac_f32 v28, v8, v3 :: v_dual_add_f32 v25, v25, v156
	v_fma_f32 v3, v7, v3, -v4
	v_mul_f32_e32 v161, v15, v12
	s_delay_alu instid0(VALU_DEP_4) | instskip(NEXT) | instid1(VALU_DEP_4)
	v_add_f32_e32 v26, v26, v32
	v_dual_mul_f32 v4, v16, v12 :: v_dual_add_f32 v1, v25, v158
	v_fmac_f32_e32 v159, v14, v9
	s_delay_alu instid0(VALU_DEP_4) | instskip(NEXT) | instid1(VALU_DEP_4)
	v_fmac_f32_e32 v161, v16, v11
	v_add_f32_e32 v5, v26, v155
	s_delay_alu instid0(VALU_DEP_4) | instskip(SKIP_1) | instid1(VALU_DEP_3)
	v_fma_f32 v4, v15, v11, -v4
	v_add_f32_e32 v1, v1, v2
	v_add_f32_e32 v2, v5, v160
	v_fma_f32 v5, v13, v9, -v6
	s_delay_alu instid0(VALU_DEP_2) | instskip(NEXT) | instid1(VALU_DEP_1)
	v_dual_add_f32 v1, v1, v3 :: v_dual_add_f32 v2, v2, v28
	v_dual_add_f32 v1, v1, v5 :: v_dual_add_f32 v2, v2, v159
	s_delay_alu instid0(VALU_DEP_1)
	v_dual_add_f32 v1, v1, v4 :: v_dual_add_f32 v2, v2, v161
	s_wait_loadcnt_dscnt 0x0
	v_mul_f32_e32 v27, v21, v18
	v_mul_f32_e32 v3, v22, v18
	;; [unrolled: 1-line block ×4, first 2 shown]
	s_delay_alu instid0(VALU_DEP_4) | instskip(NEXT) | instid1(VALU_DEP_4)
	v_fmac_f32_e32 v27, v22, v17
	v_fma_f32 v3, v21, v17, -v3
	s_delay_alu instid0(VALU_DEP_4) | instskip(NEXT) | instid1(VALU_DEP_4)
	v_fmac_f32_e32 v29, v24, v19
	v_fma_f32 v4, v23, v19, -v5
	s_delay_alu instid0(VALU_DEP_4) | instskip(NEXT) | instid1(VALU_DEP_1)
	v_add_f32_e32 v2, v2, v27
	v_dual_add_f32 v1, v1, v3 :: v_dual_add_f32 v2, v2, v29
	s_delay_alu instid0(VALU_DEP_1) | instskip(NEXT) | instid1(VALU_DEP_1)
	v_dual_add_f32 v1, v1, v4 :: v_dual_sub_f32 v2, v31, v2
	v_sub_f32_e32 v1, v30, v1
	scratch_store_b64 off, v[1:2], off offset:80
	v_cmpx_lt_u32_e32 9, v0
	s_cbranch_execz .LBB60_361
; %bb.360:
	scratch_load_b64 v[1:2], off, off offset:72
	v_mov_b32_e32 v3, 0
	s_delay_alu instid0(VALU_DEP_1)
	v_mov_b32_e32 v4, v3
	scratch_store_b64 off, v[3:4], off offset:72
	s_wait_loadcnt 0x0
	ds_store_b64 v157, v[1:2]
.LBB60_361:
	s_wait_alu 0xfffe
	s_or_b32 exec_lo, exec_lo, s0
	s_wait_storecnt_dscnt 0x0
	s_barrier_signal -1
	s_barrier_wait -1
	global_inv scope:SCOPE_SE
	s_clause 0x4
	scratch_load_b128 v[5:8], off, off offset:80
	scratch_load_b128 v[1:4], off, off offset:96
	;; [unrolled: 1-line block ×5, first 2 shown]
	v_mov_b32_e32 v25, 0
	ds_load_b128 v[21:24], v25 offset:576
	ds_load_b128 v[26:29], v25 offset:592
	;; [unrolled: 1-line block ×3, first 2 shown]
	scratch_load_b64 v[30:31], off, off offset:72
	s_mov_b32 s0, exec_lo
	s_wait_loadcnt_dscnt 0x502
	v_dual_mul_f32 v32, v21, v6 :: v_dual_mul_f32 v155, v23, v8
	v_mul_f32_e32 v6, v22, v6
	v_mul_f32_e32 v8, v24, v8
	s_wait_loadcnt_dscnt 0x300
	v_mul_f32_e32 v162, v160, v12
	v_dual_fmac_f32 v32, v22, v5 :: v_dual_fmac_f32 v155, v24, v7
	v_fma_f32 v21, v21, v5, -v6
	v_fma_f32 v22, v23, v7, -v8
	ds_load_b128 v[5:8], v25 offset:624
	v_dual_mul_f32 v23, v26, v2 :: v_dual_mul_f32 v24, v28, v4
	v_mul_f32_e32 v4, v29, v4
	v_mul_f32_e32 v156, v158, v10
	;; [unrolled: 1-line block ×5, first 2 shown]
	v_dual_fmac_f32 v23, v27, v1 :: v_dual_fmac_f32 v24, v29, v3
	v_fma_f32 v27, v28, v3, -v4
	v_fmac_f32_e32 v156, v159, v9
	v_fma_f32 v28, v158, v9, -v10
	v_fmac_f32_e32 v162, v161, v11
	v_fma_f32 v29, v160, v11, -v12
	ds_load_b128 v[9:12], v25 offset:640
	s_wait_loadcnt_dscnt 0x201
	v_dual_mul_f32 v159, v7, v16 :: v_dual_mul_f32 v158, v5, v14
	v_mul_f32_e32 v14, v6, v14
	v_mul_f32_e32 v16, v8, v16
	s_delay_alu instid0(VALU_DEP_3)
	v_fmac_f32_e32 v159, v8, v15
	v_fma_f32 v26, v26, v1, -v2
	scratch_load_b128 v[1:4], off, off offset:160
	v_fmac_f32_e32 v158, v6, v13
	v_fma_f32 v13, v5, v13, -v14
	v_fma_f32 v14, v7, v15, -v16
	ds_load_b128 v[5:8], v25 offset:656
	s_wait_loadcnt_dscnt 0x201
	v_mul_f32_e32 v15, v9, v18
	v_mul_f32_e32 v16, v10, v18
	;; [unrolled: 1-line block ×3, first 2 shown]
	s_delay_alu instid0(VALU_DEP_3) | instskip(NEXT) | instid1(VALU_DEP_3)
	v_dual_mul_f32 v20, v12, v20 :: v_dual_fmac_f32 v15, v10, v17
	v_fma_f32 v16, v9, v17, -v16
	s_delay_alu instid0(VALU_DEP_3) | instskip(NEXT) | instid1(VALU_DEP_3)
	v_fmac_f32_e32 v18, v12, v19
	v_fma_f32 v17, v11, v19, -v20
	scratch_load_b128 v[9:12], off, off offset:176
	s_wait_loadcnt_dscnt 0x100
	v_mul_f32_e32 v19, v5, v2
	v_mul_f32_e32 v2, v6, v2
	v_mul_f32_e32 v20, v7, v4
	s_delay_alu instid0(VALU_DEP_3) | instskip(NEXT) | instid1(VALU_DEP_3)
	v_dual_mul_f32 v4, v8, v4 :: v_dual_fmac_f32 v19, v6, v1
	v_fma_f32 v160, v5, v1, -v2
	s_delay_alu instid0(VALU_DEP_3) | instskip(NEXT) | instid1(VALU_DEP_3)
	v_fmac_f32_e32 v20, v8, v3
	v_fma_f32 v161, v7, v3, -v4
	ds_load_b128 v[1:4], v25 offset:672
	ds_load_b128 v[5:8], v25 offset:688
	s_wait_loadcnt_dscnt 0x1
	v_mul_f32_e32 v163, v1, v10
	v_mul_f32_e32 v10, v2, v10
	s_delay_alu instid0(VALU_DEP_2) | instskip(NEXT) | instid1(VALU_DEP_2)
	v_dual_mul_f32 v164, v3, v12 :: v_dual_fmac_f32 v163, v2, v9
	v_fma_f32 v165, v1, v9, -v10
	v_mul_f32_e32 v1, v4, v12
	s_delay_alu instid0(VALU_DEP_3) | instskip(NEXT) | instid1(VALU_DEP_2)
	v_fmac_f32_e32 v164, v4, v11
	v_fma_f32 v166, v3, v11, -v1
	s_clause 0x1
	scratch_load_b128 v[1:4], off, off offset:192
	scratch_load_b128 v[9:12], off, off offset:208
	s_wait_loadcnt_dscnt 0x100
	v_mul_f32_e32 v167, v5, v2
	v_dual_mul_f32 v2, v6, v2 :: v_dual_mul_f32 v169, v7, v4
	s_delay_alu instid0(VALU_DEP_2) | instskip(NEXT) | instid1(VALU_DEP_2)
	v_fmac_f32_e32 v167, v6, v1
	v_fma_f32 v168, v5, v1, -v2
	v_mul_f32_e32 v1, v8, v4
	s_delay_alu instid0(VALU_DEP_4) | instskip(NEXT) | instid1(VALU_DEP_2)
	v_fmac_f32_e32 v169, v8, v3
	v_fma_f32 v170, v7, v3, -v1
	ds_load_b128 v[1:4], v25 offset:704
	ds_load_b128 v[5:8], v25 offset:720
	s_wait_loadcnt_dscnt 0x1
	v_mul_f32_e32 v171, v1, v10
	v_mul_f32_e32 v173, v3, v12
	s_delay_alu instid0(VALU_DEP_2) | instskip(NEXT) | instid1(VALU_DEP_2)
	v_fmac_f32_e32 v171, v2, v9
	v_dual_mul_f32 v2, v2, v10 :: v_dual_fmac_f32 v173, v4, v11
	s_delay_alu instid0(VALU_DEP_1) | instskip(SKIP_1) | instid1(VALU_DEP_1)
	v_fma_f32 v172, v1, v9, -v2
	v_mul_f32_e32 v1, v4, v12
	v_fma_f32 v174, v3, v11, -v1
	s_clause 0x1
	scratch_load_b128 v[1:4], off, off offset:224
	scratch_load_b128 v[9:12], off, off offset:240
	s_wait_loadcnt_dscnt 0x100
	v_mul_f32_e32 v175, v5, v2
	v_dual_mul_f32 v2, v6, v2 :: v_dual_mul_f32 v177, v7, v4
	s_delay_alu instid0(VALU_DEP_2) | instskip(NEXT) | instid1(VALU_DEP_2)
	v_fmac_f32_e32 v175, v6, v1
	v_fma_f32 v176, v5, v1, -v2
	v_mul_f32_e32 v1, v8, v4
	s_delay_alu instid0(VALU_DEP_4) | instskip(NEXT) | instid1(VALU_DEP_2)
	v_fmac_f32_e32 v177, v8, v3
	v_fma_f32 v178, v7, v3, -v1
	ds_load_b128 v[1:4], v25 offset:736
	ds_load_b128 v[5:8], v25 offset:752
	s_wait_loadcnt_dscnt 0x1
	v_mul_f32_e32 v179, v1, v10
	v_mul_f32_e32 v181, v3, v12
	s_delay_alu instid0(VALU_DEP_2) | instskip(NEXT) | instid1(VALU_DEP_2)
	v_fmac_f32_e32 v179, v2, v9
	v_dual_mul_f32 v2, v2, v10 :: v_dual_fmac_f32 v181, v4, v11
	s_delay_alu instid0(VALU_DEP_1) | instskip(SKIP_1) | instid1(VALU_DEP_1)
	v_fma_f32 v180, v1, v9, -v2
	v_mul_f32_e32 v1, v4, v12
	;; [unrolled: 25-line block ×6, first 2 shown]
	v_fma_f32 v214, v3, v11, -v1
	s_clause 0x1
	scratch_load_b128 v[1:4], off, off offset:384
	scratch_load_b128 v[9:12], off, off offset:400
	s_wait_loadcnt_dscnt 0x100
	v_mul_f32_e32 v215, v5, v2
	v_mul_f32_e32 v2, v6, v2
	s_delay_alu instid0(VALU_DEP_2) | instskip(NEXT) | instid1(VALU_DEP_2)
	v_fmac_f32_e32 v215, v6, v1
	v_fma_f32 v216, v5, v1, -v2
	v_add_f32_e32 v2, 0, v32
	s_delay_alu instid0(VALU_DEP_1) | instskip(NEXT) | instid1(VALU_DEP_1)
	v_add_f32_e32 v2, v2, v155
	v_add_f32_e32 v2, v2, v23
	s_delay_alu instid0(VALU_DEP_1) | instskip(NEXT) | instid1(VALU_DEP_1)
	v_add_f32_e32 v2, v2, v24
	;; [unrolled: 3-line block ×3, first 2 shown]
	v_dual_add_f32 v2, v2, v158 :: v_dual_mul_f32 v1, v8, v4
	s_delay_alu instid0(VALU_DEP_1) | instskip(NEXT) | instid1(VALU_DEP_2)
	v_add_f32_e32 v2, v2, v159
	v_fma_f32 v218, v7, v3, -v1
	s_delay_alu instid0(VALU_DEP_2) | instskip(NEXT) | instid1(VALU_DEP_1)
	v_dual_add_f32 v1, 0, v21 :: v_dual_add_f32 v2, v2, v15
	v_add_f32_e32 v1, v1, v22
	s_delay_alu instid0(VALU_DEP_2) | instskip(NEXT) | instid1(VALU_DEP_1)
	v_add_f32_e32 v2, v2, v18
	v_dual_add_f32 v1, v1, v26 :: v_dual_add_f32 v2, v2, v19
	s_delay_alu instid0(VALU_DEP_1) | instskip(SKIP_2) | instid1(VALU_DEP_1)
	v_dual_add_f32 v2, v2, v20 :: v_dual_add_f32 v1, v1, v27
	scratch_load_b64 v[26:27], off, off offset:480
	v_dual_add_f32 v2, v2, v163 :: v_dual_add_f32 v1, v1, v28
	v_dual_add_f32 v2, v2, v164 :: v_dual_add_f32 v1, v1, v29
	s_delay_alu instid0(VALU_DEP_1) | instskip(NEXT) | instid1(VALU_DEP_1)
	v_dual_add_f32 v2, v2, v167 :: v_dual_add_f32 v1, v1, v13
	v_dual_add_f32 v2, v2, v169 :: v_dual_add_f32 v1, v1, v14
	s_delay_alu instid0(VALU_DEP_1) | instskip(NEXT) | instid1(VALU_DEP_1)
	v_dual_add_f32 v2, v2, v171 :: v_dual_add_f32 v1, v1, v16
	v_add_f32_e32 v2, v2, v173
	s_delay_alu instid0(VALU_DEP_1) | instskip(NEXT) | instid1(VALU_DEP_1)
	v_dual_add_f32 v1, v1, v17 :: v_dual_add_f32 v2, v2, v175
	v_dual_add_f32 v1, v1, v160 :: v_dual_add_f32 v2, v2, v177
	s_delay_alu instid0(VALU_DEP_1) | instskip(NEXT) | instid1(VALU_DEP_1)
	v_dual_add_f32 v1, v1, v161 :: v_dual_add_f32 v2, v2, v179
	v_add_f32_e32 v1, v1, v165
	s_delay_alu instid0(VALU_DEP_1) | instskip(NEXT) | instid1(VALU_DEP_1)
	v_dual_add_f32 v2, v2, v181 :: v_dual_add_f32 v1, v1, v166
	v_add_f32_e32 v1, v1, v168
	s_delay_alu instid0(VALU_DEP_1) | instskip(NEXT) | instid1(VALU_DEP_1)
	v_add_f32_e32 v1, v1, v170
	v_add_f32_e32 v1, v1, v172
	s_delay_alu instid0(VALU_DEP_1) | instskip(NEXT) | instid1(VALU_DEP_1)
	v_add_f32_e32 v1, v1, v174
	;; [unrolled: 3-line block ×6, first 2 shown]
	v_add_f32_e32 v6, v1, v192
	v_dual_add_f32 v2, v2, v183 :: v_dual_mul_f32 v217, v7, v4
	s_delay_alu instid0(VALU_DEP_2) | instskip(NEXT) | instid1(VALU_DEP_2)
	v_add_f32_e32 v14, v6, v194
	v_dual_add_f32 v2, v2, v185 :: v_dual_fmac_f32 v217, v8, v3
	s_delay_alu instid0(VALU_DEP_2) | instskip(NEXT) | instid1(VALU_DEP_2)
	v_add_f32_e32 v14, v14, v196
	v_add_f32_e32 v2, v2, v187
	s_delay_alu instid0(VALU_DEP_2) | instskip(NEXT) | instid1(VALU_DEP_2)
	v_add_f32_e32 v17, v14, v198
	v_add_f32_e32 v5, v2, v189
	scratch_load_b128 v[1:4], off, off offset:416
	v_add_f32_e32 v17, v17, v200
	v_add_f32_e32 v13, v5, v191
	ds_load_b128 v[5:8], v25 offset:896
	v_add_f32_e32 v17, v17, v202
	v_add_f32_e32 v13, v13, v193
	s_delay_alu instid0(VALU_DEP_2) | instskip(NEXT) | instid1(VALU_DEP_1)
	v_add_f32_e32 v17, v17, v204
	v_add_f32_e32 v22, v17, v206
	s_delay_alu instid0(VALU_DEP_1) | instskip(NEXT) | instid1(VALU_DEP_1)
	v_dual_add_f32 v13, v13, v195 :: v_dual_add_f32 v22, v22, v208
	v_add_f32_e32 v18, v13, v197
	ds_load_b128 v[13:16], v25 offset:912
	s_wait_loadcnt_dscnt 0x201
	v_mul_f32_e32 v32, v5, v10
	v_dual_mul_f32 v10, v6, v10 :: v_dual_mul_f32 v155, v7, v12
	v_mul_f32_e32 v12, v8, v12
	v_add_f32_e32 v22, v22, v210
	s_delay_alu instid0(VALU_DEP_4) | instskip(NEXT) | instid1(VALU_DEP_4)
	v_fmac_f32_e32 v32, v6, v9
	v_fma_f32 v156, v5, v9, -v10
	v_fmac_f32_e32 v155, v8, v11
	v_fma_f32 v158, v7, v11, -v12
	s_clause 0x1
	scratch_load_b128 v[5:8], off, off offset:432
	scratch_load_b128 v[9:12], off, off offset:448
	v_add_f32_e32 v22, v22, v212
	s_wait_loadcnt_dscnt 0x200
	v_mul_f32_e32 v160, v15, v4
	v_add_f32_e32 v18, v18, v199
	v_dual_mul_f32 v4, v16, v4 :: v_dual_mul_f32 v159, v13, v2
	v_mul_f32_e32 v2, v14, v2
	s_delay_alu instid0(VALU_DEP_4) | instskip(NEXT) | instid1(VALU_DEP_4)
	v_fmac_f32_e32 v160, v16, v3
	v_add_f32_e32 v18, v18, v201
	s_delay_alu instid0(VALU_DEP_4)
	v_fma_f32 v162, v15, v3, -v4
	v_fmac_f32_e32 v159, v14, v1
	v_add_f32_e32 v14, v22, v214
	v_fma_f32 v161, v13, v1, -v2
	v_add_f32_e32 v21, v18, v203
	scratch_load_b128 v[17:20], off, off offset:464
	ds_load_b128 v[1:4], v25 offset:928
	v_dual_add_f32 v28, v14, v216 :: v_dual_add_f32 v21, v21, v205
	s_delay_alu instid0(VALU_DEP_1) | instskip(NEXT) | instid1(VALU_DEP_1)
	v_add_f32_e32 v163, v28, v218
	v_dual_add_f32 v21, v21, v207 :: v_dual_add_f32 v156, v163, v156
	s_delay_alu instid0(VALU_DEP_1) | instskip(NEXT) | instid1(VALU_DEP_1)
	v_dual_add_f32 v21, v21, v209 :: v_dual_add_f32 v156, v156, v158
	v_dual_add_f32 v13, v21, v211 :: v_dual_add_f32 v156, v156, v161
	s_delay_alu instid0(VALU_DEP_1)
	v_add_f32_e32 v21, v13, v213
	ds_load_b128 v[13:16], v25 offset:944
	s_wait_loadcnt_dscnt 0x201
	v_mul_f32_e32 v163, v1, v6
	v_mul_f32_e32 v6, v2, v6
	v_dual_add_f32 v156, v156, v162 :: v_dual_add_f32 v29, v21, v215
	ds_load_b128 v[21:24], v25 offset:960
	v_fmac_f32_e32 v163, v2, v5
	v_fma_f32 v1, v1, v5, -v6
	v_add_f32_e32 v164, v29, v217
	ds_load_b64 v[28:29], v25 offset:976
	v_add_f32_e32 v1, v156, v1
	v_add_f32_e32 v32, v164, v32
	s_delay_alu instid0(VALU_DEP_1) | instskip(SKIP_3) | instid1(VALU_DEP_3)
	v_dual_add_f32 v32, v32, v155 :: v_dual_mul_f32 v155, v3, v8
	v_mul_f32_e32 v8, v4, v8
	s_wait_loadcnt_dscnt 0x102
	v_dual_mul_f32 v158, v13, v10 :: v_dual_mul_f32 v5, v16, v12
	v_add_f32_e32 v32, v32, v159
	v_fmac_f32_e32 v155, v4, v7
	v_fma_f32 v2, v3, v7, -v8
	v_mul_f32_e32 v3, v14, v10
	v_mul_f32_e32 v159, v15, v12
	v_add_f32_e32 v32, v32, v160
	s_delay_alu instid0(VALU_DEP_4) | instskip(NEXT) | instid1(VALU_DEP_4)
	v_dual_fmac_f32 v158, v14, v9 :: v_dual_add_f32 v1, v1, v2
	v_fma_f32 v3, v13, v9, -v3
	s_delay_alu instid0(VALU_DEP_4) | instskip(NEXT) | instid1(VALU_DEP_4)
	v_fmac_f32_e32 v159, v16, v11
	v_add_f32_e32 v4, v32, v163
	v_fma_f32 v5, v15, v11, -v5
	s_wait_dscnt 0x0
	v_mul_f32_e32 v160, v28, v27
	v_add_f32_e32 v1, v1, v3
	v_add_f32_e32 v2, v4, v155
	s_delay_alu instid0(VALU_DEP_3) | instskip(NEXT) | instid1(VALU_DEP_3)
	v_fmac_f32_e32 v160, v29, v26
	v_add_f32_e32 v1, v1, v5
	s_delay_alu instid0(VALU_DEP_3) | instskip(SKIP_1) | instid1(VALU_DEP_1)
	v_dual_mul_f32 v5, v29, v27 :: v_dual_add_f32 v2, v2, v158
	s_wait_loadcnt 0x0
	v_dual_add_f32 v2, v2, v159 :: v_dual_mul_f32 v161, v21, v18
	v_mul_f32_e32 v4, v22, v18
	v_mul_f32_e32 v162, v23, v20
	;; [unrolled: 1-line block ×3, first 2 shown]
	s_delay_alu instid0(VALU_DEP_4) | instskip(NEXT) | instid1(VALU_DEP_4)
	v_fmac_f32_e32 v161, v22, v17
	v_fma_f32 v4, v21, v17, -v4
	s_delay_alu instid0(VALU_DEP_4) | instskip(NEXT) | instid1(VALU_DEP_4)
	v_fmac_f32_e32 v162, v24, v19
	v_fma_f32 v3, v23, v19, -v3
	s_delay_alu instid0(VALU_DEP_3) | instskip(SKIP_1) | instid1(VALU_DEP_2)
	v_dual_add_f32 v2, v2, v161 :: v_dual_add_f32 v1, v1, v4
	v_fma_f32 v4, v28, v26, -v5
	v_dual_add_f32 v2, v2, v162 :: v_dual_add_f32 v1, v1, v3
	s_delay_alu instid0(VALU_DEP_1) | instskip(NEXT) | instid1(VALU_DEP_1)
	v_add_f32_e32 v2, v2, v160
	v_dual_add_f32 v1, v1, v4 :: v_dual_sub_f32 v2, v31, v2
	s_delay_alu instid0(VALU_DEP_1)
	v_sub_f32_e32 v1, v30, v1
	scratch_store_b64 off, v[1:2], off offset:72
	v_cmpx_lt_u32_e32 8, v0
	s_cbranch_execz .LBB60_363
; %bb.362:
	scratch_load_b64 v[1:2], off, off offset:64
	v_mov_b32_e32 v26, v25
	scratch_store_b64 off, v[25:26], off offset:64
	s_wait_loadcnt 0x0
	ds_store_b64 v157, v[1:2]
.LBB60_363:
	s_wait_alu 0xfffe
	s_or_b32 exec_lo, exec_lo, s0
	s_wait_storecnt_dscnt 0x0
	s_barrier_signal -1
	s_barrier_wait -1
	global_inv scope:SCOPE_SE
	s_clause 0x4
	scratch_load_b128 v[5:8], off, off offset:72
	scratch_load_b128 v[1:4], off, off offset:88
	;; [unrolled: 1-line block ×5, first 2 shown]
	ds_load_2addr_b64 v[21:24], v25 offset0:71 offset1:72
	ds_load_2addr_b64 v[26:29], v25 offset0:73 offset1:74
	;; [unrolled: 1-line block ×3, first 2 shown]
	scratch_load_b64 v[30:31], off, off offset:64
	s_mov_b32 s0, exec_lo
	s_wait_loadcnt_dscnt 0x502
	v_dual_mul_f32 v32, v21, v6 :: v_dual_mul_f32 v155, v23, v8
	v_mul_f32_e32 v6, v22, v6
	v_mul_f32_e32 v8, v24, v8
	s_wait_loadcnt_dscnt 0x300
	v_mul_f32_e32 v156, v158, v10
	v_dual_fmac_f32 v32, v22, v5 :: v_dual_fmac_f32 v155, v24, v7
	v_fma_f32 v21, v21, v5, -v6
	v_fma_f32 v22, v23, v7, -v8
	ds_load_2addr_b64 v[5:8], v25 offset0:77 offset1:78
	v_dual_mul_f32 v23, v26, v2 :: v_dual_mul_f32 v24, v28, v4
	v_mul_f32_e32 v4, v29, v4
	v_mul_f32_e32 v10, v159, v10
	v_mul_f32_e32 v162, v160, v12
	v_mul_f32_e32 v12, v161, v12
	v_mul_f32_e32 v2, v27, v2
	v_dual_fmac_f32 v23, v27, v1 :: v_dual_fmac_f32 v24, v29, v3
	v_fma_f32 v27, v28, v3, -v4
	v_fmac_f32_e32 v156, v159, v9
	v_fma_f32 v28, v158, v9, -v10
	v_fmac_f32_e32 v162, v161, v11
	v_fma_f32 v29, v160, v11, -v12
	ds_load_2addr_b64 v[9:12], v25 offset0:79 offset1:80
	s_wait_loadcnt_dscnt 0x201
	v_dual_mul_f32 v159, v7, v16 :: v_dual_mul_f32 v158, v5, v14
	v_mul_f32_e32 v14, v6, v14
	v_mul_f32_e32 v16, v8, v16
	s_delay_alu instid0(VALU_DEP_3)
	v_fmac_f32_e32 v159, v8, v15
	v_fma_f32 v26, v26, v1, -v2
	scratch_load_b128 v[1:4], off, off offset:152
	v_fmac_f32_e32 v158, v6, v13
	v_fma_f32 v13, v5, v13, -v14
	v_fma_f32 v14, v7, v15, -v16
	ds_load_2addr_b64 v[5:8], v25 offset0:81 offset1:82
	s_wait_loadcnt_dscnt 0x201
	v_mul_f32_e32 v15, v9, v18
	v_mul_f32_e32 v16, v10, v18
	;; [unrolled: 1-line block ×3, first 2 shown]
	s_delay_alu instid0(VALU_DEP_3) | instskip(NEXT) | instid1(VALU_DEP_3)
	v_dual_mul_f32 v20, v12, v20 :: v_dual_fmac_f32 v15, v10, v17
	v_fma_f32 v16, v9, v17, -v16
	s_delay_alu instid0(VALU_DEP_3) | instskip(NEXT) | instid1(VALU_DEP_3)
	v_fmac_f32_e32 v18, v12, v19
	v_fma_f32 v17, v11, v19, -v20
	scratch_load_b128 v[9:12], off, off offset:168
	s_wait_loadcnt_dscnt 0x100
	v_mul_f32_e32 v19, v5, v2
	v_mul_f32_e32 v2, v6, v2
	;; [unrolled: 1-line block ×3, first 2 shown]
	s_delay_alu instid0(VALU_DEP_3) | instskip(NEXT) | instid1(VALU_DEP_3)
	v_dual_mul_f32 v4, v8, v4 :: v_dual_fmac_f32 v19, v6, v1
	v_fma_f32 v160, v5, v1, -v2
	s_delay_alu instid0(VALU_DEP_3) | instskip(NEXT) | instid1(VALU_DEP_3)
	v_fmac_f32_e32 v20, v8, v3
	v_fma_f32 v161, v7, v3, -v4
	ds_load_2addr_b64 v[1:4], v25 offset0:83 offset1:84
	ds_load_2addr_b64 v[5:8], v25 offset0:85 offset1:86
	s_wait_loadcnt_dscnt 0x1
	v_mul_f32_e32 v163, v1, v10
	v_mul_f32_e32 v10, v2, v10
	s_delay_alu instid0(VALU_DEP_2) | instskip(NEXT) | instid1(VALU_DEP_2)
	v_dual_mul_f32 v164, v3, v12 :: v_dual_fmac_f32 v163, v2, v9
	v_fma_f32 v165, v1, v9, -v10
	v_mul_f32_e32 v1, v4, v12
	s_delay_alu instid0(VALU_DEP_3) | instskip(NEXT) | instid1(VALU_DEP_2)
	v_fmac_f32_e32 v164, v4, v11
	v_fma_f32 v166, v3, v11, -v1
	s_clause 0x1
	scratch_load_b128 v[1:4], off, off offset:184
	scratch_load_b128 v[9:12], off, off offset:200
	s_wait_loadcnt_dscnt 0x100
	v_mul_f32_e32 v167, v5, v2
	v_dual_mul_f32 v2, v6, v2 :: v_dual_mul_f32 v169, v7, v4
	s_delay_alu instid0(VALU_DEP_2) | instskip(NEXT) | instid1(VALU_DEP_2)
	v_fmac_f32_e32 v167, v6, v1
	v_fma_f32 v168, v5, v1, -v2
	v_mul_f32_e32 v1, v8, v4
	s_delay_alu instid0(VALU_DEP_4) | instskip(NEXT) | instid1(VALU_DEP_2)
	v_fmac_f32_e32 v169, v8, v3
	v_fma_f32 v170, v7, v3, -v1
	ds_load_2addr_b64 v[1:4], v25 offset0:87 offset1:88
	ds_load_2addr_b64 v[5:8], v25 offset0:89 offset1:90
	s_wait_loadcnt_dscnt 0x1
	v_mul_f32_e32 v171, v1, v10
	v_mul_f32_e32 v173, v3, v12
	s_delay_alu instid0(VALU_DEP_2) | instskip(NEXT) | instid1(VALU_DEP_2)
	v_fmac_f32_e32 v171, v2, v9
	v_dual_mul_f32 v2, v2, v10 :: v_dual_fmac_f32 v173, v4, v11
	s_delay_alu instid0(VALU_DEP_1) | instskip(SKIP_1) | instid1(VALU_DEP_1)
	v_fma_f32 v172, v1, v9, -v2
	v_mul_f32_e32 v1, v4, v12
	v_fma_f32 v174, v3, v11, -v1
	s_clause 0x1
	scratch_load_b128 v[1:4], off, off offset:216
	scratch_load_b128 v[9:12], off, off offset:232
	s_wait_loadcnt_dscnt 0x100
	v_mul_f32_e32 v175, v5, v2
	v_dual_mul_f32 v2, v6, v2 :: v_dual_mul_f32 v177, v7, v4
	s_delay_alu instid0(VALU_DEP_2) | instskip(NEXT) | instid1(VALU_DEP_2)
	v_fmac_f32_e32 v175, v6, v1
	v_fma_f32 v176, v5, v1, -v2
	v_mul_f32_e32 v1, v8, v4
	s_delay_alu instid0(VALU_DEP_4) | instskip(NEXT) | instid1(VALU_DEP_2)
	v_fmac_f32_e32 v177, v8, v3
	v_fma_f32 v178, v7, v3, -v1
	ds_load_2addr_b64 v[1:4], v25 offset0:91 offset1:92
	ds_load_2addr_b64 v[5:8], v25 offset0:93 offset1:94
	s_wait_loadcnt_dscnt 0x1
	v_mul_f32_e32 v179, v1, v10
	v_mul_f32_e32 v181, v3, v12
	s_delay_alu instid0(VALU_DEP_2) | instskip(NEXT) | instid1(VALU_DEP_2)
	v_fmac_f32_e32 v179, v2, v9
	v_dual_mul_f32 v2, v2, v10 :: v_dual_fmac_f32 v181, v4, v11
	s_delay_alu instid0(VALU_DEP_1) | instskip(SKIP_1) | instid1(VALU_DEP_1)
	v_fma_f32 v180, v1, v9, -v2
	v_mul_f32_e32 v1, v4, v12
	v_fma_f32 v182, v3, v11, -v1
	s_clause 0x1
	scratch_load_b128 v[1:4], off, off offset:248
	scratch_load_b128 v[9:12], off, off offset:264
	s_wait_loadcnt_dscnt 0x100
	v_mul_f32_e32 v183, v5, v2
	v_dual_mul_f32 v2, v6, v2 :: v_dual_mul_f32 v185, v7, v4
	s_delay_alu instid0(VALU_DEP_2) | instskip(NEXT) | instid1(VALU_DEP_2)
	v_fmac_f32_e32 v183, v6, v1
	v_fma_f32 v184, v5, v1, -v2
	v_mul_f32_e32 v1, v8, v4
	s_delay_alu instid0(VALU_DEP_4) | instskip(NEXT) | instid1(VALU_DEP_2)
	v_fmac_f32_e32 v185, v8, v3
	v_fma_f32 v186, v7, v3, -v1
	ds_load_2addr_b64 v[1:4], v25 offset0:95 offset1:96
	ds_load_2addr_b64 v[5:8], v25 offset0:97 offset1:98
	s_wait_loadcnt_dscnt 0x1
	v_mul_f32_e32 v187, v1, v10
	v_mul_f32_e32 v189, v3, v12
	s_delay_alu instid0(VALU_DEP_2) | instskip(NEXT) | instid1(VALU_DEP_2)
	v_fmac_f32_e32 v187, v2, v9
	v_dual_mul_f32 v2, v2, v10 :: v_dual_fmac_f32 v189, v4, v11
	s_delay_alu instid0(VALU_DEP_1) | instskip(SKIP_1) | instid1(VALU_DEP_1)
	v_fma_f32 v188, v1, v9, -v2
	v_mul_f32_e32 v1, v4, v12
	v_fma_f32 v190, v3, v11, -v1
	s_clause 0x1
	scratch_load_b128 v[1:4], off, off offset:280
	scratch_load_b128 v[9:12], off, off offset:296
	s_wait_loadcnt_dscnt 0x100
	v_mul_f32_e32 v191, v5, v2
	v_dual_mul_f32 v2, v6, v2 :: v_dual_mul_f32 v193, v7, v4
	s_delay_alu instid0(VALU_DEP_2) | instskip(NEXT) | instid1(VALU_DEP_2)
	v_fmac_f32_e32 v191, v6, v1
	v_fma_f32 v192, v5, v1, -v2
	v_mul_f32_e32 v1, v8, v4
	s_delay_alu instid0(VALU_DEP_4) | instskip(NEXT) | instid1(VALU_DEP_2)
	v_fmac_f32_e32 v193, v8, v3
	v_fma_f32 v194, v7, v3, -v1
	ds_load_2addr_b64 v[1:4], v25 offset0:99 offset1:100
	ds_load_2addr_b64 v[5:8], v25 offset0:101 offset1:102
	s_wait_loadcnt_dscnt 0x1
	v_mul_f32_e32 v195, v1, v10
	v_mul_f32_e32 v197, v3, v12
	s_delay_alu instid0(VALU_DEP_2) | instskip(NEXT) | instid1(VALU_DEP_2)
	v_fmac_f32_e32 v195, v2, v9
	v_dual_mul_f32 v2, v2, v10 :: v_dual_fmac_f32 v197, v4, v11
	s_delay_alu instid0(VALU_DEP_1) | instskip(SKIP_1) | instid1(VALU_DEP_1)
	v_fma_f32 v196, v1, v9, -v2
	v_mul_f32_e32 v1, v4, v12
	v_fma_f32 v198, v3, v11, -v1
	s_clause 0x1
	scratch_load_b128 v[1:4], off, off offset:312
	scratch_load_b128 v[9:12], off, off offset:328
	s_wait_loadcnt_dscnt 0x100
	v_mul_f32_e32 v199, v5, v2
	v_dual_mul_f32 v2, v6, v2 :: v_dual_mul_f32 v201, v7, v4
	s_delay_alu instid0(VALU_DEP_2) | instskip(NEXT) | instid1(VALU_DEP_2)
	v_fmac_f32_e32 v199, v6, v1
	v_fma_f32 v200, v5, v1, -v2
	v_mul_f32_e32 v1, v8, v4
	s_delay_alu instid0(VALU_DEP_4) | instskip(NEXT) | instid1(VALU_DEP_2)
	v_fmac_f32_e32 v201, v8, v3
	v_fma_f32 v202, v7, v3, -v1
	ds_load_2addr_b64 v[1:4], v25 offset0:103 offset1:104
	ds_load_2addr_b64 v[5:8], v25 offset0:105 offset1:106
	s_wait_loadcnt_dscnt 0x1
	v_mul_f32_e32 v203, v1, v10
	v_mul_f32_e32 v205, v3, v12
	s_delay_alu instid0(VALU_DEP_2) | instskip(NEXT) | instid1(VALU_DEP_2)
	v_fmac_f32_e32 v203, v2, v9
	v_dual_mul_f32 v2, v2, v10 :: v_dual_fmac_f32 v205, v4, v11
	s_delay_alu instid0(VALU_DEP_1) | instskip(SKIP_1) | instid1(VALU_DEP_1)
	v_fma_f32 v204, v1, v9, -v2
	v_mul_f32_e32 v1, v4, v12
	v_fma_f32 v206, v3, v11, -v1
	s_clause 0x1
	scratch_load_b128 v[1:4], off, off offset:344
	scratch_load_b128 v[9:12], off, off offset:360
	s_wait_loadcnt_dscnt 0x100
	v_mul_f32_e32 v207, v5, v2
	v_dual_mul_f32 v2, v6, v2 :: v_dual_mul_f32 v209, v7, v4
	s_delay_alu instid0(VALU_DEP_2) | instskip(NEXT) | instid1(VALU_DEP_2)
	v_fmac_f32_e32 v207, v6, v1
	v_fma_f32 v208, v5, v1, -v2
	v_mul_f32_e32 v1, v8, v4
	s_delay_alu instid0(VALU_DEP_4) | instskip(NEXT) | instid1(VALU_DEP_2)
	v_fmac_f32_e32 v209, v8, v3
	v_fma_f32 v210, v7, v3, -v1
	ds_load_2addr_b64 v[1:4], v25 offset0:107 offset1:108
	ds_load_2addr_b64 v[5:8], v25 offset0:109 offset1:110
	s_wait_loadcnt_dscnt 0x1
	v_mul_f32_e32 v211, v1, v10
	v_mul_f32_e32 v213, v3, v12
	s_delay_alu instid0(VALU_DEP_2) | instskip(NEXT) | instid1(VALU_DEP_2)
	v_fmac_f32_e32 v211, v2, v9
	v_dual_mul_f32 v2, v2, v10 :: v_dual_fmac_f32 v213, v4, v11
	s_delay_alu instid0(VALU_DEP_1) | instskip(SKIP_1) | instid1(VALU_DEP_1)
	v_fma_f32 v212, v1, v9, -v2
	v_mul_f32_e32 v1, v4, v12
	v_fma_f32 v214, v3, v11, -v1
	s_clause 0x1
	scratch_load_b128 v[1:4], off, off offset:376
	scratch_load_b128 v[9:12], off, off offset:392
	s_wait_loadcnt_dscnt 0x100
	v_mul_f32_e32 v215, v5, v2
	v_dual_mul_f32 v2, v6, v2 :: v_dual_mul_f32 v217, v7, v4
	s_delay_alu instid0(VALU_DEP_2) | instskip(NEXT) | instid1(VALU_DEP_2)
	v_fmac_f32_e32 v215, v6, v1
	v_fma_f32 v216, v5, v1, -v2
	v_mul_f32_e32 v1, v8, v4
	s_delay_alu instid0(VALU_DEP_4) | instskip(NEXT) | instid1(VALU_DEP_2)
	v_fmac_f32_e32 v217, v8, v3
	v_fma_f32 v218, v7, v3, -v1
	ds_load_2addr_b64 v[1:4], v25 offset0:111 offset1:112
	ds_load_2addr_b64 v[5:8], v25 offset0:113 offset1:114
	s_wait_loadcnt_dscnt 0x1
	v_mul_f32_e32 v219, v1, v10
	v_mul_f32_e32 v221, v3, v12
	s_delay_alu instid0(VALU_DEP_2) | instskip(NEXT) | instid1(VALU_DEP_2)
	v_fmac_f32_e32 v219, v2, v9
	v_dual_mul_f32 v2, v2, v10 :: v_dual_fmac_f32 v221, v4, v11
	s_delay_alu instid0(VALU_DEP_1) | instskip(SKIP_1) | instid1(VALU_DEP_1)
	v_fma_f32 v220, v1, v9, -v2
	v_mul_f32_e32 v1, v4, v12
	v_fma_f32 v222, v3, v11, -v1
	s_clause 0x1
	scratch_load_b128 v[1:4], off, off offset:408
	scratch_load_b128 v[9:12], off, off offset:424
	s_wait_loadcnt_dscnt 0x100
	v_mul_f32_e32 v223, v5, v2
	v_mul_f32_e32 v2, v6, v2
	s_delay_alu instid0(VALU_DEP_2) | instskip(NEXT) | instid1(VALU_DEP_2)
	v_fmac_f32_e32 v223, v6, v1
	v_fma_f32 v224, v5, v1, -v2
	v_add_f32_e32 v2, 0, v32
	s_delay_alu instid0(VALU_DEP_1) | instskip(NEXT) | instid1(VALU_DEP_1)
	v_dual_mul_f32 v1, v8, v4 :: v_dual_add_f32 v2, v2, v155
	v_fma_f32 v226, v7, v3, -v1
	s_delay_alu instid0(VALU_DEP_2) | instskip(NEXT) | instid1(VALU_DEP_1)
	v_dual_add_f32 v1, 0, v21 :: v_dual_add_f32 v2, v2, v23
	v_add_f32_e32 v2, v2, v24
	s_delay_alu instid0(VALU_DEP_1) | instskip(NEXT) | instid1(VALU_DEP_1)
	v_add_f32_e32 v2, v2, v156
	v_add_f32_e32 v2, v2, v162
	s_delay_alu instid0(VALU_DEP_1) | instskip(NEXT) | instid1(VALU_DEP_1)
	v_add_f32_e32 v2, v2, v158
	;; [unrolled: 3-line block ×4, first 2 shown]
	v_dual_add_f32 v2, v2, v20 :: v_dual_add_f32 v1, v1, v22
	s_delay_alu instid0(VALU_DEP_1) | instskip(NEXT) | instid1(VALU_DEP_1)
	v_dual_add_f32 v2, v2, v163 :: v_dual_add_f32 v1, v1, v26
	v_dual_add_f32 v2, v2, v164 :: v_dual_add_f32 v1, v1, v27
	s_delay_alu instid0(VALU_DEP_1) | instskip(NEXT) | instid1(VALU_DEP_1)
	v_dual_add_f32 v2, v2, v167 :: v_dual_add_f32 v1, v1, v28
	v_add_f32_e32 v2, v2, v169
	s_delay_alu instid0(VALU_DEP_1) | instskip(NEXT) | instid1(VALU_DEP_1)
	v_dual_add_f32 v1, v1, v29 :: v_dual_add_f32 v2, v2, v171
	v_add_f32_e32 v1, v1, v13
	s_delay_alu instid0(VALU_DEP_1) | instskip(NEXT) | instid1(VALU_DEP_1)
	v_dual_add_f32 v2, v2, v173 :: v_dual_add_f32 v1, v1, v14
	v_dual_add_f32 v2, v2, v175 :: v_dual_add_f32 v1, v1, v16
	s_delay_alu instid0(VALU_DEP_1) | instskip(NEXT) | instid1(VALU_DEP_1)
	v_add_f32_e32 v2, v2, v177
	v_dual_add_f32 v1, v1, v17 :: v_dual_add_f32 v2, v2, v179
	s_delay_alu instid0(VALU_DEP_1) | instskip(NEXT) | instid1(VALU_DEP_1)
	v_dual_add_f32 v1, v1, v160 :: v_dual_add_f32 v2, v2, v181
	v_add_f32_e32 v1, v1, v161
	s_delay_alu instid0(VALU_DEP_1) | instskip(NEXT) | instid1(VALU_DEP_1)
	v_add_f32_e32 v1, v1, v165
	v_add_f32_e32 v1, v1, v166
	s_delay_alu instid0(VALU_DEP_1) | instskip(NEXT) | instid1(VALU_DEP_1)
	v_add_f32_e32 v1, v1, v168
	;; [unrolled: 3-line block ×9, first 2 shown]
	v_add_f32_e32 v6, v1, v198
	v_add_f32_e32 v2, v2, v183
	s_delay_alu instid0(VALU_DEP_2) | instskip(NEXT) | instid1(VALU_DEP_2)
	v_add_f32_e32 v6, v6, v200
	v_add_f32_e32 v2, v2, v185
	s_delay_alu instid0(VALU_DEP_2) | instskip(NEXT) | instid1(VALU_DEP_1)
	v_add_f32_e32 v13, v6, v202
	v_dual_add_f32 v2, v2, v187 :: v_dual_add_f32 v13, v13, v204
	s_delay_alu instid0(VALU_DEP_1) | instskip(NEXT) | instid1(VALU_DEP_1)
	v_dual_add_f32 v2, v2, v189 :: v_dual_add_f32 v13, v13, v206
	v_dual_add_f32 v2, v2, v191 :: v_dual_add_f32 v13, v13, v208
	s_delay_alu instid0(VALU_DEP_1) | instskip(NEXT) | instid1(VALU_DEP_1)
	v_add_f32_e32 v2, v2, v193
	v_dual_add_f32 v18, v13, v210 :: v_dual_add_f32 v5, v2, v195
	s_delay_alu instid0(VALU_DEP_1) | instskip(NEXT) | instid1(VALU_DEP_1)
	v_dual_add_f32 v18, v18, v212 :: v_dual_add_f32 v5, v5, v197
	v_dual_add_f32 v18, v18, v214 :: v_dual_add_f32 v5, v5, v199
	s_delay_alu instid0(VALU_DEP_1) | instskip(NEXT) | instid1(VALU_DEP_1)
	v_dual_add_f32 v21, v18, v216 :: v_dual_add_f32 v14, v5, v201
	v_dual_add_f32 v32, v21, v218 :: v_dual_mul_f32 v225, v7, v4
	s_delay_alu instid0(VALU_DEP_2) | instskip(NEXT) | instid1(VALU_DEP_2)
	v_add_f32_e32 v14, v14, v203
	v_fmac_f32_e32 v225, v8, v3
	ds_load_2addr_b64 v[1:4], v25 offset0:115 offset1:116
	ds_load_2addr_b64 v[5:8], v25 offset0:117 offset1:118
	v_add_f32_e32 v14, v14, v205
	s_delay_alu instid0(VALU_DEP_1) | instskip(SKIP_2) | instid1(VALU_DEP_1)
	v_add_f32_e32 v17, v14, v207
	scratch_load_b128 v[13:16], off, off offset:472
	v_add_f32_e32 v17, v17, v209
	v_add_f32_e32 v17, v17, v211
	s_wait_loadcnt_dscnt 0x101
	v_dual_mul_f32 v26, v1, v10 :: v_dual_mul_f32 v27, v3, v12
	v_mul_f32_e32 v10, v2, v10
	s_delay_alu instid0(VALU_DEP_3) | instskip(NEXT) | instid1(VALU_DEP_3)
	v_dual_mul_f32 v12, v4, v12 :: v_dual_add_f32 v17, v17, v213
	v_dual_fmac_f32 v26, v2, v9 :: v_dual_fmac_f32 v27, v4, v11
	s_delay_alu instid0(VALU_DEP_3) | instskip(NEXT) | instid1(VALU_DEP_3)
	v_fma_f32 v28, v1, v9, -v10
	v_fma_f32 v29, v3, v11, -v12
	s_clause 0x1
	scratch_load_b128 v[1:4], off, off offset:440
	scratch_load_b128 v[9:12], off, off offset:456
	s_wait_loadcnt_dscnt 0x100
	v_mul_f32_e32 v156, v7, v4
	v_add_f32_e32 v22, v17, v215
	ds_load_2addr_b64 v[17:20], v25 offset0:119 offset1:120
	v_mul_f32_e32 v4, v8, v4
	v_dual_fmac_f32 v156, v8, v3 :: v_dual_add_f32 v155, v22, v217
	ds_load_2addr_b64 v[21:24], v25 offset0:121 offset1:122
	v_add_f32_e32 v25, v32, v220
	v_fma_f32 v3, v7, v3, -v4
	s_delay_alu instid0(VALU_DEP_2) | instskip(NEXT) | instid1(VALU_DEP_1)
	v_add_f32_e32 v25, v25, v222
	v_add_f32_e32 v25, v25, v224
	s_wait_loadcnt_dscnt 0x1
	v_mul_f32_e32 v158, v17, v10
	s_delay_alu instid0(VALU_DEP_2)
	v_dual_add_f32 v32, v155, v219 :: v_dual_add_f32 v25, v25, v226
	v_mul_f32_e32 v155, v5, v2
	v_mul_f32_e32 v2, v6, v2
	s_wait_dscnt 0x0
	v_mul_f32_e32 v160, v21, v14
	v_dual_add_f32 v32, v32, v221 :: v_dual_add_f32 v25, v25, v28
	v_fmac_f32_e32 v155, v6, v1
	v_fma_f32 v2, v5, v1, -v2
	v_mul_f32_e32 v6, v18, v10
	s_delay_alu instid0(VALU_DEP_4) | instskip(SKIP_3) | instid1(VALU_DEP_4)
	v_dual_add_f32 v32, v32, v223 :: v_dual_add_f32 v1, v25, v29
	v_mul_f32_e32 v159, v19, v12
	v_mul_f32_e32 v4, v20, v12
	v_fmac_f32_e32 v158, v18, v9
	v_dual_add_f32 v32, v32, v225 :: v_dual_add_f32 v1, v1, v2
	s_delay_alu instid0(VALU_DEP_4) | instskip(NEXT) | instid1(VALU_DEP_4)
	v_fmac_f32_e32 v159, v20, v11
	v_fma_f32 v4, v19, v11, -v4
	v_mul_f32_e32 v28, v23, v16
	s_delay_alu instid0(VALU_DEP_4) | instskip(SKIP_2) | instid1(VALU_DEP_4)
	v_dual_add_f32 v26, v32, v26 :: v_dual_add_f32 v1, v1, v3
	v_mul_f32_e32 v3, v22, v14
	v_fmac_f32_e32 v160, v22, v13
	v_fmac_f32_e32 v28, v24, v15
	s_delay_alu instid0(VALU_DEP_4) | instskip(NEXT) | instid1(VALU_DEP_4)
	v_add_f32_e32 v5, v26, v27
	v_fma_f32 v3, v21, v13, -v3
	s_delay_alu instid0(VALU_DEP_2) | instskip(SKIP_1) | instid1(VALU_DEP_1)
	v_add_f32_e32 v2, v5, v155
	v_fma_f32 v5, v17, v9, -v6
	v_dual_add_f32 v2, v2, v156 :: v_dual_add_f32 v1, v1, v5
	s_delay_alu instid0(VALU_DEP_1) | instskip(NEXT) | instid1(VALU_DEP_2)
	v_dual_mul_f32 v5, v24, v16 :: v_dual_add_f32 v2, v2, v158
	v_add_f32_e32 v1, v1, v4
	s_delay_alu instid0(VALU_DEP_2) | instskip(NEXT) | instid1(VALU_DEP_3)
	v_fma_f32 v4, v23, v15, -v5
	v_add_f32_e32 v2, v2, v159
	s_delay_alu instid0(VALU_DEP_1) | instskip(NEXT) | instid1(VALU_DEP_1)
	v_dual_add_f32 v1, v1, v3 :: v_dual_add_f32 v2, v2, v160
	v_add_f32_e32 v1, v1, v4
	s_delay_alu instid0(VALU_DEP_2) | instskip(NEXT) | instid1(VALU_DEP_1)
	v_add_f32_e32 v2, v2, v28
	v_dual_sub_f32 v1, v30, v1 :: v_dual_sub_f32 v2, v31, v2
	scratch_store_b64 off, v[1:2], off offset:64
	v_cmpx_lt_u32_e32 7, v0
	s_cbranch_execz .LBB60_365
; %bb.364:
	scratch_load_b64 v[1:2], off, off offset:56
	v_mov_b32_e32 v3, 0
	s_delay_alu instid0(VALU_DEP_1)
	v_mov_b32_e32 v4, v3
	scratch_store_b64 off, v[3:4], off offset:56
	s_wait_loadcnt 0x0
	ds_store_b64 v157, v[1:2]
.LBB60_365:
	s_wait_alu 0xfffe
	s_or_b32 exec_lo, exec_lo, s0
	s_wait_storecnt_dscnt 0x0
	s_barrier_signal -1
	s_barrier_wait -1
	global_inv scope:SCOPE_SE
	s_clause 0x4
	scratch_load_b128 v[5:8], off, off offset:64
	scratch_load_b128 v[1:4], off, off offset:80
	;; [unrolled: 1-line block ×5, first 2 shown]
	v_mov_b32_e32 v25, 0
	ds_load_b128 v[21:24], v25 offset:560
	ds_load_b128 v[26:29], v25 offset:576
	ds_load_b128 v[158:161], v25 offset:592
	scratch_load_b64 v[30:31], off, off offset:56
	s_mov_b32 s0, exec_lo
	s_wait_loadcnt_dscnt 0x502
	v_dual_mul_f32 v32, v21, v6 :: v_dual_mul_f32 v155, v23, v8
	v_mul_f32_e32 v6, v22, v6
	v_mul_f32_e32 v8, v24, v8
	s_wait_loadcnt_dscnt 0x300
	v_mul_f32_e32 v162, v160, v12
	v_dual_fmac_f32 v32, v22, v5 :: v_dual_fmac_f32 v155, v24, v7
	v_fma_f32 v21, v21, v5, -v6
	v_fma_f32 v22, v23, v7, -v8
	ds_load_b128 v[5:8], v25 offset:608
	v_dual_mul_f32 v23, v26, v2 :: v_dual_mul_f32 v24, v28, v4
	v_mul_f32_e32 v4, v29, v4
	v_mul_f32_e32 v156, v158, v10
	;; [unrolled: 1-line block ×5, first 2 shown]
	v_dual_fmac_f32 v23, v27, v1 :: v_dual_fmac_f32 v24, v29, v3
	v_fma_f32 v27, v28, v3, -v4
	v_fmac_f32_e32 v156, v159, v9
	v_fmac_f32_e32 v162, v161, v11
	v_fma_f32 v28, v158, v9, -v10
	v_fma_f32 v29, v160, v11, -v12
	ds_load_b128 v[9:12], v25 offset:624
	s_wait_loadcnt_dscnt 0x201
	v_dual_mul_f32 v159, v7, v16 :: v_dual_mul_f32 v158, v5, v14
	v_mul_f32_e32 v14, v6, v14
	v_mul_f32_e32 v16, v8, v16
	s_delay_alu instid0(VALU_DEP_3)
	v_fmac_f32_e32 v159, v8, v15
	v_fma_f32 v26, v26, v1, -v2
	scratch_load_b128 v[1:4], off, off offset:144
	v_fmac_f32_e32 v158, v6, v13
	v_fma_f32 v13, v5, v13, -v14
	v_fma_f32 v14, v7, v15, -v16
	ds_load_b128 v[5:8], v25 offset:640
	s_wait_loadcnt_dscnt 0x201
	v_mul_f32_e32 v15, v9, v18
	v_mul_f32_e32 v16, v10, v18
	;; [unrolled: 1-line block ×3, first 2 shown]
	s_delay_alu instid0(VALU_DEP_3) | instskip(NEXT) | instid1(VALU_DEP_3)
	v_dual_mul_f32 v20, v12, v20 :: v_dual_fmac_f32 v15, v10, v17
	v_fma_f32 v16, v9, v17, -v16
	s_delay_alu instid0(VALU_DEP_3) | instskip(NEXT) | instid1(VALU_DEP_3)
	v_fmac_f32_e32 v18, v12, v19
	v_fma_f32 v17, v11, v19, -v20
	scratch_load_b128 v[9:12], off, off offset:160
	s_wait_loadcnt_dscnt 0x100
	v_mul_f32_e32 v19, v5, v2
	v_mul_f32_e32 v2, v6, v2
	;; [unrolled: 1-line block ×3, first 2 shown]
	s_delay_alu instid0(VALU_DEP_3) | instskip(NEXT) | instid1(VALU_DEP_3)
	v_dual_mul_f32 v4, v8, v4 :: v_dual_fmac_f32 v19, v6, v1
	v_fma_f32 v160, v5, v1, -v2
	s_delay_alu instid0(VALU_DEP_3) | instskip(NEXT) | instid1(VALU_DEP_3)
	v_fmac_f32_e32 v20, v8, v3
	v_fma_f32 v161, v7, v3, -v4
	ds_load_b128 v[1:4], v25 offset:656
	ds_load_b128 v[5:8], v25 offset:672
	s_wait_loadcnt_dscnt 0x1
	v_mul_f32_e32 v163, v1, v10
	v_mul_f32_e32 v10, v2, v10
	s_delay_alu instid0(VALU_DEP_2) | instskip(NEXT) | instid1(VALU_DEP_2)
	v_dual_mul_f32 v164, v3, v12 :: v_dual_fmac_f32 v163, v2, v9
	v_fma_f32 v165, v1, v9, -v10
	v_mul_f32_e32 v1, v4, v12
	s_delay_alu instid0(VALU_DEP_3) | instskip(NEXT) | instid1(VALU_DEP_2)
	v_fmac_f32_e32 v164, v4, v11
	v_fma_f32 v166, v3, v11, -v1
	s_clause 0x1
	scratch_load_b128 v[1:4], off, off offset:176
	scratch_load_b128 v[9:12], off, off offset:192
	s_wait_loadcnt_dscnt 0x100
	v_mul_f32_e32 v167, v5, v2
	v_dual_mul_f32 v2, v6, v2 :: v_dual_mul_f32 v169, v7, v4
	s_delay_alu instid0(VALU_DEP_2) | instskip(NEXT) | instid1(VALU_DEP_2)
	v_fmac_f32_e32 v167, v6, v1
	v_fma_f32 v168, v5, v1, -v2
	v_mul_f32_e32 v1, v8, v4
	s_delay_alu instid0(VALU_DEP_4) | instskip(NEXT) | instid1(VALU_DEP_2)
	v_fmac_f32_e32 v169, v8, v3
	v_fma_f32 v170, v7, v3, -v1
	ds_load_b128 v[1:4], v25 offset:688
	ds_load_b128 v[5:8], v25 offset:704
	s_wait_loadcnt_dscnt 0x1
	v_mul_f32_e32 v171, v1, v10
	v_mul_f32_e32 v173, v3, v12
	s_delay_alu instid0(VALU_DEP_2) | instskip(NEXT) | instid1(VALU_DEP_2)
	v_fmac_f32_e32 v171, v2, v9
	v_dual_mul_f32 v2, v2, v10 :: v_dual_fmac_f32 v173, v4, v11
	s_delay_alu instid0(VALU_DEP_1) | instskip(SKIP_1) | instid1(VALU_DEP_1)
	v_fma_f32 v172, v1, v9, -v2
	v_mul_f32_e32 v1, v4, v12
	v_fma_f32 v174, v3, v11, -v1
	s_clause 0x1
	scratch_load_b128 v[1:4], off, off offset:208
	scratch_load_b128 v[9:12], off, off offset:224
	s_wait_loadcnt_dscnt 0x100
	v_mul_f32_e32 v175, v5, v2
	v_dual_mul_f32 v2, v6, v2 :: v_dual_mul_f32 v177, v7, v4
	s_delay_alu instid0(VALU_DEP_2) | instskip(NEXT) | instid1(VALU_DEP_2)
	v_fmac_f32_e32 v175, v6, v1
	v_fma_f32 v176, v5, v1, -v2
	v_mul_f32_e32 v1, v8, v4
	s_delay_alu instid0(VALU_DEP_4) | instskip(NEXT) | instid1(VALU_DEP_2)
	v_fmac_f32_e32 v177, v8, v3
	v_fma_f32 v178, v7, v3, -v1
	ds_load_b128 v[1:4], v25 offset:720
	ds_load_b128 v[5:8], v25 offset:736
	s_wait_loadcnt_dscnt 0x1
	v_mul_f32_e32 v179, v1, v10
	v_mul_f32_e32 v181, v3, v12
	s_delay_alu instid0(VALU_DEP_2) | instskip(NEXT) | instid1(VALU_DEP_2)
	v_fmac_f32_e32 v179, v2, v9
	v_dual_mul_f32 v2, v2, v10 :: v_dual_fmac_f32 v181, v4, v11
	s_delay_alu instid0(VALU_DEP_1) | instskip(SKIP_1) | instid1(VALU_DEP_1)
	v_fma_f32 v180, v1, v9, -v2
	v_mul_f32_e32 v1, v4, v12
	;; [unrolled: 25-line block ×7, first 2 shown]
	v_fma_f32 v222, v3, v11, -v1
	s_clause 0x1
	scratch_load_b128 v[1:4], off, off offset:400
	scratch_load_b128 v[9:12], off, off offset:416
	s_wait_loadcnt_dscnt 0x100
	v_mul_f32_e32 v223, v5, v2
	v_dual_mul_f32 v2, v6, v2 :: v_dual_mul_f32 v225, v7, v4
	s_delay_alu instid0(VALU_DEP_2) | instskip(NEXT) | instid1(VALU_DEP_2)
	v_fmac_f32_e32 v223, v6, v1
	v_fma_f32 v224, v5, v1, -v2
	s_delay_alu instid0(VALU_DEP_3) | instskip(NEXT) | instid1(VALU_DEP_1)
	v_dual_add_f32 v2, 0, v32 :: v_dual_fmac_f32 v225, v8, v3
	v_add_f32_e32 v2, v2, v155
	s_delay_alu instid0(VALU_DEP_1) | instskip(NEXT) | instid1(VALU_DEP_1)
	v_add_f32_e32 v2, v2, v23
	v_add_f32_e32 v2, v2, v24
	s_delay_alu instid0(VALU_DEP_1) | instskip(NEXT) | instid1(VALU_DEP_1)
	v_add_f32_e32 v2, v2, v156
	;; [unrolled: 3-line block ×5, first 2 shown]
	v_add_f32_e32 v2, v2, v20
	s_delay_alu instid0(VALU_DEP_1) | instskip(NEXT) | instid1(VALU_DEP_1)
	v_dual_mul_f32 v1, v8, v4 :: v_dual_add_f32 v2, v2, v163
	v_fma_f32 v226, v7, v3, -v1
	s_delay_alu instid0(VALU_DEP_2) | instskip(NEXT) | instid1(VALU_DEP_1)
	v_dual_add_f32 v1, 0, v21 :: v_dual_add_f32 v2, v2, v164
	v_dual_add_f32 v1, v1, v22 :: v_dual_add_f32 v2, v2, v167
	s_delay_alu instid0(VALU_DEP_1) | instskip(NEXT) | instid1(VALU_DEP_1)
	v_dual_add_f32 v1, v1, v26 :: v_dual_add_f32 v2, v2, v169
	v_add_f32_e32 v1, v1, v27
	scratch_load_b64 v[26:27], off, off offset:480
	v_dual_add_f32 v2, v2, v171 :: v_dual_add_f32 v1, v1, v28
	s_delay_alu instid0(VALU_DEP_1) | instskip(NEXT) | instid1(VALU_DEP_1)
	v_add_f32_e32 v2, v2, v173
	v_dual_add_f32 v1, v1, v29 :: v_dual_add_f32 v2, v2, v175
	s_delay_alu instid0(VALU_DEP_1) | instskip(NEXT) | instid1(VALU_DEP_1)
	v_add_f32_e32 v1, v1, v13
	v_dual_add_f32 v2, v2, v177 :: v_dual_add_f32 v1, v1, v14
	s_delay_alu instid0(VALU_DEP_1) | instskip(NEXT) | instid1(VALU_DEP_1)
	v_dual_add_f32 v2, v2, v179 :: v_dual_add_f32 v1, v1, v16
	v_add_f32_e32 v2, v2, v181
	s_delay_alu instid0(VALU_DEP_2) | instskip(NEXT) | instid1(VALU_DEP_1)
	v_add_f32_e32 v1, v1, v17
	v_add_f32_e32 v1, v1, v160
	s_delay_alu instid0(VALU_DEP_1) | instskip(NEXT) | instid1(VALU_DEP_1)
	v_add_f32_e32 v1, v1, v161
	v_add_f32_e32 v1, v1, v165
	s_delay_alu instid0(VALU_DEP_1) | instskip(NEXT) | instid1(VALU_DEP_1)
	;; [unrolled: 3-line block ×9, first 2 shown]
	v_add_f32_e32 v1, v1, v194
	v_add_f32_e32 v1, v1, v196
	s_delay_alu instid0(VALU_DEP_1) | instskip(SKIP_1) | instid1(VALU_DEP_2)
	v_add_f32_e32 v6, v1, v198
	v_add_f32_e32 v2, v2, v183
	;; [unrolled: 1-line block ×3, first 2 shown]
	s_delay_alu instid0(VALU_DEP_2) | instskip(NEXT) | instid1(VALU_DEP_2)
	v_add_f32_e32 v2, v2, v185
	v_add_f32_e32 v13, v6, v202
	s_delay_alu instid0(VALU_DEP_1) | instskip(NEXT) | instid1(VALU_DEP_1)
	v_dual_add_f32 v2, v2, v187 :: v_dual_add_f32 v13, v13, v204
	v_dual_add_f32 v2, v2, v189 :: v_dual_add_f32 v13, v13, v206
	s_delay_alu instid0(VALU_DEP_1) | instskip(NEXT) | instid1(VALU_DEP_1)
	v_dual_add_f32 v2, v2, v191 :: v_dual_add_f32 v13, v13, v208
	v_add_f32_e32 v2, v2, v193
	s_delay_alu instid0(VALU_DEP_1) | instskip(SKIP_2) | instid1(VALU_DEP_1)
	v_dual_add_f32 v18, v13, v210 :: v_dual_add_f32 v5, v2, v195
	ds_load_b128 v[1:4], v25 offset:912
	v_dual_add_f32 v18, v18, v212 :: v_dual_add_f32 v5, v5, v197
	v_dual_add_f32 v18, v18, v214 :: v_dual_add_f32 v5, v5, v199
	s_delay_alu instid0(VALU_DEP_1) | instskip(NEXT) | instid1(VALU_DEP_2)
	v_add_f32_e32 v18, v18, v216
	v_add_f32_e32 v14, v5, v201
	ds_load_b128 v[5:8], v25 offset:928
	v_add_f32_e32 v18, v18, v218
	s_wait_loadcnt_dscnt 0x101
	v_mul_f32_e32 v32, v1, v10
	v_dual_mul_f32 v10, v2, v10 :: v_dual_mul_f32 v155, v3, v12
	v_mul_f32_e32 v12, v4, v12
	v_add_f32_e32 v28, v18, v220
	s_delay_alu instid0(VALU_DEP_4) | instskip(NEXT) | instid1(VALU_DEP_4)
	v_fmac_f32_e32 v32, v2, v9
	v_fma_f32 v156, v1, v9, -v10
	v_fmac_f32_e32 v155, v4, v11
	v_fma_f32 v158, v3, v11, -v12
	s_clause 0x1
	scratch_load_b128 v[1:4], off, off offset:432
	scratch_load_b128 v[9:12], off, off offset:448
	v_add_f32_e32 v159, v28, v222
	s_delay_alu instid0(VALU_DEP_1) | instskip(NEXT) | instid1(VALU_DEP_1)
	v_add_f32_e32 v159, v159, v224
	v_add_f32_e32 v159, v159, v226
	s_delay_alu instid0(VALU_DEP_1) | instskip(NEXT) | instid1(VALU_DEP_1)
	v_add_f32_e32 v156, v159, v156
	v_add_f32_e32 v156, v156, v158
	s_wait_loadcnt_dscnt 0x100
	v_mul_f32_e32 v162, v7, v4
	v_add_f32_e32 v14, v14, v203
	v_dual_mul_f32 v4, v8, v4 :: v_dual_mul_f32 v161, v5, v2
	v_mul_f32_e32 v2, v6, v2
	s_delay_alu instid0(VALU_DEP_4) | instskip(NEXT) | instid1(VALU_DEP_4)
	v_fmac_f32_e32 v162, v8, v3
	v_add_f32_e32 v14, v14, v205
	s_delay_alu instid0(VALU_DEP_4) | instskip(NEXT) | instid1(VALU_DEP_4)
	v_fmac_f32_e32 v161, v6, v1
	v_fma_f32 v2, v5, v1, -v2
	v_fma_f32 v1, v7, v3, -v4
	s_delay_alu instid0(VALU_DEP_4) | instskip(SKIP_2) | instid1(VALU_DEP_1)
	v_add_f32_e32 v17, v14, v207
	scratch_load_b128 v[13:16], off, off offset:464
	v_dual_add_f32 v2, v156, v2 :: v_dual_add_f32 v17, v17, v209
	v_add_f32_e32 v1, v2, v1
	s_delay_alu instid0(VALU_DEP_2) | instskip(NEXT) | instid1(VALU_DEP_1)
	v_add_f32_e32 v17, v17, v211
	v_add_f32_e32 v17, v17, v213
	s_delay_alu instid0(VALU_DEP_1) | instskip(NEXT) | instid1(VALU_DEP_1)
	v_add_f32_e32 v17, v17, v215
	v_add_f32_e32 v21, v17, v217
	ds_load_b128 v[17:20], v25 offset:944
	v_add_f32_e32 v29, v21, v219
	ds_load_b128 v[21:24], v25 offset:960
	v_add_f32_e32 v160, v29, v221
	ds_load_b64 v[28:29], v25 offset:976
	v_add_f32_e32 v160, v160, v223
	s_wait_loadcnt_dscnt 0x102
	s_delay_alu instid0(VALU_DEP_1) | instskip(SKIP_2) | instid1(VALU_DEP_3)
	v_dual_add_f32 v160, v160, v225 :: v_dual_mul_f32 v159, v17, v10
	v_mul_f32_e32 v3, v18, v10
	v_mul_f32_e32 v5, v20, v12
	v_add_f32_e32 v32, v160, v32
	s_delay_alu instid0(VALU_DEP_4) | instskip(NEXT) | instid1(VALU_DEP_4)
	v_dual_mul_f32 v160, v19, v12 :: v_dual_fmac_f32 v159, v18, v9
	v_fma_f32 v3, v17, v9, -v3
	s_delay_alu instid0(VALU_DEP_4) | instskip(NEXT) | instid1(VALU_DEP_4)
	v_fma_f32 v5, v19, v11, -v5
	v_add_f32_e32 v32, v32, v155
	s_delay_alu instid0(VALU_DEP_4) | instskip(SKIP_2) | instid1(VALU_DEP_3)
	v_fmac_f32_e32 v160, v20, v11
	s_wait_dscnt 0x0
	v_mul_f32_e32 v155, v28, v27
	v_dual_add_f32 v1, v1, v3 :: v_dual_add_f32 v4, v32, v161
	s_delay_alu instid0(VALU_DEP_2) | instskip(NEXT) | instid1(VALU_DEP_2)
	v_fmac_f32_e32 v155, v29, v26
	v_add_f32_e32 v1, v1, v5
	s_delay_alu instid0(VALU_DEP_3) | instskip(NEXT) | instid1(VALU_DEP_1)
	v_dual_mul_f32 v5, v29, v27 :: v_dual_add_f32 v2, v4, v162
	v_add_f32_e32 v2, v2, v159
	s_wait_loadcnt 0x0
	s_delay_alu instid0(VALU_DEP_1) | instskip(SKIP_3) | instid1(VALU_DEP_4)
	v_dual_add_f32 v2, v2, v160 :: v_dual_mul_f32 v163, v21, v14
	v_mul_f32_e32 v4, v22, v14
	v_mul_f32_e32 v158, v23, v16
	;; [unrolled: 1-line block ×3, first 2 shown]
	v_fmac_f32_e32 v163, v22, v13
	s_delay_alu instid0(VALU_DEP_4) | instskip(NEXT) | instid1(VALU_DEP_4)
	v_fma_f32 v4, v21, v13, -v4
	v_fmac_f32_e32 v158, v24, v15
	s_delay_alu instid0(VALU_DEP_4) | instskip(NEXT) | instid1(VALU_DEP_3)
	v_fma_f32 v3, v23, v15, -v3
	v_dual_add_f32 v2, v2, v163 :: v_dual_add_f32 v1, v1, v4
	v_fma_f32 v4, v28, v26, -v5
	s_delay_alu instid0(VALU_DEP_2) | instskip(NEXT) | instid1(VALU_DEP_1)
	v_dual_add_f32 v2, v2, v158 :: v_dual_add_f32 v1, v1, v3
	v_dual_add_f32 v2, v2, v155 :: v_dual_add_f32 v1, v1, v4
	s_delay_alu instid0(VALU_DEP_1)
	v_dual_sub_f32 v2, v31, v2 :: v_dual_sub_f32 v1, v30, v1
	scratch_store_b64 off, v[1:2], off offset:56
	v_cmpx_lt_u32_e32 6, v0
	s_cbranch_execz .LBB60_367
; %bb.366:
	scratch_load_b64 v[1:2], off, off offset:48
	v_mov_b32_e32 v26, v25
	scratch_store_b64 off, v[25:26], off offset:48
	s_wait_loadcnt 0x0
	ds_store_b64 v157, v[1:2]
.LBB60_367:
	s_wait_alu 0xfffe
	s_or_b32 exec_lo, exec_lo, s0
	s_wait_storecnt_dscnt 0x0
	s_barrier_signal -1
	s_barrier_wait -1
	global_inv scope:SCOPE_SE
	s_clause 0x4
	scratch_load_b128 v[5:8], off, off offset:56
	scratch_load_b128 v[1:4], off, off offset:72
	;; [unrolled: 1-line block ×5, first 2 shown]
	ds_load_2addr_b64 v[21:24], v25 offset0:69 offset1:70
	ds_load_2addr_b64 v[26:29], v25 offset0:71 offset1:72
	;; [unrolled: 1-line block ×3, first 2 shown]
	scratch_load_b64 v[30:31], off, off offset:48
	s_mov_b32 s0, exec_lo
	s_wait_loadcnt_dscnt 0x502
	v_dual_mul_f32 v32, v21, v6 :: v_dual_mul_f32 v155, v23, v8
	v_mul_f32_e32 v6, v22, v6
	v_mul_f32_e32 v8, v24, v8
	s_wait_loadcnt_dscnt 0x300
	v_mul_f32_e32 v156, v158, v10
	v_dual_fmac_f32 v32, v22, v5 :: v_dual_fmac_f32 v155, v24, v7
	v_fma_f32 v21, v21, v5, -v6
	v_fma_f32 v22, v23, v7, -v8
	ds_load_2addr_b64 v[5:8], v25 offset0:75 offset1:76
	v_dual_mul_f32 v23, v26, v2 :: v_dual_mul_f32 v24, v28, v4
	v_mul_f32_e32 v4, v29, v4
	v_mul_f32_e32 v162, v160, v12
	;; [unrolled: 1-line block ×5, first 2 shown]
	v_dual_fmac_f32 v23, v27, v1 :: v_dual_fmac_f32 v24, v29, v3
	v_fma_f32 v27, v28, v3, -v4
	v_fmac_f32_e32 v156, v159, v9
	v_fmac_f32_e32 v162, v161, v11
	v_fma_f32 v28, v158, v9, -v10
	v_fma_f32 v29, v160, v11, -v12
	ds_load_2addr_b64 v[9:12], v25 offset0:77 offset1:78
	s_wait_loadcnt_dscnt 0x201
	v_dual_mul_f32 v159, v7, v16 :: v_dual_mul_f32 v158, v5, v14
	v_mul_f32_e32 v14, v6, v14
	v_mul_f32_e32 v16, v8, v16
	s_delay_alu instid0(VALU_DEP_3)
	v_fmac_f32_e32 v159, v8, v15
	v_fma_f32 v26, v26, v1, -v2
	scratch_load_b128 v[1:4], off, off offset:136
	v_fmac_f32_e32 v158, v6, v13
	v_fma_f32 v13, v5, v13, -v14
	v_fma_f32 v14, v7, v15, -v16
	ds_load_2addr_b64 v[5:8], v25 offset0:79 offset1:80
	s_wait_loadcnt_dscnt 0x201
	v_mul_f32_e32 v15, v9, v18
	v_mul_f32_e32 v16, v10, v18
	;; [unrolled: 1-line block ×3, first 2 shown]
	s_delay_alu instid0(VALU_DEP_3) | instskip(NEXT) | instid1(VALU_DEP_3)
	v_dual_mul_f32 v20, v12, v20 :: v_dual_fmac_f32 v15, v10, v17
	v_fma_f32 v16, v9, v17, -v16
	s_delay_alu instid0(VALU_DEP_3) | instskip(NEXT) | instid1(VALU_DEP_3)
	v_fmac_f32_e32 v18, v12, v19
	v_fma_f32 v17, v11, v19, -v20
	scratch_load_b128 v[9:12], off, off offset:152
	s_wait_loadcnt_dscnt 0x100
	v_mul_f32_e32 v19, v5, v2
	v_mul_f32_e32 v2, v6, v2
	;; [unrolled: 1-line block ×3, first 2 shown]
	s_delay_alu instid0(VALU_DEP_3) | instskip(NEXT) | instid1(VALU_DEP_3)
	v_dual_mul_f32 v4, v8, v4 :: v_dual_fmac_f32 v19, v6, v1
	v_fma_f32 v160, v5, v1, -v2
	s_delay_alu instid0(VALU_DEP_3) | instskip(NEXT) | instid1(VALU_DEP_3)
	v_fmac_f32_e32 v20, v8, v3
	v_fma_f32 v161, v7, v3, -v4
	ds_load_2addr_b64 v[1:4], v25 offset0:81 offset1:82
	ds_load_2addr_b64 v[5:8], v25 offset0:83 offset1:84
	s_wait_loadcnt_dscnt 0x1
	v_mul_f32_e32 v163, v1, v10
	v_mul_f32_e32 v10, v2, v10
	s_delay_alu instid0(VALU_DEP_2) | instskip(NEXT) | instid1(VALU_DEP_2)
	v_dual_mul_f32 v164, v3, v12 :: v_dual_fmac_f32 v163, v2, v9
	v_fma_f32 v165, v1, v9, -v10
	v_mul_f32_e32 v1, v4, v12
	s_delay_alu instid0(VALU_DEP_3) | instskip(NEXT) | instid1(VALU_DEP_2)
	v_fmac_f32_e32 v164, v4, v11
	v_fma_f32 v166, v3, v11, -v1
	s_clause 0x1
	scratch_load_b128 v[1:4], off, off offset:168
	scratch_load_b128 v[9:12], off, off offset:184
	s_wait_loadcnt_dscnt 0x100
	v_mul_f32_e32 v167, v5, v2
	v_dual_mul_f32 v2, v6, v2 :: v_dual_mul_f32 v169, v7, v4
	s_delay_alu instid0(VALU_DEP_2) | instskip(NEXT) | instid1(VALU_DEP_2)
	v_fmac_f32_e32 v167, v6, v1
	v_fma_f32 v168, v5, v1, -v2
	v_mul_f32_e32 v1, v8, v4
	s_delay_alu instid0(VALU_DEP_4) | instskip(NEXT) | instid1(VALU_DEP_2)
	v_fmac_f32_e32 v169, v8, v3
	v_fma_f32 v170, v7, v3, -v1
	ds_load_2addr_b64 v[1:4], v25 offset0:85 offset1:86
	ds_load_2addr_b64 v[5:8], v25 offset0:87 offset1:88
	s_wait_loadcnt_dscnt 0x1
	v_mul_f32_e32 v171, v1, v10
	v_mul_f32_e32 v173, v3, v12
	s_delay_alu instid0(VALU_DEP_2) | instskip(NEXT) | instid1(VALU_DEP_2)
	v_fmac_f32_e32 v171, v2, v9
	v_dual_mul_f32 v2, v2, v10 :: v_dual_fmac_f32 v173, v4, v11
	s_delay_alu instid0(VALU_DEP_1) | instskip(SKIP_1) | instid1(VALU_DEP_1)
	v_fma_f32 v172, v1, v9, -v2
	v_mul_f32_e32 v1, v4, v12
	v_fma_f32 v174, v3, v11, -v1
	s_clause 0x1
	scratch_load_b128 v[1:4], off, off offset:200
	scratch_load_b128 v[9:12], off, off offset:216
	s_wait_loadcnt_dscnt 0x100
	v_mul_f32_e32 v175, v5, v2
	v_dual_mul_f32 v2, v6, v2 :: v_dual_mul_f32 v177, v7, v4
	s_delay_alu instid0(VALU_DEP_2) | instskip(NEXT) | instid1(VALU_DEP_2)
	v_fmac_f32_e32 v175, v6, v1
	v_fma_f32 v176, v5, v1, -v2
	v_mul_f32_e32 v1, v8, v4
	s_delay_alu instid0(VALU_DEP_4) | instskip(NEXT) | instid1(VALU_DEP_2)
	v_fmac_f32_e32 v177, v8, v3
	v_fma_f32 v178, v7, v3, -v1
	ds_load_2addr_b64 v[1:4], v25 offset0:89 offset1:90
	ds_load_2addr_b64 v[5:8], v25 offset0:91 offset1:92
	s_wait_loadcnt_dscnt 0x1
	v_mul_f32_e32 v179, v1, v10
	v_mul_f32_e32 v181, v3, v12
	s_delay_alu instid0(VALU_DEP_2) | instskip(NEXT) | instid1(VALU_DEP_2)
	v_fmac_f32_e32 v179, v2, v9
	v_dual_mul_f32 v2, v2, v10 :: v_dual_fmac_f32 v181, v4, v11
	s_delay_alu instid0(VALU_DEP_1) | instskip(SKIP_1) | instid1(VALU_DEP_1)
	v_fma_f32 v180, v1, v9, -v2
	v_mul_f32_e32 v1, v4, v12
	v_fma_f32 v182, v3, v11, -v1
	s_clause 0x1
	scratch_load_b128 v[1:4], off, off offset:232
	scratch_load_b128 v[9:12], off, off offset:248
	s_wait_loadcnt_dscnt 0x100
	v_mul_f32_e32 v183, v5, v2
	v_dual_mul_f32 v2, v6, v2 :: v_dual_mul_f32 v185, v7, v4
	s_delay_alu instid0(VALU_DEP_2) | instskip(NEXT) | instid1(VALU_DEP_2)
	v_fmac_f32_e32 v183, v6, v1
	v_fma_f32 v184, v5, v1, -v2
	v_mul_f32_e32 v1, v8, v4
	s_delay_alu instid0(VALU_DEP_4) | instskip(NEXT) | instid1(VALU_DEP_2)
	v_fmac_f32_e32 v185, v8, v3
	v_fma_f32 v186, v7, v3, -v1
	ds_load_2addr_b64 v[1:4], v25 offset0:93 offset1:94
	ds_load_2addr_b64 v[5:8], v25 offset0:95 offset1:96
	s_wait_loadcnt_dscnt 0x1
	v_mul_f32_e32 v187, v1, v10
	v_mul_f32_e32 v189, v3, v12
	s_delay_alu instid0(VALU_DEP_2) | instskip(NEXT) | instid1(VALU_DEP_2)
	v_fmac_f32_e32 v187, v2, v9
	v_dual_mul_f32 v2, v2, v10 :: v_dual_fmac_f32 v189, v4, v11
	s_delay_alu instid0(VALU_DEP_1) | instskip(SKIP_1) | instid1(VALU_DEP_1)
	v_fma_f32 v188, v1, v9, -v2
	v_mul_f32_e32 v1, v4, v12
	v_fma_f32 v190, v3, v11, -v1
	s_clause 0x1
	scratch_load_b128 v[1:4], off, off offset:264
	scratch_load_b128 v[9:12], off, off offset:280
	s_wait_loadcnt_dscnt 0x100
	v_mul_f32_e32 v191, v5, v2
	v_dual_mul_f32 v2, v6, v2 :: v_dual_mul_f32 v193, v7, v4
	s_delay_alu instid0(VALU_DEP_2) | instskip(NEXT) | instid1(VALU_DEP_2)
	v_fmac_f32_e32 v191, v6, v1
	v_fma_f32 v192, v5, v1, -v2
	v_mul_f32_e32 v1, v8, v4
	s_delay_alu instid0(VALU_DEP_4) | instskip(NEXT) | instid1(VALU_DEP_2)
	v_fmac_f32_e32 v193, v8, v3
	v_fma_f32 v194, v7, v3, -v1
	ds_load_2addr_b64 v[1:4], v25 offset0:97 offset1:98
	ds_load_2addr_b64 v[5:8], v25 offset0:99 offset1:100
	s_wait_loadcnt_dscnt 0x1
	v_mul_f32_e32 v195, v1, v10
	v_mul_f32_e32 v197, v3, v12
	s_delay_alu instid0(VALU_DEP_2) | instskip(NEXT) | instid1(VALU_DEP_2)
	v_fmac_f32_e32 v195, v2, v9
	v_dual_mul_f32 v2, v2, v10 :: v_dual_fmac_f32 v197, v4, v11
	s_delay_alu instid0(VALU_DEP_1) | instskip(SKIP_1) | instid1(VALU_DEP_1)
	v_fma_f32 v196, v1, v9, -v2
	v_mul_f32_e32 v1, v4, v12
	v_fma_f32 v198, v3, v11, -v1
	s_clause 0x1
	scratch_load_b128 v[1:4], off, off offset:296
	scratch_load_b128 v[9:12], off, off offset:312
	s_wait_loadcnt_dscnt 0x100
	v_mul_f32_e32 v199, v5, v2
	v_dual_mul_f32 v2, v6, v2 :: v_dual_mul_f32 v201, v7, v4
	s_delay_alu instid0(VALU_DEP_2) | instskip(NEXT) | instid1(VALU_DEP_2)
	v_fmac_f32_e32 v199, v6, v1
	v_fma_f32 v200, v5, v1, -v2
	v_mul_f32_e32 v1, v8, v4
	s_delay_alu instid0(VALU_DEP_4) | instskip(NEXT) | instid1(VALU_DEP_2)
	v_fmac_f32_e32 v201, v8, v3
	v_fma_f32 v202, v7, v3, -v1
	ds_load_2addr_b64 v[1:4], v25 offset0:101 offset1:102
	ds_load_2addr_b64 v[5:8], v25 offset0:103 offset1:104
	s_wait_loadcnt_dscnt 0x1
	v_mul_f32_e32 v203, v1, v10
	v_mul_f32_e32 v205, v3, v12
	s_delay_alu instid0(VALU_DEP_2) | instskip(NEXT) | instid1(VALU_DEP_2)
	v_fmac_f32_e32 v203, v2, v9
	v_dual_mul_f32 v2, v2, v10 :: v_dual_fmac_f32 v205, v4, v11
	s_delay_alu instid0(VALU_DEP_1) | instskip(SKIP_1) | instid1(VALU_DEP_1)
	v_fma_f32 v204, v1, v9, -v2
	v_mul_f32_e32 v1, v4, v12
	v_fma_f32 v206, v3, v11, -v1
	s_clause 0x1
	scratch_load_b128 v[1:4], off, off offset:328
	scratch_load_b128 v[9:12], off, off offset:344
	s_wait_loadcnt_dscnt 0x100
	v_mul_f32_e32 v207, v5, v2
	v_dual_mul_f32 v2, v6, v2 :: v_dual_mul_f32 v209, v7, v4
	s_delay_alu instid0(VALU_DEP_2) | instskip(NEXT) | instid1(VALU_DEP_2)
	v_fmac_f32_e32 v207, v6, v1
	v_fma_f32 v208, v5, v1, -v2
	v_mul_f32_e32 v1, v8, v4
	s_delay_alu instid0(VALU_DEP_4) | instskip(NEXT) | instid1(VALU_DEP_2)
	v_fmac_f32_e32 v209, v8, v3
	v_fma_f32 v210, v7, v3, -v1
	ds_load_2addr_b64 v[1:4], v25 offset0:105 offset1:106
	ds_load_2addr_b64 v[5:8], v25 offset0:107 offset1:108
	s_wait_loadcnt_dscnt 0x1
	v_mul_f32_e32 v211, v1, v10
	v_mul_f32_e32 v213, v3, v12
	s_delay_alu instid0(VALU_DEP_2) | instskip(NEXT) | instid1(VALU_DEP_2)
	v_fmac_f32_e32 v211, v2, v9
	v_dual_mul_f32 v2, v2, v10 :: v_dual_fmac_f32 v213, v4, v11
	s_delay_alu instid0(VALU_DEP_1) | instskip(SKIP_1) | instid1(VALU_DEP_1)
	v_fma_f32 v212, v1, v9, -v2
	v_mul_f32_e32 v1, v4, v12
	v_fma_f32 v214, v3, v11, -v1
	s_clause 0x1
	scratch_load_b128 v[1:4], off, off offset:360
	scratch_load_b128 v[9:12], off, off offset:376
	s_wait_loadcnt_dscnt 0x100
	v_mul_f32_e32 v215, v5, v2
	v_dual_mul_f32 v2, v6, v2 :: v_dual_mul_f32 v217, v7, v4
	s_delay_alu instid0(VALU_DEP_2) | instskip(NEXT) | instid1(VALU_DEP_2)
	v_fmac_f32_e32 v215, v6, v1
	v_fma_f32 v216, v5, v1, -v2
	v_mul_f32_e32 v1, v8, v4
	s_delay_alu instid0(VALU_DEP_4) | instskip(NEXT) | instid1(VALU_DEP_2)
	v_fmac_f32_e32 v217, v8, v3
	v_fma_f32 v218, v7, v3, -v1
	ds_load_2addr_b64 v[1:4], v25 offset0:109 offset1:110
	ds_load_2addr_b64 v[5:8], v25 offset0:111 offset1:112
	s_wait_loadcnt_dscnt 0x1
	v_mul_f32_e32 v219, v1, v10
	v_mul_f32_e32 v221, v3, v12
	s_delay_alu instid0(VALU_DEP_2) | instskip(NEXT) | instid1(VALU_DEP_2)
	v_fmac_f32_e32 v219, v2, v9
	v_dual_mul_f32 v2, v2, v10 :: v_dual_fmac_f32 v221, v4, v11
	s_delay_alu instid0(VALU_DEP_1) | instskip(SKIP_1) | instid1(VALU_DEP_1)
	v_fma_f32 v220, v1, v9, -v2
	v_mul_f32_e32 v1, v4, v12
	v_fma_f32 v222, v3, v11, -v1
	s_clause 0x1
	scratch_load_b128 v[1:4], off, off offset:392
	scratch_load_b128 v[9:12], off, off offset:408
	s_wait_loadcnt_dscnt 0x100
	v_mul_f32_e32 v223, v5, v2
	v_mul_f32_e32 v2, v6, v2
	s_delay_alu instid0(VALU_DEP_2) | instskip(NEXT) | instid1(VALU_DEP_2)
	v_fmac_f32_e32 v223, v6, v1
	v_fma_f32 v224, v5, v1, -v2
	v_add_f32_e32 v2, 0, v32
	s_delay_alu instid0(VALU_DEP_1) | instskip(NEXT) | instid1(VALU_DEP_1)
	v_dual_mul_f32 v1, v8, v4 :: v_dual_add_f32 v2, v2, v155
	v_fma_f32 v226, v7, v3, -v1
	s_delay_alu instid0(VALU_DEP_2) | instskip(NEXT) | instid1(VALU_DEP_1)
	v_dual_add_f32 v1, 0, v21 :: v_dual_add_f32 v2, v2, v23
	v_dual_add_f32 v1, v1, v22 :: v_dual_add_f32 v2, v2, v24
	s_delay_alu instid0(VALU_DEP_1) | instskip(NEXT) | instid1(VALU_DEP_1)
	v_add_f32_e32 v2, v2, v156
	v_add_f32_e32 v2, v2, v162
	s_delay_alu instid0(VALU_DEP_1) | instskip(NEXT) | instid1(VALU_DEP_1)
	v_add_f32_e32 v2, v2, v158
	v_add_f32_e32 v2, v2, v159
	;; [unrolled: 3-line block ×5, first 2 shown]
	s_delay_alu instid0(VALU_DEP_1) | instskip(NEXT) | instid1(VALU_DEP_1)
	v_add_f32_e32 v2, v2, v167
	v_dual_add_f32 v2, v2, v169 :: v_dual_add_f32 v1, v1, v26
	s_delay_alu instid0(VALU_DEP_1) | instskip(NEXT) | instid1(VALU_DEP_1)
	v_add_f32_e32 v2, v2, v171
	v_dual_add_f32 v1, v1, v27 :: v_dual_add_f32 v2, v2, v173
	s_delay_alu instid0(VALU_DEP_1) | instskip(NEXT) | instid1(VALU_DEP_1)
	v_dual_add_f32 v1, v1, v28 :: v_dual_add_f32 v2, v2, v175
	v_add_f32_e32 v1, v1, v29
	s_delay_alu instid0(VALU_DEP_2) | instskip(NEXT) | instid1(VALU_DEP_1)
	v_add_f32_e32 v2, v2, v177
	v_dual_add_f32 v1, v1, v13 :: v_dual_add_f32 v2, v2, v179
	s_delay_alu instid0(VALU_DEP_1) | instskip(NEXT) | instid1(VALU_DEP_1)
	v_dual_add_f32 v1, v1, v14 :: v_dual_add_f32 v2, v2, v181
	v_add_f32_e32 v1, v1, v16
	s_delay_alu instid0(VALU_DEP_1) | instskip(NEXT) | instid1(VALU_DEP_1)
	v_add_f32_e32 v1, v1, v17
	v_add_f32_e32 v1, v1, v160
	s_delay_alu instid0(VALU_DEP_1) | instskip(NEXT) | instid1(VALU_DEP_1)
	v_add_f32_e32 v1, v1, v161
	;; [unrolled: 3-line block ×11, first 2 shown]
	v_add_f32_e32 v6, v1, v200
	v_dual_mul_f32 v225, v7, v4 :: v_dual_add_f32 v2, v2, v183
	s_delay_alu instid0(VALU_DEP_2) | instskip(NEXT) | instid1(VALU_DEP_2)
	v_add_f32_e32 v14, v6, v202
	v_add_f32_e32 v2, v2, v185
	s_delay_alu instid0(VALU_DEP_2) | instskip(NEXT) | instid1(VALU_DEP_2)
	v_add_f32_e32 v14, v14, v204
	v_add_f32_e32 v2, v2, v187
	s_delay_alu instid0(VALU_DEP_2) | instskip(NEXT) | instid1(VALU_DEP_1)
	v_add_f32_e32 v17, v14, v206
	v_dual_add_f32 v2, v2, v189 :: v_dual_add_f32 v17, v17, v208
	s_delay_alu instid0(VALU_DEP_1) | instskip(NEXT) | instid1(VALU_DEP_1)
	v_dual_add_f32 v2, v2, v191 :: v_dual_add_f32 v17, v17, v210
	v_dual_add_f32 v2, v2, v193 :: v_dual_add_f32 v17, v17, v212
	s_delay_alu instid0(VALU_DEP_1) | instskip(NEXT) | instid1(VALU_DEP_2)
	v_add_f32_e32 v22, v17, v214
	v_add_f32_e32 v2, v2, v195
	s_delay_alu instid0(VALU_DEP_2) | instskip(NEXT) | instid1(VALU_DEP_2)
	v_add_f32_e32 v22, v22, v216
	v_add_f32_e32 v5, v2, v197
	s_delay_alu instid0(VALU_DEP_1) | instskip(NEXT) | instid1(VALU_DEP_1)
	v_dual_add_f32 v22, v22, v218 :: v_dual_add_f32 v13, v5, v199
	v_add_f32_e32 v13, v13, v201
	s_delay_alu instid0(VALU_DEP_1)
	v_add_f32_e32 v13, v13, v203
	v_fmac_f32_e32 v225, v8, v3
	ds_load_2addr_b64 v[1:4], v25 offset0:113 offset1:114
	scratch_load_b128 v[5:8], off, off offset:424
	v_add_f32_e32 v18, v13, v205
	ds_load_2addr_b64 v[13:16], v25 offset0:115 offset1:116
	v_add_f32_e32 v18, v18, v207
	s_delay_alu instid0(VALU_DEP_1) | instskip(NEXT) | instid1(VALU_DEP_1)
	v_add_f32_e32 v18, v18, v209
	v_add_f32_e32 v21, v18, v211
	scratch_load_b128 v[17:20], off, off offset:472
	s_wait_loadcnt_dscnt 0x201
	v_mul_f32_e32 v26, v1, v10
	v_dual_mul_f32 v10, v2, v10 :: v_dual_mul_f32 v27, v3, v12
	v_dual_mul_f32 v12, v4, v12 :: v_dual_add_f32 v21, v21, v213
	s_delay_alu instid0(VALU_DEP_3) | instskip(NEXT) | instid1(VALU_DEP_3)
	v_fmac_f32_e32 v26, v2, v9
	v_fma_f32 v28, v1, v9, -v10
	s_delay_alu instid0(VALU_DEP_4) | instskip(NEXT) | instid1(VALU_DEP_4)
	v_fmac_f32_e32 v27, v4, v11
	v_fma_f32 v29, v3, v11, -v12
	s_clause 0x1
	scratch_load_b128 v[1:4], off, off offset:440
	scratch_load_b128 v[9:12], off, off offset:456
	v_add_f32_e32 v21, v21, v215
	s_wait_loadcnt_dscnt 0x300
	v_mul_f32_e32 v32, v13, v6
	v_dual_mul_f32 v6, v14, v6 :: v_dual_mul_f32 v155, v15, v8
	v_mul_f32_e32 v8, v16, v8
	s_delay_alu instid0(VALU_DEP_3) | instskip(NEXT) | instid1(VALU_DEP_3)
	v_fmac_f32_e32 v32, v14, v5
	v_fma_f32 v156, v13, v5, -v6
	v_add_f32_e32 v13, v21, v217
	v_fmac_f32_e32 v155, v16, v7
	v_fma_f32 v158, v15, v7, -v8
	ds_load_2addr_b64 v[5:8], v25 offset0:117 offset1:118
	v_dual_add_f32 v21, v22, v220 :: v_dual_add_f32 v22, v13, v219
	ds_load_2addr_b64 v[13:16], v25 offset0:119 offset1:120
	v_dual_add_f32 v159, v21, v222 :: v_dual_add_f32 v160, v22, v221
	ds_load_2addr_b64 v[21:24], v25 offset0:121 offset1:122
	v_add_f32_e32 v25, v159, v224
	s_delay_alu instid0(VALU_DEP_1) | instskip(NEXT) | instid1(VALU_DEP_1)
	v_add_f32_e32 v25, v25, v226
	v_add_f32_e32 v25, v25, v28
	s_wait_loadcnt_dscnt 0x102
	v_mul_f32_e32 v28, v7, v4
	v_mul_f32_e32 v4, v8, v4
	v_dual_add_f32 v159, v160, v223 :: v_dual_mul_f32 v160, v5, v2
	v_dual_add_f32 v25, v25, v29 :: v_dual_mul_f32 v2, v6, v2
	s_delay_alu instid0(VALU_DEP_2) | instskip(NEXT) | instid1(VALU_DEP_2)
	v_dual_fmac_f32 v28, v8, v3 :: v_dual_add_f32 v159, v159, v225
	v_dual_fmac_f32 v160, v6, v1 :: v_dual_add_f32 v25, v25, v156
	s_delay_alu instid0(VALU_DEP_3)
	v_fma_f32 v2, v5, v1, -v2
	s_wait_loadcnt_dscnt 0x1
	v_mul_f32_e32 v6, v14, v10
	v_add_f32_e32 v26, v159, v26
	v_mul_f32_e32 v159, v13, v10
	v_add_f32_e32 v1, v25, v158
	v_fma_f32 v3, v7, v3, -v4
	s_delay_alu instid0(VALU_DEP_4) | instskip(NEXT) | instid1(VALU_DEP_3)
	v_dual_mul_f32 v161, v15, v12 :: v_dual_add_f32 v26, v26, v27
	v_dual_mul_f32 v4, v16, v12 :: v_dual_add_f32 v1, v1, v2
	v_fmac_f32_e32 v159, v14, v9
	s_wait_dscnt 0x0
	s_delay_alu instid0(VALU_DEP_3)
	v_dual_mul_f32 v27, v21, v18 :: v_dual_add_f32 v26, v26, v32
	v_fmac_f32_e32 v161, v16, v11
	v_add_f32_e32 v1, v1, v3
	v_mul_f32_e32 v3, v22, v18
	v_fma_f32 v4, v15, v11, -v4
	v_add_f32_e32 v5, v26, v155
	v_mul_f32_e32 v29, v23, v20
	v_fmac_f32_e32 v27, v22, v17
	v_fma_f32 v3, v21, v17, -v3
	s_delay_alu instid0(VALU_DEP_4) | instskip(SKIP_1) | instid1(VALU_DEP_2)
	v_add_f32_e32 v2, v5, v160
	v_fma_f32 v5, v13, v9, -v6
	v_dual_fmac_f32 v29, v24, v19 :: v_dual_add_f32 v2, v2, v28
	s_delay_alu instid0(VALU_DEP_2) | instskip(NEXT) | instid1(VALU_DEP_2)
	v_add_f32_e32 v1, v1, v5
	v_dual_mul_f32 v5, v24, v20 :: v_dual_add_f32 v2, v2, v159
	s_delay_alu instid0(VALU_DEP_2) | instskip(NEXT) | instid1(VALU_DEP_2)
	v_add_f32_e32 v1, v1, v4
	v_fma_f32 v4, v23, v19, -v5
	s_delay_alu instid0(VALU_DEP_2) | instskip(NEXT) | instid1(VALU_DEP_1)
	v_dual_add_f32 v2, v2, v161 :: v_dual_add_f32 v1, v1, v3
	v_dual_add_f32 v2, v2, v27 :: v_dual_add_f32 v1, v1, v4
	s_delay_alu instid0(VALU_DEP_1) | instskip(NEXT) | instid1(VALU_DEP_1)
	v_add_f32_e32 v2, v2, v29
	v_dual_sub_f32 v1, v30, v1 :: v_dual_sub_f32 v2, v31, v2
	scratch_store_b64 off, v[1:2], off offset:48
	v_cmpx_lt_u32_e32 5, v0
	s_cbranch_execz .LBB60_369
; %bb.368:
	scratch_load_b64 v[1:2], off, off offset:40
	v_mov_b32_e32 v3, 0
	s_delay_alu instid0(VALU_DEP_1)
	v_mov_b32_e32 v4, v3
	scratch_store_b64 off, v[3:4], off offset:40
	s_wait_loadcnt 0x0
	ds_store_b64 v157, v[1:2]
.LBB60_369:
	s_wait_alu 0xfffe
	s_or_b32 exec_lo, exec_lo, s0
	s_wait_storecnt_dscnt 0x0
	s_barrier_signal -1
	s_barrier_wait -1
	global_inv scope:SCOPE_SE
	s_clause 0x4
	scratch_load_b128 v[5:8], off, off offset:48
	scratch_load_b128 v[1:4], off, off offset:64
	;; [unrolled: 1-line block ×5, first 2 shown]
	v_mov_b32_e32 v29, 0
	ds_load_b128 v[21:24], v29 offset:544
	ds_load_b128 v[25:28], v29 offset:560
	;; [unrolled: 1-line block ×3, first 2 shown]
	scratch_load_b64 v[30:31], off, off offset:40
	s_mov_b32 s0, exec_lo
	s_wait_loadcnt_dscnt 0x502
	v_dual_mul_f32 v32, v21, v6 :: v_dual_mul_f32 v155, v23, v8
	v_mul_f32_e32 v6, v22, v6
	v_mul_f32_e32 v8, v24, v8
	s_wait_loadcnt_dscnt 0x300
	v_mul_f32_e32 v162, v160, v12
	v_dual_fmac_f32 v32, v22, v5 :: v_dual_fmac_f32 v155, v24, v7
	v_fma_f32 v21, v21, v5, -v6
	v_fma_f32 v22, v23, v7, -v8
	ds_load_b128 v[5:8], v29 offset:592
	v_dual_mul_f32 v23, v25, v2 :: v_dual_mul_f32 v24, v27, v4
	v_mul_f32_e32 v4, v28, v4
	v_mul_f32_e32 v156, v158, v10
	;; [unrolled: 1-line block ×5, first 2 shown]
	v_dual_fmac_f32 v23, v26, v1 :: v_dual_fmac_f32 v24, v28, v3
	v_fma_f32 v26, v27, v3, -v4
	v_fmac_f32_e32 v156, v159, v9
	v_fmac_f32_e32 v162, v161, v11
	v_fma_f32 v27, v158, v9, -v10
	v_fma_f32 v28, v160, v11, -v12
	ds_load_b128 v[9:12], v29 offset:608
	s_wait_loadcnt_dscnt 0x201
	v_mul_f32_e32 v159, v7, v16
	v_fma_f32 v25, v25, v1, -v2
	scratch_load_b128 v[1:4], off, off offset:128
	v_mul_f32_e32 v158, v5, v14
	v_mul_f32_e32 v14, v6, v14
	v_mul_f32_e32 v16, v8, v16
	s_delay_alu instid0(VALU_DEP_3) | instskip(NEXT) | instid1(VALU_DEP_3)
	v_dual_fmac_f32 v159, v8, v15 :: v_dual_fmac_f32 v158, v6, v13
	v_fma_f32 v13, v5, v13, -v14
	s_delay_alu instid0(VALU_DEP_3)
	v_fma_f32 v14, v7, v15, -v16
	ds_load_b128 v[5:8], v29 offset:624
	s_wait_loadcnt_dscnt 0x201
	v_mul_f32_e32 v15, v9, v18
	v_mul_f32_e32 v16, v10, v18
	;; [unrolled: 1-line block ×3, first 2 shown]
	s_delay_alu instid0(VALU_DEP_3) | instskip(NEXT) | instid1(VALU_DEP_3)
	v_dual_mul_f32 v20, v12, v20 :: v_dual_fmac_f32 v15, v10, v17
	v_fma_f32 v16, v9, v17, -v16
	s_delay_alu instid0(VALU_DEP_3) | instskip(NEXT) | instid1(VALU_DEP_3)
	v_fmac_f32_e32 v18, v12, v19
	v_fma_f32 v17, v11, v19, -v20
	scratch_load_b128 v[9:12], off, off offset:144
	s_wait_loadcnt_dscnt 0x100
	v_mul_f32_e32 v19, v5, v2
	v_mul_f32_e32 v2, v6, v2
	;; [unrolled: 1-line block ×3, first 2 shown]
	s_delay_alu instid0(VALU_DEP_3) | instskip(NEXT) | instid1(VALU_DEP_3)
	v_dual_mul_f32 v4, v8, v4 :: v_dual_fmac_f32 v19, v6, v1
	v_fma_f32 v160, v5, v1, -v2
	s_delay_alu instid0(VALU_DEP_3) | instskip(NEXT) | instid1(VALU_DEP_3)
	v_fmac_f32_e32 v20, v8, v3
	v_fma_f32 v161, v7, v3, -v4
	ds_load_b128 v[1:4], v29 offset:640
	ds_load_b128 v[5:8], v29 offset:656
	s_wait_loadcnt_dscnt 0x1
	v_mul_f32_e32 v163, v1, v10
	v_mul_f32_e32 v10, v2, v10
	s_delay_alu instid0(VALU_DEP_2) | instskip(NEXT) | instid1(VALU_DEP_2)
	v_dual_mul_f32 v164, v3, v12 :: v_dual_fmac_f32 v163, v2, v9
	v_fma_f32 v165, v1, v9, -v10
	v_mul_f32_e32 v1, v4, v12
	s_delay_alu instid0(VALU_DEP_3) | instskip(NEXT) | instid1(VALU_DEP_2)
	v_fmac_f32_e32 v164, v4, v11
	v_fma_f32 v166, v3, v11, -v1
	s_clause 0x1
	scratch_load_b128 v[1:4], off, off offset:160
	scratch_load_b128 v[9:12], off, off offset:176
	s_wait_loadcnt_dscnt 0x100
	v_mul_f32_e32 v167, v5, v2
	v_dual_mul_f32 v2, v6, v2 :: v_dual_mul_f32 v169, v7, v4
	s_delay_alu instid0(VALU_DEP_2) | instskip(NEXT) | instid1(VALU_DEP_2)
	v_fmac_f32_e32 v167, v6, v1
	v_fma_f32 v168, v5, v1, -v2
	v_mul_f32_e32 v1, v8, v4
	s_delay_alu instid0(VALU_DEP_4) | instskip(NEXT) | instid1(VALU_DEP_2)
	v_fmac_f32_e32 v169, v8, v3
	v_fma_f32 v170, v7, v3, -v1
	ds_load_b128 v[1:4], v29 offset:672
	ds_load_b128 v[5:8], v29 offset:688
	s_wait_loadcnt_dscnt 0x1
	v_mul_f32_e32 v171, v1, v10
	v_mul_f32_e32 v173, v3, v12
	s_delay_alu instid0(VALU_DEP_2) | instskip(NEXT) | instid1(VALU_DEP_2)
	v_fmac_f32_e32 v171, v2, v9
	v_dual_mul_f32 v2, v2, v10 :: v_dual_fmac_f32 v173, v4, v11
	s_delay_alu instid0(VALU_DEP_1) | instskip(SKIP_1) | instid1(VALU_DEP_1)
	v_fma_f32 v172, v1, v9, -v2
	v_mul_f32_e32 v1, v4, v12
	v_fma_f32 v174, v3, v11, -v1
	s_clause 0x1
	scratch_load_b128 v[1:4], off, off offset:192
	scratch_load_b128 v[9:12], off, off offset:208
	s_wait_loadcnt_dscnt 0x100
	v_mul_f32_e32 v175, v5, v2
	v_dual_mul_f32 v2, v6, v2 :: v_dual_mul_f32 v177, v7, v4
	s_delay_alu instid0(VALU_DEP_2) | instskip(NEXT) | instid1(VALU_DEP_2)
	v_fmac_f32_e32 v175, v6, v1
	v_fma_f32 v176, v5, v1, -v2
	v_mul_f32_e32 v1, v8, v4
	s_delay_alu instid0(VALU_DEP_4) | instskip(NEXT) | instid1(VALU_DEP_2)
	v_fmac_f32_e32 v177, v8, v3
	v_fma_f32 v178, v7, v3, -v1
	ds_load_b128 v[1:4], v29 offset:704
	ds_load_b128 v[5:8], v29 offset:720
	s_wait_loadcnt_dscnt 0x1
	v_mul_f32_e32 v179, v1, v10
	v_mul_f32_e32 v181, v3, v12
	s_delay_alu instid0(VALU_DEP_2) | instskip(NEXT) | instid1(VALU_DEP_2)
	v_fmac_f32_e32 v179, v2, v9
	v_dual_mul_f32 v2, v2, v10 :: v_dual_fmac_f32 v181, v4, v11
	s_delay_alu instid0(VALU_DEP_1) | instskip(SKIP_1) | instid1(VALU_DEP_1)
	v_fma_f32 v180, v1, v9, -v2
	v_mul_f32_e32 v1, v4, v12
	;; [unrolled: 25-line block ×7, first 2 shown]
	v_fma_f32 v222, v3, v11, -v1
	s_clause 0x1
	scratch_load_b128 v[1:4], off, off offset:384
	scratch_load_b128 v[9:12], off, off offset:400
	s_wait_loadcnt_dscnt 0x100
	v_mul_f32_e32 v223, v5, v2
	v_mul_f32_e32 v2, v6, v2
	s_delay_alu instid0(VALU_DEP_2) | instskip(NEXT) | instid1(VALU_DEP_2)
	v_fmac_f32_e32 v223, v6, v1
	v_fma_f32 v224, v5, v1, -v2
	v_add_f32_e32 v2, 0, v32
	s_delay_alu instid0(VALU_DEP_1) | instskip(NEXT) | instid1(VALU_DEP_1)
	v_dual_mul_f32 v1, v8, v4 :: v_dual_add_f32 v2, v2, v155
	v_fma_f32 v226, v7, v3, -v1
	s_delay_alu instid0(VALU_DEP_2) | instskip(NEXT) | instid1(VALU_DEP_1)
	v_dual_add_f32 v1, 0, v21 :: v_dual_add_f32 v2, v2, v23
	v_dual_add_f32 v1, v1, v22 :: v_dual_add_f32 v2, v2, v24
	s_delay_alu instid0(VALU_DEP_1) | instskip(NEXT) | instid1(VALU_DEP_1)
	v_dual_add_f32 v1, v1, v25 :: v_dual_add_f32 v2, v2, v156
	v_add_f32_e32 v2, v2, v162
	s_delay_alu instid0(VALU_DEP_1) | instskip(NEXT) | instid1(VALU_DEP_1)
	v_add_f32_e32 v2, v2, v158
	v_add_f32_e32 v2, v2, v159
	s_delay_alu instid0(VALU_DEP_1) | instskip(NEXT) | instid1(VALU_DEP_1)
	v_add_f32_e32 v2, v2, v15
	;; [unrolled: 3-line block ×6, first 2 shown]
	v_dual_add_f32 v2, v2, v173 :: v_dual_add_f32 v1, v1, v26
	scratch_load_b64 v[25:26], off, off offset:480
	v_add_f32_e32 v2, v2, v175
	s_delay_alu instid0(VALU_DEP_1) | instskip(NEXT) | instid1(VALU_DEP_1)
	v_dual_add_f32 v1, v1, v27 :: v_dual_add_f32 v2, v2, v177
	v_dual_add_f32 v1, v1, v28 :: v_dual_add_f32 v2, v2, v179
	s_delay_alu instid0(VALU_DEP_1) | instskip(NEXT) | instid1(VALU_DEP_1)
	v_add_f32_e32 v1, v1, v13
	v_dual_add_f32 v2, v2, v181 :: v_dual_add_f32 v1, v1, v14
	s_delay_alu instid0(VALU_DEP_1) | instskip(NEXT) | instid1(VALU_DEP_1)
	v_add_f32_e32 v1, v1, v16
	v_add_f32_e32 v1, v1, v17
	s_delay_alu instid0(VALU_DEP_1) | instskip(NEXT) | instid1(VALU_DEP_1)
	v_add_f32_e32 v1, v1, v160
	v_add_f32_e32 v1, v1, v161
	;; [unrolled: 3-line block ×11, first 2 shown]
	s_delay_alu instid0(VALU_DEP_1) | instskip(SKIP_1) | instid1(VALU_DEP_2)
	v_add_f32_e32 v6, v1, v200
	v_add_f32_e32 v2, v2, v183
	;; [unrolled: 1-line block ×3, first 2 shown]
	s_delay_alu instid0(VALU_DEP_2) | instskip(NEXT) | instid1(VALU_DEP_2)
	v_add_f32_e32 v2, v2, v185
	v_add_f32_e32 v14, v14, v204
	s_delay_alu instid0(VALU_DEP_2) | instskip(NEXT) | instid1(VALU_DEP_2)
	v_add_f32_e32 v2, v2, v187
	v_add_f32_e32 v17, v14, v206
	s_delay_alu instid0(VALU_DEP_1) | instskip(NEXT) | instid1(VALU_DEP_1)
	v_dual_add_f32 v2, v2, v189 :: v_dual_add_f32 v17, v17, v208
	v_dual_add_f32 v2, v2, v191 :: v_dual_add_f32 v17, v17, v210
	s_delay_alu instid0(VALU_DEP_1) | instskip(NEXT) | instid1(VALU_DEP_1)
	v_dual_add_f32 v2, v2, v193 :: v_dual_add_f32 v17, v17, v212
	v_add_f32_e32 v22, v17, v214
	s_delay_alu instid0(VALU_DEP_2) | instskip(NEXT) | instid1(VALU_DEP_2)
	v_add_f32_e32 v2, v2, v195
	v_add_f32_e32 v22, v22, v216
	s_delay_alu instid0(VALU_DEP_2) | instskip(NEXT) | instid1(VALU_DEP_1)
	v_add_f32_e32 v5, v2, v197
	v_dual_add_f32 v22, v22, v218 :: v_dual_add_f32 v13, v5, v199
	s_delay_alu instid0(VALU_DEP_1) | instskip(NEXT) | instid1(VALU_DEP_1)
	v_dual_add_f32 v22, v22, v220 :: v_dual_add_f32 v13, v13, v201
	v_add_f32_e32 v13, v13, v203
	s_delay_alu instid0(VALU_DEP_1) | instskip(NEXT) | instid1(VALU_DEP_1)
	v_dual_mul_f32 v225, v7, v4 :: v_dual_add_f32 v18, v13, v205
	v_fmac_f32_e32 v225, v8, v3
	scratch_load_b128 v[1:4], off, off offset:416
	ds_load_b128 v[5:8], v29 offset:896
	ds_load_b128 v[13:16], v29 offset:912
	s_wait_loadcnt_dscnt 0x201
	v_mul_f32_e32 v32, v5, v10
	v_dual_mul_f32 v10, v6, v10 :: v_dual_mul_f32 v155, v7, v12
	v_mul_f32_e32 v12, v8, v12
	s_delay_alu instid0(VALU_DEP_3) | instskip(NEXT) | instid1(VALU_DEP_3)
	v_fmac_f32_e32 v32, v6, v9
	v_fma_f32 v156, v5, v9, -v10
	s_delay_alu instid0(VALU_DEP_4) | instskip(NEXT) | instid1(VALU_DEP_4)
	v_fmac_f32_e32 v155, v8, v11
	v_fma_f32 v158, v7, v11, -v12
	s_clause 0x1
	scratch_load_b128 v[5:8], off, off offset:432
	scratch_load_b128 v[9:12], off, off offset:448
	s_wait_loadcnt_dscnt 0x200
	v_dual_mul_f32 v160, v15, v4 :: v_dual_mul_f32 v159, v13, v2
	v_mul_f32_e32 v2, v14, v2
	v_mul_f32_e32 v4, v16, v4
	s_delay_alu instid0(VALU_DEP_3)
	v_fmac_f32_e32 v160, v16, v3
	v_add_f32_e32 v18, v18, v207
	v_fmac_f32_e32 v159, v14, v1
	v_add_f32_e32 v14, v22, v222
	v_fma_f32 v161, v13, v1, -v2
	v_fma_f32 v162, v15, v3, -v4
	v_add_f32_e32 v18, v18, v209
	ds_load_b128 v[1:4], v29 offset:928
	v_add_f32_e32 v27, v14, v224
	v_add_f32_e32 v21, v18, v211
	scratch_load_b128 v[17:20], off, off offset:464
	v_add_f32_e32 v163, v27, v226
	s_delay_alu instid0(VALU_DEP_1) | instskip(NEXT) | instid1(VALU_DEP_1)
	v_dual_add_f32 v21, v21, v213 :: v_dual_add_f32 v156, v163, v156
	v_dual_add_f32 v21, v21, v215 :: v_dual_add_f32 v156, v156, v158
	s_delay_alu instid0(VALU_DEP_1) | instskip(NEXT) | instid1(VALU_DEP_1)
	v_add_f32_e32 v21, v21, v217
	v_dual_add_f32 v156, v156, v161 :: v_dual_add_f32 v13, v21, v219
	s_delay_alu instid0(VALU_DEP_1)
	v_dual_add_f32 v156, v156, v162 :: v_dual_add_f32 v21, v13, v221
	ds_load_b128 v[13:16], v29 offset:944
	s_wait_loadcnt_dscnt 0x201
	v_mul_f32_e32 v163, v1, v6
	v_mul_f32_e32 v6, v2, v6
	v_add_f32_e32 v28, v21, v223
	ds_load_b128 v[21:24], v29 offset:960
	v_fmac_f32_e32 v163, v2, v5
	v_fma_f32 v1, v1, v5, -v6
	v_add_f32_e32 v164, v28, v225
	ds_load_b64 v[27:28], v29 offset:976
	v_add_f32_e32 v1, v156, v1
	v_add_f32_e32 v32, v164, v32
	s_delay_alu instid0(VALU_DEP_1) | instskip(SKIP_3) | instid1(VALU_DEP_3)
	v_dual_add_f32 v32, v32, v155 :: v_dual_mul_f32 v155, v3, v8
	v_mul_f32_e32 v8, v4, v8
	s_wait_loadcnt_dscnt 0x102
	v_dual_mul_f32 v158, v13, v10 :: v_dual_mul_f32 v5, v16, v12
	v_add_f32_e32 v32, v32, v159
	v_fmac_f32_e32 v155, v4, v7
	v_fma_f32 v2, v3, v7, -v8
	v_mul_f32_e32 v3, v14, v10
	v_mul_f32_e32 v159, v15, v12
	v_add_f32_e32 v32, v32, v160
	s_delay_alu instid0(VALU_DEP_4) | instskip(NEXT) | instid1(VALU_DEP_4)
	v_dual_fmac_f32 v158, v14, v9 :: v_dual_add_f32 v1, v1, v2
	v_fma_f32 v3, v13, v9, -v3
	s_delay_alu instid0(VALU_DEP_4) | instskip(NEXT) | instid1(VALU_DEP_4)
	v_fmac_f32_e32 v159, v16, v11
	v_add_f32_e32 v4, v32, v163
	v_fma_f32 v5, v15, v11, -v5
	s_wait_dscnt 0x0
	v_dual_mul_f32 v160, v27, v26 :: v_dual_add_f32 v1, v1, v3
	s_delay_alu instid0(VALU_DEP_3) | instskip(NEXT) | instid1(VALU_DEP_2)
	v_add_f32_e32 v2, v4, v155
	v_fmac_f32_e32 v160, v28, v25
	s_delay_alu instid0(VALU_DEP_3) | instskip(SKIP_1) | instid1(VALU_DEP_4)
	v_add_f32_e32 v1, v1, v5
	v_mul_f32_e32 v5, v28, v26
	v_add_f32_e32 v2, v2, v158
	s_wait_loadcnt 0x0
	s_delay_alu instid0(VALU_DEP_1) | instskip(SKIP_3) | instid1(VALU_DEP_4)
	v_dual_add_f32 v2, v2, v159 :: v_dual_mul_f32 v161, v21, v18
	v_mul_f32_e32 v4, v22, v18
	v_mul_f32_e32 v162, v23, v20
	;; [unrolled: 1-line block ×3, first 2 shown]
	v_fmac_f32_e32 v161, v22, v17
	s_delay_alu instid0(VALU_DEP_4) | instskip(NEXT) | instid1(VALU_DEP_4)
	v_fma_f32 v4, v21, v17, -v4
	v_fmac_f32_e32 v162, v24, v19
	s_delay_alu instid0(VALU_DEP_4) | instskip(NEXT) | instid1(VALU_DEP_3)
	v_fma_f32 v3, v23, v19, -v3
	v_dual_add_f32 v2, v2, v161 :: v_dual_add_f32 v1, v1, v4
	v_fma_f32 v4, v27, v25, -v5
	s_delay_alu instid0(VALU_DEP_2) | instskip(NEXT) | instid1(VALU_DEP_1)
	v_dual_add_f32 v2, v2, v162 :: v_dual_add_f32 v1, v1, v3
	v_add_f32_e32 v2, v2, v160
	s_delay_alu instid0(VALU_DEP_1) | instskip(NEXT) | instid1(VALU_DEP_1)
	v_dual_add_f32 v1, v1, v4 :: v_dual_sub_f32 v2, v31, v2
	v_sub_f32_e32 v1, v30, v1
	scratch_store_b64 off, v[1:2], off offset:40
	v_cmpx_lt_u32_e32 4, v0
	s_cbranch_execz .LBB60_371
; %bb.370:
	scratch_load_b64 v[1:2], off, off offset:32
	v_mov_b32_e32 v30, v29
	scratch_store_b64 off, v[29:30], off offset:32
	s_wait_loadcnt 0x0
	ds_store_b64 v157, v[1:2]
.LBB60_371:
	s_wait_alu 0xfffe
	s_or_b32 exec_lo, exec_lo, s0
	s_wait_storecnt_dscnt 0x0
	s_barrier_signal -1
	s_barrier_wait -1
	global_inv scope:SCOPE_SE
	s_clause 0x4
	scratch_load_b128 v[5:8], off, off offset:40
	scratch_load_b128 v[1:4], off, off offset:56
	;; [unrolled: 1-line block ×5, first 2 shown]
	ds_load_2addr_b64 v[21:24], v29 offset0:67 offset1:68
	ds_load_2addr_b64 v[25:28], v29 offset0:69 offset1:70
	;; [unrolled: 1-line block ×3, first 2 shown]
	scratch_load_b64 v[30:31], off, off offset:32
	s_mov_b32 s0, exec_lo
	s_wait_loadcnt_dscnt 0x502
	v_dual_mul_f32 v32, v21, v6 :: v_dual_mul_f32 v155, v23, v8
	v_mul_f32_e32 v6, v22, v6
	v_mul_f32_e32 v8, v24, v8
	s_wait_loadcnt_dscnt 0x300
	v_mul_f32_e32 v156, v158, v10
	v_dual_fmac_f32 v32, v22, v5 :: v_dual_fmac_f32 v155, v24, v7
	v_fma_f32 v21, v21, v5, -v6
	v_fma_f32 v22, v23, v7, -v8
	ds_load_2addr_b64 v[5:8], v29 offset0:73 offset1:74
	v_dual_mul_f32 v23, v25, v2 :: v_dual_mul_f32 v24, v27, v4
	v_mul_f32_e32 v4, v28, v4
	v_mul_f32_e32 v162, v160, v12
	;; [unrolled: 1-line block ×5, first 2 shown]
	v_dual_fmac_f32 v23, v26, v1 :: v_dual_fmac_f32 v24, v28, v3
	v_fma_f32 v26, v27, v3, -v4
	v_fmac_f32_e32 v156, v159, v9
	v_fmac_f32_e32 v162, v161, v11
	v_fma_f32 v27, v158, v9, -v10
	v_fma_f32 v28, v160, v11, -v12
	ds_load_2addr_b64 v[9:12], v29 offset0:75 offset1:76
	s_wait_loadcnt_dscnt 0x201
	v_dual_mul_f32 v159, v7, v16 :: v_dual_mul_f32 v158, v5, v14
	v_mul_f32_e32 v14, v6, v14
	v_mul_f32_e32 v16, v8, v16
	s_delay_alu instid0(VALU_DEP_3)
	v_fmac_f32_e32 v159, v8, v15
	v_fma_f32 v25, v25, v1, -v2
	scratch_load_b128 v[1:4], off, off offset:120
	v_fmac_f32_e32 v158, v6, v13
	v_fma_f32 v13, v5, v13, -v14
	v_fma_f32 v14, v7, v15, -v16
	ds_load_2addr_b64 v[5:8], v29 offset0:77 offset1:78
	s_wait_loadcnt_dscnt 0x201
	v_mul_f32_e32 v15, v9, v18
	v_mul_f32_e32 v16, v10, v18
	;; [unrolled: 1-line block ×3, first 2 shown]
	s_delay_alu instid0(VALU_DEP_3) | instskip(NEXT) | instid1(VALU_DEP_3)
	v_dual_mul_f32 v20, v12, v20 :: v_dual_fmac_f32 v15, v10, v17
	v_fma_f32 v16, v9, v17, -v16
	s_delay_alu instid0(VALU_DEP_3) | instskip(NEXT) | instid1(VALU_DEP_3)
	v_fmac_f32_e32 v18, v12, v19
	v_fma_f32 v17, v11, v19, -v20
	scratch_load_b128 v[9:12], off, off offset:136
	s_wait_loadcnt_dscnt 0x100
	v_mul_f32_e32 v19, v5, v2
	v_mul_f32_e32 v2, v6, v2
	;; [unrolled: 1-line block ×3, first 2 shown]
	s_delay_alu instid0(VALU_DEP_3) | instskip(NEXT) | instid1(VALU_DEP_3)
	v_dual_mul_f32 v4, v8, v4 :: v_dual_fmac_f32 v19, v6, v1
	v_fma_f32 v160, v5, v1, -v2
	s_delay_alu instid0(VALU_DEP_3) | instskip(NEXT) | instid1(VALU_DEP_3)
	v_fmac_f32_e32 v20, v8, v3
	v_fma_f32 v161, v7, v3, -v4
	ds_load_2addr_b64 v[1:4], v29 offset0:79 offset1:80
	ds_load_2addr_b64 v[5:8], v29 offset0:81 offset1:82
	s_wait_loadcnt_dscnt 0x1
	v_mul_f32_e32 v163, v1, v10
	v_mul_f32_e32 v10, v2, v10
	s_delay_alu instid0(VALU_DEP_2) | instskip(NEXT) | instid1(VALU_DEP_2)
	v_dual_mul_f32 v164, v3, v12 :: v_dual_fmac_f32 v163, v2, v9
	v_fma_f32 v165, v1, v9, -v10
	v_mul_f32_e32 v1, v4, v12
	s_delay_alu instid0(VALU_DEP_3) | instskip(NEXT) | instid1(VALU_DEP_2)
	v_fmac_f32_e32 v164, v4, v11
	v_fma_f32 v166, v3, v11, -v1
	s_clause 0x1
	scratch_load_b128 v[1:4], off, off offset:152
	scratch_load_b128 v[9:12], off, off offset:168
	s_wait_loadcnt_dscnt 0x100
	v_mul_f32_e32 v167, v5, v2
	v_dual_mul_f32 v2, v6, v2 :: v_dual_mul_f32 v169, v7, v4
	s_delay_alu instid0(VALU_DEP_2) | instskip(NEXT) | instid1(VALU_DEP_2)
	v_fmac_f32_e32 v167, v6, v1
	v_fma_f32 v168, v5, v1, -v2
	v_mul_f32_e32 v1, v8, v4
	s_delay_alu instid0(VALU_DEP_4) | instskip(NEXT) | instid1(VALU_DEP_2)
	v_fmac_f32_e32 v169, v8, v3
	v_fma_f32 v170, v7, v3, -v1
	ds_load_2addr_b64 v[1:4], v29 offset0:83 offset1:84
	ds_load_2addr_b64 v[5:8], v29 offset0:85 offset1:86
	s_wait_loadcnt_dscnt 0x1
	v_mul_f32_e32 v171, v1, v10
	v_mul_f32_e32 v173, v3, v12
	s_delay_alu instid0(VALU_DEP_2) | instskip(NEXT) | instid1(VALU_DEP_2)
	v_fmac_f32_e32 v171, v2, v9
	v_dual_mul_f32 v2, v2, v10 :: v_dual_fmac_f32 v173, v4, v11
	s_delay_alu instid0(VALU_DEP_1) | instskip(SKIP_1) | instid1(VALU_DEP_1)
	v_fma_f32 v172, v1, v9, -v2
	v_mul_f32_e32 v1, v4, v12
	v_fma_f32 v174, v3, v11, -v1
	s_clause 0x1
	scratch_load_b128 v[1:4], off, off offset:184
	scratch_load_b128 v[9:12], off, off offset:200
	s_wait_loadcnt_dscnt 0x100
	v_mul_f32_e32 v175, v5, v2
	v_dual_mul_f32 v2, v6, v2 :: v_dual_mul_f32 v177, v7, v4
	s_delay_alu instid0(VALU_DEP_2) | instskip(NEXT) | instid1(VALU_DEP_2)
	v_fmac_f32_e32 v175, v6, v1
	v_fma_f32 v176, v5, v1, -v2
	v_mul_f32_e32 v1, v8, v4
	s_delay_alu instid0(VALU_DEP_4) | instskip(NEXT) | instid1(VALU_DEP_2)
	v_fmac_f32_e32 v177, v8, v3
	v_fma_f32 v178, v7, v3, -v1
	ds_load_2addr_b64 v[1:4], v29 offset0:87 offset1:88
	ds_load_2addr_b64 v[5:8], v29 offset0:89 offset1:90
	s_wait_loadcnt_dscnt 0x1
	v_mul_f32_e32 v179, v1, v10
	v_mul_f32_e32 v181, v3, v12
	s_delay_alu instid0(VALU_DEP_2) | instskip(NEXT) | instid1(VALU_DEP_2)
	v_fmac_f32_e32 v179, v2, v9
	v_dual_mul_f32 v2, v2, v10 :: v_dual_fmac_f32 v181, v4, v11
	s_delay_alu instid0(VALU_DEP_1) | instskip(SKIP_1) | instid1(VALU_DEP_1)
	v_fma_f32 v180, v1, v9, -v2
	v_mul_f32_e32 v1, v4, v12
	;; [unrolled: 25-line block ×8, first 2 shown]
	v_fma_f32 v230, v3, v11, -v1
	s_clause 0x1
	scratch_load_b128 v[1:4], off, off offset:408
	scratch_load_b128 v[9:12], off, off offset:424
	s_wait_loadcnt_dscnt 0x100
	v_mul_f32_e32 v231, v5, v2
	v_dual_mul_f32 v2, v6, v2 :: v_dual_mul_f32 v233, v7, v4
	s_delay_alu instid0(VALU_DEP_2) | instskip(NEXT) | instid1(VALU_DEP_2)
	v_fmac_f32_e32 v231, v6, v1
	v_fma_f32 v232, v5, v1, -v2
	v_mul_f32_e32 v1, v8, v4
	v_add_f32_e32 v2, 0, v32
	s_delay_alu instid0(VALU_DEP_2) | instskip(NEXT) | instid1(VALU_DEP_2)
	v_fma_f32 v234, v7, v3, -v1
	v_dual_add_f32 v1, 0, v21 :: v_dual_add_f32 v2, v2, v155
	s_delay_alu instid0(VALU_DEP_1) | instskip(NEXT) | instid1(VALU_DEP_1)
	v_dual_add_f32 v1, v1, v22 :: v_dual_add_f32 v2, v2, v23
	v_dual_add_f32 v1, v1, v25 :: v_dual_add_f32 v2, v2, v24
	s_delay_alu instid0(VALU_DEP_1) | instskip(NEXT) | instid1(VALU_DEP_1)
	v_dual_add_f32 v1, v1, v26 :: v_dual_add_f32 v2, v2, v156
	;; [unrolled: 3-line block ×5, first 2 shown]
	v_add_f32_e32 v1, v1, v160
	s_delay_alu instid0(VALU_DEP_1) | instskip(NEXT) | instid1(VALU_DEP_1)
	v_dual_add_f32 v2, v2, v20 :: v_dual_add_f32 v1, v1, v161
	v_dual_add_f32 v2, v2, v163 :: v_dual_add_f32 v1, v1, v165
	s_delay_alu instid0(VALU_DEP_1) | instskip(NEXT) | instid1(VALU_DEP_1)
	v_dual_add_f32 v2, v2, v164 :: v_dual_add_f32 v1, v1, v166
	v_dual_add_f32 v2, v2, v167 :: v_dual_add_f32 v1, v1, v168
	;; [unrolled: 3-line block ×5, first 2 shown]
	s_delay_alu instid0(VALU_DEP_1) | instskip(NEXT) | instid1(VALU_DEP_1)
	v_dual_add_f32 v2, v2, v181 :: v_dual_add_f32 v1, v1, v182
	v_add_f32_e32 v1, v1, v184
	s_delay_alu instid0(VALU_DEP_1) | instskip(NEXT) | instid1(VALU_DEP_1)
	v_add_f32_e32 v1, v1, v186
	v_add_f32_e32 v1, v1, v188
	s_delay_alu instid0(VALU_DEP_1) | instskip(NEXT) | instid1(VALU_DEP_1)
	v_add_f32_e32 v1, v1, v190
	;; [unrolled: 3-line block ×5, first 2 shown]
	v_add_f32_e32 v1, v1, v204
	s_delay_alu instid0(VALU_DEP_1) | instskip(SKIP_1) | instid1(VALU_DEP_2)
	v_add_f32_e32 v6, v1, v206
	v_add_f32_e32 v2, v2, v183
	;; [unrolled: 1-line block ×3, first 2 shown]
	s_delay_alu instid0(VALU_DEP_2) | instskip(NEXT) | instid1(VALU_DEP_2)
	v_add_f32_e32 v2, v2, v185
	v_add_f32_e32 v13, v6, v210
	s_delay_alu instid0(VALU_DEP_1) | instskip(NEXT) | instid1(VALU_DEP_1)
	v_dual_add_f32 v2, v2, v187 :: v_dual_add_f32 v13, v13, v212
	v_dual_add_f32 v2, v2, v189 :: v_dual_add_f32 v13, v13, v214
	s_delay_alu instid0(VALU_DEP_1) | instskip(NEXT) | instid1(VALU_DEP_1)
	v_dual_add_f32 v2, v2, v191 :: v_dual_add_f32 v13, v13, v216
	v_add_f32_e32 v2, v2, v193
	s_delay_alu instid0(VALU_DEP_2) | instskip(NEXT) | instid1(VALU_DEP_2)
	v_add_f32_e32 v18, v13, v218
	v_add_f32_e32 v2, v2, v195
	s_delay_alu instid0(VALU_DEP_2) | instskip(NEXT) | instid1(VALU_DEP_2)
	v_dual_fmac_f32 v233, v8, v3 :: v_dual_add_f32 v18, v18, v220
	v_add_f32_e32 v2, v2, v197
	s_delay_alu instid0(VALU_DEP_2) | instskip(NEXT) | instid1(VALU_DEP_2)
	v_add_f32_e32 v18, v18, v222
	v_add_f32_e32 v2, v2, v199
	s_delay_alu instid0(VALU_DEP_2) | instskip(NEXT) | instid1(VALU_DEP_2)
	v_add_f32_e32 v21, v18, v224
	v_add_f32_e32 v2, v2, v201
	s_delay_alu instid0(VALU_DEP_1) | instskip(SKIP_2) | instid1(VALU_DEP_1)
	v_dual_add_f32 v32, v21, v226 :: v_dual_add_f32 v5, v2, v203
	ds_load_2addr_b64 v[1:4], v29 offset0:115 offset1:116
	v_add_f32_e32 v5, v5, v205
	v_add_f32_e32 v5, v5, v207
	s_delay_alu instid0(VALU_DEP_1)
	v_add_f32_e32 v14, v5, v209
	ds_load_2addr_b64 v[5:8], v29 offset0:117 offset1:118
	s_wait_loadcnt_dscnt 0x1
	v_dual_add_f32 v14, v14, v211 :: v_dual_mul_f32 v25, v1, v10
	v_mul_f32_e32 v26, v3, v12
	v_mul_f32_e32 v10, v2, v10
	;; [unrolled: 1-line block ×3, first 2 shown]
	s_delay_alu instid0(VALU_DEP_4) | instskip(NEXT) | instid1(VALU_DEP_4)
	v_add_f32_e32 v14, v14, v213
	v_dual_fmac_f32 v25, v2, v9 :: v_dual_fmac_f32 v26, v4, v11
	s_delay_alu instid0(VALU_DEP_4) | instskip(NEXT) | instid1(VALU_DEP_4)
	v_fma_f32 v27, v1, v9, -v10
	v_fma_f32 v28, v3, v11, -v12
	s_clause 0x1
	scratch_load_b128 v[1:4], off, off offset:440
	scratch_load_b128 v[9:12], off, off offset:456
	v_add_f32_e32 v17, v14, v215
	scratch_load_b128 v[13:16], off, off offset:472
	s_wait_loadcnt_dscnt 0x200
	v_dual_add_f32 v17, v17, v217 :: v_dual_mul_f32 v156, v7, v4
	s_delay_alu instid0(VALU_DEP_1) | instskip(NEXT) | instid1(VALU_DEP_1)
	v_dual_add_f32 v17, v17, v219 :: v_dual_mul_f32 v4, v8, v4
	v_dual_fmac_f32 v156, v8, v3 :: v_dual_add_f32 v17, v17, v221
	s_delay_alu instid0(VALU_DEP_2) | instskip(NEXT) | instid1(VALU_DEP_2)
	v_fma_f32 v3, v7, v3, -v4
	v_add_f32_e32 v22, v17, v223
	ds_load_2addr_b64 v[17:20], v29 offset0:119 offset1:120
	v_add_f32_e32 v155, v22, v225
	ds_load_2addr_b64 v[21:24], v29 offset0:121 offset1:122
	v_add_f32_e32 v29, v32, v228
	s_delay_alu instid0(VALU_DEP_1) | instskip(NEXT) | instid1(VALU_DEP_1)
	v_add_f32_e32 v29, v29, v230
	v_add_f32_e32 v29, v29, v232
	s_wait_loadcnt_dscnt 0x101
	v_mul_f32_e32 v158, v17, v10
	s_delay_alu instid0(VALU_DEP_2)
	v_add_f32_e32 v29, v29, v234
	v_mul_f32_e32 v159, v19, v12
	v_mul_f32_e32 v4, v20, v12
	s_wait_loadcnt_dscnt 0x0
	v_mul_f32_e32 v160, v21, v14
	v_dual_add_f32 v32, v155, v227 :: v_dual_mul_f32 v155, v5, v2
	v_dual_mul_f32 v2, v6, v2 :: v_dual_add_f32 v27, v29, v27
	v_fmac_f32_e32 v158, v18, v9
	s_delay_alu instid0(VALU_DEP_3) | instskip(NEXT) | instid1(VALU_DEP_4)
	v_add_f32_e32 v32, v32, v229
	v_fmac_f32_e32 v155, v6, v1
	s_delay_alu instid0(VALU_DEP_4) | instskip(SKIP_1) | instid1(VALU_DEP_4)
	v_fma_f32 v2, v5, v1, -v2
	v_dual_add_f32 v1, v27, v28 :: v_dual_mul_f32 v6, v18, v10
	v_add_f32_e32 v32, v32, v231
	v_fmac_f32_e32 v159, v20, v11
	v_fma_f32 v4, v19, v11, -v4
	s_delay_alu instid0(VALU_DEP_4) | instskip(NEXT) | instid1(VALU_DEP_4)
	v_add_f32_e32 v1, v1, v2
	v_dual_mul_f32 v29, v23, v16 :: v_dual_add_f32 v32, v32, v233
	s_delay_alu instid0(VALU_DEP_2) | instskip(SKIP_1) | instid1(VALU_DEP_3)
	v_dual_fmac_f32 v160, v22, v13 :: v_dual_add_f32 v1, v1, v3
	v_mul_f32_e32 v3, v22, v14
	v_add_f32_e32 v25, v32, v25
	s_delay_alu instid0(VALU_DEP_4) | instskip(NEXT) | instid1(VALU_DEP_3)
	v_fmac_f32_e32 v29, v24, v15
	v_fma_f32 v3, v21, v13, -v3
	s_delay_alu instid0(VALU_DEP_3) | instskip(NEXT) | instid1(VALU_DEP_1)
	v_add_f32_e32 v5, v25, v26
	v_add_f32_e32 v2, v5, v155
	v_fma_f32 v5, v17, v9, -v6
	s_delay_alu instid0(VALU_DEP_1) | instskip(NEXT) | instid1(VALU_DEP_1)
	v_dual_add_f32 v2, v2, v156 :: v_dual_add_f32 v1, v1, v5
	v_dual_mul_f32 v5, v24, v16 :: v_dual_add_f32 v2, v2, v158
	s_delay_alu instid0(VALU_DEP_2) | instskip(NEXT) | instid1(VALU_DEP_2)
	v_add_f32_e32 v1, v1, v4
	v_fma_f32 v4, v23, v15, -v5
	s_delay_alu instid0(VALU_DEP_3) | instskip(NEXT) | instid1(VALU_DEP_1)
	v_add_f32_e32 v2, v2, v159
	v_dual_add_f32 v1, v1, v3 :: v_dual_add_f32 v2, v2, v160
	s_delay_alu instid0(VALU_DEP_1) | instskip(NEXT) | instid1(VALU_DEP_1)
	v_dual_add_f32 v1, v1, v4 :: v_dual_add_f32 v2, v2, v29
	v_dual_sub_f32 v1, v30, v1 :: v_dual_sub_f32 v2, v31, v2
	scratch_store_b64 off, v[1:2], off offset:32
	v_cmpx_lt_u32_e32 3, v0
	s_cbranch_execz .LBB60_373
; %bb.372:
	scratch_load_b64 v[1:2], off, off offset:24
	v_mov_b32_e32 v3, 0
	s_delay_alu instid0(VALU_DEP_1)
	v_mov_b32_e32 v4, v3
	scratch_store_b64 off, v[3:4], off offset:24
	s_wait_loadcnt 0x0
	ds_store_b64 v157, v[1:2]
.LBB60_373:
	s_wait_alu 0xfffe
	s_or_b32 exec_lo, exec_lo, s0
	s_wait_storecnt_dscnt 0x0
	s_barrier_signal -1
	s_barrier_wait -1
	global_inv scope:SCOPE_SE
	s_clause 0x4
	scratch_load_b128 v[5:8], off, off offset:32
	scratch_load_b128 v[1:4], off, off offset:48
	;; [unrolled: 1-line block ×5, first 2 shown]
	v_mov_b32_e32 v155, 0
	ds_load_b128 v[21:24], v155 offset:528
	ds_load_b128 v[25:28], v155 offset:544
	;; [unrolled: 1-line block ×3, first 2 shown]
	scratch_load_b64 v[158:159], off, off offset:24
	s_mov_b32 s0, exec_lo
	s_wait_loadcnt_dscnt 0x502
	v_mul_f32_e32 v156, v21, v6
	v_mul_f32_e32 v160, v23, v8
	;; [unrolled: 1-line block ×3, first 2 shown]
	s_wait_loadcnt_dscnt 0x300
	v_dual_mul_f32 v8, v24, v8 :: v_dual_mul_f32 v161, v29, v10
	v_fmac_f32_e32 v156, v22, v5
	v_mul_f32_e32 v162, v31, v12
	v_fma_f32 v21, v21, v5, -v6
	s_delay_alu instid0(VALU_DEP_4)
	v_fma_f32 v22, v23, v7, -v8
	v_dual_mul_f32 v23, v25, v2 :: v_dual_fmac_f32 v160, v24, v7
	ds_load_b128 v[5:8], v155 offset:576
	v_dual_mul_f32 v24, v27, v4 :: v_dual_fmac_f32 v161, v30, v9
	v_mul_f32_e32 v2, v26, v2
	v_mul_f32_e32 v4, v28, v4
	;; [unrolled: 1-line block ×3, first 2 shown]
	s_delay_alu instid0(VALU_DEP_4) | instskip(NEXT) | instid1(VALU_DEP_4)
	v_dual_fmac_f32 v23, v26, v1 :: v_dual_fmac_f32 v24, v28, v3
	v_fma_f32 v25, v25, v1, -v2
	s_delay_alu instid0(VALU_DEP_4) | instskip(SKIP_4) | instid1(VALU_DEP_3)
	v_fma_f32 v26, v27, v3, -v4
	scratch_load_b128 v[1:4], off, off offset:112
	v_mul_f32_e32 v12, v32, v12
	v_fmac_f32_e32 v162, v32, v11
	v_fma_f32 v27, v29, v9, -v10
	v_fma_f32 v28, v31, v11, -v12
	ds_load_b128 v[9:12], v155 offset:592
	s_wait_loadcnt_dscnt 0x301
	v_dual_mul_f32 v29, v5, v14 :: v_dual_mul_f32 v30, v7, v16
	v_mul_f32_e32 v14, v6, v14
	s_delay_alu instid0(VALU_DEP_2) | instskip(NEXT) | instid1(VALU_DEP_3)
	v_dual_mul_f32 v16, v8, v16 :: v_dual_fmac_f32 v29, v6, v13
	v_fmac_f32_e32 v30, v8, v15
	s_delay_alu instid0(VALU_DEP_3) | instskip(NEXT) | instid1(VALU_DEP_3)
	v_fma_f32 v13, v5, v13, -v14
	v_fma_f32 v14, v7, v15, -v16
	ds_load_b128 v[5:8], v155 offset:608
	s_wait_loadcnt_dscnt 0x201
	v_dual_mul_f32 v15, v9, v18 :: v_dual_mul_f32 v16, v11, v20
	v_mul_f32_e32 v18, v10, v18
	s_delay_alu instid0(VALU_DEP_2) | instskip(NEXT) | instid1(VALU_DEP_3)
	v_dual_mul_f32 v20, v12, v20 :: v_dual_fmac_f32 v15, v10, v17
	v_fmac_f32_e32 v16, v12, v19
	s_delay_alu instid0(VALU_DEP_3) | instskip(NEXT) | instid1(VALU_DEP_3)
	v_fma_f32 v17, v9, v17, -v18
	v_fma_f32 v18, v11, v19, -v20
	scratch_load_b128 v[9:12], off, off offset:128
	s_wait_loadcnt_dscnt 0x100
	v_mul_f32_e32 v19, v5, v2
	v_mul_f32_e32 v2, v6, v2
	v_mul_f32_e32 v20, v7, v4
	s_delay_alu instid0(VALU_DEP_3) | instskip(NEXT) | instid1(VALU_DEP_3)
	v_dual_mul_f32 v4, v8, v4 :: v_dual_fmac_f32 v19, v6, v1
	v_fma_f32 v31, v5, v1, -v2
	s_delay_alu instid0(VALU_DEP_3) | instskip(NEXT) | instid1(VALU_DEP_3)
	v_fmac_f32_e32 v20, v8, v3
	v_fma_f32 v32, v7, v3, -v4
	ds_load_b128 v[1:4], v155 offset:624
	ds_load_b128 v[5:8], v155 offset:640
	s_wait_loadcnt_dscnt 0x1
	v_mul_f32_e32 v163, v1, v10
	v_mul_f32_e32 v10, v2, v10
	s_delay_alu instid0(VALU_DEP_2) | instskip(NEXT) | instid1(VALU_DEP_2)
	v_dual_mul_f32 v164, v3, v12 :: v_dual_fmac_f32 v163, v2, v9
	v_fma_f32 v165, v1, v9, -v10
	v_mul_f32_e32 v1, v4, v12
	s_delay_alu instid0(VALU_DEP_3) | instskip(NEXT) | instid1(VALU_DEP_2)
	v_fmac_f32_e32 v164, v4, v11
	v_fma_f32 v166, v3, v11, -v1
	s_clause 0x1
	scratch_load_b128 v[1:4], off, off offset:144
	scratch_load_b128 v[9:12], off, off offset:160
	s_wait_loadcnt_dscnt 0x100
	v_mul_f32_e32 v167, v5, v2
	v_dual_mul_f32 v2, v6, v2 :: v_dual_mul_f32 v169, v7, v4
	s_delay_alu instid0(VALU_DEP_2) | instskip(NEXT) | instid1(VALU_DEP_2)
	v_fmac_f32_e32 v167, v6, v1
	v_fma_f32 v168, v5, v1, -v2
	v_mul_f32_e32 v1, v8, v4
	s_delay_alu instid0(VALU_DEP_4) | instskip(NEXT) | instid1(VALU_DEP_2)
	v_fmac_f32_e32 v169, v8, v3
	v_fma_f32 v170, v7, v3, -v1
	ds_load_b128 v[1:4], v155 offset:656
	ds_load_b128 v[5:8], v155 offset:672
	s_wait_loadcnt_dscnt 0x1
	v_mul_f32_e32 v171, v1, v10
	v_mul_f32_e32 v173, v3, v12
	s_delay_alu instid0(VALU_DEP_2) | instskip(NEXT) | instid1(VALU_DEP_2)
	v_fmac_f32_e32 v171, v2, v9
	v_dual_mul_f32 v2, v2, v10 :: v_dual_fmac_f32 v173, v4, v11
	s_delay_alu instid0(VALU_DEP_1) | instskip(SKIP_1) | instid1(VALU_DEP_1)
	v_fma_f32 v172, v1, v9, -v2
	v_mul_f32_e32 v1, v4, v12
	v_fma_f32 v174, v3, v11, -v1
	s_clause 0x1
	scratch_load_b128 v[1:4], off, off offset:176
	scratch_load_b128 v[9:12], off, off offset:192
	s_wait_loadcnt_dscnt 0x100
	v_mul_f32_e32 v175, v5, v2
	v_dual_mul_f32 v2, v6, v2 :: v_dual_mul_f32 v177, v7, v4
	s_delay_alu instid0(VALU_DEP_2) | instskip(NEXT) | instid1(VALU_DEP_2)
	v_fmac_f32_e32 v175, v6, v1
	v_fma_f32 v176, v5, v1, -v2
	v_mul_f32_e32 v1, v8, v4
	s_delay_alu instid0(VALU_DEP_4) | instskip(NEXT) | instid1(VALU_DEP_2)
	v_fmac_f32_e32 v177, v8, v3
	v_fma_f32 v178, v7, v3, -v1
	ds_load_b128 v[1:4], v155 offset:688
	ds_load_b128 v[5:8], v155 offset:704
	s_wait_loadcnt_dscnt 0x1
	v_mul_f32_e32 v179, v1, v10
	v_mul_f32_e32 v181, v3, v12
	s_delay_alu instid0(VALU_DEP_2) | instskip(NEXT) | instid1(VALU_DEP_2)
	v_fmac_f32_e32 v179, v2, v9
	v_dual_mul_f32 v2, v2, v10 :: v_dual_fmac_f32 v181, v4, v11
	s_delay_alu instid0(VALU_DEP_1) | instskip(SKIP_1) | instid1(VALU_DEP_1)
	v_fma_f32 v180, v1, v9, -v2
	v_mul_f32_e32 v1, v4, v12
	v_fma_f32 v182, v3, v11, -v1
	s_clause 0x1
	scratch_load_b128 v[1:4], off, off offset:208
	scratch_load_b128 v[9:12], off, off offset:224
	s_wait_loadcnt_dscnt 0x100
	v_mul_f32_e32 v183, v5, v2
	v_dual_mul_f32 v2, v6, v2 :: v_dual_mul_f32 v185, v7, v4
	s_delay_alu instid0(VALU_DEP_2) | instskip(NEXT) | instid1(VALU_DEP_2)
	v_fmac_f32_e32 v183, v6, v1
	v_fma_f32 v184, v5, v1, -v2
	v_mul_f32_e32 v1, v8, v4
	s_delay_alu instid0(VALU_DEP_4) | instskip(NEXT) | instid1(VALU_DEP_2)
	v_fmac_f32_e32 v185, v8, v3
	v_fma_f32 v186, v7, v3, -v1
	ds_load_b128 v[1:4], v155 offset:720
	ds_load_b128 v[5:8], v155 offset:736
	s_wait_loadcnt_dscnt 0x1
	v_mul_f32_e32 v187, v1, v10
	v_mul_f32_e32 v189, v3, v12
	s_delay_alu instid0(VALU_DEP_2) | instskip(NEXT) | instid1(VALU_DEP_2)
	v_fmac_f32_e32 v187, v2, v9
	v_dual_mul_f32 v2, v2, v10 :: v_dual_fmac_f32 v189, v4, v11
	s_delay_alu instid0(VALU_DEP_1) | instskip(SKIP_1) | instid1(VALU_DEP_1)
	v_fma_f32 v188, v1, v9, -v2
	v_mul_f32_e32 v1, v4, v12
	v_fma_f32 v190, v3, v11, -v1
	s_clause 0x1
	scratch_load_b128 v[1:4], off, off offset:240
	scratch_load_b128 v[9:12], off, off offset:256
	s_wait_loadcnt_dscnt 0x100
	v_mul_f32_e32 v191, v5, v2
	v_dual_mul_f32 v2, v6, v2 :: v_dual_mul_f32 v193, v7, v4
	s_delay_alu instid0(VALU_DEP_2) | instskip(NEXT) | instid1(VALU_DEP_2)
	v_fmac_f32_e32 v191, v6, v1
	v_fma_f32 v192, v5, v1, -v2
	v_mul_f32_e32 v1, v8, v4
	s_delay_alu instid0(VALU_DEP_4) | instskip(NEXT) | instid1(VALU_DEP_2)
	v_fmac_f32_e32 v193, v8, v3
	v_fma_f32 v194, v7, v3, -v1
	ds_load_b128 v[1:4], v155 offset:752
	ds_load_b128 v[5:8], v155 offset:768
	s_wait_loadcnt_dscnt 0x1
	v_mul_f32_e32 v195, v1, v10
	v_mul_f32_e32 v197, v3, v12
	s_delay_alu instid0(VALU_DEP_2) | instskip(NEXT) | instid1(VALU_DEP_2)
	v_fmac_f32_e32 v195, v2, v9
	v_dual_mul_f32 v2, v2, v10 :: v_dual_fmac_f32 v197, v4, v11
	s_delay_alu instid0(VALU_DEP_1) | instskip(SKIP_1) | instid1(VALU_DEP_1)
	v_fma_f32 v196, v1, v9, -v2
	v_mul_f32_e32 v1, v4, v12
	v_fma_f32 v198, v3, v11, -v1
	s_clause 0x1
	scratch_load_b128 v[1:4], off, off offset:272
	scratch_load_b128 v[9:12], off, off offset:288
	s_wait_loadcnt_dscnt 0x100
	v_mul_f32_e32 v199, v5, v2
	v_dual_mul_f32 v2, v6, v2 :: v_dual_mul_f32 v201, v7, v4
	s_delay_alu instid0(VALU_DEP_2) | instskip(NEXT) | instid1(VALU_DEP_2)
	v_fmac_f32_e32 v199, v6, v1
	v_fma_f32 v200, v5, v1, -v2
	v_mul_f32_e32 v1, v8, v4
	s_delay_alu instid0(VALU_DEP_4) | instskip(NEXT) | instid1(VALU_DEP_2)
	v_fmac_f32_e32 v201, v8, v3
	v_fma_f32 v202, v7, v3, -v1
	ds_load_b128 v[1:4], v155 offset:784
	ds_load_b128 v[5:8], v155 offset:800
	s_wait_loadcnt_dscnt 0x1
	v_mul_f32_e32 v203, v1, v10
	v_mul_f32_e32 v205, v3, v12
	s_delay_alu instid0(VALU_DEP_2) | instskip(NEXT) | instid1(VALU_DEP_2)
	v_fmac_f32_e32 v203, v2, v9
	v_dual_mul_f32 v2, v2, v10 :: v_dual_fmac_f32 v205, v4, v11
	s_delay_alu instid0(VALU_DEP_1) | instskip(SKIP_1) | instid1(VALU_DEP_1)
	v_fma_f32 v204, v1, v9, -v2
	v_mul_f32_e32 v1, v4, v12
	v_fma_f32 v206, v3, v11, -v1
	s_clause 0x1
	scratch_load_b128 v[1:4], off, off offset:304
	scratch_load_b128 v[9:12], off, off offset:320
	s_wait_loadcnt_dscnt 0x100
	v_mul_f32_e32 v207, v5, v2
	v_dual_mul_f32 v2, v6, v2 :: v_dual_mul_f32 v209, v7, v4
	s_delay_alu instid0(VALU_DEP_2) | instskip(NEXT) | instid1(VALU_DEP_2)
	v_fmac_f32_e32 v207, v6, v1
	v_fma_f32 v208, v5, v1, -v2
	v_mul_f32_e32 v1, v8, v4
	s_delay_alu instid0(VALU_DEP_4) | instskip(NEXT) | instid1(VALU_DEP_2)
	v_fmac_f32_e32 v209, v8, v3
	v_fma_f32 v210, v7, v3, -v1
	ds_load_b128 v[1:4], v155 offset:816
	ds_load_b128 v[5:8], v155 offset:832
	s_wait_loadcnt_dscnt 0x1
	v_mul_f32_e32 v211, v1, v10
	v_mul_f32_e32 v213, v3, v12
	s_delay_alu instid0(VALU_DEP_2) | instskip(NEXT) | instid1(VALU_DEP_2)
	v_fmac_f32_e32 v211, v2, v9
	v_dual_mul_f32 v2, v2, v10 :: v_dual_fmac_f32 v213, v4, v11
	s_delay_alu instid0(VALU_DEP_1) | instskip(SKIP_1) | instid1(VALU_DEP_1)
	v_fma_f32 v212, v1, v9, -v2
	v_mul_f32_e32 v1, v4, v12
	v_fma_f32 v214, v3, v11, -v1
	s_clause 0x1
	scratch_load_b128 v[1:4], off, off offset:336
	scratch_load_b128 v[9:12], off, off offset:352
	s_wait_loadcnt_dscnt 0x100
	v_mul_f32_e32 v215, v5, v2
	v_dual_mul_f32 v2, v6, v2 :: v_dual_mul_f32 v217, v7, v4
	s_delay_alu instid0(VALU_DEP_2) | instskip(NEXT) | instid1(VALU_DEP_2)
	v_fmac_f32_e32 v215, v6, v1
	v_fma_f32 v216, v5, v1, -v2
	v_mul_f32_e32 v1, v8, v4
	s_delay_alu instid0(VALU_DEP_4) | instskip(NEXT) | instid1(VALU_DEP_2)
	v_fmac_f32_e32 v217, v8, v3
	v_fma_f32 v218, v7, v3, -v1
	ds_load_b128 v[1:4], v155 offset:848
	ds_load_b128 v[5:8], v155 offset:864
	s_wait_loadcnt_dscnt 0x1
	v_mul_f32_e32 v219, v1, v10
	v_mul_f32_e32 v221, v3, v12
	s_delay_alu instid0(VALU_DEP_2) | instskip(NEXT) | instid1(VALU_DEP_2)
	v_fmac_f32_e32 v219, v2, v9
	v_dual_mul_f32 v2, v2, v10 :: v_dual_fmac_f32 v221, v4, v11
	s_delay_alu instid0(VALU_DEP_1) | instskip(SKIP_1) | instid1(VALU_DEP_1)
	v_fma_f32 v220, v1, v9, -v2
	v_mul_f32_e32 v1, v4, v12
	v_fma_f32 v222, v3, v11, -v1
	s_clause 0x1
	scratch_load_b128 v[1:4], off, off offset:368
	scratch_load_b128 v[9:12], off, off offset:384
	s_wait_loadcnt_dscnt 0x100
	v_mul_f32_e32 v223, v5, v2
	v_dual_mul_f32 v2, v6, v2 :: v_dual_mul_f32 v225, v7, v4
	s_delay_alu instid0(VALU_DEP_2) | instskip(NEXT) | instid1(VALU_DEP_2)
	v_fmac_f32_e32 v223, v6, v1
	v_fma_f32 v224, v5, v1, -v2
	v_mul_f32_e32 v1, v8, v4
	s_delay_alu instid0(VALU_DEP_4) | instskip(NEXT) | instid1(VALU_DEP_2)
	v_fmac_f32_e32 v225, v8, v3
	v_fma_f32 v226, v7, v3, -v1
	ds_load_b128 v[1:4], v155 offset:880
	ds_load_b128 v[5:8], v155 offset:896
	s_wait_loadcnt_dscnt 0x1
	v_mul_f32_e32 v227, v1, v10
	v_mul_f32_e32 v229, v3, v12
	s_delay_alu instid0(VALU_DEP_2) | instskip(NEXT) | instid1(VALU_DEP_2)
	v_fmac_f32_e32 v227, v2, v9
	v_dual_mul_f32 v2, v2, v10 :: v_dual_fmac_f32 v229, v4, v11
	s_delay_alu instid0(VALU_DEP_1) | instskip(SKIP_1) | instid1(VALU_DEP_1)
	v_fma_f32 v228, v1, v9, -v2
	v_mul_f32_e32 v1, v4, v12
	v_fma_f32 v230, v3, v11, -v1
	s_clause 0x1
	scratch_load_b128 v[1:4], off, off offset:400
	scratch_load_b128 v[9:12], off, off offset:416
	s_wait_loadcnt_dscnt 0x100
	v_mul_f32_e32 v231, v5, v2
	v_mul_f32_e32 v2, v6, v2
	s_delay_alu instid0(VALU_DEP_2) | instskip(NEXT) | instid1(VALU_DEP_2)
	v_fmac_f32_e32 v231, v6, v1
	v_fma_f32 v232, v5, v1, -v2
	v_mul_f32_e32 v1, v8, v4
	v_add_f32_e32 v2, 0, v156
	s_delay_alu instid0(VALU_DEP_2) | instskip(NEXT) | instid1(VALU_DEP_2)
	v_fma_f32 v234, v7, v3, -v1
	v_dual_add_f32 v1, 0, v21 :: v_dual_add_f32 v2, v2, v160
	s_delay_alu instid0(VALU_DEP_1) | instskip(NEXT) | instid1(VALU_DEP_1)
	v_dual_add_f32 v1, v1, v22 :: v_dual_add_f32 v2, v2, v23
	v_dual_add_f32 v1, v1, v25 :: v_dual_add_f32 v2, v2, v24
	s_delay_alu instid0(VALU_DEP_1) | instskip(SKIP_2) | instid1(VALU_DEP_1)
	v_dual_add_f32 v1, v1, v26 :: v_dual_add_f32 v2, v2, v161
	scratch_load_b64 v[25:26], off, off offset:480
	v_dual_add_f32 v1, v1, v27 :: v_dual_add_f32 v2, v2, v162
	v_dual_add_f32 v1, v1, v28 :: v_dual_add_f32 v2, v2, v29
	s_delay_alu instid0(VALU_DEP_1) | instskip(NEXT) | instid1(VALU_DEP_1)
	v_dual_add_f32 v1, v1, v13 :: v_dual_add_f32 v2, v2, v30
	v_dual_add_f32 v1, v1, v14 :: v_dual_add_f32 v2, v2, v15
	s_delay_alu instid0(VALU_DEP_1) | instskip(NEXT) | instid1(VALU_DEP_1)
	;; [unrolled: 3-line block ×8, first 2 shown]
	v_dual_add_f32 v1, v1, v180 :: v_dual_add_f32 v2, v2, v181
	v_add_f32_e32 v1, v1, v182
	s_delay_alu instid0(VALU_DEP_1) | instskip(NEXT) | instid1(VALU_DEP_1)
	v_add_f32_e32 v1, v1, v184
	v_add_f32_e32 v1, v1, v186
	s_delay_alu instid0(VALU_DEP_1) | instskip(NEXT) | instid1(VALU_DEP_1)
	v_add_f32_e32 v1, v1, v188
	;; [unrolled: 3-line block ×6, first 2 shown]
	v_add_f32_e32 v6, v1, v206
	v_add_f32_e32 v2, v2, v183
	s_delay_alu instid0(VALU_DEP_2) | instskip(NEXT) | instid1(VALU_DEP_2)
	v_add_f32_e32 v6, v6, v208
	v_add_f32_e32 v2, v2, v185
	s_delay_alu instid0(VALU_DEP_2) | instskip(NEXT) | instid1(VALU_DEP_1)
	v_add_f32_e32 v13, v6, v210
	v_dual_add_f32 v2, v2, v187 :: v_dual_add_f32 v13, v13, v212
	s_delay_alu instid0(VALU_DEP_1) | instskip(NEXT) | instid1(VALU_DEP_1)
	v_dual_add_f32 v2, v2, v189 :: v_dual_add_f32 v13, v13, v214
	v_dual_add_f32 v2, v2, v191 :: v_dual_add_f32 v13, v13, v216
	s_delay_alu instid0(VALU_DEP_1) | instskip(NEXT) | instid1(VALU_DEP_2)
	v_add_f32_e32 v2, v2, v193
	v_add_f32_e32 v18, v13, v218
	s_delay_alu instid0(VALU_DEP_2) | instskip(NEXT) | instid1(VALU_DEP_2)
	v_add_f32_e32 v2, v2, v195
	v_add_f32_e32 v18, v18, v220
	s_delay_alu instid0(VALU_DEP_2) | instskip(NEXT) | instid1(VALU_DEP_2)
	v_dual_add_f32 v2, v2, v197 :: v_dual_mul_f32 v233, v7, v4
	v_add_f32_e32 v18, v18, v222
	s_delay_alu instid0(VALU_DEP_2) | instskip(NEXT) | instid1(VALU_DEP_2)
	v_add_f32_e32 v2, v2, v199
	v_dual_fmac_f32 v233, v8, v3 :: v_dual_add_f32 v18, v18, v224
	s_delay_alu instid0(VALU_DEP_2) | instskip(NEXT) | instid1(VALU_DEP_2)
	v_add_f32_e32 v2, v2, v201
	v_add_f32_e32 v18, v18, v226
	s_delay_alu instid0(VALU_DEP_2) | instskip(SKIP_2) | instid1(VALU_DEP_1)
	v_add_f32_e32 v5, v2, v203
	ds_load_b128 v[1:4], v155 offset:912
	v_add_f32_e32 v27, v18, v228
	v_dual_add_f32 v5, v5, v205 :: v_dual_add_f32 v156, v27, v230
	s_delay_alu instid0(VALU_DEP_1) | instskip(NEXT) | instid1(VALU_DEP_1)
	v_dual_add_f32 v5, v5, v207 :: v_dual_add_f32 v156, v156, v232
	v_add_f32_e32 v14, v5, v209
	ds_load_b128 v[5:8], v155 offset:928
	v_add_f32_e32 v156, v156, v234
	s_wait_loadcnt_dscnt 0x101
	v_dual_add_f32 v14, v14, v211 :: v_dual_mul_f32 v29, v1, v10
	v_mul_f32_e32 v10, v2, v10
	v_mul_f32_e32 v30, v3, v12
	;; [unrolled: 1-line block ×3, first 2 shown]
	s_delay_alu instid0(VALU_DEP_4)
	v_add_f32_e32 v14, v14, v213
	v_fmac_f32_e32 v29, v2, v9
	v_fma_f32 v31, v1, v9, -v10
	v_fmac_f32_e32 v30, v4, v11
	v_fma_f32 v32, v3, v11, -v12
	s_clause 0x1
	scratch_load_b128 v[1:4], off, off offset:432
	scratch_load_b128 v[9:12], off, off offset:448
	v_add_f32_e32 v17, v14, v215
	scratch_load_b128 v[13:16], off, off offset:464
	v_add_f32_e32 v31, v156, v31
	v_add_f32_e32 v17, v17, v217
	s_delay_alu instid0(VALU_DEP_2) | instskip(NEXT) | instid1(VALU_DEP_2)
	v_add_f32_e32 v31, v31, v32
	v_add_f32_e32 v17, v17, v219
	s_wait_loadcnt_dscnt 0x200
	s_delay_alu instid0(VALU_DEP_1) | instskip(NEXT) | instid1(VALU_DEP_1)
	v_dual_add_f32 v17, v17, v221 :: v_dual_mul_f32 v162, v7, v4
	v_dual_add_f32 v17, v17, v223 :: v_dual_mul_f32 v4, v8, v4
	v_mul_f32_e32 v161, v5, v2
	v_mul_f32_e32 v2, v6, v2
	s_delay_alu instid0(VALU_DEP_3)
	v_dual_fmac_f32 v162, v8, v3 :: v_dual_add_f32 v21, v17, v225
	ds_load_b128 v[17:20], v155 offset:944
	v_fmac_f32_e32 v161, v6, v1
	v_fma_f32 v2, v5, v1, -v2
	v_fma_f32 v1, v7, v3, -v4
	v_add_f32_e32 v28, v21, v227
	ds_load_b128 v[21:24], v155 offset:960
	v_add_f32_e32 v2, v31, v2
	v_add_f32_e32 v160, v28, v229
	ds_load_b64 v[27:28], v155 offset:976
	s_wait_loadcnt_dscnt 0x102
	v_dual_add_f32 v1, v2, v1 :: v_dual_mul_f32 v156, v17, v10
	v_dual_add_f32 v160, v160, v231 :: v_dual_mul_f32 v3, v18, v10
	s_delay_alu instid0(VALU_DEP_2) | instskip(NEXT) | instid1(VALU_DEP_2)
	v_dual_mul_f32 v5, v20, v12 :: v_dual_fmac_f32 v156, v18, v9
	v_add_f32_e32 v160, v160, v233
	s_delay_alu instid0(VALU_DEP_3)
	v_fma_f32 v3, v17, v9, -v3
	s_wait_loadcnt_dscnt 0x1
	v_mul_f32_e32 v163, v21, v14
	v_fma_f32 v5, v19, v11, -v5
	v_dual_mul_f32 v32, v23, v16 :: v_dual_add_f32 v29, v160, v29
	v_dual_mul_f32 v160, v19, v12 :: v_dual_add_f32 v1, v1, v3
	v_mul_f32_e32 v3, v24, v16
	v_fmac_f32_e32 v163, v22, v13
	s_delay_alu instid0(VALU_DEP_3) | instskip(SKIP_2) | instid1(VALU_DEP_2)
	v_dual_add_f32 v29, v29, v30 :: v_dual_fmac_f32 v160, v20, v11
	s_wait_dscnt 0x0
	v_dual_add_f32 v1, v1, v5 :: v_dual_mul_f32 v30, v27, v26
	v_dual_mul_f32 v5, v28, v26 :: v_dual_add_f32 v4, v29, v161
	v_fmac_f32_e32 v32, v24, v15
	v_fma_f32 v3, v23, v15, -v3
	s_delay_alu instid0(VALU_DEP_4) | instskip(NEXT) | instid1(VALU_DEP_4)
	v_fmac_f32_e32 v30, v28, v25
	v_add_f32_e32 v2, v4, v162
	v_mul_f32_e32 v4, v22, v14
	s_delay_alu instid0(VALU_DEP_2) | instskip(NEXT) | instid1(VALU_DEP_2)
	v_add_f32_e32 v2, v2, v156
	v_fma_f32 v4, v21, v13, -v4
	s_delay_alu instid0(VALU_DEP_2) | instskip(NEXT) | instid1(VALU_DEP_2)
	v_add_f32_e32 v2, v2, v160
	v_add_f32_e32 v1, v1, v4
	v_fma_f32 v4, v27, v25, -v5
	s_delay_alu instid0(VALU_DEP_3) | instskip(NEXT) | instid1(VALU_DEP_1)
	v_add_f32_e32 v2, v2, v163
	v_dual_add_f32 v1, v1, v3 :: v_dual_add_f32 v2, v2, v32
	s_delay_alu instid0(VALU_DEP_1) | instskip(NEXT) | instid1(VALU_DEP_1)
	v_dual_add_f32 v1, v1, v4 :: v_dual_add_f32 v2, v2, v30
	v_dual_sub_f32 v1, v158, v1 :: v_dual_sub_f32 v2, v159, v2
	scratch_store_b64 off, v[1:2], off offset:24
	v_cmpx_lt_u32_e32 2, v0
	s_cbranch_execz .LBB60_375
; %bb.374:
	scratch_load_b64 v[1:2], off, off offset:16
	v_mov_b32_e32 v156, v155
	scratch_store_b64 off, v[155:156], off offset:16
	s_wait_loadcnt 0x0
	ds_store_b64 v157, v[1:2]
.LBB60_375:
	s_wait_alu 0xfffe
	s_or_b32 exec_lo, exec_lo, s0
	s_wait_storecnt_dscnt 0x0
	s_barrier_signal -1
	s_barrier_wait -1
	global_inv scope:SCOPE_SE
	s_clause 0x4
	scratch_load_b128 v[5:8], off, off offset:24
	scratch_load_b128 v[1:4], off, off offset:40
	;; [unrolled: 1-line block ×5, first 2 shown]
	ds_load_2addr_b64 v[21:24], v155 offset0:65 offset1:66
	ds_load_2addr_b64 v[25:28], v155 offset0:67 offset1:68
	;; [unrolled: 1-line block ×3, first 2 shown]
	scratch_load_b64 v[158:159], off, off offset:16
	s_mov_b32 s0, exec_lo
	s_wait_loadcnt_dscnt 0x502
	v_mul_f32_e32 v156, v21, v6
	v_mul_f32_e32 v160, v23, v8
	;; [unrolled: 1-line block ×3, first 2 shown]
	s_wait_loadcnt_dscnt 0x300
	v_dual_mul_f32 v8, v24, v8 :: v_dual_mul_f32 v161, v29, v10
	v_fmac_f32_e32 v156, v22, v5
	v_mul_f32_e32 v162, v31, v12
	v_fma_f32 v21, v21, v5, -v6
	s_delay_alu instid0(VALU_DEP_4)
	v_fma_f32 v22, v23, v7, -v8
	v_dual_mul_f32 v23, v25, v2 :: v_dual_fmac_f32 v160, v24, v7
	v_fmac_f32_e32 v161, v30, v9
	ds_load_2addr_b64 v[5:8], v155 offset0:71 offset1:72
	v_mul_f32_e32 v24, v27, v4
	v_mul_f32_e32 v2, v26, v2
	v_mul_f32_e32 v4, v28, v4
	v_mul_f32_e32 v10, v30, v10
	s_delay_alu instid0(VALU_DEP_4) | instskip(NEXT) | instid1(VALU_DEP_4)
	v_dual_fmac_f32 v23, v26, v1 :: v_dual_fmac_f32 v24, v28, v3
	v_fma_f32 v25, v25, v1, -v2
	s_delay_alu instid0(VALU_DEP_4) | instskip(SKIP_4) | instid1(VALU_DEP_3)
	v_fma_f32 v26, v27, v3, -v4
	scratch_load_b128 v[1:4], off, off offset:104
	v_mul_f32_e32 v12, v32, v12
	v_fmac_f32_e32 v162, v32, v11
	v_fma_f32 v27, v29, v9, -v10
	v_fma_f32 v28, v31, v11, -v12
	ds_load_2addr_b64 v[9:12], v155 offset0:73 offset1:74
	s_wait_loadcnt_dscnt 0x301
	v_dual_mul_f32 v29, v5, v14 :: v_dual_mul_f32 v30, v7, v16
	v_mul_f32_e32 v14, v6, v14
	s_delay_alu instid0(VALU_DEP_2) | instskip(NEXT) | instid1(VALU_DEP_3)
	v_dual_mul_f32 v16, v8, v16 :: v_dual_fmac_f32 v29, v6, v13
	v_fmac_f32_e32 v30, v8, v15
	s_delay_alu instid0(VALU_DEP_3) | instskip(NEXT) | instid1(VALU_DEP_3)
	v_fma_f32 v13, v5, v13, -v14
	v_fma_f32 v14, v7, v15, -v16
	ds_load_2addr_b64 v[5:8], v155 offset0:75 offset1:76
	s_wait_loadcnt_dscnt 0x201
	v_dual_mul_f32 v15, v9, v18 :: v_dual_mul_f32 v16, v11, v20
	v_mul_f32_e32 v18, v10, v18
	s_delay_alu instid0(VALU_DEP_2) | instskip(NEXT) | instid1(VALU_DEP_3)
	v_dual_mul_f32 v20, v12, v20 :: v_dual_fmac_f32 v15, v10, v17
	v_fmac_f32_e32 v16, v12, v19
	s_delay_alu instid0(VALU_DEP_3) | instskip(NEXT) | instid1(VALU_DEP_3)
	v_fma_f32 v17, v9, v17, -v18
	v_fma_f32 v18, v11, v19, -v20
	scratch_load_b128 v[9:12], off, off offset:120
	s_wait_loadcnt_dscnt 0x100
	v_mul_f32_e32 v19, v5, v2
	v_mul_f32_e32 v2, v6, v2
	;; [unrolled: 1-line block ×3, first 2 shown]
	s_delay_alu instid0(VALU_DEP_3) | instskip(NEXT) | instid1(VALU_DEP_3)
	v_dual_mul_f32 v4, v8, v4 :: v_dual_fmac_f32 v19, v6, v1
	v_fma_f32 v31, v5, v1, -v2
	s_delay_alu instid0(VALU_DEP_3) | instskip(NEXT) | instid1(VALU_DEP_3)
	v_fmac_f32_e32 v20, v8, v3
	v_fma_f32 v32, v7, v3, -v4
	ds_load_2addr_b64 v[1:4], v155 offset0:77 offset1:78
	ds_load_2addr_b64 v[5:8], v155 offset0:79 offset1:80
	s_wait_loadcnt_dscnt 0x1
	v_mul_f32_e32 v163, v1, v10
	v_mul_f32_e32 v10, v2, v10
	s_delay_alu instid0(VALU_DEP_2) | instskip(NEXT) | instid1(VALU_DEP_2)
	v_dual_mul_f32 v164, v3, v12 :: v_dual_fmac_f32 v163, v2, v9
	v_fma_f32 v165, v1, v9, -v10
	v_mul_f32_e32 v1, v4, v12
	s_delay_alu instid0(VALU_DEP_3) | instskip(NEXT) | instid1(VALU_DEP_2)
	v_fmac_f32_e32 v164, v4, v11
	v_fma_f32 v166, v3, v11, -v1
	s_clause 0x1
	scratch_load_b128 v[1:4], off, off offset:136
	scratch_load_b128 v[9:12], off, off offset:152
	s_wait_loadcnt_dscnt 0x100
	v_mul_f32_e32 v167, v5, v2
	v_dual_mul_f32 v2, v6, v2 :: v_dual_mul_f32 v169, v7, v4
	s_delay_alu instid0(VALU_DEP_2) | instskip(NEXT) | instid1(VALU_DEP_2)
	v_fmac_f32_e32 v167, v6, v1
	v_fma_f32 v168, v5, v1, -v2
	v_mul_f32_e32 v1, v8, v4
	s_delay_alu instid0(VALU_DEP_4) | instskip(NEXT) | instid1(VALU_DEP_2)
	v_fmac_f32_e32 v169, v8, v3
	v_fma_f32 v170, v7, v3, -v1
	ds_load_2addr_b64 v[1:4], v155 offset0:81 offset1:82
	ds_load_2addr_b64 v[5:8], v155 offset0:83 offset1:84
	s_wait_loadcnt_dscnt 0x1
	v_mul_f32_e32 v171, v1, v10
	v_mul_f32_e32 v173, v3, v12
	s_delay_alu instid0(VALU_DEP_2) | instskip(NEXT) | instid1(VALU_DEP_2)
	v_fmac_f32_e32 v171, v2, v9
	v_dual_mul_f32 v2, v2, v10 :: v_dual_fmac_f32 v173, v4, v11
	s_delay_alu instid0(VALU_DEP_1) | instskip(SKIP_1) | instid1(VALU_DEP_1)
	v_fma_f32 v172, v1, v9, -v2
	v_mul_f32_e32 v1, v4, v12
	v_fma_f32 v174, v3, v11, -v1
	s_clause 0x1
	scratch_load_b128 v[1:4], off, off offset:168
	scratch_load_b128 v[9:12], off, off offset:184
	s_wait_loadcnt_dscnt 0x100
	v_mul_f32_e32 v175, v5, v2
	v_dual_mul_f32 v2, v6, v2 :: v_dual_mul_f32 v177, v7, v4
	s_delay_alu instid0(VALU_DEP_2) | instskip(NEXT) | instid1(VALU_DEP_2)
	v_fmac_f32_e32 v175, v6, v1
	v_fma_f32 v176, v5, v1, -v2
	v_mul_f32_e32 v1, v8, v4
	s_delay_alu instid0(VALU_DEP_4) | instskip(NEXT) | instid1(VALU_DEP_2)
	v_fmac_f32_e32 v177, v8, v3
	v_fma_f32 v178, v7, v3, -v1
	ds_load_2addr_b64 v[1:4], v155 offset0:85 offset1:86
	ds_load_2addr_b64 v[5:8], v155 offset0:87 offset1:88
	s_wait_loadcnt_dscnt 0x1
	v_mul_f32_e32 v179, v1, v10
	v_mul_f32_e32 v181, v3, v12
	s_delay_alu instid0(VALU_DEP_2) | instskip(NEXT) | instid1(VALU_DEP_2)
	v_fmac_f32_e32 v179, v2, v9
	v_dual_mul_f32 v2, v2, v10 :: v_dual_fmac_f32 v181, v4, v11
	s_delay_alu instid0(VALU_DEP_1) | instskip(SKIP_1) | instid1(VALU_DEP_1)
	v_fma_f32 v180, v1, v9, -v2
	v_mul_f32_e32 v1, v4, v12
	;; [unrolled: 25-line block ×8, first 2 shown]
	v_fma_f32 v230, v3, v11, -v1
	s_clause 0x1
	scratch_load_b128 v[1:4], off, off offset:392
	scratch_load_b128 v[9:12], off, off offset:408
	s_wait_loadcnt_dscnt 0x100
	v_mul_f32_e32 v231, v5, v2
	v_dual_mul_f32 v2, v6, v2 :: v_dual_mul_f32 v233, v7, v4
	s_delay_alu instid0(VALU_DEP_2) | instskip(NEXT) | instid1(VALU_DEP_2)
	v_fmac_f32_e32 v231, v6, v1
	v_fma_f32 v232, v5, v1, -v2
	v_mul_f32_e32 v1, v8, v4
	v_add_f32_e32 v2, 0, v156
	s_delay_alu instid0(VALU_DEP_2) | instskip(NEXT) | instid1(VALU_DEP_2)
	v_fma_f32 v234, v7, v3, -v1
	v_dual_add_f32 v1, 0, v21 :: v_dual_add_f32 v2, v2, v160
	s_delay_alu instid0(VALU_DEP_1) | instskip(NEXT) | instid1(VALU_DEP_1)
	v_dual_add_f32 v1, v1, v22 :: v_dual_add_f32 v2, v2, v23
	v_dual_add_f32 v1, v1, v25 :: v_dual_add_f32 v2, v2, v24
	s_delay_alu instid0(VALU_DEP_1) | instskip(NEXT) | instid1(VALU_DEP_1)
	v_dual_add_f32 v1, v1, v26 :: v_dual_add_f32 v2, v2, v161
	;; [unrolled: 3-line block ×10, first 2 shown]
	v_dual_add_f32 v1, v1, v180 :: v_dual_add_f32 v2, v2, v181
	s_delay_alu instid0(VALU_DEP_1) | instskip(NEXT) | instid1(VALU_DEP_1)
	v_add_f32_e32 v1, v1, v182
	v_add_f32_e32 v1, v1, v184
	s_delay_alu instid0(VALU_DEP_1) | instskip(NEXT) | instid1(VALU_DEP_1)
	v_add_f32_e32 v1, v1, v186
	v_add_f32_e32 v1, v1, v188
	;; [unrolled: 3-line block ×7, first 2 shown]
	v_add_f32_e32 v2, v2, v183
	s_delay_alu instid0(VALU_DEP_2) | instskip(NEXT) | instid1(VALU_DEP_2)
	v_add_f32_e32 v14, v6, v210
	v_add_f32_e32 v2, v2, v185
	s_delay_alu instid0(VALU_DEP_2) | instskip(NEXT) | instid1(VALU_DEP_2)
	v_add_f32_e32 v14, v14, v212
	v_add_f32_e32 v2, v2, v187
	s_delay_alu instid0(VALU_DEP_2) | instskip(NEXT) | instid1(VALU_DEP_1)
	v_add_f32_e32 v17, v14, v214
	v_dual_add_f32 v2, v2, v189 :: v_dual_add_f32 v17, v17, v216
	s_delay_alu instid0(VALU_DEP_1) | instskip(NEXT) | instid1(VALU_DEP_1)
	v_dual_add_f32 v2, v2, v191 :: v_dual_add_f32 v17, v17, v218
	v_dual_add_f32 v2, v2, v193 :: v_dual_add_f32 v17, v17, v220
	s_delay_alu instid0(VALU_DEP_1) | instskip(NEXT) | instid1(VALU_DEP_2)
	v_add_f32_e32 v2, v2, v195
	v_add_f32_e32 v22, v17, v222
	s_delay_alu instid0(VALU_DEP_2) | instskip(NEXT) | instid1(VALU_DEP_2)
	v_add_f32_e32 v2, v2, v197
	v_add_f32_e32 v22, v22, v224
	s_delay_alu instid0(VALU_DEP_2) | instskip(NEXT) | instid1(VALU_DEP_2)
	v_add_f32_e32 v2, v2, v199
	v_add_f32_e32 v22, v22, v226
	s_delay_alu instid0(VALU_DEP_2) | instskip(NEXT) | instid1(VALU_DEP_1)
	v_add_f32_e32 v2, v2, v201
	v_add_f32_e32 v2, v2, v203
	s_delay_alu instid0(VALU_DEP_1) | instskip(NEXT) | instid1(VALU_DEP_1)
	v_add_f32_e32 v5, v2, v205
	v_add_f32_e32 v13, v5, v207
	s_delay_alu instid0(VALU_DEP_1) | instskip(NEXT) | instid1(VALU_DEP_1)
	v_add_f32_e32 v13, v13, v209
	v_add_f32_e32 v13, v13, v211
	s_delay_alu instid0(VALU_DEP_1)
	v_add_f32_e32 v18, v13, v213
	ds_load_2addr_b64 v[13:16], v155 offset0:115 offset1:116
	v_add_f32_e32 v18, v18, v215
	v_fmac_f32_e32 v233, v8, v3
	scratch_load_b128 v[5:8], off, off offset:424
	ds_load_2addr_b64 v[1:4], v155 offset0:113 offset1:114
	v_add_f32_e32 v18, v18, v217
	s_delay_alu instid0(VALU_DEP_1) | instskip(SKIP_2) | instid1(VALU_DEP_1)
	v_add_f32_e32 v21, v18, v219
	scratch_load_b128 v[17:20], off, off offset:472
	v_add_f32_e32 v21, v21, v221
	v_add_f32_e32 v21, v21, v223
	s_wait_loadcnt_dscnt 0x200
	v_mul_f32_e32 v25, v1, v10
	v_mul_f32_e32 v10, v2, v10
	;; [unrolled: 1-line block ×3, first 2 shown]
	s_delay_alu instid0(VALU_DEP_3) | instskip(NEXT) | instid1(VALU_DEP_3)
	v_dual_mul_f32 v12, v4, v12 :: v_dual_fmac_f32 v25, v2, v9
	v_fma_f32 v27, v1, v9, -v10
	s_delay_alu instid0(VALU_DEP_3) | instskip(NEXT) | instid1(VALU_DEP_3)
	v_fmac_f32_e32 v26, v4, v11
	v_fma_f32 v28, v3, v11, -v12
	s_clause 0x1
	scratch_load_b128 v[1:4], off, off offset:440
	scratch_load_b128 v[9:12], off, off offset:456
	s_wait_loadcnt 0x3
	v_mul_f32_e32 v29, v13, v6
	v_mul_f32_e32 v6, v14, v6
	;; [unrolled: 1-line block ×3, first 2 shown]
	s_delay_alu instid0(VALU_DEP_3) | instskip(NEXT) | instid1(VALU_DEP_3)
	v_dual_mul_f32 v8, v16, v8 :: v_dual_fmac_f32 v29, v14, v5
	v_fma_f32 v31, v13, v5, -v6
	v_add_f32_e32 v13, v21, v225
	s_delay_alu instid0(VALU_DEP_4) | instskip(NEXT) | instid1(VALU_DEP_4)
	v_dual_add_f32 v21, v22, v228 :: v_dual_fmac_f32 v30, v16, v7
	v_fma_f32 v32, v15, v7, -v8
	ds_load_2addr_b64 v[5:8], v155 offset0:117 offset1:118
	v_add_f32_e32 v22, v13, v227
	v_add_f32_e32 v156, v21, v230
	ds_load_2addr_b64 v[13:16], v155 offset0:119 offset1:120
	v_add_f32_e32 v160, v22, v229
	ds_load_2addr_b64 v[21:24], v155 offset0:121 offset1:122
	v_add_f32_e32 v155, v156, v232
	s_delay_alu instid0(VALU_DEP_1) | instskip(NEXT) | instid1(VALU_DEP_1)
	v_dual_add_f32 v156, v160, v231 :: v_dual_add_f32 v155, v155, v234
	v_dual_add_f32 v156, v156, v233 :: v_dual_add_f32 v27, v155, v27
	s_wait_loadcnt_dscnt 0x102
	s_delay_alu instid0(VALU_DEP_1) | instskip(NEXT) | instid1(VALU_DEP_2)
	v_dual_mul_f32 v160, v5, v2 :: v_dual_add_f32 v25, v156, v25
	v_dual_mul_f32 v2, v6, v2 :: v_dual_add_f32 v27, v27, v28
	v_mul_f32_e32 v155, v7, v4
	s_delay_alu instid0(VALU_DEP_3) | instskip(NEXT) | instid1(VALU_DEP_3)
	v_dual_mul_f32 v4, v8, v4 :: v_dual_add_f32 v25, v25, v26
	v_fma_f32 v2, v5, v1, -v2
	s_delay_alu instid0(VALU_DEP_4) | instskip(SKIP_3) | instid1(VALU_DEP_3)
	v_dual_add_f32 v27, v27, v31 :: v_dual_fmac_f32 v160, v6, v1
	s_wait_loadcnt_dscnt 0x1
	v_mul_f32_e32 v156, v13, v10
	v_dual_add_f32 v25, v25, v29 :: v_dual_mul_f32 v6, v14, v10
	v_add_f32_e32 v1, v27, v32
	v_fmac_f32_e32 v155, v8, v3
	v_fma_f32 v3, v7, v3, -v4
	s_delay_alu instid0(VALU_DEP_4) | instskip(SKIP_3) | instid1(VALU_DEP_4)
	v_add_f32_e32 v5, v25, v30
	v_mul_f32_e32 v161, v15, v12
	v_dual_add_f32 v1, v1, v2 :: v_dual_mul_f32 v4, v16, v12
	v_fmac_f32_e32 v156, v14, v9
	v_add_f32_e32 v2, v5, v160
	v_fma_f32 v5, v13, v9, -v6
	s_delay_alu instid0(VALU_DEP_4)
	v_add_f32_e32 v1, v1, v3
	s_wait_dscnt 0x0
	v_mul_f32_e32 v26, v21, v18
	v_mul_f32_e32 v3, v22, v18
	v_add_f32_e32 v2, v2, v155
	v_fmac_f32_e32 v161, v16, v11
	v_fma_f32 v4, v15, v11, -v4
	v_dual_add_f32 v1, v1, v5 :: v_dual_mul_f32 v28, v23, v20
	s_delay_alu instid0(VALU_DEP_4) | instskip(SKIP_2) | instid1(VALU_DEP_3)
	v_add_f32_e32 v2, v2, v156
	v_dual_mul_f32 v5, v24, v20 :: v_dual_fmac_f32 v26, v22, v17
	v_fma_f32 v3, v21, v17, -v3
	v_dual_add_f32 v1, v1, v4 :: v_dual_add_f32 v2, v2, v161
	v_fmac_f32_e32 v28, v24, v19
	s_delay_alu instid0(VALU_DEP_4) | instskip(NEXT) | instid1(VALU_DEP_3)
	v_fma_f32 v4, v23, v19, -v5
	v_dual_add_f32 v1, v1, v3 :: v_dual_add_f32 v2, v2, v26
	s_delay_alu instid0(VALU_DEP_1) | instskip(NEXT) | instid1(VALU_DEP_2)
	v_add_f32_e32 v1, v1, v4
	v_add_f32_e32 v2, v2, v28
	s_delay_alu instid0(VALU_DEP_1)
	v_dual_sub_f32 v1, v158, v1 :: v_dual_sub_f32 v2, v159, v2
	scratch_store_b64 off, v[1:2], off offset:16
	v_cmpx_lt_u32_e32 1, v0
	s_cbranch_execz .LBB60_377
; %bb.376:
	scratch_load_b64 v[1:2], off, off offset:8
	v_mov_b32_e32 v3, 0
	s_delay_alu instid0(VALU_DEP_1)
	v_mov_b32_e32 v4, v3
	scratch_store_b64 off, v[3:4], off offset:8
	s_wait_loadcnt 0x0
	ds_store_b64 v157, v[1:2]
.LBB60_377:
	s_wait_alu 0xfffe
	s_or_b32 exec_lo, exec_lo, s0
	s_wait_storecnt_dscnt 0x0
	s_barrier_signal -1
	s_barrier_wait -1
	global_inv scope:SCOPE_SE
	s_clause 0x4
	scratch_load_b128 v[5:8], off, off offset:16
	scratch_load_b128 v[1:4], off, off offset:32
	;; [unrolled: 1-line block ×5, first 2 shown]
	v_mov_b32_e32 v155, 0
	ds_load_b128 v[21:24], v155 offset:512
	ds_load_b128 v[25:28], v155 offset:528
	ds_load_b128 v[29:32], v155 offset:544
	scratch_load_b64 v[158:159], off, off offset:8
	s_mov_b32 s0, exec_lo
	s_wait_loadcnt_dscnt 0x502
	v_mul_f32_e32 v156, v21, v6
	v_mul_f32_e32 v160, v23, v8
	;; [unrolled: 1-line block ×3, first 2 shown]
	s_wait_loadcnt_dscnt 0x300
	v_dual_mul_f32 v8, v24, v8 :: v_dual_mul_f32 v161, v29, v10
	v_fmac_f32_e32 v156, v22, v5
	v_mul_f32_e32 v162, v31, v12
	v_fma_f32 v21, v21, v5, -v6
	s_delay_alu instid0(VALU_DEP_4)
	v_fma_f32 v22, v23, v7, -v8
	v_dual_mul_f32 v23, v25, v2 :: v_dual_fmac_f32 v160, v24, v7
	ds_load_b128 v[5:8], v155 offset:560
	v_dual_mul_f32 v24, v27, v4 :: v_dual_fmac_f32 v161, v30, v9
	v_mul_f32_e32 v2, v26, v2
	v_mul_f32_e32 v4, v28, v4
	;; [unrolled: 1-line block ×3, first 2 shown]
	s_delay_alu instid0(VALU_DEP_4) | instskip(NEXT) | instid1(VALU_DEP_4)
	v_dual_fmac_f32 v23, v26, v1 :: v_dual_fmac_f32 v24, v28, v3
	v_fma_f32 v25, v25, v1, -v2
	s_delay_alu instid0(VALU_DEP_4) | instskip(SKIP_4) | instid1(VALU_DEP_3)
	v_fma_f32 v26, v27, v3, -v4
	scratch_load_b128 v[1:4], off, off offset:96
	v_mul_f32_e32 v12, v32, v12
	v_fmac_f32_e32 v162, v32, v11
	v_fma_f32 v27, v29, v9, -v10
	v_fma_f32 v28, v31, v11, -v12
	ds_load_b128 v[9:12], v155 offset:576
	s_wait_loadcnt_dscnt 0x301
	v_dual_mul_f32 v29, v5, v14 :: v_dual_mul_f32 v30, v7, v16
	v_mul_f32_e32 v14, v6, v14
	s_delay_alu instid0(VALU_DEP_2) | instskip(NEXT) | instid1(VALU_DEP_3)
	v_dual_mul_f32 v16, v8, v16 :: v_dual_fmac_f32 v29, v6, v13
	v_fmac_f32_e32 v30, v8, v15
	s_delay_alu instid0(VALU_DEP_3) | instskip(NEXT) | instid1(VALU_DEP_3)
	v_fma_f32 v13, v5, v13, -v14
	v_fma_f32 v14, v7, v15, -v16
	ds_load_b128 v[5:8], v155 offset:592
	s_wait_loadcnt_dscnt 0x201
	v_dual_mul_f32 v15, v9, v18 :: v_dual_mul_f32 v16, v11, v20
	v_mul_f32_e32 v18, v10, v18
	s_delay_alu instid0(VALU_DEP_2) | instskip(NEXT) | instid1(VALU_DEP_3)
	v_dual_mul_f32 v20, v12, v20 :: v_dual_fmac_f32 v15, v10, v17
	v_fmac_f32_e32 v16, v12, v19
	s_delay_alu instid0(VALU_DEP_3) | instskip(NEXT) | instid1(VALU_DEP_3)
	v_fma_f32 v17, v9, v17, -v18
	v_fma_f32 v18, v11, v19, -v20
	scratch_load_b128 v[9:12], off, off offset:112
	s_wait_loadcnt_dscnt 0x100
	v_dual_mul_f32 v19, v5, v2 :: v_dual_mul_f32 v20, v7, v4
	v_mul_f32_e32 v2, v6, v2
	s_delay_alu instid0(VALU_DEP_2) | instskip(NEXT) | instid1(VALU_DEP_3)
	v_dual_mul_f32 v4, v8, v4 :: v_dual_fmac_f32 v19, v6, v1
	v_fmac_f32_e32 v20, v8, v3
	s_delay_alu instid0(VALU_DEP_3) | instskip(NEXT) | instid1(VALU_DEP_3)
	v_fma_f32 v31, v5, v1, -v2
	v_fma_f32 v32, v7, v3, -v4
	ds_load_b128 v[1:4], v155 offset:608
	ds_load_b128 v[5:8], v155 offset:624
	s_wait_loadcnt_dscnt 0x1
	v_mul_f32_e32 v163, v1, v10
	v_mul_f32_e32 v10, v2, v10
	s_delay_alu instid0(VALU_DEP_2) | instskip(NEXT) | instid1(VALU_DEP_2)
	v_dual_mul_f32 v164, v3, v12 :: v_dual_fmac_f32 v163, v2, v9
	v_fma_f32 v165, v1, v9, -v10
	v_mul_f32_e32 v1, v4, v12
	s_delay_alu instid0(VALU_DEP_3) | instskip(NEXT) | instid1(VALU_DEP_2)
	v_fmac_f32_e32 v164, v4, v11
	v_fma_f32 v166, v3, v11, -v1
	s_clause 0x1
	scratch_load_b128 v[1:4], off, off offset:128
	scratch_load_b128 v[9:12], off, off offset:144
	s_wait_loadcnt_dscnt 0x100
	v_mul_f32_e32 v167, v5, v2
	v_dual_mul_f32 v2, v6, v2 :: v_dual_mul_f32 v169, v7, v4
	s_delay_alu instid0(VALU_DEP_2) | instskip(NEXT) | instid1(VALU_DEP_2)
	v_fmac_f32_e32 v167, v6, v1
	v_fma_f32 v168, v5, v1, -v2
	v_mul_f32_e32 v1, v8, v4
	s_delay_alu instid0(VALU_DEP_4) | instskip(NEXT) | instid1(VALU_DEP_2)
	v_fmac_f32_e32 v169, v8, v3
	v_fma_f32 v170, v7, v3, -v1
	ds_load_b128 v[1:4], v155 offset:640
	ds_load_b128 v[5:8], v155 offset:656
	s_wait_loadcnt_dscnt 0x1
	v_mul_f32_e32 v171, v1, v10
	v_mul_f32_e32 v173, v3, v12
	s_delay_alu instid0(VALU_DEP_2) | instskip(NEXT) | instid1(VALU_DEP_2)
	v_fmac_f32_e32 v171, v2, v9
	v_dual_mul_f32 v2, v2, v10 :: v_dual_fmac_f32 v173, v4, v11
	s_delay_alu instid0(VALU_DEP_1) | instskip(SKIP_1) | instid1(VALU_DEP_1)
	v_fma_f32 v172, v1, v9, -v2
	v_mul_f32_e32 v1, v4, v12
	v_fma_f32 v174, v3, v11, -v1
	s_clause 0x1
	scratch_load_b128 v[1:4], off, off offset:160
	scratch_load_b128 v[9:12], off, off offset:176
	s_wait_loadcnt_dscnt 0x100
	v_mul_f32_e32 v175, v5, v2
	v_dual_mul_f32 v2, v6, v2 :: v_dual_mul_f32 v177, v7, v4
	s_delay_alu instid0(VALU_DEP_2) | instskip(NEXT) | instid1(VALU_DEP_2)
	v_fmac_f32_e32 v175, v6, v1
	v_fma_f32 v176, v5, v1, -v2
	v_mul_f32_e32 v1, v8, v4
	s_delay_alu instid0(VALU_DEP_4) | instskip(NEXT) | instid1(VALU_DEP_2)
	v_fmac_f32_e32 v177, v8, v3
	v_fma_f32 v178, v7, v3, -v1
	ds_load_b128 v[1:4], v155 offset:672
	ds_load_b128 v[5:8], v155 offset:688
	s_wait_loadcnt_dscnt 0x1
	v_mul_f32_e32 v179, v1, v10
	v_mul_f32_e32 v181, v3, v12
	s_delay_alu instid0(VALU_DEP_2) | instskip(NEXT) | instid1(VALU_DEP_2)
	v_fmac_f32_e32 v179, v2, v9
	v_dual_mul_f32 v2, v2, v10 :: v_dual_fmac_f32 v181, v4, v11
	s_delay_alu instid0(VALU_DEP_1) | instskip(SKIP_1) | instid1(VALU_DEP_1)
	v_fma_f32 v180, v1, v9, -v2
	v_mul_f32_e32 v1, v4, v12
	;; [unrolled: 25-line block ×8, first 2 shown]
	v_fma_f32 v230, v3, v11, -v1
	s_clause 0x1
	scratch_load_b128 v[1:4], off, off offset:384
	scratch_load_b128 v[9:12], off, off offset:400
	s_wait_loadcnt_dscnt 0x100
	v_mul_f32_e32 v231, v5, v2
	v_dual_mul_f32 v2, v6, v2 :: v_dual_mul_f32 v233, v7, v4
	s_delay_alu instid0(VALU_DEP_2) | instskip(NEXT) | instid1(VALU_DEP_2)
	v_fmac_f32_e32 v231, v6, v1
	v_fma_f32 v232, v5, v1, -v2
	v_mul_f32_e32 v1, v8, v4
	v_add_f32_e32 v2, 0, v156
	s_delay_alu instid0(VALU_DEP_2) | instskip(NEXT) | instid1(VALU_DEP_2)
	v_fma_f32 v234, v7, v3, -v1
	v_dual_add_f32 v1, 0, v21 :: v_dual_add_f32 v2, v2, v160
	s_delay_alu instid0(VALU_DEP_1) | instskip(NEXT) | instid1(VALU_DEP_1)
	v_dual_add_f32 v1, v1, v22 :: v_dual_add_f32 v2, v2, v23
	v_dual_add_f32 v1, v1, v25 :: v_dual_add_f32 v2, v2, v24
	s_delay_alu instid0(VALU_DEP_1) | instskip(SKIP_2) | instid1(VALU_DEP_1)
	v_add_f32_e32 v1, v1, v26
	scratch_load_b64 v[25:26], off, off offset:480
	v_dual_add_f32 v2, v2, v161 :: v_dual_add_f32 v1, v1, v27
	v_dual_add_f32 v2, v2, v162 :: v_dual_add_f32 v1, v1, v28
	s_delay_alu instid0(VALU_DEP_1) | instskip(NEXT) | instid1(VALU_DEP_1)
	v_add_f32_e32 v2, v2, v29
	v_dual_add_f32 v1, v1, v13 :: v_dual_add_f32 v2, v2, v30
	s_delay_alu instid0(VALU_DEP_1) | instskip(NEXT) | instid1(VALU_DEP_1)
	v_dual_add_f32 v1, v1, v14 :: v_dual_add_f32 v2, v2, v15
	v_dual_add_f32 v1, v1, v17 :: v_dual_add_f32 v2, v2, v16
	s_delay_alu instid0(VALU_DEP_1) | instskip(NEXT) | instid1(VALU_DEP_1)
	v_dual_add_f32 v1, v1, v18 :: v_dual_add_f32 v2, v2, v19
	;; [unrolled: 3-line block ×7, first 2 shown]
	v_dual_add_f32 v1, v1, v180 :: v_dual_add_f32 v2, v2, v181
	s_delay_alu instid0(VALU_DEP_1) | instskip(NEXT) | instid1(VALU_DEP_1)
	v_add_f32_e32 v1, v1, v182
	v_add_f32_e32 v1, v1, v184
	s_delay_alu instid0(VALU_DEP_1) | instskip(NEXT) | instid1(VALU_DEP_1)
	v_add_f32_e32 v1, v1, v186
	v_add_f32_e32 v1, v1, v188
	;; [unrolled: 3-line block ×7, first 2 shown]
	v_add_f32_e32 v2, v2, v183
	s_delay_alu instid0(VALU_DEP_2) | instskip(NEXT) | instid1(VALU_DEP_2)
	v_add_f32_e32 v14, v6, v210
	v_dual_add_f32 v2, v2, v185 :: v_dual_fmac_f32 v233, v8, v3
	s_delay_alu instid0(VALU_DEP_2) | instskip(NEXT) | instid1(VALU_DEP_2)
	v_add_f32_e32 v14, v14, v212
	v_add_f32_e32 v2, v2, v187
	s_delay_alu instid0(VALU_DEP_2) | instskip(NEXT) | instid1(VALU_DEP_1)
	v_add_f32_e32 v17, v14, v214
	v_dual_add_f32 v2, v2, v189 :: v_dual_add_f32 v17, v17, v216
	s_delay_alu instid0(VALU_DEP_1) | instskip(NEXT) | instid1(VALU_DEP_1)
	v_dual_add_f32 v2, v2, v191 :: v_dual_add_f32 v17, v17, v218
	v_dual_add_f32 v2, v2, v193 :: v_dual_add_f32 v17, v17, v220
	s_delay_alu instid0(VALU_DEP_1) | instskip(NEXT) | instid1(VALU_DEP_2)
	v_add_f32_e32 v2, v2, v195
	v_add_f32_e32 v22, v17, v222
	s_delay_alu instid0(VALU_DEP_2) | instskip(NEXT) | instid1(VALU_DEP_2)
	v_add_f32_e32 v2, v2, v197
	v_add_f32_e32 v22, v22, v224
	s_delay_alu instid0(VALU_DEP_2) | instskip(NEXT) | instid1(VALU_DEP_2)
	;; [unrolled: 3-line block ×3, first 2 shown]
	v_add_f32_e32 v2, v2, v201
	v_add_f32_e32 v22, v22, v228
	s_delay_alu instid0(VALU_DEP_2) | instskip(NEXT) | instid1(VALU_DEP_1)
	v_add_f32_e32 v2, v2, v203
	v_add_f32_e32 v5, v2, v205
	scratch_load_b128 v[1:4], off, off offset:416
	v_add_f32_e32 v13, v5, v207
	ds_load_b128 v[5:8], v155 offset:896
	v_add_f32_e32 v13, v13, v209
	s_delay_alu instid0(VALU_DEP_1) | instskip(NEXT) | instid1(VALU_DEP_1)
	v_add_f32_e32 v13, v13, v211
	v_add_f32_e32 v18, v13, v213
	ds_load_b128 v[13:16], v155 offset:912
	s_wait_loadcnt_dscnt 0x201
	v_mul_f32_e32 v29, v5, v10
	v_mul_f32_e32 v10, v6, v10
	;; [unrolled: 1-line block ×3, first 2 shown]
	s_delay_alu instid0(VALU_DEP_3) | instskip(NEXT) | instid1(VALU_DEP_3)
	v_dual_mul_f32 v12, v8, v12 :: v_dual_fmac_f32 v29, v6, v9
	v_fma_f32 v31, v5, v9, -v10
	s_delay_alu instid0(VALU_DEP_3) | instskip(NEXT) | instid1(VALU_DEP_3)
	v_fmac_f32_e32 v30, v8, v11
	v_fma_f32 v32, v7, v11, -v12
	s_clause 0x1
	scratch_load_b128 v[9:12], off, off offset:448
	scratch_load_b128 v[5:8], off, off offset:432
	s_wait_loadcnt_dscnt 0x200
	v_mul_f32_e32 v160, v15, v4
	v_mul_f32_e32 v156, v13, v2
	;; [unrolled: 1-line block ×4, first 2 shown]
	s_delay_alu instid0(VALU_DEP_4)
	v_fmac_f32_e32 v160, v16, v3
	v_add_f32_e32 v18, v18, v215
	v_fmac_f32_e32 v156, v14, v1
	v_fma_f32 v161, v13, v1, -v2
	v_add_f32_e32 v14, v22, v230
	v_fma_f32 v162, v15, v3, -v4
	v_add_f32_e32 v18, v18, v217
	ds_load_b128 v[1:4], v155 offset:928
	v_add_f32_e32 v27, v14, v232
	v_add_f32_e32 v21, v18, v219
	scratch_load_b128 v[17:20], off, off offset:464
	v_add_f32_e32 v163, v27, v234
	v_add_f32_e32 v21, v21, v221
	s_delay_alu instid0(VALU_DEP_2) | instskip(NEXT) | instid1(VALU_DEP_2)
	v_add_f32_e32 v31, v163, v31
	v_add_f32_e32 v21, v21, v223
	s_delay_alu instid0(VALU_DEP_2) | instskip(NEXT) | instid1(VALU_DEP_2)
	;; [unrolled: 3-line block ×4, first 2 shown]
	v_add_f32_e32 v31, v31, v162
	v_add_f32_e32 v21, v13, v229
	ds_load_b128 v[13:16], v155 offset:944
	s_wait_loadcnt_dscnt 0x101
	v_mul_f32_e32 v163, v1, v6
	v_mul_f32_e32 v6, v2, v6
	s_delay_alu instid0(VALU_DEP_2) | instskip(NEXT) | instid1(VALU_DEP_2)
	v_fmac_f32_e32 v163, v2, v5
	v_fma_f32 v1, v1, v5, -v6
	s_wait_dscnt 0x0
	s_delay_alu instid0(VALU_DEP_1)
	v_dual_add_f32 v1, v31, v1 :: v_dual_mul_f32 v32, v13, v10
	v_add_f32_e32 v28, v21, v231
	ds_load_b128 v[21:24], v155 offset:960
	v_dual_mul_f32 v5, v16, v12 :: v_dual_fmac_f32 v32, v14, v9
	v_add_f32_e32 v164, v28, v233
	ds_load_b64 v[27:28], v155 offset:976
	v_fma_f32 v5, v15, v11, -v5
	v_add_f32_e32 v29, v164, v29
	s_delay_alu instid0(VALU_DEP_1) | instskip(SKIP_1) | instid1(VALU_DEP_2)
	v_dual_add_f32 v29, v29, v30 :: v_dual_mul_f32 v30, v3, v8
	v_mul_f32_e32 v8, v4, v8
	v_dual_add_f32 v29, v29, v156 :: v_dual_fmac_f32 v30, v4, v7
	s_delay_alu instid0(VALU_DEP_2) | instskip(SKIP_2) | instid1(VALU_DEP_3)
	v_fma_f32 v2, v3, v7, -v8
	v_dual_mul_f32 v3, v14, v10 :: v_dual_mul_f32 v156, v15, v12
	s_wait_dscnt 0x0
	v_dual_add_f32 v29, v29, v160 :: v_dual_mul_f32 v160, v27, v26
	s_delay_alu instid0(VALU_DEP_3) | instskip(NEXT) | instid1(VALU_DEP_3)
	v_add_f32_e32 v1, v1, v2
	v_fma_f32 v3, v13, v9, -v3
	v_fmac_f32_e32 v156, v16, v11
	s_delay_alu instid0(VALU_DEP_4) | instskip(NEXT) | instid1(VALU_DEP_3)
	v_add_f32_e32 v4, v29, v163
	v_dual_fmac_f32 v160, v28, v25 :: v_dual_add_f32 v1, v1, v3
	s_delay_alu instid0(VALU_DEP_1) | instskip(NEXT) | instid1(VALU_DEP_1)
	v_dual_add_f32 v2, v4, v30 :: v_dual_add_f32 v1, v1, v5
	v_dual_mul_f32 v5, v28, v26 :: v_dual_add_f32 v2, v2, v32
	s_wait_loadcnt 0x0
	s_delay_alu instid0(VALU_DEP_1) | instskip(SKIP_3) | instid1(VALU_DEP_4)
	v_dual_add_f32 v2, v2, v156 :: v_dual_mul_f32 v161, v21, v18
	v_mul_f32_e32 v4, v22, v18
	v_mul_f32_e32 v162, v23, v20
	;; [unrolled: 1-line block ×3, first 2 shown]
	v_fmac_f32_e32 v161, v22, v17
	s_delay_alu instid0(VALU_DEP_4) | instskip(NEXT) | instid1(VALU_DEP_4)
	v_fma_f32 v4, v21, v17, -v4
	v_fmac_f32_e32 v162, v24, v19
	s_delay_alu instid0(VALU_DEP_4) | instskip(NEXT) | instid1(VALU_DEP_3)
	v_fma_f32 v3, v23, v19, -v3
	v_dual_add_f32 v2, v2, v161 :: v_dual_add_f32 v1, v1, v4
	v_fma_f32 v4, v27, v25, -v5
	s_delay_alu instid0(VALU_DEP_2) | instskip(NEXT) | instid1(VALU_DEP_1)
	v_dual_add_f32 v2, v2, v162 :: v_dual_add_f32 v1, v1, v3
	v_add_f32_e32 v2, v2, v160
	s_delay_alu instid0(VALU_DEP_1) | instskip(NEXT) | instid1(VALU_DEP_1)
	v_dual_add_f32 v1, v1, v4 :: v_dual_sub_f32 v2, v159, v2
	v_sub_f32_e32 v1, v158, v1
	scratch_store_b64 off, v[1:2], off offset:8
	v_cmpx_ne_u32_e32 0, v0
	s_cbranch_execz .LBB60_379
; %bb.378:
	scratch_load_b64 v[0:1], off, off
	v_mov_b32_e32 v156, v155
	scratch_store_b64 off, v[155:156], off
	s_wait_loadcnt 0x0
	ds_store_b64 v157, v[0:1]
.LBB60_379:
	s_wait_alu 0xfffe
	s_or_b32 exec_lo, exec_lo, s0
	s_wait_storecnt_dscnt 0x0
	s_barrier_signal -1
	s_barrier_wait -1
	global_inv scope:SCOPE_SE
	s_clause 0x6
	scratch_load_b128 v[0:3], off, off offset:8
	scratch_load_b128 v[4:7], off, off offset:24
	;; [unrolled: 1-line block ×7, first 2 shown]
	ds_load_2addr_b64 v[28:31], v155 offset0:63 offset1:64
	ds_load_2addr_b64 v[156:159], v155 offset0:65 offset1:66
	scratch_load_b64 v[160:161], off, off
	s_and_b32 vcc_lo, exec_lo, s18
	s_wait_loadcnt_dscnt 0x701
	v_mul_f32_e32 v32, v28, v1
	v_dual_mul_f32 v162, v30, v3 :: v_dual_mul_f32 v1, v29, v1
	s_delay_alu instid0(VALU_DEP_2) | instskip(NEXT) | instid1(VALU_DEP_2)
	v_dual_mul_f32 v3, v31, v3 :: v_dual_fmac_f32 v32, v29, v0
	v_fmac_f32_e32 v162, v31, v2
	s_delay_alu instid0(VALU_DEP_3) | instskip(NEXT) | instid1(VALU_DEP_3)
	v_fma_f32 v28, v28, v0, -v1
	v_fma_f32 v29, v30, v2, -v3
	ds_load_2addr_b64 v[0:3], v155 offset0:67 offset1:68
	s_wait_loadcnt_dscnt 0x601
	v_dual_mul_f32 v30, v156, v5 :: v_dual_mul_f32 v31, v158, v7
	v_mul_f32_e32 v5, v157, v5
	s_delay_alu instid0(VALU_DEP_2) | instskip(NEXT) | instid1(VALU_DEP_3)
	v_dual_mul_f32 v7, v159, v7 :: v_dual_fmac_f32 v30, v157, v4
	v_fmac_f32_e32 v31, v159, v6
	s_delay_alu instid0(VALU_DEP_3) | instskip(NEXT) | instid1(VALU_DEP_3)
	v_fma_f32 v156, v156, v4, -v5
	v_fma_f32 v157, v158, v6, -v7
	ds_load_2addr_b64 v[4:7], v155 offset0:69 offset1:70
	s_wait_loadcnt_dscnt 0x501
	v_dual_mul_f32 v158, v0, v9 :: v_dual_mul_f32 v159, v2, v11
	v_mul_f32_e32 v9, v1, v9
	s_delay_alu instid0(VALU_DEP_2) | instskip(NEXT) | instid1(VALU_DEP_3)
	v_dual_mul_f32 v11, v3, v11 :: v_dual_fmac_f32 v158, v1, v8
	v_fmac_f32_e32 v159, v3, v10
	s_delay_alu instid0(VALU_DEP_2)
	v_fma_f32 v164, v2, v10, -v11
	s_wait_loadcnt_dscnt 0x400
	v_mul_f32_e32 v166, v6, v15
	v_fma_f32 v163, v0, v8, -v9
	ds_load_2addr_b64 v[0:3], v155 offset0:71 offset1:72
	v_mul_f32_e32 v165, v4, v13
	v_dual_mul_f32 v8, v5, v13 :: v_dual_mul_f32 v9, v7, v15
	s_delay_alu instid0(VALU_DEP_2) | instskip(NEXT) | instid1(VALU_DEP_2)
	v_dual_fmac_f32 v166, v7, v14 :: v_dual_fmac_f32 v165, v5, v12
	v_fma_f32 v12, v4, v12, -v8
	s_delay_alu instid0(VALU_DEP_3) | instskip(SKIP_4) | instid1(VALU_DEP_2)
	v_fma_f32 v13, v6, v14, -v9
	ds_load_2addr_b64 v[4:7], v155 offset0:73 offset1:74
	s_wait_loadcnt_dscnt 0x301
	v_dual_mul_f32 v14, v0, v17 :: v_dual_mul_f32 v15, v2, v19
	v_dual_mul_f32 v8, v1, v17 :: v_dual_mul_f32 v9, v3, v19
	v_dual_fmac_f32 v14, v1, v16 :: v_dual_fmac_f32 v15, v3, v18
	s_delay_alu instid0(VALU_DEP_2) | instskip(NEXT) | instid1(VALU_DEP_3)
	v_fma_f32 v16, v0, v16, -v8
	v_fma_f32 v17, v2, v18, -v9
	ds_load_2addr_b64 v[0:3], v155 offset0:75 offset1:76
	s_wait_loadcnt_dscnt 0x201
	v_dual_mul_f32 v18, v4, v21 :: v_dual_mul_f32 v19, v6, v23
	v_dual_mul_f32 v8, v5, v21 :: v_dual_mul_f32 v9, v7, v23
	s_delay_alu instid0(VALU_DEP_2) | instskip(NEXT) | instid1(VALU_DEP_2)
	v_dual_fmac_f32 v18, v5, v20 :: v_dual_fmac_f32 v19, v7, v22
	v_fma_f32 v20, v4, v20, -v8
	s_delay_alu instid0(VALU_DEP_3) | instskip(SKIP_4) | instid1(VALU_DEP_2)
	v_fma_f32 v21, v6, v22, -v9
	ds_load_2addr_b64 v[4:7], v155 offset0:77 offset1:78
	s_wait_loadcnt_dscnt 0x101
	v_mul_f32_e32 v22, v0, v25
	v_dual_mul_f32 v8, v1, v25 :: v_dual_mul_f32 v23, v2, v27
	v_dual_mul_f32 v9, v3, v27 :: v_dual_fmac_f32 v22, v1, v24
	s_delay_alu instid0(VALU_DEP_2) | instskip(NEXT) | instid1(VALU_DEP_3)
	v_fma_f32 v24, v0, v24, -v8
	v_fmac_f32_e32 v23, v3, v26
	s_delay_alu instid0(VALU_DEP_3)
	v_fma_f32 v25, v2, v26, -v9
	s_clause 0x1
	scratch_load_b128 v[0:3], off, off offset:120
	scratch_load_b128 v[8:11], off, off offset:136
	s_wait_loadcnt_dscnt 0x100
	v_mul_f32_e32 v26, v4, v1
	v_mul_f32_e32 v1, v5, v1
	s_delay_alu instid0(VALU_DEP_2) | instskip(NEXT) | instid1(VALU_DEP_2)
	v_dual_mul_f32 v167, v6, v3 :: v_dual_fmac_f32 v26, v5, v0
	v_fma_f32 v27, v4, v0, -v1
	v_mul_f32_e32 v0, v7, v3
	s_delay_alu instid0(VALU_DEP_3) | instskip(NEXT) | instid1(VALU_DEP_2)
	v_fmac_f32_e32 v167, v7, v2
	v_fma_f32 v168, v6, v2, -v0
	ds_load_2addr_b64 v[0:3], v155 offset0:79 offset1:80
	ds_load_2addr_b64 v[4:7], v155 offset0:81 offset1:82
	s_wait_loadcnt_dscnt 0x1
	v_mul_f32_e32 v169, v0, v9
	v_mul_f32_e32 v171, v2, v11
	s_delay_alu instid0(VALU_DEP_2) | instskip(SKIP_1) | instid1(VALU_DEP_3)
	v_fmac_f32_e32 v169, v1, v8
	v_mul_f32_e32 v1, v1, v9
	v_fmac_f32_e32 v171, v3, v10
	s_delay_alu instid0(VALU_DEP_2) | instskip(SKIP_1) | instid1(VALU_DEP_1)
	v_fma_f32 v170, v0, v8, -v1
	v_mul_f32_e32 v0, v3, v11
	v_fma_f32 v172, v2, v10, -v0
	s_clause 0x1
	scratch_load_b128 v[0:3], off, off offset:152
	scratch_load_b128 v[8:11], off, off offset:168
	s_wait_loadcnt_dscnt 0x100
	v_mul_f32_e32 v173, v4, v1
	v_mul_f32_e32 v1, v5, v1
	v_mul_f32_e32 v175, v6, v3
	s_delay_alu instid0(VALU_DEP_3) | instskip(NEXT) | instid1(VALU_DEP_3)
	v_fmac_f32_e32 v173, v5, v0
	v_fma_f32 v174, v4, v0, -v1
	v_mul_f32_e32 v0, v7, v3
	s_delay_alu instid0(VALU_DEP_4) | instskip(NEXT) | instid1(VALU_DEP_2)
	v_fmac_f32_e32 v175, v7, v2
	v_fma_f32 v176, v6, v2, -v0
	ds_load_2addr_b64 v[0:3], v155 offset0:83 offset1:84
	ds_load_2addr_b64 v[4:7], v155 offset0:85 offset1:86
	s_wait_loadcnt_dscnt 0x1
	v_mul_f32_e32 v177, v0, v9
	v_mul_f32_e32 v179, v2, v11
	s_delay_alu instid0(VALU_DEP_2) | instskip(SKIP_1) | instid1(VALU_DEP_3)
	v_fmac_f32_e32 v177, v1, v8
	v_mul_f32_e32 v1, v1, v9
	v_fmac_f32_e32 v179, v3, v10
	s_delay_alu instid0(VALU_DEP_2) | instskip(SKIP_1) | instid1(VALU_DEP_1)
	v_fma_f32 v178, v0, v8, -v1
	v_mul_f32_e32 v0, v3, v11
	v_fma_f32 v180, v2, v10, -v0
	s_clause 0x1
	scratch_load_b128 v[0:3], off, off offset:184
	scratch_load_b128 v[8:11], off, off offset:200
	s_wait_loadcnt_dscnt 0x100
	v_mul_f32_e32 v181, v4, v1
	v_mul_f32_e32 v1, v5, v1
	v_mul_f32_e32 v183, v6, v3
	s_delay_alu instid0(VALU_DEP_3) | instskip(NEXT) | instid1(VALU_DEP_3)
	v_fmac_f32_e32 v181, v5, v0
	v_fma_f32 v182, v4, v0, -v1
	v_mul_f32_e32 v0, v7, v3
	s_delay_alu instid0(VALU_DEP_4) | instskip(NEXT) | instid1(VALU_DEP_2)
	;; [unrolled: 27-line block ×6, first 2 shown]
	v_fmac_f32_e32 v215, v7, v2
	v_fma_f32 v216, v6, v2, -v0
	ds_load_2addr_b64 v[0:3], v155 offset0:103 offset1:104
	ds_load_2addr_b64 v[4:7], v155 offset0:105 offset1:106
	s_wait_loadcnt_dscnt 0x1
	v_mul_f32_e32 v217, v0, v9
	s_delay_alu instid0(VALU_DEP_1) | instskip(SKIP_2) | instid1(VALU_DEP_2)
	v_fmac_f32_e32 v217, v1, v8
	v_mul_f32_e32 v1, v1, v9
	v_mul_f32_e32 v219, v2, v11
	v_fma_f32 v218, v0, v8, -v1
	v_mul_f32_e32 v0, v3, v11
	s_delay_alu instid0(VALU_DEP_3) | instskip(NEXT) | instid1(VALU_DEP_2)
	v_fmac_f32_e32 v219, v3, v10
	v_fma_f32 v220, v2, v10, -v0
	s_clause 0x1
	scratch_load_b128 v[0:3], off, off offset:344
	scratch_load_b128 v[8:11], off, off offset:360
	s_wait_loadcnt_dscnt 0x100
	v_mul_f32_e32 v221, v4, v1
	v_mul_f32_e32 v1, v5, v1
	;; [unrolled: 1-line block ×3, first 2 shown]
	s_delay_alu instid0(VALU_DEP_2) | instskip(NEXT) | instid1(VALU_DEP_4)
	v_fma_f32 v222, v4, v0, -v1
	v_dual_fmac_f32 v221, v5, v0 :: v_dual_mul_f32 v0, v7, v3
	s_delay_alu instid0(VALU_DEP_3) | instskip(NEXT) | instid1(VALU_DEP_2)
	v_fmac_f32_e32 v223, v7, v2
	v_fma_f32 v224, v6, v2, -v0
	ds_load_2addr_b64 v[0:3], v155 offset0:107 offset1:108
	ds_load_2addr_b64 v[4:7], v155 offset0:109 offset1:110
	s_wait_loadcnt_dscnt 0x1
	v_mul_f32_e32 v225, v0, v9
	v_mul_f32_e32 v227, v2, v11
	s_delay_alu instid0(VALU_DEP_2) | instskip(SKIP_1) | instid1(VALU_DEP_3)
	v_fmac_f32_e32 v225, v1, v8
	v_mul_f32_e32 v1, v1, v9
	v_fmac_f32_e32 v227, v3, v10
	s_delay_alu instid0(VALU_DEP_2) | instskip(SKIP_1) | instid1(VALU_DEP_1)
	v_fma_f32 v226, v0, v8, -v1
	v_mul_f32_e32 v0, v3, v11
	v_fma_f32 v228, v2, v10, -v0
	s_clause 0x1
	scratch_load_b128 v[0:3], off, off offset:376
	scratch_load_b128 v[8:11], off, off offset:392
	s_wait_loadcnt_dscnt 0x100
	v_mul_f32_e32 v229, v4, v1
	v_mul_f32_e32 v1, v5, v1
	;; [unrolled: 1-line block ×3, first 2 shown]
	s_delay_alu instid0(VALU_DEP_3) | instskip(NEXT) | instid1(VALU_DEP_3)
	v_fmac_f32_e32 v229, v5, v0
	v_fma_f32 v230, v4, v0, -v1
	v_dual_mul_f32 v0, v7, v3 :: v_dual_add_f32 v1, 0, v32
	s_delay_alu instid0(VALU_DEP_4) | instskip(NEXT) | instid1(VALU_DEP_2)
	v_fmac_f32_e32 v231, v7, v2
	v_fma_f32 v232, v6, v2, -v0
	s_delay_alu instid0(VALU_DEP_3) | instskip(NEXT) | instid1(VALU_DEP_1)
	v_dual_add_f32 v0, 0, v28 :: v_dual_add_f32 v1, v1, v162
	v_dual_add_f32 v0, v0, v29 :: v_dual_add_f32 v1, v1, v30
	s_delay_alu instid0(VALU_DEP_1) | instskip(NEXT) | instid1(VALU_DEP_1)
	v_dual_add_f32 v0, v0, v156 :: v_dual_add_f32 v1, v1, v31
	v_dual_add_f32 v0, v0, v157 :: v_dual_add_f32 v1, v1, v158
	s_delay_alu instid0(VALU_DEP_1) | instskip(NEXT) | instid1(VALU_DEP_1)
	v_add_f32_e32 v0, v0, v163
	v_dual_add_f32 v1, v1, v159 :: v_dual_add_f32 v0, v0, v164
	s_delay_alu instid0(VALU_DEP_1) | instskip(NEXT) | instid1(VALU_DEP_1)
	v_dual_add_f32 v1, v1, v165 :: v_dual_add_f32 v0, v0, v12
	v_dual_add_f32 v1, v1, v166 :: v_dual_add_f32 v0, v0, v13
	s_delay_alu instid0(VALU_DEP_1) | instskip(NEXT) | instid1(VALU_DEP_1)
	v_dual_add_f32 v1, v1, v14 :: v_dual_add_f32 v0, v0, v16
	;; [unrolled: 3-line block ×14, first 2 shown]
	v_dual_add_f32 v5, v1, v203 :: v_dual_add_f32 v4, v0, v204
	s_delay_alu instid0(VALU_DEP_1) | instskip(SKIP_4) | instid1(VALU_DEP_1)
	v_add_f32_e32 v13, v5, v205
	ds_load_2addr_b64 v[0:3], v155 offset0:111 offset1:112
	v_add_f32_e32 v12, v4, v206
	scratch_load_b128 v[4:7], off, off offset:408
	v_dual_add_f32 v13, v13, v207 :: v_dual_add_f32 v12, v12, v208
	v_add_f32_e32 v16, v13, v209
	s_delay_alu instid0(VALU_DEP_2) | instskip(NEXT) | instid1(VALU_DEP_2)
	v_add_f32_e32 v12, v12, v210
	v_add_f32_e32 v16, v16, v211
	s_delay_alu instid0(VALU_DEP_2)
	v_add_f32_e32 v17, v12, v212
	ds_load_2addr_b64 v[12:15], v155 offset0:113 offset1:114
	s_wait_loadcnt_dscnt 0x101
	v_mul_f32_e32 v32, v0, v9
	v_dual_mul_f32 v9, v1, v9 :: v_dual_mul_f32 v156, v2, v11
	v_add_f32_e32 v17, v17, v214
	s_delay_alu instid0(VALU_DEP_3) | instskip(NEXT) | instid1(VALU_DEP_3)
	v_dual_mul_f32 v11, v3, v11 :: v_dual_fmac_f32 v32, v1, v8
	v_fma_f32 v28, v0, v8, -v9
	s_delay_alu instid0(VALU_DEP_3) | instskip(NEXT) | instid1(VALU_DEP_3)
	v_dual_fmac_f32 v156, v3, v10 :: v_dual_add_f32 v17, v17, v216
	v_fma_f32 v157, v2, v10, -v11
	scratch_load_b128 v[0:3], off, off offset:424
	v_add_f32_e32 v16, v16, v213
	scratch_load_b128 v[8:11], off, off offset:440
	v_dual_add_f32 v17, v17, v218 :: v_dual_add_f32 v16, v16, v215
	s_delay_alu instid0(VALU_DEP_1) | instskip(NEXT) | instid1(VALU_DEP_2)
	v_add_f32_e32 v20, v17, v220
	v_add_f32_e32 v16, v16, v217
	s_delay_alu instid0(VALU_DEP_2) | instskip(NEXT) | instid1(VALU_DEP_1)
	v_add_f32_e32 v24, v20, v222
	v_add_f32_e32 v24, v24, v224
	s_delay_alu instid0(VALU_DEP_3)
	v_add_f32_e32 v21, v16, v219
	scratch_load_b128 v[16:19], off, off offset:456
	v_dual_add_f32 v24, v24, v226 :: v_dual_add_f32 v25, v21, v221
	scratch_load_b128 v[20:23], off, off offset:472
	s_wait_loadcnt_dscnt 0x400
	v_mul_f32_e32 v158, v12, v5
	v_mul_f32_e32 v5, v13, v5
	s_delay_alu instid0(VALU_DEP_2) | instskip(NEXT) | instid1(VALU_DEP_2)
	v_fmac_f32_e32 v158, v13, v4
	v_fma_f32 v162, v12, v4, -v5
	v_dual_add_f32 v12, v24, v228 :: v_dual_add_f32 v25, v25, v223
	s_delay_alu instid0(VALU_DEP_1) | instskip(NEXT) | instid1(VALU_DEP_1)
	v_add_f32_e32 v25, v25, v225
	v_dual_add_f32 v24, v25, v227 :: v_dual_add_f32 v25, v12, v230
	s_delay_alu instid0(VALU_DEP_1) | instskip(NEXT) | instid1(VALU_DEP_1)
	v_dual_add_f32 v24, v24, v229 :: v_dual_add_f32 v29, v25, v232
	v_add_f32_e32 v164, v24, v231
	ds_load_2addr_b64 v[24:27], v155 offset0:119 offset1:120
	v_add_f32_e32 v165, v29, v28
	ds_load_2addr_b64 v[28:31], v155 offset0:121 offset1:122
	v_mul_f32_e32 v159, v14, v7
	v_dual_mul_f32 v7, v15, v7 :: v_dual_add_f32 v32, v164, v32
	v_add_f32_e32 v157, v165, v157
	s_delay_alu instid0(VALU_DEP_3) | instskip(NEXT) | instid1(VALU_DEP_3)
	v_fmac_f32_e32 v159, v15, v6
	v_fma_f32 v163, v14, v6, -v7
	ds_load_2addr_b64 v[4:7], v155 offset0:115 offset1:116
	ds_load_2addr_b64 v[12:15], v155 offset0:117 offset1:118
	v_add_f32_e32 v32, v32, v156
	v_add_f32_e32 v156, v157, v162
	s_delay_alu instid0(VALU_DEP_2)
	v_add_f32_e32 v32, v32, v158
	s_wait_loadcnt_dscnt 0x301
	v_mul_f32_e32 v155, v4, v1
	v_dual_mul_f32 v1, v5, v1 :: v_dual_mul_f32 v164, v6, v3
	v_mul_f32_e32 v3, v7, v3
	s_wait_loadcnt_dscnt 0x200
	v_mul_f32_e32 v157, v12, v9
	v_fmac_f32_e32 v155, v5, v0
	v_fma_f32 v0, v4, v0, -v1
	v_add_f32_e32 v4, v156, v163
	v_dual_add_f32 v5, v32, v159 :: v_dual_fmac_f32 v164, v7, v2
	v_fma_f32 v1, v6, v2, -v3
	s_delay_alu instid0(VALU_DEP_3) | instskip(NEXT) | instid1(VALU_DEP_3)
	v_dual_mul_f32 v7, v13, v9 :: v_dual_add_f32 v0, v4, v0
	v_add_f32_e32 v4, v5, v155
	v_mul_f32_e32 v158, v14, v11
	v_mul_f32_e32 v5, v15, v11
	v_fmac_f32_e32 v157, v13, v8
	v_fma_f32 v7, v12, v8, -v7
	v_add_f32_e32 v0, v0, v1
	v_add_f32_e32 v1, v4, v164
	s_wait_loadcnt 0x1
	v_mul_f32_e32 v2, v24, v17
	v_mul_f32_e32 v4, v25, v17
	v_fmac_f32_e32 v158, v15, v10
	v_fma_f32 v5, v14, v10, -v5
	v_dual_add_f32 v0, v0, v7 :: v_dual_add_f32 v1, v1, v157
	v_mul_f32_e32 v3, v26, v19
	v_dual_mul_f32 v7, v27, v19 :: v_dual_fmac_f32 v2, v25, v16
	v_fma_f32 v4, v24, v16, -v4
	s_delay_alu instid0(VALU_DEP_4)
	v_dual_add_f32 v0, v0, v5 :: v_dual_add_f32 v1, v1, v158
	s_wait_loadcnt 0x0
	v_mul_f32_e32 v6, v28, v21
	v_mul_f32_e32 v5, v29, v21
	v_fmac_f32_e32 v3, v27, v18
	v_fma_f32 v7, v26, v18, -v7
	v_dual_add_f32 v0, v0, v4 :: v_dual_add_f32 v1, v1, v2
	v_mul_f32_e32 v9, v30, v23
	v_mul_f32_e32 v2, v31, v23
	v_fmac_f32_e32 v6, v29, v20
	v_fma_f32 v4, v28, v20, -v5
	v_add_f32_e32 v0, v0, v7
	v_add_f32_e32 v1, v1, v3
	v_fmac_f32_e32 v9, v31, v22
	v_fma_f32 v2, v30, v22, -v2
	s_delay_alu instid0(VALU_DEP_3) | instskip(NEXT) | instid1(VALU_DEP_1)
	v_dual_add_f32 v0, v0, v4 :: v_dual_add_f32 v1, v1, v6
	v_dual_add_f32 v0, v0, v2 :: v_dual_add_f32 v1, v1, v9
	s_delay_alu instid0(VALU_DEP_1)
	v_dual_sub_f32 v0, v160, v0 :: v_dual_sub_f32 v1, v161, v1
	scratch_store_b64 off, v[0:1], off
	s_wait_alu 0xfffe
	s_cbranch_vccz .LBB60_500
; %bb.380:
	v_mov_b32_e32 v0, 0
	global_load_b32 v1, v0, s[2:3] offset:236
	s_wait_loadcnt 0x0
	v_cmp_ne_u32_e32 vcc_lo, 60, v1
	s_cbranch_vccz .LBB60_382
; %bb.381:
	v_lshlrev_b32_e32 v1, 3, v1
	s_delay_alu instid0(VALU_DEP_1)
	v_mov_b32_e32 v5, v1
	scratch_load_b64 v[1:2], v5, off offset:-8
	scratch_load_b64 v[3:4], off, off offset:472
	s_wait_loadcnt 0x1
	scratch_store_b64 off, v[1:2], off offset:472
	s_wait_loadcnt 0x0
	scratch_store_b64 v5, v[3:4], off offset:-8
.LBB60_382:
	global_load_b32 v0, v0, s[2:3] offset:232
	s_wait_loadcnt 0x0
	v_cmp_eq_u32_e32 vcc_lo, 59, v0
	s_cbranch_vccnz .LBB60_384
; %bb.383:
	v_lshlrev_b32_e32 v0, 3, v0
	s_delay_alu instid0(VALU_DEP_1)
	v_mov_b32_e32 v4, v0
	scratch_load_b64 v[0:1], v4, off offset:-8
	scratch_load_b64 v[2:3], off, off offset:464
	s_wait_loadcnt 0x1
	scratch_store_b64 off, v[0:1], off offset:464
	s_wait_loadcnt 0x0
	scratch_store_b64 v4, v[2:3], off offset:-8
.LBB60_384:
	v_mov_b32_e32 v0, 0
	global_load_b32 v1, v0, s[2:3] offset:228
	s_wait_loadcnt 0x0
	v_cmp_eq_u32_e32 vcc_lo, 58, v1
	s_cbranch_vccnz .LBB60_386
; %bb.385:
	v_lshlrev_b32_e32 v1, 3, v1
	s_delay_alu instid0(VALU_DEP_1)
	v_mov_b32_e32 v5, v1
	scratch_load_b64 v[1:2], v5, off offset:-8
	scratch_load_b64 v[3:4], off, off offset:456
	s_wait_loadcnt 0x1
	scratch_store_b64 off, v[1:2], off offset:456
	s_wait_loadcnt 0x0
	scratch_store_b64 v5, v[3:4], off offset:-8
.LBB60_386:
	global_load_b32 v0, v0, s[2:3] offset:224
	s_wait_loadcnt 0x0
	v_cmp_eq_u32_e32 vcc_lo, 57, v0
	s_cbranch_vccnz .LBB60_388
; %bb.387:
	v_lshlrev_b32_e32 v0, 3, v0
	s_delay_alu instid0(VALU_DEP_1)
	v_mov_b32_e32 v4, v0
	scratch_load_b64 v[0:1], v4, off offset:-8
	scratch_load_b64 v[2:3], off, off offset:448
	s_wait_loadcnt 0x1
	scratch_store_b64 off, v[0:1], off offset:448
	s_wait_loadcnt 0x0
	scratch_store_b64 v4, v[2:3], off offset:-8
.LBB60_388:
	v_mov_b32_e32 v0, 0
	global_load_b32 v1, v0, s[2:3] offset:220
	s_wait_loadcnt 0x0
	v_cmp_eq_u32_e32 vcc_lo, 56, v1
	s_cbranch_vccnz .LBB60_390
; %bb.389:
	v_lshlrev_b32_e32 v1, 3, v1
	s_delay_alu instid0(VALU_DEP_1)
	v_mov_b32_e32 v5, v1
	scratch_load_b64 v[1:2], v5, off offset:-8
	scratch_load_b64 v[3:4], off, off offset:440
	s_wait_loadcnt 0x1
	scratch_store_b64 off, v[1:2], off offset:440
	s_wait_loadcnt 0x0
	scratch_store_b64 v5, v[3:4], off offset:-8
.LBB60_390:
	;; [unrolled: 31-line block ×29, first 2 shown]
	global_load_b32 v0, v0, s[2:3]
	s_wait_loadcnt 0x0
	v_cmp_eq_u32_e32 vcc_lo, 1, v0
	s_cbranch_vccnz .LBB60_500
; %bb.499:
	v_lshlrev_b32_e32 v0, 3, v0
	s_delay_alu instid0(VALU_DEP_1)
	v_mov_b32_e32 v4, v0
	scratch_load_b64 v[0:1], v4, off offset:-8
	scratch_load_b64 v[2:3], off, off
	s_wait_loadcnt 0x1
	scratch_store_b64 off, v[0:1], off
	s_wait_loadcnt 0x0
	scratch_store_b64 v4, v[2:3], off offset:-8
.LBB60_500:
	s_clause 0x1e
	scratch_load_b128 v[0:3], off, off
	scratch_load_b128 v[4:7], off, off offset:16
	scratch_load_b128 v[8:11], off, off offset:32
	scratch_load_b128 v[12:15], off, off offset:48
	scratch_load_b128 v[16:19], off, off offset:64
	scratch_load_b128 v[20:23], off, off offset:80
	scratch_load_b128 v[24:27], off, off offset:96
	scratch_load_b128 v[28:31], off, off offset:112
	scratch_load_b128 v[155:158], off, off offset:128
	scratch_load_b128 v[159:162], off, off offset:144
	scratch_load_b128 v[163:166], off, off offset:160
	scratch_load_b128 v[167:170], off, off offset:176
	scratch_load_b128 v[171:174], off, off offset:192
	scratch_load_b128 v[175:178], off, off offset:208
	scratch_load_b128 v[179:182], off, off offset:224
	scratch_load_b128 v[183:186], off, off offset:240
	scratch_load_b128 v[187:190], off, off offset:256
	scratch_load_b128 v[191:194], off, off offset:272
	scratch_load_b128 v[195:198], off, off offset:288
	scratch_load_b128 v[199:202], off, off offset:304
	scratch_load_b128 v[203:206], off, off offset:320
	scratch_load_b128 v[207:210], off, off offset:336
	scratch_load_b128 v[211:214], off, off offset:352
	scratch_load_b128 v[215:218], off, off offset:368
	scratch_load_b128 v[219:222], off, off offset:384
	scratch_load_b128 v[223:226], off, off offset:400
	scratch_load_b128 v[227:230], off, off offset:416
	scratch_load_b128 v[231:234], off, off offset:432
	scratch_load_b128 v[235:238], off, off offset:448
	scratch_load_b128 v[239:242], off, off offset:464
	scratch_load_b64 v[243:244], off, off offset:480
	s_wait_loadcnt 0x1e
	s_clause 0x1
	global_store_b64 v[33:34], v[0:1], off
	global_store_b64 v[35:36], v[2:3], off
	s_wait_loadcnt 0x1d
	s_clause 0x1
	global_store_b64 v[37:38], v[4:5], off
	global_store_b64 v[39:40], v[6:7], off
	;; [unrolled: 4-line block ×30, first 2 shown]
	s_wait_loadcnt 0x0
	global_store_b64 v[153:154], v[243:244], off
	s_nop 0
	s_sendmsg sendmsg(MSG_DEALLOC_VGPRS)
	s_endpgm
	.section	.rodata,"a",@progbits
	.p2align	6, 0x0
	.amdhsa_kernel _ZN9rocsolver6v33100L18getri_kernel_smallILi61E19rocblas_complex_numIfEPS3_EEvT1_iilPiilS6_bb
		.amdhsa_group_segment_fixed_size 984
		.amdhsa_private_segment_fixed_size 496
		.amdhsa_kernarg_size 60
		.amdhsa_user_sgpr_count 2
		.amdhsa_user_sgpr_dispatch_ptr 0
		.amdhsa_user_sgpr_queue_ptr 0
		.amdhsa_user_sgpr_kernarg_segment_ptr 1
		.amdhsa_user_sgpr_dispatch_id 0
		.amdhsa_user_sgpr_private_segment_size 0
		.amdhsa_wavefront_size32 1
		.amdhsa_uses_dynamic_stack 0
		.amdhsa_enable_private_segment 1
		.amdhsa_system_sgpr_workgroup_id_x 1
		.amdhsa_system_sgpr_workgroup_id_y 0
		.amdhsa_system_sgpr_workgroup_id_z 0
		.amdhsa_system_sgpr_workgroup_info 0
		.amdhsa_system_vgpr_workitem_id 0
		.amdhsa_next_free_vgpr 252
		.amdhsa_next_free_sgpr 19
		.amdhsa_reserve_vcc 1
		.amdhsa_float_round_mode_32 0
		.amdhsa_float_round_mode_16_64 0
		.amdhsa_float_denorm_mode_32 3
		.amdhsa_float_denorm_mode_16_64 3
		.amdhsa_fp16_overflow 0
		.amdhsa_workgroup_processor_mode 1
		.amdhsa_memory_ordered 1
		.amdhsa_forward_progress 1
		.amdhsa_inst_pref_size 255
		.amdhsa_round_robin_scheduling 0
		.amdhsa_exception_fp_ieee_invalid_op 0
		.amdhsa_exception_fp_denorm_src 0
		.amdhsa_exception_fp_ieee_div_zero 0
		.amdhsa_exception_fp_ieee_overflow 0
		.amdhsa_exception_fp_ieee_underflow 0
		.amdhsa_exception_fp_ieee_inexact 0
		.amdhsa_exception_int_div_zero 0
	.end_amdhsa_kernel
	.section	.text._ZN9rocsolver6v33100L18getri_kernel_smallILi61E19rocblas_complex_numIfEPS3_EEvT1_iilPiilS6_bb,"axG",@progbits,_ZN9rocsolver6v33100L18getri_kernel_smallILi61E19rocblas_complex_numIfEPS3_EEvT1_iilPiilS6_bb,comdat
.Lfunc_end60:
	.size	_ZN9rocsolver6v33100L18getri_kernel_smallILi61E19rocblas_complex_numIfEPS3_EEvT1_iilPiilS6_bb, .Lfunc_end60-_ZN9rocsolver6v33100L18getri_kernel_smallILi61E19rocblas_complex_numIfEPS3_EEvT1_iilPiilS6_bb
                                        ; -- End function
	.set _ZN9rocsolver6v33100L18getri_kernel_smallILi61E19rocblas_complex_numIfEPS3_EEvT1_iilPiilS6_bb.num_vgpr, 252
	.set _ZN9rocsolver6v33100L18getri_kernel_smallILi61E19rocblas_complex_numIfEPS3_EEvT1_iilPiilS6_bb.num_agpr, 0
	.set _ZN9rocsolver6v33100L18getri_kernel_smallILi61E19rocblas_complex_numIfEPS3_EEvT1_iilPiilS6_bb.numbered_sgpr, 19
	.set _ZN9rocsolver6v33100L18getri_kernel_smallILi61E19rocblas_complex_numIfEPS3_EEvT1_iilPiilS6_bb.num_named_barrier, 0
	.set _ZN9rocsolver6v33100L18getri_kernel_smallILi61E19rocblas_complex_numIfEPS3_EEvT1_iilPiilS6_bb.private_seg_size, 496
	.set _ZN9rocsolver6v33100L18getri_kernel_smallILi61E19rocblas_complex_numIfEPS3_EEvT1_iilPiilS6_bb.uses_vcc, 1
	.set _ZN9rocsolver6v33100L18getri_kernel_smallILi61E19rocblas_complex_numIfEPS3_EEvT1_iilPiilS6_bb.uses_flat_scratch, 1
	.set _ZN9rocsolver6v33100L18getri_kernel_smallILi61E19rocblas_complex_numIfEPS3_EEvT1_iilPiilS6_bb.has_dyn_sized_stack, 0
	.set _ZN9rocsolver6v33100L18getri_kernel_smallILi61E19rocblas_complex_numIfEPS3_EEvT1_iilPiilS6_bb.has_recursion, 0
	.set _ZN9rocsolver6v33100L18getri_kernel_smallILi61E19rocblas_complex_numIfEPS3_EEvT1_iilPiilS6_bb.has_indirect_call, 0
	.section	.AMDGPU.csdata,"",@progbits
; Kernel info:
; codeLenInByte = 119936
; TotalNumSgprs: 21
; NumVgprs: 252
; ScratchSize: 496
; MemoryBound: 0
; FloatMode: 240
; IeeeMode: 1
; LDSByteSize: 984 bytes/workgroup (compile time only)
; SGPRBlocks: 0
; VGPRBlocks: 31
; NumSGPRsForWavesPerEU: 21
; NumVGPRsForWavesPerEU: 252
; Occupancy: 5
; WaveLimiterHint : 1
; COMPUTE_PGM_RSRC2:SCRATCH_EN: 1
; COMPUTE_PGM_RSRC2:USER_SGPR: 2
; COMPUTE_PGM_RSRC2:TRAP_HANDLER: 0
; COMPUTE_PGM_RSRC2:TGID_X_EN: 1
; COMPUTE_PGM_RSRC2:TGID_Y_EN: 0
; COMPUTE_PGM_RSRC2:TGID_Z_EN: 0
; COMPUTE_PGM_RSRC2:TIDIG_COMP_CNT: 0
	.section	.text._ZN9rocsolver6v33100L18getri_kernel_smallILi62E19rocblas_complex_numIfEPS3_EEvT1_iilPiilS6_bb,"axG",@progbits,_ZN9rocsolver6v33100L18getri_kernel_smallILi62E19rocblas_complex_numIfEPS3_EEvT1_iilPiilS6_bb,comdat
	.globl	_ZN9rocsolver6v33100L18getri_kernel_smallILi62E19rocblas_complex_numIfEPS3_EEvT1_iilPiilS6_bb ; -- Begin function _ZN9rocsolver6v33100L18getri_kernel_smallILi62E19rocblas_complex_numIfEPS3_EEvT1_iilPiilS6_bb
	.p2align	8
	.type	_ZN9rocsolver6v33100L18getri_kernel_smallILi62E19rocblas_complex_numIfEPS3_EEvT1_iilPiilS6_bb,@function
_ZN9rocsolver6v33100L18getri_kernel_smallILi62E19rocblas_complex_numIfEPS3_EEvT1_iilPiilS6_bb: ; @_ZN9rocsolver6v33100L18getri_kernel_smallILi62E19rocblas_complex_numIfEPS3_EEvT1_iilPiilS6_bb
; %bb.0:
	s_mov_b32 s2, exec_lo
	v_cmpx_gt_u32_e32 62, v0
	s_cbranch_execz .LBB61_262
; %bb.1:
	s_clause 0x2
	s_load_b32 s2, s[0:1], 0x38
	s_load_b128 s[12:15], s[0:1], 0x10
	s_load_b128 s[4:7], s[0:1], 0x28
	s_mov_b32 s16, ttmp9
	s_wait_kmcnt 0x0
	s_bitcmp1_b32 s2, 8
	s_cselect_b32 s18, -1, 0
	s_bfe_u32 s2, s2, 0x10008
	s_ashr_i32 s17, ttmp9, 31
	s_cmp_eq_u32 s2, 0
                                        ; implicit-def: $sgpr2_sgpr3
	s_cbranch_scc1 .LBB61_3
; %bb.2:
	s_load_b32 s2, s[0:1], 0x20
	s_mul_u64 s[4:5], s[4:5], s[16:17]
	s_delay_alu instid0(SALU_CYCLE_1) | instskip(NEXT) | instid1(SALU_CYCLE_1)
	s_lshl_b64 s[4:5], s[4:5], 2
	s_add_nc_u64 s[4:5], s[14:15], s[4:5]
	s_wait_kmcnt 0x0
	s_ashr_i32 s3, s2, 31
	s_delay_alu instid0(SALU_CYCLE_1) | instskip(NEXT) | instid1(SALU_CYCLE_1)
	s_lshl_b64 s[2:3], s[2:3], 2
	s_add_nc_u64 s[2:3], s[4:5], s[2:3]
.LBB61_3:
	s_clause 0x1
	s_load_b128 s[8:11], s[0:1], 0x0
	s_load_b32 s4, s[0:1], 0x38
	s_mul_u64 s[0:1], s[12:13], s[16:17]
	v_lshlrev_b32_e32 v169, 3, v0
	s_lshl_b64 s[0:1], s[0:1], 3
	s_wait_kmcnt 0x0
	v_add3_u32 v3, s11, s11, v0
	s_ashr_i32 s13, s10, 31
	s_mov_b32 s12, s10
	s_add_nc_u64 s[0:1], s[8:9], s[0:1]
	s_lshl_b64 s[12:13], s[12:13], 3
	v_add_nc_u32_e32 v5, s11, v3
	v_ashrrev_i32_e32 v4, 31, v3
	s_add_nc_u64 s[0:1], s[0:1], s[12:13]
	s_ashr_i32 s9, s11, 31
	v_add_co_u32 v45, s5, s0, v169
	v_add_nc_u32_e32 v7, s11, v5
	s_mov_b32 s8, s11
	v_lshlrev_b64_e32 v[3:4], 3, v[3:4]
	v_add_co_ci_u32_e64 v46, null, s1, 0, s5
	s_delay_alu instid0(VALU_DEP_3) | instskip(SKIP_3) | instid1(VALU_DEP_1)
	v_add_nc_u32_e32 v9, s11, v7
	s_lshl_b64 s[8:9], s[8:9], 3
	v_ashrrev_i32_e32 v6, 31, v5
	v_add_co_u32 v47, vcc_lo, v45, s8
	v_add_co_ci_u32_e64 v48, null, s9, v46, vcc_lo
	v_add_co_u32 v49, vcc_lo, s0, v3
	v_add_nc_u32_e32 v3, s11, v9
	v_lshlrev_b64_e32 v[5:6], 3, v[5:6]
	v_ashrrev_i32_e32 v8, 31, v7
	v_ashrrev_i32_e32 v10, 31, v9
	s_wait_alu 0xfffd
	v_add_co_ci_u32_e64 v50, null, s1, v4, vcc_lo
	v_add_nc_u32_e32 v11, s11, v3
	v_ashrrev_i32_e32 v4, 31, v3
	v_lshlrev_b64_e32 v[7:8], 3, v[7:8]
	v_add_co_u32 v51, vcc_lo, s0, v5
	s_wait_alu 0xfffd
	v_add_co_ci_u32_e64 v52, null, s1, v6, vcc_lo
	v_lshlrev_b64_e32 v[5:6], 3, v[9:10]
	v_add_nc_u32_e32 v15, s11, v11
	v_lshlrev_b64_e32 v[13:14], 3, v[3:4]
	v_ashrrev_i32_e32 v12, 31, v11
	v_add_co_u32 v53, vcc_lo, s0, v7
	s_delay_alu instid0(VALU_DEP_4)
	v_ashrrev_i32_e32 v16, 31, v15
	v_add_nc_u32_e32 v17, s11, v15
	s_wait_alu 0xfffd
	v_add_co_ci_u32_e64 v54, null, s1, v8, vcc_lo
	v_add_co_u32 v55, vcc_lo, s0, v5
	v_lshlrev_b64_e32 v[11:12], 3, v[11:12]
	s_wait_alu 0xfffd
	v_add_co_ci_u32_e64 v56, null, s1, v6, vcc_lo
	v_add_co_u32 v57, vcc_lo, s0, v13
	s_wait_alu 0xfffd
	v_add_co_ci_u32_e64 v58, null, s1, v14, vcc_lo
	v_lshlrev_b64_e32 v[13:14], 3, v[15:16]
	v_ashrrev_i32_e32 v18, 31, v17
	v_add_nc_u32_e32 v15, s11, v17
	v_add_co_u32 v59, vcc_lo, s0, v11
	s_wait_alu 0xfffd
	v_add_co_ci_u32_e64 v60, null, s1, v12, vcc_lo
	v_lshlrev_b64_e32 v[11:12], 3, v[17:18]
	v_ashrrev_i32_e32 v16, 31, v15
	v_add_nc_u32_e32 v17, s11, v15
	;; [unrolled: 6-line block ×24, first 2 shown]
	v_add_co_u32 v105, vcc_lo, s0, v13
	s_wait_alu 0xfffd
	v_add_co_ci_u32_e64 v106, null, s1, v14, vcc_lo
	v_lshlrev_b64_e32 v[13:14], 3, v[15:16]
	v_add_nc_u32_e32 v15, s11, v17
	v_ashrrev_i32_e32 v18, 31, v17
	v_add_co_u32 v107, vcc_lo, s0, v11
	s_wait_alu 0xfffd
	v_add_co_ci_u32_e64 v108, null, s1, v12, vcc_lo
	v_add_nc_u32_e32 v43, s11, v15
	v_lshlrev_b64_e32 v[11:12], 3, v[17:18]
	v_ashrrev_i32_e32 v16, 31, v15
	v_add_co_u32 v109, vcc_lo, s0, v13
	s_delay_alu instid0(VALU_DEP_4)
	v_add_nc_u32_e32 v117, s11, v43
	v_ashrrev_i32_e32 v44, 31, v43
	s_wait_alu 0xfffd
	v_add_co_ci_u32_e64 v110, null, s1, v14, vcc_lo
	v_lshlrev_b64_e32 v[13:14], 3, v[15:16]
	v_add_nc_u32_e32 v119, s11, v117
	v_ashrrev_i32_e32 v118, 31, v117
	v_add_co_u32 v111, vcc_lo, s0, v11
	s_wait_alu 0xfffd
	v_add_co_ci_u32_e64 v112, null, s1, v12, vcc_lo
	v_add_nc_u32_e32 v121, s11, v119
	v_ashrrev_i32_e32 v120, 31, v119
	v_lshlrev_b64_e32 v[11:12], 3, v[43:44]
	v_lshlrev_b64_e32 v[117:118], 3, v[117:118]
	v_add_co_u32 v113, vcc_lo, s0, v13
	v_add_nc_u32_e32 v123, s11, v121
	v_ashrrev_i32_e32 v122, 31, v121
	v_lshlrev_b64_e32 v[119:120], 3, v[119:120]
	s_wait_alu 0xfffd
	v_add_co_ci_u32_e64 v114, null, s1, v14, vcc_lo
	v_add_nc_u32_e32 v125, s11, v123
	v_ashrrev_i32_e32 v124, 31, v123
	v_add_co_u32 v115, vcc_lo, s0, v11
	v_lshlrev_b64_e32 v[121:122], 3, v[121:122]
	s_delay_alu instid0(VALU_DEP_4)
	v_ashrrev_i32_e32 v126, 31, v125
	s_wait_alu 0xfffd
	v_add_co_ci_u32_e64 v116, null, s1, v12, vcc_lo
	v_add_co_u32 v117, vcc_lo, s0, v117
	v_lshlrev_b64_e32 v[123:124], 3, v[123:124]
	v_add_nc_u32_e32 v128, s11, v125
	s_wait_alu 0xfffd
	v_add_co_ci_u32_e64 v118, null, s1, v118, vcc_lo
	v_add_co_u32 v119, vcc_lo, s0, v119
	v_lshlrev_b64_e32 v[126:127], 3, v[125:126]
	s_wait_alu 0xfffd
	v_add_co_ci_u32_e64 v120, null, s1, v120, vcc_lo
	v_add_co_u32 v121, vcc_lo, s0, v121
	v_ashrrev_i32_e32 v129, 31, v128
	v_add_nc_u32_e32 v130, s11, v128
	s_wait_alu 0xfffd
	v_add_co_ci_u32_e64 v122, null, s1, v122, vcc_lo
	v_add_co_u32 v123, vcc_lo, s0, v123
	s_wait_alu 0xfffd
	v_add_co_ci_u32_e64 v124, null, s1, v124, vcc_lo
	v_add_co_u32 v125, vcc_lo, s0, v126
	s_wait_alu 0xfffd
	v_add_co_ci_u32_e64 v126, null, s1, v127, vcc_lo
	v_lshlrev_b64_e32 v[127:128], 3, v[128:129]
	v_add_nc_u32_e32 v129, s11, v130
	v_ashrrev_i32_e32 v131, 31, v130
	s_clause 0x14
	global_load_b64 v[1:2], v169, s[0:1]
	global_load_b64 v[3:4], v[47:48], off
	global_load_b64 v[5:6], v[49:50], off
	;; [unrolled: 1-line block ×20, first 2 shown]
	v_add_nc_u32_e32 v133, s11, v129
	v_lshlrev_b64_e32 v[131:132], 3, v[130:131]
	v_ashrrev_i32_e32 v130, 31, v129
	v_add_co_u32 v127, vcc_lo, s0, v127
	s_delay_alu instid0(VALU_DEP_4) | instskip(SKIP_1) | instid1(VALU_DEP_4)
	v_ashrrev_i32_e32 v134, 31, v133
	v_add_nc_u32_e32 v139, s11, v133
	v_lshlrev_b64_e32 v[135:136], 3, v[129:130]
	s_wait_alu 0xfffd
	v_add_co_ci_u32_e64 v128, null, s1, v128, vcc_lo
	v_lshlrev_b64_e32 v[137:138], 3, v[133:134]
	v_add_co_u32 v129, vcc_lo, s0, v131
	s_wait_alu 0xfffd
	v_add_co_ci_u32_e64 v130, null, s1, v132, vcc_lo
	v_add_co_u32 v131, vcc_lo, s0, v135
	v_ashrrev_i32_e32 v140, 31, v139
	v_add_nc_u32_e32 v135, s11, v139
	s_wait_alu 0xfffd
	v_add_co_ci_u32_e64 v132, null, s1, v136, vcc_lo
	v_add_co_u32 v133, vcc_lo, s0, v137
	s_wait_alu 0xfffd
	v_add_co_ci_u32_e64 v134, null, s1, v138, vcc_lo
	v_lshlrev_b64_e32 v[137:138], 3, v[139:140]
	v_add_nc_u32_e32 v139, s11, v135
	v_ashrrev_i32_e32 v136, 31, v135
	s_clause 0xb
	global_load_b64 v[43:44], v[87:88], off
	global_load_b64 v[170:171], v[89:90], off
	;; [unrolled: 1-line block ×12, first 2 shown]
	v_add_nc_u32_e32 v143, s11, v139
	v_lshlrev_b64_e32 v[141:142], 3, v[135:136]
	v_add_co_u32 v135, vcc_lo, s0, v137
	s_wait_alu 0xfffd
	v_add_co_ci_u32_e64 v136, null, s1, v138, vcc_lo
	v_ashrrev_i32_e32 v144, 31, v143
	s_delay_alu instid0(VALU_DEP_4) | instskip(SKIP_2) | instid1(VALU_DEP_3)
	v_add_co_u32 v137, vcc_lo, s0, v141
	s_wait_alu 0xfffd
	v_add_co_ci_u32_e64 v138, null, s1, v142, vcc_lo
	v_lshlrev_b64_e32 v[141:142], 3, v[143:144]
	v_add_nc_u32_e32 v143, s11, v143
	v_ashrrev_i32_e32 v140, 31, v139
	s_clause 0xb
	global_load_b64 v[192:193], v[111:112], off
	global_load_b64 v[194:195], v[113:114], off
	;; [unrolled: 1-line block ×12, first 2 shown]
	v_add_nc_u32_e32 v145, s11, v143
	v_ashrrev_i32_e32 v144, 31, v143
	v_lshlrev_b64_e32 v[139:140], 3, v[139:140]
	s_bitcmp0_b32 s4, 0
	s_delay_alu instid0(VALU_DEP_3) | instskip(SKIP_2) | instid1(VALU_DEP_4)
	v_add_nc_u32_e32 v147, s11, v145
	v_ashrrev_i32_e32 v146, 31, v145
	v_lshlrev_b64_e32 v[143:144], 3, v[143:144]
	v_add_co_u32 v139, vcc_lo, s0, v139
	s_delay_alu instid0(VALU_DEP_4)
	v_add_nc_u32_e32 v149, s11, v147
	v_ashrrev_i32_e32 v148, 31, v147
	v_lshlrev_b64_e32 v[145:146], 3, v[145:146]
	s_wait_alu 0xfffd
	v_add_co_ci_u32_e64 v140, null, s1, v140, vcc_lo
	v_ashrrev_i32_e32 v150, 31, v149
	v_add_co_u32 v141, vcc_lo, s0, v141
	v_lshlrev_b64_e32 v[147:148], 3, v[147:148]
	v_add_nc_u32_e32 v152, s11, v149
	s_wait_alu 0xfffd
	v_add_co_ci_u32_e64 v142, null, s1, v142, vcc_lo
	v_add_co_u32 v143, vcc_lo, s0, v143
	v_lshlrev_b64_e32 v[150:151], 3, v[149:150]
	s_wait_alu 0xfffd
	v_add_co_ci_u32_e64 v144, null, s1, v144, vcc_lo
	v_add_co_u32 v145, vcc_lo, s0, v145
	v_ashrrev_i32_e32 v153, 31, v152
	v_add_nc_u32_e32 v154, s11, v152
	s_wait_alu 0xfffd
	v_add_co_ci_u32_e64 v146, null, s1, v146, vcc_lo
	v_add_co_u32 v147, vcc_lo, s0, v147
	s_wait_alu 0xfffd
	v_add_co_ci_u32_e64 v148, null, s1, v148, vcc_lo
	v_add_co_u32 v149, vcc_lo, s0, v150
	s_wait_alu 0xfffd
	v_add_co_ci_u32_e64 v150, null, s1, v151, vcc_lo
	v_lshlrev_b64_e32 v[151:152], 3, v[152:153]
	v_add_nc_u32_e32 v153, s11, v154
	v_ashrrev_i32_e32 v155, 31, v154
	s_clause 0x7
	global_load_b64 v[216:217], v[135:136], off
	global_load_b64 v[218:219], v[137:138], off
	;; [unrolled: 1-line block ×8, first 2 shown]
	v_add_nc_u32_e32 v157, s11, v153
	v_lshlrev_b64_e32 v[155:156], 3, v[154:155]
	v_ashrrev_i32_e32 v154, 31, v153
	v_add_co_u32 v151, vcc_lo, s0, v151
	s_delay_alu instid0(VALU_DEP_4) | instskip(SKIP_1) | instid1(VALU_DEP_4)
	v_ashrrev_i32_e32 v158, 31, v157
	v_add_nc_u32_e32 v163, s11, v157
	v_lshlrev_b64_e32 v[159:160], 3, v[153:154]
	s_wait_alu 0xfffd
	v_add_co_ci_u32_e64 v152, null, s1, v152, vcc_lo
	v_lshlrev_b64_e32 v[161:162], 3, v[157:158]
	v_add_co_u32 v153, vcc_lo, s0, v155
	s_wait_alu 0xfffd
	v_add_co_ci_u32_e64 v154, null, s1, v156, vcc_lo
	v_add_co_u32 v155, vcc_lo, s0, v159
	v_ashrrev_i32_e32 v164, 31, v163
	v_add_nc_u32_e32 v159, s11, v163
	s_wait_alu 0xfffd
	v_add_co_ci_u32_e64 v156, null, s1, v160, vcc_lo
	v_add_co_u32 v157, vcc_lo, s0, v161
	s_wait_alu 0xfffd
	v_add_co_ci_u32_e64 v158, null, s1, v162, vcc_lo
	v_lshlrev_b64_e32 v[161:162], 3, v[163:164]
	v_add_nc_u32_e32 v163, s11, v159
	v_ashrrev_i32_e32 v160, 31, v159
	s_clause 0x3
	global_load_b64 v[232:233], v[151:152], off
	global_load_b64 v[234:235], v[153:154], off
	;; [unrolled: 1-line block ×4, first 2 shown]
	v_add_nc_u32_e32 v167, s11, v163
	v_lshlrev_b64_e32 v[165:166], 3, v[159:160]
	v_ashrrev_i32_e32 v164, 31, v163
	v_add_co_u32 v159, vcc_lo, s0, v161
	s_delay_alu instid0(VALU_DEP_4)
	v_add_nc_u32_e32 v240, s11, v167
	v_ashrrev_i32_e32 v168, 31, v167
	s_wait_alu 0xfffd
	v_add_co_ci_u32_e64 v160, null, s1, v162, vcc_lo
	v_lshlrev_b64_e32 v[163:164], 3, v[163:164]
	v_ashrrev_i32_e32 v241, 31, v240
	v_add_co_u32 v161, vcc_lo, s0, v165
	s_wait_alu 0xfffd
	v_add_co_ci_u32_e64 v162, null, s1, v166, vcc_lo
	v_lshlrev_b64_e32 v[165:166], 3, v[167:168]
	v_lshlrev_b64_e32 v[167:168], 3, v[240:241]
	v_add_co_u32 v163, vcc_lo, s0, v163
	s_wait_alu 0xfffd
	v_add_co_ci_u32_e64 v164, null, s1, v164, vcc_lo
	s_delay_alu instid0(VALU_DEP_4)
	v_add_co_u32 v165, vcc_lo, s0, v165
	s_wait_alu 0xfffd
	v_add_co_ci_u32_e64 v166, null, s1, v166, vcc_lo
	v_add_co_u32 v167, vcc_lo, s0, v167
	s_wait_alu 0xfffd
	v_add_co_ci_u32_e64 v168, null, s1, v168, vcc_lo
	s_clause 0x4
	global_load_b64 v[240:241], v[159:160], off
	global_load_b64 v[242:243], v[161:162], off
	;; [unrolled: 1-line block ×5, first 2 shown]
	s_mov_b32 s1, -1
	s_wait_loadcnt 0x3c
	scratch_store_b128 off, v[1:4], off
	s_wait_loadcnt 0x3a
	scratch_store_b128 off, v[5:8], off offset:16
	s_wait_loadcnt 0x38
	scratch_store_b128 off, v[9:12], off offset:32
	;; [unrolled: 2-line block ×30, first 2 shown]
	s_cbranch_scc1 .LBB61_260
; %bb.4:
	v_cmp_eq_u32_e64 s0, 0, v0
	s_and_saveexec_b32 s1, s0
; %bb.5:
	v_mov_b32_e32 v1, 0
	ds_store_b32 v1, v1 offset:992
; %bb.6:
	s_wait_alu 0xfffe
	s_or_b32 exec_lo, exec_lo, s1
	s_wait_storecnt_dscnt 0x0
	s_barrier_signal -1
	s_barrier_wait -1
	global_inv scope:SCOPE_SE
	scratch_load_b64 v[1:2], v169, off
	s_wait_loadcnt 0x0
	v_cmp_eq_f32_e32 vcc_lo, 0, v1
	v_cmp_eq_f32_e64 s1, 0, v2
	s_and_b32 s1, vcc_lo, s1
	s_wait_alu 0xfffe
	s_and_saveexec_b32 s4, s1
	s_cbranch_execz .LBB61_10
; %bb.7:
	v_mov_b32_e32 v1, 0
	s_mov_b32 s5, 0
	ds_load_b32 v2, v1 offset:992
	s_wait_dscnt 0x0
	v_readfirstlane_b32 s1, v2
	v_add_nc_u32_e32 v2, 1, v0
	s_cmp_eq_u32 s1, 0
	s_delay_alu instid0(VALU_DEP_1)
	v_cmp_gt_i32_e32 vcc_lo, s1, v2
	s_cselect_b32 s8, -1, 0
	s_wait_alu 0xfffe
	s_or_b32 s8, s8, vcc_lo
	s_wait_alu 0xfffe
	s_and_b32 exec_lo, exec_lo, s8
	s_cbranch_execz .LBB61_10
; %bb.8:
	v_mov_b32_e32 v3, s1
.LBB61_9:                               ; =>This Inner Loop Header: Depth=1
	ds_cmpstore_rtn_b32 v3, v1, v2, v3 offset:992
	s_wait_dscnt 0x0
	v_cmp_ne_u32_e32 vcc_lo, 0, v3
	v_cmp_le_i32_e64 s1, v3, v2
	s_and_b32 s1, vcc_lo, s1
	s_wait_alu 0xfffe
	s_and_b32 s1, exec_lo, s1
	s_wait_alu 0xfffe
	s_or_b32 s5, s1, s5
	s_wait_alu 0xfffe
	s_and_not1_b32 exec_lo, exec_lo, s5
	s_cbranch_execnz .LBB61_9
.LBB61_10:
	s_wait_alu 0xfffe
	s_or_b32 exec_lo, exec_lo, s4
	v_mov_b32_e32 v1, 0
	s_barrier_signal -1
	s_barrier_wait -1
	global_inv scope:SCOPE_SE
	ds_load_b32 v2, v1 offset:992
	s_and_saveexec_b32 s1, s0
	s_cbranch_execz .LBB61_12
; %bb.11:
	s_lshl_b64 s[4:5], s[16:17], 2
	s_wait_alu 0xfffe
	s_add_nc_u64 s[4:5], s[6:7], s[4:5]
	s_wait_dscnt 0x0
	global_store_b32 v1, v2, s[4:5]
.LBB61_12:
	s_wait_alu 0xfffe
	s_or_b32 exec_lo, exec_lo, s1
	s_wait_dscnt 0x0
	v_cmp_ne_u32_e32 vcc_lo, 0, v2
	s_mov_b32 s1, 0
	s_cbranch_vccnz .LBB61_260
; %bb.13:
	v_mov_b32_e32 v7, v169
                                        ; implicit-def: $vgpr3
                                        ; implicit-def: $vgpr5
	scratch_load_b64 v[1:2], v7, off
	s_wait_loadcnt 0x0
	v_cmp_ngt_f32_e64 s1, |v1|, |v2|
	s_wait_alu 0xfffe
	s_and_saveexec_b32 s4, s1
	s_wait_alu 0xfffe
	s_xor_b32 s1, exec_lo, s4
	s_cbranch_execz .LBB61_15
; %bb.14:
	v_div_scale_f32 v3, null, v2, v2, v1
	v_div_scale_f32 v6, vcc_lo, v1, v2, v1
	s_delay_alu instid0(VALU_DEP_2) | instskip(NEXT) | instid1(TRANS32_DEP_1)
	v_rcp_f32_e32 v4, v3
	v_fma_f32 v5, -v3, v4, 1.0
	s_delay_alu instid0(VALU_DEP_1) | instskip(NEXT) | instid1(VALU_DEP_1)
	v_fmac_f32_e32 v4, v5, v4
	v_mul_f32_e32 v5, v6, v4
	s_delay_alu instid0(VALU_DEP_1) | instskip(NEXT) | instid1(VALU_DEP_1)
	v_fma_f32 v8, -v3, v5, v6
	v_fmac_f32_e32 v5, v8, v4
	s_delay_alu instid0(VALU_DEP_1) | instskip(SKIP_1) | instid1(VALU_DEP_1)
	v_fma_f32 v3, -v3, v5, v6
	s_wait_alu 0xfffd
	v_div_fmas_f32 v3, v3, v4, v5
	s_delay_alu instid0(VALU_DEP_1) | instskip(NEXT) | instid1(VALU_DEP_1)
	v_div_fixup_f32 v3, v3, v2, v1
	v_fmac_f32_e32 v2, v1, v3
	s_delay_alu instid0(VALU_DEP_1) | instskip(NEXT) | instid1(VALU_DEP_1)
	v_div_scale_f32 v1, null, v2, v2, 1.0
	v_rcp_f32_e32 v4, v1
	s_delay_alu instid0(TRANS32_DEP_1) | instskip(NEXT) | instid1(VALU_DEP_1)
	v_fma_f32 v5, -v1, v4, 1.0
	v_fmac_f32_e32 v4, v5, v4
	v_div_scale_f32 v5, vcc_lo, 1.0, v2, 1.0
	s_delay_alu instid0(VALU_DEP_1) | instskip(NEXT) | instid1(VALU_DEP_1)
	v_mul_f32_e32 v6, v5, v4
	v_fma_f32 v8, -v1, v6, v5
	s_delay_alu instid0(VALU_DEP_1) | instskip(NEXT) | instid1(VALU_DEP_1)
	v_fmac_f32_e32 v6, v8, v4
	v_fma_f32 v1, -v1, v6, v5
	s_wait_alu 0xfffd
	s_delay_alu instid0(VALU_DEP_1) | instskip(NEXT) | instid1(VALU_DEP_1)
	v_div_fmas_f32 v1, v1, v4, v6
	v_div_fixup_f32 v1, v1, v2, 1.0
	s_delay_alu instid0(VALU_DEP_1) | instskip(SKIP_1) | instid1(VALU_DEP_2)
	v_mul_f32_e32 v3, v3, v1
	v_xor_b32_e32 v4, 0x80000000, v1
                                        ; implicit-def: $vgpr1_vgpr2
	v_xor_b32_e32 v5, 0x80000000, v3
.LBB61_15:
	s_wait_alu 0xfffe
	s_and_not1_saveexec_b32 s1, s1
	s_cbranch_execz .LBB61_17
; %bb.16:
	v_div_scale_f32 v3, null, v1, v1, v2
	v_div_scale_f32 v6, vcc_lo, v2, v1, v2
	s_delay_alu instid0(VALU_DEP_2) | instskip(NEXT) | instid1(TRANS32_DEP_1)
	v_rcp_f32_e32 v4, v3
	v_fma_f32 v5, -v3, v4, 1.0
	s_delay_alu instid0(VALU_DEP_1) | instskip(NEXT) | instid1(VALU_DEP_1)
	v_fmac_f32_e32 v4, v5, v4
	v_mul_f32_e32 v5, v6, v4
	s_delay_alu instid0(VALU_DEP_1) | instskip(NEXT) | instid1(VALU_DEP_1)
	v_fma_f32 v8, -v3, v5, v6
	v_fmac_f32_e32 v5, v8, v4
	s_delay_alu instid0(VALU_DEP_1) | instskip(SKIP_1) | instid1(VALU_DEP_1)
	v_fma_f32 v3, -v3, v5, v6
	s_wait_alu 0xfffd
	v_div_fmas_f32 v3, v3, v4, v5
	s_delay_alu instid0(VALU_DEP_1) | instskip(NEXT) | instid1(VALU_DEP_1)
	v_div_fixup_f32 v4, v3, v1, v2
	v_fmac_f32_e32 v1, v2, v4
	s_delay_alu instid0(VALU_DEP_1) | instskip(SKIP_1) | instid1(VALU_DEP_2)
	v_div_scale_f32 v2, null, v1, v1, 1.0
	v_div_scale_f32 v6, vcc_lo, 1.0, v1, 1.0
	v_rcp_f32_e32 v3, v2
	s_delay_alu instid0(TRANS32_DEP_1) | instskip(NEXT) | instid1(VALU_DEP_1)
	v_fma_f32 v5, -v2, v3, 1.0
	v_fmac_f32_e32 v3, v5, v3
	s_delay_alu instid0(VALU_DEP_1) | instskip(NEXT) | instid1(VALU_DEP_1)
	v_mul_f32_e32 v5, v6, v3
	v_fma_f32 v8, -v2, v5, v6
	s_delay_alu instid0(VALU_DEP_1) | instskip(NEXT) | instid1(VALU_DEP_1)
	v_fmac_f32_e32 v5, v8, v3
	v_fma_f32 v2, -v2, v5, v6
	s_wait_alu 0xfffd
	s_delay_alu instid0(VALU_DEP_1) | instskip(NEXT) | instid1(VALU_DEP_1)
	v_div_fmas_f32 v2, v2, v3, v5
	v_div_fixup_f32 v3, v2, v1, 1.0
	s_delay_alu instid0(VALU_DEP_1)
	v_xor_b32_e32 v5, 0x80000000, v3
	v_mul_f32_e64 v4, v4, -v3
.LBB61_17:
	s_wait_alu 0xfffe
	s_or_b32 exec_lo, exec_lo, s1
	scratch_store_b64 v7, v[3:4], off
	scratch_load_b64 v[2:3], off, off offset:8
	v_xor_b32_e32 v6, 0x80000000, v4
	v_add_nc_u32_e32 v1, 0x1f0, v169
	s_wait_loadcnt 0x0
	ds_store_2addr_b64 v169, v[5:6], v[2:3] offset1:62
	s_wait_storecnt_dscnt 0x0
	s_barrier_signal -1
	s_barrier_wait -1
	global_inv scope:SCOPE_SE
	s_and_saveexec_b32 s1, s0
	s_cbranch_execz .LBB61_19
; %bb.18:
	scratch_load_b64 v[2:3], v7, off
	ds_load_b64 v[4:5], v1
	v_mov_b32_e32 v6, 0
	ds_load_b64 v[8:9], v6 offset:8
	s_wait_loadcnt_dscnt 0x1
	v_mul_f32_e32 v6, v4, v3
	v_mul_f32_e32 v3, v5, v3
	s_delay_alu instid0(VALU_DEP_2) | instskip(NEXT) | instid1(VALU_DEP_2)
	v_fmac_f32_e32 v6, v5, v2
	v_fma_f32 v2, v4, v2, -v3
	s_delay_alu instid0(VALU_DEP_2) | instskip(SKIP_1) | instid1(VALU_DEP_1)
	v_add_f32_e32 v4, 0, v6
	s_wait_dscnt 0x0
	v_dual_add_f32 v2, 0, v2 :: v_dual_mul_f32 v5, v4, v9
	s_delay_alu instid0(VALU_DEP_1) | instskip(NEXT) | instid1(VALU_DEP_1)
	v_mul_f32_e32 v3, v2, v9
	v_fmac_f32_e32 v3, v4, v8
	s_delay_alu instid0(VALU_DEP_3)
	v_fma_f32 v2, v2, v8, -v5
	scratch_store_b64 off, v[2:3], off offset:8
.LBB61_19:
	s_wait_alu 0xfffe
	s_or_b32 exec_lo, exec_lo, s1
	s_wait_loadcnt 0x0
	s_wait_storecnt 0x0
	s_barrier_signal -1
	s_barrier_wait -1
	global_inv scope:SCOPE_SE
	scratch_load_b64 v[2:3], off, off offset:16
	s_mov_b32 s1, exec_lo
	s_wait_loadcnt 0x0
	ds_store_b64 v1, v[2:3]
	s_wait_dscnt 0x0
	s_barrier_signal -1
	s_barrier_wait -1
	global_inv scope:SCOPE_SE
	v_cmpx_gt_u32_e32 2, v0
	s_cbranch_execz .LBB61_23
; %bb.20:
	scratch_load_b64 v[2:3], v7, off
	ds_load_b64 v[4:5], v1
	s_wait_loadcnt_dscnt 0x0
	v_mul_f32_e32 v6, v5, v3
	v_mul_f32_e32 v8, v4, v3
	s_delay_alu instid0(VALU_DEP_2) | instskip(NEXT) | instid1(VALU_DEP_1)
	v_fma_f32 v3, v4, v2, -v6
	v_dual_fmac_f32 v8, v5, v2 :: v_dual_add_f32 v3, 0, v3
	s_delay_alu instid0(VALU_DEP_1)
	v_add_f32_e32 v2, 0, v8
	s_and_saveexec_b32 s4, s0
	s_cbranch_execz .LBB61_22
; %bb.21:
	scratch_load_b64 v[4:5], off, off offset:8
	v_mov_b32_e32 v6, 0
	ds_load_b64 v[8:9], v6 offset:504
	s_wait_loadcnt_dscnt 0x0
	v_mul_f32_e32 v6, v8, v5
	v_mul_f32_e32 v5, v9, v5
	s_delay_alu instid0(VALU_DEP_2) | instskip(NEXT) | instid1(VALU_DEP_2)
	v_fmac_f32_e32 v6, v9, v4
	v_fma_f32 v4, v8, v4, -v5
	s_delay_alu instid0(VALU_DEP_1)
	v_dual_add_f32 v2, v2, v6 :: v_dual_add_f32 v3, v3, v4
.LBB61_22:
	s_wait_alu 0xfffe
	s_or_b32 exec_lo, exec_lo, s4
	v_mov_b32_e32 v4, 0
	ds_load_b64 v[4:5], v4 offset:16
	s_wait_dscnt 0x0
	v_mul_f32_e32 v8, v2, v5
	v_mul_f32_e32 v6, v3, v5
	s_delay_alu instid0(VALU_DEP_2) | instskip(NEXT) | instid1(VALU_DEP_2)
	v_fma_f32 v5, v3, v4, -v8
	v_fmac_f32_e32 v6, v2, v4
	scratch_store_b64 off, v[5:6], off offset:16
.LBB61_23:
	s_wait_alu 0xfffe
	s_or_b32 exec_lo, exec_lo, s1
	s_wait_loadcnt 0x0
	s_wait_storecnt 0x0
	s_barrier_signal -1
	s_barrier_wait -1
	global_inv scope:SCOPE_SE
	scratch_load_b64 v[3:4], off, off offset:24
	v_add_nc_u32_e32 v2, -1, v0
	s_mov_b32 s0, exec_lo
	s_wait_loadcnt 0x0
	ds_store_b64 v1, v[3:4]
	s_wait_dscnt 0x0
	s_barrier_signal -1
	s_barrier_wait -1
	global_inv scope:SCOPE_SE
	v_cmpx_gt_u32_e32 3, v0
	s_cbranch_execz .LBB61_27
; %bb.24:
	v_dual_mov_b32 v3, 0 :: v_dual_add_nc_u32 v4, -1, v0
	v_dual_mov_b32 v6, v169 :: v_dual_add_nc_u32 v5, 0x1f0, v169
	v_mov_b32_e32 v8, 0
	s_mov_b32 s1, 0
.LBB61_25:                              ; =>This Inner Loop Header: Depth=1
	scratch_load_b64 v[9:10], v6, off
	ds_load_b64 v[11:12], v5
	v_add_nc_u32_e32 v6, 8, v6
	v_add_nc_u32_e32 v4, 1, v4
	v_add_nc_u32_e32 v5, 8, v5
	s_delay_alu instid0(VALU_DEP_2)
	v_cmp_lt_u32_e32 vcc_lo, 1, v4
	s_wait_alu 0xfffe
	s_or_b32 s1, vcc_lo, s1
	s_wait_loadcnt_dscnt 0x0
	v_mul_f32_e32 v13, v12, v10
	v_mul_f32_e32 v10, v11, v10
	s_delay_alu instid0(VALU_DEP_2) | instskip(NEXT) | instid1(VALU_DEP_2)
	v_fma_f32 v11, v11, v9, -v13
	v_fmac_f32_e32 v10, v12, v9
	s_delay_alu instid0(VALU_DEP_1)
	v_dual_add_f32 v8, v8, v11 :: v_dual_add_f32 v3, v3, v10
	s_wait_alu 0xfffe
	s_and_not1_b32 exec_lo, exec_lo, s1
	s_cbranch_execnz .LBB61_25
; %bb.26:
	s_or_b32 exec_lo, exec_lo, s1
	v_mov_b32_e32 v4, 0
	ds_load_b64 v[4:5], v4 offset:24
	s_wait_dscnt 0x0
	v_mul_f32_e32 v9, v3, v5
	v_mul_f32_e32 v6, v8, v5
	s_delay_alu instid0(VALU_DEP_2) | instskip(NEXT) | instid1(VALU_DEP_2)
	v_fma_f32 v5, v8, v4, -v9
	v_fmac_f32_e32 v6, v3, v4
	scratch_store_b64 off, v[5:6], off offset:24
.LBB61_27:
	s_wait_alu 0xfffe
	s_or_b32 exec_lo, exec_lo, s0
	s_wait_loadcnt 0x0
	s_wait_storecnt 0x0
	s_barrier_signal -1
	s_barrier_wait -1
	global_inv scope:SCOPE_SE
	scratch_load_b64 v[3:4], off, off offset:32
	s_mov_b32 s0, exec_lo
	s_wait_loadcnt 0x0
	ds_store_b64 v1, v[3:4]
	s_wait_dscnt 0x0
	s_barrier_signal -1
	s_barrier_wait -1
	global_inv scope:SCOPE_SE
	v_cmpx_gt_u32_e32 4, v0
	s_cbranch_execz .LBB61_31
; %bb.28:
	v_dual_mov_b32 v3, 0 :: v_dual_add_nc_u32 v4, -1, v0
	v_dual_mov_b32 v6, v169 :: v_dual_add_nc_u32 v5, 0x1f0, v169
	v_mov_b32_e32 v8, 0
	s_mov_b32 s1, 0
.LBB61_29:                              ; =>This Inner Loop Header: Depth=1
	scratch_load_b64 v[9:10], v6, off
	ds_load_b64 v[11:12], v5
	v_add_nc_u32_e32 v6, 8, v6
	v_add_nc_u32_e32 v4, 1, v4
	v_add_nc_u32_e32 v5, 8, v5
	s_delay_alu instid0(VALU_DEP_2)
	v_cmp_lt_u32_e32 vcc_lo, 2, v4
	s_wait_alu 0xfffe
	s_or_b32 s1, vcc_lo, s1
	s_wait_loadcnt_dscnt 0x0
	v_mul_f32_e32 v13, v12, v10
	v_mul_f32_e32 v10, v11, v10
	s_delay_alu instid0(VALU_DEP_2) | instskip(NEXT) | instid1(VALU_DEP_2)
	v_fma_f32 v11, v11, v9, -v13
	v_fmac_f32_e32 v10, v12, v9
	s_delay_alu instid0(VALU_DEP_1)
	v_dual_add_f32 v8, v8, v11 :: v_dual_add_f32 v3, v3, v10
	s_wait_alu 0xfffe
	s_and_not1_b32 exec_lo, exec_lo, s1
	s_cbranch_execnz .LBB61_29
; %bb.30:
	s_or_b32 exec_lo, exec_lo, s1
	v_mov_b32_e32 v4, 0
	ds_load_b64 v[4:5], v4 offset:32
	s_wait_dscnt 0x0
	v_mul_f32_e32 v9, v3, v5
	v_mul_f32_e32 v6, v8, v5
	s_delay_alu instid0(VALU_DEP_2) | instskip(NEXT) | instid1(VALU_DEP_2)
	v_fma_f32 v5, v8, v4, -v9
	v_fmac_f32_e32 v6, v3, v4
	scratch_store_b64 off, v[5:6], off offset:32
.LBB61_31:
	s_wait_alu 0xfffe
	s_or_b32 exec_lo, exec_lo, s0
	s_wait_loadcnt 0x0
	s_wait_storecnt 0x0
	s_barrier_signal -1
	s_barrier_wait -1
	global_inv scope:SCOPE_SE
	scratch_load_b64 v[3:4], off, off offset:40
	;; [unrolled: 55-line block ×19, first 2 shown]
	s_mov_b32 s0, exec_lo
	s_wait_loadcnt 0x0
	ds_store_b64 v1, v[3:4]
	s_wait_dscnt 0x0
	s_barrier_signal -1
	s_barrier_wait -1
	global_inv scope:SCOPE_SE
	v_cmpx_gt_u32_e32 22, v0
	s_cbranch_execz .LBB61_103
; %bb.100:
	v_dual_mov_b32 v3, 0 :: v_dual_add_nc_u32 v4, -1, v0
	v_dual_mov_b32 v6, v169 :: v_dual_add_nc_u32 v5, 0x1f0, v169
	v_mov_b32_e32 v8, 0
	s_mov_b32 s1, 0
.LBB61_101:                             ; =>This Inner Loop Header: Depth=1
	scratch_load_b64 v[9:10], v6, off
	ds_load_b64 v[11:12], v5
	v_add_nc_u32_e32 v6, 8, v6
	v_add_nc_u32_e32 v4, 1, v4
	v_add_nc_u32_e32 v5, 8, v5
	s_delay_alu instid0(VALU_DEP_2)
	v_cmp_lt_u32_e32 vcc_lo, 20, v4
	s_wait_alu 0xfffe
	s_or_b32 s1, vcc_lo, s1
	s_wait_loadcnt_dscnt 0x0
	v_mul_f32_e32 v13, v12, v10
	v_mul_f32_e32 v10, v11, v10
	s_delay_alu instid0(VALU_DEP_2) | instskip(NEXT) | instid1(VALU_DEP_2)
	v_fma_f32 v11, v11, v9, -v13
	v_fmac_f32_e32 v10, v12, v9
	s_delay_alu instid0(VALU_DEP_1)
	v_dual_add_f32 v8, v8, v11 :: v_dual_add_f32 v3, v3, v10
	s_wait_alu 0xfffe
	s_and_not1_b32 exec_lo, exec_lo, s1
	s_cbranch_execnz .LBB61_101
; %bb.102:
	s_or_b32 exec_lo, exec_lo, s1
	v_mov_b32_e32 v4, 0
	ds_load_b64 v[4:5], v4 offset:176
	s_wait_dscnt 0x0
	v_mul_f32_e32 v9, v3, v5
	v_mul_f32_e32 v6, v8, v5
	s_delay_alu instid0(VALU_DEP_2) | instskip(NEXT) | instid1(VALU_DEP_2)
	v_fma_f32 v5, v8, v4, -v9
	v_fmac_f32_e32 v6, v3, v4
	scratch_store_b64 off, v[5:6], off offset:176
.LBB61_103:
	s_wait_alu 0xfffe
	s_or_b32 exec_lo, exec_lo, s0
	s_wait_loadcnt 0x0
	s_wait_storecnt 0x0
	s_barrier_signal -1
	s_barrier_wait -1
	global_inv scope:SCOPE_SE
	scratch_load_b64 v[3:4], off, off offset:184
	s_mov_b32 s0, exec_lo
	s_wait_loadcnt 0x0
	ds_store_b64 v1, v[3:4]
	s_wait_dscnt 0x0
	s_barrier_signal -1
	s_barrier_wait -1
	global_inv scope:SCOPE_SE
	v_cmpx_gt_u32_e32 23, v0
	s_cbranch_execz .LBB61_107
; %bb.104:
	v_dual_mov_b32 v3, 0 :: v_dual_add_nc_u32 v4, -1, v0
	v_dual_mov_b32 v6, v169 :: v_dual_add_nc_u32 v5, 0x1f0, v169
	v_mov_b32_e32 v8, 0
	s_mov_b32 s1, 0
.LBB61_105:                             ; =>This Inner Loop Header: Depth=1
	scratch_load_b64 v[9:10], v6, off
	ds_load_b64 v[11:12], v5
	v_add_nc_u32_e32 v6, 8, v6
	v_add_nc_u32_e32 v4, 1, v4
	v_add_nc_u32_e32 v5, 8, v5
	s_delay_alu instid0(VALU_DEP_2)
	v_cmp_lt_u32_e32 vcc_lo, 21, v4
	s_wait_alu 0xfffe
	s_or_b32 s1, vcc_lo, s1
	s_wait_loadcnt_dscnt 0x0
	v_mul_f32_e32 v13, v12, v10
	v_mul_f32_e32 v10, v11, v10
	s_delay_alu instid0(VALU_DEP_2) | instskip(NEXT) | instid1(VALU_DEP_2)
	v_fma_f32 v11, v11, v9, -v13
	v_fmac_f32_e32 v10, v12, v9
	s_delay_alu instid0(VALU_DEP_1)
	v_dual_add_f32 v8, v8, v11 :: v_dual_add_f32 v3, v3, v10
	s_wait_alu 0xfffe
	s_and_not1_b32 exec_lo, exec_lo, s1
	s_cbranch_execnz .LBB61_105
; %bb.106:
	s_or_b32 exec_lo, exec_lo, s1
	v_mov_b32_e32 v4, 0
	ds_load_b64 v[4:5], v4 offset:184
	s_wait_dscnt 0x0
	v_mul_f32_e32 v9, v3, v5
	v_mul_f32_e32 v6, v8, v5
	s_delay_alu instid0(VALU_DEP_2) | instskip(NEXT) | instid1(VALU_DEP_2)
	v_fma_f32 v5, v8, v4, -v9
	v_fmac_f32_e32 v6, v3, v4
	scratch_store_b64 off, v[5:6], off offset:184
.LBB61_107:
	s_wait_alu 0xfffe
	s_or_b32 exec_lo, exec_lo, s0
	s_wait_loadcnt 0x0
	s_wait_storecnt 0x0
	s_barrier_signal -1
	s_barrier_wait -1
	global_inv scope:SCOPE_SE
	scratch_load_b64 v[3:4], off, off offset:192
	;; [unrolled: 55-line block ×39, first 2 shown]
	s_mov_b32 s0, exec_lo
	s_wait_loadcnt 0x0
	ds_store_b64 v1, v[3:4]
	s_wait_dscnt 0x0
	s_barrier_signal -1
	s_barrier_wait -1
	global_inv scope:SCOPE_SE
	v_cmpx_ne_u32_e32 61, v0
	s_cbranch_execz .LBB61_259
; %bb.256:
	v_dual_mov_b32 v3, 0 :: v_dual_mov_b32 v4, 0
	s_mov_b32 s1, 0
.LBB61_257:                             ; =>This Inner Loop Header: Depth=1
	scratch_load_b64 v[5:6], v7, off
	ds_load_b64 v[8:9], v1
	v_add_nc_u32_e32 v2, 1, v2
	v_add_nc_u32_e32 v1, 8, v1
	;; [unrolled: 1-line block ×3, first 2 shown]
	s_delay_alu instid0(VALU_DEP_3)
	v_cmp_lt_u32_e32 vcc_lo, 59, v2
	s_wait_alu 0xfffe
	s_or_b32 s1, vcc_lo, s1
	s_wait_loadcnt_dscnt 0x0
	v_mul_f32_e32 v10, v9, v6
	v_mul_f32_e32 v6, v8, v6
	s_delay_alu instid0(VALU_DEP_2) | instskip(NEXT) | instid1(VALU_DEP_2)
	v_fma_f32 v8, v8, v5, -v10
	v_fmac_f32_e32 v6, v9, v5
	s_delay_alu instid0(VALU_DEP_1)
	v_dual_add_f32 v4, v4, v8 :: v_dual_add_f32 v3, v3, v6
	s_wait_alu 0xfffe
	s_and_not1_b32 exec_lo, exec_lo, s1
	s_cbranch_execnz .LBB61_257
; %bb.258:
	s_or_b32 exec_lo, exec_lo, s1
	v_mov_b32_e32 v1, 0
	ds_load_b64 v[1:2], v1 offset:488
	s_wait_dscnt 0x0
	v_mul_f32_e32 v6, v3, v2
	v_mul_f32_e32 v5, v4, v2
	s_delay_alu instid0(VALU_DEP_2) | instskip(NEXT) | instid1(VALU_DEP_2)
	v_fma_f32 v4, v4, v1, -v6
	v_fmac_f32_e32 v5, v3, v1
	scratch_store_b64 off, v[4:5], off offset:488
.LBB61_259:
	s_wait_alu 0xfffe
	s_or_b32 exec_lo, exec_lo, s0
	s_mov_b32 s1, -1
	s_wait_loadcnt 0x0
	s_wait_storecnt 0x0
	s_barrier_signal -1
	s_barrier_wait -1
	global_inv scope:SCOPE_SE
.LBB61_260:
	s_wait_alu 0xfffe
	s_and_b32 vcc_lo, exec_lo, s1
	s_wait_alu 0xfffe
	s_cbranch_vccz .LBB61_262
; %bb.261:
	v_mov_b32_e32 v1, 0
	s_lshl_b64 s[0:1], s[16:17], 2
	s_wait_alu 0xfffe
	s_add_nc_u64 s[0:1], s[6:7], s[0:1]
	global_load_b32 v1, v1, s[0:1]
	s_wait_loadcnt 0x0
	v_cmp_ne_u32_e32 vcc_lo, 0, v1
	s_cbranch_vccz .LBB61_263
.LBB61_262:
	s_nop 0
	s_sendmsg sendmsg(MSG_DEALLOC_VGPRS)
	s_endpgm
.LBB61_263:
	v_lshl_add_u32 v35, v0, 3, 0x1f0
	s_mov_b32 s0, exec_lo
	v_cmpx_eq_u32_e32 61, v0
	s_cbranch_execz .LBB61_265
; %bb.264:
	scratch_load_b64 v[1:2], off, off offset:480
	v_mov_b32_e32 v3, 0
	s_delay_alu instid0(VALU_DEP_1)
	v_mov_b32_e32 v4, v3
	scratch_store_b64 off, v[3:4], off offset:480
	s_wait_loadcnt 0x0
	ds_store_b64 v35, v[1:2]
.LBB61_265:
	s_wait_alu 0xfffe
	s_or_b32 exec_lo, exec_lo, s0
	s_wait_storecnt_dscnt 0x0
	s_barrier_signal -1
	s_barrier_wait -1
	global_inv scope:SCOPE_SE
	s_clause 0x1
	scratch_load_b64 v[2:3], off, off offset:488
	scratch_load_b64 v[4:5], off, off offset:480
	v_mov_b32_e32 v1, 0
	s_mov_b32 s0, exec_lo
	ds_load_b64 v[6:7], v1 offset:984
	s_wait_loadcnt_dscnt 0x100
	v_mul_f32_e32 v8, v7, v3
	v_mul_f32_e32 v3, v6, v3
	s_delay_alu instid0(VALU_DEP_2) | instskip(NEXT) | instid1(VALU_DEP_2)
	v_fma_f32 v6, v6, v2, -v8
	v_fmac_f32_e32 v3, v7, v2
	s_delay_alu instid0(VALU_DEP_1) | instskip(SKIP_1) | instid1(VALU_DEP_1)
	v_dual_add_f32 v2, 0, v6 :: v_dual_add_f32 v3, 0, v3
	s_wait_loadcnt 0x0
	v_dual_sub_f32 v2, v4, v2 :: v_dual_sub_f32 v3, v5, v3
	scratch_store_b64 off, v[2:3], off offset:480
	v_cmpx_lt_u32_e32 59, v0
	s_cbranch_execz .LBB61_267
; %bb.266:
	scratch_load_b64 v[3:4], off, off offset:472
	v_mov_b32_e32 v2, v1
	scratch_store_b64 off, v[1:2], off offset:472
	s_wait_loadcnt 0x0
	ds_store_b64 v35, v[3:4]
.LBB61_267:
	s_wait_alu 0xfffe
	s_or_b32 exec_lo, exec_lo, s0
	s_wait_storecnt_dscnt 0x0
	s_barrier_signal -1
	s_barrier_wait -1
	global_inv scope:SCOPE_SE
	s_clause 0x1
	scratch_load_b128 v[2:5], off, off offset:480
	scratch_load_b64 v[10:11], off, off offset:472
	ds_load_b128 v[6:9], v1 offset:976
	s_mov_b32 s0, exec_lo
	s_wait_loadcnt_dscnt 0x100
	v_dual_mul_f32 v1, v7, v3 :: v_dual_mul_f32 v12, v8, v5
	v_mul_f32_e32 v3, v6, v3
	s_delay_alu instid0(VALU_DEP_2) | instskip(NEXT) | instid1(VALU_DEP_2)
	v_fma_f32 v1, v6, v2, -v1
	v_dual_fmac_f32 v12, v9, v4 :: v_dual_fmac_f32 v3, v7, v2
	s_delay_alu instid0(VALU_DEP_2) | instskip(NEXT) | instid1(VALU_DEP_2)
	v_add_f32_e32 v1, 0, v1
	v_add_f32_e32 v3, 0, v3
	v_mul_f32_e32 v5, v9, v5
	s_delay_alu instid0(VALU_DEP_1) | instskip(NEXT) | instid1(VALU_DEP_1)
	v_fma_f32 v2, v8, v4, -v5
	v_dual_add_f32 v1, v1, v2 :: v_dual_add_f32 v2, v3, v12
	s_wait_loadcnt 0x0
	s_delay_alu instid0(VALU_DEP_1)
	v_dual_sub_f32 v1, v10, v1 :: v_dual_sub_f32 v2, v11, v2
	scratch_store_b64 off, v[1:2], off offset:472
	v_cmpx_lt_u32_e32 58, v0
	s_cbranch_execz .LBB61_269
; %bb.268:
	scratch_load_b64 v[1:2], off, off offset:464
	v_mov_b32_e32 v3, 0
	s_delay_alu instid0(VALU_DEP_1)
	v_mov_b32_e32 v4, v3
	scratch_store_b64 off, v[3:4], off offset:464
	s_wait_loadcnt 0x0
	ds_store_b64 v35, v[1:2]
.LBB61_269:
	s_wait_alu 0xfffe
	s_or_b32 exec_lo, exec_lo, s0
	s_wait_storecnt_dscnt 0x0
	s_barrier_signal -1
	s_barrier_wait -1
	global_inv scope:SCOPE_SE
	s_clause 0x2
	scratch_load_b128 v[2:5], off, off offset:472
	scratch_load_b64 v[10:11], off, off offset:488
	scratch_load_b64 v[12:13], off, off offset:464
	v_mov_b32_e32 v1, 0
	ds_load_2addr_b64 v[6:9], v1 offset0:121 offset1:122
	ds_load_b64 v[14:15], v1 offset:984
	s_mov_b32 s0, exec_lo
	s_wait_loadcnt_dscnt 0x201
	v_dual_mul_f32 v16, v7, v3 :: v_dual_mul_f32 v17, v8, v5
	s_wait_loadcnt_dscnt 0x100
	v_mul_f32_e32 v18, v14, v11
	v_mul_f32_e32 v3, v6, v3
	;; [unrolled: 1-line block ×3, first 2 shown]
	v_fma_f32 v6, v6, v2, -v16
	s_delay_alu instid0(VALU_DEP_4) | instskip(NEXT) | instid1(VALU_DEP_4)
	v_fmac_f32_e32 v18, v15, v10
	v_fmac_f32_e32 v3, v7, v2
	v_mul_f32_e32 v2, v15, v11
	s_delay_alu instid0(VALU_DEP_1) | instskip(SKIP_3) | instid1(VALU_DEP_1)
	v_fma_f32 v2, v14, v10, -v2
	v_fmac_f32_e32 v17, v9, v4
	v_fma_f32 v4, v8, v4, -v5
	v_add_f32_e32 v5, 0, v6
	v_add_f32_e32 v4, v5, v4
	s_delay_alu instid0(VALU_DEP_1) | instskip(SKIP_1) | instid1(VALU_DEP_1)
	v_dual_add_f32 v2, v4, v2 :: v_dual_add_f32 v3, 0, v3
	s_wait_loadcnt 0x0
	v_dual_sub_f32 v2, v12, v2 :: v_dual_add_f32 v3, v3, v17
	s_delay_alu instid0(VALU_DEP_1) | instskip(NEXT) | instid1(VALU_DEP_1)
	v_add_f32_e32 v3, v3, v18
	v_sub_f32_e32 v3, v13, v3
	scratch_store_b64 off, v[2:3], off offset:464
	v_cmpx_lt_u32_e32 57, v0
	s_cbranch_execz .LBB61_271
; %bb.270:
	scratch_load_b64 v[3:4], off, off offset:456
	v_mov_b32_e32 v2, v1
	scratch_store_b64 off, v[1:2], off offset:456
	s_wait_loadcnt 0x0
	ds_store_b64 v35, v[3:4]
.LBB61_271:
	s_wait_alu 0xfffe
	s_or_b32 exec_lo, exec_lo, s0
	s_wait_storecnt_dscnt 0x0
	s_barrier_signal -1
	s_barrier_wait -1
	global_inv scope:SCOPE_SE
	s_clause 0x2
	scratch_load_b128 v[2:5], off, off offset:464
	scratch_load_b128 v[6:9], off, off offset:480
	scratch_load_b64 v[18:19], off, off offset:456
	ds_load_b128 v[10:13], v1 offset:960
	ds_load_b128 v[14:17], v1 offset:976
	s_mov_b32 s0, exec_lo
	s_wait_loadcnt_dscnt 0x201
	v_dual_mul_f32 v1, v10, v3 :: v_dual_mul_f32 v20, v12, v5
	s_wait_loadcnt_dscnt 0x100
	v_dual_mul_f32 v3, v11, v3 :: v_dual_mul_f32 v22, v16, v9
	v_mul_f32_e32 v5, v13, v5
	s_delay_alu instid0(VALU_DEP_3) | instskip(NEXT) | instid1(VALU_DEP_3)
	v_dual_mul_f32 v21, v14, v7 :: v_dual_fmac_f32 v20, v13, v4
	v_fma_f32 v3, v10, v2, -v3
	s_delay_alu instid0(VALU_DEP_4) | instskip(SKIP_2) | instid1(VALU_DEP_4)
	v_dual_fmac_f32 v1, v11, v2 :: v_dual_fmac_f32 v22, v17, v8
	v_mul_f32_e32 v2, v15, v7
	v_fma_f32 v4, v12, v4, -v5
	v_add_f32_e32 v3, 0, v3
	v_fmac_f32_e32 v21, v15, v6
	s_delay_alu instid0(VALU_DEP_4) | instskip(NEXT) | instid1(VALU_DEP_3)
	v_fma_f32 v2, v14, v6, -v2
	v_add_f32_e32 v3, v3, v4
	s_delay_alu instid0(VALU_DEP_1) | instskip(NEXT) | instid1(VALU_DEP_1)
	v_dual_add_f32 v1, 0, v1 :: v_dual_add_f32 v2, v3, v2
	v_add_f32_e32 v1, v1, v20
	s_delay_alu instid0(VALU_DEP_1) | instskip(NEXT) | instid1(VALU_DEP_1)
	v_add_f32_e32 v1, v1, v21
	v_add_f32_e32 v3, v1, v22
	v_mul_f32_e32 v5, v17, v9
	s_delay_alu instid0(VALU_DEP_1) | instskip(NEXT) | instid1(VALU_DEP_1)
	v_fma_f32 v4, v16, v8, -v5
	v_add_f32_e32 v2, v2, v4
	s_wait_loadcnt 0x0
	s_delay_alu instid0(VALU_DEP_1)
	v_dual_sub_f32 v1, v18, v2 :: v_dual_sub_f32 v2, v19, v3
	scratch_store_b64 off, v[1:2], off offset:456
	v_cmpx_lt_u32_e32 56, v0
	s_cbranch_execz .LBB61_273
; %bb.272:
	scratch_load_b64 v[1:2], off, off offset:448
	v_mov_b32_e32 v3, 0
	s_delay_alu instid0(VALU_DEP_1)
	v_mov_b32_e32 v4, v3
	scratch_store_b64 off, v[3:4], off offset:448
	s_wait_loadcnt 0x0
	ds_store_b64 v35, v[1:2]
.LBB61_273:
	s_wait_alu 0xfffe
	s_or_b32 exec_lo, exec_lo, s0
	s_wait_storecnt_dscnt 0x0
	s_barrier_signal -1
	s_barrier_wait -1
	global_inv scope:SCOPE_SE
	s_clause 0x3
	scratch_load_b128 v[2:5], off, off offset:456
	scratch_load_b128 v[6:9], off, off offset:472
	scratch_load_b64 v[18:19], off, off offset:488
	scratch_load_b64 v[20:21], off, off offset:448
	v_mov_b32_e32 v1, 0
	ds_load_2addr_b64 v[10:13], v1 offset0:119 offset1:120
	ds_load_2addr_b64 v[14:17], v1 offset0:121 offset1:122
	ds_load_b64 v[22:23], v1 offset:984
	s_mov_b32 s0, exec_lo
	s_wait_loadcnt_dscnt 0x302
	v_dual_mul_f32 v24, v10, v3 :: v_dual_mul_f32 v25, v12, v5
	s_wait_loadcnt_dscnt 0x201
	v_dual_mul_f32 v26, v14, v7 :: v_dual_mul_f32 v5, v13, v5
	;; [unrolled: 2-line block ×3, first 2 shown]
	v_dual_fmac_f32 v24, v11, v2 :: v_dual_fmac_f32 v25, v13, v4
	s_delay_alu instid0(VALU_DEP_3) | instskip(SKIP_1) | instid1(VALU_DEP_3)
	v_fmac_f32_e32 v26, v15, v6
	v_fma_f32 v4, v12, v4, -v5
	v_dual_fmac_f32 v28, v23, v18 :: v_dual_add_f32 v5, 0, v24
	v_mul_f32_e32 v3, v11, v3
	s_delay_alu instid0(VALU_DEP_1) | instskip(SKIP_1) | instid1(VALU_DEP_2)
	v_fma_f32 v3, v10, v2, -v3
	v_dual_mul_f32 v2, v15, v7 :: v_dual_mul_f32 v7, v17, v9
	v_add_f32_e32 v3, 0, v3
	s_delay_alu instid0(VALU_DEP_2) | instskip(NEXT) | instid1(VALU_DEP_3)
	v_fma_f32 v2, v14, v6, -v2
	v_fma_f32 v6, v16, v8, -v7
	s_delay_alu instid0(VALU_DEP_3) | instskip(NEXT) | instid1(VALU_DEP_1)
	v_add_f32_e32 v3, v3, v4
	v_add_f32_e32 v2, v3, v2
	;; [unrolled: 1-line block ×3, first 2 shown]
	s_delay_alu instid0(VALU_DEP_2) | instskip(NEXT) | instid1(VALU_DEP_2)
	v_dual_add_f32 v2, v2, v6 :: v_dual_mul_f32 v5, v23, v19
	v_add_f32_e32 v3, v4, v26
	s_delay_alu instid0(VALU_DEP_2) | instskip(NEXT) | instid1(VALU_DEP_1)
	v_fma_f32 v4, v22, v18, -v5
	v_add_f32_e32 v2, v2, v4
	s_wait_loadcnt 0x0
	s_delay_alu instid0(VALU_DEP_1) | instskip(NEXT) | instid1(VALU_DEP_1)
	v_dual_fmac_f32 v27, v17, v8 :: v_dual_sub_f32 v2, v20, v2
	v_add_f32_e32 v3, v3, v27
	s_delay_alu instid0(VALU_DEP_1) | instskip(NEXT) | instid1(VALU_DEP_1)
	v_add_f32_e32 v3, v3, v28
	v_sub_f32_e32 v3, v21, v3
	scratch_store_b64 off, v[2:3], off offset:448
	v_cmpx_lt_u32_e32 55, v0
	s_cbranch_execz .LBB61_275
; %bb.274:
	scratch_load_b64 v[3:4], off, off offset:440
	v_mov_b32_e32 v2, v1
	scratch_store_b64 off, v[1:2], off offset:440
	s_wait_loadcnt 0x0
	ds_store_b64 v35, v[3:4]
.LBB61_275:
	s_wait_alu 0xfffe
	s_or_b32 exec_lo, exec_lo, s0
	s_wait_storecnt_dscnt 0x0
	s_barrier_signal -1
	s_barrier_wait -1
	global_inv scope:SCOPE_SE
	s_clause 0x3
	scratch_load_b128 v[2:5], off, off offset:448
	scratch_load_b128 v[6:9], off, off offset:464
	;; [unrolled: 1-line block ×3, first 2 shown]
	scratch_load_b64 v[26:27], off, off offset:440
	ds_load_b128 v[14:17], v1 offset:944
	ds_load_b128 v[18:21], v1 offset:960
	;; [unrolled: 1-line block ×3, first 2 shown]
	s_mov_b32 s0, exec_lo
	s_wait_loadcnt_dscnt 0x302
	v_dual_mul_f32 v1, v14, v3 :: v_dual_mul_f32 v28, v16, v5
	s_wait_loadcnt_dscnt 0x100
	v_dual_mul_f32 v3, v15, v3 :: v_dual_mul_f32 v32, v24, v13
	v_dual_mul_f32 v29, v18, v7 :: v_dual_mul_f32 v30, v20, v9
	v_mul_f32_e32 v5, v17, v5
	s_delay_alu instid0(VALU_DEP_3)
	v_fma_f32 v3, v14, v2, -v3
	v_fmac_f32_e32 v1, v15, v2
	v_mul_f32_e32 v2, v19, v7
	v_dual_mul_f32 v31, v22, v11 :: v_dual_fmac_f32 v28, v17, v4
	v_fma_f32 v4, v16, v4, -v5
	v_fmac_f32_e32 v30, v21, v8
	s_delay_alu instid0(VALU_DEP_4) | instskip(SKIP_4) | instid1(VALU_DEP_4)
	v_fma_f32 v2, v18, v6, -v2
	v_mul_f32_e32 v5, v21, v9
	v_add_f32_e32 v1, 0, v1
	v_dual_fmac_f32 v29, v19, v6 :: v_dual_fmac_f32 v32, v25, v12
	v_fmac_f32_e32 v31, v23, v10
	v_fma_f32 v5, v20, v8, -v5
	v_add_f32_e32 v3, 0, v3
	s_delay_alu instid0(VALU_DEP_1) | instskip(SKIP_1) | instid1(VALU_DEP_2)
	v_add_f32_e32 v3, v3, v4
	v_mul_f32_e32 v4, v23, v11
	v_add_f32_e32 v2, v3, v2
	s_delay_alu instid0(VALU_DEP_2) | instskip(NEXT) | instid1(VALU_DEP_2)
	v_fma_f32 v4, v22, v10, -v4
	v_add_f32_e32 v2, v2, v5
	s_delay_alu instid0(VALU_DEP_1) | instskip(NEXT) | instid1(VALU_DEP_1)
	v_dual_mul_f32 v3, v25, v13 :: v_dual_add_f32 v2, v2, v4
	v_fma_f32 v3, v24, v12, -v3
	s_delay_alu instid0(VALU_DEP_1) | instskip(NEXT) | instid1(VALU_DEP_1)
	v_dual_add_f32 v1, v1, v28 :: v_dual_add_f32 v2, v2, v3
	v_add_f32_e32 v1, v1, v29
	s_delay_alu instid0(VALU_DEP_1) | instskip(NEXT) | instid1(VALU_DEP_1)
	v_add_f32_e32 v1, v1, v30
	v_add_f32_e32 v1, v1, v31
	s_delay_alu instid0(VALU_DEP_1) | instskip(SKIP_1) | instid1(VALU_DEP_1)
	v_add_f32_e32 v3, v1, v32
	s_wait_loadcnt 0x0
	v_dual_sub_f32 v1, v26, v2 :: v_dual_sub_f32 v2, v27, v3
	scratch_store_b64 off, v[1:2], off offset:440
	v_cmpx_lt_u32_e32 54, v0
	s_cbranch_execz .LBB61_277
; %bb.276:
	scratch_load_b64 v[1:2], off, off offset:432
	v_mov_b32_e32 v3, 0
	s_delay_alu instid0(VALU_DEP_1)
	v_mov_b32_e32 v4, v3
	scratch_store_b64 off, v[3:4], off offset:432
	s_wait_loadcnt 0x0
	ds_store_b64 v35, v[1:2]
.LBB61_277:
	s_wait_alu 0xfffe
	s_or_b32 exec_lo, exec_lo, s0
	s_wait_storecnt_dscnt 0x0
	s_barrier_signal -1
	s_barrier_wait -1
	global_inv scope:SCOPE_SE
	s_clause 0x4
	scratch_load_b128 v[2:5], off, off offset:440
	scratch_load_b128 v[6:9], off, off offset:456
	;; [unrolled: 1-line block ×3, first 2 shown]
	scratch_load_b64 v[26:27], off, off offset:488
	scratch_load_b64 v[28:29], off, off offset:432
	v_mov_b32_e32 v1, 0
	ds_load_2addr_b64 v[14:17], v1 offset0:117 offset1:118
	ds_load_2addr_b64 v[18:21], v1 offset0:119 offset1:120
	;; [unrolled: 1-line block ×3, first 2 shown]
	ds_load_b64 v[30:31], v1 offset:984
	s_mov_b32 s0, exec_lo
	s_wait_loadcnt_dscnt 0x403
	v_mul_f32_e32 v32, v14, v3
	s_wait_loadcnt_dscnt 0x302
	v_dual_mul_f32 v36, v20, v9 :: v_dual_mul_f32 v3, v15, v3
	v_dual_mul_f32 v33, v16, v5 :: v_dual_mul_f32 v34, v18, v7
	s_wait_loadcnt_dscnt 0x100
	v_dual_mul_f32 v39, v30, v27 :: v_dual_fmac_f32 v32, v15, v2
	v_mul_f32_e32 v5, v17, v5
	v_fma_f32 v3, v14, v2, -v3
	v_dual_mul_f32 v2, v19, v7 :: v_dual_fmac_f32 v33, v17, v4
	v_fmac_f32_e32 v34, v19, v6
	s_delay_alu instid0(VALU_DEP_4) | instskip(SKIP_1) | instid1(VALU_DEP_4)
	v_fma_f32 v4, v16, v4, -v5
	v_dual_mul_f32 v37, v22, v11 :: v_dual_mul_f32 v38, v24, v13
	v_fma_f32 v2, v18, v6, -v2
	v_add_f32_e32 v5, 0, v32
	v_dual_add_f32 v3, 0, v3 :: v_dual_fmac_f32 v36, v21, v8
	s_delay_alu instid0(VALU_DEP_4) | instskip(NEXT) | instid1(VALU_DEP_2)
	v_dual_fmac_f32 v37, v23, v10 :: v_dual_fmac_f32 v38, v25, v12
	v_add_f32_e32 v3, v3, v4
	s_delay_alu instid0(VALU_DEP_1) | instskip(SKIP_1) | instid1(VALU_DEP_2)
	v_dual_add_f32 v2, v3, v2 :: v_dual_mul_f32 v7, v21, v9
	v_dual_add_f32 v4, v5, v33 :: v_dual_mul_f32 v5, v23, v11
	v_fma_f32 v6, v20, v8, -v7
	s_delay_alu instid0(VALU_DEP_2) | instskip(NEXT) | instid1(VALU_DEP_3)
	v_dual_add_f32 v3, v4, v34 :: v_dual_mul_f32 v4, v25, v13
	v_fma_f32 v5, v22, v10, -v5
	s_delay_alu instid0(VALU_DEP_3) | instskip(SKIP_1) | instid1(VALU_DEP_4)
	v_add_f32_e32 v2, v2, v6
	v_mul_f32_e32 v6, v31, v27
	v_add_f32_e32 v3, v3, v36
	v_fma_f32 v4, v24, v12, -v4
	s_delay_alu instid0(VALU_DEP_4) | instskip(NEXT) | instid1(VALU_DEP_4)
	v_add_f32_e32 v2, v2, v5
	v_fma_f32 v5, v30, v26, -v6
	s_delay_alu instid0(VALU_DEP_2) | instskip(SKIP_1) | instid1(VALU_DEP_2)
	v_dual_add_f32 v3, v3, v37 :: v_dual_add_f32 v2, v2, v4
	v_fmac_f32_e32 v39, v31, v26
	v_dual_add_f32 v3, v3, v38 :: v_dual_add_f32 v2, v2, v5
	s_wait_loadcnt 0x0
	s_delay_alu instid0(VALU_DEP_1) | instskip(NEXT) | instid1(VALU_DEP_1)
	v_dual_add_f32 v3, v3, v39 :: v_dual_sub_f32 v2, v28, v2
	v_sub_f32_e32 v3, v29, v3
	scratch_store_b64 off, v[2:3], off offset:432
	v_cmpx_lt_u32_e32 53, v0
	s_cbranch_execz .LBB61_279
; %bb.278:
	scratch_load_b64 v[3:4], off, off offset:424
	v_mov_b32_e32 v2, v1
	scratch_store_b64 off, v[1:2], off offset:424
	s_wait_loadcnt 0x0
	ds_store_b64 v35, v[3:4]
.LBB61_279:
	s_wait_alu 0xfffe
	s_or_b32 exec_lo, exec_lo, s0
	s_wait_storecnt_dscnt 0x0
	s_barrier_signal -1
	s_barrier_wait -1
	global_inv scope:SCOPE_SE
	s_clause 0x4
	scratch_load_b128 v[2:5], off, off offset:432
	scratch_load_b128 v[6:9], off, off offset:448
	;; [unrolled: 1-line block ×4, first 2 shown]
	scratch_load_b64 v[36:37], off, off offset:424
	ds_load_b128 v[18:21], v1 offset:928
	ds_load_b128 v[22:25], v1 offset:944
	;; [unrolled: 1-line block ×4, first 2 shown]
	s_mov_b32 s0, exec_lo
	s_wait_loadcnt_dscnt 0x403
	v_dual_mul_f32 v1, v18, v3 :: v_dual_mul_f32 v34, v20, v5
	v_mul_f32_e32 v3, v19, v3
	s_wait_loadcnt_dscnt 0x302
	v_dual_mul_f32 v5, v21, v5 :: v_dual_mul_f32 v38, v22, v7
	s_delay_alu instid0(VALU_DEP_3) | instskip(NEXT) | instid1(VALU_DEP_3)
	v_dual_mul_f32 v39, v24, v9 :: v_dual_fmac_f32 v34, v21, v4
	v_fma_f32 v3, v18, v2, -v3
	v_fmac_f32_e32 v1, v19, v2
	v_mul_f32_e32 v2, v23, v7
	v_fma_f32 v4, v20, v4, -v5
	s_delay_alu instid0(VALU_DEP_4)
	v_dual_fmac_f32 v38, v23, v6 :: v_dual_add_f32 v3, 0, v3
	s_wait_loadcnt_dscnt 0x100
	v_dual_mul_f32 v42, v30, v15 :: v_dual_mul_f32 v43, v32, v17
	v_fma_f32 v2, v22, v6, -v2
	v_dual_mul_f32 v40, v26, v11 :: v_dual_mul_f32 v41, v28, v13
	v_add_f32_e32 v3, v3, v4
	v_mul_f32_e32 v5, v25, v9
	s_delay_alu instid0(VALU_DEP_3) | instskip(SKIP_1) | instid1(VALU_DEP_4)
	v_dual_fmac_f32 v39, v25, v8 :: v_dual_fmac_f32 v40, v27, v10
	v_mul_f32_e32 v4, v27, v11
	v_add_f32_e32 v2, v3, v2
	s_delay_alu instid0(VALU_DEP_4) | instskip(SKIP_1) | instid1(VALU_DEP_4)
	v_fma_f32 v5, v24, v8, -v5
	v_dual_mul_f32 v3, v29, v13 :: v_dual_fmac_f32 v42, v31, v14
	v_fma_f32 v4, v26, v10, -v4
	s_delay_alu instid0(VALU_DEP_3) | instskip(SKIP_3) | instid1(VALU_DEP_3)
	v_dual_fmac_f32 v43, v33, v16 :: v_dual_add_f32 v2, v2, v5
	v_add_f32_e32 v1, 0, v1
	v_mul_f32_e32 v5, v31, v15
	v_fma_f32 v3, v28, v12, -v3
	v_dual_add_f32 v2, v2, v4 :: v_dual_add_f32 v1, v1, v34
	v_mul_f32_e32 v4, v33, v17
	s_delay_alu instid0(VALU_DEP_4) | instskip(NEXT) | instid1(VALU_DEP_3)
	v_fma_f32 v5, v30, v14, -v5
	v_dual_add_f32 v2, v2, v3 :: v_dual_add_f32 v1, v1, v38
	s_delay_alu instid0(VALU_DEP_3) | instskip(NEXT) | instid1(VALU_DEP_2)
	v_fma_f32 v3, v32, v16, -v4
	v_dual_add_f32 v2, v2, v5 :: v_dual_add_f32 v1, v1, v39
	s_delay_alu instid0(VALU_DEP_1) | instskip(NEXT) | instid1(VALU_DEP_2)
	v_dual_fmac_f32 v41, v29, v12 :: v_dual_add_f32 v2, v2, v3
	v_add_f32_e32 v1, v1, v40
	s_delay_alu instid0(VALU_DEP_1) | instskip(NEXT) | instid1(VALU_DEP_1)
	v_add_f32_e32 v1, v1, v41
	v_add_f32_e32 v1, v1, v42
	s_delay_alu instid0(VALU_DEP_1) | instskip(SKIP_1) | instid1(VALU_DEP_1)
	v_add_f32_e32 v3, v1, v43
	s_wait_loadcnt 0x0
	v_dual_sub_f32 v1, v36, v2 :: v_dual_sub_f32 v2, v37, v3
	scratch_store_b64 off, v[1:2], off offset:424
	v_cmpx_lt_u32_e32 52, v0
	s_cbranch_execz .LBB61_281
; %bb.280:
	scratch_load_b64 v[1:2], off, off offset:416
	v_mov_b32_e32 v3, 0
	s_delay_alu instid0(VALU_DEP_1)
	v_mov_b32_e32 v4, v3
	scratch_store_b64 off, v[3:4], off offset:416
	s_wait_loadcnt 0x0
	ds_store_b64 v35, v[1:2]
.LBB61_281:
	s_wait_alu 0xfffe
	s_or_b32 exec_lo, exec_lo, s0
	s_wait_storecnt_dscnt 0x0
	s_barrier_signal -1
	s_barrier_wait -1
	global_inv scope:SCOPE_SE
	s_clause 0x5
	scratch_load_b128 v[2:5], off, off offset:424
	scratch_load_b128 v[6:9], off, off offset:440
	;; [unrolled: 1-line block ×4, first 2 shown]
	scratch_load_b64 v[36:37], off, off offset:488
	scratch_load_b64 v[38:39], off, off offset:416
	v_mov_b32_e32 v1, 0
	ds_load_2addr_b64 v[18:21], v1 offset0:115 offset1:116
	ds_load_2addr_b64 v[22:25], v1 offset0:117 offset1:118
	;; [unrolled: 1-line block ×4, first 2 shown]
	ds_load_b64 v[40:41], v1 offset:984
	s_mov_b32 s0, exec_lo
	s_wait_loadcnt_dscnt 0x504
	v_mul_f32_e32 v34, v18, v3
	s_wait_loadcnt_dscnt 0x302
	v_dual_mul_f32 v3, v19, v3 :: v_dual_mul_f32 v170, v28, v13
	v_dual_mul_f32 v42, v20, v5 :: v_dual_mul_f32 v43, v22, v7
	s_wait_loadcnt_dscnt 0x100
	v_dual_mul_f32 v173, v40, v37 :: v_dual_fmac_f32 v34, v19, v2
	v_mul_f32_e32 v5, v21, v5
	v_fma_f32 v3, v18, v2, -v3
	v_dual_mul_f32 v44, v24, v9 :: v_dual_mul_f32 v169, v26, v11
	v_mul_f32_e32 v2, v23, v7
	s_delay_alu instid0(VALU_DEP_3) | instskip(SKIP_1) | instid1(VALU_DEP_4)
	v_dual_fmac_f32 v42, v21, v4 :: v_dual_add_f32 v3, 0, v3
	v_fma_f32 v4, v20, v4, -v5
	v_dual_add_f32 v5, 0, v34 :: v_dual_fmac_f32 v44, v25, v8
	s_delay_alu instid0(VALU_DEP_4) | instskip(SKIP_1) | instid1(VALU_DEP_3)
	v_fma_f32 v2, v22, v6, -v2
	v_fmac_f32_e32 v43, v23, v6
	v_dual_add_f32 v3, v3, v4 :: v_dual_add_f32 v4, v5, v42
	v_mul_f32_e32 v7, v25, v9
	v_dual_mul_f32 v171, v30, v15 :: v_dual_mul_f32 v172, v32, v17
	s_delay_alu instid0(VALU_DEP_3) | instskip(SKIP_1) | instid1(VALU_DEP_4)
	v_dual_add_f32 v2, v3, v2 :: v_dual_add_f32 v3, v4, v43
	v_fmac_f32_e32 v170, v29, v12
	v_fma_f32 v6, v24, v8, -v7
	v_dual_mul_f32 v5, v27, v11 :: v_dual_mul_f32 v4, v29, v13
	s_delay_alu instid0(VALU_DEP_4) | instskip(SKIP_1) | instid1(VALU_DEP_4)
	v_add_f32_e32 v3, v3, v44
	v_fmac_f32_e32 v172, v33, v16
	v_add_f32_e32 v2, v2, v6
	s_delay_alu instid0(VALU_DEP_4) | instskip(SKIP_3) | instid1(VALU_DEP_4)
	v_fma_f32 v5, v26, v10, -v5
	v_fmac_f32_e32 v169, v27, v10
	v_mul_f32_e32 v6, v31, v15
	v_fma_f32 v4, v28, v12, -v4
	v_add_f32_e32 v2, v2, v5
	v_mul_f32_e32 v5, v33, v17
	v_fmac_f32_e32 v171, v31, v14
	v_fma_f32 v6, v30, v14, -v6
	s_delay_alu instid0(VALU_DEP_4) | instskip(SKIP_3) | instid1(VALU_DEP_4)
	v_add_f32_e32 v2, v2, v4
	v_mul_f32_e32 v4, v41, v37
	v_add_f32_e32 v3, v3, v169
	v_fma_f32 v5, v32, v16, -v5
	v_add_f32_e32 v2, v2, v6
	s_delay_alu instid0(VALU_DEP_4) | instskip(NEXT) | instid1(VALU_DEP_2)
	v_fma_f32 v4, v40, v36, -v4
	v_dual_add_f32 v3, v3, v170 :: v_dual_add_f32 v2, v2, v5
	s_delay_alu instid0(VALU_DEP_1) | instskip(NEXT) | instid1(VALU_DEP_1)
	v_add_f32_e32 v3, v3, v171
	v_add_f32_e32 v3, v3, v172
	s_delay_alu instid0(VALU_DEP_3) | instskip(SKIP_1) | instid1(VALU_DEP_1)
	v_add_f32_e32 v2, v2, v4
	s_wait_loadcnt 0x0
	v_dual_fmac_f32 v173, v41, v36 :: v_dual_sub_f32 v2, v38, v2
	s_delay_alu instid0(VALU_DEP_1) | instskip(NEXT) | instid1(VALU_DEP_1)
	v_add_f32_e32 v3, v3, v173
	v_sub_f32_e32 v3, v39, v3
	scratch_store_b64 off, v[2:3], off offset:416
	v_cmpx_lt_u32_e32 51, v0
	s_cbranch_execz .LBB61_283
; %bb.282:
	scratch_load_b64 v[3:4], off, off offset:408
	v_mov_b32_e32 v2, v1
	scratch_store_b64 off, v[1:2], off offset:408
	s_wait_loadcnt 0x0
	ds_store_b64 v35, v[3:4]
.LBB61_283:
	s_wait_alu 0xfffe
	s_or_b32 exec_lo, exec_lo, s0
	s_wait_storecnt_dscnt 0x0
	s_barrier_signal -1
	s_barrier_wait -1
	global_inv scope:SCOPE_SE
	s_clause 0x5
	scratch_load_b128 v[2:5], off, off offset:416
	scratch_load_b128 v[6:9], off, off offset:432
	;; [unrolled: 1-line block ×5, first 2 shown]
	scratch_load_b64 v[169:170], off, off offset:408
	ds_load_b128 v[22:25], v1 offset:912
	ds_load_b128 v[26:29], v1 offset:928
	;; [unrolled: 1-line block ×5, first 2 shown]
	s_mov_b32 s0, exec_lo
	s_wait_loadcnt_dscnt 0x504
	v_dual_mul_f32 v1, v22, v3 :: v_dual_mul_f32 v34, v24, v5
	v_mul_f32_e32 v3, v23, v3
	s_wait_loadcnt_dscnt 0x403
	v_dual_mul_f32 v5, v25, v5 :: v_dual_mul_f32 v44, v26, v7
	s_delay_alu instid0(VALU_DEP_3) | instskip(NEXT) | instid1(VALU_DEP_3)
	v_dual_mul_f32 v171, v28, v9 :: v_dual_fmac_f32 v34, v25, v4
	v_fma_f32 v3, v22, v2, -v3
	s_wait_loadcnt_dscnt 0x201
	v_dual_mul_f32 v174, v36, v15 :: v_dual_mul_f32 v175, v38, v17
	v_fmac_f32_e32 v1, v23, v2
	v_mul_f32_e32 v2, v27, v7
	v_fma_f32 v4, v24, v4, -v5
	v_dual_add_f32 v3, 0, v3 :: v_dual_fmac_f32 v44, v27, v6
	v_fmac_f32_e32 v174, v37, v14
	s_delay_alu instid0(VALU_DEP_4) | instskip(SKIP_1) | instid1(VALU_DEP_4)
	v_fma_f32 v2, v26, v6, -v2
	v_dual_mul_f32 v172, v30, v11 :: v_dual_mul_f32 v173, v32, v13
	v_add_f32_e32 v3, v3, v4
	v_dual_mul_f32 v5, v29, v9 :: v_dual_mul_f32 v4, v31, v11
	s_delay_alu instid0(VALU_DEP_3) | instskip(NEXT) | instid1(VALU_DEP_3)
	v_dual_fmac_f32 v171, v29, v8 :: v_dual_fmac_f32 v172, v31, v10
	v_add_f32_e32 v2, v3, v2
	s_delay_alu instid0(VALU_DEP_3) | instskip(NEXT) | instid1(VALU_DEP_4)
	v_fma_f32 v5, v28, v8, -v5
	v_fma_f32 v4, v30, v10, -v4
	s_wait_loadcnt_dscnt 0x100
	v_dual_mul_f32 v176, v40, v19 :: v_dual_mul_f32 v177, v42, v21
	s_delay_alu instid0(VALU_DEP_3) | instskip(SKIP_2) | instid1(VALU_DEP_4)
	v_dual_fmac_f32 v175, v39, v16 :: v_dual_add_f32 v2, v2, v5
	v_add_f32_e32 v1, 0, v1
	v_mul_f32_e32 v5, v37, v15
	v_dual_fmac_f32 v176, v41, v18 :: v_dual_fmac_f32 v177, v43, v20
	s_delay_alu instid0(VALU_DEP_3) | instskip(SKIP_1) | instid1(VALU_DEP_4)
	v_dual_add_f32 v2, v2, v4 :: v_dual_add_f32 v1, v1, v34
	v_mul_f32_e32 v4, v39, v17
	v_fma_f32 v5, v36, v14, -v5
	s_delay_alu instid0(VALU_DEP_3) | instskip(NEXT) | instid1(VALU_DEP_3)
	v_add_f32_e32 v1, v1, v44
	v_fma_f32 v4, v38, v16, -v4
	v_mul_f32_e32 v3, v33, v13
	s_delay_alu instid0(VALU_DEP_1) | instskip(NEXT) | instid1(VALU_DEP_1)
	v_fma_f32 v3, v32, v12, -v3
	v_dual_fmac_f32 v173, v33, v12 :: v_dual_add_f32 v2, v2, v3
	v_add_f32_e32 v1, v1, v171
	s_delay_alu instid0(VALU_DEP_2) | instskip(SKIP_1) | instid1(VALU_DEP_2)
	v_dual_mul_f32 v3, v41, v19 :: v_dual_add_f32 v2, v2, v5
	v_mul_f32_e32 v5, v43, v21
	v_fma_f32 v3, v40, v18, -v3
	s_delay_alu instid0(VALU_DEP_3) | instskip(SKIP_1) | instid1(VALU_DEP_4)
	v_add_f32_e32 v2, v2, v4
	v_add_f32_e32 v1, v1, v172
	v_fma_f32 v4, v42, v20, -v5
	s_delay_alu instid0(VALU_DEP_2) | instskip(NEXT) | instid1(VALU_DEP_1)
	v_dual_add_f32 v2, v2, v3 :: v_dual_add_f32 v1, v1, v173
	v_dual_add_f32 v2, v2, v4 :: v_dual_add_f32 v1, v1, v174
	s_delay_alu instid0(VALU_DEP_1) | instskip(NEXT) | instid1(VALU_DEP_1)
	v_add_f32_e32 v1, v1, v175
	v_add_f32_e32 v1, v1, v176
	s_delay_alu instid0(VALU_DEP_1) | instskip(SKIP_1) | instid1(VALU_DEP_1)
	v_add_f32_e32 v3, v1, v177
	s_wait_loadcnt 0x0
	v_dual_sub_f32 v1, v169, v2 :: v_dual_sub_f32 v2, v170, v3
	scratch_store_b64 off, v[1:2], off offset:408
	v_cmpx_lt_u32_e32 50, v0
	s_cbranch_execz .LBB61_285
; %bb.284:
	scratch_load_b64 v[1:2], off, off offset:400
	v_mov_b32_e32 v3, 0
	s_delay_alu instid0(VALU_DEP_1)
	v_mov_b32_e32 v4, v3
	scratch_store_b64 off, v[3:4], off offset:400
	s_wait_loadcnt 0x0
	ds_store_b64 v35, v[1:2]
.LBB61_285:
	s_wait_alu 0xfffe
	s_or_b32 exec_lo, exec_lo, s0
	s_wait_storecnt_dscnt 0x0
	s_barrier_signal -1
	s_barrier_wait -1
	global_inv scope:SCOPE_SE
	s_clause 0x6
	scratch_load_b128 v[2:5], off, off offset:408
	scratch_load_b128 v[6:9], off, off offset:424
	;; [unrolled: 1-line block ×5, first 2 shown]
	scratch_load_b64 v[169:170], off, off offset:488
	scratch_load_b64 v[171:172], off, off offset:400
	v_mov_b32_e32 v1, 0
	ds_load_2addr_b64 v[22:25], v1 offset0:113 offset1:114
	ds_load_2addr_b64 v[26:29], v1 offset0:115 offset1:116
	ds_load_2addr_b64 v[30:33], v1 offset0:117 offset1:118
	ds_load_2addr_b64 v[36:39], v1 offset0:119 offset1:120
	ds_load_2addr_b64 v[40:43], v1 offset0:121 offset1:122
	ds_load_b64 v[173:174], v1 offset:984
	s_mov_b32 s0, exec_lo
	s_wait_loadcnt_dscnt 0x605
	v_mul_f32_e32 v34, v22, v3
	s_wait_loadcnt_dscnt 0x403
	v_dual_mul_f32 v3, v23, v3 :: v_dual_mul_f32 v178, v32, v13
	v_dual_mul_f32 v44, v24, v5 :: v_dual_mul_f32 v175, v26, v7
	s_delay_alu instid0(VALU_DEP_3) | instskip(NEXT) | instid1(VALU_DEP_3)
	v_dual_mul_f32 v5, v25, v5 :: v_dual_fmac_f32 v34, v23, v2
	v_fma_f32 v3, v22, v2, -v3
	s_wait_loadcnt_dscnt 0x100
	v_dual_mul_f32 v183, v173, v170 :: v_dual_mul_f32 v2, v27, v7
	v_fmac_f32_e32 v44, v25, v4
	v_fma_f32 v4, v24, v4, -v5
	v_dual_add_f32 v3, 0, v3 :: v_dual_mul_f32 v176, v28, v9
	v_mul_f32_e32 v177, v30, v11
	v_add_f32_e32 v5, 0, v34
	v_fma_f32 v2, v26, v6, -v2
	s_delay_alu instid0(VALU_DEP_4) | instskip(SKIP_3) | instid1(VALU_DEP_4)
	v_add_f32_e32 v3, v3, v4
	v_mul_f32_e32 v7, v29, v9
	v_dual_fmac_f32 v176, v29, v8 :: v_dual_fmac_f32 v175, v27, v6
	v_add_f32_e32 v4, v5, v44
	v_add_f32_e32 v2, v3, v2
	s_delay_alu instid0(VALU_DEP_4)
	v_fma_f32 v6, v28, v8, -v7
	v_mul_f32_e32 v5, v31, v11
	v_fmac_f32_e32 v177, v31, v10
	v_dual_add_f32 v3, v4, v175 :: v_dual_fmac_f32 v178, v33, v12
	v_mul_f32_e32 v4, v33, v13
	v_add_f32_e32 v2, v2, v6
	v_fma_f32 v5, v30, v10, -v5
	s_delay_alu instid0(VALU_DEP_4) | instskip(NEXT) | instid1(VALU_DEP_4)
	v_dual_add_f32 v3, v3, v176 :: v_dual_mul_f32 v6, v37, v15
	v_fma_f32 v4, v32, v12, -v4
	v_dual_mul_f32 v179, v36, v15 :: v_dual_mul_f32 v180, v38, v17
	s_delay_alu instid0(VALU_DEP_4) | instskip(NEXT) | instid1(VALU_DEP_4)
	v_add_f32_e32 v2, v2, v5
	v_add_f32_e32 v3, v3, v177
	v_mul_f32_e32 v5, v39, v17
	v_fma_f32 v6, v36, v14, -v6
	v_dual_fmac_f32 v179, v37, v14 :: v_dual_fmac_f32 v180, v39, v16
	v_add_f32_e32 v2, v2, v4
	v_mul_f32_e32 v4, v41, v19
	v_fma_f32 v5, v38, v16, -v5
	v_dual_mul_f32 v181, v40, v19 :: v_dual_mul_f32 v182, v42, v21
	s_delay_alu instid0(VALU_DEP_4) | instskip(SKIP_1) | instid1(VALU_DEP_3)
	v_add_f32_e32 v2, v2, v6
	v_add_f32_e32 v3, v3, v178
	v_dual_mul_f32 v6, v43, v21 :: v_dual_fmac_f32 v181, v41, v18
	v_fma_f32 v4, v40, v18, -v4
	s_delay_alu instid0(VALU_DEP_3) | instskip(SKIP_1) | instid1(VALU_DEP_4)
	v_dual_add_f32 v2, v2, v5 :: v_dual_add_f32 v3, v3, v179
	v_dual_mul_f32 v5, v174, v170 :: v_dual_fmac_f32 v182, v43, v20
	v_fma_f32 v6, v42, v20, -v6
	s_delay_alu instid0(VALU_DEP_3) | instskip(NEXT) | instid1(VALU_DEP_4)
	v_add_f32_e32 v2, v2, v4
	v_add_f32_e32 v3, v3, v180
	s_delay_alu instid0(VALU_DEP_4) | instskip(NEXT) | instid1(VALU_DEP_2)
	v_fma_f32 v4, v173, v169, -v5
	v_dual_add_f32 v2, v2, v6 :: v_dual_add_f32 v3, v3, v181
	s_delay_alu instid0(VALU_DEP_1) | instskip(SKIP_1) | instid1(VALU_DEP_1)
	v_dual_add_f32 v2, v2, v4 :: v_dual_add_f32 v3, v3, v182
	s_wait_loadcnt 0x0
	v_dual_fmac_f32 v183, v174, v169 :: v_dual_sub_f32 v2, v171, v2
	s_delay_alu instid0(VALU_DEP_1) | instskip(NEXT) | instid1(VALU_DEP_1)
	v_add_f32_e32 v3, v3, v183
	v_sub_f32_e32 v3, v172, v3
	scratch_store_b64 off, v[2:3], off offset:400
	v_cmpx_lt_u32_e32 49, v0
	s_cbranch_execz .LBB61_287
; %bb.286:
	scratch_load_b64 v[3:4], off, off offset:392
	v_mov_b32_e32 v2, v1
	scratch_store_b64 off, v[1:2], off offset:392
	s_wait_loadcnt 0x0
	ds_store_b64 v35, v[3:4]
.LBB61_287:
	s_wait_alu 0xfffe
	s_or_b32 exec_lo, exec_lo, s0
	s_wait_storecnt_dscnt 0x0
	s_barrier_signal -1
	s_barrier_wait -1
	global_inv scope:SCOPE_SE
	s_clause 0x6
	scratch_load_b128 v[2:5], off, off offset:400
	scratch_load_b128 v[6:9], off, off offset:416
	;; [unrolled: 1-line block ×6, first 2 shown]
	scratch_load_b64 v[177:178], off, off offset:392
	ds_load_b128 v[26:29], v1 offset:896
	ds_load_b128 v[30:33], v1 offset:912
	;; [unrolled: 1-line block ×6, first 2 shown]
	s_mov_b32 s0, exec_lo
	s_wait_loadcnt_dscnt 0x605
	v_dual_mul_f32 v1, v26, v3 :: v_dual_mul_f32 v34, v28, v5
	v_mul_f32_e32 v3, v27, v3
	s_wait_loadcnt_dscnt 0x504
	v_dual_mul_f32 v5, v29, v5 :: v_dual_mul_f32 v44, v30, v7
	s_delay_alu instid0(VALU_DEP_3) | instskip(NEXT) | instid1(VALU_DEP_3)
	v_dual_mul_f32 v179, v32, v9 :: v_dual_fmac_f32 v34, v29, v4
	v_fma_f32 v3, v26, v2, -v3
	v_fmac_f32_e32 v1, v27, v2
	v_mul_f32_e32 v2, v31, v7
	v_fma_f32 v4, v28, v4, -v5
	s_wait_loadcnt_dscnt 0x403
	v_dual_mul_f32 v180, v36, v11 :: v_dual_mul_f32 v181, v38, v13
	v_dual_add_f32 v3, 0, v3 :: v_dual_fmac_f32 v44, v31, v6
	v_fma_f32 v2, v30, v6, -v2
	s_delay_alu instid0(VALU_DEP_3)
	v_fmac_f32_e32 v180, v37, v10
	s_wait_loadcnt_dscnt 0x302
	v_dual_mul_f32 v182, v40, v15 :: v_dual_mul_f32 v183, v42, v17
	v_dual_add_f32 v3, v3, v4 :: v_dual_mul_f32 v4, v37, v11
	s_wait_loadcnt_dscnt 0x201
	v_dual_add_f32 v1, 0, v1 :: v_dual_mul_f32 v184, v169, v19
	v_mul_f32_e32 v185, v171, v21
	s_delay_alu instid0(VALU_DEP_3) | instskip(SKIP_4) | instid1(VALU_DEP_3)
	v_add_f32_e32 v2, v3, v2
	v_fma_f32 v4, v36, v10, -v4
	v_mul_f32_e32 v5, v33, v9
	v_dual_mul_f32 v3, v39, v13 :: v_dual_fmac_f32 v182, v41, v14
	v_dual_fmac_f32 v179, v33, v8 :: v_dual_fmac_f32 v184, v170, v18
	v_fma_f32 v5, v32, v8, -v5
	v_add_f32_e32 v1, v1, v34
	s_delay_alu instid0(VALU_DEP_4) | instskip(SKIP_4) | instid1(VALU_DEP_2)
	v_fma_f32 v3, v38, v12, -v3
	s_wait_loadcnt_dscnt 0x100
	v_dual_fmac_f32 v181, v39, v12 :: v_dual_mul_f32 v186, v173, v23
	v_mul_f32_e32 v187, v175, v25
	v_dual_add_f32 v2, v2, v5 :: v_dual_mul_f32 v5, v41, v15
	v_dual_fmac_f32 v186, v174, v22 :: v_dual_fmac_f32 v187, v176, v24
	s_delay_alu instid0(VALU_DEP_2) | instskip(SKIP_1) | instid1(VALU_DEP_4)
	v_add_f32_e32 v2, v2, v4
	v_dual_add_f32 v1, v1, v44 :: v_dual_mul_f32 v4, v43, v17
	v_fma_f32 v5, v40, v14, -v5
	s_delay_alu instid0(VALU_DEP_3) | instskip(NEXT) | instid1(VALU_DEP_3)
	v_add_f32_e32 v2, v2, v3
	v_add_f32_e32 v1, v1, v179
	v_mul_f32_e32 v3, v170, v19
	v_fma_f32 v4, v42, v16, -v4
	s_delay_alu instid0(VALU_DEP_4) | instskip(SKIP_1) | instid1(VALU_DEP_4)
	v_add_f32_e32 v2, v2, v5
	v_mul_f32_e32 v5, v172, v21
	v_fma_f32 v3, v169, v18, -v3
	s_delay_alu instid0(VALU_DEP_3) | instskip(SKIP_1) | instid1(VALU_DEP_4)
	v_add_f32_e32 v2, v2, v4
	v_dual_add_f32 v1, v1, v180 :: v_dual_mul_f32 v4, v174, v23
	v_fma_f32 v5, v171, v20, -v5
	s_delay_alu instid0(VALU_DEP_2) | instskip(SKIP_1) | instid1(VALU_DEP_4)
	v_dual_add_f32 v2, v2, v3 :: v_dual_add_f32 v1, v1, v181
	v_fmac_f32_e32 v183, v43, v16
	v_fma_f32 v4, v173, v22, -v4
	v_mul_f32_e32 v3, v176, v25
	s_delay_alu instid0(VALU_DEP_4) | instskip(NEXT) | instid1(VALU_DEP_2)
	v_dual_add_f32 v2, v2, v5 :: v_dual_add_f32 v1, v1, v182
	v_fma_f32 v3, v175, v24, -v3
	s_delay_alu instid0(VALU_DEP_2) | instskip(NEXT) | instid1(VALU_DEP_1)
	v_dual_add_f32 v2, v2, v4 :: v_dual_add_f32 v1, v1, v183
	v_dual_fmac_f32 v185, v172, v20 :: v_dual_add_f32 v2, v2, v3
	s_delay_alu instid0(VALU_DEP_2) | instskip(NEXT) | instid1(VALU_DEP_1)
	v_add_f32_e32 v1, v1, v184
	v_add_f32_e32 v1, v1, v185
	s_delay_alu instid0(VALU_DEP_1) | instskip(NEXT) | instid1(VALU_DEP_1)
	v_add_f32_e32 v1, v1, v186
	v_add_f32_e32 v3, v1, v187
	s_wait_loadcnt 0x0
	s_delay_alu instid0(VALU_DEP_1)
	v_dual_sub_f32 v1, v177, v2 :: v_dual_sub_f32 v2, v178, v3
	scratch_store_b64 off, v[1:2], off offset:392
	v_cmpx_lt_u32_e32 48, v0
	s_cbranch_execz .LBB61_289
; %bb.288:
	scratch_load_b64 v[1:2], off, off offset:384
	v_mov_b32_e32 v3, 0
	s_delay_alu instid0(VALU_DEP_1)
	v_mov_b32_e32 v4, v3
	scratch_store_b64 off, v[3:4], off offset:384
	s_wait_loadcnt 0x0
	ds_store_b64 v35, v[1:2]
.LBB61_289:
	s_wait_alu 0xfffe
	s_or_b32 exec_lo, exec_lo, s0
	s_wait_storecnt_dscnt 0x0
	s_barrier_signal -1
	s_barrier_wait -1
	global_inv scope:SCOPE_SE
	s_clause 0x7
	scratch_load_b128 v[2:5], off, off offset:392
	scratch_load_b128 v[6:9], off, off offset:408
	scratch_load_b128 v[10:13], off, off offset:424
	scratch_load_b128 v[14:17], off, off offset:440
	scratch_load_b128 v[18:21], off, off offset:456
	scratch_load_b128 v[22:25], off, off offset:472
	scratch_load_b64 v[177:178], off, off offset:488
	scratch_load_b64 v[179:180], off, off offset:384
	v_mov_b32_e32 v1, 0
	ds_load_2addr_b64 v[26:29], v1 offset0:111 offset1:112
	ds_load_2addr_b64 v[30:33], v1 offset0:113 offset1:114
	;; [unrolled: 1-line block ×6, first 2 shown]
	ds_load_b64 v[181:182], v1 offset:984
	s_mov_b32 s0, exec_lo
	s_wait_loadcnt_dscnt 0x706
	v_mul_f32_e32 v34, v26, v3
	s_wait_loadcnt_dscnt 0x605
	v_dual_mul_f32 v44, v28, v5 :: v_dual_mul_f32 v183, v30, v7
	v_mul_f32_e32 v3, v27, v3
	s_delay_alu instid0(VALU_DEP_3) | instskip(NEXT) | instid1(VALU_DEP_3)
	v_dual_mul_f32 v5, v29, v5 :: v_dual_fmac_f32 v34, v27, v2
	v_fmac_f32_e32 v44, v29, v4
	s_wait_loadcnt_dscnt 0x302
	v_dual_mul_f32 v184, v32, v9 :: v_dual_mul_f32 v189, v169, v19
	v_fma_f32 v3, v26, v2, -v3
	v_mul_f32_e32 v2, v31, v7
	v_fma_f32 v4, v28, v4, -v5
	v_add_f32_e32 v5, 0, v34
	v_dual_fmac_f32 v183, v31, v6 :: v_dual_fmac_f32 v184, v33, v8
	v_add_f32_e32 v3, 0, v3
	v_fma_f32 v2, v30, v6, -v2
	v_dual_mul_f32 v185, v36, v11 :: v_dual_mul_f32 v186, v38, v13
	v_dual_mul_f32 v187, v40, v15 :: v_dual_mul_f32 v188, v42, v17
	s_delay_alu instid0(VALU_DEP_4) | instskip(SKIP_3) | instid1(VALU_DEP_4)
	v_add_f32_e32 v3, v3, v4
	v_mul_f32_e32 v7, v33, v9
	v_add_f32_e32 v4, v5, v44
	v_dual_mul_f32 v5, v37, v11 :: v_dual_fmac_f32 v186, v39, v12
	v_add_f32_e32 v2, v3, v2
	s_delay_alu instid0(VALU_DEP_4) | instskip(NEXT) | instid1(VALU_DEP_4)
	v_fma_f32 v6, v32, v8, -v7
	v_dual_add_f32 v3, v4, v183 :: v_dual_mul_f32 v4, v39, v13
	s_delay_alu instid0(VALU_DEP_4) | instskip(SKIP_1) | instid1(VALU_DEP_4)
	v_fma_f32 v5, v36, v10, -v5
	v_dual_fmac_f32 v187, v41, v14 :: v_dual_fmac_f32 v188, v43, v16
	v_add_f32_e32 v2, v2, v6
	v_fmac_f32_e32 v185, v37, v10
	v_dual_add_f32 v3, v3, v184 :: v_dual_mul_f32 v6, v41, v15
	v_fma_f32 v4, v38, v12, -v4
	s_delay_alu instid0(VALU_DEP_4) | instskip(SKIP_1) | instid1(VALU_DEP_4)
	v_add_f32_e32 v2, v2, v5
	v_mul_f32_e32 v5, v43, v17
	v_add_f32_e32 v3, v3, v185
	v_fma_f32 v6, v40, v14, -v6
	s_wait_loadcnt_dscnt 0x201
	v_dual_mul_f32 v190, v171, v21 :: v_dual_mul_f32 v191, v173, v23
	s_delay_alu instid0(VALU_DEP_3) | instskip(SKIP_2) | instid1(VALU_DEP_4)
	v_dual_add_f32 v2, v2, v4 :: v_dual_add_f32 v3, v3, v186
	v_mul_f32_e32 v4, v170, v19
	v_fma_f32 v5, v42, v16, -v5
	v_dual_fmac_f32 v189, v170, v18 :: v_dual_fmac_f32 v190, v172, v20
	s_delay_alu instid0(VALU_DEP_4) | instskip(SKIP_4) | instid1(VALU_DEP_3)
	v_add_f32_e32 v2, v2, v6
	v_dual_mul_f32 v6, v172, v21 :: v_dual_add_f32 v3, v3, v187
	v_fma_f32 v4, v169, v18, -v4
	s_wait_loadcnt_dscnt 0x100
	v_dual_mul_f32 v192, v175, v25 :: v_dual_mul_f32 v193, v181, v178
	v_dual_add_f32 v2, v2, v5 :: v_dual_add_f32 v3, v3, v188
	v_mul_f32_e32 v5, v174, v23
	v_fma_f32 v6, v171, v20, -v6
	s_delay_alu instid0(VALU_DEP_4) | instskip(NEXT) | instid1(VALU_DEP_4)
	v_dual_fmac_f32 v191, v174, v22 :: v_dual_fmac_f32 v192, v176, v24
	v_dual_add_f32 v2, v2, v4 :: v_dual_add_f32 v3, v3, v189
	v_mul_f32_e32 v4, v176, v25
	v_fma_f32 v5, v173, v22, -v5
	s_delay_alu instid0(VALU_DEP_3) | instskip(NEXT) | instid1(VALU_DEP_4)
	v_add_f32_e32 v3, v3, v190
	v_add_f32_e32 v2, v2, v6
	s_delay_alu instid0(VALU_DEP_4) | instskip(NEXT) | instid1(VALU_DEP_3)
	v_fma_f32 v4, v175, v24, -v4
	v_dual_add_f32 v3, v3, v191 :: v_dual_mul_f32 v6, v182, v178
	s_delay_alu instid0(VALU_DEP_1) | instskip(NEXT) | instid1(VALU_DEP_2)
	v_dual_add_f32 v2, v2, v5 :: v_dual_add_f32 v3, v3, v192
	v_fma_f32 v5, v181, v177, -v6
	s_delay_alu instid0(VALU_DEP_2) | instskip(NEXT) | instid1(VALU_DEP_1)
	v_add_f32_e32 v2, v2, v4
	v_add_f32_e32 v2, v2, v5
	s_wait_loadcnt 0x0
	s_delay_alu instid0(VALU_DEP_1) | instskip(NEXT) | instid1(VALU_DEP_1)
	v_dual_fmac_f32 v193, v182, v177 :: v_dual_sub_f32 v2, v179, v2
	v_add_f32_e32 v3, v3, v193
	s_delay_alu instid0(VALU_DEP_1)
	v_sub_f32_e32 v3, v180, v3
	scratch_store_b64 off, v[2:3], off offset:384
	v_cmpx_lt_u32_e32 47, v0
	s_cbranch_execz .LBB61_291
; %bb.290:
	scratch_load_b64 v[3:4], off, off offset:376
	v_mov_b32_e32 v2, v1
	scratch_store_b64 off, v[1:2], off offset:376
	s_wait_loadcnt 0x0
	ds_store_b64 v35, v[3:4]
.LBB61_291:
	s_wait_alu 0xfffe
	s_or_b32 exec_lo, exec_lo, s0
	s_wait_storecnt_dscnt 0x0
	s_barrier_signal -1
	s_barrier_wait -1
	global_inv scope:SCOPE_SE
	s_clause 0x7
	scratch_load_b128 v[2:5], off, off offset:384
	scratch_load_b128 v[6:9], off, off offset:400
	;; [unrolled: 1-line block ×7, first 2 shown]
	scratch_load_b64 v[185:186], off, off offset:376
	ds_load_b128 v[30:33], v1 offset:880
	ds_load_b128 v[36:39], v1 offset:896
	ds_load_b128 v[40:43], v1 offset:912
	ds_load_b128 v[169:172], v1 offset:928
	ds_load_b128 v[173:176], v1 offset:944
	ds_load_b128 v[177:180], v1 offset:960
	ds_load_b128 v[181:184], v1 offset:976
	s_mov_b32 s0, exec_lo
	s_wait_loadcnt_dscnt 0x706
	v_dual_mul_f32 v1, v30, v3 :: v_dual_mul_f32 v34, v32, v5
	v_mul_f32_e32 v3, v31, v3
	s_wait_loadcnt_dscnt 0x605
	v_dual_mul_f32 v44, v36, v7 :: v_dual_mul_f32 v187, v38, v9
	s_delay_alu instid0(VALU_DEP_3) | instskip(NEXT) | instid1(VALU_DEP_3)
	v_dual_fmac_f32 v1, v31, v2 :: v_dual_fmac_f32 v34, v33, v4
	v_fma_f32 v3, v30, v2, -v3
	v_mul_f32_e32 v2, v37, v7
	s_wait_loadcnt_dscnt 0x504
	v_dual_mul_f32 v188, v40, v11 :: v_dual_mul_f32 v189, v42, v13
	s_delay_alu instid0(VALU_DEP_3) | instskip(NEXT) | instid1(VALU_DEP_3)
	v_dual_fmac_f32 v44, v37, v6 :: v_dual_add_f32 v3, 0, v3
	v_fma_f32 v2, v36, v6, -v2
	v_mul_f32_e32 v5, v33, v5
	s_delay_alu instid0(VALU_DEP_4) | instskip(SKIP_2) | instid1(VALU_DEP_3)
	v_dual_fmac_f32 v188, v41, v10 :: v_dual_add_f32 v1, 0, v1
	s_wait_loadcnt_dscnt 0x302
	v_dual_mul_f32 v192, v173, v19 :: v_dual_mul_f32 v193, v175, v21
	v_fma_f32 v4, v32, v4, -v5
	v_dual_mul_f32 v5, v39, v9 :: v_dual_mul_f32 v190, v169, v15
	s_delay_alu instid0(VALU_DEP_3) | instskip(SKIP_1) | instid1(VALU_DEP_3)
	v_dual_mul_f32 v191, v171, v17 :: v_dual_fmac_f32 v192, v174, v18
	v_fmac_f32_e32 v187, v39, v8
	v_fma_f32 v5, v38, v8, -v5
	v_dual_add_f32 v3, v3, v4 :: v_dual_mul_f32 v4, v41, v11
	s_wait_loadcnt_dscnt 0x201
	v_dual_mul_f32 v194, v177, v23 :: v_dual_mul_f32 v195, v179, v25
	s_delay_alu instid0(VALU_DEP_2)
	v_dual_fmac_f32 v191, v172, v16 :: v_dual_add_f32 v2, v3, v2
	v_mul_f32_e32 v3, v43, v13
	v_fma_f32 v4, v40, v10, -v4
	v_fmac_f32_e32 v190, v170, v14
	v_fmac_f32_e32 v194, v178, v22
	v_dual_add_f32 v2, v2, v5 :: v_dual_add_f32 v1, v1, v34
	v_mul_f32_e32 v5, v170, v15
	v_fma_f32 v3, v42, v12, -v3
	s_wait_loadcnt_dscnt 0x100
	v_dual_mul_f32 v196, v181, v27 :: v_dual_mul_f32 v197, v183, v29
	v_add_f32_e32 v2, v2, v4
	v_add_f32_e32 v1, v1, v44
	v_dual_fmac_f32 v189, v43, v12 :: v_dual_mul_f32 v4, v172, v17
	v_fma_f32 v5, v169, v14, -v5
	s_delay_alu instid0(VALU_DEP_4) | instskip(NEXT) | instid1(VALU_DEP_4)
	v_add_f32_e32 v2, v2, v3
	v_add_f32_e32 v1, v1, v187
	v_mul_f32_e32 v3, v174, v19
	v_fma_f32 v4, v171, v16, -v4
	v_dual_fmac_f32 v193, v176, v20 :: v_dual_fmac_f32 v196, v182, v26
	s_delay_alu instid0(VALU_DEP_4) | instskip(SKIP_3) | instid1(VALU_DEP_4)
	v_dual_add_f32 v2, v2, v5 :: v_dual_add_f32 v1, v1, v188
	v_mul_f32_e32 v5, v176, v21
	v_fma_f32 v3, v173, v18, -v3
	v_fmac_f32_e32 v197, v184, v28
	v_add_f32_e32 v2, v2, v4
	v_dual_mul_f32 v4, v178, v23 :: v_dual_add_f32 v1, v1, v189
	v_fma_f32 v5, v175, v20, -v5
	s_delay_alu instid0(VALU_DEP_3) | instskip(NEXT) | instid1(VALU_DEP_3)
	v_dual_add_f32 v2, v2, v3 :: v_dual_mul_f32 v3, v180, v25
	v_add_f32_e32 v1, v1, v190
	s_delay_alu instid0(VALU_DEP_4) | instskip(NEXT) | instid1(VALU_DEP_3)
	v_fma_f32 v4, v177, v22, -v4
	v_add_f32_e32 v2, v2, v5
	v_mul_f32_e32 v5, v182, v27
	s_delay_alu instid0(VALU_DEP_4) | instskip(SKIP_1) | instid1(VALU_DEP_4)
	v_add_f32_e32 v1, v1, v191
	v_fma_f32 v3, v179, v24, -v3
	v_add_f32_e32 v2, v2, v4
	s_delay_alu instid0(VALU_DEP_3) | instskip(SKIP_1) | instid1(VALU_DEP_3)
	v_dual_mul_f32 v4, v184, v29 :: v_dual_add_f32 v1, v1, v192
	v_fma_f32 v5, v181, v26, -v5
	v_dual_add_f32 v2, v2, v3 :: v_dual_fmac_f32 v195, v180, v24
	s_delay_alu instid0(VALU_DEP_3) | instskip(NEXT) | instid1(VALU_DEP_2)
	v_fma_f32 v3, v183, v28, -v4
	v_add_f32_e32 v2, v2, v5
	s_delay_alu instid0(VALU_DEP_1) | instskip(NEXT) | instid1(VALU_DEP_1)
	v_dual_add_f32 v1, v1, v193 :: v_dual_add_f32 v2, v2, v3
	v_add_f32_e32 v1, v1, v194
	s_delay_alu instid0(VALU_DEP_1) | instskip(NEXT) | instid1(VALU_DEP_1)
	v_add_f32_e32 v1, v1, v195
	v_add_f32_e32 v1, v1, v196
	s_delay_alu instid0(VALU_DEP_1) | instskip(SKIP_1) | instid1(VALU_DEP_1)
	v_add_f32_e32 v3, v1, v197
	s_wait_loadcnt 0x0
	v_dual_sub_f32 v1, v185, v2 :: v_dual_sub_f32 v2, v186, v3
	scratch_store_b64 off, v[1:2], off offset:376
	v_cmpx_lt_u32_e32 46, v0
	s_cbranch_execz .LBB61_293
; %bb.292:
	scratch_load_b64 v[1:2], off, off offset:368
	v_mov_b32_e32 v3, 0
	s_delay_alu instid0(VALU_DEP_1)
	v_mov_b32_e32 v4, v3
	scratch_store_b64 off, v[3:4], off offset:368
	s_wait_loadcnt 0x0
	ds_store_b64 v35, v[1:2]
.LBB61_293:
	s_wait_alu 0xfffe
	s_or_b32 exec_lo, exec_lo, s0
	s_wait_storecnt_dscnt 0x0
	s_barrier_signal -1
	s_barrier_wait -1
	global_inv scope:SCOPE_SE
	s_clause 0x8
	scratch_load_b128 v[2:5], off, off offset:376
	scratch_load_b128 v[6:9], off, off offset:392
	;; [unrolled: 1-line block ×7, first 2 shown]
	scratch_load_b64 v[185:186], off, off offset:488
	scratch_load_b64 v[187:188], off, off offset:368
	v_mov_b32_e32 v1, 0
	ds_load_2addr_b64 v[30:33], v1 offset0:109 offset1:110
	ds_load_2addr_b64 v[36:39], v1 offset0:111 offset1:112
	;; [unrolled: 1-line block ×7, first 2 shown]
	ds_load_b64 v[189:190], v1 offset:984
	s_mov_b32 s0, exec_lo
	s_wait_loadcnt_dscnt 0x807
	v_mul_f32_e32 v34, v30, v3
	v_mul_f32_e32 v44, v32, v5
	;; [unrolled: 1-line block ×3, first 2 shown]
	s_wait_loadcnt_dscnt 0x504
	v_mul_f32_e32 v195, v169, v15
	v_mul_f32_e32 v3, v31, v3
	v_fmac_f32_e32 v34, v31, v2
	v_fmac_f32_e32 v44, v33, v4
	v_fma_f32 v4, v32, v4, -v5
	v_dual_mul_f32 v191, v36, v7 :: v_dual_mul_f32 v192, v38, v9
	v_fma_f32 v3, v30, v2, -v3
	v_dual_mul_f32 v2, v37, v7 :: v_dual_add_f32 v5, 0, v34
	s_delay_alu instid0(VALU_DEP_3) | instskip(NEXT) | instid1(VALU_DEP_3)
	v_dual_fmac_f32 v191, v37, v6 :: v_dual_fmac_f32 v192, v39, v8
	v_add_f32_e32 v3, 0, v3
	s_delay_alu instid0(VALU_DEP_3)
	v_fma_f32 v2, v36, v6, -v2
	v_dual_mul_f32 v193, v40, v11 :: v_dual_mul_f32 v194, v42, v13
	s_wait_loadcnt_dscnt 0x403
	v_dual_mul_f32 v196, v171, v17 :: v_dual_mul_f32 v197, v173, v19
	v_add_f32_e32 v3, v3, v4
	v_add_f32_e32 v4, v5, v44
	v_mul_f32_e32 v5, v41, v11
	v_dual_fmac_f32 v193, v41, v10 :: v_dual_fmac_f32 v194, v43, v12
	s_delay_alu instid0(VALU_DEP_4) | instskip(SKIP_4) | instid1(VALU_DEP_4)
	v_add_f32_e32 v2, v3, v2
	v_mul_f32_e32 v7, v39, v9
	v_dual_add_f32 v3, v4, v191 :: v_dual_mul_f32 v4, v43, v13
	v_fma_f32 v5, v40, v10, -v5
	v_dual_fmac_f32 v195, v170, v14 :: v_dual_fmac_f32 v196, v172, v16
	v_fma_f32 v6, v38, v8, -v7
	s_delay_alu instid0(VALU_DEP_4)
	v_fma_f32 v4, v42, v12, -v4
	s_wait_loadcnt_dscnt 0x302
	v_dual_mul_f32 v198, v175, v21 :: v_dual_mul_f32 v199, v177, v23
	v_fmac_f32_e32 v197, v174, v18
	v_dual_add_f32 v2, v2, v6 :: v_dual_add_f32 v3, v3, v192
	v_mul_f32_e32 v6, v170, v15
	s_delay_alu instid0(VALU_DEP_4)
	v_fmac_f32_e32 v198, v176, v20
	s_wait_loadcnt_dscnt 0x201
	v_dual_mul_f32 v200, v179, v25 :: v_dual_mul_f32 v201, v181, v27
	v_add_f32_e32 v2, v2, v5
	v_add_f32_e32 v3, v3, v193
	v_mul_f32_e32 v5, v172, v17
	v_fma_f32 v6, v169, v14, -v6
	v_dual_fmac_f32 v199, v178, v22 :: v_dual_fmac_f32 v200, v180, v24
	s_delay_alu instid0(VALU_DEP_4)
	v_dual_add_f32 v2, v2, v4 :: v_dual_add_f32 v3, v3, v194
	v_mul_f32_e32 v4, v174, v19
	v_fma_f32 v5, v171, v16, -v5
	s_wait_loadcnt_dscnt 0x100
	v_dual_mul_f32 v202, v183, v29 :: v_dual_mul_f32 v203, v189, v186
	v_add_f32_e32 v2, v2, v6
	v_dual_mul_f32 v6, v176, v21 :: v_dual_add_f32 v3, v3, v195
	v_fma_f32 v4, v173, v18, -v4
	s_delay_alu instid0(VALU_DEP_4) | instskip(NEXT) | instid1(VALU_DEP_3)
	v_dual_fmac_f32 v201, v182, v26 :: v_dual_fmac_f32 v202, v184, v28
	v_dual_add_f32 v2, v2, v5 :: v_dual_add_f32 v3, v3, v196
	v_mul_f32_e32 v5, v178, v23
	v_fma_f32 v6, v175, v20, -v6
	v_fmac_f32_e32 v203, v190, v185
	s_delay_alu instid0(VALU_DEP_4) | instskip(SKIP_2) | instid1(VALU_DEP_3)
	v_dual_add_f32 v2, v2, v4 :: v_dual_add_f32 v3, v3, v197
	v_mul_f32_e32 v4, v180, v25
	v_fma_f32 v5, v177, v22, -v5
	v_add_f32_e32 v3, v3, v198
	s_delay_alu instid0(VALU_DEP_4) | instskip(SKIP_2) | instid1(VALU_DEP_3)
	v_add_f32_e32 v2, v2, v6
	v_mul_f32_e32 v6, v182, v27
	v_fma_f32 v4, v179, v24, -v4
	v_dual_add_f32 v3, v3, v199 :: v_dual_add_f32 v2, v2, v5
	s_delay_alu instid0(VALU_DEP_3) | instskip(NEXT) | instid1(VALU_DEP_2)
	v_fma_f32 v6, v181, v26, -v6
	v_add_f32_e32 v3, v3, v200
	s_delay_alu instid0(VALU_DEP_3) | instskip(NEXT) | instid1(VALU_DEP_2)
	v_dual_mul_f32 v5, v184, v29 :: v_dual_add_f32 v2, v2, v4
	v_dual_mul_f32 v4, v190, v186 :: v_dual_add_f32 v3, v3, v201
	s_delay_alu instid0(VALU_DEP_2) | instskip(NEXT) | instid1(VALU_DEP_2)
	v_fma_f32 v5, v183, v28, -v5
	v_fma_f32 v4, v189, v185, -v4
	s_delay_alu instid0(VALU_DEP_3) | instskip(NEXT) | instid1(VALU_DEP_1)
	v_add_f32_e32 v3, v3, v202
	v_dual_add_f32 v2, v2, v6 :: v_dual_add_f32 v3, v3, v203
	s_wait_loadcnt 0x0
	s_delay_alu instid0(VALU_DEP_1) | instskip(NEXT) | instid1(VALU_DEP_1)
	v_dual_add_f32 v2, v2, v5 :: v_dual_sub_f32 v3, v188, v3
	v_add_f32_e32 v2, v2, v4
	s_delay_alu instid0(VALU_DEP_1)
	v_sub_f32_e32 v2, v187, v2
	scratch_store_b64 off, v[2:3], off offset:368
	v_cmpx_lt_u32_e32 45, v0
	s_cbranch_execz .LBB61_295
; %bb.294:
	scratch_load_b64 v[3:4], off, off offset:360
	v_mov_b32_e32 v2, v1
	scratch_store_b64 off, v[1:2], off offset:360
	s_wait_loadcnt 0x0
	ds_store_b64 v35, v[3:4]
.LBB61_295:
	s_wait_alu 0xfffe
	s_or_b32 exec_lo, exec_lo, s0
	s_wait_storecnt_dscnt 0x0
	s_barrier_signal -1
	s_barrier_wait -1
	global_inv scope:SCOPE_SE
	s_clause 0x8
	scratch_load_b128 v[2:5], off, off offset:368
	scratch_load_b128 v[6:9], off, off offset:384
	scratch_load_b128 v[10:13], off, off offset:400
	scratch_load_b128 v[14:17], off, off offset:416
	scratch_load_b128 v[18:21], off, off offset:432
	scratch_load_b128 v[22:25], off, off offset:448
	scratch_load_b128 v[26:29], off, off offset:464
	scratch_load_b128 v[30:33], off, off offset:480
	scratch_load_b64 v[193:194], off, off offset:360
	ds_load_b128 v[36:39], v1 offset:864
	ds_load_b128 v[40:43], v1 offset:880
	;; [unrolled: 1-line block ×8, first 2 shown]
	s_mov_b32 s0, exec_lo
	s_wait_loadcnt_dscnt 0x807
	v_dual_mul_f32 v1, v36, v3 :: v_dual_mul_f32 v34, v38, v5
	v_mul_f32_e32 v3, v37, v3
	s_wait_loadcnt_dscnt 0x706
	v_dual_mul_f32 v5, v39, v5 :: v_dual_mul_f32 v44, v40, v7
	s_delay_alu instid0(VALU_DEP_3) | instskip(NEXT) | instid1(VALU_DEP_3)
	v_dual_mul_f32 v195, v42, v9 :: v_dual_fmac_f32 v34, v39, v4
	v_fma_f32 v3, v36, v2, -v3
	s_wait_loadcnt_dscnt 0x605
	v_dual_mul_f32 v196, v169, v11 :: v_dual_mul_f32 v197, v171, v13
	v_fmac_f32_e32 v1, v37, v2
	v_mul_f32_e32 v2, v41, v7
	v_fma_f32 v4, v38, v4, -v5
	v_dual_add_f32 v3, 0, v3 :: v_dual_fmac_f32 v44, v41, v6
	v_dual_mul_f32 v5, v43, v9 :: v_dual_fmac_f32 v196, v170, v10
	s_delay_alu instid0(VALU_DEP_4) | instskip(SKIP_2) | instid1(VALU_DEP_3)
	v_fma_f32 v2, v40, v6, -v2
	s_wait_loadcnt_dscnt 0x403
	v_dual_mul_f32 v200, v177, v19 :: v_dual_mul_f32 v201, v179, v21
	v_fma_f32 v5, v42, v8, -v5
	v_dual_add_f32 v3, v3, v4 :: v_dual_mul_f32 v4, v170, v11
	s_delay_alu instid0(VALU_DEP_3) | instskip(SKIP_1) | instid1(VALU_DEP_3)
	v_dual_add_f32 v1, 0, v1 :: v_dual_fmac_f32 v200, v178, v18
	v_dual_mul_f32 v198, v173, v15 :: v_dual_mul_f32 v199, v175, v17
	v_dual_add_f32 v2, v3, v2 :: v_dual_mul_f32 v3, v172, v13
	s_delay_alu instid0(VALU_DEP_4) | instskip(NEXT) | instid1(VALU_DEP_3)
	v_fma_f32 v4, v169, v10, -v4
	v_dual_fmac_f32 v195, v43, v8 :: v_dual_fmac_f32 v198, v174, v14
	s_delay_alu instid0(VALU_DEP_3)
	v_dual_add_f32 v2, v2, v5 :: v_dual_add_f32 v1, v1, v34
	v_mul_f32_e32 v5, v174, v15
	v_fma_f32 v3, v171, v12, -v3
	s_wait_loadcnt_dscnt 0x302
	v_dual_mul_f32 v202, v181, v23 :: v_dual_mul_f32 v203, v183, v25
	v_add_f32_e32 v2, v2, v4
	v_add_f32_e32 v1, v1, v44
	v_fmac_f32_e32 v197, v172, v12
	v_mul_f32_e32 v4, v176, v17
	v_fma_f32 v5, v173, v14, -v5
	v_add_f32_e32 v2, v2, v3
	v_add_f32_e32 v1, v1, v195
	v_mul_f32_e32 v3, v178, v19
	v_fma_f32 v4, v175, v16, -v4
	s_wait_loadcnt_dscnt 0x100
	v_dual_mul_f32 v206, v189, v31 :: v_dual_mul_f32 v207, v191, v33
	v_dual_add_f32 v2, v2, v5 :: v_dual_add_f32 v1, v1, v196
	v_mul_f32_e32 v5, v180, v21
	v_fma_f32 v3, v177, v18, -v3
	v_dual_fmac_f32 v199, v176, v16 :: v_dual_fmac_f32 v202, v182, v22
	s_delay_alu instid0(VALU_DEP_4) | instskip(SKIP_3) | instid1(VALU_DEP_4)
	v_add_f32_e32 v2, v2, v4
	v_dual_mul_f32 v4, v182, v23 :: v_dual_add_f32 v1, v1, v197
	v_fma_f32 v5, v179, v20, -v5
	v_fmac_f32_e32 v206, v190, v30
	v_dual_add_f32 v2, v2, v3 :: v_dual_mul_f32 v3, v184, v25
	s_delay_alu instid0(VALU_DEP_4) | instskip(SKIP_2) | instid1(VALU_DEP_3)
	v_add_f32_e32 v1, v1, v198
	v_fma_f32 v4, v181, v22, -v4
	v_dual_mul_f32 v204, v185, v27 :: v_dual_mul_f32 v205, v187, v29
	v_dual_add_f32 v2, v2, v5 :: v_dual_add_f32 v1, v1, v199
	v_mul_f32_e32 v5, v186, v27
	v_fma_f32 v3, v183, v24, -v3
	s_delay_alu instid0(VALU_DEP_4) | instskip(NEXT) | instid1(VALU_DEP_4)
	v_dual_fmac_f32 v201, v180, v20 :: v_dual_fmac_f32 v204, v186, v26
	v_add_f32_e32 v2, v2, v4
	v_dual_add_f32 v1, v1, v200 :: v_dual_mul_f32 v4, v188, v29
	v_fma_f32 v5, v185, v26, -v5
	s_delay_alu instid0(VALU_DEP_3) | instskip(SKIP_3) | instid1(VALU_DEP_4)
	v_dual_fmac_f32 v205, v188, v28 :: v_dual_add_f32 v2, v2, v3
	v_fmac_f32_e32 v203, v184, v24
	v_mul_f32_e32 v3, v190, v31
	v_fma_f32 v4, v187, v28, -v4
	v_dual_fmac_f32 v207, v192, v32 :: v_dual_add_f32 v2, v2, v5
	v_add_f32_e32 v1, v1, v201
	v_mul_f32_e32 v5, v192, v33
	v_fma_f32 v3, v189, v30, -v3
	s_delay_alu instid0(VALU_DEP_3) | instskip(NEXT) | instid1(VALU_DEP_3)
	v_dual_add_f32 v2, v2, v4 :: v_dual_add_f32 v1, v1, v202
	v_fma_f32 v4, v191, v32, -v5
	s_delay_alu instid0(VALU_DEP_2) | instskip(NEXT) | instid1(VALU_DEP_1)
	v_add_f32_e32 v2, v2, v3
	v_dual_add_f32 v1, v1, v203 :: v_dual_add_f32 v2, v2, v4
	s_delay_alu instid0(VALU_DEP_1) | instskip(NEXT) | instid1(VALU_DEP_1)
	v_add_f32_e32 v1, v1, v204
	v_add_f32_e32 v1, v1, v205
	s_delay_alu instid0(VALU_DEP_1) | instskip(NEXT) | instid1(VALU_DEP_1)
	v_add_f32_e32 v1, v1, v206
	v_add_f32_e32 v3, v1, v207
	s_wait_loadcnt 0x0
	s_delay_alu instid0(VALU_DEP_1)
	v_dual_sub_f32 v1, v193, v2 :: v_dual_sub_f32 v2, v194, v3
	scratch_store_b64 off, v[1:2], off offset:360
	v_cmpx_lt_u32_e32 44, v0
	s_cbranch_execz .LBB61_297
; %bb.296:
	scratch_load_b64 v[1:2], off, off offset:352
	v_mov_b32_e32 v3, 0
	s_delay_alu instid0(VALU_DEP_1)
	v_mov_b32_e32 v4, v3
	scratch_store_b64 off, v[3:4], off offset:352
	s_wait_loadcnt 0x0
	ds_store_b64 v35, v[1:2]
.LBB61_297:
	s_wait_alu 0xfffe
	s_or_b32 exec_lo, exec_lo, s0
	s_wait_storecnt_dscnt 0x0
	s_barrier_signal -1
	s_barrier_wait -1
	global_inv scope:SCOPE_SE
	s_clause 0x9
	scratch_load_b128 v[2:5], off, off offset:360
	scratch_load_b128 v[6:9], off, off offset:376
	;; [unrolled: 1-line block ×8, first 2 shown]
	scratch_load_b64 v[193:194], off, off offset:488
	scratch_load_b64 v[195:196], off, off offset:352
	v_mov_b32_e32 v1, 0
	ds_load_2addr_b64 v[36:39], v1 offset0:107 offset1:108
	ds_load_2addr_b64 v[40:43], v1 offset0:109 offset1:110
	;; [unrolled: 1-line block ×8, first 2 shown]
	ds_load_b64 v[197:198], v1 offset:984
	s_mov_b32 s0, exec_lo
	s_wait_loadcnt_dscnt 0x908
	v_mul_f32_e32 v34, v36, v3
	s_wait_loadcnt_dscnt 0x807
	v_dual_mul_f32 v44, v38, v5 :: v_dual_mul_f32 v199, v40, v7
	v_mul_f32_e32 v3, v37, v3
	s_delay_alu instid0(VALU_DEP_3)
	v_dual_mul_f32 v5, v39, v5 :: v_dual_fmac_f32 v34, v37, v2
	s_wait_loadcnt_dscnt 0x302
	v_mul_f32_e32 v210, v187, v29
	s_wait_loadcnt_dscnt 0x100
	v_dual_fmac_f32 v44, v39, v4 :: v_dual_mul_f32 v213, v197, v194
	v_fma_f32 v3, v36, v2, -v3
	v_mul_f32_e32 v2, v41, v7
	v_fma_f32 v4, v38, v4, -v5
	v_dual_add_f32 v5, 0, v34 :: v_dual_mul_f32 v200, v42, v9
	v_mul_f32_e32 v201, v169, v11
	v_add_f32_e32 v3, 0, v3
	v_fma_f32 v2, v40, v6, -v2
	s_delay_alu instid0(VALU_DEP_4) | instskip(SKIP_1) | instid1(VALU_DEP_4)
	v_dual_fmac_f32 v199, v41, v6 :: v_dual_fmac_f32 v200, v43, v8
	v_dual_mul_f32 v202, v171, v13 :: v_dual_mul_f32 v203, v173, v15
	v_add_f32_e32 v3, v3, v4
	v_dual_add_f32 v4, v5, v44 :: v_dual_mul_f32 v5, v170, v11
	s_delay_alu instid0(VALU_DEP_3) | instskip(NEXT) | instid1(VALU_DEP_3)
	v_dual_fmac_f32 v201, v170, v10 :: v_dual_fmac_f32 v202, v172, v12
	v_add_f32_e32 v2, v3, v2
	v_mul_f32_e32 v7, v43, v9
	s_delay_alu instid0(VALU_DEP_4) | instskip(SKIP_2) | instid1(VALU_DEP_4)
	v_fma_f32 v5, v169, v10, -v5
	v_dual_mul_f32 v204, v175, v17 :: v_dual_mul_f32 v205, v177, v19
	v_fmac_f32_e32 v203, v174, v14
	v_fma_f32 v6, v42, v8, -v7
	v_dual_mul_f32 v206, v179, v21 :: v_dual_mul_f32 v207, v181, v23
	s_delay_alu instid0(VALU_DEP_4) | instskip(NEXT) | instid1(VALU_DEP_3)
	v_dual_fmac_f32 v204, v176, v16 :: v_dual_fmac_f32 v205, v178, v18
	v_dual_add_f32 v2, v2, v6 :: v_dual_add_f32 v3, v4, v199
	v_mul_f32_e32 v4, v172, v13
	v_mul_f32_e32 v6, v174, v15
	v_fmac_f32_e32 v206, v180, v20
	s_delay_alu instid0(VALU_DEP_4) | instskip(NEXT) | instid1(VALU_DEP_4)
	v_dual_add_f32 v2, v2, v5 :: v_dual_add_f32 v3, v3, v200
	v_fma_f32 v4, v171, v12, -v4
	v_mul_f32_e32 v5, v176, v17
	v_fma_f32 v6, v173, v14, -v6
	v_dual_mul_f32 v208, v183, v25 :: v_dual_mul_f32 v209, v185, v27
	s_delay_alu instid0(VALU_DEP_4) | instskip(SKIP_2) | instid1(VALU_DEP_4)
	v_dual_add_f32 v3, v3, v201 :: v_dual_add_f32 v2, v2, v4
	v_mul_f32_e32 v4, v178, v19
	v_fma_f32 v5, v175, v16, -v5
	v_dual_fmac_f32 v207, v182, v22 :: v_dual_fmac_f32 v208, v184, v24
	s_delay_alu instid0(VALU_DEP_4) | instskip(SKIP_4) | instid1(VALU_DEP_4)
	v_add_f32_e32 v3, v3, v202
	v_add_f32_e32 v2, v2, v6
	v_mul_f32_e32 v6, v180, v21
	v_fma_f32 v4, v177, v18, -v4
	v_dual_fmac_f32 v209, v186, v26 :: v_dual_fmac_f32 v210, v188, v28
	v_dual_add_f32 v3, v3, v203 :: v_dual_add_f32 v2, v2, v5
	v_mul_f32_e32 v5, v182, v23
	v_fma_f32 v6, v179, v20, -v6
	v_dual_mul_f32 v211, v189, v31 :: v_dual_mul_f32 v212, v191, v33
	s_delay_alu instid0(VALU_DEP_4)
	v_add_f32_e32 v3, v3, v204
	v_add_f32_e32 v2, v2, v4
	v_mul_f32_e32 v4, v184, v25
	v_fma_f32 v5, v181, v22, -v5
	v_dual_fmac_f32 v211, v190, v30 :: v_dual_fmac_f32 v212, v192, v32
	v_add_f32_e32 v3, v3, v205
	s_delay_alu instid0(VALU_DEP_4) | instskip(NEXT) | instid1(VALU_DEP_2)
	v_fma_f32 v4, v183, v24, -v4
	v_add_f32_e32 v3, v3, v206
	v_add_f32_e32 v2, v2, v6
	v_mul_f32_e32 v6, v186, v27
	s_delay_alu instid0(VALU_DEP_2) | instskip(NEXT) | instid1(VALU_DEP_2)
	v_dual_add_f32 v3, v3, v207 :: v_dual_add_f32 v2, v2, v5
	v_fma_f32 v6, v185, v26, -v6
	s_delay_alu instid0(VALU_DEP_2) | instskip(NEXT) | instid1(VALU_DEP_3)
	v_add_f32_e32 v3, v3, v208
	v_dual_mul_f32 v5, v188, v29 :: v_dual_add_f32 v2, v2, v4
	s_delay_alu instid0(VALU_DEP_2) | instskip(NEXT) | instid1(VALU_DEP_2)
	v_dual_mul_f32 v4, v190, v31 :: v_dual_add_f32 v3, v3, v209
	v_fma_f32 v5, v187, v28, -v5
	s_delay_alu instid0(VALU_DEP_2) | instskip(NEXT) | instid1(VALU_DEP_3)
	v_fma_f32 v4, v189, v30, -v4
	v_add_f32_e32 v3, v3, v210
	v_add_f32_e32 v2, v2, v6
	s_delay_alu instid0(VALU_DEP_2) | instskip(NEXT) | instid1(VALU_DEP_2)
	v_dual_mul_f32 v6, v192, v33 :: v_dual_add_f32 v3, v3, v211
	v_add_f32_e32 v2, v2, v5
	v_mul_f32_e32 v5, v198, v194
	s_delay_alu instid0(VALU_DEP_3) | instskip(NEXT) | instid1(VALU_DEP_4)
	v_fma_f32 v6, v191, v32, -v6
	v_add_f32_e32 v3, v3, v212
	s_delay_alu instid0(VALU_DEP_4) | instskip(NEXT) | instid1(VALU_DEP_4)
	v_add_f32_e32 v2, v2, v4
	v_fma_f32 v4, v197, v193, -v5
	s_delay_alu instid0(VALU_DEP_2) | instskip(NEXT) | instid1(VALU_DEP_1)
	v_add_f32_e32 v2, v2, v6
	v_add_f32_e32 v2, v2, v4
	s_wait_loadcnt 0x0
	s_delay_alu instid0(VALU_DEP_1) | instskip(NEXT) | instid1(VALU_DEP_1)
	v_dual_fmac_f32 v213, v198, v193 :: v_dual_sub_f32 v2, v195, v2
	v_add_f32_e32 v3, v3, v213
	s_delay_alu instid0(VALU_DEP_1)
	v_sub_f32_e32 v3, v196, v3
	scratch_store_b64 off, v[2:3], off offset:352
	v_cmpx_lt_u32_e32 43, v0
	s_cbranch_execz .LBB61_299
; %bb.298:
	scratch_load_b64 v[3:4], off, off offset:344
	v_mov_b32_e32 v2, v1
	scratch_store_b64 off, v[1:2], off offset:344
	s_wait_loadcnt 0x0
	ds_store_b64 v35, v[3:4]
.LBB61_299:
	s_wait_alu 0xfffe
	s_or_b32 exec_lo, exec_lo, s0
	s_wait_storecnt_dscnt 0x0
	s_barrier_signal -1
	s_barrier_wait -1
	global_inv scope:SCOPE_SE
	s_clause 0x9
	scratch_load_b128 v[2:5], off, off offset:352
	scratch_load_b128 v[6:9], off, off offset:368
	;; [unrolled: 1-line block ×9, first 2 shown]
	scratch_load_b64 v[201:202], off, off offset:344
	ds_load_b128 v[40:43], v1 offset:848
	ds_load_b128 v[169:172], v1 offset:864
	;; [unrolled: 1-line block ×9, first 2 shown]
	s_mov_b32 s0, exec_lo
	s_wait_loadcnt_dscnt 0x908
	v_dual_mul_f32 v1, v40, v3 :: v_dual_mul_f32 v34, v42, v5
	v_mul_f32_e32 v3, v41, v3
	s_wait_loadcnt_dscnt 0x807
	v_dual_mul_f32 v5, v43, v5 :: v_dual_mul_f32 v44, v169, v7
	v_mul_f32_e32 v203, v171, v9
	v_fmac_f32_e32 v34, v43, v4
	v_fma_f32 v3, v40, v2, -v3
	s_wait_loadcnt_dscnt 0x706
	v_dual_mul_f32 v204, v173, v11 :: v_dual_mul_f32 v205, v175, v13
	v_dual_fmac_f32 v1, v41, v2 :: v_dual_mul_f32 v2, v170, v7
	v_fma_f32 v4, v42, v4, -v5
	v_dual_add_f32 v3, 0, v3 :: v_dual_fmac_f32 v44, v170, v6
	s_delay_alu instid0(VALU_DEP_4) | instskip(NEXT) | instid1(VALU_DEP_4)
	v_dual_mul_f32 v5, v172, v9 :: v_dual_fmac_f32 v204, v174, v10
	v_fma_f32 v2, v169, v6, -v2
	s_wait_loadcnt_dscnt 0x504
	v_dual_mul_f32 v208, v181, v19 :: v_dual_mul_f32 v209, v183, v21
	s_delay_alu instid0(VALU_DEP_3) | instskip(SKIP_1) | instid1(VALU_DEP_3)
	v_fma_f32 v5, v171, v8, -v5
	v_dual_add_f32 v3, v3, v4 :: v_dual_mul_f32 v4, v174, v11
	v_dual_add_f32 v1, 0, v1 :: v_dual_fmac_f32 v208, v182, v18
	v_dual_mul_f32 v206, v177, v15 :: v_dual_mul_f32 v207, v179, v17
	s_delay_alu instid0(VALU_DEP_3) | instskip(NEXT) | instid1(VALU_DEP_4)
	v_dual_add_f32 v2, v3, v2 :: v_dual_mul_f32 v3, v176, v13
	v_fma_f32 v4, v173, v10, -v4
	s_delay_alu instid0(VALU_DEP_3) | instskip(NEXT) | instid1(VALU_DEP_3)
	v_dual_fmac_f32 v203, v172, v8 :: v_dual_fmac_f32 v206, v178, v14
	v_dual_add_f32 v2, v2, v5 :: v_dual_add_f32 v1, v1, v34
	v_mul_f32_e32 v5, v178, v15
	v_fma_f32 v3, v175, v12, -v3
	s_wait_loadcnt_dscnt 0x403
	v_dual_mul_f32 v210, v185, v23 :: v_dual_mul_f32 v211, v187, v25
	v_add_f32_e32 v2, v2, v4
	v_dual_add_f32 v1, v1, v44 :: v_dual_mul_f32 v4, v180, v17
	v_fmac_f32_e32 v205, v176, v12
	v_fma_f32 v5, v177, v14, -v5
	s_delay_alu instid0(VALU_DEP_4) | instskip(NEXT) | instid1(VALU_DEP_4)
	v_add_f32_e32 v2, v2, v3
	v_add_f32_e32 v1, v1, v203
	v_mul_f32_e32 v3, v182, v19
	v_fma_f32 v4, v179, v16, -v4
	s_wait_loadcnt_dscnt 0x201
	v_dual_mul_f32 v214, v193, v31 :: v_dual_mul_f32 v215, v195, v33
	v_dual_add_f32 v2, v2, v5 :: v_dual_add_f32 v1, v1, v204
	v_mul_f32_e32 v5, v184, v21
	v_fma_f32 v3, v181, v18, -v3
	v_dual_fmac_f32 v207, v180, v16 :: v_dual_fmac_f32 v210, v186, v22
	s_delay_alu instid0(VALU_DEP_4) | instskip(SKIP_3) | instid1(VALU_DEP_4)
	v_add_f32_e32 v2, v2, v4
	v_dual_mul_f32 v4, v186, v23 :: v_dual_add_f32 v1, v1, v205
	v_fma_f32 v5, v183, v20, -v5
	v_fmac_f32_e32 v214, v194, v30
	v_dual_add_f32 v2, v2, v3 :: v_dual_mul_f32 v3, v188, v25
	s_delay_alu instid0(VALU_DEP_4) | instskip(SKIP_2) | instid1(VALU_DEP_3)
	v_add_f32_e32 v1, v1, v206
	v_fma_f32 v4, v185, v22, -v4
	v_dual_mul_f32 v212, v189, v27 :: v_dual_mul_f32 v213, v191, v29
	v_dual_add_f32 v2, v2, v5 :: v_dual_add_f32 v1, v1, v207
	v_mul_f32_e32 v5, v190, v27
	v_fma_f32 v3, v187, v24, -v3
	s_delay_alu instid0(VALU_DEP_4) | instskip(NEXT) | instid1(VALU_DEP_4)
	v_dual_fmac_f32 v209, v184, v20 :: v_dual_fmac_f32 v212, v190, v26
	v_add_f32_e32 v2, v2, v4
	v_dual_add_f32 v1, v1, v208 :: v_dual_mul_f32 v4, v192, v29
	v_fma_f32 v5, v189, v26, -v5
	s_wait_loadcnt_dscnt 0x100
	v_dual_mul_f32 v216, v197, v37 :: v_dual_mul_f32 v217, v199, v39
	v_dual_add_f32 v2, v2, v3 :: v_dual_fmac_f32 v211, v188, v24
	v_fma_f32 v4, v191, v28, -v4
	v_mul_f32_e32 v3, v194, v31
	s_delay_alu instid0(VALU_DEP_4) | instskip(NEXT) | instid1(VALU_DEP_4)
	v_fmac_f32_e32 v216, v198, v36
	v_add_f32_e32 v2, v2, v5
	v_add_f32_e32 v1, v1, v209
	v_fmac_f32_e32 v215, v196, v32
	v_fma_f32 v3, v193, v30, -v3
	s_delay_alu instid0(VALU_DEP_4) | instskip(NEXT) | instid1(VALU_DEP_4)
	v_dual_fmac_f32 v217, v200, v38 :: v_dual_add_f32 v2, v2, v4
	v_dual_add_f32 v1, v1, v210 :: v_dual_mul_f32 v4, v198, v37
	s_delay_alu instid0(VALU_DEP_2) | instskip(NEXT) | instid1(VALU_DEP_2)
	v_dual_fmac_f32 v213, v192, v28 :: v_dual_add_f32 v2, v2, v3
	v_add_f32_e32 v1, v1, v211
	s_delay_alu instid0(VALU_DEP_3) | instskip(SKIP_2) | instid1(VALU_DEP_2)
	v_fma_f32 v4, v197, v36, -v4
	v_mul_f32_e32 v5, v196, v33
	v_mul_f32_e32 v3, v200, v39
	v_fma_f32 v5, v195, v32, -v5
	v_add_f32_e32 v1, v1, v212
	s_delay_alu instid0(VALU_DEP_3) | instskip(NEXT) | instid1(VALU_DEP_3)
	v_fma_f32 v3, v199, v38, -v3
	v_add_f32_e32 v2, v2, v5
	s_delay_alu instid0(VALU_DEP_1) | instskip(NEXT) | instid1(VALU_DEP_1)
	v_dual_add_f32 v2, v2, v4 :: v_dual_add_f32 v1, v1, v213
	v_dual_add_f32 v2, v2, v3 :: v_dual_add_f32 v1, v1, v214
	s_delay_alu instid0(VALU_DEP_1) | instskip(NEXT) | instid1(VALU_DEP_1)
	v_add_f32_e32 v1, v1, v215
	v_add_f32_e32 v1, v1, v216
	s_delay_alu instid0(VALU_DEP_1) | instskip(SKIP_1) | instid1(VALU_DEP_1)
	v_add_f32_e32 v3, v1, v217
	s_wait_loadcnt 0x0
	v_dual_sub_f32 v1, v201, v2 :: v_dual_sub_f32 v2, v202, v3
	scratch_store_b64 off, v[1:2], off offset:344
	v_cmpx_lt_u32_e32 42, v0
	s_cbranch_execz .LBB61_301
; %bb.300:
	scratch_load_b64 v[1:2], off, off offset:336
	v_mov_b32_e32 v3, 0
	s_delay_alu instid0(VALU_DEP_1)
	v_mov_b32_e32 v4, v3
	scratch_store_b64 off, v[3:4], off offset:336
	s_wait_loadcnt 0x0
	ds_store_b64 v35, v[1:2]
.LBB61_301:
	s_wait_alu 0xfffe
	s_or_b32 exec_lo, exec_lo, s0
	s_wait_storecnt_dscnt 0x0
	s_barrier_signal -1
	s_barrier_wait -1
	global_inv scope:SCOPE_SE
	s_clause 0xa
	scratch_load_b128 v[2:5], off, off offset:344
	scratch_load_b128 v[6:9], off, off offset:360
	;; [unrolled: 1-line block ×9, first 2 shown]
	scratch_load_b64 v[201:202], off, off offset:488
	scratch_load_b64 v[203:204], off, off offset:336
	v_mov_b32_e32 v1, 0
	ds_load_2addr_b64 v[40:43], v1 offset0:105 offset1:106
	ds_load_2addr_b64 v[169:172], v1 offset0:107 offset1:108
	;; [unrolled: 1-line block ×9, first 2 shown]
	ds_load_b64 v[205:206], v1 offset:984
	s_mov_b32 s0, exec_lo
	s_wait_loadcnt_dscnt 0xa09
	v_mul_f32_e32 v34, v40, v3
	s_wait_loadcnt_dscnt 0x908
	v_dual_mul_f32 v44, v42, v5 :: v_dual_mul_f32 v207, v169, v7
	v_mul_f32_e32 v3, v41, v3
	s_delay_alu instid0(VALU_DEP_3)
	v_dual_mul_f32 v5, v43, v5 :: v_dual_fmac_f32 v34, v41, v2
	s_wait_loadcnt_dscnt 0x807
	v_dual_mul_f32 v208, v171, v9 :: v_dual_mul_f32 v209, v173, v11
	s_wait_loadcnt_dscnt 0x302
	v_mul_f32_e32 v220, v195, v33
	v_fma_f32 v3, v40, v2, -v3
	s_wait_loadcnt_dscnt 0x100
	v_dual_mul_f32 v223, v205, v202 :: v_dual_mul_f32 v2, v170, v7
	v_fmac_f32_e32 v44, v43, v4
	v_fma_f32 v4, v42, v4, -v5
	v_add_f32_e32 v3, 0, v3
	v_dual_add_f32 v5, 0, v34 :: v_dual_fmac_f32 v208, v172, v8
	v_mul_f32_e32 v7, v172, v9
	v_fma_f32 v2, v169, v6, -v2
	s_delay_alu instid0(VALU_DEP_4) | instskip(NEXT) | instid1(VALU_DEP_4)
	v_add_f32_e32 v3, v3, v4
	v_dual_fmac_f32 v207, v170, v6 :: v_dual_add_f32 v4, v5, v44
	v_mul_f32_e32 v5, v174, v11
	v_fma_f32 v6, v171, v8, -v7
	s_delay_alu instid0(VALU_DEP_4) | instskip(SKIP_1) | instid1(VALU_DEP_4)
	v_add_f32_e32 v2, v3, v2
	v_dual_mul_f32 v210, v175, v13 :: v_dual_mul_f32 v211, v177, v15
	v_fma_f32 v5, v173, v10, -v5
	v_fmac_f32_e32 v209, v174, v10
	s_delay_alu instid0(VALU_DEP_4) | instskip(SKIP_3) | instid1(VALU_DEP_4)
	v_dual_add_f32 v2, v2, v6 :: v_dual_add_f32 v3, v4, v207
	v_mul_f32_e32 v4, v176, v13
	v_fmac_f32_e32 v210, v176, v12
	v_mul_f32_e32 v6, v178, v15
	v_dual_add_f32 v2, v2, v5 :: v_dual_add_f32 v3, v3, v208
	s_delay_alu instid0(VALU_DEP_4) | instskip(SKIP_2) | instid1(VALU_DEP_3)
	v_fma_f32 v4, v175, v12, -v4
	v_dual_mul_f32 v212, v179, v17 :: v_dual_mul_f32 v213, v181, v19
	v_mul_f32_e32 v5, v180, v17
	v_dual_add_f32 v3, v3, v209 :: v_dual_add_f32 v2, v2, v4
	s_delay_alu instid0(VALU_DEP_3) | instskip(SKIP_1) | instid1(VALU_DEP_3)
	v_dual_fmac_f32 v211, v178, v14 :: v_dual_fmac_f32 v212, v180, v16
	v_fma_f32 v6, v177, v14, -v6
	v_dual_add_f32 v3, v3, v210 :: v_dual_mul_f32 v4, v182, v19
	v_fma_f32 v5, v179, v16, -v5
	v_dual_mul_f32 v214, v183, v21 :: v_dual_mul_f32 v215, v185, v23
	s_delay_alu instid0(VALU_DEP_4) | instskip(NEXT) | instid1(VALU_DEP_4)
	v_add_f32_e32 v2, v2, v6
	v_dual_mul_f32 v6, v184, v21 :: v_dual_add_f32 v3, v3, v211
	s_delay_alu instid0(VALU_DEP_3) | instskip(SKIP_1) | instid1(VALU_DEP_3)
	v_dual_fmac_f32 v213, v182, v18 :: v_dual_fmac_f32 v214, v184, v20
	v_fma_f32 v4, v181, v18, -v4
	v_dual_add_f32 v2, v2, v5 :: v_dual_add_f32 v3, v3, v212
	v_dual_mul_f32 v216, v187, v25 :: v_dual_mul_f32 v217, v189, v27
	v_mul_f32_e32 v5, v186, v23
	s_delay_alu instid0(VALU_DEP_3) | instskip(SKIP_1) | instid1(VALU_DEP_4)
	v_dual_add_f32 v2, v2, v4 :: v_dual_add_f32 v3, v3, v213
	v_fma_f32 v6, v183, v20, -v6
	v_dual_fmac_f32 v215, v186, v22 :: v_dual_fmac_f32 v216, v188, v24
	s_delay_alu instid0(VALU_DEP_3) | instskip(SKIP_1) | instid1(VALU_DEP_4)
	v_dual_mul_f32 v4, v188, v25 :: v_dual_add_f32 v3, v3, v214
	v_fma_f32 v5, v185, v22, -v5
	v_add_f32_e32 v2, v2, v6
	v_mul_f32_e32 v6, v190, v27
	v_dual_mul_f32 v218, v191, v29 :: v_dual_mul_f32 v219, v193, v31
	v_add_f32_e32 v3, v3, v215
	v_fma_f32 v4, v187, v24, -v4
	v_add_f32_e32 v2, v2, v5
	s_delay_alu instid0(VALU_DEP_4) | instskip(NEXT) | instid1(VALU_DEP_4)
	v_dual_fmac_f32 v217, v190, v26 :: v_dual_fmac_f32 v218, v192, v28
	v_add_f32_e32 v3, v3, v216
	s_delay_alu instid0(VALU_DEP_3) | instskip(SKIP_1) | instid1(VALU_DEP_3)
	v_dual_mul_f32 v5, v192, v29 :: v_dual_add_f32 v2, v2, v4
	v_fma_f32 v6, v189, v26, -v6
	v_dual_mul_f32 v4, v194, v31 :: v_dual_add_f32 v3, v3, v217
	s_delay_alu instid0(VALU_DEP_3) | instskip(SKIP_1) | instid1(VALU_DEP_3)
	v_fma_f32 v5, v191, v28, -v5
	v_dual_fmac_f32 v219, v194, v30 :: v_dual_fmac_f32 v220, v196, v32
	v_fma_f32 v4, v193, v30, -v4
	s_delay_alu instid0(VALU_DEP_4) | instskip(SKIP_2) | instid1(VALU_DEP_3)
	v_add_f32_e32 v3, v3, v218
	v_dual_add_f32 v2, v2, v6 :: v_dual_mul_f32 v221, v197, v37
	v_mul_f32_e32 v222, v199, v39
	v_dual_mul_f32 v6, v196, v33 :: v_dual_add_f32 v3, v3, v219
	s_delay_alu instid0(VALU_DEP_3) | instskip(SKIP_2) | instid1(VALU_DEP_4)
	v_add_f32_e32 v2, v2, v5
	v_mul_f32_e32 v5, v198, v37
	v_fmac_f32_e32 v221, v198, v36
	v_fma_f32 v6, v195, v32, -v6
	v_add_f32_e32 v3, v3, v220
	v_add_f32_e32 v2, v2, v4
	v_mul_f32_e32 v4, v200, v39
	v_fma_f32 v5, v197, v36, -v5
	v_dual_fmac_f32 v222, v200, v38 :: v_dual_fmac_f32 v223, v206, v201
	s_delay_alu instid0(VALU_DEP_4) | instskip(NEXT) | instid1(VALU_DEP_4)
	v_dual_add_f32 v2, v2, v6 :: v_dual_add_f32 v3, v3, v221
	v_fma_f32 v4, v199, v38, -v4
	s_delay_alu instid0(VALU_DEP_2) | instskip(NEXT) | instid1(VALU_DEP_1)
	v_dual_add_f32 v2, v2, v5 :: v_dual_add_f32 v3, v3, v222
	v_dual_mul_f32 v6, v206, v202 :: v_dual_add_f32 v3, v3, v223
	s_delay_alu instid0(VALU_DEP_1) | instskip(SKIP_1) | instid1(VALU_DEP_2)
	v_fma_f32 v5, v205, v201, -v6
	s_wait_loadcnt 0x0
	v_dual_add_f32 v2, v2, v4 :: v_dual_sub_f32 v3, v204, v3
	s_delay_alu instid0(VALU_DEP_1) | instskip(NEXT) | instid1(VALU_DEP_1)
	v_add_f32_e32 v2, v2, v5
	v_sub_f32_e32 v2, v203, v2
	scratch_store_b64 off, v[2:3], off offset:336
	v_cmpx_lt_u32_e32 41, v0
	s_cbranch_execz .LBB61_303
; %bb.302:
	scratch_load_b64 v[3:4], off, off offset:328
	v_mov_b32_e32 v2, v1
	scratch_store_b64 off, v[1:2], off offset:328
	s_wait_loadcnt 0x0
	ds_store_b64 v35, v[3:4]
.LBB61_303:
	s_wait_alu 0xfffe
	s_or_b32 exec_lo, exec_lo, s0
	s_wait_storecnt_dscnt 0x0
	s_barrier_signal -1
	s_barrier_wait -1
	global_inv scope:SCOPE_SE
	s_clause 0xa
	scratch_load_b128 v[2:5], off, off offset:336
	scratch_load_b128 v[6:9], off, off offset:352
	;; [unrolled: 1-line block ×10, first 2 shown]
	scratch_load_b64 v[209:210], off, off offset:328
	ds_load_b128 v[169:172], v1 offset:832
	ds_load_b128 v[173:176], v1 offset:848
	;; [unrolled: 1-line block ×10, first 2 shown]
	s_mov_b32 s0, exec_lo
	s_wait_loadcnt_dscnt 0xa09
	v_dual_mul_f32 v1, v169, v3 :: v_dual_mul_f32 v34, v171, v5
	s_wait_loadcnt_dscnt 0x908
	v_dual_mul_f32 v5, v172, v5 :: v_dual_mul_f32 v44, v173, v7
	v_mul_f32_e32 v211, v175, v9
	v_mul_f32_e32 v3, v170, v3
	v_dual_fmac_f32 v1, v170, v2 :: v_dual_fmac_f32 v34, v172, v4
	s_wait_loadcnt_dscnt 0x100
	v_dual_mul_f32 v224, v201, v37 :: v_dual_mul_f32 v227, v207, v43
	s_delay_alu instid0(VALU_DEP_3) | instskip(SKIP_3) | instid1(VALU_DEP_4)
	v_fma_f32 v3, v169, v2, -v3
	v_mul_f32_e32 v2, v174, v7
	v_fma_f32 v4, v171, v4, -v5
	v_dual_mul_f32 v5, v176, v9 :: v_dual_fmac_f32 v44, v174, v6
	v_add_f32_e32 v3, 0, v3
	s_delay_alu instid0(VALU_DEP_4) | instskip(SKIP_2) | instid1(VALU_DEP_4)
	v_fma_f32 v2, v173, v6, -v2
	v_dual_mul_f32 v212, v177, v11 :: v_dual_mul_f32 v213, v179, v13
	v_dual_mul_f32 v214, v181, v15 :: v_dual_mul_f32 v215, v183, v17
	v_dual_add_f32 v3, v3, v4 :: v_dual_mul_f32 v4, v178, v11
	v_fmac_f32_e32 v211, v176, v8
	v_fma_f32 v5, v175, v8, -v5
	v_dual_mul_f32 v216, v185, v19 :: v_dual_mul_f32 v217, v187, v21
	s_delay_alu instid0(VALU_DEP_4) | instskip(SKIP_1) | instid1(VALU_DEP_3)
	v_add_f32_e32 v2, v3, v2
	v_fma_f32 v4, v177, v10, -v4
	v_dual_fmac_f32 v213, v180, v12 :: v_dual_fmac_f32 v216, v186, v18
	v_dual_mul_f32 v218, v189, v23 :: v_dual_mul_f32 v219, v191, v25
	s_delay_alu instid0(VALU_DEP_4) | instskip(SKIP_3) | instid1(VALU_DEP_4)
	v_add_f32_e32 v2, v2, v5
	v_dual_mul_f32 v3, v180, v13 :: v_dual_fmac_f32 v212, v178, v10
	v_mul_f32_e32 v5, v182, v15
	v_dual_mul_f32 v222, v197, v31 :: v_dual_mul_f32 v223, v199, v33
	v_add_f32_e32 v2, v2, v4
	v_mul_f32_e32 v4, v184, v17
	v_add_f32_e32 v1, 0, v1
	v_fma_f32 v3, v179, v12, -v3
	v_fma_f32 v5, v181, v14, -v5
	v_fmac_f32_e32 v214, v182, v14
	v_fma_f32 v4, v183, v16, -v4
	s_delay_alu instid0(VALU_DEP_4) | instskip(SKIP_2) | instid1(VALU_DEP_3)
	v_dual_add_f32 v1, v1, v34 :: v_dual_add_f32 v2, v2, v3
	v_mul_f32_e32 v3, v186, v19
	v_dual_fmac_f32 v215, v184, v16 :: v_dual_fmac_f32 v218, v190, v22
	v_dual_add_f32 v1, v1, v44 :: v_dual_add_f32 v2, v2, v5
	v_mul_f32_e32 v5, v188, v21
	s_delay_alu instid0(VALU_DEP_4) | instskip(SKIP_1) | instid1(VALU_DEP_4)
	v_fma_f32 v3, v185, v18, -v3
	v_dual_mul_f32 v220, v193, v27 :: v_dual_mul_f32 v221, v195, v29
	v_dual_add_f32 v1, v1, v211 :: v_dual_add_f32 v2, v2, v4
	v_mul_f32_e32 v4, v190, v23
	v_fma_f32 v5, v187, v20, -v5
	s_delay_alu instid0(VALU_DEP_3) | instskip(NEXT) | instid1(VALU_DEP_4)
	v_dual_fmac_f32 v222, v198, v30 :: v_dual_add_f32 v1, v1, v212
	v_dual_add_f32 v2, v2, v3 :: v_dual_mul_f32 v3, v192, v25
	s_delay_alu instid0(VALU_DEP_4) | instskip(SKIP_1) | instid1(VALU_DEP_4)
	v_fma_f32 v4, v189, v22, -v4
	v_dual_fmac_f32 v217, v188, v20 :: v_dual_fmac_f32 v220, v194, v26
	v_add_f32_e32 v1, v1, v213
	s_delay_alu instid0(VALU_DEP_4) | instskip(SKIP_3) | instid1(VALU_DEP_4)
	v_add_f32_e32 v2, v2, v5
	v_mul_f32_e32 v5, v194, v27
	v_fma_f32 v3, v191, v24, -v3
	v_dual_mul_f32 v225, v203, v39 :: v_dual_mul_f32 v226, v205, v41
	v_dual_add_f32 v1, v1, v214 :: v_dual_add_f32 v2, v2, v4
	v_mul_f32_e32 v4, v196, v29
	v_fma_f32 v5, v193, v26, -v5
	v_fmac_f32_e32 v227, v208, v42
	s_delay_alu instid0(VALU_DEP_4) | instskip(SKIP_3) | instid1(VALU_DEP_3)
	v_add_f32_e32 v1, v1, v215
	v_dual_add_f32 v2, v2, v3 :: v_dual_fmac_f32 v219, v192, v24
	v_fma_f32 v4, v195, v28, -v4
	v_mul_f32_e32 v3, v198, v31
	v_dual_add_f32 v1, v1, v216 :: v_dual_add_f32 v2, v2, v5
	v_fmac_f32_e32 v224, v202, v36
	v_fmac_f32_e32 v226, v206, v40
	s_delay_alu instid0(VALU_DEP_4) | instskip(NEXT) | instid1(VALU_DEP_4)
	v_fma_f32 v3, v197, v30, -v3
	v_dual_add_f32 v1, v1, v217 :: v_dual_add_f32 v2, v2, v4
	v_dual_mul_f32 v4, v202, v37 :: v_dual_fmac_f32 v221, v196, v28
	s_delay_alu instid0(VALU_DEP_2) | instskip(NEXT) | instid1(VALU_DEP_2)
	v_dual_add_f32 v1, v1, v218 :: v_dual_add_f32 v2, v2, v3
	v_fma_f32 v4, v201, v36, -v4
	v_mul_f32_e32 v5, v200, v33
	s_delay_alu instid0(VALU_DEP_3) | instskip(NEXT) | instid1(VALU_DEP_2)
	v_add_f32_e32 v1, v1, v219
	v_fma_f32 v5, v199, v32, -v5
	s_delay_alu instid0(VALU_DEP_1) | instskip(SKIP_1) | instid1(VALU_DEP_2)
	v_dual_add_f32 v1, v1, v220 :: v_dual_add_f32 v2, v2, v5
	v_mul_f32_e32 v5, v206, v41
	v_dual_add_f32 v1, v1, v221 :: v_dual_add_f32 v2, v2, v4
	s_delay_alu instid0(VALU_DEP_2) | instskip(SKIP_1) | instid1(VALU_DEP_3)
	v_fma_f32 v5, v205, v40, -v5
	v_mul_f32_e32 v3, v204, v39
	v_dual_mul_f32 v4, v208, v43 :: v_dual_add_f32 v1, v1, v222
	s_delay_alu instid0(VALU_DEP_2) | instskip(NEXT) | instid1(VALU_DEP_1)
	v_fma_f32 v3, v203, v38, -v3
	v_dual_fmac_f32 v223, v200, v32 :: v_dual_add_f32 v2, v2, v3
	s_delay_alu instid0(VALU_DEP_1) | instskip(NEXT) | instid1(VALU_DEP_4)
	v_add_f32_e32 v1, v1, v223
	v_fma_f32 v3, v207, v42, -v4
	s_delay_alu instid0(VALU_DEP_3) | instskip(NEXT) | instid1(VALU_DEP_1)
	v_dual_add_f32 v2, v2, v5 :: v_dual_fmac_f32 v225, v204, v38
	v_dual_add_f32 v1, v1, v224 :: v_dual_add_f32 v2, v2, v3
	s_delay_alu instid0(VALU_DEP_1) | instskip(NEXT) | instid1(VALU_DEP_1)
	v_add_f32_e32 v1, v1, v225
	v_add_f32_e32 v1, v1, v226
	s_delay_alu instid0(VALU_DEP_1) | instskip(SKIP_1) | instid1(VALU_DEP_1)
	v_add_f32_e32 v3, v1, v227
	s_wait_loadcnt 0x0
	v_dual_sub_f32 v1, v209, v2 :: v_dual_sub_f32 v2, v210, v3
	scratch_store_b64 off, v[1:2], off offset:328
	v_cmpx_lt_u32_e32 40, v0
	s_cbranch_execz .LBB61_305
; %bb.304:
	scratch_load_b64 v[1:2], off, off offset:320
	v_mov_b32_e32 v3, 0
	s_delay_alu instid0(VALU_DEP_1)
	v_mov_b32_e32 v4, v3
	scratch_store_b64 off, v[3:4], off offset:320
	s_wait_loadcnt 0x0
	ds_store_b64 v35, v[1:2]
.LBB61_305:
	s_wait_alu 0xfffe
	s_or_b32 exec_lo, exec_lo, s0
	s_wait_storecnt_dscnt 0x0
	s_barrier_signal -1
	s_barrier_wait -1
	global_inv scope:SCOPE_SE
	s_clause 0xb
	scratch_load_b128 v[2:5], off, off offset:328
	scratch_load_b128 v[6:9], off, off offset:344
	;; [unrolled: 1-line block ×10, first 2 shown]
	scratch_load_b64 v[209:210], off, off offset:488
	scratch_load_b64 v[211:212], off, off offset:320
	v_mov_b32_e32 v1, 0
	ds_load_2addr_b64 v[169:172], v1 offset0:103 offset1:104
	ds_load_2addr_b64 v[173:176], v1 offset0:105 offset1:106
	;; [unrolled: 1-line block ×10, first 2 shown]
	ds_load_b64 v[213:214], v1 offset:984
	s_mov_b32 s0, exec_lo
	s_wait_loadcnt_dscnt 0xb0a
	v_mul_f32_e32 v34, v169, v3
	s_wait_loadcnt_dscnt 0xa09
	v_dual_mul_f32 v44, v171, v5 :: v_dual_mul_f32 v215, v173, v7
	v_mul_f32_e32 v3, v170, v3
	s_delay_alu instid0(VALU_DEP_3)
	v_dual_mul_f32 v5, v172, v5 :: v_dual_fmac_f32 v34, v170, v2
	s_wait_loadcnt_dscnt 0x908
	v_dual_mul_f32 v216, v175, v9 :: v_dual_mul_f32 v217, v177, v11
	s_wait_loadcnt_dscnt 0x403
	v_mul_f32_e32 v228, v199, v33
	v_fma_f32 v3, v169, v2, -v3
	s_wait_loadcnt_dscnt 0x100
	v_dual_mul_f32 v233, v213, v210 :: v_dual_mul_f32 v2, v174, v7
	v_fmac_f32_e32 v44, v172, v4
	v_fma_f32 v4, v171, v4, -v5
	v_add_f32_e32 v3, 0, v3
	v_dual_add_f32 v5, 0, v34 :: v_dual_fmac_f32 v216, v176, v8
	v_mul_f32_e32 v7, v176, v9
	v_fma_f32 v2, v173, v6, -v2
	s_delay_alu instid0(VALU_DEP_4) | instskip(NEXT) | instid1(VALU_DEP_4)
	v_add_f32_e32 v3, v3, v4
	v_dual_fmac_f32 v215, v174, v6 :: v_dual_add_f32 v4, v5, v44
	v_mul_f32_e32 v5, v178, v11
	v_fma_f32 v6, v175, v8, -v7
	s_delay_alu instid0(VALU_DEP_4) | instskip(SKIP_1) | instid1(VALU_DEP_4)
	v_add_f32_e32 v2, v3, v2
	v_dual_mul_f32 v218, v179, v13 :: v_dual_mul_f32 v219, v181, v15
	v_fma_f32 v5, v177, v10, -v5
	v_fmac_f32_e32 v217, v178, v10
	s_delay_alu instid0(VALU_DEP_4) | instskip(SKIP_3) | instid1(VALU_DEP_4)
	v_dual_add_f32 v2, v2, v6 :: v_dual_add_f32 v3, v4, v215
	v_mul_f32_e32 v4, v180, v13
	v_fmac_f32_e32 v218, v180, v12
	v_mul_f32_e32 v6, v182, v15
	v_dual_add_f32 v2, v2, v5 :: v_dual_add_f32 v3, v3, v216
	s_delay_alu instid0(VALU_DEP_4) | instskip(SKIP_2) | instid1(VALU_DEP_3)
	v_fma_f32 v4, v179, v12, -v4
	v_dual_mul_f32 v220, v183, v17 :: v_dual_mul_f32 v221, v185, v19
	v_mul_f32_e32 v5, v184, v17
	v_dual_add_f32 v3, v3, v217 :: v_dual_add_f32 v2, v2, v4
	s_delay_alu instid0(VALU_DEP_3) | instskip(SKIP_1) | instid1(VALU_DEP_3)
	v_dual_fmac_f32 v219, v182, v14 :: v_dual_fmac_f32 v220, v184, v16
	v_fma_f32 v6, v181, v14, -v6
	v_dual_add_f32 v3, v3, v218 :: v_dual_mul_f32 v4, v186, v19
	v_fma_f32 v5, v183, v16, -v5
	v_dual_mul_f32 v222, v187, v21 :: v_dual_mul_f32 v223, v189, v23
	s_delay_alu instid0(VALU_DEP_4) | instskip(NEXT) | instid1(VALU_DEP_4)
	v_add_f32_e32 v2, v2, v6
	v_dual_mul_f32 v6, v188, v21 :: v_dual_add_f32 v3, v3, v219
	s_delay_alu instid0(VALU_DEP_3) | instskip(SKIP_1) | instid1(VALU_DEP_3)
	v_dual_fmac_f32 v221, v186, v18 :: v_dual_fmac_f32 v222, v188, v20
	v_fma_f32 v4, v185, v18, -v4
	v_dual_add_f32 v2, v2, v5 :: v_dual_add_f32 v3, v3, v220
	v_dual_mul_f32 v224, v191, v25 :: v_dual_mul_f32 v225, v193, v27
	v_mul_f32_e32 v5, v190, v23
	s_delay_alu instid0(VALU_DEP_3) | instskip(SKIP_1) | instid1(VALU_DEP_4)
	v_dual_add_f32 v2, v2, v4 :: v_dual_add_f32 v3, v3, v221
	v_fma_f32 v6, v187, v20, -v6
	v_dual_fmac_f32 v223, v190, v22 :: v_dual_fmac_f32 v224, v192, v24
	s_delay_alu instid0(VALU_DEP_3) | instskip(SKIP_1) | instid1(VALU_DEP_4)
	v_dual_mul_f32 v4, v192, v25 :: v_dual_add_f32 v3, v3, v222
	v_fma_f32 v5, v189, v22, -v5
	v_add_f32_e32 v2, v2, v6
	v_mul_f32_e32 v6, v194, v27
	v_dual_mul_f32 v226, v195, v29 :: v_dual_mul_f32 v227, v197, v31
	v_add_f32_e32 v3, v3, v223
	v_fma_f32 v4, v191, v24, -v4
	v_add_f32_e32 v2, v2, v5
	s_delay_alu instid0(VALU_DEP_4) | instskip(NEXT) | instid1(VALU_DEP_4)
	v_dual_fmac_f32 v225, v194, v26 :: v_dual_fmac_f32 v226, v196, v28
	v_add_f32_e32 v3, v3, v224
	s_delay_alu instid0(VALU_DEP_3) | instskip(SKIP_1) | instid1(VALU_DEP_3)
	v_dual_mul_f32 v5, v196, v29 :: v_dual_add_f32 v2, v2, v4
	v_fma_f32 v6, v193, v26, -v6
	v_dual_mul_f32 v4, v198, v31 :: v_dual_add_f32 v3, v3, v225
	s_delay_alu instid0(VALU_DEP_3) | instskip(SKIP_1) | instid1(VALU_DEP_3)
	v_fma_f32 v5, v195, v28, -v5
	v_dual_fmac_f32 v227, v198, v30 :: v_dual_fmac_f32 v228, v200, v32
	v_fma_f32 v4, v197, v30, -v4
	s_delay_alu instid0(VALU_DEP_4) | instskip(SKIP_2) | instid1(VALU_DEP_3)
	v_add_f32_e32 v3, v3, v226
	v_dual_add_f32 v2, v2, v6 :: v_dual_mul_f32 v229, v201, v37
	v_mul_f32_e32 v230, v203, v39
	v_dual_mul_f32 v6, v200, v33 :: v_dual_add_f32 v3, v3, v227
	s_delay_alu instid0(VALU_DEP_3) | instskip(SKIP_2) | instid1(VALU_DEP_4)
	v_add_f32_e32 v2, v2, v5
	v_mul_f32_e32 v5, v202, v37
	v_fmac_f32_e32 v229, v202, v36
	v_fma_f32 v6, v199, v32, -v6
	v_add_f32_e32 v3, v3, v228
	v_dual_add_f32 v2, v2, v4 :: v_dual_mul_f32 v231, v205, v41
	v_mul_f32_e32 v232, v207, v43
	v_mul_f32_e32 v4, v204, v39
	v_fma_f32 v5, v201, v36, -v5
	s_delay_alu instid0(VALU_DEP_4) | instskip(SKIP_3) | instid1(VALU_DEP_3)
	v_dual_add_f32 v2, v2, v6 :: v_dual_add_f32 v3, v3, v229
	v_dual_fmac_f32 v230, v204, v38 :: v_dual_fmac_f32 v231, v206, v40
	v_mul_f32_e32 v6, v206, v41
	v_fma_f32 v4, v203, v38, -v4
	v_dual_add_f32 v2, v2, v5 :: v_dual_add_f32 v3, v3, v230
	v_mul_f32_e32 v5, v208, v43
	s_delay_alu instid0(VALU_DEP_4) | instskip(SKIP_1) | instid1(VALU_DEP_4)
	v_fma_f32 v6, v205, v40, -v6
	v_dual_fmac_f32 v232, v208, v42 :: v_dual_fmac_f32 v233, v214, v209
	v_dual_add_f32 v2, v2, v4 :: v_dual_add_f32 v3, v3, v231
	v_mul_f32_e32 v4, v214, v210
	v_fma_f32 v5, v207, v42, -v5
	s_delay_alu instid0(VALU_DEP_3) | instskip(NEXT) | instid1(VALU_DEP_3)
	v_dual_add_f32 v3, v3, v232 :: v_dual_add_f32 v2, v2, v6
	v_fma_f32 v4, v213, v209, -v4
	s_delay_alu instid0(VALU_DEP_2) | instskip(SKIP_1) | instid1(VALU_DEP_1)
	v_add_f32_e32 v3, v3, v233
	s_wait_loadcnt 0x0
	v_dual_add_f32 v2, v2, v5 :: v_dual_sub_f32 v3, v212, v3
	s_delay_alu instid0(VALU_DEP_1) | instskip(NEXT) | instid1(VALU_DEP_1)
	v_add_f32_e32 v2, v2, v4
	v_sub_f32_e32 v2, v211, v2
	scratch_store_b64 off, v[2:3], off offset:320
	v_cmpx_lt_u32_e32 39, v0
	s_cbranch_execz .LBB61_307
; %bb.306:
	scratch_load_b64 v[3:4], off, off offset:312
	v_mov_b32_e32 v2, v1
	scratch_store_b64 off, v[1:2], off offset:312
	s_wait_loadcnt 0x0
	ds_store_b64 v35, v[3:4]
.LBB61_307:
	s_wait_alu 0xfffe
	s_or_b32 exec_lo, exec_lo, s0
	s_wait_storecnt_dscnt 0x0
	s_barrier_signal -1
	s_barrier_wait -1
	global_inv scope:SCOPE_SE
	s_clause 0xb
	scratch_load_b128 v[2:5], off, off offset:320
	scratch_load_b128 v[6:9], off, off offset:336
	;; [unrolled: 1-line block ×11, first 2 shown]
	scratch_load_b64 v[217:218], off, off offset:312
	ds_load_b128 v[173:176], v1 offset:816
	ds_load_b128 v[177:180], v1 offset:832
	;; [unrolled: 1-line block ×11, first 2 shown]
	s_mov_b32 s0, exec_lo
	s_wait_loadcnt_dscnt 0xb0a
	v_dual_mul_f32 v1, v173, v3 :: v_dual_mul_f32 v34, v175, v5
	s_wait_loadcnt_dscnt 0xa09
	v_dual_mul_f32 v44, v177, v7 :: v_dual_mul_f32 v219, v179, v9
	v_mul_f32_e32 v5, v176, v5
	v_mul_f32_e32 v3, v174, v3
	s_wait_loadcnt_dscnt 0x908
	v_dual_mul_f32 v220, v181, v11 :: v_dual_mul_f32 v221, v183, v13
	v_dual_fmac_f32 v1, v174, v2 :: v_dual_fmac_f32 v34, v176, v4
	s_wait_loadcnt_dscnt 0x201
	v_mul_f32_e32 v234, v209, v41
	v_fma_f32 v3, v173, v2, -v3
	s_wait_loadcnt_dscnt 0x100
	v_dual_mul_f32 v237, v215, v172 :: v_dual_mul_f32 v2, v178, v7
	v_fmac_f32_e32 v44, v178, v6
	v_fma_f32 v4, v175, v4, -v5
	v_dual_add_f32 v3, 0, v3 :: v_dual_fmac_f32 v220, v182, v10
	s_delay_alu instid0(VALU_DEP_4) | instskip(SKIP_2) | instid1(VALU_DEP_4)
	v_fma_f32 v2, v177, v6, -v2
	v_dual_add_f32 v1, 0, v1 :: v_dual_mul_f32 v224, v189, v19
	v_mul_f32_e32 v225, v191, v21
	v_add_f32_e32 v3, v3, v4
	v_dual_mul_f32 v5, v180, v9 :: v_dual_mul_f32 v4, v182, v11
	s_delay_alu instid0(VALU_DEP_4) | instskip(SKIP_1) | instid1(VALU_DEP_4)
	v_fmac_f32_e32 v224, v190, v18
	v_dual_mul_f32 v222, v185, v15 :: v_dual_mul_f32 v223, v187, v17
	v_add_f32_e32 v2, v3, v2
	s_delay_alu instid0(VALU_DEP_4) | instskip(SKIP_3) | instid1(VALU_DEP_4)
	v_fma_f32 v5, v179, v8, -v5
	v_mul_f32_e32 v3, v184, v13
	v_fma_f32 v4, v181, v10, -v4
	v_dual_fmac_f32 v219, v180, v8 :: v_dual_fmac_f32 v222, v186, v14
	v_dual_add_f32 v2, v2, v5 :: v_dual_add_f32 v1, v1, v34
	v_mul_f32_e32 v5, v186, v15
	v_fma_f32 v3, v183, v12, -v3
	v_dual_mul_f32 v226, v193, v23 :: v_dual_mul_f32 v227, v195, v25
	s_delay_alu instid0(VALU_DEP_4) | instskip(SKIP_3) | instid1(VALU_DEP_4)
	v_add_f32_e32 v2, v2, v4
	v_dual_add_f32 v1, v1, v44 :: v_dual_mul_f32 v4, v188, v17
	v_fmac_f32_e32 v221, v184, v12
	v_fma_f32 v5, v185, v14, -v5
	v_add_f32_e32 v2, v2, v3
	s_delay_alu instid0(VALU_DEP_4) | instskip(SKIP_3) | instid1(VALU_DEP_4)
	v_add_f32_e32 v1, v1, v219
	v_mul_f32_e32 v3, v190, v19
	v_fma_f32 v4, v187, v16, -v4
	v_dual_mul_f32 v230, v201, v31 :: v_dual_mul_f32 v231, v203, v33
	v_dual_add_f32 v2, v2, v5 :: v_dual_add_f32 v1, v1, v220
	v_mul_f32_e32 v5, v192, v21
	v_fma_f32 v3, v189, v18, -v3
	v_dual_fmac_f32 v223, v188, v16 :: v_dual_fmac_f32 v226, v194, v22
	s_delay_alu instid0(VALU_DEP_4) | instskip(SKIP_3) | instid1(VALU_DEP_4)
	v_add_f32_e32 v2, v2, v4
	v_dual_mul_f32 v4, v194, v23 :: v_dual_add_f32 v1, v1, v221
	v_fma_f32 v5, v191, v20, -v5
	v_fmac_f32_e32 v230, v202, v30
	v_dual_add_f32 v2, v2, v3 :: v_dual_mul_f32 v3, v196, v25
	s_delay_alu instid0(VALU_DEP_4) | instskip(SKIP_2) | instid1(VALU_DEP_3)
	v_add_f32_e32 v1, v1, v222
	v_fma_f32 v4, v193, v22, -v4
	v_dual_mul_f32 v228, v197, v27 :: v_dual_mul_f32 v229, v199, v29
	v_dual_add_f32 v2, v2, v5 :: v_dual_add_f32 v1, v1, v223
	v_mul_f32_e32 v5, v198, v27
	v_fma_f32 v3, v195, v24, -v3
	s_delay_alu instid0(VALU_DEP_4) | instskip(NEXT) | instid1(VALU_DEP_4)
	v_dual_fmac_f32 v225, v192, v20 :: v_dual_fmac_f32 v228, v198, v26
	v_add_f32_e32 v2, v2, v4
	v_dual_add_f32 v1, v1, v224 :: v_dual_mul_f32 v4, v200, v29
	v_fma_f32 v5, v197, v26, -v5
	v_dual_mul_f32 v232, v205, v37 :: v_dual_mul_f32 v233, v207, v39
	s_delay_alu instid0(VALU_DEP_4) | instskip(NEXT) | instid1(VALU_DEP_4)
	v_dual_add_f32 v2, v2, v3 :: v_dual_fmac_f32 v227, v196, v24
	v_fma_f32 v4, v199, v28, -v4
	v_mul_f32_e32 v3, v202, v31
	v_dual_mul_f32 v235, v211, v43 :: v_dual_mul_f32 v236, v213, v170
	s_delay_alu instid0(VALU_DEP_4) | instskip(SKIP_1) | instid1(VALU_DEP_4)
	v_add_f32_e32 v2, v2, v5
	v_add_f32_e32 v1, v1, v225
	v_fma_f32 v3, v201, v30, -v3
	s_delay_alu instid0(VALU_DEP_4) | instskip(NEXT) | instid1(VALU_DEP_3)
	v_dual_fmac_f32 v232, v206, v36 :: v_dual_fmac_f32 v235, v212, v42
	v_dual_add_f32 v2, v2, v4 :: v_dual_add_f32 v1, v1, v226
	v_dual_mul_f32 v4, v206, v37 :: v_dual_fmac_f32 v229, v200, v28
	v_fmac_f32_e32 v237, v216, v171
	s_delay_alu instid0(VALU_DEP_3) | instskip(NEXT) | instid1(VALU_DEP_4)
	v_add_f32_e32 v2, v2, v3
	v_add_f32_e32 v1, v1, v227
	s_delay_alu instid0(VALU_DEP_4) | instskip(SKIP_2) | instid1(VALU_DEP_2)
	v_fma_f32 v4, v205, v36, -v4
	v_dual_mul_f32 v5, v204, v33 :: v_dual_fmac_f32 v234, v210, v40
	v_fmac_f32_e32 v236, v214, v169
	v_fma_f32 v5, v203, v32, -v5
	s_delay_alu instid0(VALU_DEP_1) | instskip(SKIP_1) | instid1(VALU_DEP_2)
	v_dual_add_f32 v1, v1, v228 :: v_dual_add_f32 v2, v2, v5
	v_mul_f32_e32 v5, v210, v41
	v_dual_add_f32 v1, v1, v229 :: v_dual_add_f32 v2, v2, v4
	s_delay_alu instid0(VALU_DEP_2) | instskip(SKIP_1) | instid1(VALU_DEP_3)
	v_fma_f32 v5, v209, v40, -v5
	v_mul_f32_e32 v3, v208, v39
	v_dual_mul_f32 v4, v212, v43 :: v_dual_add_f32 v1, v1, v230
	s_delay_alu instid0(VALU_DEP_2) | instskip(SKIP_1) | instid1(VALU_DEP_3)
	v_fma_f32 v3, v207, v38, -v3
	v_fmac_f32_e32 v231, v204, v32
	v_fma_f32 v4, v211, v42, -v4
	s_delay_alu instid0(VALU_DEP_3) | instskip(NEXT) | instid1(VALU_DEP_3)
	v_add_f32_e32 v2, v2, v3
	v_add_f32_e32 v1, v1, v231
	v_mul_f32_e32 v3, v214, v170
	s_delay_alu instid0(VALU_DEP_3) | instskip(SKIP_1) | instid1(VALU_DEP_3)
	v_dual_add_f32 v2, v2, v5 :: v_dual_fmac_f32 v233, v208, v38
	v_mul_f32_e32 v5, v216, v172
	v_fma_f32 v3, v213, v169, -v3
	s_delay_alu instid0(VALU_DEP_3) | instskip(SKIP_1) | instid1(VALU_DEP_4)
	v_add_f32_e32 v2, v2, v4
	v_add_f32_e32 v1, v1, v232
	v_fma_f32 v4, v215, v171, -v5
	s_delay_alu instid0(VALU_DEP_2) | instskip(NEXT) | instid1(VALU_DEP_1)
	v_dual_add_f32 v2, v2, v3 :: v_dual_add_f32 v1, v1, v233
	v_dual_add_f32 v2, v2, v4 :: v_dual_add_f32 v1, v1, v234
	s_delay_alu instid0(VALU_DEP_1) | instskip(NEXT) | instid1(VALU_DEP_1)
	v_add_f32_e32 v1, v1, v235
	v_add_f32_e32 v1, v1, v236
	s_delay_alu instid0(VALU_DEP_1) | instskip(SKIP_1) | instid1(VALU_DEP_1)
	v_add_f32_e32 v3, v1, v237
	s_wait_loadcnt 0x0
	v_dual_sub_f32 v1, v217, v2 :: v_dual_sub_f32 v2, v218, v3
	scratch_store_b64 off, v[1:2], off offset:312
	v_cmpx_lt_u32_e32 38, v0
	s_cbranch_execz .LBB61_309
; %bb.308:
	scratch_load_b64 v[1:2], off, off offset:304
	v_mov_b32_e32 v3, 0
	s_delay_alu instid0(VALU_DEP_1)
	v_mov_b32_e32 v4, v3
	scratch_store_b64 off, v[3:4], off offset:304
	s_wait_loadcnt 0x0
	ds_store_b64 v35, v[1:2]
.LBB61_309:
	s_wait_alu 0xfffe
	s_or_b32 exec_lo, exec_lo, s0
	s_wait_storecnt_dscnt 0x0
	s_barrier_signal -1
	s_barrier_wait -1
	global_inv scope:SCOPE_SE
	s_clause 0xc
	scratch_load_b128 v[2:5], off, off offset:312
	scratch_load_b128 v[6:9], off, off offset:328
	;; [unrolled: 1-line block ×11, first 2 shown]
	scratch_load_b64 v[217:218], off, off offset:488
	scratch_load_b64 v[219:220], off, off offset:304
	v_mov_b32_e32 v1, 0
	ds_load_2addr_b64 v[173:176], v1 offset0:101 offset1:102
	ds_load_2addr_b64 v[177:180], v1 offset0:103 offset1:104
	;; [unrolled: 1-line block ×11, first 2 shown]
	ds_load_b64 v[221:222], v1 offset:984
	s_mov_b32 s0, exec_lo
	s_wait_loadcnt_dscnt 0xc0b
	v_mul_f32_e32 v34, v173, v3
	s_wait_loadcnt_dscnt 0xb0a
	v_dual_mul_f32 v44, v175, v5 :: v_dual_mul_f32 v223, v177, v7
	v_mul_f32_e32 v3, v174, v3
	s_delay_alu instid0(VALU_DEP_3)
	v_dual_mul_f32 v5, v176, v5 :: v_dual_fmac_f32 v34, v174, v2
	s_wait_loadcnt_dscnt 0xa09
	v_dual_mul_f32 v224, v179, v9 :: v_dual_mul_f32 v225, v181, v11
	s_wait_loadcnt_dscnt 0x504
	v_mul_f32_e32 v236, v203, v33
	v_fma_f32 v3, v173, v2, -v3
	s_wait_loadcnt_dscnt 0x100
	v_dual_mul_f32 v2, v178, v7 :: v_dual_mul_f32 v243, v221, v218
	v_fmac_f32_e32 v44, v176, v4
	v_fma_f32 v4, v175, v4, -v5
	v_add_f32_e32 v3, 0, v3
	v_dual_add_f32 v5, 0, v34 :: v_dual_fmac_f32 v224, v180, v8
	v_mul_f32_e32 v7, v180, v9
	v_fma_f32 v2, v177, v6, -v2
	s_delay_alu instid0(VALU_DEP_4) | instskip(NEXT) | instid1(VALU_DEP_4)
	v_add_f32_e32 v3, v3, v4
	v_dual_fmac_f32 v223, v178, v6 :: v_dual_add_f32 v4, v5, v44
	v_mul_f32_e32 v5, v182, v11
	v_fma_f32 v6, v179, v8, -v7
	s_delay_alu instid0(VALU_DEP_4) | instskip(SKIP_1) | instid1(VALU_DEP_4)
	v_add_f32_e32 v2, v3, v2
	v_dual_mul_f32 v226, v183, v13 :: v_dual_mul_f32 v227, v185, v15
	v_fma_f32 v5, v181, v10, -v5
	v_fmac_f32_e32 v225, v182, v10
	s_delay_alu instid0(VALU_DEP_4) | instskip(SKIP_3) | instid1(VALU_DEP_4)
	v_dual_add_f32 v2, v2, v6 :: v_dual_add_f32 v3, v4, v223
	v_mul_f32_e32 v4, v184, v13
	v_fmac_f32_e32 v226, v184, v12
	v_mul_f32_e32 v6, v186, v15
	v_dual_add_f32 v2, v2, v5 :: v_dual_add_f32 v3, v3, v224
	s_delay_alu instid0(VALU_DEP_4) | instskip(SKIP_2) | instid1(VALU_DEP_3)
	v_fma_f32 v4, v183, v12, -v4
	v_dual_mul_f32 v228, v187, v17 :: v_dual_mul_f32 v229, v189, v19
	v_mul_f32_e32 v5, v188, v17
	v_dual_add_f32 v3, v3, v225 :: v_dual_add_f32 v2, v2, v4
	s_delay_alu instid0(VALU_DEP_3) | instskip(SKIP_1) | instid1(VALU_DEP_3)
	v_dual_fmac_f32 v227, v186, v14 :: v_dual_fmac_f32 v228, v188, v16
	v_fma_f32 v6, v185, v14, -v6
	v_dual_add_f32 v3, v3, v226 :: v_dual_mul_f32 v4, v190, v19
	v_fma_f32 v5, v187, v16, -v5
	v_dual_mul_f32 v230, v191, v21 :: v_dual_mul_f32 v231, v193, v23
	s_delay_alu instid0(VALU_DEP_4) | instskip(NEXT) | instid1(VALU_DEP_4)
	v_add_f32_e32 v2, v2, v6
	v_dual_mul_f32 v6, v192, v21 :: v_dual_add_f32 v3, v3, v227
	s_delay_alu instid0(VALU_DEP_3) | instskip(SKIP_1) | instid1(VALU_DEP_3)
	v_dual_fmac_f32 v229, v190, v18 :: v_dual_fmac_f32 v230, v192, v20
	v_fma_f32 v4, v189, v18, -v4
	v_dual_add_f32 v2, v2, v5 :: v_dual_add_f32 v3, v3, v228
	v_dual_mul_f32 v232, v195, v25 :: v_dual_mul_f32 v233, v197, v27
	v_mul_f32_e32 v5, v194, v23
	s_delay_alu instid0(VALU_DEP_3) | instskip(SKIP_1) | instid1(VALU_DEP_4)
	v_dual_add_f32 v2, v2, v4 :: v_dual_add_f32 v3, v3, v229
	v_fma_f32 v6, v191, v20, -v6
	v_dual_fmac_f32 v231, v194, v22 :: v_dual_fmac_f32 v232, v196, v24
	s_delay_alu instid0(VALU_DEP_3) | instskip(SKIP_1) | instid1(VALU_DEP_4)
	v_dual_mul_f32 v4, v196, v25 :: v_dual_add_f32 v3, v3, v230
	v_fma_f32 v5, v193, v22, -v5
	v_add_f32_e32 v2, v2, v6
	v_mul_f32_e32 v6, v198, v27
	v_dual_mul_f32 v234, v199, v29 :: v_dual_mul_f32 v235, v201, v31
	v_add_f32_e32 v3, v3, v231
	v_fma_f32 v4, v195, v24, -v4
	v_add_f32_e32 v2, v2, v5
	s_delay_alu instid0(VALU_DEP_4) | instskip(NEXT) | instid1(VALU_DEP_4)
	v_dual_fmac_f32 v233, v198, v26 :: v_dual_fmac_f32 v234, v200, v28
	v_add_f32_e32 v3, v3, v232
	s_delay_alu instid0(VALU_DEP_3) | instskip(SKIP_1) | instid1(VALU_DEP_3)
	v_dual_mul_f32 v5, v200, v29 :: v_dual_add_f32 v2, v2, v4
	v_fma_f32 v6, v197, v26, -v6
	v_dual_mul_f32 v4, v202, v31 :: v_dual_add_f32 v3, v3, v233
	s_delay_alu instid0(VALU_DEP_3) | instskip(SKIP_1) | instid1(VALU_DEP_3)
	v_fma_f32 v5, v199, v28, -v5
	v_dual_fmac_f32 v235, v202, v30 :: v_dual_fmac_f32 v236, v204, v32
	v_fma_f32 v4, v201, v30, -v4
	s_delay_alu instid0(VALU_DEP_4) | instskip(SKIP_2) | instid1(VALU_DEP_3)
	v_add_f32_e32 v3, v3, v234
	v_dual_add_f32 v2, v2, v6 :: v_dual_mul_f32 v237, v205, v37
	v_mul_f32_e32 v238, v207, v39
	v_dual_mul_f32 v6, v204, v33 :: v_dual_add_f32 v3, v3, v235
	s_delay_alu instid0(VALU_DEP_3) | instskip(SKIP_2) | instid1(VALU_DEP_4)
	v_add_f32_e32 v2, v2, v5
	v_mul_f32_e32 v5, v206, v37
	v_fmac_f32_e32 v237, v206, v36
	v_fma_f32 v6, v203, v32, -v6
	v_add_f32_e32 v3, v3, v236
	v_dual_add_f32 v2, v2, v4 :: v_dual_mul_f32 v239, v209, v41
	v_mul_f32_e32 v240, v211, v43
	v_mul_f32_e32 v4, v208, v39
	v_fma_f32 v5, v205, v36, -v5
	s_delay_alu instid0(VALU_DEP_4) | instskip(SKIP_3) | instid1(VALU_DEP_3)
	v_dual_add_f32 v2, v2, v6 :: v_dual_add_f32 v3, v3, v237
	v_dual_fmac_f32 v238, v208, v38 :: v_dual_fmac_f32 v239, v210, v40
	v_mul_f32_e32 v6, v210, v41
	v_fma_f32 v4, v207, v38, -v4
	v_dual_add_f32 v2, v2, v5 :: v_dual_add_f32 v3, v3, v238
	v_dual_mul_f32 v241, v213, v170 :: v_dual_mul_f32 v242, v215, v172
	v_mul_f32_e32 v5, v212, v43
	v_fma_f32 v6, v209, v40, -v6
	s_delay_alu instid0(VALU_DEP_4) | instskip(NEXT) | instid1(VALU_DEP_4)
	v_dual_add_f32 v2, v2, v4 :: v_dual_add_f32 v3, v3, v239
	v_dual_fmac_f32 v240, v212, v42 :: v_dual_fmac_f32 v241, v214, v169
	v_mul_f32_e32 v4, v214, v170
	v_fma_f32 v5, v211, v42, -v5
	v_dual_fmac_f32 v242, v216, v171 :: v_dual_fmac_f32 v243, v222, v217
	s_delay_alu instid0(VALU_DEP_4) | instskip(SKIP_2) | instid1(VALU_DEP_3)
	v_dual_add_f32 v3, v3, v240 :: v_dual_add_f32 v2, v2, v6
	v_mul_f32_e32 v6, v216, v172
	v_fma_f32 v4, v213, v169, -v4
	v_add_f32_e32 v3, v3, v241
	s_delay_alu instid0(VALU_DEP_4) | instskip(SKIP_2) | instid1(VALU_DEP_3)
	v_add_f32_e32 v2, v2, v5
	v_mul_f32_e32 v5, v222, v218
	v_fma_f32 v6, v215, v171, -v6
	v_dual_add_f32 v3, v3, v242 :: v_dual_add_f32 v2, v2, v4
	s_delay_alu instid0(VALU_DEP_3) | instskip(NEXT) | instid1(VALU_DEP_2)
	v_fma_f32 v4, v221, v217, -v5
	v_dual_add_f32 v3, v3, v243 :: v_dual_add_f32 v2, v2, v6
	s_wait_loadcnt 0x0
	s_delay_alu instid0(VALU_DEP_1) | instskip(NEXT) | instid1(VALU_DEP_1)
	v_dual_sub_f32 v3, v220, v3 :: v_dual_add_f32 v2, v2, v4
	v_sub_f32_e32 v2, v219, v2
	scratch_store_b64 off, v[2:3], off offset:304
	v_cmpx_lt_u32_e32 37, v0
	s_cbranch_execz .LBB61_311
; %bb.310:
	scratch_load_b64 v[3:4], off, off offset:296
	v_mov_b32_e32 v2, v1
	scratch_store_b64 off, v[1:2], off offset:296
	s_wait_loadcnt 0x0
	ds_store_b64 v35, v[3:4]
.LBB61_311:
	s_wait_alu 0xfffe
	s_or_b32 exec_lo, exec_lo, s0
	s_wait_storecnt_dscnt 0x0
	s_barrier_signal -1
	s_barrier_wait -1
	global_inv scope:SCOPE_SE
	s_clause 0xc
	scratch_load_b128 v[2:5], off, off offset:304
	scratch_load_b128 v[6:9], off, off offset:320
	scratch_load_b128 v[10:13], off, off offset:336
	scratch_load_b128 v[14:17], off, off offset:352
	scratch_load_b128 v[18:21], off, off offset:368
	scratch_load_b128 v[22:25], off, off offset:384
	scratch_load_b128 v[26:29], off, off offset:400
	scratch_load_b128 v[30:33], off, off offset:416
	scratch_load_b128 v[36:39], off, off offset:432
	scratch_load_b128 v[40:43], off, off offset:448
	scratch_load_b128 v[169:172], off, off offset:464
	scratch_load_b128 v[173:176], off, off offset:480
	scratch_load_b64 v[225:226], off, off offset:296
	ds_load_b128 v[177:180], v1 offset:800
	ds_load_b128 v[181:184], v1 offset:816
	;; [unrolled: 1-line block ×12, first 2 shown]
	s_mov_b32 s0, exec_lo
	s_wait_loadcnt_dscnt 0xc0b
	v_dual_mul_f32 v1, v177, v3 :: v_dual_mul_f32 v34, v179, v5
	s_wait_loadcnt_dscnt 0xb0a
	v_dual_mul_f32 v44, v181, v7 :: v_dual_mul_f32 v227, v183, v9
	;; [unrolled: 2-line block ×3, first 2 shown]
	v_mul_f32_e32 v229, v187, v13
	v_mul_f32_e32 v3, v178, v3
	v_dual_fmac_f32 v1, v178, v2 :: v_dual_fmac_f32 v34, v180, v4
	s_wait_loadcnt_dscnt 0x100
	v_dual_mul_f32 v244, v217, v170 :: v_dual_mul_f32 v247, v223, v176
	s_delay_alu instid0(VALU_DEP_3) | instskip(SKIP_3) | instid1(VALU_DEP_4)
	v_fma_f32 v3, v177, v2, -v3
	v_mul_f32_e32 v2, v182, v7
	v_fmac_f32_e32 v44, v182, v6
	v_fma_f32 v4, v179, v4, -v5
	v_dual_fmac_f32 v228, v186, v10 :: v_dual_add_f32 v3, 0, v3
	s_delay_alu instid0(VALU_DEP_4) | instskip(SKIP_2) | instid1(VALU_DEP_4)
	v_fma_f32 v2, v181, v6, -v2
	v_dual_add_f32 v1, 0, v1 :: v_dual_mul_f32 v232, v193, v19
	v_mul_f32_e32 v233, v195, v21
	v_add_f32_e32 v3, v3, v4
	v_dual_mul_f32 v5, v184, v9 :: v_dual_mul_f32 v4, v186, v11
	v_dual_mul_f32 v230, v189, v15 :: v_dual_mul_f32 v231, v191, v17
	s_delay_alu instid0(VALU_DEP_3) | instskip(NEXT) | instid1(VALU_DEP_3)
	v_add_f32_e32 v2, v3, v2
	v_fma_f32 v5, v183, v8, -v5
	v_dual_mul_f32 v3, v188, v13 :: v_dual_fmac_f32 v232, v194, v18
	v_fma_f32 v4, v185, v10, -v4
	v_dual_fmac_f32 v227, v184, v8 :: v_dual_fmac_f32 v230, v190, v14
	s_delay_alu instid0(VALU_DEP_4) | instskip(SKIP_3) | instid1(VALU_DEP_4)
	v_dual_add_f32 v2, v2, v5 :: v_dual_add_f32 v1, v1, v34
	v_mul_f32_e32 v5, v190, v15
	v_fma_f32 v3, v187, v12, -v3
	v_dual_mul_f32 v234, v197, v23 :: v_dual_mul_f32 v235, v199, v25
	v_add_f32_e32 v2, v2, v4
	v_dual_add_f32 v1, v1, v44 :: v_dual_mul_f32 v4, v192, v17
	v_fmac_f32_e32 v229, v188, v12
	v_fma_f32 v5, v189, v14, -v5
	s_delay_alu instid0(VALU_DEP_4) | instskip(NEXT) | instid1(VALU_DEP_4)
	v_add_f32_e32 v2, v2, v3
	v_add_f32_e32 v1, v1, v227
	v_mul_f32_e32 v3, v194, v19
	v_fma_f32 v4, v191, v16, -v4
	v_dual_mul_f32 v238, v205, v31 :: v_dual_mul_f32 v239, v207, v33
	s_delay_alu instid0(VALU_DEP_4) | instskip(SKIP_3) | instid1(VALU_DEP_4)
	v_dual_add_f32 v2, v2, v5 :: v_dual_add_f32 v1, v1, v228
	v_mul_f32_e32 v5, v196, v21
	v_fma_f32 v3, v193, v18, -v3
	v_dual_fmac_f32 v231, v192, v16 :: v_dual_fmac_f32 v234, v198, v22
	v_add_f32_e32 v2, v2, v4
	v_dual_mul_f32 v4, v198, v23 :: v_dual_add_f32 v1, v1, v229
	v_fma_f32 v5, v195, v20, -v5
	v_fmac_f32_e32 v238, v206, v30
	s_delay_alu instid0(VALU_DEP_4) | instskip(NEXT) | instid1(VALU_DEP_4)
	v_dual_add_f32 v2, v2, v3 :: v_dual_mul_f32 v3, v200, v25
	v_add_f32_e32 v1, v1, v230
	v_fma_f32 v4, v197, v22, -v4
	v_dual_mul_f32 v236, v201, v27 :: v_dual_mul_f32 v237, v203, v29
	s_delay_alu instid0(VALU_DEP_3) | instskip(SKIP_2) | instid1(VALU_DEP_4)
	v_dual_add_f32 v2, v2, v5 :: v_dual_add_f32 v1, v1, v231
	v_mul_f32_e32 v5, v202, v27
	v_fma_f32 v3, v199, v24, -v3
	v_dual_fmac_f32 v233, v196, v20 :: v_dual_fmac_f32 v236, v202, v26
	s_delay_alu instid0(VALU_DEP_4) | instskip(SKIP_3) | instid1(VALU_DEP_4)
	v_add_f32_e32 v2, v2, v4
	v_dual_add_f32 v1, v1, v232 :: v_dual_mul_f32 v4, v204, v29
	v_fma_f32 v5, v201, v26, -v5
	v_dual_mul_f32 v240, v209, v37 :: v_dual_mul_f32 v241, v211, v39
	v_dual_add_f32 v2, v2, v3 :: v_dual_fmac_f32 v235, v200, v24
	s_delay_alu instid0(VALU_DEP_4) | instskip(SKIP_1) | instid1(VALU_DEP_3)
	v_fma_f32 v4, v203, v28, -v4
	v_dual_mul_f32 v3, v206, v31 :: v_dual_mul_f32 v242, v213, v41
	v_dual_mul_f32 v243, v215, v43 :: v_dual_add_f32 v2, v2, v5
	v_add_f32_e32 v1, v1, v233
	s_delay_alu instid0(VALU_DEP_3) | instskip(SKIP_2) | instid1(VALU_DEP_4)
	v_fma_f32 v3, v205, v30, -v3
	v_fmac_f32_e32 v240, v210, v36
	v_dual_mul_f32 v245, v219, v172 :: v_dual_mul_f32 v246, v221, v174
	v_dual_add_f32 v2, v2, v4 :: v_dual_add_f32 v1, v1, v234
	v_dual_mul_f32 v4, v210, v37 :: v_dual_fmac_f32 v237, v204, v28
	s_delay_alu instid0(VALU_DEP_3) | instskip(NEXT) | instid1(VALU_DEP_3)
	v_dual_fmac_f32 v243, v216, v42 :: v_dual_fmac_f32 v246, v222, v173
	v_add_f32_e32 v1, v1, v235
	s_delay_alu instid0(VALU_DEP_3) | instskip(SKIP_3) | instid1(VALU_DEP_3)
	v_fma_f32 v4, v209, v36, -v4
	v_dual_mul_f32 v5, v208, v33 :: v_dual_add_f32 v2, v2, v3
	v_dual_fmac_f32 v242, v214, v40 :: v_dual_fmac_f32 v245, v220, v171
	v_fmac_f32_e32 v247, v224, v175
	v_fma_f32 v5, v207, v32, -v5
	v_dual_add_f32 v1, v1, v236 :: v_dual_fmac_f32 v244, v218, v169
	s_delay_alu instid0(VALU_DEP_2) | instskip(SKIP_1) | instid1(VALU_DEP_2)
	v_add_f32_e32 v2, v2, v5
	v_mul_f32_e32 v5, v214, v41
	v_dual_add_f32 v1, v1, v237 :: v_dual_add_f32 v2, v2, v4
	s_delay_alu instid0(VALU_DEP_2) | instskip(SKIP_1) | instid1(VALU_DEP_3)
	v_fma_f32 v5, v213, v40, -v5
	v_mul_f32_e32 v3, v212, v39
	v_dual_mul_f32 v4, v216, v43 :: v_dual_add_f32 v1, v1, v238
	s_delay_alu instid0(VALU_DEP_2) | instskip(SKIP_1) | instid1(VALU_DEP_3)
	v_fma_f32 v3, v211, v38, -v3
	v_fmac_f32_e32 v239, v208, v32
	v_fma_f32 v4, v215, v42, -v4
	s_delay_alu instid0(VALU_DEP_3) | instskip(NEXT) | instid1(VALU_DEP_3)
	v_add_f32_e32 v2, v2, v3
	v_add_f32_e32 v1, v1, v239
	v_mul_f32_e32 v3, v218, v170
	s_delay_alu instid0(VALU_DEP_3) | instskip(NEXT) | instid1(VALU_DEP_3)
	v_dual_add_f32 v2, v2, v5 :: v_dual_fmac_f32 v241, v212, v38
	v_add_f32_e32 v1, v1, v240
	s_delay_alu instid0(VALU_DEP_3) | instskip(NEXT) | instid1(VALU_DEP_3)
	v_fma_f32 v3, v217, v169, -v3
	v_add_f32_e32 v2, v2, v4
	s_delay_alu instid0(VALU_DEP_3) | instskip(NEXT) | instid1(VALU_DEP_2)
	v_dual_mul_f32 v4, v222, v174 :: v_dual_add_f32 v1, v1, v241
	v_dual_add_f32 v2, v2, v3 :: v_dual_mul_f32 v3, v224, v176
	s_delay_alu instid0(VALU_DEP_2) | instskip(NEXT) | instid1(VALU_DEP_2)
	v_fma_f32 v4, v221, v173, -v4
	v_fma_f32 v3, v223, v175, -v3
	v_mul_f32_e32 v5, v220, v172
	s_delay_alu instid0(VALU_DEP_1) | instskip(NEXT) | instid1(VALU_DEP_1)
	v_fma_f32 v5, v219, v171, -v5
	v_dual_add_f32 v1, v1, v242 :: v_dual_add_f32 v2, v2, v5
	s_delay_alu instid0(VALU_DEP_1) | instskip(NEXT) | instid1(VALU_DEP_1)
	v_dual_add_f32 v1, v1, v243 :: v_dual_add_f32 v2, v2, v4
	v_dual_add_f32 v1, v1, v244 :: v_dual_add_f32 v2, v2, v3
	s_delay_alu instid0(VALU_DEP_1) | instskip(NEXT) | instid1(VALU_DEP_1)
	v_add_f32_e32 v1, v1, v245
	v_add_f32_e32 v1, v1, v246
	s_delay_alu instid0(VALU_DEP_1) | instskip(SKIP_1) | instid1(VALU_DEP_1)
	v_add_f32_e32 v3, v1, v247
	s_wait_loadcnt 0x0
	v_dual_sub_f32 v1, v225, v2 :: v_dual_sub_f32 v2, v226, v3
	scratch_store_b64 off, v[1:2], off offset:296
	v_cmpx_lt_u32_e32 36, v0
	s_cbranch_execz .LBB61_313
; %bb.312:
	scratch_load_b64 v[1:2], off, off offset:288
	v_mov_b32_e32 v3, 0
	s_delay_alu instid0(VALU_DEP_1)
	v_mov_b32_e32 v4, v3
	scratch_store_b64 off, v[3:4], off offset:288
	s_wait_loadcnt 0x0
	ds_store_b64 v35, v[1:2]
.LBB61_313:
	s_wait_alu 0xfffe
	s_or_b32 exec_lo, exec_lo, s0
	s_wait_storecnt_dscnt 0x0
	s_barrier_signal -1
	s_barrier_wait -1
	global_inv scope:SCOPE_SE
	s_clause 0xd
	scratch_load_b128 v[2:5], off, off offset:296
	scratch_load_b128 v[6:9], off, off offset:312
	;; [unrolled: 1-line block ×12, first 2 shown]
	scratch_load_b64 v[225:226], off, off offset:488
	scratch_load_b64 v[227:228], off, off offset:288
	v_mov_b32_e32 v1, 0
	ds_load_2addr_b64 v[177:180], v1 offset0:99 offset1:100
	ds_load_2addr_b64 v[181:184], v1 offset0:101 offset1:102
	;; [unrolled: 1-line block ×12, first 2 shown]
	ds_load_b64 v[229:230], v1 offset:984
	s_mov_b32 s0, exec_lo
	s_wait_loadcnt_dscnt 0xd0c
	v_mul_f32_e32 v34, v177, v3
	s_wait_loadcnt_dscnt 0xc0b
	v_dual_mul_f32 v44, v179, v5 :: v_dual_mul_f32 v231, v181, v7
	v_mul_f32_e32 v5, v180, v5
	s_wait_loadcnt_dscnt 0xb0a
	v_dual_mul_f32 v232, v183, v9 :: v_dual_mul_f32 v233, v185, v11
	v_mul_f32_e32 v3, v178, v3
	v_fmac_f32_e32 v34, v178, v2
	v_dual_fmac_f32 v231, v182, v6 :: v_dual_mul_f32 v234, v187, v13
	s_wait_loadcnt_dscnt 0x302
	v_dual_mul_f32 v235, v189, v15 :: v_dual_mul_f32 v250, v219, v172
	v_fma_f32 v3, v177, v2, -v3
	s_wait_loadcnt_dscnt 0x100
	v_dual_mul_f32 v253, v229, v226 :: v_dual_mul_f32 v2, v182, v7
	v_fmac_f32_e32 v44, v180, v4
	v_fma_f32 v4, v179, v4, -v5
	v_add_f32_e32 v3, 0, v3
	v_dual_add_f32 v5, 0, v34 :: v_dual_fmac_f32 v232, v184, v8
	v_mul_f32_e32 v7, v184, v9
	v_fma_f32 v2, v181, v6, -v2
	s_delay_alu instid0(VALU_DEP_4) | instskip(NEXT) | instid1(VALU_DEP_4)
	v_add_f32_e32 v3, v3, v4
	v_dual_add_f32 v4, v5, v44 :: v_dual_mul_f32 v5, v186, v11
	s_delay_alu instid0(VALU_DEP_4) | instskip(SKIP_1) | instid1(VALU_DEP_4)
	v_fma_f32 v6, v183, v8, -v7
	v_dual_fmac_f32 v233, v186, v10 :: v_dual_fmac_f32 v234, v188, v12
	v_add_f32_e32 v2, v3, v2
	s_delay_alu instid0(VALU_DEP_4) | instskip(SKIP_2) | instid1(VALU_DEP_4)
	v_fma_f32 v5, v185, v10, -v5
	v_dual_mul_f32 v236, v191, v17 :: v_dual_mul_f32 v237, v193, v19
	v_fmac_f32_e32 v235, v190, v14
	v_dual_add_f32 v2, v2, v6 :: v_dual_add_f32 v3, v4, v231
	v_mul_f32_e32 v4, v188, v13
	v_mul_f32_e32 v6, v190, v15
	v_fmac_f32_e32 v236, v192, v16
	s_delay_alu instid0(VALU_DEP_4) | instskip(NEXT) | instid1(VALU_DEP_4)
	v_dual_add_f32 v2, v2, v5 :: v_dual_add_f32 v3, v3, v232
	v_fma_f32 v4, v187, v12, -v4
	v_mul_f32_e32 v5, v192, v17
	v_fma_f32 v6, v189, v14, -v6
	v_dual_mul_f32 v238, v195, v21 :: v_dual_mul_f32 v239, v197, v23
	s_delay_alu instid0(VALU_DEP_4) | instskip(SKIP_2) | instid1(VALU_DEP_4)
	v_dual_add_f32 v3, v3, v233 :: v_dual_add_f32 v2, v2, v4
	v_mul_f32_e32 v4, v194, v19
	v_fma_f32 v5, v191, v16, -v5
	v_dual_fmac_f32 v237, v194, v18 :: v_dual_fmac_f32 v238, v196, v20
	s_delay_alu instid0(VALU_DEP_4) | instskip(SKIP_4) | instid1(VALU_DEP_4)
	v_add_f32_e32 v3, v3, v234
	v_add_f32_e32 v2, v2, v6
	v_mul_f32_e32 v6, v196, v21
	v_fma_f32 v4, v193, v18, -v4
	v_dual_mul_f32 v240, v199, v25 :: v_dual_mul_f32 v241, v201, v27
	v_dual_add_f32 v3, v3, v235 :: v_dual_add_f32 v2, v2, v5
	v_mul_f32_e32 v5, v198, v23
	v_fma_f32 v6, v195, v20, -v6
	s_delay_alu instid0(VALU_DEP_4) | instskip(NEXT) | instid1(VALU_DEP_4)
	v_dual_fmac_f32 v239, v198, v22 :: v_dual_fmac_f32 v240, v200, v24
	v_add_f32_e32 v3, v3, v236
	v_add_f32_e32 v2, v2, v4
	v_mul_f32_e32 v4, v200, v25
	v_fma_f32 v5, v197, v22, -v5
	v_dual_mul_f32 v242, v203, v29 :: v_dual_mul_f32 v243, v205, v31
	v_add_f32_e32 v3, v3, v237
	s_delay_alu instid0(VALU_DEP_4) | instskip(NEXT) | instid1(VALU_DEP_3)
	v_fma_f32 v4, v199, v24, -v4
	v_dual_fmac_f32 v241, v202, v26 :: v_dual_fmac_f32 v242, v204, v28
	v_dual_mul_f32 v244, v207, v33 :: v_dual_mul_f32 v249, v217, v170
	s_delay_alu instid0(VALU_DEP_4) | instskip(SKIP_2) | instid1(VALU_DEP_4)
	v_add_f32_e32 v3, v3, v238
	v_add_f32_e32 v2, v2, v6
	v_mul_f32_e32 v6, v202, v27
	v_dual_fmac_f32 v243, v206, v30 :: v_dual_fmac_f32 v244, v208, v32
	s_delay_alu instid0(VALU_DEP_3) | instskip(NEXT) | instid1(VALU_DEP_3)
	v_dual_add_f32 v3, v3, v239 :: v_dual_add_f32 v2, v2, v5
	v_fma_f32 v6, v201, v26, -v6
	v_dual_mul_f32 v245, v209, v37 :: v_dual_mul_f32 v246, v211, v39
	s_delay_alu instid0(VALU_DEP_3) | instskip(NEXT) | instid1(VALU_DEP_4)
	v_add_f32_e32 v3, v3, v240
	v_dual_mul_f32 v5, v204, v29 :: v_dual_add_f32 v2, v2, v4
	v_mul_f32_e32 v4, v206, v31
	s_delay_alu instid0(VALU_DEP_4) | instskip(NEXT) | instid1(VALU_DEP_4)
	v_fmac_f32_e32 v245, v210, v36
	v_add_f32_e32 v3, v3, v241
	s_delay_alu instid0(VALU_DEP_4) | instskip(SKIP_2) | instid1(VALU_DEP_4)
	v_fma_f32 v5, v203, v28, -v5
	v_dual_mul_f32 v247, v213, v41 :: v_dual_mul_f32 v248, v215, v43
	v_fma_f32 v4, v205, v30, -v4
	v_add_f32_e32 v3, v3, v242
	v_add_f32_e32 v2, v2, v6
	v_mul_f32_e32 v6, v208, v33
	v_dual_fmac_f32 v246, v212, v38 :: v_dual_fmac_f32 v247, v214, v40
	s_delay_alu instid0(VALU_DEP_3) | instskip(SKIP_1) | instid1(VALU_DEP_4)
	v_dual_add_f32 v3, v3, v243 :: v_dual_add_f32 v2, v2, v5
	v_mul_f32_e32 v5, v210, v37
	v_fma_f32 v6, v207, v32, -v6
	v_dual_fmac_f32 v248, v216, v42 :: v_dual_fmac_f32 v249, v218, v169
	s_delay_alu instid0(VALU_DEP_4) | instskip(SKIP_4) | instid1(VALU_DEP_4)
	v_add_f32_e32 v3, v3, v244
	v_add_f32_e32 v2, v2, v4
	v_mul_f32_e32 v4, v212, v39
	v_fma_f32 v5, v209, v36, -v5
	v_dual_mul_f32 v251, v221, v174 :: v_dual_mul_f32 v252, v223, v176
	v_dual_add_f32 v2, v2, v6 :: v_dual_add_f32 v3, v3, v245
	s_delay_alu instid0(VALU_DEP_4) | instskip(SKIP_1) | instid1(VALU_DEP_4)
	v_fma_f32 v4, v211, v38, -v4
	v_mul_f32_e32 v6, v214, v41
	v_dual_fmac_f32 v250, v220, v171 :: v_dual_fmac_f32 v251, v222, v173
	s_delay_alu instid0(VALU_DEP_4) | instskip(SKIP_1) | instid1(VALU_DEP_4)
	v_dual_add_f32 v2, v2, v5 :: v_dual_add_f32 v3, v3, v246
	v_mul_f32_e32 v5, v216, v43
	v_fma_f32 v6, v213, v40, -v6
	v_fmac_f32_e32 v252, v224, v175
	s_delay_alu instid0(VALU_DEP_4) | instskip(SKIP_3) | instid1(VALU_DEP_4)
	v_dual_add_f32 v2, v2, v4 :: v_dual_add_f32 v3, v3, v247
	v_mul_f32_e32 v4, v218, v170
	v_fma_f32 v5, v215, v42, -v5
	v_fmac_f32_e32 v253, v230, v225
	v_dual_add_f32 v3, v3, v248 :: v_dual_add_f32 v2, v2, v6
	v_mul_f32_e32 v6, v220, v172
	v_fma_f32 v4, v217, v169, -v4
	s_delay_alu instid0(VALU_DEP_3) | instskip(NEXT) | instid1(VALU_DEP_4)
	v_add_f32_e32 v3, v3, v249
	v_add_f32_e32 v2, v2, v5
	v_mul_f32_e32 v5, v222, v174
	v_fma_f32 v6, v219, v171, -v6
	s_delay_alu instid0(VALU_DEP_3) | instskip(SKIP_1) | instid1(VALU_DEP_4)
	v_dual_add_f32 v3, v3, v250 :: v_dual_add_f32 v2, v2, v4
	v_mul_f32_e32 v4, v224, v176
	v_fma_f32 v5, v221, v173, -v5
	s_delay_alu instid0(VALU_DEP_3) | instskip(NEXT) | instid1(VALU_DEP_3)
	v_dual_add_f32 v3, v3, v251 :: v_dual_add_f32 v2, v2, v6
	v_fma_f32 v4, v223, v175, -v4
	s_delay_alu instid0(VALU_DEP_2) | instskip(NEXT) | instid1(VALU_DEP_1)
	v_dual_add_f32 v3, v3, v252 :: v_dual_mul_f32 v6, v230, v226
	v_add_f32_e32 v3, v3, v253
	s_delay_alu instid0(VALU_DEP_4) | instskip(NEXT) | instid1(VALU_DEP_3)
	v_add_f32_e32 v2, v2, v5
	v_fma_f32 v5, v229, v225, -v6
	s_wait_loadcnt 0x0
	s_delay_alu instid0(VALU_DEP_2) | instskip(NEXT) | instid1(VALU_DEP_1)
	v_dual_sub_f32 v3, v228, v3 :: v_dual_add_f32 v2, v2, v4
	v_add_f32_e32 v2, v2, v5
	s_delay_alu instid0(VALU_DEP_1)
	v_sub_f32_e32 v2, v227, v2
	scratch_store_b64 off, v[2:3], off offset:288
	v_cmpx_lt_u32_e32 35, v0
	s_cbranch_execz .LBB61_315
; %bb.314:
	scratch_load_b64 v[3:4], off, off offset:280
	v_mov_b32_e32 v2, v1
	scratch_store_b64 off, v[1:2], off offset:280
	s_wait_loadcnt 0x0
	ds_store_b64 v35, v[3:4]
.LBB61_315:
	s_wait_alu 0xfffe
	s_or_b32 exec_lo, exec_lo, s0
	s_wait_storecnt_dscnt 0x0
	s_barrier_signal -1
	s_barrier_wait -1
	global_inv scope:SCOPE_SE
	s_clause 0x4
	scratch_load_b128 v[2:5], off, off offset:288
	scratch_load_b128 v[6:9], off, off offset:304
	;; [unrolled: 1-line block ×5, first 2 shown]
	ds_load_b128 v[22:25], v1 offset:784
	ds_load_b128 v[26:29], v1 offset:800
	;; [unrolled: 1-line block ×3, first 2 shown]
	scratch_load_b64 v[36:37], off, off offset:280
	s_mov_b32 s0, exec_lo
	s_wait_loadcnt_dscnt 0x502
	v_dual_mul_f32 v34, v23, v3 :: v_dual_mul_f32 v39, v24, v5
	v_dual_mul_f32 v38, v22, v3 :: v_dual_mul_f32 v3, v25, v5
	s_wait_loadcnt_dscnt 0x300
	v_mul_f32_e32 v40, v32, v13
	s_delay_alu instid0(VALU_DEP_3) | instskip(NEXT) | instid1(VALU_DEP_3)
	v_fma_f32 v22, v22, v2, -v34
	v_dual_fmac_f32 v39, v25, v4 :: v_dual_fmac_f32 v38, v23, v2
	v_fma_f32 v23, v24, v4, -v3
	ds_load_b128 v[2:5], v1 offset:832
	v_dual_mul_f32 v24, v26, v7 :: v_dual_mul_f32 v25, v28, v9
	v_mul_f32_e32 v7, v27, v7
	v_dual_mul_f32 v9, v29, v9 :: v_dual_mul_f32 v34, v30, v11
	v_dual_mul_f32 v11, v31, v11 :: v_dual_fmac_f32 v40, v33, v12
	s_delay_alu instid0(VALU_DEP_4) | instskip(SKIP_1) | instid1(VALU_DEP_4)
	v_dual_mul_f32 v13, v33, v13 :: v_dual_fmac_f32 v24, v27, v6
	v_fmac_f32_e32 v25, v29, v8
	v_fma_f32 v27, v28, v8, -v9
	v_fmac_f32_e32 v34, v31, v10
	v_fma_f32 v28, v30, v10, -v11
	v_fma_f32 v29, v32, v12, -v13
	ds_load_b128 v[10:13], v1 offset:848
	v_fma_f32 v26, v26, v6, -v7
	scratch_load_b128 v[6:9], off, off offset:368
	s_wait_loadcnt_dscnt 0x301
	v_dual_mul_f32 v30, v2, v15 :: v_dual_mul_f32 v31, v4, v17
	v_mul_f32_e32 v15, v3, v15
	s_delay_alu instid0(VALU_DEP_2) | instskip(NEXT) | instid1(VALU_DEP_3)
	v_dual_mul_f32 v17, v5, v17 :: v_dual_fmac_f32 v30, v3, v14
	v_fmac_f32_e32 v31, v5, v16
	s_delay_alu instid0(VALU_DEP_2)
	v_fma_f32 v33, v4, v16, -v17
	s_wait_loadcnt_dscnt 0x200
	v_mul_f32_e32 v42, v12, v21
	v_fma_f32 v32, v2, v14, -v15
	v_mul_f32_e32 v41, v10, v19
	v_dual_mul_f32 v14, v11, v19 :: v_dual_mul_f32 v15, v13, v21
	ds_load_b128 v[2:5], v1 offset:864
	v_dual_fmac_f32 v42, v13, v20 :: v_dual_fmac_f32 v41, v11, v18
	v_fma_f32 v18, v10, v18, -v14
	v_fma_f32 v19, v12, v20, -v15
	scratch_load_b128 v[10:13], off, off offset:384
	s_wait_loadcnt_dscnt 0x100
	v_dual_mul_f32 v44, v4, v9 :: v_dual_mul_f32 v43, v2, v7
	v_mul_f32_e32 v7, v3, v7
	v_mul_f32_e32 v9, v5, v9
	s_delay_alu instid0(VALU_DEP_3) | instskip(NEXT) | instid1(VALU_DEP_3)
	v_dual_fmac_f32 v44, v5, v8 :: v_dual_fmac_f32 v43, v3, v6
	v_fma_f32 v169, v2, v6, -v7
	s_delay_alu instid0(VALU_DEP_3)
	v_fma_f32 v170, v4, v8, -v9
	ds_load_b128 v[2:5], v1 offset:880
	ds_load_b128 v[6:9], v1 offset:896
	s_wait_loadcnt_dscnt 0x1
	v_mul_f32_e32 v171, v2, v11
	v_dual_mul_f32 v11, v3, v11 :: v_dual_mul_f32 v172, v4, v13
	s_delay_alu instid0(VALU_DEP_1) | instskip(NEXT) | instid1(VALU_DEP_3)
	v_fma_f32 v173, v2, v10, -v11
	v_dual_mul_f32 v2, v5, v13 :: v_dual_fmac_f32 v171, v3, v10
	s_delay_alu instid0(VALU_DEP_3) | instskip(NEXT) | instid1(VALU_DEP_2)
	v_fmac_f32_e32 v172, v5, v12
	v_fma_f32 v174, v4, v12, -v2
	s_clause 0x1
	scratch_load_b128 v[2:5], off, off offset:400
	scratch_load_b128 v[10:13], off, off offset:416
	s_wait_loadcnt_dscnt 0x100
	v_mul_f32_e32 v175, v6, v3
	v_mul_f32_e32 v3, v7, v3
	s_delay_alu instid0(VALU_DEP_1) | instskip(SKIP_1) | instid1(VALU_DEP_1)
	v_fma_f32 v176, v6, v2, -v3
	v_add_f32_e32 v3, 0, v38
	v_dual_mul_f32 v177, v8, v5 :: v_dual_add_f32 v6, v3, v39
	s_delay_alu instid0(VALU_DEP_1) | instskip(NEXT) | instid1(VALU_DEP_2)
	v_fmac_f32_e32 v177, v9, v4
	v_dual_add_f32 v14, v6, v24 :: v_dual_fmac_f32 v175, v7, v2
	v_mul_f32_e32 v2, v9, v5
	s_delay_alu instid0(VALU_DEP_2) | instskip(NEXT) | instid1(VALU_DEP_2)
	v_add_f32_e32 v14, v14, v25
	v_fma_f32 v178, v8, v4, -v2
	v_add_f32_e32 v2, 0, v22
	s_delay_alu instid0(VALU_DEP_3) | instskip(NEXT) | instid1(VALU_DEP_2)
	v_add_f32_e32 v14, v14, v34
	v_add_f32_e32 v2, v2, v23
	s_delay_alu instid0(VALU_DEP_1)
	v_add_f32_e32 v7, v2, v26
	ds_load_b128 v[2:5], v1 offset:912
	v_add_f32_e32 v21, v14, v40
	v_add_f32_e32 v15, v7, v27
	scratch_load_b128 v[6:9], off, off offset:432
	v_add_f32_e32 v21, v21, v30
	s_delay_alu instid0(VALU_DEP_1) | instskip(NEXT) | instid1(VALU_DEP_1)
	v_add_f32_e32 v21, v21, v31
	v_dual_add_f32 v15, v15, v28 :: v_dual_add_f32 v22, v21, v41
	s_delay_alu instid0(VALU_DEP_1)
	v_add_f32_e32 v20, v15, v29
	ds_load_b128 v[14:17], v1 offset:928
	s_wait_loadcnt_dscnt 0x101
	v_mul_f32_e32 v26, v2, v11
	v_dual_mul_f32 v11, v3, v11 :: v_dual_add_f32 v22, v22, v42
	v_add_f32_e32 v20, v20, v32
	v_mul_f32_e32 v27, v4, v13
	s_delay_alu instid0(VALU_DEP_4) | instskip(NEXT) | instid1(VALU_DEP_4)
	v_dual_mul_f32 v13, v5, v13 :: v_dual_fmac_f32 v26, v3, v10
	v_fma_f32 v28, v2, v10, -v11
	s_delay_alu instid0(VALU_DEP_4) | instskip(SKIP_1) | instid1(VALU_DEP_4)
	v_add_f32_e32 v20, v20, v33
	v_add_f32_e32 v22, v22, v43
	v_fma_f32 v29, v4, v12, -v13
	s_delay_alu instid0(VALU_DEP_3) | instskip(NEXT) | instid1(VALU_DEP_1)
	v_add_f32_e32 v18, v20, v18
	v_add_f32_e32 v23, v18, v19
	scratch_load_b128 v[18:21], off, off offset:480
	v_add_f32_e32 v23, v23, v169
	s_delay_alu instid0(VALU_DEP_1)
	v_add_f32_e32 v23, v23, v170
	v_fmac_f32_e32 v27, v5, v12
	s_clause 0x1
	scratch_load_b128 v[2:5], off, off offset:448
	scratch_load_b128 v[10:13], off, off offset:464
	s_wait_loadcnt_dscnt 0x300
	v_mul_f32_e32 v30, v14, v7
	v_mul_f32_e32 v7, v15, v7
	s_delay_alu instid0(VALU_DEP_2) | instskip(NEXT) | instid1(VALU_DEP_2)
	v_fmac_f32_e32 v30, v15, v6
	v_fma_f32 v32, v14, v6, -v7
	v_add_f32_e32 v14, v22, v44
	s_delay_alu instid0(VALU_DEP_1) | instskip(SKIP_1) | instid1(VALU_DEP_2)
	v_dual_add_f32 v22, v23, v173 :: v_dual_add_f32 v23, v14, v171
	v_mul_f32_e32 v31, v16, v9
	v_dual_mul_f32 v9, v17, v9 :: v_dual_add_f32 v34, v22, v174
	s_delay_alu instid0(VALU_DEP_3) | instskip(NEXT) | instid1(VALU_DEP_3)
	v_add_f32_e32 v38, v23, v172
	v_fmac_f32_e32 v31, v17, v8
	s_delay_alu instid0(VALU_DEP_3)
	v_fma_f32 v33, v16, v8, -v9
	ds_load_b128 v[6:9], v1 offset:944
	ds_load_b128 v[14:17], v1 offset:960
	;; [unrolled: 1-line block ×3, first 2 shown]
	v_add_f32_e32 v1, v34, v176
	v_add_f32_e32 v34, v38, v175
	s_delay_alu instid0(VALU_DEP_1) | instskip(NEXT) | instid1(VALU_DEP_1)
	v_add_f32_e32 v34, v34, v177
	v_add_f32_e32 v26, v34, v26
	s_delay_alu instid0(VALU_DEP_1) | instskip(NEXT) | instid1(VALU_DEP_1)
	v_add_f32_e32 v26, v26, v27
	v_add_f32_e32 v26, v26, v30
	s_wait_loadcnt_dscnt 0x102
	v_mul_f32_e32 v38, v6, v3
	s_wait_loadcnt_dscnt 0x1
	v_dual_mul_f32 v34, v14, v11 :: v_dual_mul_f32 v39, v16, v13
	s_delay_alu instid0(VALU_DEP_2) | instskip(SKIP_1) | instid1(VALU_DEP_3)
	v_fmac_f32_e32 v38, v7, v2
	v_mul_f32_e32 v3, v7, v3
	v_fmac_f32_e32 v34, v15, v10
	s_delay_alu instid0(VALU_DEP_2) | instskip(SKIP_1) | instid1(VALU_DEP_1)
	v_fma_f32 v3, v6, v2, -v3
	v_dual_mul_f32 v6, v15, v11 :: v_dual_add_f32 v1, v1, v178
	v_dual_add_f32 v2, v26, v31 :: v_dual_add_f32 v1, v1, v28
	s_wait_dscnt 0x0
	v_dual_mul_f32 v28, v8, v5 :: v_dual_mul_f32 v27, v22, v19
	s_delay_alu instid0(VALU_DEP_2) | instskip(NEXT) | instid1(VALU_DEP_3)
	v_dual_add_f32 v2, v2, v38 :: v_dual_mul_f32 v5, v9, v5
	v_add_f32_e32 v1, v1, v29
	s_delay_alu instid0(VALU_DEP_3) | instskip(NEXT) | instid1(VALU_DEP_3)
	v_dual_fmac_f32 v28, v9, v4 :: v_dual_mul_f32 v29, v24, v21
	v_fma_f32 v4, v8, v4, -v5
	s_delay_alu instid0(VALU_DEP_3) | instskip(NEXT) | instid1(VALU_DEP_3)
	v_add_f32_e32 v1, v1, v32
	v_add_f32_e32 v2, v2, v28
	s_delay_alu instid0(VALU_DEP_4) | instskip(SKIP_1) | instid1(VALU_DEP_3)
	v_fmac_f32_e32 v29, v25, v20
	v_fma_f32 v5, v14, v10, -v6
	v_dual_add_f32 v1, v1, v33 :: v_dual_add_f32 v2, v2, v34
	v_fmac_f32_e32 v27, v23, v18
	v_fmac_f32_e32 v39, v17, v12
	s_delay_alu instid0(VALU_DEP_1) | instskip(NEXT) | instid1(VALU_DEP_1)
	v_add_f32_e32 v2, v2, v39
	v_add_f32_e32 v2, v2, v27
	;; [unrolled: 1-line block ×3, first 2 shown]
	v_mul_f32_e32 v3, v17, v13
	s_delay_alu instid0(VALU_DEP_2) | instskip(SKIP_1) | instid1(VALU_DEP_3)
	v_dual_add_f32 v2, v2, v29 :: v_dual_add_f32 v1, v1, v4
	v_mul_f32_e32 v4, v23, v19
	v_fma_f32 v3, v16, v12, -v3
	s_delay_alu instid0(VALU_DEP_3) | instskip(NEXT) | instid1(VALU_DEP_4)
	v_sub_f32_e32 v2, v37, v2
	v_add_f32_e32 v1, v1, v5
	v_mul_f32_e32 v5, v25, v21
	v_fma_f32 v4, v22, v18, -v4
	s_delay_alu instid0(VALU_DEP_3) | instskip(NEXT) | instid1(VALU_DEP_3)
	v_add_f32_e32 v1, v1, v3
	v_fma_f32 v3, v24, v20, -v5
	s_delay_alu instid0(VALU_DEP_2) | instskip(NEXT) | instid1(VALU_DEP_1)
	v_add_f32_e32 v1, v1, v4
	v_add_f32_e32 v1, v1, v3
	s_delay_alu instid0(VALU_DEP_1)
	v_sub_f32_e32 v1, v36, v1
	scratch_store_b64 off, v[1:2], off offset:280
	v_cmpx_lt_u32_e32 34, v0
	s_cbranch_execz .LBB61_317
; %bb.316:
	scratch_load_b64 v[1:2], off, off offset:272
	v_mov_b32_e32 v3, 0
	s_delay_alu instid0(VALU_DEP_1)
	v_mov_b32_e32 v4, v3
	scratch_store_b64 off, v[3:4], off offset:272
	s_wait_loadcnt 0x0
	ds_store_b64 v35, v[1:2]
.LBB61_317:
	s_wait_alu 0xfffe
	s_or_b32 exec_lo, exec_lo, s0
	s_wait_storecnt_dscnt 0x0
	s_barrier_signal -1
	s_barrier_wait -1
	global_inv scope:SCOPE_SE
	s_clause 0x4
	scratch_load_b128 v[2:5], off, off offset:280
	scratch_load_b128 v[6:9], off, off offset:296
	;; [unrolled: 1-line block ×5, first 2 shown]
	v_mov_b32_e32 v1, 0
	ds_load_2addr_b64 v[22:25], v1 offset0:97 offset1:98
	ds_load_2addr_b64 v[26:29], v1 offset0:99 offset1:100
	;; [unrolled: 1-line block ×3, first 2 shown]
	scratch_load_b64 v[36:37], off, off offset:272
	s_mov_b32 s0, exec_lo
	s_wait_loadcnt_dscnt 0x502
	v_mul_f32_e32 v34, v23, v3
	v_dual_mul_f32 v38, v22, v3 :: v_dual_mul_f32 v39, v24, v5
	v_mul_f32_e32 v3, v25, v5
	s_wait_loadcnt_dscnt 0x300
	v_mul_f32_e32 v40, v32, v13
	v_fma_f32 v22, v22, v2, -v34
	v_dual_fmac_f32 v38, v23, v2 :: v_dual_fmac_f32 v39, v25, v4
	v_fma_f32 v23, v24, v4, -v3
	v_mul_f32_e32 v24, v26, v7
	v_mul_f32_e32 v7, v27, v7
	v_dual_mul_f32 v25, v28, v9 :: v_dual_mul_f32 v34, v30, v11
	s_delay_alu instid0(VALU_DEP_3) | instskip(NEXT) | instid1(VALU_DEP_3)
	v_dual_mul_f32 v9, v29, v9 :: v_dual_fmac_f32 v24, v27, v6
	v_fma_f32 v26, v26, v6, -v7
	s_delay_alu instid0(VALU_DEP_3) | instskip(NEXT) | instid1(VALU_DEP_3)
	v_dual_fmac_f32 v25, v29, v8 :: v_dual_fmac_f32 v34, v31, v10
	v_fma_f32 v27, v28, v8, -v9
	scratch_load_b128 v[6:9], off, off offset:360
	ds_load_2addr_b64 v[2:5], v1 offset0:103 offset1:104
	v_dual_mul_f32 v11, v31, v11 :: v_dual_fmac_f32 v40, v33, v12
	v_mul_f32_e32 v13, v33, v13
	s_delay_alu instid0(VALU_DEP_2) | instskip(NEXT) | instid1(VALU_DEP_2)
	v_fma_f32 v28, v30, v10, -v11
	v_fma_f32 v29, v32, v12, -v13
	ds_load_2addr_b64 v[10:13], v1 offset0:105 offset1:106
	s_wait_loadcnt_dscnt 0x301
	v_mul_f32_e32 v30, v2, v15
	v_mul_f32_e32 v15, v3, v15
	;; [unrolled: 1-line block ×3, first 2 shown]
	s_delay_alu instid0(VALU_DEP_3) | instskip(SKIP_1) | instid1(VALU_DEP_2)
	v_dual_mul_f32 v17, v5, v17 :: v_dual_fmac_f32 v30, v3, v14
	s_wait_loadcnt_dscnt 0x200
	v_dual_fmac_f32 v31, v5, v16 :: v_dual_mul_f32 v42, v12, v21
	v_fma_f32 v32, v2, v14, -v15
	v_mul_f32_e32 v14, v11, v19
	v_fma_f32 v33, v4, v16, -v17
	ds_load_2addr_b64 v[2:5], v1 offset0:107 offset1:108
	v_dual_mul_f32 v41, v10, v19 :: v_dual_fmac_f32 v42, v13, v20
	v_mul_f32_e32 v15, v13, v21
	s_delay_alu instid0(VALU_DEP_1) | instskip(SKIP_1) | instid1(VALU_DEP_3)
	v_fma_f32 v19, v12, v20, -v15
	s_wait_loadcnt_dscnt 0x0
	v_dual_mul_f32 v44, v4, v9 :: v_dual_fmac_f32 v41, v11, v18
	v_fma_f32 v18, v10, v18, -v14
	scratch_load_b128 v[10:13], off, off offset:376
	v_mul_f32_e32 v43, v2, v7
	v_mul_f32_e32 v7, v3, v7
	;; [unrolled: 1-line block ×3, first 2 shown]
	s_delay_alu instid0(VALU_DEP_3) | instskip(NEXT) | instid1(VALU_DEP_3)
	v_dual_fmac_f32 v44, v5, v8 :: v_dual_fmac_f32 v43, v3, v6
	v_fma_f32 v169, v2, v6, -v7
	s_delay_alu instid0(VALU_DEP_3)
	v_fma_f32 v170, v4, v8, -v9
	ds_load_2addr_b64 v[2:5], v1 offset0:109 offset1:110
	ds_load_2addr_b64 v[6:9], v1 offset0:111 offset1:112
	s_wait_loadcnt_dscnt 0x1
	v_mul_f32_e32 v171, v2, v11
	v_dual_mul_f32 v11, v3, v11 :: v_dual_mul_f32 v172, v4, v13
	s_delay_alu instid0(VALU_DEP_2) | instskip(NEXT) | instid1(VALU_DEP_2)
	v_fmac_f32_e32 v171, v3, v10
	v_fma_f32 v173, v2, v10, -v11
	v_mul_f32_e32 v2, v5, v13
	s_delay_alu instid0(VALU_DEP_4) | instskip(NEXT) | instid1(VALU_DEP_2)
	v_fmac_f32_e32 v172, v5, v12
	v_fma_f32 v174, v4, v12, -v2
	s_clause 0x1
	scratch_load_b128 v[2:5], off, off offset:392
	scratch_load_b128 v[10:13], off, off offset:408
	s_wait_loadcnt_dscnt 0x100
	v_mul_f32_e32 v175, v6, v3
	v_mul_f32_e32 v3, v7, v3
	s_delay_alu instid0(VALU_DEP_2) | instskip(NEXT) | instid1(VALU_DEP_2)
	v_fmac_f32_e32 v175, v7, v2
	v_fma_f32 v176, v6, v2, -v3
	v_dual_mul_f32 v2, v9, v5 :: v_dual_add_f32 v3, 0, v38
	v_mul_f32_e32 v177, v8, v5
	s_delay_alu instid0(VALU_DEP_2) | instskip(SKIP_1) | instid1(VALU_DEP_3)
	v_fma_f32 v178, v8, v4, -v2
	v_add_f32_e32 v2, 0, v22
	v_dual_add_f32 v6, v3, v39 :: v_dual_fmac_f32 v177, v9, v4
	s_delay_alu instid0(VALU_DEP_2) | instskip(NEXT) | instid1(VALU_DEP_2)
	v_add_f32_e32 v2, v2, v23
	v_add_f32_e32 v14, v6, v24
	s_delay_alu instid0(VALU_DEP_2)
	v_add_f32_e32 v7, v2, v26
	scratch_load_b128 v[2:5], off, off offset:424
	v_dual_add_f32 v14, v14, v25 :: v_dual_add_f32 v15, v7, v27
	ds_load_2addr_b64 v[6:9], v1 offset0:113 offset1:114
	v_add_f32_e32 v14, v14, v34
	scratch_load_b64 v[26:27], off, off offset:488
	v_add_f32_e32 v15, v15, v28
	s_delay_alu instid0(VALU_DEP_1) | instskip(SKIP_2) | instid1(VALU_DEP_1)
	v_dual_add_f32 v21, v14, v40 :: v_dual_add_f32 v20, v15, v29
	ds_load_2addr_b64 v[14:17], v1 offset0:115 offset1:116
	v_add_f32_e32 v20, v20, v32
	v_add_f32_e32 v20, v20, v33
	s_wait_loadcnt_dscnt 0x201
	v_mul_f32_e32 v32, v6, v11
	s_delay_alu instid0(VALU_DEP_2) | instskip(NEXT) | instid1(VALU_DEP_2)
	v_add_f32_e32 v18, v20, v18
	v_fmac_f32_e32 v32, v7, v10
	v_dual_add_f32 v21, v21, v30 :: v_dual_mul_f32 v30, v8, v13
	s_delay_alu instid0(VALU_DEP_1) | instskip(NEXT) | instid1(VALU_DEP_2)
	v_add_f32_e32 v21, v21, v31
	v_dual_mul_f32 v11, v7, v11 :: v_dual_fmac_f32 v30, v9, v12
	s_delay_alu instid0(VALU_DEP_2) | instskip(SKIP_1) | instid1(VALU_DEP_3)
	v_add_f32_e32 v22, v21, v41
	v_mul_f32_e32 v13, v9, v13
	v_fma_f32 v33, v6, v10, -v11
	s_delay_alu instid0(VALU_DEP_3) | instskip(NEXT) | instid1(VALU_DEP_3)
	v_add_f32_e32 v22, v22, v42
	v_fma_f32 v34, v8, v12, -v13
	s_clause 0x1
	scratch_load_b128 v[6:9], off, off offset:440
	scratch_load_b128 v[10:13], off, off offset:456
	v_add_f32_e32 v23, v18, v19
	scratch_load_b128 v[18:21], off, off offset:472
	v_add_f32_e32 v22, v22, v43
	s_delay_alu instid0(VALU_DEP_1) | instskip(SKIP_4) | instid1(VALU_DEP_2)
	v_add_f32_e32 v22, v22, v44
	s_wait_loadcnt_dscnt 0x400
	v_mul_f32_e32 v31, v14, v3
	v_dual_mul_f32 v3, v15, v3 :: v_dual_mul_f32 v38, v16, v5
	v_add_f32_e32 v23, v23, v169
	v_fma_f32 v39, v14, v2, -v3
	s_delay_alu instid0(VALU_DEP_2) | instskip(SKIP_1) | instid1(VALU_DEP_1)
	v_dual_fmac_f32 v38, v17, v4 :: v_dual_add_f32 v23, v23, v170
	v_add_f32_e32 v14, v22, v171
	v_add_f32_e32 v22, v14, v172
	s_delay_alu instid0(VALU_DEP_1) | instskip(NEXT) | instid1(VALU_DEP_1)
	v_add_f32_e32 v29, v22, v175
	v_dual_fmac_f32 v31, v15, v2 :: v_dual_add_f32 v42, v29, v177
	s_delay_alu instid0(VALU_DEP_1) | instskip(NEXT) | instid1(VALU_DEP_1)
	v_dual_add_f32 v23, v23, v173 :: v_dual_add_f32 v32, v42, v32
	v_dual_mul_f32 v5, v17, v5 :: v_dual_add_f32 v30, v32, v30
	s_delay_alu instid0(VALU_DEP_1)
	v_fma_f32 v40, v16, v4, -v5
	ds_load_2addr_b64 v[2:5], v1 offset0:117 offset1:118
	v_add_f32_e32 v15, v23, v174
	ds_load_2addr_b64 v[22:25], v1 offset0:121 offset1:122
	v_add_f32_e32 v30, v30, v31
	v_add_f32_e32 v28, v15, v176
	ds_load_2addr_b64 v[14:17], v1 offset0:119 offset1:120
	v_add_f32_e32 v30, v30, v38
	v_add_f32_e32 v41, v28, v178
	ds_load_b64 v[28:29], v1 offset:984
	v_add_f32_e32 v33, v41, v33
	s_wait_loadcnt_dscnt 0x203
	s_delay_alu instid0(VALU_DEP_1) | instskip(SKIP_3) | instid1(VALU_DEP_4)
	v_dual_mul_f32 v32, v4, v9 :: v_dual_add_f32 v33, v33, v34
	v_mul_f32_e32 v41, v2, v7
	v_mul_f32_e32 v7, v3, v7
	;; [unrolled: 1-line block ×3, first 2 shown]
	v_fmac_f32_e32 v32, v5, v8
	s_wait_loadcnt_dscnt 0x101
	v_mul_f32_e32 v34, v14, v11
	v_fma_f32 v2, v2, v6, -v7
	v_fmac_f32_e32 v41, v3, v6
	v_fma_f32 v3, v4, v8, -v9
	v_mul_f32_e32 v4, v15, v11
	s_wait_dscnt 0x0
	v_mul_f32_e32 v38, v28, v27
	v_dual_add_f32 v33, v33, v39 :: v_dual_fmac_f32 v34, v15, v10
	s_wait_loadcnt 0x0
	v_dual_mul_f32 v39, v22, v19 :: v_dual_mul_f32 v6, v17, v13
	v_fma_f32 v4, v14, v10, -v4
	s_delay_alu instid0(VALU_DEP_3)
	v_add_f32_e32 v33, v33, v40
	v_mul_f32_e32 v31, v16, v13
	v_mul_f32_e32 v40, v24, v21
	v_fma_f32 v6, v16, v12, -v6
	v_fmac_f32_e32 v38, v29, v26
	v_add_f32_e32 v2, v33, v2
	s_delay_alu instid0(VALU_DEP_4) | instskip(NEXT) | instid1(VALU_DEP_2)
	v_fmac_f32_e32 v40, v25, v20
	v_add_f32_e32 v2, v2, v3
	s_delay_alu instid0(VALU_DEP_1) | instskip(SKIP_3) | instid1(VALU_DEP_4)
	v_add_f32_e32 v2, v2, v4
	v_add_f32_e32 v5, v30, v41
	v_fmac_f32_e32 v31, v17, v12
	v_mul_f32_e32 v4, v25, v21
	v_add_f32_e32 v2, v2, v6
	v_mul_f32_e32 v6, v29, v27
	v_add_f32_e32 v3, v5, v32
	v_mul_f32_e32 v5, v23, v19
	v_fma_f32 v4, v24, v20, -v4
	s_delay_alu instid0(VALU_DEP_2) | instskip(NEXT) | instid1(VALU_DEP_1)
	v_fma_f32 v5, v22, v18, -v5
	v_dual_add_f32 v2, v2, v5 :: v_dual_add_f32 v3, v3, v34
	v_fmac_f32_e32 v39, v23, v18
	v_fma_f32 v5, v28, v26, -v6
	s_delay_alu instid0(VALU_DEP_3) | instskip(NEXT) | instid1(VALU_DEP_1)
	v_dual_add_f32 v2, v2, v4 :: v_dual_add_f32 v3, v3, v31
	v_dual_add_f32 v2, v2, v5 :: v_dual_add_f32 v3, v3, v39
	s_delay_alu instid0(VALU_DEP_1) | instskip(NEXT) | instid1(VALU_DEP_1)
	v_dual_sub_f32 v2, v36, v2 :: v_dual_add_f32 v3, v3, v40
	v_add_f32_e32 v3, v3, v38
	s_delay_alu instid0(VALU_DEP_1)
	v_sub_f32_e32 v3, v37, v3
	scratch_store_b64 off, v[2:3], off offset:272
	v_cmpx_lt_u32_e32 33, v0
	s_cbranch_execz .LBB61_319
; %bb.318:
	scratch_load_b64 v[3:4], off, off offset:264
	v_mov_b32_e32 v2, v1
	scratch_store_b64 off, v[1:2], off offset:264
	s_wait_loadcnt 0x0
	ds_store_b64 v35, v[3:4]
.LBB61_319:
	s_wait_alu 0xfffe
	s_or_b32 exec_lo, exec_lo, s0
	s_wait_storecnt_dscnt 0x0
	s_barrier_signal -1
	s_barrier_wait -1
	global_inv scope:SCOPE_SE
	s_clause 0x4
	scratch_load_b128 v[2:5], off, off offset:272
	scratch_load_b128 v[6:9], off, off offset:288
	;; [unrolled: 1-line block ×5, first 2 shown]
	ds_load_b128 v[22:25], v1 offset:768
	ds_load_b128 v[26:29], v1 offset:784
	;; [unrolled: 1-line block ×3, first 2 shown]
	scratch_load_b64 v[36:37], off, off offset:264
	s_mov_b32 s0, exec_lo
	s_wait_loadcnt_dscnt 0x502
	v_dual_mul_f32 v34, v23, v3 :: v_dual_mul_f32 v39, v24, v5
	v_dual_mul_f32 v38, v22, v3 :: v_dual_mul_f32 v3, v25, v5
	s_wait_loadcnt_dscnt 0x300
	v_mul_f32_e32 v40, v32, v13
	s_delay_alu instid0(VALU_DEP_3) | instskip(NEXT) | instid1(VALU_DEP_3)
	v_fma_f32 v22, v22, v2, -v34
	v_dual_fmac_f32 v39, v25, v4 :: v_dual_fmac_f32 v38, v23, v2
	v_fma_f32 v23, v24, v4, -v3
	ds_load_b128 v[2:5], v1 offset:816
	v_dual_mul_f32 v24, v26, v7 :: v_dual_mul_f32 v25, v28, v9
	v_mul_f32_e32 v7, v27, v7
	v_dual_mul_f32 v9, v29, v9 :: v_dual_mul_f32 v34, v30, v11
	v_dual_mul_f32 v11, v31, v11 :: v_dual_fmac_f32 v40, v33, v12
	s_delay_alu instid0(VALU_DEP_4) | instskip(SKIP_1) | instid1(VALU_DEP_4)
	v_dual_mul_f32 v13, v33, v13 :: v_dual_fmac_f32 v24, v27, v6
	v_fmac_f32_e32 v25, v29, v8
	v_fma_f32 v27, v28, v8, -v9
	v_fmac_f32_e32 v34, v31, v10
	v_fma_f32 v28, v30, v10, -v11
	v_fma_f32 v29, v32, v12, -v13
	ds_load_b128 v[10:13], v1 offset:832
	v_fma_f32 v26, v26, v6, -v7
	scratch_load_b128 v[6:9], off, off offset:352
	s_wait_loadcnt_dscnt 0x301
	v_dual_mul_f32 v30, v2, v15 :: v_dual_mul_f32 v31, v4, v17
	v_mul_f32_e32 v15, v3, v15
	s_delay_alu instid0(VALU_DEP_2) | instskip(NEXT) | instid1(VALU_DEP_3)
	v_dual_mul_f32 v17, v5, v17 :: v_dual_fmac_f32 v30, v3, v14
	v_fmac_f32_e32 v31, v5, v16
	s_delay_alu instid0(VALU_DEP_3) | instskip(NEXT) | instid1(VALU_DEP_3)
	v_fma_f32 v14, v2, v14, -v15
	v_fma_f32 v15, v4, v16, -v17
	ds_load_b128 v[2:5], v1 offset:848
	s_wait_loadcnt_dscnt 0x201
	v_mul_f32_e32 v16, v10, v19
	v_mul_f32_e32 v17, v11, v19
	v_mul_f32_e32 v19, v12, v21
	s_delay_alu instid0(VALU_DEP_3) | instskip(NEXT) | instid1(VALU_DEP_3)
	v_dual_mul_f32 v21, v13, v21 :: v_dual_fmac_f32 v16, v11, v18
	v_fma_f32 v17, v10, v18, -v17
	s_delay_alu instid0(VALU_DEP_3) | instskip(NEXT) | instid1(VALU_DEP_3)
	v_fmac_f32_e32 v19, v13, v20
	v_fma_f32 v18, v12, v20, -v21
	scratch_load_b128 v[10:13], off, off offset:368
	s_wait_loadcnt_dscnt 0x100
	v_mul_f32_e32 v20, v2, v7
	v_mul_f32_e32 v7, v3, v7
	;; [unrolled: 1-line block ×3, first 2 shown]
	s_delay_alu instid0(VALU_DEP_3) | instskip(NEXT) | instid1(VALU_DEP_3)
	v_dual_mul_f32 v9, v5, v9 :: v_dual_fmac_f32 v20, v3, v6
	v_fma_f32 v32, v2, v6, -v7
	s_delay_alu instid0(VALU_DEP_3) | instskip(NEXT) | instid1(VALU_DEP_3)
	v_fmac_f32_e32 v21, v5, v8
	v_fma_f32 v33, v4, v8, -v9
	ds_load_b128 v[2:5], v1 offset:864
	ds_load_b128 v[6:9], v1 offset:880
	s_wait_loadcnt_dscnt 0x1
	v_mul_f32_e32 v41, v2, v11
	v_dual_mul_f32 v11, v3, v11 :: v_dual_mul_f32 v42, v4, v13
	s_delay_alu instid0(VALU_DEP_2) | instskip(NEXT) | instid1(VALU_DEP_2)
	v_fmac_f32_e32 v41, v3, v10
	v_fma_f32 v43, v2, v10, -v11
	v_mul_f32_e32 v2, v5, v13
	s_delay_alu instid0(VALU_DEP_4) | instskip(NEXT) | instid1(VALU_DEP_2)
	v_fmac_f32_e32 v42, v5, v12
	v_fma_f32 v44, v4, v12, -v2
	s_clause 0x1
	scratch_load_b128 v[2:5], off, off offset:384
	scratch_load_b128 v[10:13], off, off offset:400
	s_wait_loadcnt_dscnt 0x100
	v_mul_f32_e32 v169, v6, v3
	v_mul_f32_e32 v3, v7, v3
	;; [unrolled: 1-line block ×3, first 2 shown]
	s_delay_alu instid0(VALU_DEP_3) | instskip(NEXT) | instid1(VALU_DEP_3)
	v_fmac_f32_e32 v169, v7, v2
	v_fma_f32 v170, v6, v2, -v3
	v_mul_f32_e32 v2, v9, v5
	s_delay_alu instid0(VALU_DEP_4) | instskip(NEXT) | instid1(VALU_DEP_2)
	v_fmac_f32_e32 v171, v9, v4
	v_fma_f32 v172, v8, v4, -v2
	ds_load_b128 v[2:5], v1 offset:896
	ds_load_b128 v[6:9], v1 offset:912
	s_wait_loadcnt_dscnt 0x1
	v_mul_f32_e32 v173, v2, v11
	v_mul_f32_e32 v175, v4, v13
	s_delay_alu instid0(VALU_DEP_2) | instskip(SKIP_1) | instid1(VALU_DEP_3)
	v_fmac_f32_e32 v173, v3, v10
	v_mul_f32_e32 v3, v3, v11
	v_fmac_f32_e32 v175, v5, v12
	s_delay_alu instid0(VALU_DEP_2) | instskip(SKIP_1) | instid1(VALU_DEP_1)
	v_fma_f32 v174, v2, v10, -v3
	v_mul_f32_e32 v2, v5, v13
	v_fma_f32 v176, v4, v12, -v2
	s_clause 0x1
	scratch_load_b128 v[2:5], off, off offset:416
	scratch_load_b128 v[10:13], off, off offset:432
	s_wait_loadcnt_dscnt 0x100
	v_mul_f32_e32 v177, v6, v3
	v_mul_f32_e32 v3, v7, v3
	s_delay_alu instid0(VALU_DEP_2) | instskip(NEXT) | instid1(VALU_DEP_2)
	v_fmac_f32_e32 v177, v7, v2
	v_fma_f32 v178, v6, v2, -v3
	v_dual_mul_f32 v2, v9, v5 :: v_dual_add_f32 v3, 0, v38
	s_delay_alu instid0(VALU_DEP_1) | instskip(NEXT) | instid1(VALU_DEP_2)
	v_fma_f32 v180, v8, v4, -v2
	v_dual_add_f32 v2, 0, v22 :: v_dual_add_f32 v3, v3, v39
	s_delay_alu instid0(VALU_DEP_1) | instskip(NEXT) | instid1(VALU_DEP_1)
	v_dual_add_f32 v2, v2, v23 :: v_dual_add_f32 v3, v3, v24
	v_dual_add_f32 v2, v2, v26 :: v_dual_add_f32 v3, v3, v25
	s_delay_alu instid0(VALU_DEP_1) | instskip(NEXT) | instid1(VALU_DEP_2)
	v_add_f32_e32 v2, v2, v27
	v_add_f32_e32 v6, v3, v34
	s_delay_alu instid0(VALU_DEP_2) | instskip(NEXT) | instid1(VALU_DEP_2)
	v_add_f32_e32 v2, v2, v28
	v_add_f32_e32 v6, v6, v40
	s_delay_alu instid0(VALU_DEP_2) | instskip(NEXT) | instid1(VALU_DEP_2)
	v_add_f32_e32 v7, v2, v29
	v_add_f32_e32 v6, v6, v30
	s_delay_alu instid0(VALU_DEP_2) | instskip(NEXT) | instid1(VALU_DEP_1)
	v_add_f32_e32 v7, v7, v14
	v_add_f32_e32 v14, v7, v15
	s_delay_alu instid0(VALU_DEP_1) | instskip(NEXT) | instid1(VALU_DEP_4)
	v_add_f32_e32 v14, v14, v17
	v_add_f32_e32 v15, v6, v31
	s_delay_alu instid0(VALU_DEP_1) | instskip(NEXT) | instid1(VALU_DEP_1)
	v_dual_add_f32 v14, v14, v18 :: v_dual_add_f32 v15, v15, v16
	v_dual_add_f32 v14, v14, v32 :: v_dual_add_f32 v15, v15, v19
	s_delay_alu instid0(VALU_DEP_1) | instskip(SKIP_2) | instid1(VALU_DEP_1)
	v_dual_add_f32 v19, v14, v33 :: v_dual_add_f32 v18, v15, v20
	scratch_load_b128 v[14:17], off, off offset:480
	v_dual_add_f32 v19, v19, v43 :: v_dual_add_f32 v18, v18, v21
	v_dual_add_f32 v19, v19, v44 :: v_dual_add_f32 v18, v18, v41
	s_delay_alu instid0(VALU_DEP_1) | instskip(NEXT) | instid1(VALU_DEP_1)
	v_dual_mul_f32 v179, v8, v5 :: v_dual_add_f32 v22, v19, v170
	v_dual_add_f32 v18, v18, v42 :: v_dual_fmac_f32 v179, v9, v4
	ds_load_b128 v[2:5], v1 offset:928
	ds_load_b128 v[6:9], v1 offset:944
	v_add_f32_e32 v30, v22, v172
	v_add_f32_e32 v23, v18, v169
	ds_load_b128 v[18:21], v1 offset:960
	v_add_f32_e32 v31, v23, v171
	ds_load_b128 v[22:25], v1 offset:976
	v_dual_add_f32 v1, v30, v174 :: v_dual_add_f32 v30, v31, v173
	s_wait_loadcnt_dscnt 0x103
	v_mul_f32_e32 v26, v2, v11
	s_delay_alu instid0(VALU_DEP_2) | instskip(SKIP_1) | instid1(VALU_DEP_3)
	v_dual_add_f32 v30, v30, v175 :: v_dual_mul_f32 v27, v4, v13
	v_mul_f32_e32 v11, v3, v11
	v_fmac_f32_e32 v26, v3, v10
	s_delay_alu instid0(VALU_DEP_3) | instskip(NEXT) | instid1(VALU_DEP_3)
	v_add_f32_e32 v30, v30, v177
	v_fma_f32 v28, v2, v10, -v11
	s_delay_alu instid0(VALU_DEP_2) | instskip(NEXT) | instid1(VALU_DEP_1)
	v_dual_add_f32 v30, v30, v179 :: v_dual_mul_f32 v13, v5, v13
	v_add_f32_e32 v26, v30, v26
	s_delay_alu instid0(VALU_DEP_2)
	v_fma_f32 v29, v4, v12, -v13
	s_wait_loadcnt_dscnt 0x0
	v_dual_mul_f32 v38, v22, v15 :: v_dual_fmac_f32 v27, v5, v12
	s_clause 0x1
	scratch_load_b128 v[2:5], off, off offset:448
	scratch_load_b128 v[10:13], off, off offset:464
	s_wait_loadcnt 0x1
	v_dual_fmac_f32 v38, v23, v14 :: v_dual_mul_f32 v31, v6, v3
	s_wait_loadcnt 0x0
	v_dual_mul_f32 v34, v20, v13 :: v_dual_mul_f32 v3, v7, v3
	v_mul_f32_e32 v32, v8, v5
	v_mul_f32_e32 v5, v9, v5
	v_fmac_f32_e32 v31, v7, v2
	v_add_f32_e32 v1, v1, v176
	v_fmac_f32_e32 v34, v21, v12
	v_fma_f32 v3, v6, v2, -v3
	v_mul_f32_e32 v33, v18, v11
	s_delay_alu instid0(VALU_DEP_4) | instskip(SKIP_2) | instid1(VALU_DEP_4)
	v_dual_mul_f32 v6, v19, v11 :: v_dual_add_f32 v1, v1, v178
	v_fmac_f32_e32 v32, v9, v4
	v_fma_f32 v4, v8, v4, -v5
	v_fmac_f32_e32 v33, v19, v10
	s_delay_alu instid0(VALU_DEP_4) | instskip(SKIP_1) | instid1(VALU_DEP_1)
	v_fma_f32 v5, v18, v10, -v6
	v_add_f32_e32 v1, v1, v180
	v_dual_add_f32 v1, v1, v28 :: v_dual_mul_f32 v28, v24, v17
	s_delay_alu instid0(VALU_DEP_1) | instskip(NEXT) | instid1(VALU_DEP_2)
	v_dual_add_f32 v2, v26, v27 :: v_dual_add_f32 v1, v1, v29
	v_fmac_f32_e32 v28, v25, v16
	s_delay_alu instid0(VALU_DEP_2) | instskip(NEXT) | instid1(VALU_DEP_3)
	v_add_f32_e32 v2, v2, v31
	v_add_f32_e32 v1, v1, v3
	s_delay_alu instid0(VALU_DEP_2) | instskip(NEXT) | instid1(VALU_DEP_2)
	v_dual_mul_f32 v3, v21, v13 :: v_dual_add_f32 v2, v2, v32
	v_dual_add_f32 v1, v1, v4 :: v_dual_mul_f32 v4, v23, v15
	s_delay_alu instid0(VALU_DEP_2) | instskip(NEXT) | instid1(VALU_DEP_3)
	v_fma_f32 v3, v20, v12, -v3
	v_add_f32_e32 v2, v2, v33
	s_delay_alu instid0(VALU_DEP_3) | instskip(SKIP_2) | instid1(VALU_DEP_3)
	v_add_f32_e32 v1, v1, v5
	v_mul_f32_e32 v5, v25, v17
	v_fma_f32 v4, v22, v14, -v4
	v_dual_add_f32 v2, v2, v34 :: v_dual_add_f32 v1, v1, v3
	s_delay_alu instid0(VALU_DEP_3) | instskip(NEXT) | instid1(VALU_DEP_2)
	v_fma_f32 v3, v24, v16, -v5
	v_dual_add_f32 v2, v2, v38 :: v_dual_add_f32 v1, v1, v4
	s_delay_alu instid0(VALU_DEP_1) | instskip(NEXT) | instid1(VALU_DEP_1)
	v_dual_add_f32 v2, v2, v28 :: v_dual_add_f32 v1, v1, v3
	v_dual_sub_f32 v2, v37, v2 :: v_dual_sub_f32 v1, v36, v1
	scratch_store_b64 off, v[1:2], off offset:264
	v_cmpx_lt_u32_e32 32, v0
	s_cbranch_execz .LBB61_321
; %bb.320:
	scratch_load_b64 v[1:2], off, off offset:256
	v_mov_b32_e32 v3, 0
	s_delay_alu instid0(VALU_DEP_1)
	v_mov_b32_e32 v4, v3
	scratch_store_b64 off, v[3:4], off offset:256
	s_wait_loadcnt 0x0
	ds_store_b64 v35, v[1:2]
.LBB61_321:
	s_wait_alu 0xfffe
	s_or_b32 exec_lo, exec_lo, s0
	s_wait_storecnt_dscnt 0x0
	s_barrier_signal -1
	s_barrier_wait -1
	global_inv scope:SCOPE_SE
	s_clause 0x4
	scratch_load_b128 v[2:5], off, off offset:264
	scratch_load_b128 v[6:9], off, off offset:280
	;; [unrolled: 1-line block ×5, first 2 shown]
	v_mov_b32_e32 v1, 0
	ds_load_2addr_b64 v[22:25], v1 offset0:95 offset1:96
	ds_load_2addr_b64 v[26:29], v1 offset0:97 offset1:98
	ds_load_2addr_b64 v[30:33], v1 offset0:99 offset1:100
	scratch_load_b64 v[36:37], off, off offset:256
	s_mov_b32 s0, exec_lo
	s_wait_loadcnt_dscnt 0x502
	v_mul_f32_e32 v34, v23, v3
	v_dual_mul_f32 v38, v22, v3 :: v_dual_mul_f32 v39, v24, v5
	v_mul_f32_e32 v3, v25, v5
	s_wait_loadcnt_dscnt 0x300
	v_mul_f32_e32 v40, v32, v13
	v_fma_f32 v22, v22, v2, -v34
	v_dual_fmac_f32 v38, v23, v2 :: v_dual_fmac_f32 v39, v25, v4
	v_fma_f32 v23, v24, v4, -v3
	ds_load_2addr_b64 v[2:5], v1 offset0:101 offset1:102
	v_mul_f32_e32 v24, v26, v7
	v_mul_f32_e32 v7, v27, v7
	v_dual_mul_f32 v25, v28, v9 :: v_dual_mul_f32 v34, v30, v11
	s_delay_alu instid0(VALU_DEP_3) | instskip(SKIP_2) | instid1(VALU_DEP_4)
	v_dual_mul_f32 v9, v29, v9 :: v_dual_fmac_f32 v24, v27, v6
	v_dual_mul_f32 v11, v31, v11 :: v_dual_fmac_f32 v40, v33, v12
	v_mul_f32_e32 v13, v33, v13
	v_dual_fmac_f32 v25, v29, v8 :: v_dual_fmac_f32 v34, v31, v10
	s_delay_alu instid0(VALU_DEP_4) | instskip(NEXT) | instid1(VALU_DEP_4)
	v_fma_f32 v27, v28, v8, -v9
	v_fma_f32 v28, v30, v10, -v11
	s_delay_alu instid0(VALU_DEP_4)
	v_fma_f32 v29, v32, v12, -v13
	ds_load_2addr_b64 v[10:13], v1 offset0:103 offset1:104
	v_fma_f32 v26, v26, v6, -v7
	scratch_load_b128 v[6:9], off, off offset:344
	s_wait_loadcnt_dscnt 0x301
	v_mul_f32_e32 v30, v2, v15
	v_mul_f32_e32 v15, v3, v15
	v_mul_f32_e32 v31, v4, v17
	s_delay_alu instid0(VALU_DEP_3) | instskip(NEXT) | instid1(VALU_DEP_3)
	v_dual_mul_f32 v17, v5, v17 :: v_dual_fmac_f32 v30, v3, v14
	v_fma_f32 v14, v2, v14, -v15
	s_delay_alu instid0(VALU_DEP_3) | instskip(NEXT) | instid1(VALU_DEP_3)
	v_fmac_f32_e32 v31, v5, v16
	v_fma_f32 v15, v4, v16, -v17
	ds_load_2addr_b64 v[2:5], v1 offset0:105 offset1:106
	s_wait_loadcnt_dscnt 0x201
	v_mul_f32_e32 v16, v10, v19
	v_mul_f32_e32 v17, v11, v19
	;; [unrolled: 1-line block ×3, first 2 shown]
	s_delay_alu instid0(VALU_DEP_3) | instskip(NEXT) | instid1(VALU_DEP_3)
	v_dual_mul_f32 v21, v13, v21 :: v_dual_fmac_f32 v16, v11, v18
	v_fma_f32 v17, v10, v18, -v17
	s_delay_alu instid0(VALU_DEP_3) | instskip(NEXT) | instid1(VALU_DEP_3)
	v_fmac_f32_e32 v19, v13, v20
	v_fma_f32 v18, v12, v20, -v21
	scratch_load_b128 v[10:13], off, off offset:360
	s_wait_loadcnt_dscnt 0x100
	v_mul_f32_e32 v20, v2, v7
	v_mul_f32_e32 v7, v3, v7
	;; [unrolled: 1-line block ×3, first 2 shown]
	s_delay_alu instid0(VALU_DEP_3) | instskip(NEXT) | instid1(VALU_DEP_3)
	v_dual_mul_f32 v9, v5, v9 :: v_dual_fmac_f32 v20, v3, v6
	v_fma_f32 v32, v2, v6, -v7
	s_delay_alu instid0(VALU_DEP_3) | instskip(NEXT) | instid1(VALU_DEP_3)
	v_fmac_f32_e32 v21, v5, v8
	v_fma_f32 v33, v4, v8, -v9
	ds_load_2addr_b64 v[2:5], v1 offset0:107 offset1:108
	ds_load_2addr_b64 v[6:9], v1 offset0:109 offset1:110
	s_wait_loadcnt_dscnt 0x1
	v_mul_f32_e32 v41, v2, v11
	v_dual_mul_f32 v11, v3, v11 :: v_dual_mul_f32 v42, v4, v13
	s_delay_alu instid0(VALU_DEP_2) | instskip(NEXT) | instid1(VALU_DEP_2)
	v_fmac_f32_e32 v41, v3, v10
	v_fma_f32 v43, v2, v10, -v11
	v_mul_f32_e32 v2, v5, v13
	s_delay_alu instid0(VALU_DEP_4) | instskip(NEXT) | instid1(VALU_DEP_2)
	v_fmac_f32_e32 v42, v5, v12
	v_fma_f32 v44, v4, v12, -v2
	s_clause 0x1
	scratch_load_b128 v[2:5], off, off offset:376
	scratch_load_b128 v[10:13], off, off offset:392
	s_wait_loadcnt_dscnt 0x100
	v_mul_f32_e32 v169, v6, v3
	v_mul_f32_e32 v3, v7, v3
	;; [unrolled: 1-line block ×3, first 2 shown]
	s_delay_alu instid0(VALU_DEP_3) | instskip(NEXT) | instid1(VALU_DEP_3)
	v_fmac_f32_e32 v169, v7, v2
	v_fma_f32 v170, v6, v2, -v3
	v_mul_f32_e32 v2, v9, v5
	s_delay_alu instid0(VALU_DEP_4) | instskip(NEXT) | instid1(VALU_DEP_2)
	v_fmac_f32_e32 v171, v9, v4
	v_fma_f32 v172, v8, v4, -v2
	ds_load_2addr_b64 v[2:5], v1 offset0:111 offset1:112
	ds_load_2addr_b64 v[6:9], v1 offset0:113 offset1:114
	s_wait_loadcnt_dscnt 0x1
	v_mul_f32_e32 v173, v2, v11
	v_mul_f32_e32 v175, v4, v13
	s_delay_alu instid0(VALU_DEP_2) | instskip(SKIP_1) | instid1(VALU_DEP_3)
	v_fmac_f32_e32 v173, v3, v10
	v_mul_f32_e32 v3, v3, v11
	v_fmac_f32_e32 v175, v5, v12
	s_delay_alu instid0(VALU_DEP_2) | instskip(SKIP_1) | instid1(VALU_DEP_1)
	v_fma_f32 v174, v2, v10, -v3
	v_mul_f32_e32 v2, v5, v13
	v_fma_f32 v176, v4, v12, -v2
	s_clause 0x1
	scratch_load_b128 v[2:5], off, off offset:408
	scratch_load_b128 v[10:13], off, off offset:424
	s_wait_loadcnt_dscnt 0x100
	v_mul_f32_e32 v177, v6, v3
	v_mul_f32_e32 v3, v7, v3
	s_delay_alu instid0(VALU_DEP_2) | instskip(NEXT) | instid1(VALU_DEP_2)
	v_fmac_f32_e32 v177, v7, v2
	v_fma_f32 v178, v6, v2, -v3
	v_mul_f32_e32 v2, v9, v5
	s_delay_alu instid0(VALU_DEP_1) | instskip(SKIP_1) | instid1(VALU_DEP_1)
	v_fma_f32 v180, v8, v4, -v2
	v_add_f32_e32 v2, 0, v22
	v_add_f32_e32 v2, v2, v23
	s_delay_alu instid0(VALU_DEP_1) | instskip(NEXT) | instid1(VALU_DEP_1)
	v_add_f32_e32 v2, v2, v26
	v_add_f32_e32 v2, v2, v27
	scratch_load_b64 v[26:27], off, off offset:488
	v_add_f32_e32 v2, v2, v28
	s_delay_alu instid0(VALU_DEP_1) | instskip(NEXT) | instid1(VALU_DEP_1)
	v_add_f32_e32 v7, v2, v29
	v_add_f32_e32 v7, v7, v14
	s_delay_alu instid0(VALU_DEP_1) | instskip(NEXT) | instid1(VALU_DEP_1)
	v_dual_add_f32 v14, v7, v15 :: v_dual_add_f32 v3, 0, v38
	v_dual_add_f32 v14, v14, v17 :: v_dual_add_f32 v3, v3, v39
	s_delay_alu instid0(VALU_DEP_1) | instskip(NEXT) | instid1(VALU_DEP_1)
	v_dual_add_f32 v14, v14, v18 :: v_dual_add_f32 v3, v3, v24
	v_dual_add_f32 v14, v14, v32 :: v_dual_add_f32 v3, v3, v25
	s_delay_alu instid0(VALU_DEP_1) | instskip(NEXT) | instid1(VALU_DEP_1)
	v_add_f32_e32 v6, v3, v34
	v_add_f32_e32 v6, v6, v40
	s_delay_alu instid0(VALU_DEP_1) | instskip(NEXT) | instid1(VALU_DEP_1)
	v_add_f32_e32 v6, v6, v30
	v_add_f32_e32 v15, v6, v31
	;; [unrolled: 3-line block ×3, first 2 shown]
	s_delay_alu instid0(VALU_DEP_1) | instskip(NEXT) | instid1(VALU_DEP_1)
	v_dual_add_f32 v19, v14, v33 :: v_dual_add_f32 v18, v15, v20
	v_add_f32_e32 v19, v19, v43
	scratch_load_b128 v[14:17], off, off offset:472
	v_add_f32_e32 v18, v18, v21
	s_delay_alu instid0(VALU_DEP_1) | instskip(NEXT) | instid1(VALU_DEP_1)
	v_add_f32_e32 v18, v18, v41
	v_dual_mul_f32 v179, v8, v5 :: v_dual_add_f32 v18, v18, v42
	s_delay_alu instid0(VALU_DEP_1) | instskip(SKIP_3) | instid1(VALU_DEP_1)
	v_fmac_f32_e32 v179, v9, v4
	ds_load_2addr_b64 v[2:5], v1 offset0:115 offset1:116
	ds_load_2addr_b64 v[6:9], v1 offset0:117 offset1:118
	v_add_f32_e32 v18, v18, v169
	v_add_f32_e32 v22, v18, v171
	s_delay_alu instid0(VALU_DEP_1) | instskip(SKIP_4) | instid1(VALU_DEP_1)
	v_add_f32_e32 v29, v22, v173
	ds_load_2addr_b64 v[22:25], v1 offset0:121 offset1:122
	v_add_f32_e32 v33, v29, v175
	s_wait_loadcnt_dscnt 0x202
	v_dual_mul_f32 v30, v2, v11 :: v_dual_mul_f32 v31, v4, v13
	v_dual_add_f32 v33, v33, v177 :: v_dual_fmac_f32 v30, v3, v10
	s_delay_alu instid0(VALU_DEP_2) | instskip(NEXT) | instid1(VALU_DEP_2)
	v_fmac_f32_e32 v31, v5, v12
	v_add_f32_e32 v33, v33, v179
	s_delay_alu instid0(VALU_DEP_1) | instskip(SKIP_1) | instid1(VALU_DEP_2)
	v_dual_mul_f32 v11, v3, v11 :: v_dual_add_f32 v30, v33, v30
	v_add_f32_e32 v19, v19, v44
	v_fma_f32 v34, v2, v10, -v11
	s_delay_alu instid0(VALU_DEP_2) | instskip(NEXT) | instid1(VALU_DEP_1)
	v_add_f32_e32 v19, v19, v170
	v_add_f32_e32 v19, v19, v172
	s_delay_alu instid0(VALU_DEP_1) | instskip(SKIP_4) | instid1(VALU_DEP_1)
	v_add_f32_e32 v28, v19, v174
	ds_load_2addr_b64 v[18:21], v1 offset0:119 offset1:120
	v_add_f32_e32 v32, v28, v176
	ds_load_b64 v[28:29], v1 offset:984
	v_add_f32_e32 v32, v32, v178
	v_add_f32_e32 v32, v32, v180
	s_delay_alu instid0(VALU_DEP_1) | instskip(NEXT) | instid1(VALU_DEP_1)
	v_dual_add_f32 v32, v32, v34 :: v_dual_mul_f32 v13, v5, v13
	v_fma_f32 v38, v4, v12, -v13
	s_clause 0x1
	scratch_load_b128 v[2:5], off, off offset:440
	scratch_load_b128 v[10:13], off, off offset:456
	v_add_f32_e32 v32, v32, v38
	s_wait_loadcnt_dscnt 0x202
	v_mul_f32_e32 v38, v24, v17
	v_add_f32_e32 v30, v30, v31
	v_mul_f32_e32 v41, v22, v15
	s_wait_dscnt 0x0
	s_delay_alu instid0(VALU_DEP_3) | instskip(NEXT) | instid1(VALU_DEP_2)
	v_dual_mul_f32 v31, v28, v27 :: v_dual_fmac_f32 v38, v25, v16
	v_fmac_f32_e32 v41, v23, v14
	s_delay_alu instid0(VALU_DEP_2)
	v_fmac_f32_e32 v31, v29, v26
	s_wait_loadcnt 0x1
	v_mul_f32_e32 v39, v6, v3
	v_dual_mul_f32 v3, v7, v3 :: v_dual_mul_f32 v40, v8, v5
	s_wait_loadcnt 0x0
	v_dual_mul_f32 v5, v9, v5 :: v_dual_mul_f32 v34, v18, v11
	s_delay_alu instid0(VALU_DEP_3) | instskip(NEXT) | instid1(VALU_DEP_3)
	v_fmac_f32_e32 v39, v7, v2
	v_fma_f32 v3, v6, v2, -v3
	v_fmac_f32_e32 v40, v9, v4
	s_delay_alu instid0(VALU_DEP_4) | instskip(SKIP_4) | instid1(VALU_DEP_4)
	v_fma_f32 v2, v8, v4, -v5
	v_mul_f32_e32 v4, v19, v11
	v_add_f32_e32 v5, v30, v39
	v_dual_add_f32 v3, v32, v3 :: v_dual_mul_f32 v6, v21, v13
	v_mul_f32_e32 v33, v20, v13
	v_fma_f32 v4, v18, v10, -v4
	v_fmac_f32_e32 v34, v19, v10
	s_delay_alu instid0(VALU_DEP_4) | instskip(SKIP_1) | instid1(VALU_DEP_2)
	v_dual_add_f32 v2, v3, v2 :: v_dual_add_f32 v3, v5, v40
	v_fma_f32 v6, v20, v12, -v6
	v_dual_mul_f32 v5, v23, v15 :: v_dual_add_f32 v2, v2, v4
	s_delay_alu instid0(VALU_DEP_3) | instskip(NEXT) | instid1(VALU_DEP_2)
	v_dual_add_f32 v3, v3, v34 :: v_dual_mul_f32 v4, v25, v17
	v_fma_f32 v5, v22, v14, -v5
	s_delay_alu instid0(VALU_DEP_3) | instskip(SKIP_3) | instid1(VALU_DEP_4)
	v_add_f32_e32 v2, v2, v6
	v_mul_f32_e32 v6, v29, v27
	v_fmac_f32_e32 v33, v21, v12
	v_fma_f32 v4, v24, v16, -v4
	v_add_f32_e32 v2, v2, v5
	s_delay_alu instid0(VALU_DEP_4) | instskip(NEXT) | instid1(VALU_DEP_2)
	v_fma_f32 v5, v28, v26, -v6
	v_dual_add_f32 v3, v3, v33 :: v_dual_add_f32 v2, v2, v4
	s_delay_alu instid0(VALU_DEP_1) | instskip(NEXT) | instid1(VALU_DEP_1)
	v_add_f32_e32 v3, v3, v41
	v_dual_add_f32 v2, v2, v5 :: v_dual_add_f32 v3, v3, v38
	s_delay_alu instid0(VALU_DEP_1) | instskip(NEXT) | instid1(VALU_DEP_1)
	v_dual_sub_f32 v2, v36, v2 :: v_dual_add_f32 v3, v3, v31
	v_sub_f32_e32 v3, v37, v3
	scratch_store_b64 off, v[2:3], off offset:256
	v_cmpx_lt_u32_e32 31, v0
	s_cbranch_execz .LBB61_323
; %bb.322:
	scratch_load_b64 v[3:4], off, off offset:248
	v_mov_b32_e32 v2, v1
	scratch_store_b64 off, v[1:2], off offset:248
	s_wait_loadcnt 0x0
	ds_store_b64 v35, v[3:4]
.LBB61_323:
	s_wait_alu 0xfffe
	s_or_b32 exec_lo, exec_lo, s0
	s_wait_storecnt_dscnt 0x0
	s_barrier_signal -1
	s_barrier_wait -1
	global_inv scope:SCOPE_SE
	s_clause 0x4
	scratch_load_b128 v[2:5], off, off offset:256
	scratch_load_b128 v[6:9], off, off offset:272
	;; [unrolled: 1-line block ×5, first 2 shown]
	ds_load_b128 v[22:25], v1 offset:752
	ds_load_b128 v[26:29], v1 offset:768
	;; [unrolled: 1-line block ×3, first 2 shown]
	scratch_load_b64 v[36:37], off, off offset:248
	s_mov_b32 s0, exec_lo
	s_wait_loadcnt_dscnt 0x502
	v_dual_mul_f32 v34, v23, v3 :: v_dual_mul_f32 v39, v24, v5
	v_dual_mul_f32 v38, v22, v3 :: v_dual_mul_f32 v3, v25, v5
	s_wait_loadcnt_dscnt 0x300
	v_mul_f32_e32 v40, v32, v13
	s_delay_alu instid0(VALU_DEP_3) | instskip(NEXT) | instid1(VALU_DEP_3)
	v_fma_f32 v22, v22, v2, -v34
	v_dual_fmac_f32 v39, v25, v4 :: v_dual_fmac_f32 v38, v23, v2
	v_fma_f32 v23, v24, v4, -v3
	ds_load_b128 v[2:5], v1 offset:800
	v_dual_mul_f32 v24, v26, v7 :: v_dual_mul_f32 v25, v28, v9
	v_mul_f32_e32 v7, v27, v7
	v_dual_mul_f32 v9, v29, v9 :: v_dual_mul_f32 v34, v30, v11
	v_dual_mul_f32 v11, v31, v11 :: v_dual_fmac_f32 v40, v33, v12
	s_delay_alu instid0(VALU_DEP_4) | instskip(SKIP_1) | instid1(VALU_DEP_4)
	v_dual_mul_f32 v13, v33, v13 :: v_dual_fmac_f32 v24, v27, v6
	v_fmac_f32_e32 v25, v29, v8
	v_fma_f32 v27, v28, v8, -v9
	v_fmac_f32_e32 v34, v31, v10
	v_fma_f32 v28, v30, v10, -v11
	v_fma_f32 v29, v32, v12, -v13
	ds_load_b128 v[10:13], v1 offset:816
	v_fma_f32 v26, v26, v6, -v7
	scratch_load_b128 v[6:9], off, off offset:336
	s_wait_loadcnt_dscnt 0x301
	v_dual_mul_f32 v30, v2, v15 :: v_dual_mul_f32 v31, v4, v17
	v_mul_f32_e32 v15, v3, v15
	s_delay_alu instid0(VALU_DEP_2) | instskip(NEXT) | instid1(VALU_DEP_3)
	v_dual_mul_f32 v17, v5, v17 :: v_dual_fmac_f32 v30, v3, v14
	v_fmac_f32_e32 v31, v5, v16
	s_delay_alu instid0(VALU_DEP_3) | instskip(NEXT) | instid1(VALU_DEP_3)
	v_fma_f32 v14, v2, v14, -v15
	v_fma_f32 v15, v4, v16, -v17
	ds_load_b128 v[2:5], v1 offset:832
	s_wait_loadcnt_dscnt 0x201
	v_mul_f32_e32 v16, v10, v19
	v_mul_f32_e32 v17, v11, v19
	;; [unrolled: 1-line block ×3, first 2 shown]
	s_delay_alu instid0(VALU_DEP_3) | instskip(NEXT) | instid1(VALU_DEP_3)
	v_dual_mul_f32 v21, v13, v21 :: v_dual_fmac_f32 v16, v11, v18
	v_fma_f32 v17, v10, v18, -v17
	s_delay_alu instid0(VALU_DEP_3) | instskip(NEXT) | instid1(VALU_DEP_3)
	v_fmac_f32_e32 v19, v13, v20
	v_fma_f32 v18, v12, v20, -v21
	scratch_load_b128 v[10:13], off, off offset:352
	s_wait_loadcnt_dscnt 0x100
	v_mul_f32_e32 v20, v2, v7
	v_mul_f32_e32 v7, v3, v7
	v_mul_f32_e32 v21, v4, v9
	s_delay_alu instid0(VALU_DEP_3) | instskip(NEXT) | instid1(VALU_DEP_3)
	v_dual_mul_f32 v9, v5, v9 :: v_dual_fmac_f32 v20, v3, v6
	v_fma_f32 v32, v2, v6, -v7
	s_delay_alu instid0(VALU_DEP_3) | instskip(NEXT) | instid1(VALU_DEP_3)
	v_fmac_f32_e32 v21, v5, v8
	v_fma_f32 v33, v4, v8, -v9
	ds_load_b128 v[2:5], v1 offset:848
	ds_load_b128 v[6:9], v1 offset:864
	s_wait_loadcnt_dscnt 0x1
	v_mul_f32_e32 v41, v2, v11
	v_dual_mul_f32 v11, v3, v11 :: v_dual_mul_f32 v42, v4, v13
	s_delay_alu instid0(VALU_DEP_2) | instskip(NEXT) | instid1(VALU_DEP_2)
	v_fmac_f32_e32 v41, v3, v10
	v_fma_f32 v43, v2, v10, -v11
	v_mul_f32_e32 v2, v5, v13
	s_delay_alu instid0(VALU_DEP_4) | instskip(NEXT) | instid1(VALU_DEP_2)
	v_fmac_f32_e32 v42, v5, v12
	v_fma_f32 v44, v4, v12, -v2
	s_clause 0x1
	scratch_load_b128 v[2:5], off, off offset:368
	scratch_load_b128 v[10:13], off, off offset:384
	s_wait_loadcnt_dscnt 0x100
	v_mul_f32_e32 v169, v6, v3
	v_mul_f32_e32 v3, v7, v3
	;; [unrolled: 1-line block ×3, first 2 shown]
	s_delay_alu instid0(VALU_DEP_3) | instskip(NEXT) | instid1(VALU_DEP_3)
	v_fmac_f32_e32 v169, v7, v2
	v_fma_f32 v170, v6, v2, -v3
	v_mul_f32_e32 v2, v9, v5
	s_delay_alu instid0(VALU_DEP_4) | instskip(NEXT) | instid1(VALU_DEP_2)
	v_fmac_f32_e32 v171, v9, v4
	v_fma_f32 v172, v8, v4, -v2
	ds_load_b128 v[2:5], v1 offset:880
	ds_load_b128 v[6:9], v1 offset:896
	s_wait_loadcnt_dscnt 0x1
	v_mul_f32_e32 v173, v2, v11
	v_mul_f32_e32 v175, v4, v13
	s_delay_alu instid0(VALU_DEP_2) | instskip(SKIP_1) | instid1(VALU_DEP_3)
	v_fmac_f32_e32 v173, v3, v10
	v_mul_f32_e32 v3, v3, v11
	v_fmac_f32_e32 v175, v5, v12
	s_delay_alu instid0(VALU_DEP_2) | instskip(SKIP_1) | instid1(VALU_DEP_1)
	v_fma_f32 v174, v2, v10, -v3
	v_mul_f32_e32 v2, v5, v13
	v_fma_f32 v176, v4, v12, -v2
	s_clause 0x1
	scratch_load_b128 v[2:5], off, off offset:400
	scratch_load_b128 v[10:13], off, off offset:416
	s_wait_loadcnt_dscnt 0x100
	v_mul_f32_e32 v177, v6, v3
	v_mul_f32_e32 v3, v7, v3
	s_delay_alu instid0(VALU_DEP_2) | instskip(NEXT) | instid1(VALU_DEP_2)
	v_fmac_f32_e32 v177, v7, v2
	v_fma_f32 v178, v6, v2, -v3
	v_dual_mul_f32 v2, v9, v5 :: v_dual_add_f32 v3, 0, v38
	s_delay_alu instid0(VALU_DEP_1) | instskip(SKIP_1) | instid1(VALU_DEP_1)
	v_fma_f32 v180, v8, v4, -v2
	v_add_f32_e32 v2, 0, v22
	v_add_f32_e32 v2, v2, v23
	s_delay_alu instid0(VALU_DEP_1) | instskip(NEXT) | instid1(VALU_DEP_1)
	v_add_f32_e32 v2, v2, v26
	v_add_f32_e32 v2, v2, v27
	s_delay_alu instid0(VALU_DEP_1) | instskip(NEXT) | instid1(VALU_DEP_1)
	v_dual_add_f32 v3, v3, v39 :: v_dual_add_f32 v2, v2, v28
	v_dual_add_f32 v2, v2, v29 :: v_dual_add_f32 v3, v3, v24
	s_delay_alu instid0(VALU_DEP_1) | instskip(NEXT) | instid1(VALU_DEP_2)
	v_add_f32_e32 v7, v2, v14
	v_add_f32_e32 v3, v3, v25
	s_delay_alu instid0(VALU_DEP_2) | instskip(NEXT) | instid1(VALU_DEP_1)
	v_add_f32_e32 v15, v7, v15
	v_add_f32_e32 v15, v15, v17
	s_delay_alu instid0(VALU_DEP_1) | instskip(NEXT) | instid1(VALU_DEP_1)
	v_add_f32_e32 v18, v15, v18
	v_add_f32_e32 v18, v18, v32
	s_delay_alu instid0(VALU_DEP_1) | instskip(NEXT) | instid1(VALU_DEP_1)
	v_dual_add_f32 v18, v18, v33 :: v_dual_add_f32 v3, v3, v34
	v_dual_mul_f32 v179, v8, v5 :: v_dual_add_f32 v18, v18, v43
	s_delay_alu instid0(VALU_DEP_2) | instskip(NEXT) | instid1(VALU_DEP_2)
	v_add_f32_e32 v6, v3, v40
	v_add_f32_e32 v23, v18, v44
	s_delay_alu instid0(VALU_DEP_2) | instskip(NEXT) | instid1(VALU_DEP_1)
	v_add_f32_e32 v14, v6, v30
	v_dual_add_f32 v23, v23, v170 :: v_dual_add_f32 v14, v14, v31
	s_delay_alu instid0(VALU_DEP_1) | instskip(NEXT) | instid1(VALU_DEP_2)
	v_add_f32_e32 v23, v23, v172
	v_add_f32_e32 v14, v14, v16
	s_delay_alu instid0(VALU_DEP_1) | instskip(SKIP_2) | instid1(VALU_DEP_1)
	v_add_f32_e32 v19, v14, v19
	ds_load_b128 v[14:17], v1 offset:928
	v_add_f32_e32 v19, v19, v20
	v_add_f32_e32 v19, v19, v21
	v_fmac_f32_e32 v179, v9, v4
	scratch_load_b128 v[6:9], off, off offset:432
	ds_load_b128 v[2:5], v1 offset:912
	v_add_f32_e32 v22, v19, v41
	scratch_load_b128 v[18:21], off, off offset:480
	v_add_f32_e32 v22, v22, v42
	s_delay_alu instid0(VALU_DEP_1) | instskip(SKIP_4) | instid1(VALU_DEP_3)
	v_add_f32_e32 v22, v22, v169
	s_wait_loadcnt_dscnt 0x200
	v_mul_f32_e32 v26, v2, v11
	v_mul_f32_e32 v11, v3, v11
	;; [unrolled: 1-line block ×3, first 2 shown]
	v_dual_mul_f32 v13, v5, v13 :: v_dual_fmac_f32 v26, v3, v10
	s_delay_alu instid0(VALU_DEP_3) | instskip(NEXT) | instid1(VALU_DEP_3)
	v_fma_f32 v28, v2, v10, -v11
	v_fmac_f32_e32 v27, v5, v12
	s_delay_alu instid0(VALU_DEP_3)
	v_fma_f32 v29, v4, v12, -v13
	s_clause 0x1
	scratch_load_b128 v[10:13], off, off offset:464
	scratch_load_b128 v[2:5], off, off offset:448
	s_wait_loadcnt 0x3
	v_mul_f32_e32 v30, v14, v7
	v_mul_f32_e32 v7, v15, v7
	;; [unrolled: 1-line block ×3, first 2 shown]
	s_delay_alu instid0(VALU_DEP_3) | instskip(NEXT) | instid1(VALU_DEP_3)
	v_dual_mul_f32 v9, v17, v9 :: v_dual_fmac_f32 v30, v15, v6
	v_fma_f32 v32, v14, v6, -v7
	v_add_f32_e32 v14, v22, v171
	v_add_f32_e32 v22, v23, v174
	s_delay_alu instid0(VALU_DEP_4) | instskip(NEXT) | instid1(VALU_DEP_3)
	v_fma_f32 v33, v16, v8, -v9
	v_add_f32_e32 v23, v14, v173
	s_delay_alu instid0(VALU_DEP_3) | instskip(NEXT) | instid1(VALU_DEP_2)
	v_add_f32_e32 v34, v22, v176
	v_add_f32_e32 v38, v23, v175
	ds_load_b128 v[22:25], v1 offset:976
	v_fmac_f32_e32 v31, v17, v8
	ds_load_b128 v[6:9], v1 offset:944
	ds_load_b128 v[14:17], v1 offset:960
	v_add_f32_e32 v1, v34, v178
	v_add_f32_e32 v34, v38, v177
	s_delay_alu instid0(VALU_DEP_1) | instskip(NEXT) | instid1(VALU_DEP_1)
	v_add_f32_e32 v34, v34, v179
	v_add_f32_e32 v26, v34, v26
	s_delay_alu instid0(VALU_DEP_1)
	v_add_f32_e32 v26, v26, v27
	s_wait_loadcnt_dscnt 0x202
	v_mul_f32_e32 v27, v22, v19
	s_wait_loadcnt_dscnt 0x1
	v_mul_f32_e32 v38, v6, v3
	s_wait_dscnt 0x0
	v_dual_mul_f32 v34, v14, v11 :: v_dual_mul_f32 v39, v16, v13
	v_add_f32_e32 v26, v26, v30
	v_fmac_f32_e32 v27, v23, v18
	v_fmac_f32_e32 v38, v7, v2
	s_delay_alu instid0(VALU_DEP_4) | instskip(SKIP_1) | instid1(VALU_DEP_2)
	v_dual_fmac_f32 v34, v15, v10 :: v_dual_add_f32 v1, v1, v180
	v_fmac_f32_e32 v39, v17, v12
	v_dual_add_f32 v1, v1, v28 :: v_dual_mul_f32 v28, v8, v5
	v_mul_f32_e32 v5, v9, v5
	s_delay_alu instid0(VALU_DEP_2) | instskip(NEXT) | instid1(VALU_DEP_3)
	v_add_f32_e32 v1, v1, v29
	v_dual_mul_f32 v29, v24, v21 :: v_dual_fmac_f32 v28, v9, v4
	s_delay_alu instid0(VALU_DEP_3) | instskip(NEXT) | instid1(VALU_DEP_3)
	v_fma_f32 v4, v8, v4, -v5
	v_add_f32_e32 v1, v1, v32
	s_delay_alu instid0(VALU_DEP_3) | instskip(SKIP_1) | instid1(VALU_DEP_3)
	v_fmac_f32_e32 v29, v25, v20
	v_mul_f32_e32 v3, v7, v3
	v_add_f32_e32 v1, v1, v33
	s_delay_alu instid0(VALU_DEP_2) | instskip(SKIP_1) | instid1(VALU_DEP_2)
	v_fma_f32 v3, v6, v2, -v3
	v_mul_f32_e32 v6, v15, v11
	v_add_f32_e32 v1, v1, v3
	v_mul_f32_e32 v3, v17, v13
	s_delay_alu instid0(VALU_DEP_3) | instskip(NEXT) | instid1(VALU_DEP_3)
	v_fma_f32 v5, v14, v10, -v6
	v_dual_add_f32 v1, v1, v4 :: v_dual_mul_f32 v4, v23, v19
	v_add_f32_e32 v2, v26, v31
	s_delay_alu instid0(VALU_DEP_4) | instskip(NEXT) | instid1(VALU_DEP_3)
	v_fma_f32 v3, v16, v12, -v3
	v_add_f32_e32 v1, v1, v5
	s_delay_alu instid0(VALU_DEP_3) | instskip(SKIP_1) | instid1(VALU_DEP_3)
	v_dual_mul_f32 v5, v25, v21 :: v_dual_add_f32 v2, v2, v38
	v_fma_f32 v4, v22, v18, -v4
	v_add_f32_e32 v1, v1, v3
	s_delay_alu instid0(VALU_DEP_3) | instskip(NEXT) | instid1(VALU_DEP_4)
	v_fma_f32 v3, v24, v20, -v5
	v_add_f32_e32 v2, v2, v28
	s_delay_alu instid0(VALU_DEP_1) | instskip(NEXT) | instid1(VALU_DEP_1)
	v_dual_add_f32 v1, v1, v4 :: v_dual_add_f32 v2, v2, v34
	v_add_f32_e32 v1, v1, v3
	s_delay_alu instid0(VALU_DEP_1) | instskip(NEXT) | instid1(VALU_DEP_1)
	v_dual_add_f32 v2, v2, v39 :: v_dual_sub_f32 v1, v36, v1
	v_add_f32_e32 v2, v2, v27
	s_delay_alu instid0(VALU_DEP_1) | instskip(NEXT) | instid1(VALU_DEP_1)
	v_add_f32_e32 v2, v2, v29
	v_sub_f32_e32 v2, v37, v2
	scratch_store_b64 off, v[1:2], off offset:248
	v_cmpx_lt_u32_e32 30, v0
	s_cbranch_execz .LBB61_325
; %bb.324:
	scratch_load_b64 v[1:2], off, off offset:240
	v_mov_b32_e32 v3, 0
	s_delay_alu instid0(VALU_DEP_1)
	v_mov_b32_e32 v4, v3
	scratch_store_b64 off, v[3:4], off offset:240
	s_wait_loadcnt 0x0
	ds_store_b64 v35, v[1:2]
.LBB61_325:
	s_wait_alu 0xfffe
	s_or_b32 exec_lo, exec_lo, s0
	s_wait_storecnt_dscnt 0x0
	s_barrier_signal -1
	s_barrier_wait -1
	global_inv scope:SCOPE_SE
	s_clause 0x4
	scratch_load_b128 v[5:8], off, off offset:248
	scratch_load_b128 v[1:4], off, off offset:264
	;; [unrolled: 1-line block ×5, first 2 shown]
	v_mov_b32_e32 v21, 0
	ds_load_2addr_b64 v[22:25], v21 offset0:93 offset1:94
	ds_load_2addr_b64 v[26:29], v21 offset0:95 offset1:96
	;; [unrolled: 1-line block ×3, first 2 shown]
	scratch_load_b64 v[36:37], off, off offset:240
	s_mov_b32 s0, exec_lo
	s_wait_loadcnt_dscnt 0x502
	v_mul_f32_e32 v34, v23, v6
	v_dual_mul_f32 v38, v22, v6 :: v_dual_mul_f32 v39, v24, v8
	v_mul_f32_e32 v6, v25, v8
	s_wait_loadcnt_dscnt 0x300
	v_mul_f32_e32 v40, v32, v12
	v_fma_f32 v22, v22, v5, -v34
	v_dual_fmac_f32 v38, v23, v5 :: v_dual_fmac_f32 v39, v25, v7
	v_fma_f32 v23, v24, v7, -v6
	v_dual_mul_f32 v24, v26, v2 :: v_dual_mul_f32 v25, v28, v4
	v_mul_f32_e32 v2, v27, v2
	v_mul_f32_e32 v4, v29, v4
	ds_load_2addr_b64 v[5:8], v21 offset0:99 offset1:100
	v_mul_f32_e32 v34, v30, v10
	v_dual_fmac_f32 v24, v27, v1 :: v_dual_fmac_f32 v25, v29, v3
	v_fma_f32 v26, v26, v1, -v2
	v_fma_f32 v27, v28, v3, -v4
	v_mul_f32_e32 v12, v33, v12
	scratch_load_b128 v[1:4], off, off offset:328
	v_mul_f32_e32 v10, v31, v10
	v_fmac_f32_e32 v34, v31, v9
	v_fmac_f32_e32 v40, v33, v11
	v_fma_f32 v29, v32, v11, -v12
	s_delay_alu instid0(VALU_DEP_4)
	v_fma_f32 v28, v30, v9, -v10
	ds_load_2addr_b64 v[9:12], v21 offset0:101 offset1:102
	s_wait_loadcnt_dscnt 0x301
	v_mul_f32_e32 v30, v5, v14
	v_dual_mul_f32 v14, v6, v14 :: v_dual_mul_f32 v31, v7, v16
	v_mul_f32_e32 v16, v8, v16
	s_delay_alu instid0(VALU_DEP_3) | instskip(NEXT) | instid1(VALU_DEP_3)
	v_fmac_f32_e32 v30, v6, v13
	v_fma_f32 v13, v5, v13, -v14
	s_delay_alu instid0(VALU_DEP_4) | instskip(NEXT) | instid1(VALU_DEP_4)
	v_fmac_f32_e32 v31, v8, v15
	v_fma_f32 v14, v7, v15, -v16
	ds_load_2addr_b64 v[5:8], v21 offset0:103 offset1:104
	s_wait_loadcnt_dscnt 0x201
	v_mul_f32_e32 v15, v9, v18
	v_mul_f32_e32 v16, v10, v18
	;; [unrolled: 1-line block ×3, first 2 shown]
	s_delay_alu instid0(VALU_DEP_3) | instskip(NEXT) | instid1(VALU_DEP_3)
	v_dual_mul_f32 v20, v12, v20 :: v_dual_fmac_f32 v15, v10, v17
	v_fma_f32 v16, v9, v17, -v16
	s_delay_alu instid0(VALU_DEP_3) | instskip(NEXT) | instid1(VALU_DEP_3)
	v_fmac_f32_e32 v18, v12, v19
	v_fma_f32 v17, v11, v19, -v20
	scratch_load_b128 v[9:12], off, off offset:344
	s_wait_loadcnt_dscnt 0x100
	v_mul_f32_e32 v19, v5, v2
	v_mul_f32_e32 v2, v6, v2
	;; [unrolled: 1-line block ×3, first 2 shown]
	s_delay_alu instid0(VALU_DEP_3) | instskip(NEXT) | instid1(VALU_DEP_3)
	v_dual_mul_f32 v4, v8, v4 :: v_dual_fmac_f32 v19, v6, v1
	v_fma_f32 v32, v5, v1, -v2
	s_delay_alu instid0(VALU_DEP_3) | instskip(NEXT) | instid1(VALU_DEP_3)
	v_fmac_f32_e32 v20, v8, v3
	v_fma_f32 v33, v7, v3, -v4
	ds_load_2addr_b64 v[1:4], v21 offset0:105 offset1:106
	ds_load_2addr_b64 v[5:8], v21 offset0:107 offset1:108
	s_wait_loadcnt_dscnt 0x1
	v_mul_f32_e32 v41, v1, v10
	v_mul_f32_e32 v10, v2, v10
	s_delay_alu instid0(VALU_DEP_2) | instskip(NEXT) | instid1(VALU_DEP_2)
	v_dual_mul_f32 v42, v3, v12 :: v_dual_fmac_f32 v41, v2, v9
	v_fma_f32 v43, v1, v9, -v10
	v_mul_f32_e32 v1, v4, v12
	s_delay_alu instid0(VALU_DEP_3) | instskip(NEXT) | instid1(VALU_DEP_2)
	v_fmac_f32_e32 v42, v4, v11
	v_fma_f32 v44, v3, v11, -v1
	s_clause 0x1
	scratch_load_b128 v[1:4], off, off offset:360
	scratch_load_b128 v[9:12], off, off offset:376
	s_wait_loadcnt_dscnt 0x100
	v_mul_f32_e32 v169, v5, v2
	v_dual_mul_f32 v2, v6, v2 :: v_dual_mul_f32 v171, v7, v4
	s_delay_alu instid0(VALU_DEP_2) | instskip(NEXT) | instid1(VALU_DEP_2)
	v_fmac_f32_e32 v169, v6, v1
	v_fma_f32 v170, v5, v1, -v2
	v_mul_f32_e32 v1, v8, v4
	s_delay_alu instid0(VALU_DEP_4) | instskip(NEXT) | instid1(VALU_DEP_2)
	v_fmac_f32_e32 v171, v8, v3
	v_fma_f32 v172, v7, v3, -v1
	ds_load_2addr_b64 v[1:4], v21 offset0:109 offset1:110
	ds_load_2addr_b64 v[5:8], v21 offset0:111 offset1:112
	s_wait_loadcnt_dscnt 0x1
	v_mul_f32_e32 v173, v1, v10
	v_mul_f32_e32 v175, v3, v12
	s_delay_alu instid0(VALU_DEP_2) | instskip(NEXT) | instid1(VALU_DEP_2)
	v_fmac_f32_e32 v173, v2, v9
	v_dual_mul_f32 v2, v2, v10 :: v_dual_fmac_f32 v175, v4, v11
	s_delay_alu instid0(VALU_DEP_1) | instskip(SKIP_1) | instid1(VALU_DEP_1)
	v_fma_f32 v174, v1, v9, -v2
	v_mul_f32_e32 v1, v4, v12
	v_fma_f32 v176, v3, v11, -v1
	s_clause 0x1
	scratch_load_b128 v[1:4], off, off offset:392
	scratch_load_b128 v[9:12], off, off offset:408
	s_wait_loadcnt_dscnt 0x100
	v_mul_f32_e32 v177, v5, v2
	v_dual_mul_f32 v2, v6, v2 :: v_dual_mul_f32 v179, v7, v4
	s_delay_alu instid0(VALU_DEP_2) | instskip(NEXT) | instid1(VALU_DEP_2)
	v_fmac_f32_e32 v177, v6, v1
	v_fma_f32 v178, v5, v1, -v2
	v_mul_f32_e32 v1, v8, v4
	s_delay_alu instid0(VALU_DEP_4) | instskip(NEXT) | instid1(VALU_DEP_2)
	v_fmac_f32_e32 v179, v8, v3
	v_fma_f32 v180, v7, v3, -v1
	v_add_f32_e32 v1, 0, v22
	s_delay_alu instid0(VALU_DEP_1) | instskip(NEXT) | instid1(VALU_DEP_1)
	v_add_f32_e32 v1, v1, v23
	v_add_f32_e32 v1, v1, v26
	s_delay_alu instid0(VALU_DEP_1) | instskip(SKIP_2) | instid1(VALU_DEP_1)
	v_dual_add_f32 v1, v1, v27 :: v_dual_add_f32 v2, 0, v38
	scratch_load_b64 v[26:27], off, off offset:488
	v_dual_add_f32 v1, v1, v28 :: v_dual_add_f32 v2, v2, v39
	v_dual_add_f32 v1, v1, v29 :: v_dual_add_f32 v2, v2, v24
	s_delay_alu instid0(VALU_DEP_1) | instskip(NEXT) | instid1(VALU_DEP_2)
	v_add_f32_e32 v6, v1, v13
	v_add_f32_e32 v2, v2, v25
	s_delay_alu instid0(VALU_DEP_1) | instskip(NEXT) | instid1(VALU_DEP_1)
	v_add_f32_e32 v2, v2, v34
	v_add_f32_e32 v5, v2, v40
	scratch_load_b128 v[1:4], off, off offset:424
	v_add_f32_e32 v13, v5, v30
	s_delay_alu instid0(VALU_DEP_1) | instskip(SKIP_2) | instid1(VALU_DEP_1)
	v_dual_add_f32 v13, v13, v31 :: v_dual_add_f32 v14, v6, v14
	ds_load_2addr_b64 v[5:8], v21 offset0:113 offset1:114
	v_dual_add_f32 v13, v13, v15 :: v_dual_add_f32 v14, v14, v16
	v_dual_add_f32 v18, v13, v18 :: v_dual_add_f32 v17, v14, v17
	ds_load_2addr_b64 v[13:16], v21 offset0:115 offset1:116
	v_add_f32_e32 v17, v17, v32
	s_wait_loadcnt_dscnt 0x201
	v_dual_mul_f32 v30, v5, v10 :: v_dual_mul_f32 v31, v7, v12
	s_delay_alu instid0(VALU_DEP_2) | instskip(SKIP_1) | instid1(VALU_DEP_3)
	v_dual_mul_f32 v10, v6, v10 :: v_dual_add_f32 v17, v17, v33
	v_mul_f32_e32 v12, v8, v12
	v_dual_fmac_f32 v30, v6, v9 :: v_dual_fmac_f32 v31, v8, v11
	s_delay_alu instid0(VALU_DEP_3) | instskip(NEXT) | instid1(VALU_DEP_4)
	v_fma_f32 v32, v5, v9, -v10
	v_add_f32_e32 v17, v17, v43
	s_delay_alu instid0(VALU_DEP_4) | instskip(SKIP_4) | instid1(VALU_DEP_1)
	v_fma_f32 v33, v7, v11, -v12
	s_clause 0x1
	scratch_load_b128 v[5:8], off, off offset:440
	scratch_load_b128 v[9:12], off, off offset:456
	v_dual_add_f32 v18, v18, v19 :: v_dual_add_f32 v23, v17, v44
	v_dual_add_f32 v18, v18, v20 :: v_dual_add_f32 v23, v23, v170
	s_delay_alu instid0(VALU_DEP_1)
	v_dual_add_f32 v22, v18, v41 :: v_dual_add_f32 v23, v23, v172
	scratch_load_b128 v[17:20], off, off offset:472
	v_add_f32_e32 v23, v23, v174
	s_wait_loadcnt_dscnt 0x300
	v_mul_f32_e32 v34, v13, v2
	v_mul_f32_e32 v2, v14, v2
	;; [unrolled: 1-line block ×4, first 2 shown]
	s_delay_alu instid0(VALU_DEP_4) | instskip(NEXT) | instid1(VALU_DEP_4)
	v_fmac_f32_e32 v34, v14, v1
	v_fma_f32 v39, v13, v1, -v2
	s_delay_alu instid0(VALU_DEP_4) | instskip(NEXT) | instid1(VALU_DEP_4)
	v_fmac_f32_e32 v38, v16, v3
	v_fma_f32 v40, v15, v3, -v4
	ds_load_2addr_b64 v[1:4], v21 offset0:117 offset1:118
	v_add_f32_e32 v14, v23, v176
	s_delay_alu instid0(VALU_DEP_1) | instskip(NEXT) | instid1(VALU_DEP_1)
	v_add_f32_e32 v28, v14, v178
	v_dual_add_f32 v22, v22, v42 :: v_dual_add_f32 v41, v28, v180
	s_delay_alu instid0(VALU_DEP_1) | instskip(NEXT) | instid1(VALU_DEP_1)
	v_add_f32_e32 v22, v22, v169
	v_add_f32_e32 v22, v22, v171
	s_delay_alu instid0(VALU_DEP_1) | instskip(NEXT) | instid1(VALU_DEP_1)
	v_add_f32_e32 v13, v22, v173
	v_add_f32_e32 v22, v13, v175
	ds_load_2addr_b64 v[13:16], v21 offset0:119 offset1:120
	v_dual_add_f32 v32, v41, v32 :: v_dual_add_f32 v29, v22, v177
	ds_load_2addr_b64 v[22:25], v21 offset0:121 offset1:122
	s_wait_loadcnt_dscnt 0x202
	v_mul_f32_e32 v41, v1, v6
	v_add_f32_e32 v42, v29, v179
	ds_load_b64 v[28:29], v21 offset:984
	v_mul_f32_e32 v6, v2, v6
	v_fmac_f32_e32 v41, v2, v5
	s_delay_alu instid0(VALU_DEP_2) | instskip(SKIP_2) | instid1(VALU_DEP_1)
	v_fma_f32 v1, v1, v5, -v6
	s_wait_loadcnt_dscnt 0x102
	v_dual_mul_f32 v5, v16, v12 :: v_dual_add_f32 v30, v42, v30
	v_fma_f32 v5, v15, v11, -v5
	s_delay_alu instid0(VALU_DEP_2) | instskip(SKIP_1) | instid1(VALU_DEP_2)
	v_dual_add_f32 v30, v30, v31 :: v_dual_mul_f32 v31, v3, v8
	v_mul_f32_e32 v8, v4, v8
	v_fmac_f32_e32 v31, v4, v7
	s_delay_alu instid0(VALU_DEP_2) | instskip(SKIP_1) | instid1(VALU_DEP_1)
	v_fma_f32 v2, v3, v7, -v8
	v_dual_add_f32 v32, v32, v33 :: v_dual_mul_f32 v3, v14, v10
	v_dual_mul_f32 v33, v13, v10 :: v_dual_add_f32 v32, v32, v39
	s_wait_loadcnt_dscnt 0x1
	v_mul_f32_e32 v39, v22, v18
	s_delay_alu instid0(VALU_DEP_3) | instskip(NEXT) | instid1(VALU_DEP_3)
	v_fma_f32 v3, v13, v9, -v3
	v_dual_fmac_f32 v33, v14, v9 :: v_dual_add_f32 v32, v32, v40
	s_delay_alu instid0(VALU_DEP_3) | instskip(SKIP_1) | instid1(VALU_DEP_1)
	v_dual_fmac_f32 v39, v23, v17 :: v_dual_add_f32 v30, v30, v34
	v_mul_f32_e32 v40, v24, v20
	v_dual_add_f32 v1, v32, v1 :: v_dual_fmac_f32 v40, v25, v19
	s_delay_alu instid0(VALU_DEP_1) | instskip(NEXT) | instid1(VALU_DEP_1)
	v_add_f32_e32 v1, v1, v2
	v_add_f32_e32 v1, v1, v3
	v_mul_f32_e32 v3, v25, v20
	s_delay_alu instid0(VALU_DEP_2) | instskip(SKIP_2) | instid1(VALU_DEP_3)
	v_add_f32_e32 v1, v1, v5
	s_wait_dscnt 0x0
	v_dual_mul_f32 v5, v29, v27 :: v_dual_add_f32 v30, v30, v38
	v_fma_f32 v3, v24, v19, -v3
	v_mul_f32_e32 v38, v28, v27
	s_delay_alu instid0(VALU_DEP_3) | instskip(NEXT) | instid1(VALU_DEP_2)
	v_add_f32_e32 v4, v30, v41
	v_fmac_f32_e32 v38, v29, v26
	s_delay_alu instid0(VALU_DEP_2) | instskip(SKIP_1) | instid1(VALU_DEP_2)
	v_add_f32_e32 v2, v4, v31
	v_mul_f32_e32 v4, v23, v18
	v_add_f32_e32 v2, v2, v33
	s_delay_alu instid0(VALU_DEP_2) | instskip(NEXT) | instid1(VALU_DEP_1)
	v_fma_f32 v4, v22, v17, -v4
	v_add_f32_e32 v1, v1, v4
	v_mul_f32_e32 v34, v15, v12
	v_fma_f32 v4, v28, v26, -v5
	s_delay_alu instid0(VALU_DEP_3) | instskip(NEXT) | instid1(VALU_DEP_1)
	v_add_f32_e32 v1, v1, v3
	v_dual_fmac_f32 v34, v16, v11 :: v_dual_add_f32 v1, v1, v4
	s_delay_alu instid0(VALU_DEP_1) | instskip(NEXT) | instid1(VALU_DEP_1)
	v_dual_add_f32 v2, v2, v34 :: v_dual_sub_f32 v1, v36, v1
	v_add_f32_e32 v2, v2, v39
	s_delay_alu instid0(VALU_DEP_1) | instskip(NEXT) | instid1(VALU_DEP_1)
	v_add_f32_e32 v2, v2, v40
	v_add_f32_e32 v2, v2, v38
	s_delay_alu instid0(VALU_DEP_1)
	v_sub_f32_e32 v2, v37, v2
	scratch_store_b64 off, v[1:2], off offset:240
	v_cmpx_lt_u32_e32 29, v0
	s_cbranch_execz .LBB61_327
; %bb.326:
	scratch_load_b64 v[1:2], off, off offset:232
	v_mov_b32_e32 v22, v21
	scratch_store_b64 off, v[21:22], off offset:232
	s_wait_loadcnt 0x0
	ds_store_b64 v35, v[1:2]
.LBB61_327:
	s_wait_alu 0xfffe
	s_or_b32 exec_lo, exec_lo, s0
	s_wait_storecnt_dscnt 0x0
	s_barrier_signal -1
	s_barrier_wait -1
	global_inv scope:SCOPE_SE
	s_clause 0x4
	scratch_load_b128 v[5:8], off, off offset:240
	scratch_load_b128 v[1:4], off, off offset:256
	;; [unrolled: 1-line block ×5, first 2 shown]
	ds_load_b128 v[22:25], v21 offset:736
	ds_load_b128 v[26:29], v21 offset:752
	;; [unrolled: 1-line block ×3, first 2 shown]
	scratch_load_b64 v[36:37], off, off offset:232
	s_mov_b32 s0, exec_lo
	s_wait_loadcnt_dscnt 0x502
	v_dual_mul_f32 v34, v23, v6 :: v_dual_mul_f32 v39, v24, v8
	v_mul_f32_e32 v38, v22, v6
	v_mul_f32_e32 v6, v25, v8
	s_wait_loadcnt_dscnt 0x300
	v_mul_f32_e32 v40, v32, v12
	v_fma_f32 v22, v22, v5, -v34
	v_dual_fmac_f32 v39, v25, v7 :: v_dual_fmac_f32 v38, v23, v5
	v_mul_f32_e32 v25, v28, v4
	v_fma_f32 v23, v24, v7, -v6
	ds_load_b128 v[5:8], v21 offset:784
	v_mul_f32_e32 v24, v26, v2
	v_mul_f32_e32 v4, v29, v4
	;; [unrolled: 1-line block ×5, first 2 shown]
	v_dual_mul_f32 v2, v27, v2 :: v_dual_fmac_f32 v25, v29, v3
	v_fmac_f32_e32 v24, v27, v1
	v_fma_f32 v27, v28, v3, -v4
	v_fmac_f32_e32 v34, v31, v9
	v_fma_f32 v28, v30, v9, -v10
	;; [unrolled: 2-line block ×3, first 2 shown]
	ds_load_b128 v[9:12], v21 offset:800
	s_wait_loadcnt_dscnt 0x201
	v_mul_f32_e32 v30, v5, v14
	v_dual_mul_f32 v14, v6, v14 :: v_dual_mul_f32 v31, v7, v16
	v_mul_f32_e32 v16, v8, v16
	s_delay_alu instid0(VALU_DEP_3) | instskip(NEXT) | instid1(VALU_DEP_3)
	v_fmac_f32_e32 v30, v6, v13
	v_fma_f32 v13, v5, v13, -v14
	s_delay_alu instid0(VALU_DEP_4) | instskip(NEXT) | instid1(VALU_DEP_4)
	v_fmac_f32_e32 v31, v8, v15
	v_fma_f32 v14, v7, v15, -v16
	ds_load_b128 v[5:8], v21 offset:816
	s_wait_loadcnt_dscnt 0x101
	v_mul_f32_e32 v15, v9, v18
	v_mul_f32_e32 v16, v10, v18
	;; [unrolled: 1-line block ×3, first 2 shown]
	s_delay_alu instid0(VALU_DEP_3)
	v_dual_mul_f32 v20, v12, v20 :: v_dual_fmac_f32 v15, v10, v17
	v_fma_f32 v26, v26, v1, -v2
	scratch_load_b128 v[1:4], off, off offset:320
	v_fma_f32 v16, v9, v17, -v16
	v_fmac_f32_e32 v18, v12, v19
	v_fma_f32 v17, v11, v19, -v20
	scratch_load_b128 v[9:12], off, off offset:336
	s_wait_loadcnt_dscnt 0x100
	v_mul_f32_e32 v19, v5, v2
	v_mul_f32_e32 v2, v6, v2
	;; [unrolled: 1-line block ×3, first 2 shown]
	s_delay_alu instid0(VALU_DEP_3) | instskip(NEXT) | instid1(VALU_DEP_3)
	v_dual_mul_f32 v4, v8, v4 :: v_dual_fmac_f32 v19, v6, v1
	v_fma_f32 v32, v5, v1, -v2
	s_delay_alu instid0(VALU_DEP_3) | instskip(NEXT) | instid1(VALU_DEP_3)
	v_fmac_f32_e32 v20, v8, v3
	v_fma_f32 v33, v7, v3, -v4
	ds_load_b128 v[1:4], v21 offset:832
	ds_load_b128 v[5:8], v21 offset:848
	s_wait_loadcnt_dscnt 0x1
	v_mul_f32_e32 v41, v1, v10
	v_mul_f32_e32 v10, v2, v10
	s_delay_alu instid0(VALU_DEP_2) | instskip(NEXT) | instid1(VALU_DEP_2)
	v_dual_mul_f32 v42, v3, v12 :: v_dual_fmac_f32 v41, v2, v9
	v_fma_f32 v43, v1, v9, -v10
	v_mul_f32_e32 v1, v4, v12
	s_delay_alu instid0(VALU_DEP_3) | instskip(NEXT) | instid1(VALU_DEP_2)
	v_fmac_f32_e32 v42, v4, v11
	v_fma_f32 v44, v3, v11, -v1
	s_clause 0x1
	scratch_load_b128 v[1:4], off, off offset:352
	scratch_load_b128 v[9:12], off, off offset:368
	s_wait_loadcnt_dscnt 0x100
	v_mul_f32_e32 v169, v5, v2
	v_dual_mul_f32 v2, v6, v2 :: v_dual_mul_f32 v171, v7, v4
	s_delay_alu instid0(VALU_DEP_2) | instskip(NEXT) | instid1(VALU_DEP_2)
	v_fmac_f32_e32 v169, v6, v1
	v_fma_f32 v170, v5, v1, -v2
	v_mul_f32_e32 v1, v8, v4
	s_delay_alu instid0(VALU_DEP_4) | instskip(NEXT) | instid1(VALU_DEP_2)
	v_fmac_f32_e32 v171, v8, v3
	v_fma_f32 v172, v7, v3, -v1
	ds_load_b128 v[1:4], v21 offset:864
	ds_load_b128 v[5:8], v21 offset:880
	s_wait_loadcnt_dscnt 0x1
	v_mul_f32_e32 v173, v1, v10
	v_mul_f32_e32 v175, v3, v12
	s_delay_alu instid0(VALU_DEP_2) | instskip(NEXT) | instid1(VALU_DEP_2)
	v_fmac_f32_e32 v173, v2, v9
	v_dual_mul_f32 v2, v2, v10 :: v_dual_fmac_f32 v175, v4, v11
	s_delay_alu instid0(VALU_DEP_1) | instskip(SKIP_1) | instid1(VALU_DEP_1)
	v_fma_f32 v174, v1, v9, -v2
	v_mul_f32_e32 v1, v4, v12
	v_fma_f32 v176, v3, v11, -v1
	s_clause 0x1
	scratch_load_b128 v[1:4], off, off offset:384
	scratch_load_b128 v[9:12], off, off offset:400
	s_wait_loadcnt_dscnt 0x100
	v_mul_f32_e32 v177, v5, v2
	v_dual_mul_f32 v2, v6, v2 :: v_dual_mul_f32 v179, v7, v4
	s_delay_alu instid0(VALU_DEP_2) | instskip(NEXT) | instid1(VALU_DEP_2)
	v_fmac_f32_e32 v177, v6, v1
	v_fma_f32 v178, v5, v1, -v2
	v_mul_f32_e32 v1, v8, v4
	s_delay_alu instid0(VALU_DEP_4) | instskip(NEXT) | instid1(VALU_DEP_2)
	v_fmac_f32_e32 v179, v8, v3
	v_fma_f32 v180, v7, v3, -v1
	ds_load_b128 v[1:4], v21 offset:896
	ds_load_b128 v[5:8], v21 offset:912
	s_wait_loadcnt_dscnt 0x1
	v_mul_f32_e32 v181, v1, v10
	v_mul_f32_e32 v183, v3, v12
	s_delay_alu instid0(VALU_DEP_2) | instskip(NEXT) | instid1(VALU_DEP_2)
	v_fmac_f32_e32 v181, v2, v9
	v_dual_mul_f32 v2, v2, v10 :: v_dual_fmac_f32 v183, v4, v11
	s_delay_alu instid0(VALU_DEP_1) | instskip(SKIP_1) | instid1(VALU_DEP_1)
	v_fma_f32 v182, v1, v9, -v2
	v_mul_f32_e32 v1, v4, v12
	v_fma_f32 v184, v3, v11, -v1
	s_clause 0x1
	scratch_load_b128 v[1:4], off, off offset:416
	scratch_load_b128 v[9:12], off, off offset:432
	s_wait_loadcnt_dscnt 0x100
	v_mul_f32_e32 v185, v5, v2
	v_dual_mul_f32 v2, v6, v2 :: v_dual_mul_f32 v187, v7, v4
	s_delay_alu instid0(VALU_DEP_1) | instskip(NEXT) | instid1(VALU_DEP_2)
	v_fma_f32 v186, v5, v1, -v2
	v_dual_fmac_f32 v187, v8, v3 :: v_dual_add_f32 v2, 0, v38
	s_delay_alu instid0(VALU_DEP_1) | instskip(NEXT) | instid1(VALU_DEP_1)
	v_add_f32_e32 v2, v2, v39
	v_add_f32_e32 v2, v2, v24
	s_delay_alu instid0(VALU_DEP_1) | instskip(NEXT) | instid1(VALU_DEP_1)
	v_add_f32_e32 v2, v2, v25
	v_add_f32_e32 v2, v2, v34
	;; [unrolled: 3-line block ×5, first 2 shown]
	v_fmac_f32_e32 v185, v6, v1
	v_mul_f32_e32 v1, v8, v4
	s_delay_alu instid0(VALU_DEP_1) | instskip(SKIP_1) | instid1(VALU_DEP_1)
	v_fma_f32 v188, v7, v3, -v1
	v_add_f32_e32 v1, 0, v22
	v_add_f32_e32 v1, v1, v23
	s_delay_alu instid0(VALU_DEP_1) | instskip(NEXT) | instid1(VALU_DEP_1)
	v_add_f32_e32 v1, v1, v26
	v_add_f32_e32 v1, v1, v27
	s_delay_alu instid0(VALU_DEP_1) | instskip(NEXT) | instid1(VALU_DEP_1)
	;; [unrolled: 3-line block ×3, first 2 shown]
	v_add_f32_e32 v1, v1, v13
	v_add_f32_e32 v1, v1, v14
	;; [unrolled: 1-line block ×3, first 2 shown]
	s_delay_alu instid0(VALU_DEP_1) | instskip(NEXT) | instid1(VALU_DEP_1)
	v_dual_add_f32 v1, v1, v16 :: v_dual_add_f32 v14, v14, v41
	v_add_f32_e32 v6, v1, v17
	s_delay_alu instid0(VALU_DEP_2) | instskip(SKIP_3) | instid1(VALU_DEP_1)
	v_add_f32_e32 v14, v14, v42
	ds_load_b128 v[1:4], v21 offset:928
	v_add_f32_e32 v6, v6, v32
	v_add_f32_e32 v17, v14, v169
	;; [unrolled: 1-line block ×3, first 2 shown]
	s_delay_alu instid0(VALU_DEP_1) | instskip(NEXT) | instid1(VALU_DEP_1)
	v_add_f32_e32 v17, v17, v173
	v_add_f32_e32 v17, v17, v175
	s_delay_alu instid0(VALU_DEP_1)
	v_add_f32_e32 v23, v17, v177
	v_add_f32_e32 v13, v6, v33
	ds_load_b128 v[5:8], v21 offset:944
	s_wait_loadcnt_dscnt 0x1
	v_mul_f32_e32 v26, v3, v12
	v_mul_f32_e32 v12, v4, v12
	v_add_f32_e32 v30, v23, v179
	v_add_f32_e32 v13, v13, v43
	s_delay_alu instid0(VALU_DEP_4) | instskip(NEXT) | instid1(VALU_DEP_4)
	v_fmac_f32_e32 v26, v4, v11
	v_fma_f32 v28, v3, v11, -v12
	s_delay_alu instid0(VALU_DEP_3) | instskip(NEXT) | instid1(VALU_DEP_1)
	v_dual_add_f32 v30, v30, v181 :: v_dual_add_f32 v13, v13, v44
	v_dual_add_f32 v30, v30, v183 :: v_dual_add_f32 v13, v13, v170
	s_delay_alu instid0(VALU_DEP_1) | instskip(NEXT) | instid1(VALU_DEP_2)
	v_add_f32_e32 v30, v30, v185
	v_add_f32_e32 v18, v13, v172
	scratch_load_b128 v[13:16], off, off offset:480
	v_add_f32_e32 v30, v30, v187
	v_add_f32_e32 v18, v18, v174
	v_mul_f32_e32 v25, v1, v10
	v_mul_f32_e32 v10, v2, v10
	s_delay_alu instid0(VALU_DEP_3) | instskip(NEXT) | instid1(VALU_DEP_3)
	v_add_f32_e32 v18, v18, v176
	v_fmac_f32_e32 v25, v2, v9
	s_delay_alu instid0(VALU_DEP_3)
	v_fma_f32 v27, v1, v9, -v10
	s_clause 0x1
	scratch_load_b128 v[1:4], off, off offset:448
	scratch_load_b128 v[9:12], off, off offset:464
	v_add_f32_e32 v22, v18, v178
	ds_load_b128 v[17:20], v21 offset:960
	v_add_f32_e32 v29, v22, v180
	ds_load_b128 v[21:24], v21 offset:976
	s_wait_loadcnt_dscnt 0x200
	v_mul_f32_e32 v38, v21, v14
	s_delay_alu instid0(VALU_DEP_1) | instskip(NEXT) | instid1(VALU_DEP_1)
	v_dual_add_f32 v29, v29, v182 :: v_dual_fmac_f32 v38, v22, v13
	v_add_f32_e32 v29, v29, v184
	s_wait_loadcnt 0x1
	v_dual_mul_f32 v31, v5, v2 :: v_dual_mul_f32 v32, v7, v4
	v_mul_f32_e32 v2, v6, v2
	s_delay_alu instid0(VALU_DEP_3) | instskip(SKIP_3) | instid1(VALU_DEP_3)
	v_add_f32_e32 v29, v29, v186
	s_wait_loadcnt 0x0
	v_dual_mul_f32 v33, v17, v10 :: v_dual_mul_f32 v4, v8, v4
	v_dual_fmac_f32 v32, v8, v3 :: v_dual_fmac_f32 v31, v6, v1
	v_dual_add_f32 v29, v29, v188 :: v_dual_mul_f32 v6, v18, v10
	v_dual_add_f32 v25, v30, v25 :: v_dual_mul_f32 v34, v19, v12
	v_fma_f32 v2, v5, v1, -v2
	s_delay_alu instid0(VALU_DEP_3) | instskip(SKIP_1) | instid1(VALU_DEP_4)
	v_add_f32_e32 v27, v29, v27
	v_mul_f32_e32 v29, v23, v16
	v_add_f32_e32 v5, v25, v26
	v_fma_f32 v3, v7, v3, -v4
	v_dual_mul_f32 v4, v20, v12 :: v_dual_fmac_f32 v33, v18, v9
	v_dual_add_f32 v1, v27, v28 :: v_dual_fmac_f32 v34, v20, v11
	v_fmac_f32_e32 v29, v24, v15
	s_delay_alu instid0(VALU_DEP_3) | instskip(NEXT) | instid1(VALU_DEP_3)
	v_fma_f32 v4, v19, v11, -v4
	v_add_f32_e32 v1, v1, v2
	v_add_f32_e32 v2, v5, v31
	v_fma_f32 v5, v17, v9, -v6
	s_delay_alu instid0(VALU_DEP_2) | instskip(NEXT) | instid1(VALU_DEP_1)
	v_add_f32_e32 v2, v2, v32
	v_add_f32_e32 v2, v2, v33
	s_delay_alu instid0(VALU_DEP_1) | instskip(NEXT) | instid1(VALU_DEP_1)
	v_add_f32_e32 v2, v2, v34
	v_add_f32_e32 v2, v2, v38
	s_delay_alu instid0(VALU_DEP_1) | instskip(SKIP_1) | instid1(VALU_DEP_2)
	v_dual_add_f32 v2, v2, v29 :: v_dual_add_f32 v1, v1, v3
	v_mul_f32_e32 v3, v22, v14
	v_sub_f32_e32 v2, v37, v2
	s_delay_alu instid0(VALU_DEP_3) | instskip(SKIP_1) | instid1(VALU_DEP_4)
	v_add_f32_e32 v1, v1, v5
	v_mul_f32_e32 v5, v24, v16
	v_fma_f32 v3, v21, v13, -v3
	s_delay_alu instid0(VALU_DEP_3) | instskip(NEXT) | instid1(VALU_DEP_3)
	v_add_f32_e32 v1, v1, v4
	v_fma_f32 v4, v23, v15, -v5
	s_delay_alu instid0(VALU_DEP_2) | instskip(NEXT) | instid1(VALU_DEP_1)
	v_add_f32_e32 v1, v1, v3
	v_add_f32_e32 v1, v1, v4
	s_delay_alu instid0(VALU_DEP_1)
	v_sub_f32_e32 v1, v36, v1
	scratch_store_b64 off, v[1:2], off offset:232
	v_cmpx_lt_u32_e32 28, v0
	s_cbranch_execz .LBB61_329
; %bb.328:
	scratch_load_b64 v[1:2], off, off offset:224
	v_mov_b32_e32 v3, 0
	s_delay_alu instid0(VALU_DEP_1)
	v_mov_b32_e32 v4, v3
	scratch_store_b64 off, v[3:4], off offset:224
	s_wait_loadcnt 0x0
	ds_store_b64 v35, v[1:2]
.LBB61_329:
	s_wait_alu 0xfffe
	s_or_b32 exec_lo, exec_lo, s0
	s_wait_storecnt_dscnt 0x0
	s_barrier_signal -1
	s_barrier_wait -1
	global_inv scope:SCOPE_SE
	s_clause 0x4
	scratch_load_b128 v[5:8], off, off offset:232
	scratch_load_b128 v[1:4], off, off offset:248
	;; [unrolled: 1-line block ×5, first 2 shown]
	v_mov_b32_e32 v21, 0
	ds_load_2addr_b64 v[22:25], v21 offset0:91 offset1:92
	ds_load_2addr_b64 v[26:29], v21 offset0:93 offset1:94
	;; [unrolled: 1-line block ×3, first 2 shown]
	scratch_load_b64 v[36:37], off, off offset:224
	s_mov_b32 s0, exec_lo
	s_wait_loadcnt_dscnt 0x502
	v_mul_f32_e32 v34, v23, v6
	v_dual_mul_f32 v38, v22, v6 :: v_dual_mul_f32 v39, v24, v8
	v_mul_f32_e32 v6, v25, v8
	s_wait_loadcnt_dscnt 0x300
	v_mul_f32_e32 v40, v32, v12
	v_fma_f32 v22, v22, v5, -v34
	v_dual_fmac_f32 v38, v23, v5 :: v_dual_fmac_f32 v39, v25, v7
	v_fma_f32 v23, v24, v7, -v6
	v_dual_mul_f32 v24, v26, v2 :: v_dual_mul_f32 v25, v28, v4
	v_mul_f32_e32 v2, v27, v2
	v_mul_f32_e32 v4, v29, v4
	ds_load_2addr_b64 v[5:8], v21 offset0:97 offset1:98
	v_mul_f32_e32 v34, v30, v10
	v_dual_fmac_f32 v24, v27, v1 :: v_dual_fmac_f32 v25, v29, v3
	v_fma_f32 v26, v26, v1, -v2
	v_fma_f32 v27, v28, v3, -v4
	v_mul_f32_e32 v12, v33, v12
	scratch_load_b128 v[1:4], off, off offset:312
	v_mul_f32_e32 v10, v31, v10
	v_fmac_f32_e32 v34, v31, v9
	v_fmac_f32_e32 v40, v33, v11
	v_fma_f32 v29, v32, v11, -v12
	s_delay_alu instid0(VALU_DEP_4)
	v_fma_f32 v28, v30, v9, -v10
	ds_load_2addr_b64 v[9:12], v21 offset0:99 offset1:100
	s_wait_loadcnt_dscnt 0x301
	v_mul_f32_e32 v30, v5, v14
	v_dual_mul_f32 v14, v6, v14 :: v_dual_mul_f32 v31, v7, v16
	v_mul_f32_e32 v16, v8, v16
	s_delay_alu instid0(VALU_DEP_3) | instskip(NEXT) | instid1(VALU_DEP_3)
	v_fmac_f32_e32 v30, v6, v13
	v_fma_f32 v13, v5, v13, -v14
	s_delay_alu instid0(VALU_DEP_4) | instskip(NEXT) | instid1(VALU_DEP_4)
	v_fmac_f32_e32 v31, v8, v15
	v_fma_f32 v14, v7, v15, -v16
	ds_load_2addr_b64 v[5:8], v21 offset0:101 offset1:102
	s_wait_loadcnt_dscnt 0x201
	v_mul_f32_e32 v15, v9, v18
	v_mul_f32_e32 v16, v10, v18
	;; [unrolled: 1-line block ×3, first 2 shown]
	s_delay_alu instid0(VALU_DEP_3) | instskip(NEXT) | instid1(VALU_DEP_3)
	v_dual_mul_f32 v20, v12, v20 :: v_dual_fmac_f32 v15, v10, v17
	v_fma_f32 v16, v9, v17, -v16
	s_delay_alu instid0(VALU_DEP_3) | instskip(NEXT) | instid1(VALU_DEP_3)
	v_fmac_f32_e32 v18, v12, v19
	v_fma_f32 v17, v11, v19, -v20
	scratch_load_b128 v[9:12], off, off offset:328
	s_wait_loadcnt_dscnt 0x100
	v_mul_f32_e32 v19, v5, v2
	v_mul_f32_e32 v2, v6, v2
	v_mul_f32_e32 v20, v7, v4
	s_delay_alu instid0(VALU_DEP_3) | instskip(NEXT) | instid1(VALU_DEP_3)
	v_dual_mul_f32 v4, v8, v4 :: v_dual_fmac_f32 v19, v6, v1
	v_fma_f32 v32, v5, v1, -v2
	s_delay_alu instid0(VALU_DEP_3) | instskip(NEXT) | instid1(VALU_DEP_3)
	v_fmac_f32_e32 v20, v8, v3
	v_fma_f32 v33, v7, v3, -v4
	ds_load_2addr_b64 v[1:4], v21 offset0:103 offset1:104
	ds_load_2addr_b64 v[5:8], v21 offset0:105 offset1:106
	s_wait_loadcnt_dscnt 0x1
	v_mul_f32_e32 v41, v1, v10
	v_mul_f32_e32 v10, v2, v10
	s_delay_alu instid0(VALU_DEP_2) | instskip(NEXT) | instid1(VALU_DEP_2)
	v_dual_mul_f32 v42, v3, v12 :: v_dual_fmac_f32 v41, v2, v9
	v_fma_f32 v43, v1, v9, -v10
	v_mul_f32_e32 v1, v4, v12
	s_delay_alu instid0(VALU_DEP_3) | instskip(NEXT) | instid1(VALU_DEP_2)
	v_fmac_f32_e32 v42, v4, v11
	v_fma_f32 v44, v3, v11, -v1
	s_clause 0x1
	scratch_load_b128 v[1:4], off, off offset:344
	scratch_load_b128 v[9:12], off, off offset:360
	s_wait_loadcnt_dscnt 0x100
	v_mul_f32_e32 v169, v5, v2
	v_dual_mul_f32 v2, v6, v2 :: v_dual_mul_f32 v171, v7, v4
	s_delay_alu instid0(VALU_DEP_2) | instskip(NEXT) | instid1(VALU_DEP_2)
	v_fmac_f32_e32 v169, v6, v1
	v_fma_f32 v170, v5, v1, -v2
	v_mul_f32_e32 v1, v8, v4
	s_delay_alu instid0(VALU_DEP_4) | instskip(NEXT) | instid1(VALU_DEP_2)
	v_fmac_f32_e32 v171, v8, v3
	v_fma_f32 v172, v7, v3, -v1
	ds_load_2addr_b64 v[1:4], v21 offset0:107 offset1:108
	ds_load_2addr_b64 v[5:8], v21 offset0:109 offset1:110
	s_wait_loadcnt_dscnt 0x1
	v_mul_f32_e32 v173, v1, v10
	v_mul_f32_e32 v175, v3, v12
	s_delay_alu instid0(VALU_DEP_2) | instskip(NEXT) | instid1(VALU_DEP_2)
	v_fmac_f32_e32 v173, v2, v9
	v_dual_mul_f32 v2, v2, v10 :: v_dual_fmac_f32 v175, v4, v11
	s_delay_alu instid0(VALU_DEP_1) | instskip(SKIP_1) | instid1(VALU_DEP_1)
	v_fma_f32 v174, v1, v9, -v2
	v_mul_f32_e32 v1, v4, v12
	v_fma_f32 v176, v3, v11, -v1
	s_clause 0x1
	scratch_load_b128 v[1:4], off, off offset:376
	scratch_load_b128 v[9:12], off, off offset:392
	s_wait_loadcnt_dscnt 0x100
	v_mul_f32_e32 v177, v5, v2
	v_dual_mul_f32 v2, v6, v2 :: v_dual_mul_f32 v179, v7, v4
	s_delay_alu instid0(VALU_DEP_2) | instskip(NEXT) | instid1(VALU_DEP_2)
	v_fmac_f32_e32 v177, v6, v1
	v_fma_f32 v178, v5, v1, -v2
	v_mul_f32_e32 v1, v8, v4
	s_delay_alu instid0(VALU_DEP_4) | instskip(NEXT) | instid1(VALU_DEP_2)
	v_fmac_f32_e32 v179, v8, v3
	v_fma_f32 v180, v7, v3, -v1
	ds_load_2addr_b64 v[1:4], v21 offset0:111 offset1:112
	ds_load_2addr_b64 v[5:8], v21 offset0:113 offset1:114
	s_wait_loadcnt_dscnt 0x1
	v_mul_f32_e32 v181, v1, v10
	v_mul_f32_e32 v183, v3, v12
	s_delay_alu instid0(VALU_DEP_2) | instskip(NEXT) | instid1(VALU_DEP_2)
	v_fmac_f32_e32 v181, v2, v9
	v_dual_mul_f32 v2, v2, v10 :: v_dual_fmac_f32 v183, v4, v11
	s_delay_alu instid0(VALU_DEP_1) | instskip(SKIP_1) | instid1(VALU_DEP_1)
	v_fma_f32 v182, v1, v9, -v2
	v_mul_f32_e32 v1, v4, v12
	v_fma_f32 v184, v3, v11, -v1
	s_clause 0x1
	scratch_load_b128 v[1:4], off, off offset:408
	scratch_load_b128 v[9:12], off, off offset:424
	s_wait_loadcnt_dscnt 0x100
	v_mul_f32_e32 v185, v5, v2
	v_dual_mul_f32 v2, v6, v2 :: v_dual_mul_f32 v187, v7, v4
	s_delay_alu instid0(VALU_DEP_1) | instskip(SKIP_1) | instid1(VALU_DEP_1)
	v_fma_f32 v186, v5, v1, -v2
	v_add_f32_e32 v2, 0, v38
	v_add_f32_e32 v2, v2, v39
	s_delay_alu instid0(VALU_DEP_1) | instskip(NEXT) | instid1(VALU_DEP_1)
	v_dual_fmac_f32 v187, v8, v3 :: v_dual_add_f32 v2, v2, v24
	v_add_f32_e32 v2, v2, v25
	s_delay_alu instid0(VALU_DEP_1) | instskip(NEXT) | instid1(VALU_DEP_1)
	v_add_f32_e32 v2, v2, v34
	v_add_f32_e32 v2, v2, v40
	s_delay_alu instid0(VALU_DEP_1) | instskip(NEXT) | instid1(VALU_DEP_1)
	v_add_f32_e32 v2, v2, v30
	;; [unrolled: 3-line block ×3, first 2 shown]
	v_add_f32_e32 v5, v5, v18
	s_delay_alu instid0(VALU_DEP_1) | instskip(SKIP_2) | instid1(VALU_DEP_1)
	v_add_f32_e32 v5, v5, v19
	v_fmac_f32_e32 v185, v6, v1
	v_mul_f32_e32 v1, v8, v4
	v_fma_f32 v188, v7, v3, -v1
	v_add_f32_e32 v1, 0, v22
	s_delay_alu instid0(VALU_DEP_1) | instskip(NEXT) | instid1(VALU_DEP_1)
	v_add_f32_e32 v1, v1, v23
	v_add_f32_e32 v1, v1, v26
	s_delay_alu instid0(VALU_DEP_1) | instskip(SKIP_2) | instid1(VALU_DEP_1)
	v_add_f32_e32 v1, v1, v27
	scratch_load_b64 v[26:27], off, off offset:488
	v_add_f32_e32 v1, v1, v28
	v_add_f32_e32 v1, v1, v29
	s_delay_alu instid0(VALU_DEP_1) | instskip(NEXT) | instid1(VALU_DEP_1)
	v_add_f32_e32 v1, v1, v13
	v_add_f32_e32 v1, v1, v14
	;; [unrolled: 1-line block ×3, first 2 shown]
	s_delay_alu instid0(VALU_DEP_1) | instskip(NEXT) | instid1(VALU_DEP_1)
	v_dual_add_f32 v1, v1, v16 :: v_dual_add_f32 v14, v14, v41
	v_add_f32_e32 v6, v1, v17
	ds_load_2addr_b64 v[1:4], v21 offset0:115 offset1:116
	v_add_f32_e32 v14, v14, v42
	v_add_f32_e32 v6, v6, v32
	s_delay_alu instid0(VALU_DEP_1) | instskip(SKIP_4) | instid1(VALU_DEP_1)
	v_add_f32_e32 v13, v6, v33
	ds_load_2addr_b64 v[5:8], v21 offset0:117 offset1:118
	s_wait_loadcnt_dscnt 0x101
	v_mul_f32_e32 v30, v1, v10
	v_dual_add_f32 v13, v13, v43 :: v_dual_mul_f32 v10, v2, v10
	v_dual_fmac_f32 v30, v2, v9 :: v_dual_add_f32 v13, v13, v44
	s_delay_alu instid0(VALU_DEP_2) | instskip(NEXT) | instid1(VALU_DEP_2)
	v_fma_f32 v32, v1, v9, -v10
	v_add_f32_e32 v13, v13, v170
	s_delay_alu instid0(VALU_DEP_1) | instskip(SKIP_2) | instid1(VALU_DEP_1)
	v_dual_add_f32 v17, v14, v169 :: v_dual_add_f32 v18, v13, v172
	scratch_load_b128 v[13:16], off, off offset:472
	v_add_f32_e32 v18, v18, v174
	v_add_f32_e32 v18, v18, v176
	v_mul_f32_e32 v31, v3, v12
	v_mul_f32_e32 v12, v4, v12
	s_delay_alu instid0(VALU_DEP_2) | instskip(NEXT) | instid1(VALU_DEP_2)
	v_dual_add_f32 v18, v18, v178 :: v_dual_fmac_f32 v31, v4, v11
	v_fma_f32 v33, v3, v11, -v12
	s_clause 0x1
	scratch_load_b128 v[1:4], off, off offset:440
	scratch_load_b128 v[9:12], off, off offset:456
	v_add_f32_e32 v18, v18, v180
	s_delay_alu instid0(VALU_DEP_1) | instskip(NEXT) | instid1(VALU_DEP_1)
	v_add_f32_e32 v28, v18, v182
	v_dual_add_f32 v34, v28, v184 :: v_dual_add_f32 v17, v17, v171
	s_delay_alu instid0(VALU_DEP_1) | instskip(NEXT) | instid1(VALU_DEP_1)
	v_dual_add_f32 v34, v34, v186 :: v_dual_add_f32 v17, v17, v173
	v_dual_add_f32 v34, v34, v188 :: v_dual_add_f32 v17, v17, v175
	s_delay_alu instid0(VALU_DEP_1) | instskip(SKIP_3) | instid1(VALU_DEP_3)
	v_add_f32_e32 v17, v17, v177
	s_wait_loadcnt_dscnt 0x100
	v_mul_f32_e32 v39, v5, v2
	v_mul_f32_e32 v2, v6, v2
	v_add_f32_e32 v22, v17, v179
	ds_load_2addr_b64 v[17:20], v21 offset0:119 offset1:120
	v_mul_f32_e32 v40, v7, v4
	v_fma_f32 v2, v5, v1, -v2
	v_add_f32_e32 v29, v22, v181
	ds_load_2addr_b64 v[22:25], v21 offset0:121 offset1:122
	v_fmac_f32_e32 v40, v8, v3
	v_add_f32_e32 v38, v29, v183
	ds_load_b64 v[28:29], v21 offset:984
	v_add_f32_e32 v32, v34, v32
	s_wait_loadcnt_dscnt 0x2
	v_dual_mul_f32 v34, v17, v10 :: v_dual_mul_f32 v5, v20, v12
	s_wait_dscnt 0x1
	v_mul_f32_e32 v41, v22, v14
	v_add_f32_e32 v38, v38, v185
	s_delay_alu instid0(VALU_DEP_3) | instskip(SKIP_1) | instid1(VALU_DEP_3)
	v_fma_f32 v5, v19, v11, -v5
	v_fmac_f32_e32 v34, v18, v9
	v_dual_fmac_f32 v41, v23, v13 :: v_dual_add_f32 v38, v38, v187
	v_dual_mul_f32 v4, v8, v4 :: v_dual_fmac_f32 v39, v6, v1
	s_delay_alu instid0(VALU_DEP_1) | instskip(SKIP_1) | instid1(VALU_DEP_1)
	v_fma_f32 v1, v7, v3, -v4
	v_mul_f32_e32 v3, v18, v10
	v_fma_f32 v3, v17, v9, -v3
	v_add_f32_e32 v30, v38, v30
	s_delay_alu instid0(VALU_DEP_1) | instskip(SKIP_3) | instid1(VALU_DEP_3)
	v_add_f32_e32 v30, v30, v31
	s_wait_dscnt 0x0
	v_mul_f32_e32 v31, v28, v27
	v_add_f32_e32 v32, v32, v33
	v_dual_mul_f32 v33, v24, v16 :: v_dual_add_f32 v4, v30, v39
	s_delay_alu instid0(VALU_DEP_3) | instskip(NEXT) | instid1(VALU_DEP_3)
	v_fmac_f32_e32 v31, v29, v26
	v_add_f32_e32 v2, v32, v2
	s_delay_alu instid0(VALU_DEP_3) | instskip(NEXT) | instid1(VALU_DEP_2)
	v_dual_mul_f32 v38, v19, v12 :: v_dual_fmac_f32 v33, v25, v15
	v_dual_add_f32 v1, v2, v1 :: v_dual_add_f32 v2, v4, v40
	s_delay_alu instid0(VALU_DEP_1) | instskip(SKIP_1) | instid1(VALU_DEP_2)
	v_add_f32_e32 v1, v1, v3
	v_mul_f32_e32 v3, v25, v16
	v_add_f32_e32 v1, v1, v5
	s_delay_alu instid0(VALU_DEP_2) | instskip(SKIP_1) | instid1(VALU_DEP_1)
	v_fma_f32 v3, v24, v15, -v3
	v_dual_mul_f32 v4, v23, v14 :: v_dual_mul_f32 v5, v29, v27
	v_fma_f32 v4, v22, v13, -v4
	s_delay_alu instid0(VALU_DEP_1) | instskip(NEXT) | instid1(VALU_DEP_3)
	v_dual_fmac_f32 v38, v20, v11 :: v_dual_add_f32 v1, v1, v4
	v_fma_f32 v4, v28, v26, -v5
	s_delay_alu instid0(VALU_DEP_2) | instskip(NEXT) | instid1(VALU_DEP_1)
	v_dual_add_f32 v1, v1, v3 :: v_dual_add_f32 v2, v2, v34
	v_dual_add_f32 v1, v1, v4 :: v_dual_add_f32 v2, v2, v38
	s_delay_alu instid0(VALU_DEP_1) | instskip(NEXT) | instid1(VALU_DEP_2)
	v_sub_f32_e32 v1, v36, v1
	v_add_f32_e32 v2, v2, v41
	s_delay_alu instid0(VALU_DEP_1) | instskip(NEXT) | instid1(VALU_DEP_1)
	v_add_f32_e32 v2, v2, v33
	v_add_f32_e32 v2, v2, v31
	s_delay_alu instid0(VALU_DEP_1)
	v_sub_f32_e32 v2, v37, v2
	scratch_store_b64 off, v[1:2], off offset:224
	v_cmpx_lt_u32_e32 27, v0
	s_cbranch_execz .LBB61_331
; %bb.330:
	scratch_load_b64 v[1:2], off, off offset:216
	v_mov_b32_e32 v22, v21
	scratch_store_b64 off, v[21:22], off offset:216
	s_wait_loadcnt 0x0
	ds_store_b64 v35, v[1:2]
.LBB61_331:
	s_wait_alu 0xfffe
	s_or_b32 exec_lo, exec_lo, s0
	s_wait_storecnt_dscnt 0x0
	s_barrier_signal -1
	s_barrier_wait -1
	global_inv scope:SCOPE_SE
	s_clause 0x4
	scratch_load_b128 v[5:8], off, off offset:224
	scratch_load_b128 v[1:4], off, off offset:240
	;; [unrolled: 1-line block ×5, first 2 shown]
	ds_load_b128 v[22:25], v21 offset:720
	ds_load_b128 v[26:29], v21 offset:736
	ds_load_b128 v[30:33], v21 offset:752
	scratch_load_b64 v[36:37], off, off offset:216
	s_mov_b32 s0, exec_lo
	s_wait_loadcnt_dscnt 0x502
	v_dual_mul_f32 v34, v23, v6 :: v_dual_mul_f32 v39, v24, v8
	v_mul_f32_e32 v38, v22, v6
	v_mul_f32_e32 v6, v25, v8
	s_wait_loadcnt_dscnt 0x300
	v_mul_f32_e32 v40, v32, v12
	v_fma_f32 v22, v22, v5, -v34
	v_dual_fmac_f32 v39, v25, v7 :: v_dual_fmac_f32 v38, v23, v5
	v_mul_f32_e32 v25, v28, v4
	v_fma_f32 v23, v24, v7, -v6
	ds_load_b128 v[5:8], v21 offset:768
	v_mul_f32_e32 v24, v26, v2
	v_mul_f32_e32 v4, v29, v4
	;; [unrolled: 1-line block ×5, first 2 shown]
	v_dual_mul_f32 v2, v27, v2 :: v_dual_fmac_f32 v25, v29, v3
	v_fmac_f32_e32 v24, v27, v1
	v_fma_f32 v27, v28, v3, -v4
	v_fmac_f32_e32 v34, v31, v9
	v_fma_f32 v28, v30, v9, -v10
	;; [unrolled: 2-line block ×3, first 2 shown]
	ds_load_b128 v[9:12], v21 offset:784
	s_wait_loadcnt_dscnt 0x201
	v_mul_f32_e32 v30, v5, v14
	v_dual_mul_f32 v14, v6, v14 :: v_dual_mul_f32 v31, v7, v16
	v_mul_f32_e32 v16, v8, v16
	s_delay_alu instid0(VALU_DEP_3) | instskip(NEXT) | instid1(VALU_DEP_3)
	v_fmac_f32_e32 v30, v6, v13
	v_fma_f32 v13, v5, v13, -v14
	s_delay_alu instid0(VALU_DEP_4) | instskip(NEXT) | instid1(VALU_DEP_4)
	v_fmac_f32_e32 v31, v8, v15
	v_fma_f32 v14, v7, v15, -v16
	ds_load_b128 v[5:8], v21 offset:800
	s_wait_loadcnt_dscnt 0x101
	v_mul_f32_e32 v15, v9, v18
	v_mul_f32_e32 v16, v10, v18
	v_mul_f32_e32 v18, v11, v20
	s_delay_alu instid0(VALU_DEP_3)
	v_dual_mul_f32 v20, v12, v20 :: v_dual_fmac_f32 v15, v10, v17
	v_fma_f32 v26, v26, v1, -v2
	scratch_load_b128 v[1:4], off, off offset:304
	v_fma_f32 v16, v9, v17, -v16
	v_fmac_f32_e32 v18, v12, v19
	v_fma_f32 v17, v11, v19, -v20
	scratch_load_b128 v[9:12], off, off offset:320
	s_wait_loadcnt_dscnt 0x100
	v_mul_f32_e32 v19, v5, v2
	v_mul_f32_e32 v2, v6, v2
	v_mul_f32_e32 v20, v7, v4
	s_delay_alu instid0(VALU_DEP_3) | instskip(NEXT) | instid1(VALU_DEP_3)
	v_dual_mul_f32 v4, v8, v4 :: v_dual_fmac_f32 v19, v6, v1
	v_fma_f32 v32, v5, v1, -v2
	s_delay_alu instid0(VALU_DEP_3) | instskip(NEXT) | instid1(VALU_DEP_3)
	v_fmac_f32_e32 v20, v8, v3
	v_fma_f32 v33, v7, v3, -v4
	ds_load_b128 v[1:4], v21 offset:816
	ds_load_b128 v[5:8], v21 offset:832
	s_wait_loadcnt_dscnt 0x1
	v_mul_f32_e32 v41, v1, v10
	v_mul_f32_e32 v10, v2, v10
	s_delay_alu instid0(VALU_DEP_2) | instskip(NEXT) | instid1(VALU_DEP_2)
	v_dual_mul_f32 v42, v3, v12 :: v_dual_fmac_f32 v41, v2, v9
	v_fma_f32 v43, v1, v9, -v10
	v_mul_f32_e32 v1, v4, v12
	s_delay_alu instid0(VALU_DEP_3) | instskip(NEXT) | instid1(VALU_DEP_2)
	v_fmac_f32_e32 v42, v4, v11
	v_fma_f32 v44, v3, v11, -v1
	s_clause 0x1
	scratch_load_b128 v[1:4], off, off offset:336
	scratch_load_b128 v[9:12], off, off offset:352
	s_wait_loadcnt_dscnt 0x100
	v_mul_f32_e32 v169, v5, v2
	v_dual_mul_f32 v2, v6, v2 :: v_dual_mul_f32 v171, v7, v4
	s_delay_alu instid0(VALU_DEP_2) | instskip(NEXT) | instid1(VALU_DEP_2)
	v_fmac_f32_e32 v169, v6, v1
	v_fma_f32 v170, v5, v1, -v2
	v_mul_f32_e32 v1, v8, v4
	s_delay_alu instid0(VALU_DEP_4) | instskip(NEXT) | instid1(VALU_DEP_2)
	v_fmac_f32_e32 v171, v8, v3
	v_fma_f32 v172, v7, v3, -v1
	ds_load_b128 v[1:4], v21 offset:848
	ds_load_b128 v[5:8], v21 offset:864
	s_wait_loadcnt_dscnt 0x1
	v_mul_f32_e32 v173, v1, v10
	v_mul_f32_e32 v175, v3, v12
	s_delay_alu instid0(VALU_DEP_2) | instskip(NEXT) | instid1(VALU_DEP_2)
	v_fmac_f32_e32 v173, v2, v9
	v_dual_mul_f32 v2, v2, v10 :: v_dual_fmac_f32 v175, v4, v11
	s_delay_alu instid0(VALU_DEP_1) | instskip(SKIP_1) | instid1(VALU_DEP_1)
	v_fma_f32 v174, v1, v9, -v2
	v_mul_f32_e32 v1, v4, v12
	v_fma_f32 v176, v3, v11, -v1
	s_clause 0x1
	scratch_load_b128 v[1:4], off, off offset:368
	scratch_load_b128 v[9:12], off, off offset:384
	s_wait_loadcnt_dscnt 0x100
	v_mul_f32_e32 v177, v5, v2
	v_dual_mul_f32 v2, v6, v2 :: v_dual_mul_f32 v179, v7, v4
	s_delay_alu instid0(VALU_DEP_2) | instskip(NEXT) | instid1(VALU_DEP_2)
	v_fmac_f32_e32 v177, v6, v1
	v_fma_f32 v178, v5, v1, -v2
	v_mul_f32_e32 v1, v8, v4
	s_delay_alu instid0(VALU_DEP_4) | instskip(NEXT) | instid1(VALU_DEP_2)
	v_fmac_f32_e32 v179, v8, v3
	v_fma_f32 v180, v7, v3, -v1
	ds_load_b128 v[1:4], v21 offset:880
	ds_load_b128 v[5:8], v21 offset:896
	s_wait_loadcnt_dscnt 0x1
	v_mul_f32_e32 v181, v1, v10
	v_mul_f32_e32 v183, v3, v12
	s_delay_alu instid0(VALU_DEP_2) | instskip(NEXT) | instid1(VALU_DEP_2)
	v_fmac_f32_e32 v181, v2, v9
	v_dual_mul_f32 v2, v2, v10 :: v_dual_fmac_f32 v183, v4, v11
	s_delay_alu instid0(VALU_DEP_1) | instskip(SKIP_1) | instid1(VALU_DEP_1)
	v_fma_f32 v182, v1, v9, -v2
	v_mul_f32_e32 v1, v4, v12
	v_fma_f32 v184, v3, v11, -v1
	s_clause 0x1
	scratch_load_b128 v[1:4], off, off offset:400
	scratch_load_b128 v[9:12], off, off offset:416
	s_wait_loadcnt_dscnt 0x100
	v_mul_f32_e32 v185, v5, v2
	v_dual_mul_f32 v2, v6, v2 :: v_dual_mul_f32 v187, v7, v4
	s_delay_alu instid0(VALU_DEP_1) | instskip(NEXT) | instid1(VALU_DEP_2)
	v_fma_f32 v186, v5, v1, -v2
	v_dual_fmac_f32 v187, v8, v3 :: v_dual_add_f32 v2, 0, v38
	s_delay_alu instid0(VALU_DEP_1) | instskip(SKIP_1) | instid1(VALU_DEP_2)
	v_add_f32_e32 v2, v2, v39
	v_fmac_f32_e32 v185, v6, v1
	v_add_f32_e32 v2, v2, v24
	s_delay_alu instid0(VALU_DEP_1) | instskip(NEXT) | instid1(VALU_DEP_1)
	v_dual_mul_f32 v1, v8, v4 :: v_dual_add_f32 v2, v2, v25
	v_fma_f32 v188, v7, v3, -v1
	s_delay_alu instid0(VALU_DEP_2) | instskip(NEXT) | instid1(VALU_DEP_1)
	v_add_f32_e32 v2, v2, v34
	v_dual_add_f32 v1, 0, v22 :: v_dual_add_f32 v2, v2, v40
	s_delay_alu instid0(VALU_DEP_1) | instskip(NEXT) | instid1(VALU_DEP_1)
	v_dual_add_f32 v1, v1, v23 :: v_dual_add_f32 v2, v2, v30
	v_dual_add_f32 v1, v1, v26 :: v_dual_add_f32 v2, v2, v31
	s_delay_alu instid0(VALU_DEP_1) | instskip(NEXT) | instid1(VALU_DEP_1)
	v_add_f32_e32 v1, v1, v27
	v_dual_add_f32 v2, v2, v15 :: v_dual_add_f32 v1, v1, v28
	s_delay_alu instid0(VALU_DEP_1) | instskip(NEXT) | instid1(VALU_DEP_2)
	v_add_f32_e32 v5, v2, v18
	v_add_f32_e32 v1, v1, v29
	s_delay_alu instid0(VALU_DEP_1) | instskip(NEXT) | instid1(VALU_DEP_3)
	v_add_f32_e32 v1, v1, v13
	v_add_f32_e32 v13, v5, v19
	s_delay_alu instid0(VALU_DEP_2) | instskip(NEXT) | instid1(VALU_DEP_1)
	v_add_f32_e32 v1, v1, v14
	v_add_f32_e32 v1, v1, v16
	s_delay_alu instid0(VALU_DEP_1) | instskip(NEXT) | instid1(VALU_DEP_1)
	v_add_f32_e32 v1, v1, v17
	v_add_f32_e32 v6, v1, v32
	ds_load_b128 v[1:4], v21 offset:912
	v_dual_add_f32 v13, v13, v20 :: v_dual_add_f32 v14, v6, v33
	scratch_load_b128 v[5:8], off, off offset:432
	v_dual_add_f32 v13, v13, v41 :: v_dual_add_f32 v14, v14, v43
	s_delay_alu instid0(VALU_DEP_1) | instskip(SKIP_4) | instid1(VALU_DEP_2)
	v_dual_add_f32 v18, v13, v42 :: v_dual_add_f32 v17, v14, v44
	ds_load_b128 v[13:16], v21 offset:928
	v_add_f32_e32 v18, v18, v169
	s_wait_loadcnt_dscnt 0x101
	v_mul_f32_e32 v26, v3, v12
	v_dual_add_f32 v18, v18, v171 :: v_dual_add_f32 v17, v17, v170
	v_mul_f32_e32 v12, v4, v12
	s_delay_alu instid0(VALU_DEP_3) | instskip(NEXT) | instid1(VALU_DEP_3)
	v_fmac_f32_e32 v26, v4, v11
	v_dual_add_f32 v22, v18, v173 :: v_dual_mul_f32 v25, v1, v10
	v_mul_f32_e32 v10, v2, v10
	s_delay_alu instid0(VALU_DEP_4) | instskip(NEXT) | instid1(VALU_DEP_3)
	v_fma_f32 v28, v3, v11, -v12
	v_add_f32_e32 v22, v22, v175
	s_delay_alu instid0(VALU_DEP_4) | instskip(NEXT) | instid1(VALU_DEP_4)
	v_fmac_f32_e32 v25, v2, v9
	v_fma_f32 v27, v1, v9, -v10
	s_clause 0x1
	scratch_load_b128 v[9:12], off, off offset:464
	scratch_load_b128 v[1:4], off, off offset:448
	v_dual_add_f32 v17, v17, v172 :: v_dual_add_f32 v22, v22, v177
	s_wait_loadcnt_dscnt 0x200
	v_mul_f32_e32 v29, v13, v6
	v_mul_f32_e32 v6, v14, v6
	s_delay_alu instid0(VALU_DEP_3) | instskip(SKIP_1) | instid1(VALU_DEP_3)
	v_dual_add_f32 v17, v17, v174 :: v_dual_mul_f32 v30, v15, v8
	v_mul_f32_e32 v8, v16, v8
	v_fma_f32 v31, v13, v5, -v6
	s_delay_alu instid0(VALU_DEP_3) | instskip(SKIP_3) | instid1(VALU_DEP_1)
	v_dual_add_f32 v23, v17, v176 :: v_dual_fmac_f32 v30, v16, v7
	scratch_load_b128 v[17:20], off, off offset:480
	v_fma_f32 v32, v15, v7, -v8
	v_add_f32_e32 v23, v23, v178
	v_add_f32_e32 v23, v23, v180
	s_delay_alu instid0(VALU_DEP_1) | instskip(NEXT) | instid1(VALU_DEP_1)
	v_dual_add_f32 v13, v22, v179 :: v_dual_add_f32 v22, v23, v182
	v_add_f32_e32 v23, v13, v181
	s_delay_alu instid0(VALU_DEP_1)
	v_dual_add_f32 v34, v23, v183 :: v_dual_fmac_f32 v29, v14, v5
	ds_load_b128 v[5:8], v21 offset:944
	ds_load_b128 v[13:16], v21 offset:960
	v_add_f32_e32 v33, v22, v184
	v_add_f32_e32 v34, v34, v185
	ds_load_b128 v[21:24], v21 offset:976
	v_add_f32_e32 v34, v34, v187
	s_delay_alu instid0(VALU_DEP_1) | instskip(NEXT) | instid1(VALU_DEP_1)
	v_add_f32_e32 v25, v34, v25
	v_add_f32_e32 v25, v25, v26
	s_wait_loadcnt_dscnt 0x102
	v_mul_f32_e32 v38, v5, v2
	s_wait_dscnt 0x1
	v_mul_f32_e32 v34, v13, v10
	v_add_f32_e32 v33, v33, v186
	v_dual_mul_f32 v2, v6, v2 :: v_dual_mul_f32 v39, v15, v12
	v_fmac_f32_e32 v38, v6, v1
	s_delay_alu instid0(VALU_DEP_3) | instskip(NEXT) | instid1(VALU_DEP_3)
	v_dual_mul_f32 v6, v14, v10 :: v_dual_add_f32 v33, v33, v188
	v_fma_f32 v2, v5, v1, -v2
	s_delay_alu instid0(VALU_DEP_4) | instskip(NEXT) | instid1(VALU_DEP_3)
	v_dual_fmac_f32 v39, v16, v11 :: v_dual_fmac_f32 v34, v14, v9
	v_add_f32_e32 v27, v33, v27
	v_mul_f32_e32 v33, v7, v4
	v_mul_f32_e32 v4, v8, v4
	s_delay_alu instid0(VALU_DEP_2) | instskip(NEXT) | instid1(VALU_DEP_2)
	v_fmac_f32_e32 v33, v8, v3
	v_fma_f32 v3, v7, v3, -v4
	v_dual_mul_f32 v4, v16, v12 :: v_dual_add_f32 v25, v25, v29
	s_delay_alu instid0(VALU_DEP_1) | instskip(SKIP_2) | instid1(VALU_DEP_1)
	v_fma_f32 v4, v15, v11, -v4
	s_wait_loadcnt_dscnt 0x0
	v_mul_f32_e32 v26, v21, v18
	v_dual_add_f32 v5, v25, v30 :: v_dual_fmac_f32 v26, v22, v17
	v_add_f32_e32 v27, v27, v28
	v_mul_f32_e32 v28, v23, v20
	s_delay_alu instid0(VALU_DEP_2) | instskip(NEXT) | instid1(VALU_DEP_1)
	v_add_f32_e32 v27, v27, v31
	v_dual_fmac_f32 v28, v24, v19 :: v_dual_add_f32 v1, v27, v32
	s_delay_alu instid0(VALU_DEP_1) | instskip(SKIP_2) | instid1(VALU_DEP_2)
	v_add_f32_e32 v1, v1, v2
	v_add_f32_e32 v2, v5, v38
	v_fma_f32 v5, v13, v9, -v6
	v_add_f32_e32 v2, v2, v33
	s_delay_alu instid0(VALU_DEP_1) | instskip(NEXT) | instid1(VALU_DEP_1)
	v_add_f32_e32 v2, v2, v34
	v_add_f32_e32 v2, v2, v39
	s_delay_alu instid0(VALU_DEP_1) | instskip(SKIP_1) | instid1(VALU_DEP_2)
	v_dual_add_f32 v2, v2, v26 :: v_dual_add_f32 v1, v1, v3
	v_mul_f32_e32 v3, v22, v18
	v_dual_add_f32 v2, v2, v28 :: v_dual_add_f32 v1, v1, v5
	v_mul_f32_e32 v5, v24, v20
	s_delay_alu instid0(VALU_DEP_3) | instskip(NEXT) | instid1(VALU_DEP_3)
	v_fma_f32 v3, v21, v17, -v3
	v_sub_f32_e32 v2, v37, v2
	s_delay_alu instid0(VALU_DEP_4) | instskip(NEXT) | instid1(VALU_DEP_4)
	v_add_f32_e32 v1, v1, v4
	v_fma_f32 v4, v23, v19, -v5
	s_delay_alu instid0(VALU_DEP_2) | instskip(NEXT) | instid1(VALU_DEP_1)
	v_add_f32_e32 v1, v1, v3
	v_add_f32_e32 v1, v1, v4
	s_delay_alu instid0(VALU_DEP_1)
	v_sub_f32_e32 v1, v36, v1
	scratch_store_b64 off, v[1:2], off offset:216
	v_cmpx_lt_u32_e32 26, v0
	s_cbranch_execz .LBB61_333
; %bb.332:
	scratch_load_b64 v[1:2], off, off offset:208
	v_mov_b32_e32 v3, 0
	s_delay_alu instid0(VALU_DEP_1)
	v_mov_b32_e32 v4, v3
	scratch_store_b64 off, v[3:4], off offset:208
	s_wait_loadcnt 0x0
	ds_store_b64 v35, v[1:2]
.LBB61_333:
	s_wait_alu 0xfffe
	s_or_b32 exec_lo, exec_lo, s0
	s_wait_storecnt_dscnt 0x0
	s_barrier_signal -1
	s_barrier_wait -1
	global_inv scope:SCOPE_SE
	s_clause 0x4
	scratch_load_b128 v[5:8], off, off offset:216
	scratch_load_b128 v[1:4], off, off offset:232
	scratch_load_b128 v[9:12], off, off offset:248
	scratch_load_b128 v[13:16], off, off offset:264
	scratch_load_b128 v[17:20], off, off offset:280
	v_mov_b32_e32 v21, 0
	ds_load_2addr_b64 v[22:25], v21 offset0:89 offset1:90
	ds_load_2addr_b64 v[26:29], v21 offset0:91 offset1:92
	;; [unrolled: 1-line block ×3, first 2 shown]
	scratch_load_b64 v[36:37], off, off offset:208
	s_mov_b32 s0, exec_lo
	s_wait_loadcnt_dscnt 0x502
	v_mul_f32_e32 v34, v23, v6
	v_dual_mul_f32 v38, v22, v6 :: v_dual_mul_f32 v39, v24, v8
	v_mul_f32_e32 v6, v25, v8
	s_wait_loadcnt_dscnt 0x300
	v_mul_f32_e32 v40, v32, v12
	v_fma_f32 v22, v22, v5, -v34
	v_dual_fmac_f32 v38, v23, v5 :: v_dual_fmac_f32 v39, v25, v7
	v_fma_f32 v23, v24, v7, -v6
	v_dual_mul_f32 v24, v26, v2 :: v_dual_mul_f32 v25, v28, v4
	v_mul_f32_e32 v2, v27, v2
	v_mul_f32_e32 v4, v29, v4
	ds_load_2addr_b64 v[5:8], v21 offset0:95 offset1:96
	v_mul_f32_e32 v34, v30, v10
	v_dual_fmac_f32 v24, v27, v1 :: v_dual_fmac_f32 v25, v29, v3
	v_fma_f32 v26, v26, v1, -v2
	v_fma_f32 v27, v28, v3, -v4
	v_mul_f32_e32 v12, v33, v12
	scratch_load_b128 v[1:4], off, off offset:296
	v_mul_f32_e32 v10, v31, v10
	v_fmac_f32_e32 v34, v31, v9
	v_fmac_f32_e32 v40, v33, v11
	v_fma_f32 v29, v32, v11, -v12
	s_delay_alu instid0(VALU_DEP_4)
	v_fma_f32 v28, v30, v9, -v10
	ds_load_2addr_b64 v[9:12], v21 offset0:97 offset1:98
	s_wait_loadcnt_dscnt 0x301
	v_mul_f32_e32 v30, v5, v14
	v_dual_mul_f32 v14, v6, v14 :: v_dual_mul_f32 v31, v7, v16
	v_mul_f32_e32 v16, v8, v16
	s_delay_alu instid0(VALU_DEP_3) | instskip(NEXT) | instid1(VALU_DEP_3)
	v_fmac_f32_e32 v30, v6, v13
	v_fma_f32 v13, v5, v13, -v14
	s_delay_alu instid0(VALU_DEP_4) | instskip(NEXT) | instid1(VALU_DEP_4)
	v_fmac_f32_e32 v31, v8, v15
	v_fma_f32 v14, v7, v15, -v16
	ds_load_2addr_b64 v[5:8], v21 offset0:99 offset1:100
	s_wait_loadcnt_dscnt 0x201
	v_mul_f32_e32 v15, v9, v18
	v_mul_f32_e32 v16, v10, v18
	;; [unrolled: 1-line block ×3, first 2 shown]
	s_delay_alu instid0(VALU_DEP_3) | instskip(NEXT) | instid1(VALU_DEP_3)
	v_dual_mul_f32 v20, v12, v20 :: v_dual_fmac_f32 v15, v10, v17
	v_fma_f32 v16, v9, v17, -v16
	s_delay_alu instid0(VALU_DEP_3) | instskip(NEXT) | instid1(VALU_DEP_3)
	v_fmac_f32_e32 v18, v12, v19
	v_fma_f32 v17, v11, v19, -v20
	scratch_load_b128 v[9:12], off, off offset:312
	s_wait_loadcnt_dscnt 0x100
	v_mul_f32_e32 v19, v5, v2
	v_mul_f32_e32 v2, v6, v2
	;; [unrolled: 1-line block ×3, first 2 shown]
	s_delay_alu instid0(VALU_DEP_3) | instskip(NEXT) | instid1(VALU_DEP_3)
	v_dual_mul_f32 v4, v8, v4 :: v_dual_fmac_f32 v19, v6, v1
	v_fma_f32 v32, v5, v1, -v2
	s_delay_alu instid0(VALU_DEP_3) | instskip(NEXT) | instid1(VALU_DEP_3)
	v_fmac_f32_e32 v20, v8, v3
	v_fma_f32 v33, v7, v3, -v4
	ds_load_2addr_b64 v[1:4], v21 offset0:101 offset1:102
	ds_load_2addr_b64 v[5:8], v21 offset0:103 offset1:104
	s_wait_loadcnt_dscnt 0x1
	v_mul_f32_e32 v41, v1, v10
	v_mul_f32_e32 v10, v2, v10
	s_delay_alu instid0(VALU_DEP_2) | instskip(NEXT) | instid1(VALU_DEP_2)
	v_dual_mul_f32 v42, v3, v12 :: v_dual_fmac_f32 v41, v2, v9
	v_fma_f32 v43, v1, v9, -v10
	v_mul_f32_e32 v1, v4, v12
	s_delay_alu instid0(VALU_DEP_3) | instskip(NEXT) | instid1(VALU_DEP_2)
	v_fmac_f32_e32 v42, v4, v11
	v_fma_f32 v44, v3, v11, -v1
	s_clause 0x1
	scratch_load_b128 v[1:4], off, off offset:328
	scratch_load_b128 v[9:12], off, off offset:344
	s_wait_loadcnt_dscnt 0x100
	v_mul_f32_e32 v169, v5, v2
	v_dual_mul_f32 v2, v6, v2 :: v_dual_mul_f32 v171, v7, v4
	s_delay_alu instid0(VALU_DEP_2) | instskip(NEXT) | instid1(VALU_DEP_2)
	v_fmac_f32_e32 v169, v6, v1
	v_fma_f32 v170, v5, v1, -v2
	v_mul_f32_e32 v1, v8, v4
	s_delay_alu instid0(VALU_DEP_4) | instskip(NEXT) | instid1(VALU_DEP_2)
	v_fmac_f32_e32 v171, v8, v3
	v_fma_f32 v172, v7, v3, -v1
	ds_load_2addr_b64 v[1:4], v21 offset0:105 offset1:106
	ds_load_2addr_b64 v[5:8], v21 offset0:107 offset1:108
	s_wait_loadcnt_dscnt 0x1
	v_mul_f32_e32 v173, v1, v10
	v_mul_f32_e32 v175, v3, v12
	s_delay_alu instid0(VALU_DEP_2) | instskip(NEXT) | instid1(VALU_DEP_2)
	v_fmac_f32_e32 v173, v2, v9
	v_dual_mul_f32 v2, v2, v10 :: v_dual_fmac_f32 v175, v4, v11
	s_delay_alu instid0(VALU_DEP_1) | instskip(SKIP_1) | instid1(VALU_DEP_1)
	v_fma_f32 v174, v1, v9, -v2
	v_mul_f32_e32 v1, v4, v12
	v_fma_f32 v176, v3, v11, -v1
	s_clause 0x1
	scratch_load_b128 v[1:4], off, off offset:360
	scratch_load_b128 v[9:12], off, off offset:376
	s_wait_loadcnt_dscnt 0x100
	v_mul_f32_e32 v177, v5, v2
	v_dual_mul_f32 v2, v6, v2 :: v_dual_mul_f32 v179, v7, v4
	s_delay_alu instid0(VALU_DEP_2) | instskip(NEXT) | instid1(VALU_DEP_2)
	v_fmac_f32_e32 v177, v6, v1
	v_fma_f32 v178, v5, v1, -v2
	v_mul_f32_e32 v1, v8, v4
	s_delay_alu instid0(VALU_DEP_4) | instskip(NEXT) | instid1(VALU_DEP_2)
	v_fmac_f32_e32 v179, v8, v3
	v_fma_f32 v180, v7, v3, -v1
	ds_load_2addr_b64 v[1:4], v21 offset0:109 offset1:110
	ds_load_2addr_b64 v[5:8], v21 offset0:111 offset1:112
	s_wait_loadcnt_dscnt 0x1
	v_mul_f32_e32 v181, v1, v10
	v_mul_f32_e32 v183, v3, v12
	s_delay_alu instid0(VALU_DEP_2) | instskip(NEXT) | instid1(VALU_DEP_2)
	v_fmac_f32_e32 v181, v2, v9
	v_dual_mul_f32 v2, v2, v10 :: v_dual_fmac_f32 v183, v4, v11
	s_delay_alu instid0(VALU_DEP_1) | instskip(SKIP_1) | instid1(VALU_DEP_1)
	v_fma_f32 v182, v1, v9, -v2
	v_mul_f32_e32 v1, v4, v12
	v_fma_f32 v184, v3, v11, -v1
	s_clause 0x1
	scratch_load_b128 v[1:4], off, off offset:392
	scratch_load_b128 v[9:12], off, off offset:408
	s_wait_loadcnt_dscnt 0x100
	v_mul_f32_e32 v185, v5, v2
	v_dual_mul_f32 v2, v6, v2 :: v_dual_mul_f32 v187, v7, v4
	s_delay_alu instid0(VALU_DEP_1) | instskip(SKIP_1) | instid1(VALU_DEP_1)
	v_fma_f32 v186, v5, v1, -v2
	v_add_f32_e32 v2, 0, v38
	v_add_f32_e32 v2, v2, v39
	s_delay_alu instid0(VALU_DEP_4) | instskip(SKIP_1) | instid1(VALU_DEP_3)
	v_fmac_f32_e32 v187, v8, v3
	v_fmac_f32_e32 v185, v6, v1
	v_add_f32_e32 v2, v2, v24
	s_delay_alu instid0(VALU_DEP_1) | instskip(NEXT) | instid1(VALU_DEP_1)
	v_dual_mul_f32 v1, v8, v4 :: v_dual_add_f32 v2, v2, v25
	v_fma_f32 v188, v7, v3, -v1
	s_delay_alu instid0(VALU_DEP_2) | instskip(NEXT) | instid1(VALU_DEP_1)
	v_add_f32_e32 v2, v2, v34
	v_dual_add_f32 v1, 0, v22 :: v_dual_add_f32 v2, v2, v40
	s_delay_alu instid0(VALU_DEP_1) | instskip(NEXT) | instid1(VALU_DEP_1)
	v_dual_add_f32 v1, v1, v23 :: v_dual_add_f32 v2, v2, v30
	v_dual_add_f32 v1, v1, v26 :: v_dual_add_f32 v2, v2, v31
	s_delay_alu instid0(VALU_DEP_1) | instskip(SKIP_2) | instid1(VALU_DEP_1)
	v_add_f32_e32 v1, v1, v27
	scratch_load_b64 v[26:27], off, off offset:488
	v_dual_add_f32 v2, v2, v15 :: v_dual_add_f32 v1, v1, v28
	v_add_f32_e32 v5, v2, v18
	s_delay_alu instid0(VALU_DEP_2) | instskip(NEXT) | instid1(VALU_DEP_1)
	v_add_f32_e32 v1, v1, v29
	v_add_f32_e32 v1, v1, v13
	s_delay_alu instid0(VALU_DEP_3) | instskip(NEXT) | instid1(VALU_DEP_1)
	v_add_f32_e32 v13, v5, v19
	v_add_f32_e32 v13, v13, v20
	s_delay_alu instid0(VALU_DEP_1) | instskip(NEXT) | instid1(VALU_DEP_1)
	v_add_f32_e32 v13, v13, v41
	v_add_f32_e32 v18, v13, v42
	s_delay_alu instid0(VALU_DEP_1) | instskip(NEXT) | instid1(VALU_DEP_1)
	v_dual_add_f32 v1, v1, v14 :: v_dual_add_f32 v18, v18, v169
	v_dual_add_f32 v1, v1, v16 :: v_dual_add_f32 v18, v18, v171
	s_delay_alu instid0(VALU_DEP_1) | instskip(NEXT) | instid1(VALU_DEP_2)
	v_add_f32_e32 v1, v1, v17
	v_add_f32_e32 v22, v18, v173
	s_delay_alu instid0(VALU_DEP_2)
	v_add_f32_e32 v6, v1, v32
	scratch_load_b128 v[1:4], off, off offset:424
	v_add_f32_e32 v22, v22, v175
	v_add_f32_e32 v14, v6, v33
	ds_load_2addr_b64 v[5:8], v21 offset0:113 offset1:114
	v_add_f32_e32 v22, v22, v177
	v_add_f32_e32 v14, v14, v43
	s_delay_alu instid0(VALU_DEP_2) | instskip(NEXT) | instid1(VALU_DEP_2)
	v_add_f32_e32 v22, v22, v179
	v_add_f32_e32 v17, v14, v44
	ds_load_2addr_b64 v[13:16], v21 offset0:115 offset1:116
	s_wait_loadcnt_dscnt 0x201
	v_mul_f32_e32 v30, v5, v10
	v_add_f32_e32 v17, v17, v170
	v_dual_mul_f32 v10, v6, v10 :: v_dual_mul_f32 v31, v7, v12
	v_mul_f32_e32 v12, v8, v12
	s_delay_alu instid0(VALU_DEP_3) | instskip(NEXT) | instid1(VALU_DEP_3)
	v_dual_fmac_f32 v30, v6, v9 :: v_dual_add_f32 v17, v17, v172
	v_fma_f32 v32, v5, v9, -v10
	s_delay_alu instid0(VALU_DEP_4) | instskip(NEXT) | instid1(VALU_DEP_4)
	v_fmac_f32_e32 v31, v8, v11
	v_fma_f32 v33, v7, v11, -v12
	scratch_load_b128 v[5:8], off, off offset:440
	v_add_f32_e32 v17, v17, v174
	scratch_load_b128 v[9:12], off, off offset:456
	v_add_f32_e32 v23, v17, v176
	scratch_load_b128 v[17:20], off, off offset:472
	s_wait_loadcnt_dscnt 0x300
	v_mul_f32_e32 v34, v13, v2
	v_mul_f32_e32 v2, v14, v2
	v_add_f32_e32 v23, v23, v178
	v_mul_f32_e32 v38, v15, v4
	v_mul_f32_e32 v4, v16, v4
	v_fmac_f32_e32 v34, v14, v1
	v_fma_f32 v39, v13, v1, -v2
	s_delay_alu instid0(VALU_DEP_4) | instskip(NEXT) | instid1(VALU_DEP_4)
	v_dual_add_f32 v23, v23, v180 :: v_dual_fmac_f32 v38, v16, v3
	v_fma_f32 v40, v15, v3, -v4
	ds_load_2addr_b64 v[1:4], v21 offset0:117 offset1:118
	v_add_f32_e32 v23, v23, v182
	s_delay_alu instid0(VALU_DEP_1) | instskip(NEXT) | instid1(VALU_DEP_1)
	v_dual_add_f32 v13, v22, v181 :: v_dual_add_f32 v14, v23, v184
	v_add_f32_e32 v28, v14, v186
	s_delay_alu instid0(VALU_DEP_2)
	v_add_f32_e32 v22, v13, v183
	ds_load_2addr_b64 v[13:16], v21 offset0:119 offset1:120
	v_add_f32_e32 v41, v28, v188
	v_add_f32_e32 v29, v22, v185
	ds_load_2addr_b64 v[22:25], v21 offset0:121 offset1:122
	v_add_f32_e32 v32, v41, v32
	v_add_f32_e32 v42, v29, v187
	ds_load_b64 v[28:29], v21 offset:984
	s_wait_loadcnt_dscnt 0x203
	v_dual_mul_f32 v41, v1, v6 :: v_dual_add_f32 v32, v32, v33
	s_delay_alu instid0(VALU_DEP_1) | instskip(SKIP_1) | instid1(VALU_DEP_1)
	v_dual_fmac_f32 v41, v2, v5 :: v_dual_add_f32 v32, v32, v39
	s_wait_loadcnt_dscnt 0x102
	v_dual_mul_f32 v33, v13, v10 :: v_dual_add_f32 v32, v32, v40
	v_mul_f32_e32 v6, v2, v6
	s_wait_loadcnt_dscnt 0x1
	v_mul_f32_e32 v39, v22, v18
	v_add_f32_e32 v30, v42, v30
	v_fmac_f32_e32 v33, v14, v9
	v_fma_f32 v1, v1, v5, -v6
	s_delay_alu instid0(VALU_DEP_3) | instskip(SKIP_2) | instid1(VALU_DEP_4)
	v_dual_mul_f32 v5, v16, v12 :: v_dual_add_f32 v30, v30, v31
	v_mul_f32_e32 v31, v3, v8
	v_mul_f32_e32 v8, v4, v8
	v_add_f32_e32 v1, v32, v1
	s_delay_alu instid0(VALU_DEP_4) | instskip(SKIP_4) | instid1(VALU_DEP_4)
	v_fma_f32 v5, v15, v11, -v5
	v_add_f32_e32 v30, v30, v34
	v_mul_f32_e32 v34, v15, v12
	v_fma_f32 v2, v3, v7, -v8
	v_mul_f32_e32 v3, v14, v10
	v_dual_fmac_f32 v31, v4, v7 :: v_dual_add_f32 v30, v30, v38
	s_wait_dscnt 0x0
	v_dual_mul_f32 v38, v28, v27 :: v_dual_fmac_f32 v39, v23, v17
	s_delay_alu instid0(VALU_DEP_3) | instskip(SKIP_1) | instid1(VALU_DEP_3)
	v_fma_f32 v3, v13, v9, -v3
	v_dual_add_f32 v1, v1, v2 :: v_dual_mul_f32 v40, v24, v20
	v_fmac_f32_e32 v38, v29, v26
	s_delay_alu instid0(VALU_DEP_2) | instskip(SKIP_3) | instid1(VALU_DEP_4)
	v_add_f32_e32 v1, v1, v3
	v_dual_mul_f32 v3, v25, v20 :: v_dual_add_f32 v4, v30, v41
	v_fmac_f32_e32 v34, v16, v11
	v_fmac_f32_e32 v40, v25, v19
	v_add_f32_e32 v1, v1, v5
	v_mul_f32_e32 v5, v29, v27
	v_add_f32_e32 v2, v4, v31
	v_fma_f32 v3, v24, v19, -v3
	v_mul_f32_e32 v4, v23, v18
	s_delay_alu instid0(VALU_DEP_1) | instskip(NEXT) | instid1(VALU_DEP_1)
	v_fma_f32 v4, v22, v17, -v4
	v_add_f32_e32 v1, v1, v4
	v_fma_f32 v4, v28, v26, -v5
	s_delay_alu instid0(VALU_DEP_2) | instskip(NEXT) | instid1(VALU_DEP_1)
	v_dual_add_f32 v1, v1, v3 :: v_dual_add_f32 v2, v2, v33
	v_dual_add_f32 v1, v1, v4 :: v_dual_add_f32 v2, v2, v34
	s_delay_alu instid0(VALU_DEP_1) | instskip(NEXT) | instid1(VALU_DEP_1)
	v_dual_sub_f32 v1, v36, v1 :: v_dual_add_f32 v2, v2, v39
	v_add_f32_e32 v2, v2, v40
	s_delay_alu instid0(VALU_DEP_1) | instskip(NEXT) | instid1(VALU_DEP_1)
	v_add_f32_e32 v2, v2, v38
	v_sub_f32_e32 v2, v37, v2
	scratch_store_b64 off, v[1:2], off offset:208
	v_cmpx_lt_u32_e32 25, v0
	s_cbranch_execz .LBB61_335
; %bb.334:
	scratch_load_b64 v[1:2], off, off offset:200
	v_mov_b32_e32 v22, v21
	scratch_store_b64 off, v[21:22], off offset:200
	s_wait_loadcnt 0x0
	ds_store_b64 v35, v[1:2]
.LBB61_335:
	s_wait_alu 0xfffe
	s_or_b32 exec_lo, exec_lo, s0
	s_wait_storecnt_dscnt 0x0
	s_barrier_signal -1
	s_barrier_wait -1
	global_inv scope:SCOPE_SE
	s_clause 0x4
	scratch_load_b128 v[5:8], off, off offset:208
	scratch_load_b128 v[1:4], off, off offset:224
	scratch_load_b128 v[9:12], off, off offset:240
	scratch_load_b128 v[13:16], off, off offset:256
	scratch_load_b128 v[17:20], off, off offset:272
	ds_load_b128 v[22:25], v21 offset:704
	ds_load_b128 v[26:29], v21 offset:720
	;; [unrolled: 1-line block ×3, first 2 shown]
	scratch_load_b64 v[36:37], off, off offset:200
	s_mov_b32 s0, exec_lo
	s_wait_loadcnt_dscnt 0x502
	v_dual_mul_f32 v34, v23, v6 :: v_dual_mul_f32 v39, v24, v8
	v_mul_f32_e32 v38, v22, v6
	v_mul_f32_e32 v6, v25, v8
	s_wait_loadcnt_dscnt 0x300
	v_mul_f32_e32 v40, v32, v12
	v_fma_f32 v22, v22, v5, -v34
	v_dual_fmac_f32 v39, v25, v7 :: v_dual_fmac_f32 v38, v23, v5
	v_mul_f32_e32 v25, v28, v4
	v_fma_f32 v23, v24, v7, -v6
	ds_load_b128 v[5:8], v21 offset:752
	v_mul_f32_e32 v24, v26, v2
	v_mul_f32_e32 v4, v29, v4
	;; [unrolled: 1-line block ×5, first 2 shown]
	v_dual_mul_f32 v2, v27, v2 :: v_dual_fmac_f32 v25, v29, v3
	v_fmac_f32_e32 v24, v27, v1
	v_fma_f32 v27, v28, v3, -v4
	v_fmac_f32_e32 v34, v31, v9
	v_fma_f32 v28, v30, v9, -v10
	;; [unrolled: 2-line block ×3, first 2 shown]
	ds_load_b128 v[9:12], v21 offset:768
	s_wait_loadcnt_dscnt 0x201
	v_mul_f32_e32 v30, v5, v14
	v_dual_mul_f32 v14, v6, v14 :: v_dual_mul_f32 v31, v7, v16
	v_mul_f32_e32 v16, v8, v16
	s_delay_alu instid0(VALU_DEP_3) | instskip(NEXT) | instid1(VALU_DEP_3)
	v_fmac_f32_e32 v30, v6, v13
	v_fma_f32 v13, v5, v13, -v14
	s_delay_alu instid0(VALU_DEP_4) | instskip(NEXT) | instid1(VALU_DEP_4)
	v_fmac_f32_e32 v31, v8, v15
	v_fma_f32 v14, v7, v15, -v16
	ds_load_b128 v[5:8], v21 offset:784
	s_wait_loadcnt_dscnt 0x101
	v_mul_f32_e32 v15, v9, v18
	v_mul_f32_e32 v16, v10, v18
	;; [unrolled: 1-line block ×3, first 2 shown]
	s_delay_alu instid0(VALU_DEP_3)
	v_dual_mul_f32 v20, v12, v20 :: v_dual_fmac_f32 v15, v10, v17
	v_fma_f32 v26, v26, v1, -v2
	scratch_load_b128 v[1:4], off, off offset:288
	v_fma_f32 v16, v9, v17, -v16
	v_fmac_f32_e32 v18, v12, v19
	v_fma_f32 v17, v11, v19, -v20
	scratch_load_b128 v[9:12], off, off offset:304
	s_wait_loadcnt_dscnt 0x100
	v_mul_f32_e32 v19, v5, v2
	v_mul_f32_e32 v2, v6, v2
	;; [unrolled: 1-line block ×3, first 2 shown]
	s_delay_alu instid0(VALU_DEP_3) | instskip(NEXT) | instid1(VALU_DEP_3)
	v_dual_mul_f32 v4, v8, v4 :: v_dual_fmac_f32 v19, v6, v1
	v_fma_f32 v32, v5, v1, -v2
	s_delay_alu instid0(VALU_DEP_3) | instskip(NEXT) | instid1(VALU_DEP_3)
	v_fmac_f32_e32 v20, v8, v3
	v_fma_f32 v33, v7, v3, -v4
	ds_load_b128 v[1:4], v21 offset:800
	ds_load_b128 v[5:8], v21 offset:816
	s_wait_loadcnt_dscnt 0x1
	v_mul_f32_e32 v41, v1, v10
	v_mul_f32_e32 v10, v2, v10
	s_delay_alu instid0(VALU_DEP_2) | instskip(NEXT) | instid1(VALU_DEP_2)
	v_dual_mul_f32 v42, v3, v12 :: v_dual_fmac_f32 v41, v2, v9
	v_fma_f32 v43, v1, v9, -v10
	v_mul_f32_e32 v1, v4, v12
	s_delay_alu instid0(VALU_DEP_3) | instskip(NEXT) | instid1(VALU_DEP_2)
	v_fmac_f32_e32 v42, v4, v11
	v_fma_f32 v44, v3, v11, -v1
	s_clause 0x1
	scratch_load_b128 v[1:4], off, off offset:320
	scratch_load_b128 v[9:12], off, off offset:336
	s_wait_loadcnt_dscnt 0x100
	v_mul_f32_e32 v169, v5, v2
	v_dual_mul_f32 v2, v6, v2 :: v_dual_mul_f32 v171, v7, v4
	s_delay_alu instid0(VALU_DEP_2) | instskip(NEXT) | instid1(VALU_DEP_2)
	v_fmac_f32_e32 v169, v6, v1
	v_fma_f32 v170, v5, v1, -v2
	v_mul_f32_e32 v1, v8, v4
	s_delay_alu instid0(VALU_DEP_4) | instskip(NEXT) | instid1(VALU_DEP_2)
	v_fmac_f32_e32 v171, v8, v3
	v_fma_f32 v172, v7, v3, -v1
	ds_load_b128 v[1:4], v21 offset:832
	ds_load_b128 v[5:8], v21 offset:848
	s_wait_loadcnt_dscnt 0x1
	v_mul_f32_e32 v173, v1, v10
	v_mul_f32_e32 v175, v3, v12
	s_delay_alu instid0(VALU_DEP_2) | instskip(NEXT) | instid1(VALU_DEP_2)
	v_fmac_f32_e32 v173, v2, v9
	v_dual_mul_f32 v2, v2, v10 :: v_dual_fmac_f32 v175, v4, v11
	s_delay_alu instid0(VALU_DEP_1) | instskip(SKIP_1) | instid1(VALU_DEP_1)
	v_fma_f32 v174, v1, v9, -v2
	v_mul_f32_e32 v1, v4, v12
	v_fma_f32 v176, v3, v11, -v1
	s_clause 0x1
	scratch_load_b128 v[1:4], off, off offset:352
	scratch_load_b128 v[9:12], off, off offset:368
	s_wait_loadcnt_dscnt 0x100
	v_mul_f32_e32 v177, v5, v2
	v_dual_mul_f32 v2, v6, v2 :: v_dual_mul_f32 v179, v7, v4
	s_delay_alu instid0(VALU_DEP_2) | instskip(NEXT) | instid1(VALU_DEP_2)
	v_fmac_f32_e32 v177, v6, v1
	v_fma_f32 v178, v5, v1, -v2
	v_mul_f32_e32 v1, v8, v4
	s_delay_alu instid0(VALU_DEP_4) | instskip(NEXT) | instid1(VALU_DEP_2)
	v_fmac_f32_e32 v179, v8, v3
	v_fma_f32 v180, v7, v3, -v1
	ds_load_b128 v[1:4], v21 offset:864
	ds_load_b128 v[5:8], v21 offset:880
	s_wait_loadcnt_dscnt 0x1
	v_mul_f32_e32 v181, v1, v10
	v_mul_f32_e32 v183, v3, v12
	s_delay_alu instid0(VALU_DEP_2) | instskip(NEXT) | instid1(VALU_DEP_2)
	v_fmac_f32_e32 v181, v2, v9
	v_dual_mul_f32 v2, v2, v10 :: v_dual_fmac_f32 v183, v4, v11
	s_delay_alu instid0(VALU_DEP_1) | instskip(SKIP_1) | instid1(VALU_DEP_1)
	v_fma_f32 v182, v1, v9, -v2
	v_mul_f32_e32 v1, v4, v12
	;; [unrolled: 25-line block ×3, first 2 shown]
	v_fma_f32 v192, v3, v11, -v1
	s_clause 0x1
	scratch_load_b128 v[1:4], off, off offset:416
	scratch_load_b128 v[9:12], off, off offset:432
	s_wait_loadcnt_dscnt 0x100
	v_mul_f32_e32 v193, v5, v2
	v_mul_f32_e32 v2, v6, v2
	s_delay_alu instid0(VALU_DEP_1) | instskip(SKIP_1) | instid1(VALU_DEP_1)
	v_fma_f32 v194, v5, v1, -v2
	v_add_f32_e32 v2, 0, v38
	v_add_f32_e32 v2, v2, v39
	s_delay_alu instid0(VALU_DEP_1) | instskip(NEXT) | instid1(VALU_DEP_1)
	v_add_f32_e32 v2, v2, v24
	v_add_f32_e32 v2, v2, v25
	s_delay_alu instid0(VALU_DEP_1) | instskip(NEXT) | instid1(VALU_DEP_1)
	;; [unrolled: 3-line block ×3, first 2 shown]
	v_dual_add_f32 v2, v2, v30 :: v_dual_mul_f32 v195, v7, v4
	v_add_f32_e32 v2, v2, v31
	s_delay_alu instid0(VALU_DEP_1) | instskip(NEXT) | instid1(VALU_DEP_1)
	v_add_f32_e32 v2, v2, v15
	v_dual_fmac_f32 v195, v8, v3 :: v_dual_add_f32 v2, v2, v18
	s_delay_alu instid0(VALU_DEP_1) | instskip(NEXT) | instid1(VALU_DEP_1)
	v_add_f32_e32 v2, v2, v19
	v_add_f32_e32 v2, v2, v20
	s_delay_alu instid0(VALU_DEP_1) | instskip(NEXT) | instid1(VALU_DEP_1)
	v_add_f32_e32 v5, v2, v41
	v_add_f32_e32 v5, v5, v42
	s_delay_alu instid0(VALU_DEP_1) | instskip(SKIP_2) | instid1(VALU_DEP_1)
	v_add_f32_e32 v5, v5, v169
	v_fmac_f32_e32 v193, v6, v1
	v_mul_f32_e32 v1, v8, v4
	v_fma_f32 v196, v7, v3, -v1
	v_add_f32_e32 v1, 0, v22
	s_delay_alu instid0(VALU_DEP_1) | instskip(NEXT) | instid1(VALU_DEP_1)
	v_add_f32_e32 v1, v1, v23
	v_add_f32_e32 v1, v1, v26
	s_delay_alu instid0(VALU_DEP_1) | instskip(NEXT) | instid1(VALU_DEP_1)
	v_add_f32_e32 v1, v1, v27
	;; [unrolled: 3-line block ×3, first 2 shown]
	v_add_f32_e32 v1, v1, v13
	s_delay_alu instid0(VALU_DEP_1) | instskip(SKIP_1) | instid1(VALU_DEP_1)
	v_add_f32_e32 v1, v1, v14
	v_add_f32_e32 v14, v5, v171
	v_dual_add_f32 v1, v1, v16 :: v_dual_add_f32 v14, v14, v173
	s_delay_alu instid0(VALU_DEP_1) | instskip(NEXT) | instid1(VALU_DEP_1)
	v_dual_add_f32 v1, v1, v17 :: v_dual_add_f32 v14, v14, v175
	v_add_f32_e32 v17, v14, v177
	s_delay_alu instid0(VALU_DEP_1) | instskip(NEXT) | instid1(VALU_DEP_1)
	v_add_f32_e32 v17, v17, v179
	v_add_f32_e32 v17, v17, v181
	s_delay_alu instid0(VALU_DEP_1) | instskip(NEXT) | instid1(VALU_DEP_1)
	v_add_f32_e32 v17, v17, v183
	v_add_f32_e32 v23, v17, v185
	s_delay_alu instid0(VALU_DEP_1) | instskip(NEXT) | instid1(VALU_DEP_1)
	v_dual_add_f32 v1, v1, v32 :: v_dual_add_f32 v30, v23, v187
	v_add_f32_e32 v1, v1, v33
	s_delay_alu instid0(VALU_DEP_1) | instskip(NEXT) | instid1(VALU_DEP_1)
	v_add_f32_e32 v1, v1, v43
	v_add_f32_e32 v6, v1, v44
	s_delay_alu instid0(VALU_DEP_4) | instskip(SKIP_3) | instid1(VALU_DEP_2)
	v_add_f32_e32 v30, v30, v189
	ds_load_b128 v[1:4], v21 offset:928
	v_add_f32_e32 v6, v6, v170
	v_add_f32_e32 v30, v30, v191
	;; [unrolled: 1-line block ×3, first 2 shown]
	s_delay_alu instid0(VALU_DEP_2) | instskip(SKIP_2) | instid1(VALU_DEP_1)
	v_add_f32_e32 v30, v30, v193
	ds_load_b128 v[5:8], v21 offset:944
	v_dual_add_f32 v13, v13, v174 :: v_dual_add_f32 v30, v30, v195
	v_add_f32_e32 v13, v13, v176
	s_wait_loadcnt_dscnt 0x1
	v_dual_mul_f32 v25, v1, v10 :: v_dual_mul_f32 v26, v3, v12
	v_mul_f32_e32 v10, v2, v10
	s_delay_alu instid0(VALU_DEP_3) | instskip(NEXT) | instid1(VALU_DEP_3)
	v_dual_add_f32 v13, v13, v178 :: v_dual_mul_f32 v12, v4, v12
	v_fmac_f32_e32 v26, v4, v11
	s_delay_alu instid0(VALU_DEP_3) | instskip(NEXT) | instid1(VALU_DEP_3)
	v_fma_f32 v27, v1, v9, -v10
	v_add_f32_e32 v18, v13, v180
	s_delay_alu instid0(VALU_DEP_4) | instskip(SKIP_2) | instid1(VALU_DEP_1)
	v_fma_f32 v28, v3, v11, -v12
	scratch_load_b128 v[13:16], off, off offset:480
	v_add_f32_e32 v18, v18, v182
	v_add_f32_e32 v18, v18, v184
	s_delay_alu instid0(VALU_DEP_1)
	v_add_f32_e32 v22, v18, v186
	ds_load_b128 v[17:20], v21 offset:960
	v_fmac_f32_e32 v25, v2, v9
	s_clause 0x1
	scratch_load_b128 v[1:4], off, off offset:448
	scratch_load_b128 v[9:12], off, off offset:464
	s_wait_loadcnt_dscnt 0x0
	v_dual_mul_f32 v31, v5, v2 :: v_dual_mul_f32 v34, v19, v12
	v_mul_f32_e32 v2, v6, v2
	v_add_f32_e32 v25, v30, v25
	v_mul_f32_e32 v33, v17, v10
	s_delay_alu instid0(VALU_DEP_4) | instskip(NEXT) | instid1(VALU_DEP_4)
	v_dual_fmac_f32 v31, v6, v1 :: v_dual_fmac_f32 v34, v20, v11
	v_fma_f32 v2, v5, v1, -v2
	s_delay_alu instid0(VALU_DEP_4)
	v_add_f32_e32 v5, v25, v26
	v_add_f32_e32 v29, v22, v188
	ds_load_b128 v[21:24], v21 offset:976
	v_dual_fmac_f32 v33, v18, v9 :: v_dual_mul_f32 v32, v7, v4
	v_dual_mul_f32 v4, v8, v4 :: v_dual_add_f32 v29, v29, v190
	v_mul_f32_e32 v6, v18, v10
	s_delay_alu instid0(VALU_DEP_3) | instskip(NEXT) | instid1(VALU_DEP_3)
	v_fmac_f32_e32 v32, v8, v3
	v_fma_f32 v3, v7, v3, -v4
	s_delay_alu instid0(VALU_DEP_4) | instskip(NEXT) | instid1(VALU_DEP_1)
	v_add_f32_e32 v29, v29, v192
	v_dual_mul_f32 v4, v20, v12 :: v_dual_add_f32 v29, v29, v194
	s_delay_alu instid0(VALU_DEP_1) | instskip(NEXT) | instid1(VALU_DEP_2)
	v_fma_f32 v4, v19, v11, -v4
	v_add_f32_e32 v29, v29, v196
	s_wait_dscnt 0x0
	v_mul_f32_e32 v38, v21, v14
	s_delay_alu instid0(VALU_DEP_1) | instskip(SKIP_1) | instid1(VALU_DEP_2)
	v_dual_fmac_f32 v38, v22, v13 :: v_dual_add_f32 v27, v29, v27
	v_mul_f32_e32 v29, v23, v16
	v_add_f32_e32 v1, v27, v28
	s_delay_alu instid0(VALU_DEP_2) | instskip(NEXT) | instid1(VALU_DEP_2)
	v_fmac_f32_e32 v29, v24, v15
	v_add_f32_e32 v1, v1, v2
	v_add_f32_e32 v2, v5, v31
	v_fma_f32 v5, v17, v9, -v6
	s_delay_alu instid0(VALU_DEP_2) | instskip(SKIP_1) | instid1(VALU_DEP_2)
	v_dual_add_f32 v1, v1, v3 :: v_dual_add_f32 v2, v2, v32
	v_mul_f32_e32 v3, v22, v14
	v_add_f32_e32 v1, v1, v5
	s_delay_alu instid0(VALU_DEP_3) | instskip(NEXT) | instid1(VALU_DEP_3)
	v_dual_add_f32 v2, v2, v33 :: v_dual_mul_f32 v5, v24, v16
	v_fma_f32 v3, v21, v13, -v3
	s_delay_alu instid0(VALU_DEP_2) | instskip(NEXT) | instid1(VALU_DEP_3)
	v_dual_add_f32 v1, v1, v4 :: v_dual_add_f32 v2, v2, v34
	v_fma_f32 v4, v23, v15, -v5
	s_delay_alu instid0(VALU_DEP_2) | instskip(NEXT) | instid1(VALU_DEP_1)
	v_dual_add_f32 v1, v1, v3 :: v_dual_add_f32 v2, v2, v38
	v_dual_add_f32 v1, v1, v4 :: v_dual_add_f32 v2, v2, v29
	s_delay_alu instid0(VALU_DEP_1)
	v_dual_sub_f32 v1, v36, v1 :: v_dual_sub_f32 v2, v37, v2
	scratch_store_b64 off, v[1:2], off offset:200
	v_cmpx_lt_u32_e32 24, v0
	s_cbranch_execz .LBB61_337
; %bb.336:
	scratch_load_b64 v[1:2], off, off offset:192
	v_mov_b32_e32 v3, 0
	s_delay_alu instid0(VALU_DEP_1)
	v_mov_b32_e32 v4, v3
	scratch_store_b64 off, v[3:4], off offset:192
	s_wait_loadcnt 0x0
	ds_store_b64 v35, v[1:2]
.LBB61_337:
	s_wait_alu 0xfffe
	s_or_b32 exec_lo, exec_lo, s0
	s_wait_storecnt_dscnt 0x0
	s_barrier_signal -1
	s_barrier_wait -1
	global_inv scope:SCOPE_SE
	s_clause 0x4
	scratch_load_b128 v[5:8], off, off offset:200
	scratch_load_b128 v[1:4], off, off offset:216
	;; [unrolled: 1-line block ×5, first 2 shown]
	v_mov_b32_e32 v21, 0
	ds_load_2addr_b64 v[22:25], v21 offset0:87 offset1:88
	ds_load_2addr_b64 v[26:29], v21 offset0:89 offset1:90
	;; [unrolled: 1-line block ×3, first 2 shown]
	scratch_load_b64 v[36:37], off, off offset:192
	s_mov_b32 s0, exec_lo
	s_wait_loadcnt_dscnt 0x502
	v_mul_f32_e32 v34, v23, v6
	v_dual_mul_f32 v38, v22, v6 :: v_dual_mul_f32 v39, v24, v8
	v_mul_f32_e32 v6, v25, v8
	s_wait_loadcnt_dscnt 0x300
	v_mul_f32_e32 v40, v32, v12
	v_fma_f32 v22, v22, v5, -v34
	v_dual_fmac_f32 v38, v23, v5 :: v_dual_fmac_f32 v39, v25, v7
	v_fma_f32 v23, v24, v7, -v6
	v_dual_mul_f32 v24, v26, v2 :: v_dual_mul_f32 v25, v28, v4
	v_mul_f32_e32 v2, v27, v2
	v_mul_f32_e32 v4, v29, v4
	ds_load_2addr_b64 v[5:8], v21 offset0:93 offset1:94
	v_mul_f32_e32 v34, v30, v10
	v_dual_fmac_f32 v24, v27, v1 :: v_dual_fmac_f32 v25, v29, v3
	v_fma_f32 v26, v26, v1, -v2
	v_fma_f32 v27, v28, v3, -v4
	v_mul_f32_e32 v12, v33, v12
	scratch_load_b128 v[1:4], off, off offset:280
	v_mul_f32_e32 v10, v31, v10
	v_fmac_f32_e32 v34, v31, v9
	v_fmac_f32_e32 v40, v33, v11
	v_fma_f32 v29, v32, v11, -v12
	s_delay_alu instid0(VALU_DEP_4)
	v_fma_f32 v28, v30, v9, -v10
	ds_load_2addr_b64 v[9:12], v21 offset0:95 offset1:96
	s_wait_loadcnt_dscnt 0x301
	v_mul_f32_e32 v30, v5, v14
	v_dual_mul_f32 v14, v6, v14 :: v_dual_mul_f32 v31, v7, v16
	v_mul_f32_e32 v16, v8, v16
	s_delay_alu instid0(VALU_DEP_3) | instskip(NEXT) | instid1(VALU_DEP_3)
	v_fmac_f32_e32 v30, v6, v13
	v_fma_f32 v13, v5, v13, -v14
	s_delay_alu instid0(VALU_DEP_4) | instskip(NEXT) | instid1(VALU_DEP_4)
	v_fmac_f32_e32 v31, v8, v15
	v_fma_f32 v14, v7, v15, -v16
	ds_load_2addr_b64 v[5:8], v21 offset0:97 offset1:98
	s_wait_loadcnt_dscnt 0x201
	v_mul_f32_e32 v15, v9, v18
	v_mul_f32_e32 v16, v10, v18
	;; [unrolled: 1-line block ×3, first 2 shown]
	s_delay_alu instid0(VALU_DEP_3) | instskip(NEXT) | instid1(VALU_DEP_3)
	v_dual_mul_f32 v20, v12, v20 :: v_dual_fmac_f32 v15, v10, v17
	v_fma_f32 v16, v9, v17, -v16
	s_delay_alu instid0(VALU_DEP_3) | instskip(NEXT) | instid1(VALU_DEP_3)
	v_fmac_f32_e32 v18, v12, v19
	v_fma_f32 v17, v11, v19, -v20
	scratch_load_b128 v[9:12], off, off offset:296
	s_wait_loadcnt_dscnt 0x100
	v_mul_f32_e32 v19, v5, v2
	v_mul_f32_e32 v2, v6, v2
	;; [unrolled: 1-line block ×3, first 2 shown]
	s_delay_alu instid0(VALU_DEP_3) | instskip(NEXT) | instid1(VALU_DEP_3)
	v_dual_mul_f32 v4, v8, v4 :: v_dual_fmac_f32 v19, v6, v1
	v_fma_f32 v32, v5, v1, -v2
	s_delay_alu instid0(VALU_DEP_3) | instskip(NEXT) | instid1(VALU_DEP_3)
	v_fmac_f32_e32 v20, v8, v3
	v_fma_f32 v33, v7, v3, -v4
	ds_load_2addr_b64 v[1:4], v21 offset0:99 offset1:100
	ds_load_2addr_b64 v[5:8], v21 offset0:101 offset1:102
	s_wait_loadcnt_dscnt 0x1
	v_mul_f32_e32 v41, v1, v10
	v_mul_f32_e32 v10, v2, v10
	s_delay_alu instid0(VALU_DEP_2) | instskip(NEXT) | instid1(VALU_DEP_2)
	v_dual_mul_f32 v42, v3, v12 :: v_dual_fmac_f32 v41, v2, v9
	v_fma_f32 v43, v1, v9, -v10
	v_mul_f32_e32 v1, v4, v12
	s_delay_alu instid0(VALU_DEP_3) | instskip(NEXT) | instid1(VALU_DEP_2)
	v_fmac_f32_e32 v42, v4, v11
	v_fma_f32 v44, v3, v11, -v1
	s_clause 0x1
	scratch_load_b128 v[1:4], off, off offset:312
	scratch_load_b128 v[9:12], off, off offset:328
	s_wait_loadcnt_dscnt 0x100
	v_mul_f32_e32 v169, v5, v2
	v_dual_mul_f32 v2, v6, v2 :: v_dual_mul_f32 v171, v7, v4
	s_delay_alu instid0(VALU_DEP_2) | instskip(NEXT) | instid1(VALU_DEP_2)
	v_fmac_f32_e32 v169, v6, v1
	v_fma_f32 v170, v5, v1, -v2
	v_mul_f32_e32 v1, v8, v4
	s_delay_alu instid0(VALU_DEP_4) | instskip(NEXT) | instid1(VALU_DEP_2)
	v_fmac_f32_e32 v171, v8, v3
	v_fma_f32 v172, v7, v3, -v1
	ds_load_2addr_b64 v[1:4], v21 offset0:103 offset1:104
	ds_load_2addr_b64 v[5:8], v21 offset0:105 offset1:106
	s_wait_loadcnt_dscnt 0x1
	v_mul_f32_e32 v173, v1, v10
	v_mul_f32_e32 v175, v3, v12
	s_delay_alu instid0(VALU_DEP_2) | instskip(NEXT) | instid1(VALU_DEP_2)
	v_fmac_f32_e32 v173, v2, v9
	v_dual_mul_f32 v2, v2, v10 :: v_dual_fmac_f32 v175, v4, v11
	s_delay_alu instid0(VALU_DEP_1) | instskip(SKIP_1) | instid1(VALU_DEP_1)
	v_fma_f32 v174, v1, v9, -v2
	v_mul_f32_e32 v1, v4, v12
	v_fma_f32 v176, v3, v11, -v1
	s_clause 0x1
	scratch_load_b128 v[1:4], off, off offset:344
	scratch_load_b128 v[9:12], off, off offset:360
	s_wait_loadcnt_dscnt 0x100
	v_mul_f32_e32 v177, v5, v2
	v_dual_mul_f32 v2, v6, v2 :: v_dual_mul_f32 v179, v7, v4
	s_delay_alu instid0(VALU_DEP_2) | instskip(NEXT) | instid1(VALU_DEP_2)
	v_fmac_f32_e32 v177, v6, v1
	v_fma_f32 v178, v5, v1, -v2
	v_mul_f32_e32 v1, v8, v4
	s_delay_alu instid0(VALU_DEP_4) | instskip(NEXT) | instid1(VALU_DEP_2)
	v_fmac_f32_e32 v179, v8, v3
	v_fma_f32 v180, v7, v3, -v1
	ds_load_2addr_b64 v[1:4], v21 offset0:107 offset1:108
	ds_load_2addr_b64 v[5:8], v21 offset0:109 offset1:110
	s_wait_loadcnt_dscnt 0x1
	v_mul_f32_e32 v181, v1, v10
	v_mul_f32_e32 v183, v3, v12
	s_delay_alu instid0(VALU_DEP_2) | instskip(NEXT) | instid1(VALU_DEP_2)
	v_fmac_f32_e32 v181, v2, v9
	v_dual_mul_f32 v2, v2, v10 :: v_dual_fmac_f32 v183, v4, v11
	s_delay_alu instid0(VALU_DEP_1) | instskip(SKIP_1) | instid1(VALU_DEP_1)
	v_fma_f32 v182, v1, v9, -v2
	v_mul_f32_e32 v1, v4, v12
	;; [unrolled: 25-line block ×3, first 2 shown]
	v_fma_f32 v192, v3, v11, -v1
	s_clause 0x1
	scratch_load_b128 v[1:4], off, off offset:408
	scratch_load_b128 v[9:12], off, off offset:424
	s_wait_loadcnt_dscnt 0x100
	v_mul_f32_e32 v193, v5, v2
	v_mul_f32_e32 v2, v6, v2
	s_delay_alu instid0(VALU_DEP_1) | instskip(SKIP_1) | instid1(VALU_DEP_1)
	v_fma_f32 v194, v5, v1, -v2
	v_add_f32_e32 v2, 0, v38
	v_add_f32_e32 v2, v2, v39
	s_delay_alu instid0(VALU_DEP_1) | instskip(NEXT) | instid1(VALU_DEP_1)
	v_add_f32_e32 v2, v2, v24
	v_add_f32_e32 v2, v2, v25
	s_delay_alu instid0(VALU_DEP_1) | instskip(NEXT) | instid1(VALU_DEP_1)
	v_add_f32_e32 v2, v2, v34
	v_add_f32_e32 v2, v2, v40
	v_fmac_f32_e32 v193, v6, v1
	s_delay_alu instid0(VALU_DEP_2) | instskip(NEXT) | instid1(VALU_DEP_1)
	v_dual_add_f32 v2, v2, v30 :: v_dual_mul_f32 v195, v7, v4
	v_dual_add_f32 v2, v2, v31 :: v_dual_mul_f32 v1, v8, v4
	s_delay_alu instid0(VALU_DEP_1) | instskip(NEXT) | instid1(VALU_DEP_3)
	v_add_f32_e32 v2, v2, v15
	v_fmac_f32_e32 v195, v8, v3
	s_delay_alu instid0(VALU_DEP_3) | instskip(NEXT) | instid1(VALU_DEP_3)
	v_fma_f32 v196, v7, v3, -v1
	v_add_f32_e32 v2, v2, v18
	s_delay_alu instid0(VALU_DEP_1) | instskip(NEXT) | instid1(VALU_DEP_1)
	v_dual_add_f32 v1, 0, v22 :: v_dual_add_f32 v2, v2, v19
	v_dual_add_f32 v1, v1, v23 :: v_dual_add_f32 v2, v2, v20
	s_delay_alu instid0(VALU_DEP_1) | instskip(NEXT) | instid1(VALU_DEP_1)
	v_add_f32_e32 v1, v1, v26
	v_add_f32_e32 v1, v1, v27
	scratch_load_b64 v[26:27], off, off offset:488
	v_add_f32_e32 v1, v1, v28
	s_delay_alu instid0(VALU_DEP_1) | instskip(NEXT) | instid1(VALU_DEP_1)
	v_add_f32_e32 v1, v1, v29
	v_add_f32_e32 v1, v1, v13
	s_delay_alu instid0(VALU_DEP_1) | instskip(NEXT) | instid1(VALU_DEP_1)
	v_add_f32_e32 v1, v1, v14
	;; [unrolled: 3-line block ×7, first 2 shown]
	v_add_f32_e32 v13, v13, v178
	v_add_f32_e32 v5, v2, v41
	ds_load_2addr_b64 v[1:4], v21 offset0:115 offset1:116
	v_add_f32_e32 v18, v13, v180
	s_delay_alu instid0(VALU_DEP_1) | instskip(NEXT) | instid1(VALU_DEP_1)
	v_add_f32_e32 v18, v18, v182
	v_add_f32_e32 v18, v18, v184
	s_delay_alu instid0(VALU_DEP_1) | instskip(NEXT) | instid1(VALU_DEP_1)
	v_add_f32_e32 v18, v18, v186
	;; [unrolled: 3-line block ×3, first 2 shown]
	v_dual_add_f32 v5, v5, v42 :: v_dual_add_f32 v34, v28, v192
	s_delay_alu instid0(VALU_DEP_1) | instskip(NEXT) | instid1(VALU_DEP_1)
	v_dual_add_f32 v5, v5, v169 :: v_dual_add_f32 v34, v34, v194
	v_add_f32_e32 v14, v5, v171
	ds_load_2addr_b64 v[5:8], v21 offset0:117 offset1:118
	s_wait_loadcnt_dscnt 0x101
	v_mul_f32_e32 v30, v1, v10
	v_mul_f32_e32 v10, v2, v10
	v_add_f32_e32 v34, v34, v196
	v_add_f32_e32 v14, v14, v173
	s_delay_alu instid0(VALU_DEP_4) | instskip(NEXT) | instid1(VALU_DEP_4)
	v_fmac_f32_e32 v30, v2, v9
	v_fma_f32 v32, v1, v9, -v10
	s_delay_alu instid0(VALU_DEP_3) | instskip(NEXT) | instid1(VALU_DEP_2)
	v_add_f32_e32 v14, v14, v175
	v_add_f32_e32 v32, v34, v32
	s_delay_alu instid0(VALU_DEP_2) | instskip(SKIP_2) | instid1(VALU_DEP_1)
	v_add_f32_e32 v17, v14, v177
	scratch_load_b128 v[13:16], off, off offset:472
	v_add_f32_e32 v17, v17, v179
	v_add_f32_e32 v17, v17, v181
	s_delay_alu instid0(VALU_DEP_1) | instskip(NEXT) | instid1(VALU_DEP_1)
	v_add_f32_e32 v17, v17, v183
	v_add_f32_e32 v17, v17, v185
	s_delay_alu instid0(VALU_DEP_1)
	v_add_f32_e32 v22, v17, v187
	ds_load_2addr_b64 v[17:20], v21 offset0:119 offset1:120
	v_add_f32_e32 v29, v22, v189
	v_mul_f32_e32 v31, v3, v12
	v_mul_f32_e32 v12, v4, v12
	ds_load_2addr_b64 v[22:25], v21 offset0:121 offset1:122
	v_add_f32_e32 v38, v29, v191
	v_fmac_f32_e32 v31, v4, v11
	v_fma_f32 v33, v3, v11, -v12
	s_clause 0x1
	scratch_load_b128 v[1:4], off, off offset:440
	scratch_load_b128 v[9:12], off, off offset:456
	v_add_f32_e32 v38, v38, v193
	ds_load_b64 v[28:29], v21 offset:984
	v_add_f32_e32 v32, v32, v33
	v_add_f32_e32 v38, v38, v195
	s_delay_alu instid0(VALU_DEP_1) | instskip(SKIP_1) | instid1(VALU_DEP_1)
	v_add_f32_e32 v30, v38, v30
	s_wait_loadcnt_dscnt 0x201
	v_dual_add_f32 v30, v30, v31 :: v_dual_mul_f32 v33, v24, v16
	s_wait_loadcnt 0x1
	v_mul_f32_e32 v39, v5, v2
	v_mul_f32_e32 v2, v6, v2
	;; [unrolled: 1-line block ×4, first 2 shown]
	s_wait_loadcnt 0x0
	v_mul_f32_e32 v34, v17, v10
	v_mul_f32_e32 v41, v22, v14
	v_fma_f32 v2, v5, v1, -v2
	v_dual_fmac_f32 v39, v6, v1 :: v_dual_fmac_f32 v40, v8, v3
	v_fma_f32 v1, v7, v3, -v4
	v_mul_f32_e32 v5, v20, v12
	s_delay_alu instid0(VALU_DEP_4) | instskip(NEXT) | instid1(VALU_DEP_4)
	v_add_f32_e32 v2, v32, v2
	v_add_f32_e32 v4, v30, v39
	v_dual_mul_f32 v3, v18, v10 :: v_dual_mul_f32 v38, v19, v12
	s_wait_dscnt 0x0
	v_dual_mul_f32 v31, v28, v27 :: v_dual_fmac_f32 v34, v18, v9
	s_delay_alu instid0(VALU_DEP_3) | instskip(NEXT) | instid1(VALU_DEP_3)
	v_dual_add_f32 v1, v2, v1 :: v_dual_add_f32 v2, v4, v40
	v_fma_f32 v3, v17, v9, -v3
	v_mul_f32_e32 v4, v23, v14
	v_fmac_f32_e32 v38, v20, v11
	v_fma_f32 v5, v19, v11, -v5
	s_delay_alu instid0(VALU_DEP_4) | instskip(SKIP_3) | instid1(VALU_DEP_4)
	v_dual_add_f32 v2, v2, v34 :: v_dual_add_f32 v1, v1, v3
	v_mul_f32_e32 v3, v25, v16
	v_fmac_f32_e32 v41, v23, v13
	v_fma_f32 v4, v22, v13, -v4
	v_dual_add_f32 v2, v2, v38 :: v_dual_fmac_f32 v33, v25, v15
	s_delay_alu instid0(VALU_DEP_4) | instskip(NEXT) | instid1(VALU_DEP_2)
	v_fma_f32 v3, v24, v15, -v3
	v_dual_add_f32 v2, v2, v41 :: v_dual_fmac_f32 v31, v29, v26
	s_delay_alu instid0(VALU_DEP_1) | instskip(SKIP_2) | instid1(VALU_DEP_2)
	v_add_f32_e32 v2, v2, v33
	v_add_f32_e32 v1, v1, v5
	v_mul_f32_e32 v5, v29, v27
	v_dual_add_f32 v2, v2, v31 :: v_dual_add_f32 v1, v1, v4
	s_delay_alu instid0(VALU_DEP_2) | instskip(NEXT) | instid1(VALU_DEP_2)
	v_fma_f32 v4, v28, v26, -v5
	v_sub_f32_e32 v2, v37, v2
	s_delay_alu instid0(VALU_DEP_3) | instskip(NEXT) | instid1(VALU_DEP_1)
	v_add_f32_e32 v1, v1, v3
	v_add_f32_e32 v1, v1, v4
	s_delay_alu instid0(VALU_DEP_1)
	v_sub_f32_e32 v1, v36, v1
	scratch_store_b64 off, v[1:2], off offset:192
	v_cmpx_lt_u32_e32 23, v0
	s_cbranch_execz .LBB61_339
; %bb.338:
	scratch_load_b64 v[1:2], off, off offset:184
	v_mov_b32_e32 v22, v21
	scratch_store_b64 off, v[21:22], off offset:184
	s_wait_loadcnt 0x0
	ds_store_b64 v35, v[1:2]
.LBB61_339:
	s_wait_alu 0xfffe
	s_or_b32 exec_lo, exec_lo, s0
	s_wait_storecnt_dscnt 0x0
	s_barrier_signal -1
	s_barrier_wait -1
	global_inv scope:SCOPE_SE
	s_clause 0x4
	scratch_load_b128 v[5:8], off, off offset:192
	scratch_load_b128 v[1:4], off, off offset:208
	scratch_load_b128 v[9:12], off, off offset:224
	scratch_load_b128 v[13:16], off, off offset:240
	scratch_load_b128 v[17:20], off, off offset:256
	ds_load_b128 v[22:25], v21 offset:688
	ds_load_b128 v[26:29], v21 offset:704
	;; [unrolled: 1-line block ×3, first 2 shown]
	scratch_load_b64 v[36:37], off, off offset:184
	s_mov_b32 s0, exec_lo
	s_wait_loadcnt_dscnt 0x502
	v_dual_mul_f32 v34, v23, v6 :: v_dual_mul_f32 v39, v24, v8
	v_mul_f32_e32 v38, v22, v6
	v_mul_f32_e32 v6, v25, v8
	s_wait_loadcnt_dscnt 0x300
	v_mul_f32_e32 v40, v32, v12
	v_fma_f32 v22, v22, v5, -v34
	v_dual_fmac_f32 v39, v25, v7 :: v_dual_fmac_f32 v38, v23, v5
	v_mul_f32_e32 v25, v28, v4
	v_fma_f32 v23, v24, v7, -v6
	ds_load_b128 v[5:8], v21 offset:736
	v_mul_f32_e32 v24, v26, v2
	v_mul_f32_e32 v4, v29, v4
	;; [unrolled: 1-line block ×5, first 2 shown]
	v_dual_mul_f32 v2, v27, v2 :: v_dual_fmac_f32 v25, v29, v3
	v_fmac_f32_e32 v24, v27, v1
	v_fma_f32 v27, v28, v3, -v4
	v_fmac_f32_e32 v34, v31, v9
	v_fma_f32 v28, v30, v9, -v10
	v_fmac_f32_e32 v40, v33, v11
	v_fma_f32 v29, v32, v11, -v12
	ds_load_b128 v[9:12], v21 offset:752
	s_wait_loadcnt_dscnt 0x201
	v_mul_f32_e32 v30, v5, v14
	v_dual_mul_f32 v14, v6, v14 :: v_dual_mul_f32 v31, v7, v16
	v_mul_f32_e32 v16, v8, v16
	s_delay_alu instid0(VALU_DEP_3) | instskip(NEXT) | instid1(VALU_DEP_3)
	v_fmac_f32_e32 v30, v6, v13
	v_fma_f32 v13, v5, v13, -v14
	s_delay_alu instid0(VALU_DEP_4) | instskip(NEXT) | instid1(VALU_DEP_4)
	v_fmac_f32_e32 v31, v8, v15
	v_fma_f32 v14, v7, v15, -v16
	ds_load_b128 v[5:8], v21 offset:768
	s_wait_loadcnt_dscnt 0x101
	v_mul_f32_e32 v15, v9, v18
	v_mul_f32_e32 v16, v10, v18
	;; [unrolled: 1-line block ×3, first 2 shown]
	s_delay_alu instid0(VALU_DEP_3)
	v_dual_mul_f32 v20, v12, v20 :: v_dual_fmac_f32 v15, v10, v17
	v_fma_f32 v26, v26, v1, -v2
	scratch_load_b128 v[1:4], off, off offset:272
	v_fma_f32 v16, v9, v17, -v16
	v_fmac_f32_e32 v18, v12, v19
	v_fma_f32 v17, v11, v19, -v20
	scratch_load_b128 v[9:12], off, off offset:288
	s_wait_loadcnt_dscnt 0x100
	v_mul_f32_e32 v19, v5, v2
	v_mul_f32_e32 v2, v6, v2
	;; [unrolled: 1-line block ×3, first 2 shown]
	s_delay_alu instid0(VALU_DEP_3) | instskip(NEXT) | instid1(VALU_DEP_3)
	v_dual_mul_f32 v4, v8, v4 :: v_dual_fmac_f32 v19, v6, v1
	v_fma_f32 v32, v5, v1, -v2
	s_delay_alu instid0(VALU_DEP_3) | instskip(NEXT) | instid1(VALU_DEP_3)
	v_fmac_f32_e32 v20, v8, v3
	v_fma_f32 v33, v7, v3, -v4
	ds_load_b128 v[1:4], v21 offset:784
	ds_load_b128 v[5:8], v21 offset:800
	s_wait_loadcnt_dscnt 0x1
	v_mul_f32_e32 v41, v1, v10
	v_mul_f32_e32 v10, v2, v10
	s_delay_alu instid0(VALU_DEP_2) | instskip(NEXT) | instid1(VALU_DEP_2)
	v_dual_mul_f32 v42, v3, v12 :: v_dual_fmac_f32 v41, v2, v9
	v_fma_f32 v43, v1, v9, -v10
	v_mul_f32_e32 v1, v4, v12
	s_delay_alu instid0(VALU_DEP_3) | instskip(NEXT) | instid1(VALU_DEP_2)
	v_fmac_f32_e32 v42, v4, v11
	v_fma_f32 v44, v3, v11, -v1
	s_clause 0x1
	scratch_load_b128 v[1:4], off, off offset:304
	scratch_load_b128 v[9:12], off, off offset:320
	s_wait_loadcnt_dscnt 0x100
	v_mul_f32_e32 v169, v5, v2
	v_dual_mul_f32 v2, v6, v2 :: v_dual_mul_f32 v171, v7, v4
	s_delay_alu instid0(VALU_DEP_2) | instskip(NEXT) | instid1(VALU_DEP_2)
	v_fmac_f32_e32 v169, v6, v1
	v_fma_f32 v170, v5, v1, -v2
	v_mul_f32_e32 v1, v8, v4
	s_delay_alu instid0(VALU_DEP_4) | instskip(NEXT) | instid1(VALU_DEP_2)
	v_fmac_f32_e32 v171, v8, v3
	v_fma_f32 v172, v7, v3, -v1
	ds_load_b128 v[1:4], v21 offset:816
	ds_load_b128 v[5:8], v21 offset:832
	s_wait_loadcnt_dscnt 0x1
	v_mul_f32_e32 v173, v1, v10
	v_mul_f32_e32 v175, v3, v12
	s_delay_alu instid0(VALU_DEP_2) | instskip(NEXT) | instid1(VALU_DEP_2)
	v_fmac_f32_e32 v173, v2, v9
	v_dual_mul_f32 v2, v2, v10 :: v_dual_fmac_f32 v175, v4, v11
	s_delay_alu instid0(VALU_DEP_1) | instskip(SKIP_1) | instid1(VALU_DEP_1)
	v_fma_f32 v174, v1, v9, -v2
	v_mul_f32_e32 v1, v4, v12
	v_fma_f32 v176, v3, v11, -v1
	s_clause 0x1
	scratch_load_b128 v[1:4], off, off offset:336
	scratch_load_b128 v[9:12], off, off offset:352
	s_wait_loadcnt_dscnt 0x100
	v_mul_f32_e32 v177, v5, v2
	v_dual_mul_f32 v2, v6, v2 :: v_dual_mul_f32 v179, v7, v4
	s_delay_alu instid0(VALU_DEP_2) | instskip(NEXT) | instid1(VALU_DEP_2)
	v_fmac_f32_e32 v177, v6, v1
	v_fma_f32 v178, v5, v1, -v2
	v_mul_f32_e32 v1, v8, v4
	s_delay_alu instid0(VALU_DEP_4) | instskip(NEXT) | instid1(VALU_DEP_2)
	v_fmac_f32_e32 v179, v8, v3
	v_fma_f32 v180, v7, v3, -v1
	ds_load_b128 v[1:4], v21 offset:848
	ds_load_b128 v[5:8], v21 offset:864
	s_wait_loadcnt_dscnt 0x1
	v_mul_f32_e32 v181, v1, v10
	v_mul_f32_e32 v183, v3, v12
	s_delay_alu instid0(VALU_DEP_2) | instskip(NEXT) | instid1(VALU_DEP_2)
	v_fmac_f32_e32 v181, v2, v9
	v_dual_mul_f32 v2, v2, v10 :: v_dual_fmac_f32 v183, v4, v11
	s_delay_alu instid0(VALU_DEP_1) | instskip(SKIP_1) | instid1(VALU_DEP_1)
	v_fma_f32 v182, v1, v9, -v2
	v_mul_f32_e32 v1, v4, v12
	;; [unrolled: 25-line block ×3, first 2 shown]
	v_fma_f32 v192, v3, v11, -v1
	s_clause 0x1
	scratch_load_b128 v[1:4], off, off offset:400
	scratch_load_b128 v[9:12], off, off offset:416
	s_wait_loadcnt_dscnt 0x100
	v_mul_f32_e32 v193, v5, v2
	v_mul_f32_e32 v2, v6, v2
	s_delay_alu instid0(VALU_DEP_1) | instskip(SKIP_1) | instid1(VALU_DEP_1)
	v_fma_f32 v194, v5, v1, -v2
	v_add_f32_e32 v2, 0, v38
	v_add_f32_e32 v2, v2, v39
	s_delay_alu instid0(VALU_DEP_1) | instskip(NEXT) | instid1(VALU_DEP_1)
	v_add_f32_e32 v2, v2, v24
	v_add_f32_e32 v2, v2, v25
	s_delay_alu instid0(VALU_DEP_1) | instskip(NEXT) | instid1(VALU_DEP_1)
	v_add_f32_e32 v2, v2, v34
	v_add_f32_e32 v2, v2, v40
	v_fmac_f32_e32 v193, v6, v1
	s_delay_alu instid0(VALU_DEP_2) | instskip(NEXT) | instid1(VALU_DEP_1)
	v_dual_add_f32 v2, v2, v30 :: v_dual_mul_f32 v195, v7, v4
	v_dual_add_f32 v2, v2, v31 :: v_dual_mul_f32 v1, v8, v4
	s_delay_alu instid0(VALU_DEP_1) | instskip(NEXT) | instid1(VALU_DEP_3)
	v_add_f32_e32 v2, v2, v15
	v_fmac_f32_e32 v195, v8, v3
	s_delay_alu instid0(VALU_DEP_3) | instskip(NEXT) | instid1(VALU_DEP_3)
	v_fma_f32 v196, v7, v3, -v1
	v_add_f32_e32 v2, v2, v18
	s_delay_alu instid0(VALU_DEP_1) | instskip(NEXT) | instid1(VALU_DEP_1)
	v_dual_add_f32 v1, 0, v22 :: v_dual_add_f32 v2, v2, v19
	v_dual_add_f32 v1, v1, v23 :: v_dual_add_f32 v2, v2, v20
	s_delay_alu instid0(VALU_DEP_1) | instskip(NEXT) | instid1(VALU_DEP_1)
	v_dual_add_f32 v1, v1, v26 :: v_dual_add_f32 v2, v2, v41
	v_add_f32_e32 v1, v1, v27
	s_delay_alu instid0(VALU_DEP_2) | instskip(NEXT) | instid1(VALU_DEP_2)
	v_add_f32_e32 v5, v2, v42
	v_add_f32_e32 v1, v1, v28
	s_delay_alu instid0(VALU_DEP_1) | instskip(NEXT) | instid1(VALU_DEP_1)
	v_add_f32_e32 v1, v1, v29
	v_add_f32_e32 v1, v1, v13
	s_delay_alu instid0(VALU_DEP_4) | instskip(NEXT) | instid1(VALU_DEP_1)
	v_add_f32_e32 v13, v5, v169
	v_add_f32_e32 v13, v13, v171
	s_delay_alu instid0(VALU_DEP_1) | instskip(NEXT) | instid1(VALU_DEP_1)
	v_add_f32_e32 v13, v13, v173
	v_add_f32_e32 v18, v13, v175
	s_delay_alu instid0(VALU_DEP_1) | instskip(NEXT) | instid1(VALU_DEP_1)
	v_dual_add_f32 v1, v1, v14 :: v_dual_add_f32 v18, v18, v177
	v_dual_add_f32 v1, v1, v16 :: v_dual_add_f32 v18, v18, v179
	s_delay_alu instid0(VALU_DEP_1) | instskip(NEXT) | instid1(VALU_DEP_1)
	v_add_f32_e32 v1, v1, v17
	v_dual_add_f32 v22, v18, v181 :: v_dual_add_f32 v1, v1, v32
	s_delay_alu instid0(VALU_DEP_1) | instskip(NEXT) | instid1(VALU_DEP_1)
	v_dual_add_f32 v22, v22, v183 :: v_dual_add_f32 v1, v1, v33
	v_dual_add_f32 v22, v22, v185 :: v_dual_add_f32 v1, v1, v43
	s_delay_alu instid0(VALU_DEP_1) | instskip(NEXT) | instid1(VALU_DEP_1)
	v_add_f32_e32 v1, v1, v44
	v_add_f32_e32 v6, v1, v170
	ds_load_b128 v[1:4], v21 offset:912
	v_add_f32_e32 v14, v6, v172
	scratch_load_b128 v[5:8], off, off offset:432
	v_add_f32_e32 v14, v14, v174
	s_delay_alu instid0(VALU_DEP_1)
	v_add_f32_e32 v17, v14, v176
	ds_load_b128 v[13:16], v21 offset:928
	v_add_f32_e32 v17, v17, v178
	s_wait_loadcnt_dscnt 0x101
	v_mul_f32_e32 v25, v1, v10
	v_mul_f32_e32 v10, v2, v10
	;; [unrolled: 1-line block ×4, first 2 shown]
	v_add_f32_e32 v17, v17, v180
	v_fmac_f32_e32 v25, v2, v9
	v_fma_f32 v27, v1, v9, -v10
	v_fmac_f32_e32 v26, v4, v11
	v_fma_f32 v28, v3, v11, -v12
	s_clause 0x1
	scratch_load_b128 v[1:4], off, off offset:448
	scratch_load_b128 v[9:12], off, off offset:464
	s_wait_loadcnt_dscnt 0x200
	v_mul_f32_e32 v29, v13, v6
	v_mul_f32_e32 v6, v14, v6
	;; [unrolled: 1-line block ×3, first 2 shown]
	s_delay_alu instid0(VALU_DEP_3) | instskip(NEXT) | instid1(VALU_DEP_3)
	v_dual_mul_f32 v8, v16, v8 :: v_dual_fmac_f32 v29, v14, v5
	v_fma_f32 v31, v13, v5, -v6
	s_delay_alu instid0(VALU_DEP_3) | instskip(NEXT) | instid1(VALU_DEP_3)
	v_fmac_f32_e32 v30, v16, v7
	v_fma_f32 v32, v15, v7, -v8
	ds_load_b128 v[5:8], v21 offset:944
	v_add_f32_e32 v17, v17, v182
	v_add_f32_e32 v13, v22, v187
	s_delay_alu instid0(VALU_DEP_2) | instskip(SKIP_2) | instid1(VALU_DEP_1)
	v_add_f32_e32 v23, v17, v184
	scratch_load_b128 v[17:20], off, off offset:480
	v_add_f32_e32 v23, v23, v186
	v_add_f32_e32 v23, v23, v188
	s_delay_alu instid0(VALU_DEP_1)
	v_dual_add_f32 v22, v23, v190 :: v_dual_add_f32 v23, v13, v189
	ds_load_b128 v[13:16], v21 offset:960
	s_wait_loadcnt_dscnt 0x201
	v_mul_f32_e32 v38, v5, v2
	v_mul_f32_e32 v2, v6, v2
	v_add_f32_e32 v33, v22, v192
	s_delay_alu instid0(VALU_DEP_3) | instskip(NEXT) | instid1(VALU_DEP_3)
	v_fmac_f32_e32 v38, v6, v1
	v_fma_f32 v2, v5, v1, -v2
	s_delay_alu instid0(VALU_DEP_3)
	v_add_f32_e32 v33, v33, v194
	s_wait_loadcnt_dscnt 0x100
	v_mul_f32_e32 v6, v14, v10
	v_add_f32_e32 v34, v23, v191
	ds_load_b128 v[21:24], v21 offset:976
	v_add_f32_e32 v34, v34, v193
	s_delay_alu instid0(VALU_DEP_1) | instskip(NEXT) | instid1(VALU_DEP_1)
	v_add_f32_e32 v34, v34, v195
	v_dual_add_f32 v25, v34, v25 :: v_dual_mul_f32 v34, v13, v10
	v_add_f32_e32 v33, v33, v196
	s_delay_alu instid0(VALU_DEP_2) | instskip(NEXT) | instid1(VALU_DEP_2)
	v_dual_add_f32 v25, v25, v26 :: v_dual_fmac_f32 v34, v14, v9
	v_add_f32_e32 v27, v33, v27
	v_mul_f32_e32 v33, v7, v4
	v_mul_f32_e32 v4, v8, v4
	s_delay_alu instid0(VALU_DEP_2) | instskip(NEXT) | instid1(VALU_DEP_2)
	v_fmac_f32_e32 v33, v8, v3
	v_fma_f32 v3, v7, v3, -v4
	v_mul_f32_e32 v4, v16, v12
	s_delay_alu instid0(VALU_DEP_1) | instskip(SKIP_3) | instid1(VALU_DEP_2)
	v_fma_f32 v4, v15, v11, -v4
	s_wait_loadcnt_dscnt 0x0
	v_dual_mul_f32 v26, v21, v18 :: v_dual_mul_f32 v39, v15, v12
	v_add_f32_e32 v25, v25, v29
	v_dual_fmac_f32 v26, v22, v17 :: v_dual_fmac_f32 v39, v16, v11
	v_add_f32_e32 v27, v27, v28
	s_delay_alu instid0(VALU_DEP_3) | instskip(NEXT) | instid1(VALU_DEP_2)
	v_dual_add_f32 v5, v25, v30 :: v_dual_mul_f32 v28, v23, v20
	v_add_f32_e32 v27, v27, v31
	s_delay_alu instid0(VALU_DEP_1) | instskip(NEXT) | instid1(VALU_DEP_1)
	v_dual_fmac_f32 v28, v24, v19 :: v_dual_add_f32 v1, v27, v32
	v_add_f32_e32 v1, v1, v2
	s_delay_alu instid0(VALU_DEP_4) | instskip(SKIP_1) | instid1(VALU_DEP_2)
	v_add_f32_e32 v2, v5, v38
	v_fma_f32 v5, v13, v9, -v6
	v_dual_add_f32 v1, v1, v3 :: v_dual_add_f32 v2, v2, v33
	v_mul_f32_e32 v3, v22, v18
	s_delay_alu instid0(VALU_DEP_2) | instskip(SKIP_1) | instid1(VALU_DEP_3)
	v_dual_add_f32 v1, v1, v5 :: v_dual_add_f32 v2, v2, v34
	v_mul_f32_e32 v5, v24, v20
	v_fma_f32 v3, v21, v17, -v3
	s_delay_alu instid0(VALU_DEP_3) | instskip(NEXT) | instid1(VALU_DEP_3)
	v_dual_add_f32 v1, v1, v4 :: v_dual_add_f32 v2, v2, v39
	v_fma_f32 v4, v23, v19, -v5
	s_delay_alu instid0(VALU_DEP_2) | instskip(NEXT) | instid1(VALU_DEP_1)
	v_dual_add_f32 v1, v1, v3 :: v_dual_add_f32 v2, v2, v26
	v_add_f32_e32 v1, v1, v4
	s_delay_alu instid0(VALU_DEP_1) | instskip(NEXT) | instid1(VALU_DEP_1)
	v_dual_add_f32 v2, v2, v28 :: v_dual_sub_f32 v1, v36, v1
	v_sub_f32_e32 v2, v37, v2
	scratch_store_b64 off, v[1:2], off offset:184
	v_cmpx_lt_u32_e32 22, v0
	s_cbranch_execz .LBB61_341
; %bb.340:
	scratch_load_b64 v[1:2], off, off offset:176
	v_mov_b32_e32 v3, 0
	s_delay_alu instid0(VALU_DEP_1)
	v_mov_b32_e32 v4, v3
	scratch_store_b64 off, v[3:4], off offset:176
	s_wait_loadcnt 0x0
	ds_store_b64 v35, v[1:2]
.LBB61_341:
	s_wait_alu 0xfffe
	s_or_b32 exec_lo, exec_lo, s0
	s_wait_storecnt_dscnt 0x0
	s_barrier_signal -1
	s_barrier_wait -1
	global_inv scope:SCOPE_SE
	s_clause 0x4
	scratch_load_b128 v[5:8], off, off offset:184
	scratch_load_b128 v[1:4], off, off offset:200
	;; [unrolled: 1-line block ×5, first 2 shown]
	v_mov_b32_e32 v21, 0
	ds_load_2addr_b64 v[22:25], v21 offset0:85 offset1:86
	ds_load_2addr_b64 v[26:29], v21 offset0:87 offset1:88
	;; [unrolled: 1-line block ×3, first 2 shown]
	scratch_load_b64 v[36:37], off, off offset:176
	s_mov_b32 s0, exec_lo
	s_wait_loadcnt_dscnt 0x502
	v_mul_f32_e32 v34, v23, v6
	v_dual_mul_f32 v38, v22, v6 :: v_dual_mul_f32 v39, v24, v8
	v_mul_f32_e32 v6, v25, v8
	s_wait_loadcnt_dscnt 0x300
	v_mul_f32_e32 v40, v32, v12
	v_fma_f32 v22, v22, v5, -v34
	v_dual_fmac_f32 v38, v23, v5 :: v_dual_fmac_f32 v39, v25, v7
	v_fma_f32 v23, v24, v7, -v6
	v_dual_mul_f32 v24, v26, v2 :: v_dual_mul_f32 v25, v28, v4
	v_mul_f32_e32 v2, v27, v2
	v_mul_f32_e32 v4, v29, v4
	ds_load_2addr_b64 v[5:8], v21 offset0:91 offset1:92
	v_mul_f32_e32 v34, v30, v10
	v_dual_fmac_f32 v24, v27, v1 :: v_dual_fmac_f32 v25, v29, v3
	v_fma_f32 v26, v26, v1, -v2
	v_fma_f32 v27, v28, v3, -v4
	v_mul_f32_e32 v12, v33, v12
	scratch_load_b128 v[1:4], off, off offset:264
	v_mul_f32_e32 v10, v31, v10
	v_fmac_f32_e32 v34, v31, v9
	v_fmac_f32_e32 v40, v33, v11
	v_fma_f32 v29, v32, v11, -v12
	s_delay_alu instid0(VALU_DEP_4)
	v_fma_f32 v28, v30, v9, -v10
	ds_load_2addr_b64 v[9:12], v21 offset0:93 offset1:94
	s_wait_loadcnt_dscnt 0x301
	v_mul_f32_e32 v30, v5, v14
	v_dual_mul_f32 v14, v6, v14 :: v_dual_mul_f32 v31, v7, v16
	v_mul_f32_e32 v16, v8, v16
	s_delay_alu instid0(VALU_DEP_3) | instskip(NEXT) | instid1(VALU_DEP_3)
	v_fmac_f32_e32 v30, v6, v13
	v_fma_f32 v13, v5, v13, -v14
	s_delay_alu instid0(VALU_DEP_4) | instskip(NEXT) | instid1(VALU_DEP_4)
	v_fmac_f32_e32 v31, v8, v15
	v_fma_f32 v14, v7, v15, -v16
	ds_load_2addr_b64 v[5:8], v21 offset0:95 offset1:96
	s_wait_loadcnt_dscnt 0x201
	v_mul_f32_e32 v15, v9, v18
	v_mul_f32_e32 v16, v10, v18
	;; [unrolled: 1-line block ×3, first 2 shown]
	s_delay_alu instid0(VALU_DEP_3) | instskip(NEXT) | instid1(VALU_DEP_3)
	v_dual_mul_f32 v20, v12, v20 :: v_dual_fmac_f32 v15, v10, v17
	v_fma_f32 v16, v9, v17, -v16
	s_delay_alu instid0(VALU_DEP_3) | instskip(NEXT) | instid1(VALU_DEP_3)
	v_fmac_f32_e32 v18, v12, v19
	v_fma_f32 v17, v11, v19, -v20
	scratch_load_b128 v[9:12], off, off offset:280
	s_wait_loadcnt_dscnt 0x100
	v_mul_f32_e32 v19, v5, v2
	v_mul_f32_e32 v2, v6, v2
	;; [unrolled: 1-line block ×3, first 2 shown]
	s_delay_alu instid0(VALU_DEP_3) | instskip(NEXT) | instid1(VALU_DEP_3)
	v_dual_mul_f32 v4, v8, v4 :: v_dual_fmac_f32 v19, v6, v1
	v_fma_f32 v32, v5, v1, -v2
	s_delay_alu instid0(VALU_DEP_3) | instskip(NEXT) | instid1(VALU_DEP_3)
	v_fmac_f32_e32 v20, v8, v3
	v_fma_f32 v33, v7, v3, -v4
	ds_load_2addr_b64 v[1:4], v21 offset0:97 offset1:98
	ds_load_2addr_b64 v[5:8], v21 offset0:99 offset1:100
	s_wait_loadcnt_dscnt 0x1
	v_mul_f32_e32 v41, v1, v10
	v_mul_f32_e32 v10, v2, v10
	s_delay_alu instid0(VALU_DEP_2) | instskip(NEXT) | instid1(VALU_DEP_2)
	v_dual_mul_f32 v42, v3, v12 :: v_dual_fmac_f32 v41, v2, v9
	v_fma_f32 v43, v1, v9, -v10
	v_mul_f32_e32 v1, v4, v12
	s_delay_alu instid0(VALU_DEP_3) | instskip(NEXT) | instid1(VALU_DEP_2)
	v_fmac_f32_e32 v42, v4, v11
	v_fma_f32 v44, v3, v11, -v1
	s_clause 0x1
	scratch_load_b128 v[1:4], off, off offset:296
	scratch_load_b128 v[9:12], off, off offset:312
	s_wait_loadcnt_dscnt 0x100
	v_mul_f32_e32 v169, v5, v2
	v_dual_mul_f32 v2, v6, v2 :: v_dual_mul_f32 v171, v7, v4
	s_delay_alu instid0(VALU_DEP_2) | instskip(NEXT) | instid1(VALU_DEP_2)
	v_fmac_f32_e32 v169, v6, v1
	v_fma_f32 v170, v5, v1, -v2
	v_mul_f32_e32 v1, v8, v4
	s_delay_alu instid0(VALU_DEP_4) | instskip(NEXT) | instid1(VALU_DEP_2)
	v_fmac_f32_e32 v171, v8, v3
	v_fma_f32 v172, v7, v3, -v1
	ds_load_2addr_b64 v[1:4], v21 offset0:101 offset1:102
	ds_load_2addr_b64 v[5:8], v21 offset0:103 offset1:104
	s_wait_loadcnt_dscnt 0x1
	v_mul_f32_e32 v173, v1, v10
	v_mul_f32_e32 v175, v3, v12
	s_delay_alu instid0(VALU_DEP_2) | instskip(NEXT) | instid1(VALU_DEP_2)
	v_fmac_f32_e32 v173, v2, v9
	v_dual_mul_f32 v2, v2, v10 :: v_dual_fmac_f32 v175, v4, v11
	s_delay_alu instid0(VALU_DEP_1) | instskip(SKIP_1) | instid1(VALU_DEP_1)
	v_fma_f32 v174, v1, v9, -v2
	v_mul_f32_e32 v1, v4, v12
	v_fma_f32 v176, v3, v11, -v1
	s_clause 0x1
	scratch_load_b128 v[1:4], off, off offset:328
	scratch_load_b128 v[9:12], off, off offset:344
	s_wait_loadcnt_dscnt 0x100
	v_mul_f32_e32 v177, v5, v2
	v_dual_mul_f32 v2, v6, v2 :: v_dual_mul_f32 v179, v7, v4
	s_delay_alu instid0(VALU_DEP_2) | instskip(NEXT) | instid1(VALU_DEP_2)
	v_fmac_f32_e32 v177, v6, v1
	v_fma_f32 v178, v5, v1, -v2
	v_mul_f32_e32 v1, v8, v4
	s_delay_alu instid0(VALU_DEP_4) | instskip(NEXT) | instid1(VALU_DEP_2)
	v_fmac_f32_e32 v179, v8, v3
	v_fma_f32 v180, v7, v3, -v1
	ds_load_2addr_b64 v[1:4], v21 offset0:105 offset1:106
	ds_load_2addr_b64 v[5:8], v21 offset0:107 offset1:108
	s_wait_loadcnt_dscnt 0x1
	v_mul_f32_e32 v181, v1, v10
	v_mul_f32_e32 v183, v3, v12
	s_delay_alu instid0(VALU_DEP_2) | instskip(NEXT) | instid1(VALU_DEP_2)
	v_fmac_f32_e32 v181, v2, v9
	v_dual_mul_f32 v2, v2, v10 :: v_dual_fmac_f32 v183, v4, v11
	s_delay_alu instid0(VALU_DEP_1) | instskip(SKIP_1) | instid1(VALU_DEP_1)
	v_fma_f32 v182, v1, v9, -v2
	v_mul_f32_e32 v1, v4, v12
	;; [unrolled: 25-line block ×3, first 2 shown]
	v_fma_f32 v192, v3, v11, -v1
	s_clause 0x1
	scratch_load_b128 v[1:4], off, off offset:392
	scratch_load_b128 v[9:12], off, off offset:408
	s_wait_loadcnt_dscnt 0x100
	v_mul_f32_e32 v193, v5, v2
	v_mul_f32_e32 v2, v6, v2
	s_delay_alu instid0(VALU_DEP_1) | instskip(SKIP_1) | instid1(VALU_DEP_1)
	v_fma_f32 v194, v5, v1, -v2
	v_add_f32_e32 v2, 0, v38
	v_add_f32_e32 v2, v2, v39
	s_delay_alu instid0(VALU_DEP_1) | instskip(NEXT) | instid1(VALU_DEP_1)
	v_add_f32_e32 v2, v2, v24
	v_add_f32_e32 v2, v2, v25
	s_delay_alu instid0(VALU_DEP_1) | instskip(NEXT) | instid1(VALU_DEP_1)
	v_add_f32_e32 v2, v2, v34
	v_add_f32_e32 v2, v2, v40
	v_fmac_f32_e32 v193, v6, v1
	s_delay_alu instid0(VALU_DEP_2) | instskip(NEXT) | instid1(VALU_DEP_1)
	v_dual_add_f32 v2, v2, v30 :: v_dual_mul_f32 v195, v7, v4
	v_dual_add_f32 v2, v2, v31 :: v_dual_mul_f32 v1, v8, v4
	s_delay_alu instid0(VALU_DEP_1) | instskip(NEXT) | instid1(VALU_DEP_3)
	v_add_f32_e32 v2, v2, v15
	v_fmac_f32_e32 v195, v8, v3
	s_delay_alu instid0(VALU_DEP_3) | instskip(NEXT) | instid1(VALU_DEP_3)
	v_fma_f32 v196, v7, v3, -v1
	v_add_f32_e32 v2, v2, v18
	s_delay_alu instid0(VALU_DEP_1) | instskip(NEXT) | instid1(VALU_DEP_1)
	v_dual_add_f32 v1, 0, v22 :: v_dual_add_f32 v2, v2, v19
	v_dual_add_f32 v1, v1, v23 :: v_dual_add_f32 v2, v2, v20
	s_delay_alu instid0(VALU_DEP_1) | instskip(NEXT) | instid1(VALU_DEP_1)
	v_dual_add_f32 v1, v1, v26 :: v_dual_add_f32 v2, v2, v41
	v_add_f32_e32 v1, v1, v27
	scratch_load_b64 v[26:27], off, off offset:488
	v_add_f32_e32 v5, v2, v42
	v_add_f32_e32 v1, v1, v28
	s_delay_alu instid0(VALU_DEP_1) | instskip(NEXT) | instid1(VALU_DEP_1)
	v_add_f32_e32 v1, v1, v29
	v_add_f32_e32 v1, v1, v13
	s_delay_alu instid0(VALU_DEP_4) | instskip(NEXT) | instid1(VALU_DEP_1)
	v_add_f32_e32 v13, v5, v169
	v_add_f32_e32 v13, v13, v171
	s_delay_alu instid0(VALU_DEP_1) | instskip(NEXT) | instid1(VALU_DEP_1)
	v_add_f32_e32 v13, v13, v173
	v_add_f32_e32 v18, v13, v175
	s_delay_alu instid0(VALU_DEP_1) | instskip(NEXT) | instid1(VALU_DEP_1)
	v_dual_add_f32 v1, v1, v14 :: v_dual_add_f32 v18, v18, v177
	v_dual_add_f32 v1, v1, v16 :: v_dual_add_f32 v18, v18, v179
	s_delay_alu instid0(VALU_DEP_1) | instskip(NEXT) | instid1(VALU_DEP_1)
	v_add_f32_e32 v1, v1, v17
	v_dual_add_f32 v22, v18, v181 :: v_dual_add_f32 v1, v1, v32
	s_delay_alu instid0(VALU_DEP_1) | instskip(NEXT) | instid1(VALU_DEP_1)
	v_dual_add_f32 v22, v22, v183 :: v_dual_add_f32 v1, v1, v33
	v_add_f32_e32 v1, v1, v43
	s_delay_alu instid0(VALU_DEP_1) | instskip(NEXT) | instid1(VALU_DEP_1)
	v_add_f32_e32 v1, v1, v44
	v_add_f32_e32 v6, v1, v170
	scratch_load_b128 v[1:4], off, off offset:424
	v_add_f32_e32 v22, v22, v185
	v_add_f32_e32 v14, v6, v172
	ds_load_2addr_b64 v[5:8], v21 offset0:113 offset1:114
	v_add_f32_e32 v22, v22, v187
	v_add_f32_e32 v14, v14, v174
	s_delay_alu instid0(VALU_DEP_1)
	v_add_f32_e32 v17, v14, v176
	ds_load_2addr_b64 v[13:16], v21 offset0:115 offset1:116
	s_wait_loadcnt_dscnt 0x201
	v_mul_f32_e32 v30, v5, v10
	v_dual_mul_f32 v10, v6, v10 :: v_dual_mul_f32 v31, v7, v12
	v_mul_f32_e32 v12, v8, v12
	s_delay_alu instid0(VALU_DEP_3) | instskip(NEXT) | instid1(VALU_DEP_3)
	v_fmac_f32_e32 v30, v6, v9
	v_fma_f32 v32, v5, v9, -v10
	s_delay_alu instid0(VALU_DEP_4) | instskip(NEXT) | instid1(VALU_DEP_4)
	v_fmac_f32_e32 v31, v8, v11
	v_fma_f32 v33, v7, v11, -v12
	s_clause 0x1
	scratch_load_b128 v[5:8], off, off offset:440
	scratch_load_b128 v[9:12], off, off offset:456
	s_wait_loadcnt_dscnt 0x200
	v_mul_f32_e32 v34, v13, v2
	v_mul_f32_e32 v2, v14, v2
	v_dual_add_f32 v17, v17, v178 :: v_dual_mul_f32 v38, v15, v4
	v_mul_f32_e32 v4, v16, v4
	s_delay_alu instid0(VALU_DEP_4) | instskip(NEXT) | instid1(VALU_DEP_4)
	v_fmac_f32_e32 v34, v14, v1
	v_fma_f32 v39, v13, v1, -v2
	v_add_f32_e32 v13, v22, v189
	v_dual_add_f32 v17, v17, v180 :: v_dual_fmac_f32 v38, v16, v3
	v_fma_f32 v40, v15, v3, -v4
	ds_load_2addr_b64 v[1:4], v21 offset0:117 offset1:118
	v_add_f32_e32 v22, v13, v191
	v_add_f32_e32 v17, v17, v182
	s_delay_alu instid0(VALU_DEP_2) | instskip(NEXT) | instid1(VALU_DEP_1)
	v_add_f32_e32 v29, v22, v193
	v_add_f32_e32 v42, v29, v195
	s_delay_alu instid0(VALU_DEP_3) | instskip(SKIP_3) | instid1(VALU_DEP_1)
	v_add_f32_e32 v23, v17, v184
	scratch_load_b128 v[17:20], off, off offset:472
	v_add_f32_e32 v30, v42, v30
	v_add_f32_e32 v23, v23, v186
	;; [unrolled: 1-line block ×3, first 2 shown]
	s_delay_alu instid0(VALU_DEP_1) | instskip(NEXT) | instid1(VALU_DEP_1)
	v_add_f32_e32 v23, v23, v190
	v_add_f32_e32 v14, v23, v192
	ds_load_2addr_b64 v[22:25], v21 offset0:121 offset1:122
	v_add_f32_e32 v30, v30, v31
	v_add_f32_e32 v28, v14, v194
	ds_load_2addr_b64 v[13:16], v21 offset0:119 offset1:120
	s_wait_loadcnt_dscnt 0x202
	v_dual_add_f32 v30, v30, v34 :: v_dual_mul_f32 v31, v3, v8
	v_mul_f32_e32 v8, v4, v8
	v_add_f32_e32 v41, v28, v196
	ds_load_b64 v[28:29], v21 offset:984
	v_add_f32_e32 v30, v30, v38
	v_add_f32_e32 v32, v41, v32
	s_delay_alu instid0(VALU_DEP_1) | instskip(SKIP_2) | instid1(VALU_DEP_2)
	v_dual_add_f32 v32, v32, v33 :: v_dual_mul_f32 v41, v1, v6
	v_mul_f32_e32 v6, v2, v6
	s_wait_loadcnt_dscnt 0x101
	v_dual_add_f32 v32, v32, v39 :: v_dual_mul_f32 v33, v13, v10
	v_mul_f32_e32 v34, v15, v12
	s_delay_alu instid0(VALU_DEP_3) | instskip(NEXT) | instid1(VALU_DEP_3)
	v_fma_f32 v1, v1, v5, -v6
	v_dual_fmac_f32 v41, v2, v5 :: v_dual_add_f32 v32, v32, v40
	v_fmac_f32_e32 v31, v4, v7
	v_fma_f32 v2, v3, v7, -v8
	s_wait_dscnt 0x0
	v_dual_mul_f32 v38, v28, v27 :: v_dual_mul_f32 v3, v14, v10
	v_add_f32_e32 v1, v32, v1
	v_add_f32_e32 v4, v30, v41
	s_delay_alu instid0(VALU_DEP_3) | instskip(NEXT) | instid1(VALU_DEP_4)
	v_dual_fmac_f32 v33, v14, v9 :: v_dual_fmac_f32 v38, v29, v26
	v_fma_f32 v3, v13, v9, -v3
	s_delay_alu instid0(VALU_DEP_4) | instskip(NEXT) | instid1(VALU_DEP_4)
	v_dual_add_f32 v1, v1, v2 :: v_dual_fmac_f32 v34, v16, v11
	v_add_f32_e32 v2, v4, v31
	s_delay_alu instid0(VALU_DEP_1) | instskip(NEXT) | instid1(VALU_DEP_1)
	v_dual_mul_f32 v5, v16, v12 :: v_dual_add_f32 v2, v2, v33
	v_fma_f32 v5, v15, v11, -v5
	s_delay_alu instid0(VALU_DEP_2) | instskip(SKIP_3) | instid1(VALU_DEP_2)
	v_dual_add_f32 v1, v1, v3 :: v_dual_add_f32 v2, v2, v34
	s_wait_loadcnt 0x0
	v_dual_mul_f32 v39, v22, v18 :: v_dual_mul_f32 v40, v24, v20
	v_mul_f32_e32 v4, v23, v18
	v_dual_fmac_f32 v39, v23, v17 :: v_dual_fmac_f32 v40, v25, v19
	v_mul_f32_e32 v3, v25, v20
	s_delay_alu instid0(VALU_DEP_3) | instskip(NEXT) | instid1(VALU_DEP_3)
	v_fma_f32 v4, v22, v17, -v4
	v_dual_add_f32 v2, v2, v39 :: v_dual_add_f32 v1, v1, v5
	s_delay_alu instid0(VALU_DEP_3) | instskip(NEXT) | instid1(VALU_DEP_2)
	v_fma_f32 v3, v24, v19, -v3
	v_dual_add_f32 v2, v2, v40 :: v_dual_mul_f32 v5, v29, v27
	s_delay_alu instid0(VALU_DEP_1) | instskip(NEXT) | instid1(VALU_DEP_2)
	v_dual_add_f32 v1, v1, v4 :: v_dual_add_f32 v2, v2, v38
	v_fma_f32 v4, v28, v26, -v5
	s_delay_alu instid0(VALU_DEP_2) | instskip(NEXT) | instid1(VALU_DEP_3)
	v_add_f32_e32 v1, v1, v3
	v_sub_f32_e32 v2, v37, v2
	s_delay_alu instid0(VALU_DEP_2) | instskip(NEXT) | instid1(VALU_DEP_1)
	v_add_f32_e32 v1, v1, v4
	v_sub_f32_e32 v1, v36, v1
	scratch_store_b64 off, v[1:2], off offset:176
	v_cmpx_lt_u32_e32 21, v0
	s_cbranch_execz .LBB61_343
; %bb.342:
	scratch_load_b64 v[1:2], off, off offset:168
	v_mov_b32_e32 v22, v21
	scratch_store_b64 off, v[21:22], off offset:168
	s_wait_loadcnt 0x0
	ds_store_b64 v35, v[1:2]
.LBB61_343:
	s_wait_alu 0xfffe
	s_or_b32 exec_lo, exec_lo, s0
	s_wait_storecnt_dscnt 0x0
	s_barrier_signal -1
	s_barrier_wait -1
	global_inv scope:SCOPE_SE
	s_clause 0x4
	scratch_load_b128 v[5:8], off, off offset:176
	scratch_load_b128 v[1:4], off, off offset:192
	;; [unrolled: 1-line block ×5, first 2 shown]
	ds_load_b128 v[22:25], v21 offset:672
	ds_load_b128 v[26:29], v21 offset:688
	;; [unrolled: 1-line block ×3, first 2 shown]
	scratch_load_b64 v[36:37], off, off offset:168
	s_mov_b32 s0, exec_lo
	s_wait_loadcnt_dscnt 0x502
	v_dual_mul_f32 v34, v23, v6 :: v_dual_mul_f32 v39, v24, v8
	v_mul_f32_e32 v38, v22, v6
	v_mul_f32_e32 v6, v25, v8
	s_wait_loadcnt_dscnt 0x300
	v_mul_f32_e32 v40, v32, v12
	v_fma_f32 v22, v22, v5, -v34
	v_dual_fmac_f32 v39, v25, v7 :: v_dual_fmac_f32 v38, v23, v5
	v_mul_f32_e32 v25, v28, v4
	v_fma_f32 v23, v24, v7, -v6
	ds_load_b128 v[5:8], v21 offset:720
	v_mul_f32_e32 v24, v26, v2
	v_mul_f32_e32 v4, v29, v4
	;; [unrolled: 1-line block ×5, first 2 shown]
	v_dual_mul_f32 v2, v27, v2 :: v_dual_fmac_f32 v25, v29, v3
	v_fmac_f32_e32 v24, v27, v1
	v_fma_f32 v27, v28, v3, -v4
	v_fmac_f32_e32 v34, v31, v9
	v_fma_f32 v28, v30, v9, -v10
	;; [unrolled: 2-line block ×3, first 2 shown]
	ds_load_b128 v[9:12], v21 offset:736
	s_wait_loadcnt_dscnt 0x201
	v_mul_f32_e32 v30, v5, v14
	v_dual_mul_f32 v14, v6, v14 :: v_dual_mul_f32 v31, v7, v16
	v_mul_f32_e32 v16, v8, v16
	s_delay_alu instid0(VALU_DEP_3) | instskip(NEXT) | instid1(VALU_DEP_3)
	v_fmac_f32_e32 v30, v6, v13
	v_fma_f32 v13, v5, v13, -v14
	s_delay_alu instid0(VALU_DEP_4) | instskip(NEXT) | instid1(VALU_DEP_4)
	v_fmac_f32_e32 v31, v8, v15
	v_fma_f32 v14, v7, v15, -v16
	ds_load_b128 v[5:8], v21 offset:752
	s_wait_loadcnt_dscnt 0x101
	v_mul_f32_e32 v15, v9, v18
	v_mul_f32_e32 v16, v10, v18
	v_mul_f32_e32 v18, v11, v20
	s_delay_alu instid0(VALU_DEP_3)
	v_dual_mul_f32 v20, v12, v20 :: v_dual_fmac_f32 v15, v10, v17
	v_fma_f32 v26, v26, v1, -v2
	scratch_load_b128 v[1:4], off, off offset:256
	v_fma_f32 v16, v9, v17, -v16
	v_fmac_f32_e32 v18, v12, v19
	v_fma_f32 v17, v11, v19, -v20
	scratch_load_b128 v[9:12], off, off offset:272
	s_wait_loadcnt_dscnt 0x100
	v_mul_f32_e32 v19, v5, v2
	v_mul_f32_e32 v2, v6, v2
	;; [unrolled: 1-line block ×3, first 2 shown]
	s_delay_alu instid0(VALU_DEP_3) | instskip(NEXT) | instid1(VALU_DEP_3)
	v_dual_mul_f32 v4, v8, v4 :: v_dual_fmac_f32 v19, v6, v1
	v_fma_f32 v32, v5, v1, -v2
	s_delay_alu instid0(VALU_DEP_3) | instskip(NEXT) | instid1(VALU_DEP_3)
	v_fmac_f32_e32 v20, v8, v3
	v_fma_f32 v33, v7, v3, -v4
	ds_load_b128 v[1:4], v21 offset:768
	ds_load_b128 v[5:8], v21 offset:784
	s_wait_loadcnt_dscnt 0x1
	v_mul_f32_e32 v41, v1, v10
	v_mul_f32_e32 v10, v2, v10
	s_delay_alu instid0(VALU_DEP_2) | instskip(NEXT) | instid1(VALU_DEP_2)
	v_dual_mul_f32 v42, v3, v12 :: v_dual_fmac_f32 v41, v2, v9
	v_fma_f32 v43, v1, v9, -v10
	v_mul_f32_e32 v1, v4, v12
	s_delay_alu instid0(VALU_DEP_3) | instskip(NEXT) | instid1(VALU_DEP_2)
	v_fmac_f32_e32 v42, v4, v11
	v_fma_f32 v44, v3, v11, -v1
	s_clause 0x1
	scratch_load_b128 v[1:4], off, off offset:288
	scratch_load_b128 v[9:12], off, off offset:304
	s_wait_loadcnt_dscnt 0x100
	v_mul_f32_e32 v169, v5, v2
	v_dual_mul_f32 v2, v6, v2 :: v_dual_mul_f32 v171, v7, v4
	s_delay_alu instid0(VALU_DEP_2) | instskip(NEXT) | instid1(VALU_DEP_2)
	v_fmac_f32_e32 v169, v6, v1
	v_fma_f32 v170, v5, v1, -v2
	v_mul_f32_e32 v1, v8, v4
	s_delay_alu instid0(VALU_DEP_4) | instskip(NEXT) | instid1(VALU_DEP_2)
	v_fmac_f32_e32 v171, v8, v3
	v_fma_f32 v172, v7, v3, -v1
	ds_load_b128 v[1:4], v21 offset:800
	ds_load_b128 v[5:8], v21 offset:816
	s_wait_loadcnt_dscnt 0x1
	v_mul_f32_e32 v173, v1, v10
	v_mul_f32_e32 v175, v3, v12
	s_delay_alu instid0(VALU_DEP_2) | instskip(NEXT) | instid1(VALU_DEP_2)
	v_fmac_f32_e32 v173, v2, v9
	v_dual_mul_f32 v2, v2, v10 :: v_dual_fmac_f32 v175, v4, v11
	s_delay_alu instid0(VALU_DEP_1) | instskip(SKIP_1) | instid1(VALU_DEP_1)
	v_fma_f32 v174, v1, v9, -v2
	v_mul_f32_e32 v1, v4, v12
	v_fma_f32 v176, v3, v11, -v1
	s_clause 0x1
	scratch_load_b128 v[1:4], off, off offset:320
	scratch_load_b128 v[9:12], off, off offset:336
	s_wait_loadcnt_dscnt 0x100
	v_mul_f32_e32 v177, v5, v2
	v_dual_mul_f32 v2, v6, v2 :: v_dual_mul_f32 v179, v7, v4
	s_delay_alu instid0(VALU_DEP_2) | instskip(NEXT) | instid1(VALU_DEP_2)
	v_fmac_f32_e32 v177, v6, v1
	v_fma_f32 v178, v5, v1, -v2
	v_mul_f32_e32 v1, v8, v4
	s_delay_alu instid0(VALU_DEP_4) | instskip(NEXT) | instid1(VALU_DEP_2)
	v_fmac_f32_e32 v179, v8, v3
	v_fma_f32 v180, v7, v3, -v1
	ds_load_b128 v[1:4], v21 offset:832
	ds_load_b128 v[5:8], v21 offset:848
	s_wait_loadcnt_dscnt 0x1
	v_mul_f32_e32 v181, v1, v10
	v_mul_f32_e32 v183, v3, v12
	s_delay_alu instid0(VALU_DEP_2) | instskip(NEXT) | instid1(VALU_DEP_2)
	v_fmac_f32_e32 v181, v2, v9
	v_dual_mul_f32 v2, v2, v10 :: v_dual_fmac_f32 v183, v4, v11
	s_delay_alu instid0(VALU_DEP_1) | instskip(SKIP_1) | instid1(VALU_DEP_1)
	v_fma_f32 v182, v1, v9, -v2
	v_mul_f32_e32 v1, v4, v12
	;; [unrolled: 25-line block ×4, first 2 shown]
	v_fma_f32 v200, v3, v11, -v1
	s_clause 0x1
	scratch_load_b128 v[1:4], off, off offset:416
	scratch_load_b128 v[9:12], off, off offset:432
	s_wait_loadcnt_dscnt 0x100
	v_mul_f32_e32 v201, v5, v2
	v_mul_f32_e32 v2, v6, v2
	s_delay_alu instid0(VALU_DEP_1) | instskip(SKIP_1) | instid1(VALU_DEP_1)
	v_fma_f32 v202, v5, v1, -v2
	v_add_f32_e32 v2, 0, v38
	v_add_f32_e32 v2, v2, v39
	s_delay_alu instid0(VALU_DEP_1) | instskip(NEXT) | instid1(VALU_DEP_1)
	v_add_f32_e32 v2, v2, v24
	v_add_f32_e32 v2, v2, v25
	s_delay_alu instid0(VALU_DEP_1) | instskip(NEXT) | instid1(VALU_DEP_1)
	;; [unrolled: 3-line block ×5, first 2 shown]
	v_add_f32_e32 v2, v2, v19
	v_add_f32_e32 v2, v2, v20
	s_delay_alu instid0(VALU_DEP_1) | instskip(SKIP_1) | instid1(VALU_DEP_2)
	v_dual_add_f32 v2, v2, v41 :: v_dual_mul_f32 v203, v7, v4
	v_fmac_f32_e32 v201, v6, v1
	v_dual_add_f32 v2, v2, v42 :: v_dual_fmac_f32 v203, v8, v3
	s_delay_alu instid0(VALU_DEP_1) | instskip(NEXT) | instid1(VALU_DEP_1)
	v_dual_add_f32 v2, v2, v169 :: v_dual_mul_f32 v1, v8, v4
	v_add_f32_e32 v2, v2, v171
	s_delay_alu instid0(VALU_DEP_2) | instskip(SKIP_1) | instid1(VALU_DEP_1)
	v_fma_f32 v204, v7, v3, -v1
	v_add_f32_e32 v1, 0, v22
	v_add_f32_e32 v1, v1, v23
	s_delay_alu instid0(VALU_DEP_1) | instskip(NEXT) | instid1(VALU_DEP_1)
	v_add_f32_e32 v1, v1, v26
	v_add_f32_e32 v1, v1, v27
	s_delay_alu instid0(VALU_DEP_1) | instskip(NEXT) | instid1(VALU_DEP_1)
	;; [unrolled: 3-line block ×10, first 2 shown]
	v_add_f32_e32 v13, v13, v182
	v_add_f32_e32 v13, v13, v184
	s_delay_alu instid0(VALU_DEP_1) | instskip(SKIP_3) | instid1(VALU_DEP_1)
	v_add_f32_e32 v13, v13, v186
	v_add_f32_e32 v5, v2, v173
	ds_load_b128 v[1:4], v21 offset:928
	v_add_f32_e32 v18, v13, v188
	v_dual_add_f32 v5, v5, v175 :: v_dual_add_f32 v18, v18, v190
	s_delay_alu instid0(VALU_DEP_1) | instskip(NEXT) | instid1(VALU_DEP_1)
	v_dual_add_f32 v5, v5, v177 :: v_dual_add_f32 v18, v18, v192
	v_add_f32_e32 v14, v5, v179
	ds_load_b128 v[5:8], v21 offset:944
	v_add_f32_e32 v22, v18, v194
	s_wait_loadcnt_dscnt 0x1
	v_dual_add_f32 v14, v14, v181 :: v_dual_mul_f32 v25, v1, v10
	v_mul_f32_e32 v26, v3, v12
	v_mul_f32_e32 v10, v2, v10
	;; [unrolled: 1-line block ×3, first 2 shown]
	s_delay_alu instid0(VALU_DEP_4) | instskip(NEXT) | instid1(VALU_DEP_4)
	v_add_f32_e32 v14, v14, v183
	v_dual_fmac_f32 v25, v2, v9 :: v_dual_fmac_f32 v26, v4, v11
	s_delay_alu instid0(VALU_DEP_4) | instskip(NEXT) | instid1(VALU_DEP_4)
	v_fma_f32 v27, v1, v9, -v10
	v_fma_f32 v28, v3, v11, -v12
	s_delay_alu instid0(VALU_DEP_4)
	v_add_f32_e32 v17, v14, v185
	s_clause 0x2
	scratch_load_b128 v[13:16], off, off offset:480
	scratch_load_b128 v[1:4], off, off offset:448
	;; [unrolled: 1-line block ×3, first 2 shown]
	v_add_f32_e32 v29, v22, v196
	v_add_f32_e32 v17, v17, v187
	s_delay_alu instid0(VALU_DEP_2) | instskip(NEXT) | instid1(VALU_DEP_2)
	v_add_f32_e32 v29, v29, v198
	v_add_f32_e32 v17, v17, v189
	s_delay_alu instid0(VALU_DEP_2) | instskip(NEXT) | instid1(VALU_DEP_2)
	;; [unrolled: 3-line block ×3, first 2 shown]
	v_add_f32_e32 v29, v29, v202
	v_add_f32_e32 v23, v17, v193
	ds_load_b128 v[17:20], v21 offset:960
	v_dual_add_f32 v29, v29, v204 :: v_dual_add_f32 v30, v23, v195
	ds_load_b128 v[21:24], v21 offset:976
	v_dual_add_f32 v27, v29, v27 :: v_dual_add_f32 v30, v30, v197
	s_delay_alu instid0(VALU_DEP_1) | instskip(NEXT) | instid1(VALU_DEP_1)
	v_add_f32_e32 v30, v30, v199
	v_add_f32_e32 v30, v30, v201
	s_delay_alu instid0(VALU_DEP_1) | instskip(NEXT) | instid1(VALU_DEP_1)
	v_add_f32_e32 v30, v30, v203
	v_add_f32_e32 v25, v30, v25
	s_wait_loadcnt_dscnt 0x200
	v_mul_f32_e32 v29, v23, v16
	s_wait_loadcnt 0x1
	v_mul_f32_e32 v32, v7, v4
	s_wait_loadcnt 0x0
	v_dual_mul_f32 v4, v8, v4 :: v_dual_mul_f32 v33, v17, v10
	v_dual_mul_f32 v34, v19, v12 :: v_dual_fmac_f32 v29, v24, v15
	v_mul_f32_e32 v31, v5, v2
	v_mul_f32_e32 v2, v6, v2
	v_fmac_f32_e32 v32, v8, v3
	v_fma_f32 v3, v7, v3, -v4
	s_delay_alu instid0(VALU_DEP_4) | instskip(NEXT) | instid1(VALU_DEP_4)
	v_dual_mul_f32 v4, v20, v12 :: v_dual_fmac_f32 v31, v6, v1
	v_fma_f32 v2, v5, v1, -v2
	v_add_f32_e32 v1, v27, v28
	v_add_f32_e32 v5, v25, v26
	v_mul_f32_e32 v6, v18, v10
	v_dual_fmac_f32 v33, v18, v9 :: v_dual_mul_f32 v38, v21, v14
	s_delay_alu instid0(VALU_DEP_4) | instskip(NEXT) | instid1(VALU_DEP_4)
	v_add_f32_e32 v1, v1, v2
	v_add_f32_e32 v2, v5, v31
	s_delay_alu instid0(VALU_DEP_4) | instskip(SKIP_2) | instid1(VALU_DEP_4)
	v_fma_f32 v5, v17, v9, -v6
	v_fmac_f32_e32 v34, v20, v11
	v_fma_f32 v4, v19, v11, -v4
	v_dual_add_f32 v1, v1, v3 :: v_dual_add_f32 v2, v2, v32
	v_mul_f32_e32 v3, v22, v14
	v_fmac_f32_e32 v38, v22, v13
	s_delay_alu instid0(VALU_DEP_3) | instskip(NEXT) | instid1(VALU_DEP_4)
	v_add_f32_e32 v1, v1, v5
	v_dual_add_f32 v2, v2, v33 :: v_dual_mul_f32 v5, v24, v16
	s_delay_alu instid0(VALU_DEP_4) | instskip(NEXT) | instid1(VALU_DEP_2)
	v_fma_f32 v3, v21, v13, -v3
	v_dual_add_f32 v1, v1, v4 :: v_dual_add_f32 v2, v2, v34
	s_delay_alu instid0(VALU_DEP_3) | instskip(NEXT) | instid1(VALU_DEP_2)
	v_fma_f32 v4, v23, v15, -v5
	v_dual_add_f32 v1, v1, v3 :: v_dual_add_f32 v2, v2, v38
	s_delay_alu instid0(VALU_DEP_1) | instskip(NEXT) | instid1(VALU_DEP_1)
	v_dual_add_f32 v1, v1, v4 :: v_dual_add_f32 v2, v2, v29
	v_dual_sub_f32 v1, v36, v1 :: v_dual_sub_f32 v2, v37, v2
	scratch_store_b64 off, v[1:2], off offset:168
	v_cmpx_lt_u32_e32 20, v0
	s_cbranch_execz .LBB61_345
; %bb.344:
	scratch_load_b64 v[1:2], off, off offset:160
	v_mov_b32_e32 v3, 0
	s_delay_alu instid0(VALU_DEP_1)
	v_mov_b32_e32 v4, v3
	scratch_store_b64 off, v[3:4], off offset:160
	s_wait_loadcnt 0x0
	ds_store_b64 v35, v[1:2]
.LBB61_345:
	s_wait_alu 0xfffe
	s_or_b32 exec_lo, exec_lo, s0
	s_wait_storecnt_dscnt 0x0
	s_barrier_signal -1
	s_barrier_wait -1
	global_inv scope:SCOPE_SE
	s_clause 0x4
	scratch_load_b128 v[5:8], off, off offset:168
	scratch_load_b128 v[1:4], off, off offset:184
	;; [unrolled: 1-line block ×5, first 2 shown]
	v_mov_b32_e32 v21, 0
	ds_load_2addr_b64 v[22:25], v21 offset0:83 offset1:84
	ds_load_2addr_b64 v[26:29], v21 offset0:85 offset1:86
	;; [unrolled: 1-line block ×3, first 2 shown]
	scratch_load_b64 v[36:37], off, off offset:160
	s_mov_b32 s0, exec_lo
	s_wait_loadcnt_dscnt 0x502
	v_mul_f32_e32 v34, v23, v6
	v_dual_mul_f32 v38, v22, v6 :: v_dual_mul_f32 v39, v24, v8
	v_mul_f32_e32 v6, v25, v8
	s_wait_loadcnt_dscnt 0x300
	v_mul_f32_e32 v40, v32, v12
	v_fma_f32 v22, v22, v5, -v34
	v_dual_fmac_f32 v38, v23, v5 :: v_dual_fmac_f32 v39, v25, v7
	v_fma_f32 v23, v24, v7, -v6
	v_dual_mul_f32 v24, v26, v2 :: v_dual_mul_f32 v25, v28, v4
	v_mul_f32_e32 v2, v27, v2
	v_mul_f32_e32 v4, v29, v4
	ds_load_2addr_b64 v[5:8], v21 offset0:89 offset1:90
	v_mul_f32_e32 v34, v30, v10
	v_dual_fmac_f32 v24, v27, v1 :: v_dual_fmac_f32 v25, v29, v3
	v_fma_f32 v26, v26, v1, -v2
	v_fma_f32 v27, v28, v3, -v4
	v_mul_f32_e32 v12, v33, v12
	scratch_load_b128 v[1:4], off, off offset:248
	v_mul_f32_e32 v10, v31, v10
	v_fmac_f32_e32 v34, v31, v9
	v_fmac_f32_e32 v40, v33, v11
	v_fma_f32 v29, v32, v11, -v12
	s_delay_alu instid0(VALU_DEP_4)
	v_fma_f32 v28, v30, v9, -v10
	ds_load_2addr_b64 v[9:12], v21 offset0:91 offset1:92
	s_wait_loadcnt_dscnt 0x301
	v_mul_f32_e32 v30, v5, v14
	v_dual_mul_f32 v14, v6, v14 :: v_dual_mul_f32 v31, v7, v16
	v_mul_f32_e32 v16, v8, v16
	s_delay_alu instid0(VALU_DEP_3) | instskip(NEXT) | instid1(VALU_DEP_3)
	v_fmac_f32_e32 v30, v6, v13
	v_fma_f32 v13, v5, v13, -v14
	s_delay_alu instid0(VALU_DEP_4) | instskip(NEXT) | instid1(VALU_DEP_4)
	v_fmac_f32_e32 v31, v8, v15
	v_fma_f32 v14, v7, v15, -v16
	ds_load_2addr_b64 v[5:8], v21 offset0:93 offset1:94
	s_wait_loadcnt_dscnt 0x201
	v_mul_f32_e32 v15, v9, v18
	v_mul_f32_e32 v16, v10, v18
	;; [unrolled: 1-line block ×3, first 2 shown]
	s_delay_alu instid0(VALU_DEP_3) | instskip(NEXT) | instid1(VALU_DEP_3)
	v_dual_mul_f32 v20, v12, v20 :: v_dual_fmac_f32 v15, v10, v17
	v_fma_f32 v16, v9, v17, -v16
	s_delay_alu instid0(VALU_DEP_3) | instskip(NEXT) | instid1(VALU_DEP_3)
	v_fmac_f32_e32 v18, v12, v19
	v_fma_f32 v17, v11, v19, -v20
	scratch_load_b128 v[9:12], off, off offset:264
	s_wait_loadcnt_dscnt 0x100
	v_mul_f32_e32 v19, v5, v2
	v_mul_f32_e32 v2, v6, v2
	;; [unrolled: 1-line block ×3, first 2 shown]
	s_delay_alu instid0(VALU_DEP_3) | instskip(NEXT) | instid1(VALU_DEP_3)
	v_dual_mul_f32 v4, v8, v4 :: v_dual_fmac_f32 v19, v6, v1
	v_fma_f32 v32, v5, v1, -v2
	s_delay_alu instid0(VALU_DEP_3) | instskip(NEXT) | instid1(VALU_DEP_3)
	v_fmac_f32_e32 v20, v8, v3
	v_fma_f32 v33, v7, v3, -v4
	ds_load_2addr_b64 v[1:4], v21 offset0:95 offset1:96
	ds_load_2addr_b64 v[5:8], v21 offset0:97 offset1:98
	s_wait_loadcnt_dscnt 0x1
	v_mul_f32_e32 v41, v1, v10
	v_mul_f32_e32 v10, v2, v10
	s_delay_alu instid0(VALU_DEP_2) | instskip(NEXT) | instid1(VALU_DEP_2)
	v_dual_mul_f32 v42, v3, v12 :: v_dual_fmac_f32 v41, v2, v9
	v_fma_f32 v43, v1, v9, -v10
	v_mul_f32_e32 v1, v4, v12
	s_delay_alu instid0(VALU_DEP_3) | instskip(NEXT) | instid1(VALU_DEP_2)
	v_fmac_f32_e32 v42, v4, v11
	v_fma_f32 v44, v3, v11, -v1
	s_clause 0x1
	scratch_load_b128 v[1:4], off, off offset:280
	scratch_load_b128 v[9:12], off, off offset:296
	s_wait_loadcnt_dscnt 0x100
	v_mul_f32_e32 v169, v5, v2
	v_dual_mul_f32 v2, v6, v2 :: v_dual_mul_f32 v171, v7, v4
	s_delay_alu instid0(VALU_DEP_2) | instskip(NEXT) | instid1(VALU_DEP_2)
	v_fmac_f32_e32 v169, v6, v1
	v_fma_f32 v170, v5, v1, -v2
	v_mul_f32_e32 v1, v8, v4
	s_delay_alu instid0(VALU_DEP_4) | instskip(NEXT) | instid1(VALU_DEP_2)
	v_fmac_f32_e32 v171, v8, v3
	v_fma_f32 v172, v7, v3, -v1
	ds_load_2addr_b64 v[1:4], v21 offset0:99 offset1:100
	ds_load_2addr_b64 v[5:8], v21 offset0:101 offset1:102
	s_wait_loadcnt_dscnt 0x1
	v_mul_f32_e32 v173, v1, v10
	v_mul_f32_e32 v175, v3, v12
	s_delay_alu instid0(VALU_DEP_2) | instskip(NEXT) | instid1(VALU_DEP_2)
	v_fmac_f32_e32 v173, v2, v9
	v_dual_mul_f32 v2, v2, v10 :: v_dual_fmac_f32 v175, v4, v11
	s_delay_alu instid0(VALU_DEP_1) | instskip(SKIP_1) | instid1(VALU_DEP_1)
	v_fma_f32 v174, v1, v9, -v2
	v_mul_f32_e32 v1, v4, v12
	v_fma_f32 v176, v3, v11, -v1
	s_clause 0x1
	scratch_load_b128 v[1:4], off, off offset:312
	scratch_load_b128 v[9:12], off, off offset:328
	s_wait_loadcnt_dscnt 0x100
	v_mul_f32_e32 v177, v5, v2
	v_dual_mul_f32 v2, v6, v2 :: v_dual_mul_f32 v179, v7, v4
	s_delay_alu instid0(VALU_DEP_2) | instskip(NEXT) | instid1(VALU_DEP_2)
	v_fmac_f32_e32 v177, v6, v1
	v_fma_f32 v178, v5, v1, -v2
	v_mul_f32_e32 v1, v8, v4
	s_delay_alu instid0(VALU_DEP_4) | instskip(NEXT) | instid1(VALU_DEP_2)
	v_fmac_f32_e32 v179, v8, v3
	v_fma_f32 v180, v7, v3, -v1
	ds_load_2addr_b64 v[1:4], v21 offset0:103 offset1:104
	ds_load_2addr_b64 v[5:8], v21 offset0:105 offset1:106
	s_wait_loadcnt_dscnt 0x1
	v_mul_f32_e32 v181, v1, v10
	v_mul_f32_e32 v183, v3, v12
	s_delay_alu instid0(VALU_DEP_2) | instskip(NEXT) | instid1(VALU_DEP_2)
	v_fmac_f32_e32 v181, v2, v9
	v_dual_mul_f32 v2, v2, v10 :: v_dual_fmac_f32 v183, v4, v11
	s_delay_alu instid0(VALU_DEP_1) | instskip(SKIP_1) | instid1(VALU_DEP_1)
	v_fma_f32 v182, v1, v9, -v2
	v_mul_f32_e32 v1, v4, v12
	;; [unrolled: 25-line block ×4, first 2 shown]
	v_fma_f32 v200, v3, v11, -v1
	s_clause 0x1
	scratch_load_b128 v[1:4], off, off offset:408
	scratch_load_b128 v[9:12], off, off offset:424
	s_wait_loadcnt_dscnt 0x100
	v_mul_f32_e32 v201, v5, v2
	v_mul_f32_e32 v2, v6, v2
	s_delay_alu instid0(VALU_DEP_1) | instskip(SKIP_1) | instid1(VALU_DEP_1)
	v_fma_f32 v202, v5, v1, -v2
	v_add_f32_e32 v2, 0, v38
	v_add_f32_e32 v2, v2, v39
	s_delay_alu instid0(VALU_DEP_1) | instskip(NEXT) | instid1(VALU_DEP_1)
	v_add_f32_e32 v2, v2, v24
	v_add_f32_e32 v2, v2, v25
	s_delay_alu instid0(VALU_DEP_1) | instskip(NEXT) | instid1(VALU_DEP_1)
	;; [unrolled: 3-line block ×5, first 2 shown]
	v_add_f32_e32 v2, v2, v19
	v_add_f32_e32 v2, v2, v20
	s_delay_alu instid0(VALU_DEP_1) | instskip(SKIP_1) | instid1(VALU_DEP_2)
	v_dual_add_f32 v2, v2, v41 :: v_dual_mul_f32 v203, v7, v4
	v_fmac_f32_e32 v201, v6, v1
	v_dual_add_f32 v2, v2, v42 :: v_dual_fmac_f32 v203, v8, v3
	s_delay_alu instid0(VALU_DEP_1) | instskip(NEXT) | instid1(VALU_DEP_1)
	v_dual_add_f32 v2, v2, v169 :: v_dual_mul_f32 v1, v8, v4
	v_add_f32_e32 v2, v2, v171
	s_delay_alu instid0(VALU_DEP_2) | instskip(SKIP_1) | instid1(VALU_DEP_3)
	v_fma_f32 v204, v7, v3, -v1
	v_add_f32_e32 v1, 0, v22
	v_add_f32_e32 v5, v2, v173
	s_delay_alu instid0(VALU_DEP_2) | instskip(NEXT) | instid1(VALU_DEP_2)
	v_add_f32_e32 v1, v1, v23
	v_add_f32_e32 v5, v5, v175
	s_delay_alu instid0(VALU_DEP_2) | instskip(NEXT) | instid1(VALU_DEP_1)
	v_add_f32_e32 v1, v1, v26
	v_add_f32_e32 v1, v1, v27
	scratch_load_b64 v[26:27], off, off offset:488
	v_add_f32_e32 v1, v1, v28
	s_delay_alu instid0(VALU_DEP_1) | instskip(NEXT) | instid1(VALU_DEP_1)
	v_add_f32_e32 v1, v1, v29
	v_add_f32_e32 v1, v1, v13
	s_delay_alu instid0(VALU_DEP_1) | instskip(NEXT) | instid1(VALU_DEP_1)
	v_add_f32_e32 v1, v1, v14
	;; [unrolled: 3-line block ×6, first 2 shown]
	v_add_f32_e32 v1, v1, v174
	s_delay_alu instid0(VALU_DEP_1) | instskip(SKIP_2) | instid1(VALU_DEP_1)
	v_add_f32_e32 v6, v1, v176
	ds_load_2addr_b64 v[1:4], v21 offset0:115 offset1:116
	v_add_f32_e32 v6, v6, v178
	v_add_f32_e32 v13, v6, v180
	s_delay_alu instid0(VALU_DEP_1) | instskip(NEXT) | instid1(VALU_DEP_1)
	v_add_f32_e32 v13, v13, v182
	v_add_f32_e32 v13, v13, v184
	s_delay_alu instid0(VALU_DEP_1) | instskip(NEXT) | instid1(VALU_DEP_1)
	;; [unrolled: 3-line block ×6, first 2 shown]
	v_add_f32_e32 v34, v34, v202
	v_dual_add_f32 v34, v34, v204 :: v_dual_add_f32 v5, v5, v177
	s_delay_alu instid0(VALU_DEP_1)
	v_add_f32_e32 v14, v5, v179
	ds_load_2addr_b64 v[5:8], v21 offset0:117 offset1:118
	s_wait_loadcnt_dscnt 0x101
	v_mul_f32_e32 v30, v1, v10
	v_mul_f32_e32 v10, v2, v10
	v_add_f32_e32 v14, v14, v181
	s_delay_alu instid0(VALU_DEP_3) | instskip(NEXT) | instid1(VALU_DEP_3)
	v_fmac_f32_e32 v30, v2, v9
	v_fma_f32 v32, v1, v9, -v10
	s_delay_alu instid0(VALU_DEP_3) | instskip(NEXT) | instid1(VALU_DEP_2)
	v_add_f32_e32 v14, v14, v183
	v_add_f32_e32 v32, v34, v32
	s_delay_alu instid0(VALU_DEP_2) | instskip(SKIP_2) | instid1(VALU_DEP_1)
	v_add_f32_e32 v17, v14, v185
	scratch_load_b128 v[13:16], off, off offset:472
	v_add_f32_e32 v17, v17, v187
	v_add_f32_e32 v17, v17, v189
	s_delay_alu instid0(VALU_DEP_1) | instskip(NEXT) | instid1(VALU_DEP_1)
	v_add_f32_e32 v17, v17, v191
	v_add_f32_e32 v17, v17, v193
	s_delay_alu instid0(VALU_DEP_1)
	v_add_f32_e32 v22, v17, v195
	ds_load_2addr_b64 v[17:20], v21 offset0:119 offset1:120
	v_mul_f32_e32 v31, v3, v12
	v_dual_mul_f32 v12, v4, v12 :: v_dual_add_f32 v29, v22, v197
	ds_load_2addr_b64 v[22:25], v21 offset0:121 offset1:122
	v_fmac_f32_e32 v31, v4, v11
	v_fma_f32 v33, v3, v11, -v12
	s_clause 0x1
	scratch_load_b128 v[1:4], off, off offset:440
	scratch_load_b128 v[9:12], off, off offset:456
	v_add_f32_e32 v38, v29, v199
	ds_load_b64 v[28:29], v21 offset:984
	v_add_f32_e32 v32, v32, v33
	v_add_f32_e32 v38, v38, v201
	s_delay_alu instid0(VALU_DEP_1) | instskip(NEXT) | instid1(VALU_DEP_1)
	v_add_f32_e32 v38, v38, v203
	v_add_f32_e32 v30, v38, v30
	s_wait_loadcnt_dscnt 0x201
	v_mul_f32_e32 v41, v22, v14
	s_delay_alu instid0(VALU_DEP_1)
	v_fmac_f32_e32 v41, v23, v13
	s_wait_loadcnt 0x1
	v_mul_f32_e32 v40, v7, v4
	s_wait_loadcnt 0x0
	v_mul_f32_e32 v34, v17, v10
	v_dual_mul_f32 v38, v19, v12 :: v_dual_mul_f32 v39, v5, v2
	v_mul_f32_e32 v2, v6, v2
	v_mul_f32_e32 v4, v8, v4
	s_delay_alu instid0(VALU_DEP_4)
	v_fmac_f32_e32 v34, v18, v9
	v_add_f32_e32 v30, v30, v31
	v_fmac_f32_e32 v38, v20, v11
	v_fma_f32 v2, v5, v1, -v2
	v_dual_fmac_f32 v39, v6, v1 :: v_dual_fmac_f32 v40, v8, v3
	v_fma_f32 v1, v7, v3, -v4
	v_mul_f32_e32 v3, v18, v10
	s_delay_alu instid0(VALU_DEP_4) | instskip(NEXT) | instid1(VALU_DEP_4)
	v_add_f32_e32 v2, v32, v2
	v_add_f32_e32 v4, v30, v39
	s_delay_alu instid0(VALU_DEP_3) | instskip(NEXT) | instid1(VALU_DEP_2)
	v_fma_f32 v3, v17, v9, -v3
	v_dual_add_f32 v1, v2, v1 :: v_dual_add_f32 v2, v4, v40
	v_dual_mul_f32 v33, v24, v16 :: v_dual_mul_f32 v4, v23, v14
	s_wait_dscnt 0x0
	s_delay_alu instid0(VALU_DEP_2) | instskip(NEXT) | instid1(VALU_DEP_2)
	v_dual_add_f32 v2, v2, v34 :: v_dual_mul_f32 v31, v28, v27
	v_fmac_f32_e32 v33, v25, v15
	s_delay_alu instid0(VALU_DEP_3) | instskip(NEXT) | instid1(VALU_DEP_3)
	v_fma_f32 v4, v22, v13, -v4
	v_dual_add_f32 v2, v2, v38 :: v_dual_mul_f32 v5, v20, v12
	s_delay_alu instid0(VALU_DEP_1) | instskip(NEXT) | instid1(VALU_DEP_2)
	v_dual_fmac_f32 v31, v29, v26 :: v_dual_add_f32 v2, v2, v41
	v_fma_f32 v5, v19, v11, -v5
	s_delay_alu instid0(VALU_DEP_2) | instskip(SKIP_1) | instid1(VALU_DEP_2)
	v_dual_add_f32 v1, v1, v3 :: v_dual_add_f32 v2, v2, v33
	v_mul_f32_e32 v3, v25, v16
	v_add_f32_e32 v1, v1, v5
	v_mul_f32_e32 v5, v29, v27
	s_delay_alu instid0(VALU_DEP_4) | instskip(NEXT) | instid1(VALU_DEP_4)
	v_add_f32_e32 v2, v2, v31
	v_fma_f32 v3, v24, v15, -v3
	s_delay_alu instid0(VALU_DEP_4) | instskip(NEXT) | instid1(VALU_DEP_4)
	v_add_f32_e32 v1, v1, v4
	v_fma_f32 v4, v28, v26, -v5
	s_delay_alu instid0(VALU_DEP_4) | instskip(NEXT) | instid1(VALU_DEP_3)
	v_sub_f32_e32 v2, v37, v2
	v_add_f32_e32 v1, v1, v3
	s_delay_alu instid0(VALU_DEP_1) | instskip(NEXT) | instid1(VALU_DEP_1)
	v_add_f32_e32 v1, v1, v4
	v_sub_f32_e32 v1, v36, v1
	scratch_store_b64 off, v[1:2], off offset:160
	v_cmpx_lt_u32_e32 19, v0
	s_cbranch_execz .LBB61_347
; %bb.346:
	scratch_load_b64 v[1:2], off, off offset:152
	v_mov_b32_e32 v22, v21
	scratch_store_b64 off, v[21:22], off offset:152
	s_wait_loadcnt 0x0
	ds_store_b64 v35, v[1:2]
.LBB61_347:
	s_wait_alu 0xfffe
	s_or_b32 exec_lo, exec_lo, s0
	s_wait_storecnt_dscnt 0x0
	s_barrier_signal -1
	s_barrier_wait -1
	global_inv scope:SCOPE_SE
	s_clause 0x4
	scratch_load_b128 v[5:8], off, off offset:160
	scratch_load_b128 v[1:4], off, off offset:176
	;; [unrolled: 1-line block ×5, first 2 shown]
	ds_load_b128 v[22:25], v21 offset:656
	ds_load_b128 v[26:29], v21 offset:672
	;; [unrolled: 1-line block ×3, first 2 shown]
	scratch_load_b64 v[36:37], off, off offset:152
	s_mov_b32 s0, exec_lo
	s_wait_loadcnt_dscnt 0x502
	v_dual_mul_f32 v34, v23, v6 :: v_dual_mul_f32 v39, v24, v8
	v_mul_f32_e32 v38, v22, v6
	v_mul_f32_e32 v6, v25, v8
	s_wait_loadcnt_dscnt 0x300
	v_mul_f32_e32 v40, v32, v12
	v_fma_f32 v22, v22, v5, -v34
	v_dual_fmac_f32 v39, v25, v7 :: v_dual_fmac_f32 v38, v23, v5
	v_mul_f32_e32 v25, v28, v4
	v_fma_f32 v23, v24, v7, -v6
	ds_load_b128 v[5:8], v21 offset:704
	v_mul_f32_e32 v24, v26, v2
	v_mul_f32_e32 v4, v29, v4
	v_mul_f32_e32 v34, v30, v10
	v_mul_f32_e32 v10, v31, v10
	v_mul_f32_e32 v12, v33, v12
	v_dual_mul_f32 v2, v27, v2 :: v_dual_fmac_f32 v25, v29, v3
	v_fmac_f32_e32 v24, v27, v1
	v_fma_f32 v27, v28, v3, -v4
	v_fmac_f32_e32 v34, v31, v9
	v_fma_f32 v28, v30, v9, -v10
	;; [unrolled: 2-line block ×3, first 2 shown]
	ds_load_b128 v[9:12], v21 offset:720
	s_wait_loadcnt_dscnt 0x201
	v_mul_f32_e32 v30, v5, v14
	v_dual_mul_f32 v14, v6, v14 :: v_dual_mul_f32 v31, v7, v16
	v_mul_f32_e32 v16, v8, v16
	s_delay_alu instid0(VALU_DEP_3) | instskip(NEXT) | instid1(VALU_DEP_3)
	v_fmac_f32_e32 v30, v6, v13
	v_fma_f32 v13, v5, v13, -v14
	s_delay_alu instid0(VALU_DEP_4) | instskip(NEXT) | instid1(VALU_DEP_4)
	v_fmac_f32_e32 v31, v8, v15
	v_fma_f32 v14, v7, v15, -v16
	ds_load_b128 v[5:8], v21 offset:736
	s_wait_loadcnt_dscnt 0x101
	v_mul_f32_e32 v15, v9, v18
	v_mul_f32_e32 v16, v10, v18
	;; [unrolled: 1-line block ×3, first 2 shown]
	s_delay_alu instid0(VALU_DEP_3)
	v_dual_mul_f32 v20, v12, v20 :: v_dual_fmac_f32 v15, v10, v17
	v_fma_f32 v26, v26, v1, -v2
	scratch_load_b128 v[1:4], off, off offset:240
	v_fma_f32 v16, v9, v17, -v16
	v_fmac_f32_e32 v18, v12, v19
	v_fma_f32 v17, v11, v19, -v20
	scratch_load_b128 v[9:12], off, off offset:256
	s_wait_loadcnt_dscnt 0x100
	v_mul_f32_e32 v19, v5, v2
	v_mul_f32_e32 v2, v6, v2
	;; [unrolled: 1-line block ×3, first 2 shown]
	s_delay_alu instid0(VALU_DEP_3) | instskip(NEXT) | instid1(VALU_DEP_3)
	v_dual_mul_f32 v4, v8, v4 :: v_dual_fmac_f32 v19, v6, v1
	v_fma_f32 v32, v5, v1, -v2
	s_delay_alu instid0(VALU_DEP_3) | instskip(NEXT) | instid1(VALU_DEP_3)
	v_fmac_f32_e32 v20, v8, v3
	v_fma_f32 v33, v7, v3, -v4
	ds_load_b128 v[1:4], v21 offset:752
	ds_load_b128 v[5:8], v21 offset:768
	s_wait_loadcnt_dscnt 0x1
	v_mul_f32_e32 v41, v1, v10
	v_mul_f32_e32 v10, v2, v10
	s_delay_alu instid0(VALU_DEP_2) | instskip(NEXT) | instid1(VALU_DEP_2)
	v_dual_mul_f32 v42, v3, v12 :: v_dual_fmac_f32 v41, v2, v9
	v_fma_f32 v43, v1, v9, -v10
	v_mul_f32_e32 v1, v4, v12
	s_delay_alu instid0(VALU_DEP_3) | instskip(NEXT) | instid1(VALU_DEP_2)
	v_fmac_f32_e32 v42, v4, v11
	v_fma_f32 v44, v3, v11, -v1
	s_clause 0x1
	scratch_load_b128 v[1:4], off, off offset:272
	scratch_load_b128 v[9:12], off, off offset:288
	s_wait_loadcnt_dscnt 0x100
	v_mul_f32_e32 v169, v5, v2
	v_dual_mul_f32 v2, v6, v2 :: v_dual_mul_f32 v171, v7, v4
	s_delay_alu instid0(VALU_DEP_2) | instskip(NEXT) | instid1(VALU_DEP_2)
	v_fmac_f32_e32 v169, v6, v1
	v_fma_f32 v170, v5, v1, -v2
	v_mul_f32_e32 v1, v8, v4
	s_delay_alu instid0(VALU_DEP_4) | instskip(NEXT) | instid1(VALU_DEP_2)
	v_fmac_f32_e32 v171, v8, v3
	v_fma_f32 v172, v7, v3, -v1
	ds_load_b128 v[1:4], v21 offset:784
	ds_load_b128 v[5:8], v21 offset:800
	s_wait_loadcnt_dscnt 0x1
	v_mul_f32_e32 v173, v1, v10
	v_mul_f32_e32 v175, v3, v12
	s_delay_alu instid0(VALU_DEP_2) | instskip(NEXT) | instid1(VALU_DEP_2)
	v_fmac_f32_e32 v173, v2, v9
	v_dual_mul_f32 v2, v2, v10 :: v_dual_fmac_f32 v175, v4, v11
	s_delay_alu instid0(VALU_DEP_1) | instskip(SKIP_1) | instid1(VALU_DEP_1)
	v_fma_f32 v174, v1, v9, -v2
	v_mul_f32_e32 v1, v4, v12
	v_fma_f32 v176, v3, v11, -v1
	s_clause 0x1
	scratch_load_b128 v[1:4], off, off offset:304
	scratch_load_b128 v[9:12], off, off offset:320
	s_wait_loadcnt_dscnt 0x100
	v_mul_f32_e32 v177, v5, v2
	v_dual_mul_f32 v2, v6, v2 :: v_dual_mul_f32 v179, v7, v4
	s_delay_alu instid0(VALU_DEP_2) | instskip(NEXT) | instid1(VALU_DEP_2)
	v_fmac_f32_e32 v177, v6, v1
	v_fma_f32 v178, v5, v1, -v2
	v_mul_f32_e32 v1, v8, v4
	s_delay_alu instid0(VALU_DEP_4) | instskip(NEXT) | instid1(VALU_DEP_2)
	v_fmac_f32_e32 v179, v8, v3
	v_fma_f32 v180, v7, v3, -v1
	ds_load_b128 v[1:4], v21 offset:816
	ds_load_b128 v[5:8], v21 offset:832
	s_wait_loadcnt_dscnt 0x1
	v_mul_f32_e32 v181, v1, v10
	v_mul_f32_e32 v183, v3, v12
	s_delay_alu instid0(VALU_DEP_2) | instskip(NEXT) | instid1(VALU_DEP_2)
	v_fmac_f32_e32 v181, v2, v9
	v_dual_mul_f32 v2, v2, v10 :: v_dual_fmac_f32 v183, v4, v11
	s_delay_alu instid0(VALU_DEP_1) | instskip(SKIP_1) | instid1(VALU_DEP_1)
	v_fma_f32 v182, v1, v9, -v2
	v_mul_f32_e32 v1, v4, v12
	;; [unrolled: 25-line block ×4, first 2 shown]
	v_fma_f32 v200, v3, v11, -v1
	s_clause 0x1
	scratch_load_b128 v[1:4], off, off offset:400
	scratch_load_b128 v[9:12], off, off offset:416
	s_wait_loadcnt_dscnt 0x100
	v_mul_f32_e32 v201, v5, v2
	v_mul_f32_e32 v2, v6, v2
	s_delay_alu instid0(VALU_DEP_1) | instskip(SKIP_1) | instid1(VALU_DEP_1)
	v_fma_f32 v202, v5, v1, -v2
	v_add_f32_e32 v2, 0, v38
	v_add_f32_e32 v2, v2, v39
	s_delay_alu instid0(VALU_DEP_1) | instskip(NEXT) | instid1(VALU_DEP_1)
	v_add_f32_e32 v2, v2, v24
	v_add_f32_e32 v2, v2, v25
	s_delay_alu instid0(VALU_DEP_1) | instskip(NEXT) | instid1(VALU_DEP_1)
	;; [unrolled: 3-line block ×5, first 2 shown]
	v_add_f32_e32 v2, v2, v19
	v_add_f32_e32 v2, v2, v20
	s_delay_alu instid0(VALU_DEP_1) | instskip(SKIP_1) | instid1(VALU_DEP_2)
	v_dual_add_f32 v2, v2, v41 :: v_dual_mul_f32 v203, v7, v4
	v_fmac_f32_e32 v201, v6, v1
	v_dual_add_f32 v2, v2, v42 :: v_dual_fmac_f32 v203, v8, v3
	s_delay_alu instid0(VALU_DEP_1) | instskip(NEXT) | instid1(VALU_DEP_1)
	v_dual_add_f32 v2, v2, v169 :: v_dual_mul_f32 v1, v8, v4
	v_add_f32_e32 v2, v2, v171
	s_delay_alu instid0(VALU_DEP_2) | instskip(NEXT) | instid1(VALU_DEP_2)
	v_fma_f32 v204, v7, v3, -v1
	v_dual_add_f32 v1, 0, v22 :: v_dual_add_f32 v2, v2, v173
	s_delay_alu instid0(VALU_DEP_1) | instskip(NEXT) | instid1(VALU_DEP_2)
	v_add_f32_e32 v1, v1, v23
	v_add_f32_e32 v5, v2, v175
	s_delay_alu instid0(VALU_DEP_2) | instskip(NEXT) | instid1(VALU_DEP_1)
	v_add_f32_e32 v1, v1, v26
	v_add_f32_e32 v1, v1, v27
	s_delay_alu instid0(VALU_DEP_1) | instskip(NEXT) | instid1(VALU_DEP_1)
	v_add_f32_e32 v1, v1, v28
	v_add_f32_e32 v1, v1, v29
	s_delay_alu instid0(VALU_DEP_1) | instskip(SKIP_1) | instid1(VALU_DEP_1)
	v_add_f32_e32 v1, v1, v13
	v_add_f32_e32 v13, v5, v177
	;; [unrolled: 1-line block ×3, first 2 shown]
	s_delay_alu instid0(VALU_DEP_1) | instskip(NEXT) | instid1(VALU_DEP_1)
	v_add_f32_e32 v13, v13, v181
	v_add_f32_e32 v18, v13, v183
	s_delay_alu instid0(VALU_DEP_1) | instskip(NEXT) | instid1(VALU_DEP_1)
	v_add_f32_e32 v18, v18, v185
	v_dual_add_f32 v18, v18, v187 :: v_dual_add_f32 v1, v1, v14
	s_delay_alu instid0(VALU_DEP_1) | instskip(NEXT) | instid1(VALU_DEP_1)
	v_add_f32_e32 v1, v1, v16
	v_add_f32_e32 v1, v1, v17
	s_delay_alu instid0(VALU_DEP_1) | instskip(NEXT) | instid1(VALU_DEP_1)
	v_add_f32_e32 v1, v1, v32
	v_add_f32_e32 v1, v1, v33
	;; [unrolled: 3-line block ×5, first 2 shown]
	s_delay_alu instid0(VALU_DEP_1)
	v_add_f32_e32 v6, v1, v178
	ds_load_b128 v[1:4], v21 offset:912
	v_add_f32_e32 v22, v18, v189
	v_add_f32_e32 v14, v6, v180
	scratch_load_b128 v[5:8], off, off offset:432
	v_add_f32_e32 v22, v22, v191
	v_add_f32_e32 v14, v14, v182
	s_delay_alu instid0(VALU_DEP_2) | instskip(NEXT) | instid1(VALU_DEP_2)
	v_add_f32_e32 v22, v22, v193
	v_add_f32_e32 v17, v14, v184
	ds_load_b128 v[13:16], v21 offset:928
	s_wait_loadcnt_dscnt 0x101
	v_mul_f32_e32 v25, v1, v10
	v_mul_f32_e32 v10, v2, v10
	;; [unrolled: 1-line block ×3, first 2 shown]
	s_delay_alu instid0(VALU_DEP_3) | instskip(NEXT) | instid1(VALU_DEP_3)
	v_dual_mul_f32 v12, v4, v12 :: v_dual_fmac_f32 v25, v2, v9
	v_fma_f32 v27, v1, v9, -v10
	s_delay_alu instid0(VALU_DEP_3) | instskip(NEXT) | instid1(VALU_DEP_3)
	v_fmac_f32_e32 v26, v4, v11
	v_fma_f32 v28, v3, v11, -v12
	s_clause 0x1
	scratch_load_b128 v[1:4], off, off offset:448
	scratch_load_b128 v[9:12], off, off offset:464
	s_wait_loadcnt_dscnt 0x200
	v_mul_f32_e32 v29, v13, v6
	v_mul_f32_e32 v6, v14, v6
	;; [unrolled: 1-line block ×3, first 2 shown]
	s_delay_alu instid0(VALU_DEP_3) | instskip(NEXT) | instid1(VALU_DEP_3)
	v_dual_mul_f32 v8, v16, v8 :: v_dual_fmac_f32 v29, v14, v5
	v_fma_f32 v31, v13, v5, -v6
	s_delay_alu instid0(VALU_DEP_3) | instskip(NEXT) | instid1(VALU_DEP_3)
	v_fmac_f32_e32 v30, v16, v7
	v_fma_f32 v32, v15, v7, -v8
	ds_load_b128 v[5:8], v21 offset:944
	v_add_f32_e32 v17, v17, v186
	v_add_f32_e32 v13, v22, v195
	s_delay_alu instid0(VALU_DEP_2) | instskip(NEXT) | instid1(VALU_DEP_1)
	v_add_f32_e32 v17, v17, v188
	v_add_f32_e32 v17, v17, v190
	s_delay_alu instid0(VALU_DEP_1) | instskip(SKIP_2) | instid1(VALU_DEP_1)
	v_add_f32_e32 v23, v17, v192
	scratch_load_b128 v[17:20], off, off offset:480
	v_add_f32_e32 v23, v23, v194
	v_add_f32_e32 v23, v23, v196
	s_delay_alu instid0(VALU_DEP_1)
	v_dual_add_f32 v22, v23, v198 :: v_dual_add_f32 v23, v13, v197
	ds_load_b128 v[13:16], v21 offset:960
	s_wait_loadcnt_dscnt 0x201
	v_mul_f32_e32 v38, v5, v2
	v_mul_f32_e32 v2, v6, v2
	v_dual_add_f32 v33, v22, v200 :: v_dual_add_f32 v34, v23, v199
	ds_load_b128 v[21:24], v21 offset:976
	v_fmac_f32_e32 v38, v6, v1
	v_fma_f32 v2, v5, v1, -v2
	v_dual_add_f32 v33, v33, v202 :: v_dual_add_f32 v34, v34, v201
	s_delay_alu instid0(VALU_DEP_1) | instskip(SKIP_1) | instid1(VALU_DEP_1)
	v_add_f32_e32 v34, v34, v203
	s_wait_loadcnt_dscnt 0x101
	v_dual_add_f32 v25, v34, v25 :: v_dual_mul_f32 v34, v13, v10
	v_dual_mul_f32 v6, v14, v10 :: v_dual_mul_f32 v39, v15, v12
	s_delay_alu instid0(VALU_DEP_2) | instskip(SKIP_1) | instid1(VALU_DEP_2)
	v_dual_add_f32 v25, v25, v26 :: v_dual_fmac_f32 v34, v14, v9
	s_wait_loadcnt_dscnt 0x0
	v_dual_fmac_f32 v39, v16, v11 :: v_dual_mul_f32 v26, v21, v18
	s_delay_alu instid0(VALU_DEP_1) | instskip(NEXT) | instid1(VALU_DEP_1)
	v_dual_fmac_f32 v26, v22, v17 :: v_dual_add_f32 v33, v33, v204
	v_add_f32_e32 v27, v33, v27
	v_mul_f32_e32 v33, v7, v4
	v_mul_f32_e32 v4, v8, v4
	s_delay_alu instid0(VALU_DEP_3) | instskip(NEXT) | instid1(VALU_DEP_3)
	v_add_f32_e32 v27, v27, v28
	v_dual_mul_f32 v28, v23, v20 :: v_dual_fmac_f32 v33, v8, v3
	s_delay_alu instid0(VALU_DEP_3) | instskip(NEXT) | instid1(VALU_DEP_3)
	v_fma_f32 v3, v7, v3, -v4
	v_dual_mul_f32 v4, v16, v12 :: v_dual_add_f32 v27, v27, v31
	s_delay_alu instid0(VALU_DEP_3) | instskip(NEXT) | instid1(VALU_DEP_2)
	v_dual_fmac_f32 v28, v24, v19 :: v_dual_add_f32 v25, v25, v29
	v_fma_f32 v4, v15, v11, -v4
	s_delay_alu instid0(VALU_DEP_3) | instskip(NEXT) | instid1(VALU_DEP_3)
	v_add_f32_e32 v1, v27, v32
	v_add_f32_e32 v5, v25, v30
	s_delay_alu instid0(VALU_DEP_2) | instskip(NEXT) | instid1(VALU_DEP_2)
	v_add_f32_e32 v1, v1, v2
	v_add_f32_e32 v2, v5, v38
	v_fma_f32 v5, v13, v9, -v6
	s_delay_alu instid0(VALU_DEP_3) | instskip(SKIP_1) | instid1(VALU_DEP_4)
	v_add_f32_e32 v1, v1, v3
	v_mul_f32_e32 v3, v22, v18
	v_add_f32_e32 v2, v2, v33
	s_delay_alu instid0(VALU_DEP_3) | instskip(NEXT) | instid1(VALU_DEP_2)
	v_add_f32_e32 v1, v1, v5
	v_dual_mul_f32 v5, v24, v20 :: v_dual_add_f32 v2, v2, v34
	s_delay_alu instid0(VALU_DEP_4) | instskip(NEXT) | instid1(VALU_DEP_3)
	v_fma_f32 v3, v21, v17, -v3
	v_add_f32_e32 v1, v1, v4
	s_delay_alu instid0(VALU_DEP_3) | instskip(NEXT) | instid1(VALU_DEP_4)
	v_fma_f32 v4, v23, v19, -v5
	v_add_f32_e32 v2, v2, v39
	s_delay_alu instid0(VALU_DEP_1) | instskip(NEXT) | instid1(VALU_DEP_1)
	v_dual_add_f32 v1, v1, v3 :: v_dual_add_f32 v2, v2, v26
	v_add_f32_e32 v1, v1, v4
	s_delay_alu instid0(VALU_DEP_1) | instskip(NEXT) | instid1(VALU_DEP_1)
	v_dual_add_f32 v2, v2, v28 :: v_dual_sub_f32 v1, v36, v1
	v_sub_f32_e32 v2, v37, v2
	scratch_store_b64 off, v[1:2], off offset:152
	v_cmpx_lt_u32_e32 18, v0
	s_cbranch_execz .LBB61_349
; %bb.348:
	scratch_load_b64 v[1:2], off, off offset:144
	v_mov_b32_e32 v3, 0
	s_delay_alu instid0(VALU_DEP_1)
	v_mov_b32_e32 v4, v3
	scratch_store_b64 off, v[3:4], off offset:144
	s_wait_loadcnt 0x0
	ds_store_b64 v35, v[1:2]
.LBB61_349:
	s_wait_alu 0xfffe
	s_or_b32 exec_lo, exec_lo, s0
	s_wait_storecnt_dscnt 0x0
	s_barrier_signal -1
	s_barrier_wait -1
	global_inv scope:SCOPE_SE
	s_clause 0x4
	scratch_load_b128 v[5:8], off, off offset:152
	scratch_load_b128 v[1:4], off, off offset:168
	;; [unrolled: 1-line block ×5, first 2 shown]
	v_mov_b32_e32 v21, 0
	ds_load_2addr_b64 v[22:25], v21 offset0:81 offset1:82
	ds_load_2addr_b64 v[26:29], v21 offset0:83 offset1:84
	;; [unrolled: 1-line block ×3, first 2 shown]
	scratch_load_b64 v[36:37], off, off offset:144
	s_mov_b32 s0, exec_lo
	s_wait_loadcnt_dscnt 0x502
	v_mul_f32_e32 v34, v23, v6
	v_dual_mul_f32 v38, v22, v6 :: v_dual_mul_f32 v39, v24, v8
	v_mul_f32_e32 v6, v25, v8
	s_wait_loadcnt_dscnt 0x300
	v_mul_f32_e32 v40, v32, v12
	v_fma_f32 v22, v22, v5, -v34
	v_dual_fmac_f32 v38, v23, v5 :: v_dual_fmac_f32 v39, v25, v7
	v_fma_f32 v23, v24, v7, -v6
	v_dual_mul_f32 v24, v26, v2 :: v_dual_mul_f32 v25, v28, v4
	v_mul_f32_e32 v2, v27, v2
	v_mul_f32_e32 v4, v29, v4
	ds_load_2addr_b64 v[5:8], v21 offset0:87 offset1:88
	v_mul_f32_e32 v34, v30, v10
	v_dual_fmac_f32 v24, v27, v1 :: v_dual_fmac_f32 v25, v29, v3
	v_fma_f32 v26, v26, v1, -v2
	v_fma_f32 v27, v28, v3, -v4
	v_mul_f32_e32 v12, v33, v12
	scratch_load_b128 v[1:4], off, off offset:232
	v_mul_f32_e32 v10, v31, v10
	v_fmac_f32_e32 v34, v31, v9
	v_fmac_f32_e32 v40, v33, v11
	v_fma_f32 v29, v32, v11, -v12
	s_delay_alu instid0(VALU_DEP_4)
	v_fma_f32 v28, v30, v9, -v10
	ds_load_2addr_b64 v[9:12], v21 offset0:89 offset1:90
	s_wait_loadcnt_dscnt 0x301
	v_mul_f32_e32 v30, v5, v14
	v_dual_mul_f32 v14, v6, v14 :: v_dual_mul_f32 v31, v7, v16
	v_mul_f32_e32 v16, v8, v16
	s_delay_alu instid0(VALU_DEP_3) | instskip(NEXT) | instid1(VALU_DEP_3)
	v_fmac_f32_e32 v30, v6, v13
	v_fma_f32 v13, v5, v13, -v14
	s_delay_alu instid0(VALU_DEP_4) | instskip(NEXT) | instid1(VALU_DEP_4)
	v_fmac_f32_e32 v31, v8, v15
	v_fma_f32 v14, v7, v15, -v16
	ds_load_2addr_b64 v[5:8], v21 offset0:91 offset1:92
	s_wait_loadcnt_dscnt 0x201
	v_mul_f32_e32 v15, v9, v18
	v_mul_f32_e32 v16, v10, v18
	v_mul_f32_e32 v18, v11, v20
	s_delay_alu instid0(VALU_DEP_3) | instskip(NEXT) | instid1(VALU_DEP_3)
	v_dual_mul_f32 v20, v12, v20 :: v_dual_fmac_f32 v15, v10, v17
	v_fma_f32 v16, v9, v17, -v16
	s_delay_alu instid0(VALU_DEP_3) | instskip(NEXT) | instid1(VALU_DEP_3)
	v_fmac_f32_e32 v18, v12, v19
	v_fma_f32 v17, v11, v19, -v20
	scratch_load_b128 v[9:12], off, off offset:248
	s_wait_loadcnt_dscnt 0x100
	v_mul_f32_e32 v19, v5, v2
	v_mul_f32_e32 v2, v6, v2
	;; [unrolled: 1-line block ×3, first 2 shown]
	s_delay_alu instid0(VALU_DEP_3) | instskip(NEXT) | instid1(VALU_DEP_3)
	v_dual_mul_f32 v4, v8, v4 :: v_dual_fmac_f32 v19, v6, v1
	v_fma_f32 v32, v5, v1, -v2
	s_delay_alu instid0(VALU_DEP_3) | instskip(NEXT) | instid1(VALU_DEP_3)
	v_fmac_f32_e32 v20, v8, v3
	v_fma_f32 v33, v7, v3, -v4
	ds_load_2addr_b64 v[1:4], v21 offset0:93 offset1:94
	ds_load_2addr_b64 v[5:8], v21 offset0:95 offset1:96
	s_wait_loadcnt_dscnt 0x1
	v_mul_f32_e32 v41, v1, v10
	v_mul_f32_e32 v10, v2, v10
	s_delay_alu instid0(VALU_DEP_2) | instskip(NEXT) | instid1(VALU_DEP_2)
	v_dual_mul_f32 v42, v3, v12 :: v_dual_fmac_f32 v41, v2, v9
	v_fma_f32 v43, v1, v9, -v10
	v_mul_f32_e32 v1, v4, v12
	s_delay_alu instid0(VALU_DEP_3) | instskip(NEXT) | instid1(VALU_DEP_2)
	v_fmac_f32_e32 v42, v4, v11
	v_fma_f32 v44, v3, v11, -v1
	s_clause 0x1
	scratch_load_b128 v[1:4], off, off offset:264
	scratch_load_b128 v[9:12], off, off offset:280
	s_wait_loadcnt_dscnt 0x100
	v_mul_f32_e32 v169, v5, v2
	v_dual_mul_f32 v2, v6, v2 :: v_dual_mul_f32 v171, v7, v4
	s_delay_alu instid0(VALU_DEP_2) | instskip(NEXT) | instid1(VALU_DEP_2)
	v_fmac_f32_e32 v169, v6, v1
	v_fma_f32 v170, v5, v1, -v2
	v_mul_f32_e32 v1, v8, v4
	s_delay_alu instid0(VALU_DEP_4) | instskip(NEXT) | instid1(VALU_DEP_2)
	v_fmac_f32_e32 v171, v8, v3
	v_fma_f32 v172, v7, v3, -v1
	ds_load_2addr_b64 v[1:4], v21 offset0:97 offset1:98
	ds_load_2addr_b64 v[5:8], v21 offset0:99 offset1:100
	s_wait_loadcnt_dscnt 0x1
	v_mul_f32_e32 v173, v1, v10
	v_mul_f32_e32 v175, v3, v12
	s_delay_alu instid0(VALU_DEP_2) | instskip(NEXT) | instid1(VALU_DEP_2)
	v_fmac_f32_e32 v173, v2, v9
	v_dual_mul_f32 v2, v2, v10 :: v_dual_fmac_f32 v175, v4, v11
	s_delay_alu instid0(VALU_DEP_1) | instskip(SKIP_1) | instid1(VALU_DEP_1)
	v_fma_f32 v174, v1, v9, -v2
	v_mul_f32_e32 v1, v4, v12
	v_fma_f32 v176, v3, v11, -v1
	s_clause 0x1
	scratch_load_b128 v[1:4], off, off offset:296
	scratch_load_b128 v[9:12], off, off offset:312
	s_wait_loadcnt_dscnt 0x100
	v_mul_f32_e32 v177, v5, v2
	v_dual_mul_f32 v2, v6, v2 :: v_dual_mul_f32 v179, v7, v4
	s_delay_alu instid0(VALU_DEP_2) | instskip(NEXT) | instid1(VALU_DEP_2)
	v_fmac_f32_e32 v177, v6, v1
	v_fma_f32 v178, v5, v1, -v2
	v_mul_f32_e32 v1, v8, v4
	s_delay_alu instid0(VALU_DEP_4) | instskip(NEXT) | instid1(VALU_DEP_2)
	v_fmac_f32_e32 v179, v8, v3
	v_fma_f32 v180, v7, v3, -v1
	ds_load_2addr_b64 v[1:4], v21 offset0:101 offset1:102
	ds_load_2addr_b64 v[5:8], v21 offset0:103 offset1:104
	s_wait_loadcnt_dscnt 0x1
	v_mul_f32_e32 v181, v1, v10
	v_mul_f32_e32 v183, v3, v12
	s_delay_alu instid0(VALU_DEP_2) | instskip(NEXT) | instid1(VALU_DEP_2)
	v_fmac_f32_e32 v181, v2, v9
	v_dual_mul_f32 v2, v2, v10 :: v_dual_fmac_f32 v183, v4, v11
	s_delay_alu instid0(VALU_DEP_1) | instskip(SKIP_1) | instid1(VALU_DEP_1)
	v_fma_f32 v182, v1, v9, -v2
	v_mul_f32_e32 v1, v4, v12
	;; [unrolled: 25-line block ×4, first 2 shown]
	v_fma_f32 v200, v3, v11, -v1
	s_clause 0x1
	scratch_load_b128 v[1:4], off, off offset:392
	scratch_load_b128 v[9:12], off, off offset:408
	s_wait_loadcnt_dscnt 0x100
	v_mul_f32_e32 v201, v5, v2
	v_mul_f32_e32 v2, v6, v2
	s_delay_alu instid0(VALU_DEP_1) | instskip(SKIP_1) | instid1(VALU_DEP_1)
	v_fma_f32 v202, v5, v1, -v2
	v_add_f32_e32 v2, 0, v38
	v_add_f32_e32 v2, v2, v39
	s_delay_alu instid0(VALU_DEP_1) | instskip(NEXT) | instid1(VALU_DEP_1)
	v_add_f32_e32 v2, v2, v24
	v_add_f32_e32 v2, v2, v25
	s_delay_alu instid0(VALU_DEP_1) | instskip(NEXT) | instid1(VALU_DEP_1)
	;; [unrolled: 3-line block ×5, first 2 shown]
	v_add_f32_e32 v2, v2, v19
	v_add_f32_e32 v2, v2, v20
	s_delay_alu instid0(VALU_DEP_1) | instskip(SKIP_1) | instid1(VALU_DEP_2)
	v_dual_add_f32 v2, v2, v41 :: v_dual_mul_f32 v203, v7, v4
	v_fmac_f32_e32 v201, v6, v1
	v_dual_add_f32 v2, v2, v42 :: v_dual_fmac_f32 v203, v8, v3
	s_delay_alu instid0(VALU_DEP_1) | instskip(NEXT) | instid1(VALU_DEP_1)
	v_dual_add_f32 v2, v2, v169 :: v_dual_mul_f32 v1, v8, v4
	v_add_f32_e32 v2, v2, v171
	s_delay_alu instid0(VALU_DEP_2) | instskip(NEXT) | instid1(VALU_DEP_2)
	v_fma_f32 v204, v7, v3, -v1
	v_dual_add_f32 v1, 0, v22 :: v_dual_add_f32 v2, v2, v173
	s_delay_alu instid0(VALU_DEP_1) | instskip(NEXT) | instid1(VALU_DEP_2)
	v_add_f32_e32 v1, v1, v23
	v_add_f32_e32 v5, v2, v175
	s_delay_alu instid0(VALU_DEP_2) | instskip(NEXT) | instid1(VALU_DEP_1)
	v_add_f32_e32 v1, v1, v26
	v_add_f32_e32 v1, v1, v27
	scratch_load_b64 v[26:27], off, off offset:488
	v_add_f32_e32 v1, v1, v28
	s_delay_alu instid0(VALU_DEP_1) | instskip(NEXT) | instid1(VALU_DEP_1)
	v_add_f32_e32 v1, v1, v29
	v_add_f32_e32 v1, v1, v13
	;; [unrolled: 1-line block ×3, first 2 shown]
	s_delay_alu instid0(VALU_DEP_2) | instskip(NEXT) | instid1(VALU_DEP_2)
	v_add_f32_e32 v1, v1, v14
	v_add_f32_e32 v13, v13, v179
	s_delay_alu instid0(VALU_DEP_1) | instskip(NEXT) | instid1(VALU_DEP_1)
	v_add_f32_e32 v13, v13, v181
	v_add_f32_e32 v18, v13, v183
	s_delay_alu instid0(VALU_DEP_4) | instskip(NEXT) | instid1(VALU_DEP_1)
	v_add_f32_e32 v1, v1, v16
	v_add_f32_e32 v1, v1, v17
	s_delay_alu instid0(VALU_DEP_1) | instskip(NEXT) | instid1(VALU_DEP_1)
	v_add_f32_e32 v1, v1, v32
	v_add_f32_e32 v1, v1, v33
	s_delay_alu instid0(VALU_DEP_1) | instskip(NEXT) | instid1(VALU_DEP_1)
	;; [unrolled: 3-line block ×4, first 2 shown]
	v_add_f32_e32 v1, v1, v174
	v_add_f32_e32 v1, v1, v176
	s_delay_alu instid0(VALU_DEP_1)
	v_add_f32_e32 v6, v1, v178
	scratch_load_b128 v[1:4], off, off offset:424
	v_add_f32_e32 v18, v18, v185
	v_add_f32_e32 v14, v6, v180
	ds_load_2addr_b64 v[5:8], v21 offset0:113 offset1:114
	v_add_f32_e32 v18, v18, v187
	v_add_f32_e32 v14, v14, v182
	s_delay_alu instid0(VALU_DEP_2) | instskip(NEXT) | instid1(VALU_DEP_2)
	v_add_f32_e32 v22, v18, v189
	v_add_f32_e32 v17, v14, v184
	ds_load_2addr_b64 v[13:16], v21 offset0:115 offset1:116
	v_add_f32_e32 v22, v22, v191
	s_wait_loadcnt_dscnt 0x201
	v_mul_f32_e32 v30, v5, v10
	v_dual_mul_f32 v10, v6, v10 :: v_dual_mul_f32 v31, v7, v12
	v_mul_f32_e32 v12, v8, v12
	v_add_f32_e32 v22, v22, v193
	s_delay_alu instid0(VALU_DEP_4) | instskip(NEXT) | instid1(VALU_DEP_4)
	v_fmac_f32_e32 v30, v6, v9
	v_fma_f32 v32, v5, v9, -v10
	v_fmac_f32_e32 v31, v8, v11
	v_fma_f32 v33, v7, v11, -v12
	scratch_load_b128 v[5:8], off, off offset:440
	v_add_f32_e32 v22, v22, v195
	scratch_load_b128 v[9:12], off, off offset:456
	s_wait_loadcnt_dscnt 0x200
	v_mul_f32_e32 v34, v13, v2
	v_mul_f32_e32 v2, v14, v2
	;; [unrolled: 1-line block ×4, first 2 shown]
	s_delay_alu instid0(VALU_DEP_4) | instskip(NEXT) | instid1(VALU_DEP_4)
	v_fmac_f32_e32 v34, v14, v1
	v_fma_f32 v39, v13, v1, -v2
	s_delay_alu instid0(VALU_DEP_4) | instskip(NEXT) | instid1(VALU_DEP_4)
	v_dual_add_f32 v13, v22, v197 :: v_dual_fmac_f32 v38, v16, v3
	v_fma_f32 v40, v15, v3, -v4
	ds_load_2addr_b64 v[1:4], v21 offset0:117 offset1:118
	v_add_f32_e32 v22, v13, v199
	v_add_f32_e32 v17, v17, v186
	s_delay_alu instid0(VALU_DEP_2) | instskip(NEXT) | instid1(VALU_DEP_2)
	v_add_f32_e32 v29, v22, v201
	v_add_f32_e32 v17, v17, v188
	s_delay_alu instid0(VALU_DEP_2) | instskip(NEXT) | instid1(VALU_DEP_2)
	v_add_f32_e32 v42, v29, v203
	v_add_f32_e32 v17, v17, v190
	s_delay_alu instid0(VALU_DEP_2) | instskip(NEXT) | instid1(VALU_DEP_1)
	v_add_f32_e32 v30, v42, v30
	v_add_f32_e32 v30, v30, v31
	s_delay_alu instid0(VALU_DEP_1) | instskip(SKIP_3) | instid1(VALU_DEP_1)
	v_dual_add_f32 v30, v30, v34 :: v_dual_add_f32 v23, v17, v192
	scratch_load_b128 v[17:20], off, off offset:472
	v_add_f32_e32 v30, v30, v38
	v_add_f32_e32 v23, v23, v194
	;; [unrolled: 1-line block ×3, first 2 shown]
	s_delay_alu instid0(VALU_DEP_1) | instskip(NEXT) | instid1(VALU_DEP_1)
	v_add_f32_e32 v23, v23, v198
	v_add_f32_e32 v14, v23, v200
	ds_load_2addr_b64 v[22:25], v21 offset0:121 offset1:122
	v_add_f32_e32 v28, v14, v202
	ds_load_2addr_b64 v[13:16], v21 offset0:119 offset1:120
	v_add_f32_e32 v41, v28, v204
	ds_load_b64 v[28:29], v21 offset:984
	v_add_f32_e32 v32, v41, v32
	s_delay_alu instid0(VALU_DEP_1) | instskip(NEXT) | instid1(VALU_DEP_1)
	v_add_f32_e32 v32, v32, v33
	v_add_f32_e32 v32, v32, v39
	s_wait_loadcnt_dscnt 0x101
	v_dual_mul_f32 v34, v15, v12 :: v_dual_mul_f32 v41, v1, v6
	v_mul_f32_e32 v6, v2, v6
	s_delay_alu instid0(VALU_DEP_3) | instskip(SKIP_4) | instid1(VALU_DEP_3)
	v_add_f32_e32 v32, v32, v40
	s_wait_dscnt 0x0
	v_mul_f32_e32 v38, v28, v27
	v_fmac_f32_e32 v34, v16, v11
	v_fma_f32 v1, v1, v5, -v6
	v_dual_fmac_f32 v41, v2, v5 :: v_dual_fmac_f32 v38, v29, v26
	v_mul_f32_e32 v31, v3, v8
	v_mul_f32_e32 v8, v4, v8
	s_delay_alu instid0(VALU_DEP_4) | instskip(NEXT) | instid1(VALU_DEP_2)
	v_add_f32_e32 v1, v32, v1
	v_fma_f32 v2, v3, v7, -v8
	v_mul_f32_e32 v3, v14, v10
	s_delay_alu instid0(VALU_DEP_1) | instskip(SKIP_2) | instid1(VALU_DEP_1)
	v_fma_f32 v3, v13, v9, -v3
	s_wait_loadcnt 0x0
	v_dual_mul_f32 v40, v24, v20 :: v_dual_mul_f32 v39, v22, v18
	v_dual_fmac_f32 v40, v25, v19 :: v_dual_fmac_f32 v39, v23, v17
	v_mul_f32_e32 v33, v13, v10
	v_add_f32_e32 v1, v1, v2
	s_delay_alu instid0(VALU_DEP_2) | instskip(SKIP_1) | instid1(VALU_DEP_1)
	v_fmac_f32_e32 v33, v14, v9
	v_dual_fmac_f32 v31, v4, v7 :: v_dual_add_f32 v4, v30, v41
	v_add_f32_e32 v2, v4, v31
	v_mul_f32_e32 v4, v23, v18
	s_delay_alu instid0(VALU_DEP_2) | instskip(NEXT) | instid1(VALU_DEP_2)
	v_add_f32_e32 v2, v2, v33
	v_fma_f32 v4, v22, v17, -v4
	s_delay_alu instid0(VALU_DEP_2) | instskip(NEXT) | instid1(VALU_DEP_1)
	v_add_f32_e32 v2, v2, v34
	v_add_f32_e32 v2, v2, v39
	s_delay_alu instid0(VALU_DEP_1) | instskip(SKIP_2) | instid1(VALU_DEP_3)
	v_add_f32_e32 v2, v2, v40
	v_mul_f32_e32 v5, v16, v12
	v_add_f32_e32 v1, v1, v3
	v_dual_mul_f32 v3, v25, v20 :: v_dual_add_f32 v2, v2, v38
	s_delay_alu instid0(VALU_DEP_3) | instskip(NEXT) | instid1(VALU_DEP_2)
	v_fma_f32 v5, v15, v11, -v5
	v_fma_f32 v3, v24, v19, -v3
	s_delay_alu instid0(VALU_DEP_3) | instskip(NEXT) | instid1(VALU_DEP_3)
	v_sub_f32_e32 v2, v37, v2
	v_add_f32_e32 v1, v1, v5
	v_mul_f32_e32 v5, v29, v27
	s_delay_alu instid0(VALU_DEP_2) | instskip(NEXT) | instid1(VALU_DEP_2)
	v_add_f32_e32 v1, v1, v4
	v_fma_f32 v4, v28, v26, -v5
	s_delay_alu instid0(VALU_DEP_2) | instskip(NEXT) | instid1(VALU_DEP_1)
	v_add_f32_e32 v1, v1, v3
	v_add_f32_e32 v1, v1, v4
	s_delay_alu instid0(VALU_DEP_1)
	v_sub_f32_e32 v1, v36, v1
	scratch_store_b64 off, v[1:2], off offset:144
	v_cmpx_lt_u32_e32 17, v0
	s_cbranch_execz .LBB61_351
; %bb.350:
	scratch_load_b64 v[1:2], off, off offset:136
	v_mov_b32_e32 v22, v21
	scratch_store_b64 off, v[21:22], off offset:136
	s_wait_loadcnt 0x0
	ds_store_b64 v35, v[1:2]
.LBB61_351:
	s_wait_alu 0xfffe
	s_or_b32 exec_lo, exec_lo, s0
	s_wait_storecnt_dscnt 0x0
	s_barrier_signal -1
	s_barrier_wait -1
	global_inv scope:SCOPE_SE
	s_clause 0x4
	scratch_load_b128 v[5:8], off, off offset:144
	scratch_load_b128 v[1:4], off, off offset:160
	;; [unrolled: 1-line block ×5, first 2 shown]
	ds_load_b128 v[22:25], v21 offset:640
	ds_load_b128 v[26:29], v21 offset:656
	;; [unrolled: 1-line block ×3, first 2 shown]
	scratch_load_b64 v[36:37], off, off offset:136
	s_mov_b32 s0, exec_lo
	s_wait_loadcnt_dscnt 0x502
	v_dual_mul_f32 v34, v23, v6 :: v_dual_mul_f32 v39, v24, v8
	v_mul_f32_e32 v38, v22, v6
	v_mul_f32_e32 v6, v25, v8
	s_wait_loadcnt_dscnt 0x300
	v_mul_f32_e32 v40, v32, v12
	v_fma_f32 v22, v22, v5, -v34
	v_dual_fmac_f32 v39, v25, v7 :: v_dual_fmac_f32 v38, v23, v5
	v_mul_f32_e32 v25, v28, v4
	v_fma_f32 v23, v24, v7, -v6
	ds_load_b128 v[5:8], v21 offset:688
	v_mul_f32_e32 v24, v26, v2
	v_mul_f32_e32 v4, v29, v4
	;; [unrolled: 1-line block ×5, first 2 shown]
	v_dual_mul_f32 v2, v27, v2 :: v_dual_fmac_f32 v25, v29, v3
	v_fmac_f32_e32 v24, v27, v1
	v_fma_f32 v27, v28, v3, -v4
	v_fmac_f32_e32 v34, v31, v9
	v_fma_f32 v28, v30, v9, -v10
	;; [unrolled: 2-line block ×3, first 2 shown]
	ds_load_b128 v[9:12], v21 offset:704
	s_wait_loadcnt_dscnt 0x201
	v_mul_f32_e32 v30, v5, v14
	v_dual_mul_f32 v14, v6, v14 :: v_dual_mul_f32 v31, v7, v16
	v_mul_f32_e32 v16, v8, v16
	s_delay_alu instid0(VALU_DEP_3) | instskip(NEXT) | instid1(VALU_DEP_3)
	v_fmac_f32_e32 v30, v6, v13
	v_fma_f32 v13, v5, v13, -v14
	s_delay_alu instid0(VALU_DEP_4) | instskip(NEXT) | instid1(VALU_DEP_4)
	v_fmac_f32_e32 v31, v8, v15
	v_fma_f32 v14, v7, v15, -v16
	ds_load_b128 v[5:8], v21 offset:720
	s_wait_loadcnt_dscnt 0x101
	v_mul_f32_e32 v15, v9, v18
	v_mul_f32_e32 v16, v10, v18
	;; [unrolled: 1-line block ×3, first 2 shown]
	s_delay_alu instid0(VALU_DEP_3)
	v_dual_mul_f32 v20, v12, v20 :: v_dual_fmac_f32 v15, v10, v17
	v_fma_f32 v26, v26, v1, -v2
	scratch_load_b128 v[1:4], off, off offset:224
	v_fma_f32 v16, v9, v17, -v16
	v_fmac_f32_e32 v18, v12, v19
	v_fma_f32 v17, v11, v19, -v20
	scratch_load_b128 v[9:12], off, off offset:240
	s_wait_loadcnt_dscnt 0x100
	v_mul_f32_e32 v19, v5, v2
	v_mul_f32_e32 v2, v6, v2
	;; [unrolled: 1-line block ×3, first 2 shown]
	s_delay_alu instid0(VALU_DEP_3) | instskip(NEXT) | instid1(VALU_DEP_3)
	v_dual_mul_f32 v4, v8, v4 :: v_dual_fmac_f32 v19, v6, v1
	v_fma_f32 v32, v5, v1, -v2
	s_delay_alu instid0(VALU_DEP_3) | instskip(NEXT) | instid1(VALU_DEP_3)
	v_fmac_f32_e32 v20, v8, v3
	v_fma_f32 v33, v7, v3, -v4
	ds_load_b128 v[1:4], v21 offset:736
	ds_load_b128 v[5:8], v21 offset:752
	s_wait_loadcnt_dscnt 0x1
	v_mul_f32_e32 v41, v1, v10
	v_mul_f32_e32 v10, v2, v10
	s_delay_alu instid0(VALU_DEP_2) | instskip(NEXT) | instid1(VALU_DEP_2)
	v_dual_mul_f32 v42, v3, v12 :: v_dual_fmac_f32 v41, v2, v9
	v_fma_f32 v43, v1, v9, -v10
	v_mul_f32_e32 v1, v4, v12
	s_delay_alu instid0(VALU_DEP_3) | instskip(NEXT) | instid1(VALU_DEP_2)
	v_fmac_f32_e32 v42, v4, v11
	v_fma_f32 v44, v3, v11, -v1
	s_clause 0x1
	scratch_load_b128 v[1:4], off, off offset:256
	scratch_load_b128 v[9:12], off, off offset:272
	s_wait_loadcnt_dscnt 0x100
	v_mul_f32_e32 v169, v5, v2
	v_dual_mul_f32 v2, v6, v2 :: v_dual_mul_f32 v171, v7, v4
	s_delay_alu instid0(VALU_DEP_2) | instskip(NEXT) | instid1(VALU_DEP_2)
	v_fmac_f32_e32 v169, v6, v1
	v_fma_f32 v170, v5, v1, -v2
	v_mul_f32_e32 v1, v8, v4
	s_delay_alu instid0(VALU_DEP_4) | instskip(NEXT) | instid1(VALU_DEP_2)
	v_fmac_f32_e32 v171, v8, v3
	v_fma_f32 v172, v7, v3, -v1
	ds_load_b128 v[1:4], v21 offset:768
	ds_load_b128 v[5:8], v21 offset:784
	s_wait_loadcnt_dscnt 0x1
	v_mul_f32_e32 v173, v1, v10
	v_mul_f32_e32 v175, v3, v12
	s_delay_alu instid0(VALU_DEP_2) | instskip(NEXT) | instid1(VALU_DEP_2)
	v_fmac_f32_e32 v173, v2, v9
	v_dual_mul_f32 v2, v2, v10 :: v_dual_fmac_f32 v175, v4, v11
	s_delay_alu instid0(VALU_DEP_1) | instskip(SKIP_1) | instid1(VALU_DEP_1)
	v_fma_f32 v174, v1, v9, -v2
	v_mul_f32_e32 v1, v4, v12
	v_fma_f32 v176, v3, v11, -v1
	s_clause 0x1
	scratch_load_b128 v[1:4], off, off offset:288
	scratch_load_b128 v[9:12], off, off offset:304
	s_wait_loadcnt_dscnt 0x100
	v_mul_f32_e32 v177, v5, v2
	v_dual_mul_f32 v2, v6, v2 :: v_dual_mul_f32 v179, v7, v4
	s_delay_alu instid0(VALU_DEP_2) | instskip(NEXT) | instid1(VALU_DEP_2)
	v_fmac_f32_e32 v177, v6, v1
	v_fma_f32 v178, v5, v1, -v2
	v_mul_f32_e32 v1, v8, v4
	s_delay_alu instid0(VALU_DEP_4) | instskip(NEXT) | instid1(VALU_DEP_2)
	v_fmac_f32_e32 v179, v8, v3
	v_fma_f32 v180, v7, v3, -v1
	ds_load_b128 v[1:4], v21 offset:800
	ds_load_b128 v[5:8], v21 offset:816
	s_wait_loadcnt_dscnt 0x1
	v_mul_f32_e32 v181, v1, v10
	v_mul_f32_e32 v183, v3, v12
	s_delay_alu instid0(VALU_DEP_2) | instskip(NEXT) | instid1(VALU_DEP_2)
	v_fmac_f32_e32 v181, v2, v9
	v_dual_mul_f32 v2, v2, v10 :: v_dual_fmac_f32 v183, v4, v11
	s_delay_alu instid0(VALU_DEP_1) | instskip(SKIP_1) | instid1(VALU_DEP_1)
	v_fma_f32 v182, v1, v9, -v2
	v_mul_f32_e32 v1, v4, v12
	;; [unrolled: 25-line block ×5, first 2 shown]
	v_fma_f32 v208, v3, v11, -v1
	s_clause 0x1
	scratch_load_b128 v[1:4], off, off offset:416
	scratch_load_b128 v[9:12], off, off offset:432
	s_wait_loadcnt_dscnt 0x100
	v_mul_f32_e32 v209, v5, v2
	v_mul_f32_e32 v2, v6, v2
	s_delay_alu instid0(VALU_DEP_1) | instskip(SKIP_1) | instid1(VALU_DEP_1)
	v_fma_f32 v210, v5, v1, -v2
	v_add_f32_e32 v2, 0, v38
	v_add_f32_e32 v2, v2, v39
	s_delay_alu instid0(VALU_DEP_1) | instskip(NEXT) | instid1(VALU_DEP_1)
	v_add_f32_e32 v2, v2, v24
	v_add_f32_e32 v2, v2, v25
	s_delay_alu instid0(VALU_DEP_1) | instskip(NEXT) | instid1(VALU_DEP_1)
	;; [unrolled: 3-line block ×8, first 2 shown]
	v_add_f32_e32 v2, v2, v173
	v_add_f32_e32 v2, v2, v175
	s_delay_alu instid0(VALU_DEP_1) | instskip(SKIP_2) | instid1(VALU_DEP_3)
	v_add_f32_e32 v2, v2, v177
	v_fmac_f32_e32 v209, v6, v1
	v_mul_f32_e32 v1, v8, v4
	v_dual_mul_f32 v211, v7, v4 :: v_dual_add_f32 v2, v2, v179
	s_delay_alu instid0(VALU_DEP_2) | instskip(SKIP_1) | instid1(VALU_DEP_3)
	v_fma_f32 v212, v7, v3, -v1
	v_add_f32_e32 v1, 0, v22
	v_add_f32_e32 v5, v2, v181
	s_delay_alu instid0(VALU_DEP_2) | instskip(NEXT) | instid1(VALU_DEP_2)
	v_add_f32_e32 v1, v1, v23
	v_add_f32_e32 v5, v5, v183
	s_delay_alu instid0(VALU_DEP_2) | instskip(NEXT) | instid1(VALU_DEP_2)
	v_add_f32_e32 v1, v1, v26
	v_add_f32_e32 v5, v5, v185
	s_delay_alu instid0(VALU_DEP_2) | instskip(NEXT) | instid1(VALU_DEP_1)
	v_add_f32_e32 v1, v1, v27
	v_add_f32_e32 v1, v1, v28
	s_delay_alu instid0(VALU_DEP_1) | instskip(NEXT) | instid1(VALU_DEP_1)
	v_add_f32_e32 v1, v1, v29
	v_add_f32_e32 v1, v1, v13
	s_delay_alu instid0(VALU_DEP_1) | instskip(SKIP_1) | instid1(VALU_DEP_2)
	v_add_f32_e32 v1, v1, v14
	v_add_f32_e32 v14, v5, v187
	;; [unrolled: 1-line block ×3, first 2 shown]
	s_delay_alu instid0(VALU_DEP_1) | instskip(NEXT) | instid1(VALU_DEP_1)
	v_add_f32_e32 v1, v1, v17
	v_add_f32_e32 v1, v1, v32
	s_delay_alu instid0(VALU_DEP_1) | instskip(NEXT) | instid1(VALU_DEP_1)
	v_add_f32_e32 v1, v1, v33
	v_add_f32_e32 v1, v1, v43
	;; [unrolled: 3-line block ×6, first 2 shown]
	s_delay_alu instid0(VALU_DEP_1) | instskip(SKIP_3) | instid1(VALU_DEP_2)
	v_dual_add_f32 v6, v1, v184 :: v_dual_fmac_f32 v211, v8, v3
	ds_load_b128 v[1:4], v21 offset:928
	v_add_f32_e32 v14, v14, v189
	v_add_f32_e32 v6, v6, v186
	;; [unrolled: 1-line block ×3, first 2 shown]
	s_delay_alu instid0(VALU_DEP_2) | instskip(SKIP_3) | instid1(VALU_DEP_2)
	v_add_f32_e32 v13, v6, v188
	ds_load_b128 v[5:8], v21 offset:944
	v_add_f32_e32 v17, v14, v193
	v_add_f32_e32 v13, v13, v190
	v_add_f32_e32 v17, v17, v195
	s_delay_alu instid0(VALU_DEP_2) | instskip(SKIP_3) | instid1(VALU_DEP_3)
	v_add_f32_e32 v13, v13, v192
	s_wait_loadcnt_dscnt 0x1
	v_dual_mul_f32 v25, v1, v10 :: v_dual_mul_f32 v26, v3, v12
	v_mul_f32_e32 v10, v2, v10
	v_dual_mul_f32 v12, v4, v12 :: v_dual_add_f32 v13, v13, v194
	s_delay_alu instid0(VALU_DEP_3) | instskip(NEXT) | instid1(VALU_DEP_3)
	v_dual_fmac_f32 v25, v2, v9 :: v_dual_fmac_f32 v26, v4, v11
	v_fma_f32 v27, v1, v9, -v10
	s_delay_alu instid0(VALU_DEP_3)
	v_fma_f32 v28, v3, v11, -v12
	s_clause 0x1
	scratch_load_b128 v[1:4], off, off offset:448
	scratch_load_b128 v[9:12], off, off offset:464
	v_add_f32_e32 v18, v13, v196
	scratch_load_b128 v[13:16], off, off offset:480
	v_dual_add_f32 v17, v17, v197 :: v_dual_add_f32 v18, v18, v198
	s_delay_alu instid0(VALU_DEP_1) | instskip(NEXT) | instid1(VALU_DEP_1)
	v_dual_add_f32 v17, v17, v199 :: v_dual_add_f32 v18, v18, v200
	v_dual_add_f32 v23, v17, v201 :: v_dual_add_f32 v22, v18, v202
	ds_load_b128 v[17:20], v21 offset:960
	v_dual_add_f32 v30, v23, v203 :: v_dual_add_f32 v29, v22, v204
	ds_load_b128 v[21:24], v21 offset:976
	v_dual_add_f32 v30, v30, v205 :: v_dual_add_f32 v29, v29, v206
	s_delay_alu instid0(VALU_DEP_1) | instskip(NEXT) | instid1(VALU_DEP_1)
	v_dual_add_f32 v30, v30, v207 :: v_dual_add_f32 v29, v29, v208
	v_dual_add_f32 v30, v30, v209 :: v_dual_add_f32 v29, v29, v210
	s_delay_alu instid0(VALU_DEP_1) | instskip(NEXT) | instid1(VALU_DEP_1)
	v_dual_add_f32 v30, v30, v211 :: v_dual_add_f32 v29, v29, v212
	v_add_f32_e32 v25, v30, v25
	s_delay_alu instid0(VALU_DEP_2)
	v_add_f32_e32 v27, v29, v27
	s_wait_loadcnt_dscnt 0x202
	v_mul_f32_e32 v31, v5, v2
	v_mul_f32_e32 v2, v6, v2
	v_mul_f32_e32 v32, v7, v4
	s_wait_loadcnt_dscnt 0x101
	v_dual_mul_f32 v4, v8, v4 :: v_dual_mul_f32 v33, v17, v10
	v_fmac_f32_e32 v31, v6, v1
	v_fma_f32 v2, v5, v1, -v2
	v_add_f32_e32 v1, v27, v28
	v_add_f32_e32 v5, v25, v26
	v_mul_f32_e32 v6, v18, v10
	v_fmac_f32_e32 v32, v8, v3
	v_fma_f32 v3, v7, v3, -v4
	v_add_f32_e32 v1, v1, v2
	v_add_f32_e32 v2, v5, v31
	v_mul_f32_e32 v34, v19, v12
	v_dual_mul_f32 v4, v20, v12 :: v_dual_fmac_f32 v33, v18, v9
	v_fma_f32 v5, v17, v9, -v6
	s_delay_alu instid0(VALU_DEP_4)
	v_dual_add_f32 v1, v1, v3 :: v_dual_add_f32 v2, v2, v32
	s_wait_loadcnt_dscnt 0x0
	v_mul_f32_e32 v38, v21, v14
	v_dual_mul_f32 v3, v22, v14 :: v_dual_fmac_f32 v34, v20, v11
	v_fma_f32 v4, v19, v11, -v4
	v_add_f32_e32 v1, v1, v5
	v_dual_add_f32 v2, v2, v33 :: v_dual_mul_f32 v29, v23, v16
	v_dual_mul_f32 v5, v24, v16 :: v_dual_fmac_f32 v38, v22, v13
	v_fma_f32 v3, v21, v13, -v3
	s_delay_alu instid0(VALU_DEP_3) | instskip(NEXT) | instid1(VALU_DEP_4)
	v_dual_add_f32 v1, v1, v4 :: v_dual_add_f32 v2, v2, v34
	v_fmac_f32_e32 v29, v24, v15
	s_delay_alu instid0(VALU_DEP_4) | instskip(NEXT) | instid1(VALU_DEP_3)
	v_fma_f32 v4, v23, v15, -v5
	v_dual_add_f32 v1, v1, v3 :: v_dual_add_f32 v2, v2, v38
	s_delay_alu instid0(VALU_DEP_1) | instskip(NEXT) | instid1(VALU_DEP_1)
	v_dual_add_f32 v1, v1, v4 :: v_dual_add_f32 v2, v2, v29
	v_dual_sub_f32 v1, v36, v1 :: v_dual_sub_f32 v2, v37, v2
	scratch_store_b64 off, v[1:2], off offset:136
	v_cmpx_lt_u32_e32 16, v0
	s_cbranch_execz .LBB61_353
; %bb.352:
	scratch_load_b64 v[1:2], off, off offset:128
	v_mov_b32_e32 v3, 0
	s_delay_alu instid0(VALU_DEP_1)
	v_mov_b32_e32 v4, v3
	scratch_store_b64 off, v[3:4], off offset:128
	s_wait_loadcnt 0x0
	ds_store_b64 v35, v[1:2]
.LBB61_353:
	s_wait_alu 0xfffe
	s_or_b32 exec_lo, exec_lo, s0
	s_wait_storecnt_dscnt 0x0
	s_barrier_signal -1
	s_barrier_wait -1
	global_inv scope:SCOPE_SE
	s_clause 0x4
	scratch_load_b128 v[5:8], off, off offset:136
	scratch_load_b128 v[1:4], off, off offset:152
	scratch_load_b128 v[9:12], off, off offset:168
	scratch_load_b128 v[13:16], off, off offset:184
	scratch_load_b128 v[17:20], off, off offset:200
	v_mov_b32_e32 v21, 0
	ds_load_2addr_b64 v[22:25], v21 offset0:79 offset1:80
	ds_load_2addr_b64 v[26:29], v21 offset0:81 offset1:82
	;; [unrolled: 1-line block ×3, first 2 shown]
	scratch_load_b64 v[36:37], off, off offset:128
	s_mov_b32 s0, exec_lo
	s_wait_loadcnt_dscnt 0x502
	v_mul_f32_e32 v34, v23, v6
	v_dual_mul_f32 v38, v22, v6 :: v_dual_mul_f32 v39, v24, v8
	v_mul_f32_e32 v6, v25, v8
	s_wait_loadcnt_dscnt 0x300
	v_mul_f32_e32 v40, v32, v12
	v_fma_f32 v22, v22, v5, -v34
	v_dual_fmac_f32 v38, v23, v5 :: v_dual_fmac_f32 v39, v25, v7
	v_fma_f32 v23, v24, v7, -v6
	v_dual_mul_f32 v24, v26, v2 :: v_dual_mul_f32 v25, v28, v4
	v_mul_f32_e32 v2, v27, v2
	v_mul_f32_e32 v4, v29, v4
	ds_load_2addr_b64 v[5:8], v21 offset0:85 offset1:86
	v_mul_f32_e32 v34, v30, v10
	v_dual_fmac_f32 v24, v27, v1 :: v_dual_fmac_f32 v25, v29, v3
	v_fma_f32 v26, v26, v1, -v2
	v_fma_f32 v27, v28, v3, -v4
	v_mul_f32_e32 v12, v33, v12
	scratch_load_b128 v[1:4], off, off offset:216
	v_mul_f32_e32 v10, v31, v10
	v_fmac_f32_e32 v34, v31, v9
	v_fmac_f32_e32 v40, v33, v11
	v_fma_f32 v29, v32, v11, -v12
	s_delay_alu instid0(VALU_DEP_4)
	v_fma_f32 v28, v30, v9, -v10
	ds_load_2addr_b64 v[9:12], v21 offset0:87 offset1:88
	s_wait_loadcnt_dscnt 0x301
	v_mul_f32_e32 v30, v5, v14
	v_dual_mul_f32 v14, v6, v14 :: v_dual_mul_f32 v31, v7, v16
	v_mul_f32_e32 v16, v8, v16
	s_delay_alu instid0(VALU_DEP_3) | instskip(NEXT) | instid1(VALU_DEP_3)
	v_fmac_f32_e32 v30, v6, v13
	v_fma_f32 v13, v5, v13, -v14
	s_delay_alu instid0(VALU_DEP_4) | instskip(NEXT) | instid1(VALU_DEP_4)
	v_fmac_f32_e32 v31, v8, v15
	v_fma_f32 v14, v7, v15, -v16
	ds_load_2addr_b64 v[5:8], v21 offset0:89 offset1:90
	s_wait_loadcnt_dscnt 0x201
	v_mul_f32_e32 v15, v9, v18
	v_mul_f32_e32 v16, v10, v18
	;; [unrolled: 1-line block ×3, first 2 shown]
	s_delay_alu instid0(VALU_DEP_3) | instskip(NEXT) | instid1(VALU_DEP_3)
	v_dual_mul_f32 v20, v12, v20 :: v_dual_fmac_f32 v15, v10, v17
	v_fma_f32 v16, v9, v17, -v16
	s_delay_alu instid0(VALU_DEP_3) | instskip(NEXT) | instid1(VALU_DEP_3)
	v_fmac_f32_e32 v18, v12, v19
	v_fma_f32 v17, v11, v19, -v20
	scratch_load_b128 v[9:12], off, off offset:232
	s_wait_loadcnt_dscnt 0x100
	v_mul_f32_e32 v19, v5, v2
	v_mul_f32_e32 v2, v6, v2
	;; [unrolled: 1-line block ×3, first 2 shown]
	s_delay_alu instid0(VALU_DEP_3) | instskip(NEXT) | instid1(VALU_DEP_3)
	v_dual_mul_f32 v4, v8, v4 :: v_dual_fmac_f32 v19, v6, v1
	v_fma_f32 v32, v5, v1, -v2
	s_delay_alu instid0(VALU_DEP_3) | instskip(NEXT) | instid1(VALU_DEP_3)
	v_fmac_f32_e32 v20, v8, v3
	v_fma_f32 v33, v7, v3, -v4
	ds_load_2addr_b64 v[1:4], v21 offset0:91 offset1:92
	ds_load_2addr_b64 v[5:8], v21 offset0:93 offset1:94
	s_wait_loadcnt_dscnt 0x1
	v_mul_f32_e32 v41, v1, v10
	v_mul_f32_e32 v10, v2, v10
	s_delay_alu instid0(VALU_DEP_2) | instskip(NEXT) | instid1(VALU_DEP_2)
	v_dual_mul_f32 v42, v3, v12 :: v_dual_fmac_f32 v41, v2, v9
	v_fma_f32 v43, v1, v9, -v10
	v_mul_f32_e32 v1, v4, v12
	s_delay_alu instid0(VALU_DEP_3) | instskip(NEXT) | instid1(VALU_DEP_2)
	v_fmac_f32_e32 v42, v4, v11
	v_fma_f32 v44, v3, v11, -v1
	s_clause 0x1
	scratch_load_b128 v[1:4], off, off offset:248
	scratch_load_b128 v[9:12], off, off offset:264
	s_wait_loadcnt_dscnt 0x100
	v_mul_f32_e32 v169, v5, v2
	v_dual_mul_f32 v2, v6, v2 :: v_dual_mul_f32 v171, v7, v4
	s_delay_alu instid0(VALU_DEP_2) | instskip(NEXT) | instid1(VALU_DEP_2)
	v_fmac_f32_e32 v169, v6, v1
	v_fma_f32 v170, v5, v1, -v2
	v_mul_f32_e32 v1, v8, v4
	s_delay_alu instid0(VALU_DEP_4) | instskip(NEXT) | instid1(VALU_DEP_2)
	v_fmac_f32_e32 v171, v8, v3
	v_fma_f32 v172, v7, v3, -v1
	ds_load_2addr_b64 v[1:4], v21 offset0:95 offset1:96
	ds_load_2addr_b64 v[5:8], v21 offset0:97 offset1:98
	s_wait_loadcnt_dscnt 0x1
	v_mul_f32_e32 v173, v1, v10
	v_mul_f32_e32 v175, v3, v12
	s_delay_alu instid0(VALU_DEP_2) | instskip(NEXT) | instid1(VALU_DEP_2)
	v_fmac_f32_e32 v173, v2, v9
	v_dual_mul_f32 v2, v2, v10 :: v_dual_fmac_f32 v175, v4, v11
	s_delay_alu instid0(VALU_DEP_1) | instskip(SKIP_1) | instid1(VALU_DEP_1)
	v_fma_f32 v174, v1, v9, -v2
	v_mul_f32_e32 v1, v4, v12
	v_fma_f32 v176, v3, v11, -v1
	s_clause 0x1
	scratch_load_b128 v[1:4], off, off offset:280
	scratch_load_b128 v[9:12], off, off offset:296
	s_wait_loadcnt_dscnt 0x100
	v_mul_f32_e32 v177, v5, v2
	v_dual_mul_f32 v2, v6, v2 :: v_dual_mul_f32 v179, v7, v4
	s_delay_alu instid0(VALU_DEP_2) | instskip(NEXT) | instid1(VALU_DEP_2)
	v_fmac_f32_e32 v177, v6, v1
	v_fma_f32 v178, v5, v1, -v2
	v_mul_f32_e32 v1, v8, v4
	s_delay_alu instid0(VALU_DEP_4) | instskip(NEXT) | instid1(VALU_DEP_2)
	v_fmac_f32_e32 v179, v8, v3
	v_fma_f32 v180, v7, v3, -v1
	ds_load_2addr_b64 v[1:4], v21 offset0:99 offset1:100
	ds_load_2addr_b64 v[5:8], v21 offset0:101 offset1:102
	s_wait_loadcnt_dscnt 0x1
	v_mul_f32_e32 v181, v1, v10
	v_mul_f32_e32 v183, v3, v12
	s_delay_alu instid0(VALU_DEP_2) | instskip(NEXT) | instid1(VALU_DEP_2)
	v_fmac_f32_e32 v181, v2, v9
	v_dual_mul_f32 v2, v2, v10 :: v_dual_fmac_f32 v183, v4, v11
	s_delay_alu instid0(VALU_DEP_1) | instskip(SKIP_1) | instid1(VALU_DEP_1)
	v_fma_f32 v182, v1, v9, -v2
	v_mul_f32_e32 v1, v4, v12
	v_fma_f32 v184, v3, v11, -v1
	s_clause 0x1
	scratch_load_b128 v[1:4], off, off offset:312
	scratch_load_b128 v[9:12], off, off offset:328
	s_wait_loadcnt_dscnt 0x100
	v_mul_f32_e32 v185, v5, v2
	v_dual_mul_f32 v2, v6, v2 :: v_dual_mul_f32 v187, v7, v4
	s_delay_alu instid0(VALU_DEP_2) | instskip(NEXT) | instid1(VALU_DEP_2)
	v_fmac_f32_e32 v185, v6, v1
	v_fma_f32 v186, v5, v1, -v2
	v_mul_f32_e32 v1, v8, v4
	s_delay_alu instid0(VALU_DEP_4) | instskip(NEXT) | instid1(VALU_DEP_2)
	v_fmac_f32_e32 v187, v8, v3
	v_fma_f32 v188, v7, v3, -v1
	ds_load_2addr_b64 v[1:4], v21 offset0:103 offset1:104
	ds_load_2addr_b64 v[5:8], v21 offset0:105 offset1:106
	s_wait_loadcnt_dscnt 0x1
	v_mul_f32_e32 v189, v1, v10
	v_mul_f32_e32 v191, v3, v12
	s_delay_alu instid0(VALU_DEP_2) | instskip(NEXT) | instid1(VALU_DEP_2)
	v_fmac_f32_e32 v189, v2, v9
	v_dual_mul_f32 v2, v2, v10 :: v_dual_fmac_f32 v191, v4, v11
	s_delay_alu instid0(VALU_DEP_1) | instskip(SKIP_1) | instid1(VALU_DEP_1)
	v_fma_f32 v190, v1, v9, -v2
	v_mul_f32_e32 v1, v4, v12
	v_fma_f32 v192, v3, v11, -v1
	s_clause 0x1
	scratch_load_b128 v[1:4], off, off offset:344
	scratch_load_b128 v[9:12], off, off offset:360
	s_wait_loadcnt_dscnt 0x100
	v_mul_f32_e32 v193, v5, v2
	v_dual_mul_f32 v2, v6, v2 :: v_dual_mul_f32 v195, v7, v4
	s_delay_alu instid0(VALU_DEP_2) | instskip(NEXT) | instid1(VALU_DEP_2)
	v_fmac_f32_e32 v193, v6, v1
	v_fma_f32 v194, v5, v1, -v2
	v_mul_f32_e32 v1, v8, v4
	s_delay_alu instid0(VALU_DEP_4) | instskip(NEXT) | instid1(VALU_DEP_2)
	v_fmac_f32_e32 v195, v8, v3
	v_fma_f32 v196, v7, v3, -v1
	ds_load_2addr_b64 v[1:4], v21 offset0:107 offset1:108
	ds_load_2addr_b64 v[5:8], v21 offset0:109 offset1:110
	s_wait_loadcnt_dscnt 0x1
	v_mul_f32_e32 v197, v1, v10
	v_mul_f32_e32 v199, v3, v12
	s_delay_alu instid0(VALU_DEP_2) | instskip(NEXT) | instid1(VALU_DEP_2)
	v_fmac_f32_e32 v197, v2, v9
	v_dual_mul_f32 v2, v2, v10 :: v_dual_fmac_f32 v199, v4, v11
	s_delay_alu instid0(VALU_DEP_1) | instskip(SKIP_1) | instid1(VALU_DEP_1)
	v_fma_f32 v198, v1, v9, -v2
	v_mul_f32_e32 v1, v4, v12
	v_fma_f32 v200, v3, v11, -v1
	s_clause 0x1
	scratch_load_b128 v[1:4], off, off offset:376
	scratch_load_b128 v[9:12], off, off offset:392
	s_wait_loadcnt_dscnt 0x100
	v_mul_f32_e32 v201, v5, v2
	v_dual_mul_f32 v2, v6, v2 :: v_dual_mul_f32 v203, v7, v4
	s_delay_alu instid0(VALU_DEP_2) | instskip(NEXT) | instid1(VALU_DEP_2)
	v_fmac_f32_e32 v201, v6, v1
	v_fma_f32 v202, v5, v1, -v2
	v_mul_f32_e32 v1, v8, v4
	s_delay_alu instid0(VALU_DEP_4) | instskip(NEXT) | instid1(VALU_DEP_2)
	v_fmac_f32_e32 v203, v8, v3
	v_fma_f32 v204, v7, v3, -v1
	ds_load_2addr_b64 v[1:4], v21 offset0:111 offset1:112
	ds_load_2addr_b64 v[5:8], v21 offset0:113 offset1:114
	s_wait_loadcnt_dscnt 0x1
	v_mul_f32_e32 v205, v1, v10
	v_mul_f32_e32 v207, v3, v12
	s_delay_alu instid0(VALU_DEP_2) | instskip(NEXT) | instid1(VALU_DEP_2)
	v_fmac_f32_e32 v205, v2, v9
	v_dual_mul_f32 v2, v2, v10 :: v_dual_fmac_f32 v207, v4, v11
	s_delay_alu instid0(VALU_DEP_1) | instskip(SKIP_1) | instid1(VALU_DEP_1)
	v_fma_f32 v206, v1, v9, -v2
	v_mul_f32_e32 v1, v4, v12
	v_fma_f32 v208, v3, v11, -v1
	s_clause 0x1
	scratch_load_b128 v[1:4], off, off offset:408
	scratch_load_b128 v[9:12], off, off offset:424
	s_wait_loadcnt_dscnt 0x100
	v_mul_f32_e32 v209, v5, v2
	v_mul_f32_e32 v2, v6, v2
	s_delay_alu instid0(VALU_DEP_1) | instskip(SKIP_1) | instid1(VALU_DEP_1)
	v_fma_f32 v210, v5, v1, -v2
	v_add_f32_e32 v2, 0, v38
	v_add_f32_e32 v2, v2, v39
	s_delay_alu instid0(VALU_DEP_1) | instskip(NEXT) | instid1(VALU_DEP_1)
	v_add_f32_e32 v2, v2, v24
	v_add_f32_e32 v2, v2, v25
	s_delay_alu instid0(VALU_DEP_1) | instskip(NEXT) | instid1(VALU_DEP_1)
	;; [unrolled: 3-line block ×8, first 2 shown]
	v_add_f32_e32 v2, v2, v173
	v_add_f32_e32 v2, v2, v175
	s_delay_alu instid0(VALU_DEP_1) | instskip(SKIP_2) | instid1(VALU_DEP_3)
	v_add_f32_e32 v2, v2, v177
	v_fmac_f32_e32 v209, v6, v1
	v_mul_f32_e32 v1, v8, v4
	v_dual_mul_f32 v211, v7, v4 :: v_dual_add_f32 v2, v2, v179
	s_delay_alu instid0(VALU_DEP_2) | instskip(SKIP_1) | instid1(VALU_DEP_3)
	v_fma_f32 v212, v7, v3, -v1
	v_add_f32_e32 v1, 0, v22
	v_add_f32_e32 v5, v2, v181
	s_delay_alu instid0(VALU_DEP_2) | instskip(NEXT) | instid1(VALU_DEP_2)
	v_add_f32_e32 v1, v1, v23
	v_add_f32_e32 v5, v5, v183
	s_delay_alu instid0(VALU_DEP_2) | instskip(NEXT) | instid1(VALU_DEP_1)
	v_add_f32_e32 v1, v1, v26
	v_add_f32_e32 v1, v1, v27
	scratch_load_b64 v[26:27], off, off offset:488
	v_add_f32_e32 v1, v1, v28
	s_delay_alu instid0(VALU_DEP_1) | instskip(NEXT) | instid1(VALU_DEP_1)
	v_add_f32_e32 v1, v1, v29
	v_add_f32_e32 v1, v1, v13
	s_delay_alu instid0(VALU_DEP_1) | instskip(NEXT) | instid1(VALU_DEP_1)
	v_add_f32_e32 v1, v1, v14
	v_add_f32_e32 v1, v1, v16
	s_delay_alu instid0(VALU_DEP_1) | instskip(NEXT) | instid1(VALU_DEP_1)
	v_add_f32_e32 v1, v1, v17
	v_add_f32_e32 v1, v1, v32
	s_delay_alu instid0(VALU_DEP_1) | instskip(NEXT) | instid1(VALU_DEP_1)
	v_add_f32_e32 v1, v1, v33
	v_add_f32_e32 v1, v1, v43
	s_delay_alu instid0(VALU_DEP_1) | instskip(NEXT) | instid1(VALU_DEP_1)
	v_add_f32_e32 v1, v1, v44
	v_add_f32_e32 v1, v1, v170
	s_delay_alu instid0(VALU_DEP_1) | instskip(NEXT) | instid1(VALU_DEP_1)
	v_add_f32_e32 v1, v1, v172
	v_add_f32_e32 v1, v1, v174
	s_delay_alu instid0(VALU_DEP_1) | instskip(NEXT) | instid1(VALU_DEP_1)
	v_add_f32_e32 v1, v1, v176
	v_add_f32_e32 v1, v1, v178
	s_delay_alu instid0(VALU_DEP_1) | instskip(NEXT) | instid1(VALU_DEP_1)
	v_add_f32_e32 v1, v1, v180
	v_add_f32_e32 v1, v1, v182
	s_delay_alu instid0(VALU_DEP_1) | instskip(SKIP_2) | instid1(VALU_DEP_1)
	v_dual_add_f32 v6, v1, v184 :: v_dual_fmac_f32 v211, v8, v3
	ds_load_2addr_b64 v[1:4], v21 offset0:115 offset1:116
	v_dual_add_f32 v5, v5, v185 :: v_dual_add_f32 v6, v6, v186
	v_dual_add_f32 v14, v5, v187 :: v_dual_add_f32 v13, v6, v188
	ds_load_2addr_b64 v[5:8], v21 offset0:117 offset1:118
	v_add_f32_e32 v14, v14, v189
	s_delay_alu instid0(VALU_DEP_1) | instskip(SKIP_3) | instid1(VALU_DEP_3)
	v_add_f32_e32 v14, v14, v191
	s_wait_loadcnt_dscnt 0x101
	v_mul_f32_e32 v30, v1, v10
	v_dual_mul_f32 v10, v2, v10 :: v_dual_mul_f32 v31, v3, v12
	v_dual_mul_f32 v12, v4, v12 :: v_dual_add_f32 v17, v14, v193
	s_delay_alu instid0(VALU_DEP_3) | instskip(NEXT) | instid1(VALU_DEP_3)
	v_fmac_f32_e32 v30, v2, v9
	v_fma_f32 v32, v1, v9, -v10
	s_delay_alu instid0(VALU_DEP_4) | instskip(NEXT) | instid1(VALU_DEP_4)
	v_fmac_f32_e32 v31, v4, v11
	v_fma_f32 v33, v3, v11, -v12
	s_clause 0x1
	scratch_load_b128 v[1:4], off, off offset:440
	scratch_load_b128 v[9:12], off, off offset:456
	v_add_f32_e32 v13, v13, v190
	v_add_f32_e32 v17, v17, v195
	s_delay_alu instid0(VALU_DEP_2) | instskip(NEXT) | instid1(VALU_DEP_2)
	v_add_f32_e32 v13, v13, v192
	v_add_f32_e32 v17, v17, v197
	s_wait_loadcnt_dscnt 0x100
	s_delay_alu instid0(VALU_DEP_1) | instskip(SKIP_1) | instid1(VALU_DEP_2)
	v_dual_add_f32 v17, v17, v199 :: v_dual_mul_f32 v40, v7, v4
	v_mul_f32_e32 v4, v8, v4
	v_dual_fmac_f32 v40, v8, v3 :: v_dual_add_f32 v13, v13, v194
	s_delay_alu instid0(VALU_DEP_1) | instskip(SKIP_2) | instid1(VALU_DEP_1)
	v_add_f32_e32 v18, v13, v196
	scratch_load_b128 v[13:16], off, off offset:472
	v_dual_add_f32 v17, v17, v201 :: v_dual_add_f32 v18, v18, v198
	v_add_f32_e32 v22, v17, v203
	s_delay_alu instid0(VALU_DEP_2) | instskip(NEXT) | instid1(VALU_DEP_2)
	v_add_f32_e32 v18, v18, v200
	v_add_f32_e32 v29, v22, v205
	ds_load_2addr_b64 v[22:25], v21 offset0:121 offset1:122
	v_add_f32_e32 v18, v18, v202
	v_add_f32_e32 v38, v29, v207
	s_delay_alu instid0(VALU_DEP_2) | instskip(NEXT) | instid1(VALU_DEP_1)
	v_add_f32_e32 v18, v18, v204
	v_add_f32_e32 v28, v18, v206
	ds_load_2addr_b64 v[17:20], v21 offset0:119 offset1:120
	v_add_f32_e32 v34, v28, v208
	v_add_f32_e32 v38, v38, v209
	ds_load_b64 v[28:29], v21 offset:984
	v_add_f32_e32 v34, v34, v210
	v_add_f32_e32 v38, v38, v211
	s_delay_alu instid0(VALU_DEP_2) | instskip(NEXT) | instid1(VALU_DEP_2)
	v_add_f32_e32 v34, v34, v212
	v_add_f32_e32 v30, v38, v30
	s_delay_alu instid0(VALU_DEP_2) | instskip(NEXT) | instid1(VALU_DEP_2)
	v_add_f32_e32 v32, v34, v32
	v_add_f32_e32 v30, v30, v31
	s_wait_loadcnt_dscnt 0x101
	v_mul_f32_e32 v34, v17, v10
	v_mul_f32_e32 v38, v19, v12
	v_add_f32_e32 v32, v32, v33
	s_delay_alu instid0(VALU_DEP_3) | instskip(NEXT) | instid1(VALU_DEP_3)
	v_fmac_f32_e32 v34, v18, v9
	v_fmac_f32_e32 v38, v20, v11
	s_wait_dscnt 0x0
	v_mul_f32_e32 v31, v28, v27
	s_delay_alu instid0(VALU_DEP_1) | instskip(SKIP_3) | instid1(VALU_DEP_2)
	v_fmac_f32_e32 v31, v29, v26
	s_wait_loadcnt 0x0
	v_mul_f32_e32 v33, v24, v16
	v_mul_f32_e32 v41, v22, v14
	v_fmac_f32_e32 v33, v25, v15
	v_mul_f32_e32 v39, v5, v2
	s_delay_alu instid0(VALU_DEP_3) | instskip(NEXT) | instid1(VALU_DEP_2)
	v_dual_mul_f32 v2, v6, v2 :: v_dual_fmac_f32 v41, v23, v13
	v_fmac_f32_e32 v39, v6, v1
	s_delay_alu instid0(VALU_DEP_2) | instskip(SKIP_2) | instid1(VALU_DEP_4)
	v_fma_f32 v2, v5, v1, -v2
	v_fma_f32 v1, v7, v3, -v4
	v_mul_f32_e32 v3, v18, v10
	v_dual_mul_f32 v5, v20, v12 :: v_dual_add_f32 v4, v30, v39
	s_delay_alu instid0(VALU_DEP_4) | instskip(NEXT) | instid1(VALU_DEP_3)
	v_add_f32_e32 v2, v32, v2
	v_fma_f32 v3, v17, v9, -v3
	s_delay_alu instid0(VALU_DEP_3) | instskip(NEXT) | instid1(VALU_DEP_3)
	v_fma_f32 v5, v19, v11, -v5
	v_dual_add_f32 v1, v2, v1 :: v_dual_add_f32 v2, v4, v40
	s_delay_alu instid0(VALU_DEP_1) | instskip(NEXT) | instid1(VALU_DEP_2)
	v_dual_mul_f32 v4, v23, v14 :: v_dual_add_f32 v1, v1, v3
	v_dual_add_f32 v2, v2, v34 :: v_dual_mul_f32 v3, v25, v16
	s_delay_alu instid0(VALU_DEP_2) | instskip(NEXT) | instid1(VALU_DEP_2)
	v_fma_f32 v4, v22, v13, -v4
	v_dual_add_f32 v1, v1, v5 :: v_dual_add_f32 v2, v2, v38
	v_mul_f32_e32 v5, v29, v27
	s_delay_alu instid0(VALU_DEP_4) | instskip(NEXT) | instid1(VALU_DEP_3)
	v_fma_f32 v3, v24, v15, -v3
	v_dual_add_f32 v1, v1, v4 :: v_dual_add_f32 v2, v2, v41
	s_delay_alu instid0(VALU_DEP_3) | instskip(NEXT) | instid1(VALU_DEP_2)
	v_fma_f32 v4, v28, v26, -v5
	v_dual_add_f32 v1, v1, v3 :: v_dual_add_f32 v2, v2, v33
	s_delay_alu instid0(VALU_DEP_1) | instskip(NEXT) | instid1(VALU_DEP_1)
	v_dual_add_f32 v1, v1, v4 :: v_dual_add_f32 v2, v2, v31
	v_dual_sub_f32 v1, v36, v1 :: v_dual_sub_f32 v2, v37, v2
	scratch_store_b64 off, v[1:2], off offset:128
	v_cmpx_lt_u32_e32 15, v0
	s_cbranch_execz .LBB61_355
; %bb.354:
	scratch_load_b64 v[1:2], off, off offset:120
	v_mov_b32_e32 v22, v21
	scratch_store_b64 off, v[21:22], off offset:120
	s_wait_loadcnt 0x0
	ds_store_b64 v35, v[1:2]
.LBB61_355:
	s_wait_alu 0xfffe
	s_or_b32 exec_lo, exec_lo, s0
	s_wait_storecnt_dscnt 0x0
	s_barrier_signal -1
	s_barrier_wait -1
	global_inv scope:SCOPE_SE
	s_clause 0x4
	scratch_load_b128 v[5:8], off, off offset:128
	scratch_load_b128 v[1:4], off, off offset:144
	;; [unrolled: 1-line block ×5, first 2 shown]
	ds_load_b128 v[22:25], v21 offset:624
	ds_load_b128 v[26:29], v21 offset:640
	;; [unrolled: 1-line block ×3, first 2 shown]
	scratch_load_b64 v[36:37], off, off offset:120
	s_mov_b32 s0, exec_lo
	s_wait_loadcnt_dscnt 0x502
	v_dual_mul_f32 v34, v23, v6 :: v_dual_mul_f32 v39, v24, v8
	v_mul_f32_e32 v38, v22, v6
	v_mul_f32_e32 v6, v25, v8
	s_wait_loadcnt_dscnt 0x300
	v_mul_f32_e32 v40, v32, v12
	v_fma_f32 v22, v22, v5, -v34
	v_dual_fmac_f32 v39, v25, v7 :: v_dual_fmac_f32 v38, v23, v5
	v_mul_f32_e32 v25, v28, v4
	v_fma_f32 v23, v24, v7, -v6
	ds_load_b128 v[5:8], v21 offset:672
	v_mul_f32_e32 v24, v26, v2
	v_mul_f32_e32 v4, v29, v4
	;; [unrolled: 1-line block ×5, first 2 shown]
	v_dual_mul_f32 v2, v27, v2 :: v_dual_fmac_f32 v25, v29, v3
	v_fmac_f32_e32 v24, v27, v1
	v_fma_f32 v27, v28, v3, -v4
	v_fmac_f32_e32 v34, v31, v9
	v_fma_f32 v28, v30, v9, -v10
	;; [unrolled: 2-line block ×3, first 2 shown]
	ds_load_b128 v[9:12], v21 offset:688
	s_wait_loadcnt_dscnt 0x201
	v_mul_f32_e32 v30, v5, v14
	v_dual_mul_f32 v14, v6, v14 :: v_dual_mul_f32 v31, v7, v16
	v_mul_f32_e32 v16, v8, v16
	s_delay_alu instid0(VALU_DEP_3) | instskip(NEXT) | instid1(VALU_DEP_3)
	v_fmac_f32_e32 v30, v6, v13
	v_fma_f32 v13, v5, v13, -v14
	s_delay_alu instid0(VALU_DEP_4) | instskip(NEXT) | instid1(VALU_DEP_4)
	v_fmac_f32_e32 v31, v8, v15
	v_fma_f32 v14, v7, v15, -v16
	ds_load_b128 v[5:8], v21 offset:704
	s_wait_loadcnt_dscnt 0x101
	v_mul_f32_e32 v15, v9, v18
	v_mul_f32_e32 v16, v10, v18
	;; [unrolled: 1-line block ×3, first 2 shown]
	s_delay_alu instid0(VALU_DEP_3)
	v_dual_mul_f32 v20, v12, v20 :: v_dual_fmac_f32 v15, v10, v17
	v_fma_f32 v26, v26, v1, -v2
	scratch_load_b128 v[1:4], off, off offset:208
	v_fma_f32 v16, v9, v17, -v16
	v_fmac_f32_e32 v18, v12, v19
	v_fma_f32 v17, v11, v19, -v20
	scratch_load_b128 v[9:12], off, off offset:224
	s_wait_loadcnt_dscnt 0x100
	v_mul_f32_e32 v19, v5, v2
	v_mul_f32_e32 v2, v6, v2
	;; [unrolled: 1-line block ×3, first 2 shown]
	s_delay_alu instid0(VALU_DEP_3) | instskip(NEXT) | instid1(VALU_DEP_3)
	v_dual_mul_f32 v4, v8, v4 :: v_dual_fmac_f32 v19, v6, v1
	v_fma_f32 v32, v5, v1, -v2
	s_delay_alu instid0(VALU_DEP_3) | instskip(NEXT) | instid1(VALU_DEP_3)
	v_fmac_f32_e32 v20, v8, v3
	v_fma_f32 v33, v7, v3, -v4
	ds_load_b128 v[1:4], v21 offset:720
	ds_load_b128 v[5:8], v21 offset:736
	s_wait_loadcnt_dscnt 0x1
	v_mul_f32_e32 v41, v1, v10
	v_mul_f32_e32 v10, v2, v10
	s_delay_alu instid0(VALU_DEP_2) | instskip(NEXT) | instid1(VALU_DEP_2)
	v_dual_mul_f32 v42, v3, v12 :: v_dual_fmac_f32 v41, v2, v9
	v_fma_f32 v43, v1, v9, -v10
	v_mul_f32_e32 v1, v4, v12
	s_delay_alu instid0(VALU_DEP_3) | instskip(NEXT) | instid1(VALU_DEP_2)
	v_fmac_f32_e32 v42, v4, v11
	v_fma_f32 v44, v3, v11, -v1
	s_clause 0x1
	scratch_load_b128 v[1:4], off, off offset:240
	scratch_load_b128 v[9:12], off, off offset:256
	s_wait_loadcnt_dscnt 0x100
	v_mul_f32_e32 v169, v5, v2
	v_dual_mul_f32 v2, v6, v2 :: v_dual_mul_f32 v171, v7, v4
	s_delay_alu instid0(VALU_DEP_2) | instskip(NEXT) | instid1(VALU_DEP_2)
	v_fmac_f32_e32 v169, v6, v1
	v_fma_f32 v170, v5, v1, -v2
	v_mul_f32_e32 v1, v8, v4
	s_delay_alu instid0(VALU_DEP_4) | instskip(NEXT) | instid1(VALU_DEP_2)
	v_fmac_f32_e32 v171, v8, v3
	v_fma_f32 v172, v7, v3, -v1
	ds_load_b128 v[1:4], v21 offset:752
	ds_load_b128 v[5:8], v21 offset:768
	s_wait_loadcnt_dscnt 0x1
	v_mul_f32_e32 v173, v1, v10
	v_mul_f32_e32 v175, v3, v12
	s_delay_alu instid0(VALU_DEP_2) | instskip(NEXT) | instid1(VALU_DEP_2)
	v_fmac_f32_e32 v173, v2, v9
	v_dual_mul_f32 v2, v2, v10 :: v_dual_fmac_f32 v175, v4, v11
	s_delay_alu instid0(VALU_DEP_1) | instskip(SKIP_1) | instid1(VALU_DEP_1)
	v_fma_f32 v174, v1, v9, -v2
	v_mul_f32_e32 v1, v4, v12
	v_fma_f32 v176, v3, v11, -v1
	s_clause 0x1
	scratch_load_b128 v[1:4], off, off offset:272
	scratch_load_b128 v[9:12], off, off offset:288
	s_wait_loadcnt_dscnt 0x100
	v_mul_f32_e32 v177, v5, v2
	v_dual_mul_f32 v2, v6, v2 :: v_dual_mul_f32 v179, v7, v4
	s_delay_alu instid0(VALU_DEP_2) | instskip(NEXT) | instid1(VALU_DEP_2)
	v_fmac_f32_e32 v177, v6, v1
	v_fma_f32 v178, v5, v1, -v2
	v_mul_f32_e32 v1, v8, v4
	s_delay_alu instid0(VALU_DEP_4) | instskip(NEXT) | instid1(VALU_DEP_2)
	v_fmac_f32_e32 v179, v8, v3
	v_fma_f32 v180, v7, v3, -v1
	ds_load_b128 v[1:4], v21 offset:784
	ds_load_b128 v[5:8], v21 offset:800
	s_wait_loadcnt_dscnt 0x1
	v_mul_f32_e32 v181, v1, v10
	v_mul_f32_e32 v183, v3, v12
	s_delay_alu instid0(VALU_DEP_2) | instskip(NEXT) | instid1(VALU_DEP_2)
	v_fmac_f32_e32 v181, v2, v9
	v_dual_mul_f32 v2, v2, v10 :: v_dual_fmac_f32 v183, v4, v11
	s_delay_alu instid0(VALU_DEP_1) | instskip(SKIP_1) | instid1(VALU_DEP_1)
	v_fma_f32 v182, v1, v9, -v2
	v_mul_f32_e32 v1, v4, v12
	;; [unrolled: 25-line block ×5, first 2 shown]
	v_fma_f32 v208, v3, v11, -v1
	s_clause 0x1
	scratch_load_b128 v[1:4], off, off offset:400
	scratch_load_b128 v[9:12], off, off offset:416
	s_wait_loadcnt_dscnt 0x100
	v_mul_f32_e32 v209, v5, v2
	v_mul_f32_e32 v2, v6, v2
	s_delay_alu instid0(VALU_DEP_1) | instskip(SKIP_1) | instid1(VALU_DEP_1)
	v_fma_f32 v210, v5, v1, -v2
	v_add_f32_e32 v2, 0, v38
	v_add_f32_e32 v2, v2, v39
	s_delay_alu instid0(VALU_DEP_1) | instskip(NEXT) | instid1(VALU_DEP_1)
	v_add_f32_e32 v2, v2, v24
	v_add_f32_e32 v2, v2, v25
	s_delay_alu instid0(VALU_DEP_1) | instskip(NEXT) | instid1(VALU_DEP_1)
	;; [unrolled: 3-line block ×8, first 2 shown]
	v_add_f32_e32 v2, v2, v173
	v_add_f32_e32 v2, v2, v175
	s_delay_alu instid0(VALU_DEP_1) | instskip(SKIP_2) | instid1(VALU_DEP_3)
	v_add_f32_e32 v2, v2, v177
	v_fmac_f32_e32 v209, v6, v1
	v_mul_f32_e32 v1, v8, v4
	v_dual_mul_f32 v211, v7, v4 :: v_dual_add_f32 v2, v2, v179
	s_delay_alu instid0(VALU_DEP_2) | instskip(SKIP_1) | instid1(VALU_DEP_3)
	v_fma_f32 v212, v7, v3, -v1
	v_add_f32_e32 v1, 0, v22
	v_dual_fmac_f32 v211, v8, v3 :: v_dual_add_f32 v2, v2, v181
	s_delay_alu instid0(VALU_DEP_2) | instskip(NEXT) | instid1(VALU_DEP_2)
	v_add_f32_e32 v1, v1, v23
	v_add_f32_e32 v5, v2, v183
	s_delay_alu instid0(VALU_DEP_2) | instskip(NEXT) | instid1(VALU_DEP_1)
	v_add_f32_e32 v1, v1, v26
	v_add_f32_e32 v1, v1, v27
	s_delay_alu instid0(VALU_DEP_1) | instskip(NEXT) | instid1(VALU_DEP_1)
	v_add_f32_e32 v1, v1, v28
	v_add_f32_e32 v1, v1, v29
	s_delay_alu instid0(VALU_DEP_1) | instskip(SKIP_1) | instid1(VALU_DEP_2)
	v_add_f32_e32 v1, v1, v13
	v_add_f32_e32 v13, v5, v185
	;; [unrolled: 1-line block ×3, first 2 shown]
	s_delay_alu instid0(VALU_DEP_2) | instskip(NEXT) | instid1(VALU_DEP_2)
	v_add_f32_e32 v13, v13, v187
	v_add_f32_e32 v1, v1, v16
	s_delay_alu instid0(VALU_DEP_1) | instskip(NEXT) | instid1(VALU_DEP_1)
	v_add_f32_e32 v1, v1, v17
	v_add_f32_e32 v1, v1, v32
	s_delay_alu instid0(VALU_DEP_1) | instskip(NEXT) | instid1(VALU_DEP_1)
	;; [unrolled: 3-line block ×7, first 2 shown]
	v_add_f32_e32 v1, v1, v184
	v_add_f32_e32 v6, v1, v186
	ds_load_b128 v[1:4], v21 offset:912
	v_dual_add_f32 v13, v13, v189 :: v_dual_add_f32 v14, v6, v188
	scratch_load_b128 v[5:8], off, off offset:432
	v_add_f32_e32 v18, v13, v191
	v_add_f32_e32 v14, v14, v190
	s_delay_alu instid0(VALU_DEP_2) | instskip(NEXT) | instid1(VALU_DEP_2)
	v_add_f32_e32 v18, v18, v193
	v_add_f32_e32 v17, v14, v192
	ds_load_b128 v[13:16], v21 offset:928
	v_dual_add_f32 v18, v18, v195 :: v_dual_add_f32 v17, v17, v194
	s_wait_loadcnt_dscnt 0x101
	v_mul_f32_e32 v25, v1, v10
	v_mul_f32_e32 v10, v2, v10
	;; [unrolled: 1-line block ×4, first 2 shown]
	v_add_f32_e32 v17, v17, v196
	v_fmac_f32_e32 v25, v2, v9
	v_fma_f32 v27, v1, v9, -v10
	v_fmac_f32_e32 v26, v4, v11
	v_fma_f32 v28, v3, v11, -v12
	s_clause 0x1
	scratch_load_b128 v[1:4], off, off offset:448
	scratch_load_b128 v[9:12], off, off offset:464
	v_dual_add_f32 v17, v17, v198 :: v_dual_add_f32 v22, v18, v197
	s_delay_alu instid0(VALU_DEP_1) | instskip(SKIP_2) | instid1(VALU_DEP_1)
	v_add_f32_e32 v23, v17, v200
	scratch_load_b128 v[17:20], off, off offset:480
	v_dual_add_f32 v22, v22, v199 :: v_dual_add_f32 v23, v23, v202
	v_dual_add_f32 v22, v22, v201 :: v_dual_add_f32 v23, v23, v204
	s_wait_loadcnt_dscnt 0x300
	v_mul_f32_e32 v29, v13, v6
	v_mul_f32_e32 v6, v14, v6
	;; [unrolled: 1-line block ×3, first 2 shown]
	s_delay_alu instid0(VALU_DEP_3) | instskip(NEXT) | instid1(VALU_DEP_3)
	v_dual_mul_f32 v8, v16, v8 :: v_dual_fmac_f32 v29, v14, v5
	v_fma_f32 v31, v13, v5, -v6
	v_dual_add_f32 v13, v22, v203 :: v_dual_add_f32 v22, v23, v206
	s_delay_alu instid0(VALU_DEP_4) | instskip(NEXT) | instid1(VALU_DEP_4)
	v_fmac_f32_e32 v30, v16, v7
	v_fma_f32 v32, v15, v7, -v8
	ds_load_b128 v[5:8], v21 offset:944
	v_add_f32_e32 v23, v13, v205
	v_add_f32_e32 v33, v22, v208
	ds_load_b128 v[13:16], v21 offset:960
	v_dual_add_f32 v34, v23, v207 :: v_dual_add_f32 v33, v33, v210
	ds_load_b128 v[21:24], v21 offset:976
	v_dual_add_f32 v34, v34, v209 :: v_dual_add_f32 v33, v33, v212
	s_delay_alu instid0(VALU_DEP_1) | instskip(NEXT) | instid1(VALU_DEP_2)
	v_add_f32_e32 v34, v34, v211
	v_add_f32_e32 v27, v33, v27
	s_wait_loadcnt_dscnt 0x202
	s_delay_alu instid0(VALU_DEP_2) | instskip(NEXT) | instid1(VALU_DEP_2)
	v_dual_mul_f32 v38, v5, v2 :: v_dual_add_f32 v25, v34, v25
	v_dual_add_f32 v27, v27, v28 :: v_dual_mul_f32 v2, v6, v2
	v_mul_f32_e32 v33, v7, v4
	s_delay_alu instid0(VALU_DEP_3) | instskip(NEXT) | instid1(VALU_DEP_3)
	v_dual_mul_f32 v4, v8, v4 :: v_dual_add_f32 v25, v25, v26
	v_add_f32_e32 v27, v27, v31
	s_delay_alu instid0(VALU_DEP_4)
	v_fma_f32 v2, v5, v1, -v2
	v_fmac_f32_e32 v38, v6, v1
	s_wait_loadcnt_dscnt 0x101
	v_mul_f32_e32 v34, v13, v10
	v_add_f32_e32 v25, v25, v29
	v_dual_add_f32 v1, v27, v32 :: v_dual_mul_f32 v6, v14, v10
	v_fmac_f32_e32 v33, v8, v3
	v_fma_f32 v3, v7, v3, -v4
	s_delay_alu instid0(VALU_DEP_4) | instskip(NEXT) | instid1(VALU_DEP_4)
	v_add_f32_e32 v5, v25, v30
	v_add_f32_e32 v1, v1, v2
	v_mul_f32_e32 v39, v15, v12
	v_mul_f32_e32 v4, v16, v12
	v_fmac_f32_e32 v34, v14, v9
	v_add_f32_e32 v2, v5, v38
	v_fma_f32 v5, v13, v9, -v6
	v_add_f32_e32 v1, v1, v3
	s_wait_loadcnt_dscnt 0x0
	v_mul_f32_e32 v26, v21, v18
	v_mul_f32_e32 v3, v22, v18
	v_dual_add_f32 v2, v2, v33 :: v_dual_fmac_f32 v39, v16, v11
	v_fma_f32 v4, v15, v11, -v4
	v_dual_add_f32 v1, v1, v5 :: v_dual_mul_f32 v28, v23, v20
	s_delay_alu instid0(VALU_DEP_3) | instskip(SKIP_2) | instid1(VALU_DEP_3)
	v_dual_add_f32 v2, v2, v34 :: v_dual_mul_f32 v5, v24, v20
	v_fmac_f32_e32 v26, v22, v17
	v_fma_f32 v3, v21, v17, -v3
	v_dual_add_f32 v1, v1, v4 :: v_dual_add_f32 v2, v2, v39
	v_fmac_f32_e32 v28, v24, v19
	v_fma_f32 v4, v23, v19, -v5
	s_delay_alu instid0(VALU_DEP_3) | instskip(NEXT) | instid1(VALU_DEP_1)
	v_dual_add_f32 v1, v1, v3 :: v_dual_add_f32 v2, v2, v26
	v_add_f32_e32 v1, v1, v4
	s_delay_alu instid0(VALU_DEP_1) | instskip(NEXT) | instid1(VALU_DEP_1)
	v_dual_add_f32 v2, v2, v28 :: v_dual_sub_f32 v1, v36, v1
	v_sub_f32_e32 v2, v37, v2
	scratch_store_b64 off, v[1:2], off offset:120
	v_cmpx_lt_u32_e32 14, v0
	s_cbranch_execz .LBB61_357
; %bb.356:
	scratch_load_b64 v[1:2], off, off offset:112
	v_mov_b32_e32 v3, 0
	s_delay_alu instid0(VALU_DEP_1)
	v_mov_b32_e32 v4, v3
	scratch_store_b64 off, v[3:4], off offset:112
	s_wait_loadcnt 0x0
	ds_store_b64 v35, v[1:2]
.LBB61_357:
	s_wait_alu 0xfffe
	s_or_b32 exec_lo, exec_lo, s0
	s_wait_storecnt_dscnt 0x0
	s_barrier_signal -1
	s_barrier_wait -1
	global_inv scope:SCOPE_SE
	s_clause 0x4
	scratch_load_b128 v[5:8], off, off offset:120
	scratch_load_b128 v[1:4], off, off offset:136
	;; [unrolled: 1-line block ×5, first 2 shown]
	v_mov_b32_e32 v21, 0
	ds_load_2addr_b64 v[22:25], v21 offset0:77 offset1:78
	ds_load_2addr_b64 v[26:29], v21 offset0:79 offset1:80
	;; [unrolled: 1-line block ×3, first 2 shown]
	scratch_load_b64 v[36:37], off, off offset:112
	s_mov_b32 s0, exec_lo
	s_wait_loadcnt_dscnt 0x502
	v_mul_f32_e32 v34, v23, v6
	v_dual_mul_f32 v38, v22, v6 :: v_dual_mul_f32 v39, v24, v8
	v_mul_f32_e32 v6, v25, v8
	s_wait_loadcnt_dscnt 0x300
	v_mul_f32_e32 v40, v32, v12
	v_fma_f32 v22, v22, v5, -v34
	v_dual_fmac_f32 v38, v23, v5 :: v_dual_fmac_f32 v39, v25, v7
	v_fma_f32 v23, v24, v7, -v6
	v_dual_mul_f32 v24, v26, v2 :: v_dual_mul_f32 v25, v28, v4
	v_mul_f32_e32 v2, v27, v2
	v_mul_f32_e32 v4, v29, v4
	ds_load_2addr_b64 v[5:8], v21 offset0:83 offset1:84
	v_mul_f32_e32 v34, v30, v10
	v_dual_fmac_f32 v24, v27, v1 :: v_dual_fmac_f32 v25, v29, v3
	v_fma_f32 v26, v26, v1, -v2
	v_fma_f32 v27, v28, v3, -v4
	v_mul_f32_e32 v12, v33, v12
	scratch_load_b128 v[1:4], off, off offset:200
	v_mul_f32_e32 v10, v31, v10
	v_fmac_f32_e32 v34, v31, v9
	v_fmac_f32_e32 v40, v33, v11
	v_fma_f32 v29, v32, v11, -v12
	s_delay_alu instid0(VALU_DEP_4)
	v_fma_f32 v28, v30, v9, -v10
	ds_load_2addr_b64 v[9:12], v21 offset0:85 offset1:86
	s_wait_loadcnt_dscnt 0x301
	v_mul_f32_e32 v30, v5, v14
	v_dual_mul_f32 v14, v6, v14 :: v_dual_mul_f32 v31, v7, v16
	v_mul_f32_e32 v16, v8, v16
	s_delay_alu instid0(VALU_DEP_3) | instskip(NEXT) | instid1(VALU_DEP_3)
	v_fmac_f32_e32 v30, v6, v13
	v_fma_f32 v13, v5, v13, -v14
	s_delay_alu instid0(VALU_DEP_4) | instskip(NEXT) | instid1(VALU_DEP_4)
	v_fmac_f32_e32 v31, v8, v15
	v_fma_f32 v14, v7, v15, -v16
	ds_load_2addr_b64 v[5:8], v21 offset0:87 offset1:88
	s_wait_loadcnt_dscnt 0x201
	v_mul_f32_e32 v15, v9, v18
	v_mul_f32_e32 v16, v10, v18
	;; [unrolled: 1-line block ×3, first 2 shown]
	s_delay_alu instid0(VALU_DEP_3) | instskip(NEXT) | instid1(VALU_DEP_3)
	v_dual_mul_f32 v20, v12, v20 :: v_dual_fmac_f32 v15, v10, v17
	v_fma_f32 v16, v9, v17, -v16
	s_delay_alu instid0(VALU_DEP_3) | instskip(NEXT) | instid1(VALU_DEP_3)
	v_fmac_f32_e32 v18, v12, v19
	v_fma_f32 v17, v11, v19, -v20
	scratch_load_b128 v[9:12], off, off offset:216
	s_wait_loadcnt_dscnt 0x100
	v_mul_f32_e32 v19, v5, v2
	v_mul_f32_e32 v2, v6, v2
	;; [unrolled: 1-line block ×3, first 2 shown]
	s_delay_alu instid0(VALU_DEP_3) | instskip(NEXT) | instid1(VALU_DEP_3)
	v_dual_mul_f32 v4, v8, v4 :: v_dual_fmac_f32 v19, v6, v1
	v_fma_f32 v32, v5, v1, -v2
	s_delay_alu instid0(VALU_DEP_3) | instskip(NEXT) | instid1(VALU_DEP_3)
	v_fmac_f32_e32 v20, v8, v3
	v_fma_f32 v33, v7, v3, -v4
	ds_load_2addr_b64 v[1:4], v21 offset0:89 offset1:90
	ds_load_2addr_b64 v[5:8], v21 offset0:91 offset1:92
	s_wait_loadcnt_dscnt 0x1
	v_mul_f32_e32 v41, v1, v10
	v_mul_f32_e32 v10, v2, v10
	s_delay_alu instid0(VALU_DEP_2) | instskip(NEXT) | instid1(VALU_DEP_2)
	v_dual_mul_f32 v42, v3, v12 :: v_dual_fmac_f32 v41, v2, v9
	v_fma_f32 v43, v1, v9, -v10
	v_mul_f32_e32 v1, v4, v12
	s_delay_alu instid0(VALU_DEP_3) | instskip(NEXT) | instid1(VALU_DEP_2)
	v_fmac_f32_e32 v42, v4, v11
	v_fma_f32 v44, v3, v11, -v1
	s_clause 0x1
	scratch_load_b128 v[1:4], off, off offset:232
	scratch_load_b128 v[9:12], off, off offset:248
	s_wait_loadcnt_dscnt 0x100
	v_mul_f32_e32 v169, v5, v2
	v_dual_mul_f32 v2, v6, v2 :: v_dual_mul_f32 v171, v7, v4
	s_delay_alu instid0(VALU_DEP_2) | instskip(NEXT) | instid1(VALU_DEP_2)
	v_fmac_f32_e32 v169, v6, v1
	v_fma_f32 v170, v5, v1, -v2
	v_mul_f32_e32 v1, v8, v4
	s_delay_alu instid0(VALU_DEP_4) | instskip(NEXT) | instid1(VALU_DEP_2)
	v_fmac_f32_e32 v171, v8, v3
	v_fma_f32 v172, v7, v3, -v1
	ds_load_2addr_b64 v[1:4], v21 offset0:93 offset1:94
	ds_load_2addr_b64 v[5:8], v21 offset0:95 offset1:96
	s_wait_loadcnt_dscnt 0x1
	v_mul_f32_e32 v173, v1, v10
	v_mul_f32_e32 v175, v3, v12
	s_delay_alu instid0(VALU_DEP_2) | instskip(NEXT) | instid1(VALU_DEP_2)
	v_fmac_f32_e32 v173, v2, v9
	v_dual_mul_f32 v2, v2, v10 :: v_dual_fmac_f32 v175, v4, v11
	s_delay_alu instid0(VALU_DEP_1) | instskip(SKIP_1) | instid1(VALU_DEP_1)
	v_fma_f32 v174, v1, v9, -v2
	v_mul_f32_e32 v1, v4, v12
	v_fma_f32 v176, v3, v11, -v1
	s_clause 0x1
	scratch_load_b128 v[1:4], off, off offset:264
	scratch_load_b128 v[9:12], off, off offset:280
	s_wait_loadcnt_dscnt 0x100
	v_mul_f32_e32 v177, v5, v2
	v_dual_mul_f32 v2, v6, v2 :: v_dual_mul_f32 v179, v7, v4
	s_delay_alu instid0(VALU_DEP_2) | instskip(NEXT) | instid1(VALU_DEP_2)
	v_fmac_f32_e32 v177, v6, v1
	v_fma_f32 v178, v5, v1, -v2
	v_mul_f32_e32 v1, v8, v4
	s_delay_alu instid0(VALU_DEP_4) | instskip(NEXT) | instid1(VALU_DEP_2)
	v_fmac_f32_e32 v179, v8, v3
	v_fma_f32 v180, v7, v3, -v1
	ds_load_2addr_b64 v[1:4], v21 offset0:97 offset1:98
	ds_load_2addr_b64 v[5:8], v21 offset0:99 offset1:100
	s_wait_loadcnt_dscnt 0x1
	v_mul_f32_e32 v181, v1, v10
	v_mul_f32_e32 v183, v3, v12
	s_delay_alu instid0(VALU_DEP_2) | instskip(NEXT) | instid1(VALU_DEP_2)
	v_fmac_f32_e32 v181, v2, v9
	v_dual_mul_f32 v2, v2, v10 :: v_dual_fmac_f32 v183, v4, v11
	s_delay_alu instid0(VALU_DEP_1) | instskip(SKIP_1) | instid1(VALU_DEP_1)
	v_fma_f32 v182, v1, v9, -v2
	v_mul_f32_e32 v1, v4, v12
	v_fma_f32 v184, v3, v11, -v1
	s_clause 0x1
	scratch_load_b128 v[1:4], off, off offset:296
	scratch_load_b128 v[9:12], off, off offset:312
	s_wait_loadcnt_dscnt 0x100
	v_mul_f32_e32 v185, v5, v2
	v_dual_mul_f32 v2, v6, v2 :: v_dual_mul_f32 v187, v7, v4
	s_delay_alu instid0(VALU_DEP_1) | instskip(NEXT) | instid1(VALU_DEP_3)
	v_fma_f32 v186, v5, v1, -v2
	v_fmac_f32_e32 v185, v6, v1
	v_mul_f32_e32 v1, v8, v4
	s_delay_alu instid0(VALU_DEP_4) | instskip(NEXT) | instid1(VALU_DEP_2)
	v_fmac_f32_e32 v187, v8, v3
	v_fma_f32 v188, v7, v3, -v1
	ds_load_2addr_b64 v[1:4], v21 offset0:101 offset1:102
	ds_load_2addr_b64 v[5:8], v21 offset0:103 offset1:104
	s_wait_loadcnt_dscnt 0x1
	v_mul_f32_e32 v189, v1, v10
	v_mul_f32_e32 v191, v3, v12
	s_delay_alu instid0(VALU_DEP_1) | instskip(NEXT) | instid1(VALU_DEP_3)
	v_fmac_f32_e32 v191, v4, v11
	v_fmac_f32_e32 v189, v2, v9
	v_mul_f32_e32 v2, v2, v10
	s_delay_alu instid0(VALU_DEP_1) | instskip(SKIP_1) | instid1(VALU_DEP_1)
	v_fma_f32 v190, v1, v9, -v2
	v_mul_f32_e32 v1, v4, v12
	v_fma_f32 v192, v3, v11, -v1
	s_clause 0x1
	scratch_load_b128 v[1:4], off, off offset:328
	scratch_load_b128 v[9:12], off, off offset:344
	s_wait_loadcnt_dscnt 0x100
	v_mul_f32_e32 v193, v5, v2
	v_dual_mul_f32 v2, v6, v2 :: v_dual_mul_f32 v195, v7, v4
	s_delay_alu instid0(VALU_DEP_2) | instskip(NEXT) | instid1(VALU_DEP_2)
	v_fmac_f32_e32 v193, v6, v1
	v_fma_f32 v194, v5, v1, -v2
	v_mul_f32_e32 v1, v8, v4
	s_delay_alu instid0(VALU_DEP_4) | instskip(NEXT) | instid1(VALU_DEP_2)
	v_fmac_f32_e32 v195, v8, v3
	v_fma_f32 v196, v7, v3, -v1
	ds_load_2addr_b64 v[1:4], v21 offset0:105 offset1:106
	ds_load_2addr_b64 v[5:8], v21 offset0:107 offset1:108
	s_wait_loadcnt_dscnt 0x1
	v_mul_f32_e32 v197, v1, v10
	v_mul_f32_e32 v199, v3, v12
	s_delay_alu instid0(VALU_DEP_2) | instskip(NEXT) | instid1(VALU_DEP_2)
	v_fmac_f32_e32 v197, v2, v9
	v_dual_mul_f32 v2, v2, v10 :: v_dual_fmac_f32 v199, v4, v11
	s_delay_alu instid0(VALU_DEP_1) | instskip(SKIP_1) | instid1(VALU_DEP_1)
	v_fma_f32 v198, v1, v9, -v2
	v_mul_f32_e32 v1, v4, v12
	v_fma_f32 v200, v3, v11, -v1
	s_clause 0x1
	scratch_load_b128 v[1:4], off, off offset:360
	scratch_load_b128 v[9:12], off, off offset:376
	s_wait_loadcnt_dscnt 0x100
	v_mul_f32_e32 v201, v5, v2
	v_dual_mul_f32 v2, v6, v2 :: v_dual_mul_f32 v203, v7, v4
	s_delay_alu instid0(VALU_DEP_2) | instskip(NEXT) | instid1(VALU_DEP_2)
	v_fmac_f32_e32 v201, v6, v1
	v_fma_f32 v202, v5, v1, -v2
	v_mul_f32_e32 v1, v8, v4
	s_delay_alu instid0(VALU_DEP_4) | instskip(NEXT) | instid1(VALU_DEP_2)
	v_fmac_f32_e32 v203, v8, v3
	v_fma_f32 v204, v7, v3, -v1
	ds_load_2addr_b64 v[1:4], v21 offset0:109 offset1:110
	ds_load_2addr_b64 v[5:8], v21 offset0:111 offset1:112
	s_wait_loadcnt_dscnt 0x1
	v_mul_f32_e32 v205, v1, v10
	v_mul_f32_e32 v207, v3, v12
	s_delay_alu instid0(VALU_DEP_2) | instskip(NEXT) | instid1(VALU_DEP_2)
	v_fmac_f32_e32 v205, v2, v9
	v_dual_mul_f32 v2, v2, v10 :: v_dual_fmac_f32 v207, v4, v11
	s_delay_alu instid0(VALU_DEP_1) | instskip(SKIP_1) | instid1(VALU_DEP_1)
	v_fma_f32 v206, v1, v9, -v2
	v_mul_f32_e32 v1, v4, v12
	v_fma_f32 v208, v3, v11, -v1
	s_clause 0x1
	scratch_load_b128 v[1:4], off, off offset:392
	scratch_load_b128 v[9:12], off, off offset:408
	s_wait_loadcnt_dscnt 0x100
	v_mul_f32_e32 v209, v5, v2
	v_mul_f32_e32 v2, v6, v2
	s_delay_alu instid0(VALU_DEP_1) | instskip(SKIP_1) | instid1(VALU_DEP_1)
	v_fma_f32 v210, v5, v1, -v2
	v_add_f32_e32 v2, 0, v38
	v_add_f32_e32 v2, v2, v39
	s_delay_alu instid0(VALU_DEP_1) | instskip(NEXT) | instid1(VALU_DEP_1)
	v_add_f32_e32 v2, v2, v24
	v_add_f32_e32 v2, v2, v25
	s_delay_alu instid0(VALU_DEP_1) | instskip(NEXT) | instid1(VALU_DEP_1)
	;; [unrolled: 3-line block ×8, first 2 shown]
	v_add_f32_e32 v2, v2, v173
	v_add_f32_e32 v2, v2, v175
	s_delay_alu instid0(VALU_DEP_1) | instskip(SKIP_2) | instid1(VALU_DEP_3)
	v_add_f32_e32 v2, v2, v177
	v_fmac_f32_e32 v209, v6, v1
	v_mul_f32_e32 v1, v8, v4
	v_dual_mul_f32 v211, v7, v4 :: v_dual_add_f32 v2, v2, v179
	s_delay_alu instid0(VALU_DEP_2) | instskip(SKIP_1) | instid1(VALU_DEP_3)
	v_fma_f32 v212, v7, v3, -v1
	v_add_f32_e32 v1, 0, v22
	v_dual_fmac_f32 v211, v8, v3 :: v_dual_add_f32 v2, v2, v181
	s_delay_alu instid0(VALU_DEP_2) | instskip(NEXT) | instid1(VALU_DEP_2)
	v_add_f32_e32 v1, v1, v23
	v_add_f32_e32 v5, v2, v183
	s_delay_alu instid0(VALU_DEP_2) | instskip(NEXT) | instid1(VALU_DEP_1)
	v_add_f32_e32 v1, v1, v26
	v_add_f32_e32 v1, v1, v27
	scratch_load_b64 v[26:27], off, off offset:488
	v_add_f32_e32 v1, v1, v28
	s_delay_alu instid0(VALU_DEP_1) | instskip(NEXT) | instid1(VALU_DEP_1)
	v_add_f32_e32 v1, v1, v29
	v_add_f32_e32 v1, v1, v13
	s_delay_alu instid0(VALU_DEP_1) | instskip(NEXT) | instid1(VALU_DEP_1)
	v_add_f32_e32 v1, v1, v14
	;; [unrolled: 3-line block ×9, first 2 shown]
	v_add_f32_e32 v6, v1, v186
	scratch_load_b128 v[1:4], off, off offset:424
	v_dual_add_f32 v13, v5, v185 :: v_dual_add_f32 v14, v6, v188
	ds_load_2addr_b64 v[5:8], v21 offset0:113 offset1:114
	v_dual_add_f32 v13, v13, v187 :: v_dual_add_f32 v14, v14, v190
	s_delay_alu instid0(VALU_DEP_1) | instskip(NEXT) | instid1(VALU_DEP_1)
	v_add_f32_e32 v13, v13, v189
	v_dual_add_f32 v17, v14, v192 :: v_dual_add_f32 v18, v13, v191
	ds_load_2addr_b64 v[13:16], v21 offset0:115 offset1:116
	s_wait_loadcnt_dscnt 0x201
	v_mul_f32_e32 v30, v5, v10
	v_dual_add_f32 v18, v18, v193 :: v_dual_mul_f32 v31, v7, v12
	v_mul_f32_e32 v12, v8, v12
	v_mul_f32_e32 v10, v6, v10
	s_delay_alu instid0(VALU_DEP_4) | instskip(NEXT) | instid1(VALU_DEP_4)
	v_fmac_f32_e32 v30, v6, v9
	v_add_f32_e32 v18, v18, v195
	v_fmac_f32_e32 v31, v8, v11
	v_fma_f32 v33, v7, v11, -v12
	v_fma_f32 v32, v5, v9, -v10
	scratch_load_b128 v[5:8], off, off offset:440
	v_add_f32_e32 v22, v18, v197
	scratch_load_b128 v[9:12], off, off offset:456
	v_add_f32_e32 v22, v22, v199
	s_wait_loadcnt_dscnt 0x200
	v_mul_f32_e32 v34, v13, v2
	s_delay_alu instid0(VALU_DEP_2)
	v_add_f32_e32 v22, v22, v201
	v_mul_f32_e32 v2, v14, v2
	v_mul_f32_e32 v38, v15, v4
	;; [unrolled: 1-line block ×3, first 2 shown]
	v_fmac_f32_e32 v34, v14, v1
	v_add_f32_e32 v22, v22, v203
	v_fma_f32 v39, v13, v1, -v2
	v_fmac_f32_e32 v38, v16, v3
	v_fma_f32 v40, v15, v3, -v4
	ds_load_2addr_b64 v[1:4], v21 offset0:117 offset1:118
	v_add_f32_e32 v13, v22, v205
	s_delay_alu instid0(VALU_DEP_1) | instskip(SKIP_1) | instid1(VALU_DEP_2)
	v_add_f32_e32 v22, v13, v207
	v_add_f32_e32 v17, v17, v194
	;; [unrolled: 1-line block ×3, first 2 shown]
	s_delay_alu instid0(VALU_DEP_1) | instskip(NEXT) | instid1(VALU_DEP_1)
	v_add_f32_e32 v42, v29, v211
	v_add_f32_e32 v30, v42, v30
	s_delay_alu instid0(VALU_DEP_1) | instskip(NEXT) | instid1(VALU_DEP_1)
	v_add_f32_e32 v30, v30, v31
	v_add_f32_e32 v30, v30, v34
	s_delay_alu instid0(VALU_DEP_1) | instskip(NEXT) | instid1(VALU_DEP_1)
	v_dual_add_f32 v30, v30, v38 :: v_dual_add_f32 v17, v17, v196
	v_add_f32_e32 v17, v17, v198
	s_delay_alu instid0(VALU_DEP_1) | instskip(SKIP_2) | instid1(VALU_DEP_1)
	v_add_f32_e32 v23, v17, v200
	scratch_load_b128 v[17:20], off, off offset:472
	v_add_f32_e32 v23, v23, v202
	v_add_f32_e32 v23, v23, v204
	s_delay_alu instid0(VALU_DEP_1) | instskip(NEXT) | instid1(VALU_DEP_1)
	v_add_f32_e32 v23, v23, v206
	v_add_f32_e32 v14, v23, v208
	ds_load_2addr_b64 v[22:25], v21 offset0:121 offset1:122
	v_add_f32_e32 v28, v14, v210
	ds_load_2addr_b64 v[13:16], v21 offset0:119 offset1:120
	v_add_f32_e32 v41, v28, v212
	ds_load_b64 v[28:29], v21 offset:984
	v_add_f32_e32 v32, v41, v32
	s_delay_alu instid0(VALU_DEP_1) | instskip(SKIP_1) | instid1(VALU_DEP_1)
	v_add_f32_e32 v32, v32, v33
	s_wait_loadcnt_dscnt 0x101
	v_dual_add_f32 v32, v32, v39 :: v_dual_mul_f32 v33, v13, v10
	v_mul_f32_e32 v34, v15, v12
	s_delay_alu instid0(VALU_DEP_2) | instskip(SKIP_1) | instid1(VALU_DEP_3)
	v_add_f32_e32 v32, v32, v40
	s_wait_dscnt 0x0
	v_dual_mul_f32 v38, v28, v27 :: v_dual_fmac_f32 v33, v14, v9
	s_delay_alu instid0(VALU_DEP_3) | instskip(NEXT) | instid1(VALU_DEP_2)
	v_fmac_f32_e32 v34, v16, v11
	v_dual_fmac_f32 v38, v29, v26 :: v_dual_mul_f32 v31, v3, v8
	v_mul_f32_e32 v8, v4, v8
	s_delay_alu instid0(VALU_DEP_2) | instskip(SKIP_2) | instid1(VALU_DEP_1)
	v_fmac_f32_e32 v31, v4, v7
	s_wait_loadcnt 0x0
	v_dual_mul_f32 v40, v24, v20 :: v_dual_mul_f32 v39, v22, v18
	v_fmac_f32_e32 v40, v25, v19
	v_mul_f32_e32 v41, v1, v6
	s_delay_alu instid0(VALU_DEP_3) | instskip(NEXT) | instid1(VALU_DEP_2)
	v_dual_mul_f32 v6, v2, v6 :: v_dual_fmac_f32 v39, v23, v17
	v_fmac_f32_e32 v41, v2, v5
	s_delay_alu instid0(VALU_DEP_2) | instskip(SKIP_2) | instid1(VALU_DEP_4)
	v_fma_f32 v1, v1, v5, -v6
	v_fma_f32 v2, v3, v7, -v8
	v_mul_f32_e32 v3, v14, v10
	v_dual_mul_f32 v5, v16, v12 :: v_dual_add_f32 v4, v30, v41
	s_delay_alu instid0(VALU_DEP_4) | instskip(NEXT) | instid1(VALU_DEP_3)
	v_add_f32_e32 v1, v32, v1
	v_fma_f32 v3, v13, v9, -v3
	s_delay_alu instid0(VALU_DEP_3) | instskip(NEXT) | instid1(VALU_DEP_3)
	v_fma_f32 v5, v15, v11, -v5
	v_dual_add_f32 v1, v1, v2 :: v_dual_add_f32 v2, v4, v31
	s_delay_alu instid0(VALU_DEP_1) | instskip(NEXT) | instid1(VALU_DEP_2)
	v_dual_mul_f32 v4, v23, v18 :: v_dual_add_f32 v1, v1, v3
	v_dual_add_f32 v2, v2, v33 :: v_dual_mul_f32 v3, v25, v20
	s_delay_alu instid0(VALU_DEP_2) | instskip(NEXT) | instid1(VALU_DEP_2)
	v_fma_f32 v4, v22, v17, -v4
	v_dual_add_f32 v1, v1, v5 :: v_dual_add_f32 v2, v2, v34
	v_mul_f32_e32 v5, v29, v27
	s_delay_alu instid0(VALU_DEP_4) | instskip(NEXT) | instid1(VALU_DEP_3)
	v_fma_f32 v3, v24, v19, -v3
	v_dual_add_f32 v1, v1, v4 :: v_dual_add_f32 v2, v2, v39
	s_delay_alu instid0(VALU_DEP_3) | instskip(NEXT) | instid1(VALU_DEP_2)
	v_fma_f32 v4, v28, v26, -v5
	v_dual_add_f32 v1, v1, v3 :: v_dual_add_f32 v2, v2, v40
	s_delay_alu instid0(VALU_DEP_1) | instskip(NEXT) | instid1(VALU_DEP_1)
	v_dual_add_f32 v1, v1, v4 :: v_dual_add_f32 v2, v2, v38
	v_dual_sub_f32 v1, v36, v1 :: v_dual_sub_f32 v2, v37, v2
	scratch_store_b64 off, v[1:2], off offset:112
	v_cmpx_lt_u32_e32 13, v0
	s_cbranch_execz .LBB61_359
; %bb.358:
	scratch_load_b64 v[1:2], off, off offset:104
	v_mov_b32_e32 v22, v21
	scratch_store_b64 off, v[21:22], off offset:104
	s_wait_loadcnt 0x0
	ds_store_b64 v35, v[1:2]
.LBB61_359:
	s_wait_alu 0xfffe
	s_or_b32 exec_lo, exec_lo, s0
	s_wait_storecnt_dscnt 0x0
	s_barrier_signal -1
	s_barrier_wait -1
	global_inv scope:SCOPE_SE
	s_clause 0x4
	scratch_load_b128 v[5:8], off, off offset:112
	scratch_load_b128 v[1:4], off, off offset:128
	;; [unrolled: 1-line block ×5, first 2 shown]
	ds_load_b128 v[22:25], v21 offset:608
	ds_load_b128 v[26:29], v21 offset:624
	;; [unrolled: 1-line block ×3, first 2 shown]
	scratch_load_b64 v[36:37], off, off offset:104
	s_mov_b32 s0, exec_lo
	s_wait_loadcnt_dscnt 0x502
	v_dual_mul_f32 v34, v23, v6 :: v_dual_mul_f32 v39, v24, v8
	v_mul_f32_e32 v38, v22, v6
	v_mul_f32_e32 v6, v25, v8
	s_wait_loadcnt_dscnt 0x300
	v_mul_f32_e32 v40, v32, v12
	v_fma_f32 v22, v22, v5, -v34
	v_dual_fmac_f32 v39, v25, v7 :: v_dual_fmac_f32 v38, v23, v5
	v_mul_f32_e32 v25, v28, v4
	v_fma_f32 v23, v24, v7, -v6
	ds_load_b128 v[5:8], v21 offset:656
	v_mul_f32_e32 v24, v26, v2
	v_mul_f32_e32 v4, v29, v4
	;; [unrolled: 1-line block ×5, first 2 shown]
	v_dual_mul_f32 v2, v27, v2 :: v_dual_fmac_f32 v25, v29, v3
	v_fmac_f32_e32 v24, v27, v1
	v_fma_f32 v27, v28, v3, -v4
	v_fmac_f32_e32 v34, v31, v9
	v_fma_f32 v28, v30, v9, -v10
	;; [unrolled: 2-line block ×3, first 2 shown]
	ds_load_b128 v[9:12], v21 offset:672
	s_wait_loadcnt_dscnt 0x201
	v_mul_f32_e32 v30, v5, v14
	v_dual_mul_f32 v14, v6, v14 :: v_dual_mul_f32 v31, v7, v16
	v_mul_f32_e32 v16, v8, v16
	s_delay_alu instid0(VALU_DEP_3) | instskip(NEXT) | instid1(VALU_DEP_3)
	v_fmac_f32_e32 v30, v6, v13
	v_fma_f32 v13, v5, v13, -v14
	s_delay_alu instid0(VALU_DEP_4) | instskip(NEXT) | instid1(VALU_DEP_4)
	v_fmac_f32_e32 v31, v8, v15
	v_fma_f32 v14, v7, v15, -v16
	ds_load_b128 v[5:8], v21 offset:688
	s_wait_loadcnt_dscnt 0x101
	v_mul_f32_e32 v15, v9, v18
	v_mul_f32_e32 v16, v10, v18
	;; [unrolled: 1-line block ×3, first 2 shown]
	s_delay_alu instid0(VALU_DEP_3)
	v_dual_mul_f32 v20, v12, v20 :: v_dual_fmac_f32 v15, v10, v17
	v_fma_f32 v26, v26, v1, -v2
	scratch_load_b128 v[1:4], off, off offset:192
	v_fma_f32 v16, v9, v17, -v16
	v_fmac_f32_e32 v18, v12, v19
	v_fma_f32 v17, v11, v19, -v20
	scratch_load_b128 v[9:12], off, off offset:208
	s_wait_loadcnt_dscnt 0x100
	v_mul_f32_e32 v19, v5, v2
	v_mul_f32_e32 v2, v6, v2
	;; [unrolled: 1-line block ×3, first 2 shown]
	s_delay_alu instid0(VALU_DEP_3) | instskip(NEXT) | instid1(VALU_DEP_3)
	v_dual_mul_f32 v4, v8, v4 :: v_dual_fmac_f32 v19, v6, v1
	v_fma_f32 v32, v5, v1, -v2
	s_delay_alu instid0(VALU_DEP_3) | instskip(NEXT) | instid1(VALU_DEP_3)
	v_fmac_f32_e32 v20, v8, v3
	v_fma_f32 v33, v7, v3, -v4
	ds_load_b128 v[1:4], v21 offset:704
	ds_load_b128 v[5:8], v21 offset:720
	s_wait_loadcnt_dscnt 0x1
	v_mul_f32_e32 v41, v1, v10
	v_mul_f32_e32 v10, v2, v10
	s_delay_alu instid0(VALU_DEP_2) | instskip(NEXT) | instid1(VALU_DEP_2)
	v_dual_mul_f32 v42, v3, v12 :: v_dual_fmac_f32 v41, v2, v9
	v_fma_f32 v43, v1, v9, -v10
	v_mul_f32_e32 v1, v4, v12
	s_delay_alu instid0(VALU_DEP_3) | instskip(NEXT) | instid1(VALU_DEP_2)
	v_fmac_f32_e32 v42, v4, v11
	v_fma_f32 v44, v3, v11, -v1
	s_clause 0x1
	scratch_load_b128 v[1:4], off, off offset:224
	scratch_load_b128 v[9:12], off, off offset:240
	s_wait_loadcnt_dscnt 0x100
	v_mul_f32_e32 v169, v5, v2
	v_dual_mul_f32 v2, v6, v2 :: v_dual_mul_f32 v171, v7, v4
	s_delay_alu instid0(VALU_DEP_2) | instskip(NEXT) | instid1(VALU_DEP_2)
	v_fmac_f32_e32 v169, v6, v1
	v_fma_f32 v170, v5, v1, -v2
	v_mul_f32_e32 v1, v8, v4
	s_delay_alu instid0(VALU_DEP_4) | instskip(NEXT) | instid1(VALU_DEP_2)
	v_fmac_f32_e32 v171, v8, v3
	v_fma_f32 v172, v7, v3, -v1
	ds_load_b128 v[1:4], v21 offset:736
	ds_load_b128 v[5:8], v21 offset:752
	s_wait_loadcnt_dscnt 0x1
	v_mul_f32_e32 v173, v1, v10
	v_mul_f32_e32 v175, v3, v12
	s_delay_alu instid0(VALU_DEP_2) | instskip(NEXT) | instid1(VALU_DEP_2)
	v_fmac_f32_e32 v173, v2, v9
	v_dual_mul_f32 v2, v2, v10 :: v_dual_fmac_f32 v175, v4, v11
	s_delay_alu instid0(VALU_DEP_1) | instskip(SKIP_1) | instid1(VALU_DEP_1)
	v_fma_f32 v174, v1, v9, -v2
	v_mul_f32_e32 v1, v4, v12
	v_fma_f32 v176, v3, v11, -v1
	s_clause 0x1
	scratch_load_b128 v[1:4], off, off offset:256
	scratch_load_b128 v[9:12], off, off offset:272
	s_wait_loadcnt_dscnt 0x100
	v_mul_f32_e32 v177, v5, v2
	v_dual_mul_f32 v2, v6, v2 :: v_dual_mul_f32 v179, v7, v4
	s_delay_alu instid0(VALU_DEP_2) | instskip(NEXT) | instid1(VALU_DEP_2)
	v_fmac_f32_e32 v177, v6, v1
	v_fma_f32 v178, v5, v1, -v2
	v_mul_f32_e32 v1, v8, v4
	s_delay_alu instid0(VALU_DEP_4) | instskip(NEXT) | instid1(VALU_DEP_2)
	v_fmac_f32_e32 v179, v8, v3
	v_fma_f32 v180, v7, v3, -v1
	ds_load_b128 v[1:4], v21 offset:768
	ds_load_b128 v[5:8], v21 offset:784
	s_wait_loadcnt_dscnt 0x1
	v_mul_f32_e32 v181, v1, v10
	v_mul_f32_e32 v183, v3, v12
	s_delay_alu instid0(VALU_DEP_2) | instskip(NEXT) | instid1(VALU_DEP_2)
	v_fmac_f32_e32 v181, v2, v9
	v_dual_mul_f32 v2, v2, v10 :: v_dual_fmac_f32 v183, v4, v11
	s_delay_alu instid0(VALU_DEP_1) | instskip(SKIP_1) | instid1(VALU_DEP_1)
	v_fma_f32 v182, v1, v9, -v2
	v_mul_f32_e32 v1, v4, v12
	;; [unrolled: 25-line block ×3, first 2 shown]
	v_fma_f32 v192, v3, v11, -v1
	s_clause 0x1
	scratch_load_b128 v[1:4], off, off offset:320
	scratch_load_b128 v[9:12], off, off offset:336
	s_wait_loadcnt_dscnt 0x100
	v_mul_f32_e32 v193, v5, v2
	v_dual_mul_f32 v2, v6, v2 :: v_dual_mul_f32 v195, v7, v4
	s_delay_alu instid0(VALU_DEP_1) | instskip(NEXT) | instid1(VALU_DEP_2)
	v_fma_f32 v194, v5, v1, -v2
	v_fmac_f32_e32 v195, v8, v3
	s_delay_alu instid0(VALU_DEP_4) | instskip(SKIP_1) | instid1(VALU_DEP_1)
	v_fmac_f32_e32 v193, v6, v1
	v_mul_f32_e32 v1, v8, v4
	v_fma_f32 v196, v7, v3, -v1
	ds_load_b128 v[1:4], v21 offset:832
	ds_load_b128 v[5:8], v21 offset:848
	s_wait_loadcnt_dscnt 0x1
	v_mul_f32_e32 v197, v1, v10
	v_mul_f32_e32 v199, v3, v12
	s_delay_alu instid0(VALU_DEP_2) | instskip(NEXT) | instid1(VALU_DEP_2)
	v_fmac_f32_e32 v197, v2, v9
	v_dual_mul_f32 v2, v2, v10 :: v_dual_fmac_f32 v199, v4, v11
	s_delay_alu instid0(VALU_DEP_1) | instskip(SKIP_1) | instid1(VALU_DEP_1)
	v_fma_f32 v198, v1, v9, -v2
	v_mul_f32_e32 v1, v4, v12
	v_fma_f32 v200, v3, v11, -v1
	s_clause 0x1
	scratch_load_b128 v[1:4], off, off offset:352
	scratch_load_b128 v[9:12], off, off offset:368
	s_wait_loadcnt_dscnt 0x100
	v_mul_f32_e32 v201, v5, v2
	v_dual_mul_f32 v2, v6, v2 :: v_dual_mul_f32 v203, v7, v4
	s_delay_alu instid0(VALU_DEP_2) | instskip(NEXT) | instid1(VALU_DEP_2)
	v_fmac_f32_e32 v201, v6, v1
	v_fma_f32 v202, v5, v1, -v2
	v_mul_f32_e32 v1, v8, v4
	s_delay_alu instid0(VALU_DEP_4) | instskip(NEXT) | instid1(VALU_DEP_2)
	v_fmac_f32_e32 v203, v8, v3
	v_fma_f32 v204, v7, v3, -v1
	ds_load_b128 v[1:4], v21 offset:864
	ds_load_b128 v[5:8], v21 offset:880
	s_wait_loadcnt_dscnt 0x1
	v_mul_f32_e32 v205, v1, v10
	v_mul_f32_e32 v207, v3, v12
	s_delay_alu instid0(VALU_DEP_2) | instskip(NEXT) | instid1(VALU_DEP_2)
	v_fmac_f32_e32 v205, v2, v9
	v_dual_mul_f32 v2, v2, v10 :: v_dual_fmac_f32 v207, v4, v11
	s_delay_alu instid0(VALU_DEP_1) | instskip(SKIP_1) | instid1(VALU_DEP_1)
	v_fma_f32 v206, v1, v9, -v2
	v_mul_f32_e32 v1, v4, v12
	v_fma_f32 v208, v3, v11, -v1
	s_clause 0x1
	scratch_load_b128 v[1:4], off, off offset:384
	scratch_load_b128 v[9:12], off, off offset:400
	s_wait_loadcnt_dscnt 0x100
	v_mul_f32_e32 v209, v5, v2
	v_dual_mul_f32 v2, v6, v2 :: v_dual_mul_f32 v211, v7, v4
	s_delay_alu instid0(VALU_DEP_2) | instskip(NEXT) | instid1(VALU_DEP_2)
	v_fmac_f32_e32 v209, v6, v1
	v_fma_f32 v210, v5, v1, -v2
	v_mul_f32_e32 v1, v8, v4
	s_delay_alu instid0(VALU_DEP_4) | instskip(NEXT) | instid1(VALU_DEP_2)
	v_fmac_f32_e32 v211, v8, v3
	v_fma_f32 v212, v7, v3, -v1
	ds_load_b128 v[1:4], v21 offset:896
	ds_load_b128 v[5:8], v21 offset:912
	s_wait_loadcnt_dscnt 0x1
	v_mul_f32_e32 v213, v1, v10
	v_mul_f32_e32 v215, v3, v12
	s_delay_alu instid0(VALU_DEP_2) | instskip(NEXT) | instid1(VALU_DEP_2)
	v_fmac_f32_e32 v213, v2, v9
	v_dual_mul_f32 v2, v2, v10 :: v_dual_fmac_f32 v215, v4, v11
	s_delay_alu instid0(VALU_DEP_1) | instskip(SKIP_1) | instid1(VALU_DEP_1)
	v_fma_f32 v214, v1, v9, -v2
	v_mul_f32_e32 v1, v4, v12
	v_fma_f32 v216, v3, v11, -v1
	s_clause 0x1
	scratch_load_b128 v[1:4], off, off offset:416
	scratch_load_b128 v[9:12], off, off offset:432
	s_wait_loadcnt_dscnt 0x100
	v_mul_f32_e32 v217, v5, v2
	v_mul_f32_e32 v2, v6, v2
	s_delay_alu instid0(VALU_DEP_2) | instskip(NEXT) | instid1(VALU_DEP_2)
	v_fmac_f32_e32 v217, v6, v1
	v_fma_f32 v218, v5, v1, -v2
	v_add_f32_e32 v2, 0, v38
	s_delay_alu instid0(VALU_DEP_1) | instskip(NEXT) | instid1(VALU_DEP_1)
	v_add_f32_e32 v2, v2, v39
	v_add_f32_e32 v2, v2, v24
	s_delay_alu instid0(VALU_DEP_1) | instskip(NEXT) | instid1(VALU_DEP_1)
	v_add_f32_e32 v2, v2, v25
	;; [unrolled: 3-line block ×3, first 2 shown]
	v_dual_add_f32 v2, v2, v30 :: v_dual_mul_f32 v1, v8, v4
	s_delay_alu instid0(VALU_DEP_1) | instskip(NEXT) | instid1(VALU_DEP_2)
	v_add_f32_e32 v2, v2, v31
	v_fma_f32 v220, v7, v3, -v1
	s_delay_alu instid0(VALU_DEP_2) | instskip(NEXT) | instid1(VALU_DEP_1)
	v_dual_add_f32 v1, 0, v22 :: v_dual_add_f32 v2, v2, v15
	v_dual_add_f32 v1, v1, v23 :: v_dual_add_f32 v2, v2, v18
	s_delay_alu instid0(VALU_DEP_1) | instskip(NEXT) | instid1(VALU_DEP_1)
	v_dual_add_f32 v1, v1, v26 :: v_dual_add_f32 v2, v2, v19
	v_dual_add_f32 v1, v1, v27 :: v_dual_add_f32 v2, v2, v20
	s_delay_alu instid0(VALU_DEP_1) | instskip(NEXT) | instid1(VALU_DEP_1)
	v_add_f32_e32 v2, v2, v41
	v_add_f32_e32 v2, v2, v42
	s_delay_alu instid0(VALU_DEP_1) | instskip(NEXT) | instid1(VALU_DEP_1)
	v_add_f32_e32 v2, v2, v169
	v_add_f32_e32 v2, v2, v171
	;; [unrolled: 3-line block ×5, first 2 shown]
	s_delay_alu instid0(VALU_DEP_1) | instskip(NEXT) | instid1(VALU_DEP_1)
	v_dual_add_f32 v2, v2, v185 :: v_dual_add_f32 v1, v1, v28
	v_dual_add_f32 v2, v2, v187 :: v_dual_add_f32 v1, v1, v29
	s_delay_alu instid0(VALU_DEP_1) | instskip(NEXT) | instid1(VALU_DEP_1)
	v_add_f32_e32 v1, v1, v13
	v_add_f32_e32 v1, v1, v14
	s_delay_alu instid0(VALU_DEP_1) | instskip(NEXT) | instid1(VALU_DEP_1)
	v_add_f32_e32 v1, v1, v16
	v_add_f32_e32 v1, v1, v17
	s_delay_alu instid0(VALU_DEP_1) | instskip(NEXT) | instid1(VALU_DEP_1)
	v_add_f32_e32 v1, v1, v32
	v_add_f32_e32 v1, v1, v33
	s_delay_alu instid0(VALU_DEP_1) | instskip(NEXT) | instid1(VALU_DEP_1)
	v_add_f32_e32 v1, v1, v43
	v_add_f32_e32 v1, v1, v44
	s_delay_alu instid0(VALU_DEP_1) | instskip(NEXT) | instid1(VALU_DEP_1)
	v_add_f32_e32 v1, v1, v170
	v_add_f32_e32 v1, v1, v172
	s_delay_alu instid0(VALU_DEP_1) | instskip(NEXT) | instid1(VALU_DEP_1)
	v_add_f32_e32 v1, v1, v174
	v_add_f32_e32 v1, v1, v176
	s_delay_alu instid0(VALU_DEP_1) | instskip(NEXT) | instid1(VALU_DEP_1)
	v_add_f32_e32 v1, v1, v178
	v_add_f32_e32 v1, v1, v180
	s_delay_alu instid0(VALU_DEP_1) | instskip(NEXT) | instid1(VALU_DEP_1)
	v_add_f32_e32 v1, v1, v182
	v_add_f32_e32 v1, v1, v184
	s_delay_alu instid0(VALU_DEP_1) | instskip(NEXT) | instid1(VALU_DEP_1)
	v_add_f32_e32 v1, v1, v186
	v_add_f32_e32 v1, v1, v188
	s_delay_alu instid0(VALU_DEP_1) | instskip(NEXT) | instid1(VALU_DEP_1)
	v_add_f32_e32 v1, v1, v190
	v_add_f32_e32 v6, v1, v192
	v_mul_f32_e32 v219, v7, v4
	v_add_f32_e32 v5, v2, v189
	s_delay_alu instid0(VALU_DEP_2) | instskip(SKIP_3) | instid1(VALU_DEP_2)
	v_dual_add_f32 v6, v6, v194 :: v_dual_fmac_f32 v219, v8, v3
	ds_load_b128 v[1:4], v21 offset:928
	v_add_f32_e32 v5, v5, v191
	v_add_f32_e32 v13, v6, v196
	;; [unrolled: 1-line block ×3, first 2 shown]
	s_delay_alu instid0(VALU_DEP_2) | instskip(NEXT) | instid1(VALU_DEP_2)
	v_add_f32_e32 v13, v13, v198
	v_add_f32_e32 v14, v5, v195
	ds_load_b128 v[5:8], v21 offset:944
	v_add_f32_e32 v13, v13, v200
	s_delay_alu instid0(VALU_DEP_1)
	v_add_f32_e32 v13, v13, v202
	s_wait_loadcnt_dscnt 0x1
	v_dual_mul_f32 v25, v1, v10 :: v_dual_mul_f32 v26, v3, v12
	v_mul_f32_e32 v10, v2, v10
	v_mul_f32_e32 v12, v4, v12
	v_add_f32_e32 v14, v14, v197
	s_delay_alu instid0(VALU_DEP_4) | instskip(NEXT) | instid1(VALU_DEP_4)
	v_dual_fmac_f32 v25, v2, v9 :: v_dual_fmac_f32 v26, v4, v11
	v_fma_f32 v27, v1, v9, -v10
	s_delay_alu instid0(VALU_DEP_4) | instskip(SKIP_4) | instid1(VALU_DEP_1)
	v_fma_f32 v28, v3, v11, -v12
	s_clause 0x1
	scratch_load_b128 v[1:4], off, off offset:448
	scratch_load_b128 v[9:12], off, off offset:464
	v_add_f32_e32 v14, v14, v199
	v_dual_add_f32 v18, v13, v204 :: v_dual_add_f32 v17, v14, v201
	scratch_load_b128 v[13:16], off, off offset:480
	v_dual_add_f32 v18, v18, v206 :: v_dual_add_f32 v17, v17, v203
	s_delay_alu instid0(VALU_DEP_1) | instskip(NEXT) | instid1(VALU_DEP_1)
	v_dual_add_f32 v18, v18, v208 :: v_dual_add_f32 v17, v17, v205
	v_dual_add_f32 v22, v18, v210 :: v_dual_add_f32 v17, v17, v207
	s_delay_alu instid0(VALU_DEP_1) | instskip(NEXT) | instid1(VALU_DEP_2)
	v_add_f32_e32 v29, v22, v212
	v_add_f32_e32 v23, v17, v209
	ds_load_b128 v[17:20], v21 offset:960
	v_dual_add_f32 v29, v29, v214 :: v_dual_add_f32 v30, v23, v211
	ds_load_b128 v[21:24], v21 offset:976
	v_dual_add_f32 v29, v29, v216 :: v_dual_add_f32 v30, v30, v213
	s_delay_alu instid0(VALU_DEP_1) | instskip(NEXT) | instid1(VALU_DEP_1)
	v_dual_add_f32 v29, v29, v218 :: v_dual_add_f32 v30, v30, v215
	v_add_f32_e32 v29, v29, v220
	s_wait_loadcnt_dscnt 0x202
	s_delay_alu instid0(VALU_DEP_1) | instskip(NEXT) | instid1(VALU_DEP_3)
	v_dual_add_f32 v27, v29, v27 :: v_dual_mul_f32 v32, v7, v4
	v_dual_add_f32 v30, v30, v217 :: v_dual_mul_f32 v31, v5, v2
	v_mul_f32_e32 v2, v6, v2
	s_wait_loadcnt_dscnt 0x101
	v_dual_mul_f32 v4, v8, v4 :: v_dual_mul_f32 v33, v17, v10
	s_delay_alu instid0(VALU_DEP_3) | instskip(SKIP_3) | instid1(VALU_DEP_4)
	v_add_f32_e32 v30, v30, v219
	v_fmac_f32_e32 v31, v6, v1
	v_fma_f32 v2, v5, v1, -v2
	v_dual_add_f32 v1, v27, v28 :: v_dual_mul_f32 v6, v18, v10
	v_dual_add_f32 v25, v30, v25 :: v_dual_fmac_f32 v32, v8, v3
	v_fma_f32 v3, v7, v3, -v4
	s_delay_alu instid0(VALU_DEP_3) | instskip(NEXT) | instid1(VALU_DEP_3)
	v_dual_add_f32 v1, v1, v2 :: v_dual_mul_f32 v34, v19, v12
	v_dual_add_f32 v5, v25, v26 :: v_dual_mul_f32 v4, v20, v12
	v_fmac_f32_e32 v33, v18, v9
	s_delay_alu instid0(VALU_DEP_3)
	v_add_f32_e32 v1, v1, v3
	s_wait_loadcnt_dscnt 0x0
	v_mul_f32_e32 v38, v21, v14
	v_add_f32_e32 v2, v5, v31
	v_fma_f32 v5, v17, v9, -v6
	v_dual_mul_f32 v3, v22, v14 :: v_dual_fmac_f32 v34, v20, v11
	v_fma_f32 v4, v19, v11, -v4
	s_delay_alu instid0(VALU_DEP_3) | instskip(SKIP_2) | instid1(VALU_DEP_3)
	v_dual_add_f32 v2, v2, v32 :: v_dual_add_f32 v1, v1, v5
	v_mul_f32_e32 v29, v23, v16
	v_dual_mul_f32 v5, v24, v16 :: v_dual_fmac_f32 v38, v22, v13
	v_add_f32_e32 v2, v2, v33
	v_fma_f32 v3, v21, v13, -v3
	v_add_f32_e32 v1, v1, v4
	v_fmac_f32_e32 v29, v24, v15
	v_fma_f32 v4, v23, v15, -v5
	s_delay_alu instid0(VALU_DEP_3) | instskip(NEXT) | instid1(VALU_DEP_1)
	v_dual_add_f32 v2, v2, v34 :: v_dual_add_f32 v1, v1, v3
	v_dual_add_f32 v2, v2, v38 :: v_dual_add_f32 v1, v1, v4
	s_delay_alu instid0(VALU_DEP_1) | instskip(NEXT) | instid1(VALU_DEP_1)
	v_add_f32_e32 v2, v2, v29
	v_dual_sub_f32 v1, v36, v1 :: v_dual_sub_f32 v2, v37, v2
	scratch_store_b64 off, v[1:2], off offset:104
	v_cmpx_lt_u32_e32 12, v0
	s_cbranch_execz .LBB61_361
; %bb.360:
	scratch_load_b64 v[1:2], off, off offset:96
	v_mov_b32_e32 v3, 0
	s_delay_alu instid0(VALU_DEP_1)
	v_mov_b32_e32 v4, v3
	scratch_store_b64 off, v[3:4], off offset:96
	s_wait_loadcnt 0x0
	ds_store_b64 v35, v[1:2]
.LBB61_361:
	s_wait_alu 0xfffe
	s_or_b32 exec_lo, exec_lo, s0
	s_wait_storecnt_dscnt 0x0
	s_barrier_signal -1
	s_barrier_wait -1
	global_inv scope:SCOPE_SE
	s_clause 0x4
	scratch_load_b128 v[5:8], off, off offset:104
	scratch_load_b128 v[1:4], off, off offset:120
	scratch_load_b128 v[9:12], off, off offset:136
	scratch_load_b128 v[13:16], off, off offset:152
	scratch_load_b128 v[17:20], off, off offset:168
	v_mov_b32_e32 v25, 0
	ds_load_2addr_b64 v[21:24], v25 offset0:75 offset1:76
	ds_load_2addr_b64 v[26:29], v25 offset0:77 offset1:78
	;; [unrolled: 1-line block ×3, first 2 shown]
	scratch_load_b64 v[36:37], off, off offset:96
	s_mov_b32 s0, exec_lo
	s_wait_loadcnt_dscnt 0x502
	v_mul_f32_e32 v34, v22, v6
	v_dual_mul_f32 v38, v21, v6 :: v_dual_mul_f32 v39, v23, v8
	v_mul_f32_e32 v6, v24, v8
	s_wait_loadcnt_dscnt 0x300
	v_mul_f32_e32 v40, v32, v12
	v_fma_f32 v21, v21, v5, -v34
	v_dual_fmac_f32 v38, v22, v5 :: v_dual_fmac_f32 v39, v24, v7
	v_fma_f32 v22, v23, v7, -v6
	ds_load_2addr_b64 v[5:8], v25 offset0:81 offset1:82
	v_dual_mul_f32 v23, v26, v2 :: v_dual_mul_f32 v24, v28, v4
	v_mul_f32_e32 v4, v29, v4
	v_mul_f32_e32 v34, v30, v10
	;; [unrolled: 1-line block ×5, first 2 shown]
	v_dual_fmac_f32 v23, v27, v1 :: v_dual_fmac_f32 v24, v29, v3
	v_fma_f32 v27, v28, v3, -v4
	v_fmac_f32_e32 v34, v31, v9
	v_fma_f32 v28, v30, v9, -v10
	v_fmac_f32_e32 v40, v33, v11
	v_fma_f32 v29, v32, v11, -v12
	ds_load_2addr_b64 v[9:12], v25 offset0:83 offset1:84
	s_wait_loadcnt_dscnt 0x201
	v_dual_mul_f32 v31, v7, v16 :: v_dual_mul_f32 v30, v5, v14
	v_mul_f32_e32 v14, v6, v14
	v_mul_f32_e32 v16, v8, v16
	s_delay_alu instid0(VALU_DEP_3)
	v_fmac_f32_e32 v31, v8, v15
	v_fma_f32 v26, v26, v1, -v2
	scratch_load_b128 v[1:4], off, off offset:184
	v_fmac_f32_e32 v30, v6, v13
	v_fma_f32 v13, v5, v13, -v14
	v_fma_f32 v14, v7, v15, -v16
	ds_load_2addr_b64 v[5:8], v25 offset0:85 offset1:86
	s_wait_loadcnt_dscnt 0x201
	v_mul_f32_e32 v15, v9, v18
	v_mul_f32_e32 v16, v10, v18
	;; [unrolled: 1-line block ×3, first 2 shown]
	s_delay_alu instid0(VALU_DEP_3) | instskip(NEXT) | instid1(VALU_DEP_3)
	v_dual_mul_f32 v20, v12, v20 :: v_dual_fmac_f32 v15, v10, v17
	v_fma_f32 v16, v9, v17, -v16
	s_delay_alu instid0(VALU_DEP_3) | instskip(NEXT) | instid1(VALU_DEP_3)
	v_fmac_f32_e32 v18, v12, v19
	v_fma_f32 v17, v11, v19, -v20
	scratch_load_b128 v[9:12], off, off offset:200
	s_wait_loadcnt_dscnt 0x100
	v_mul_f32_e32 v19, v5, v2
	v_mul_f32_e32 v2, v6, v2
	v_mul_f32_e32 v20, v7, v4
	s_delay_alu instid0(VALU_DEP_3) | instskip(NEXT) | instid1(VALU_DEP_3)
	v_dual_mul_f32 v4, v8, v4 :: v_dual_fmac_f32 v19, v6, v1
	v_fma_f32 v32, v5, v1, -v2
	s_delay_alu instid0(VALU_DEP_3) | instskip(NEXT) | instid1(VALU_DEP_3)
	v_fmac_f32_e32 v20, v8, v3
	v_fma_f32 v33, v7, v3, -v4
	ds_load_2addr_b64 v[1:4], v25 offset0:87 offset1:88
	ds_load_2addr_b64 v[5:8], v25 offset0:89 offset1:90
	s_wait_loadcnt_dscnt 0x1
	v_mul_f32_e32 v41, v1, v10
	v_mul_f32_e32 v10, v2, v10
	s_delay_alu instid0(VALU_DEP_2) | instskip(NEXT) | instid1(VALU_DEP_2)
	v_dual_mul_f32 v42, v3, v12 :: v_dual_fmac_f32 v41, v2, v9
	v_fma_f32 v43, v1, v9, -v10
	v_mul_f32_e32 v1, v4, v12
	s_delay_alu instid0(VALU_DEP_3) | instskip(NEXT) | instid1(VALU_DEP_2)
	v_fmac_f32_e32 v42, v4, v11
	v_fma_f32 v44, v3, v11, -v1
	s_clause 0x1
	scratch_load_b128 v[1:4], off, off offset:216
	scratch_load_b128 v[9:12], off, off offset:232
	s_wait_loadcnt_dscnt 0x100
	v_mul_f32_e32 v169, v5, v2
	v_dual_mul_f32 v2, v6, v2 :: v_dual_mul_f32 v171, v7, v4
	s_delay_alu instid0(VALU_DEP_2) | instskip(NEXT) | instid1(VALU_DEP_2)
	v_fmac_f32_e32 v169, v6, v1
	v_fma_f32 v170, v5, v1, -v2
	v_mul_f32_e32 v1, v8, v4
	s_delay_alu instid0(VALU_DEP_4) | instskip(NEXT) | instid1(VALU_DEP_2)
	v_fmac_f32_e32 v171, v8, v3
	v_fma_f32 v172, v7, v3, -v1
	ds_load_2addr_b64 v[1:4], v25 offset0:91 offset1:92
	ds_load_2addr_b64 v[5:8], v25 offset0:93 offset1:94
	s_wait_loadcnt_dscnt 0x1
	v_mul_f32_e32 v173, v1, v10
	v_mul_f32_e32 v175, v3, v12
	s_delay_alu instid0(VALU_DEP_2) | instskip(NEXT) | instid1(VALU_DEP_2)
	v_fmac_f32_e32 v173, v2, v9
	v_dual_mul_f32 v2, v2, v10 :: v_dual_fmac_f32 v175, v4, v11
	s_delay_alu instid0(VALU_DEP_1) | instskip(SKIP_1) | instid1(VALU_DEP_1)
	v_fma_f32 v174, v1, v9, -v2
	v_mul_f32_e32 v1, v4, v12
	v_fma_f32 v176, v3, v11, -v1
	s_clause 0x1
	scratch_load_b128 v[1:4], off, off offset:248
	scratch_load_b128 v[9:12], off, off offset:264
	s_wait_loadcnt_dscnt 0x100
	v_mul_f32_e32 v177, v5, v2
	v_dual_mul_f32 v2, v6, v2 :: v_dual_mul_f32 v179, v7, v4
	s_delay_alu instid0(VALU_DEP_2) | instskip(NEXT) | instid1(VALU_DEP_2)
	v_fmac_f32_e32 v177, v6, v1
	v_fma_f32 v178, v5, v1, -v2
	v_mul_f32_e32 v1, v8, v4
	s_delay_alu instid0(VALU_DEP_4) | instskip(NEXT) | instid1(VALU_DEP_2)
	v_fmac_f32_e32 v179, v8, v3
	v_fma_f32 v180, v7, v3, -v1
	ds_load_2addr_b64 v[1:4], v25 offset0:95 offset1:96
	ds_load_2addr_b64 v[5:8], v25 offset0:97 offset1:98
	s_wait_loadcnt_dscnt 0x1
	v_mul_f32_e32 v181, v1, v10
	v_mul_f32_e32 v183, v3, v12
	s_delay_alu instid0(VALU_DEP_2) | instskip(NEXT) | instid1(VALU_DEP_2)
	v_fmac_f32_e32 v181, v2, v9
	v_dual_mul_f32 v2, v2, v10 :: v_dual_fmac_f32 v183, v4, v11
	s_delay_alu instid0(VALU_DEP_1) | instskip(SKIP_1) | instid1(VALU_DEP_1)
	v_fma_f32 v182, v1, v9, -v2
	v_mul_f32_e32 v1, v4, v12
	;; [unrolled: 25-line block ×6, first 2 shown]
	v_fma_f32 v216, v3, v11, -v1
	s_clause 0x1
	scratch_load_b128 v[1:4], off, off offset:408
	scratch_load_b128 v[9:12], off, off offset:424
	s_wait_loadcnt_dscnt 0x100
	v_mul_f32_e32 v217, v5, v2
	v_mul_f32_e32 v2, v6, v2
	s_delay_alu instid0(VALU_DEP_2) | instskip(NEXT) | instid1(VALU_DEP_2)
	v_fmac_f32_e32 v217, v6, v1
	v_fma_f32 v218, v5, v1, -v2
	v_dual_add_f32 v2, 0, v38 :: v_dual_mul_f32 v1, v8, v4
	s_delay_alu instid0(VALU_DEP_1) | instskip(NEXT) | instid1(VALU_DEP_2)
	v_add_f32_e32 v2, v2, v39
	v_fma_f32 v220, v7, v3, -v1
	s_delay_alu instid0(VALU_DEP_2) | instskip(NEXT) | instid1(VALU_DEP_1)
	v_add_f32_e32 v2, v2, v23
	v_add_f32_e32 v2, v2, v24
	s_delay_alu instid0(VALU_DEP_1) | instskip(NEXT) | instid1(VALU_DEP_1)
	v_add_f32_e32 v2, v2, v34
	v_add_f32_e32 v2, v2, v40
	s_delay_alu instid0(VALU_DEP_1) | instskip(NEXT) | instid1(VALU_DEP_1)
	v_dual_add_f32 v2, v2, v30 :: v_dual_add_f32 v1, 0, v21
	v_dual_add_f32 v2, v2, v31 :: v_dual_add_f32 v1, v1, v22
	s_delay_alu instid0(VALU_DEP_1) | instskip(NEXT) | instid1(VALU_DEP_1)
	v_dual_add_f32 v2, v2, v15 :: v_dual_add_f32 v1, v1, v26
	v_dual_add_f32 v2, v2, v18 :: v_dual_add_f32 v1, v1, v27
	scratch_load_b64 v[26:27], off, off offset:488
	v_dual_add_f32 v2, v2, v19 :: v_dual_add_f32 v1, v1, v28
	s_delay_alu instid0(VALU_DEP_1) | instskip(NEXT) | instid1(VALU_DEP_1)
	v_dual_add_f32 v2, v2, v20 :: v_dual_add_f32 v1, v1, v29
	v_add_f32_e32 v2, v2, v41
	s_delay_alu instid0(VALU_DEP_1) | instskip(NEXT) | instid1(VALU_DEP_1)
	v_dual_add_f32 v1, v1, v13 :: v_dual_add_f32 v2, v2, v42
	v_dual_add_f32 v1, v1, v14 :: v_dual_add_f32 v2, v2, v169
	s_delay_alu instid0(VALU_DEP_1) | instskip(NEXT) | instid1(VALU_DEP_1)
	v_dual_add_f32 v1, v1, v16 :: v_dual_add_f32 v2, v2, v171
	v_add_f32_e32 v1, v1, v17
	s_delay_alu instid0(VALU_DEP_1) | instskip(NEXT) | instid1(VALU_DEP_1)
	v_dual_add_f32 v2, v2, v173 :: v_dual_add_f32 v1, v1, v32
	v_dual_add_f32 v2, v2, v175 :: v_dual_add_f32 v1, v1, v33
	s_delay_alu instid0(VALU_DEP_1) | instskip(NEXT) | instid1(VALU_DEP_1)
	v_dual_add_f32 v2, v2, v177 :: v_dual_add_f32 v1, v1, v43
	v_dual_add_f32 v2, v2, v179 :: v_dual_add_f32 v1, v1, v44
	;; [unrolled: 3-line block ×3, first 2 shown]
	s_delay_alu instid0(VALU_DEP_1) | instskip(NEXT) | instid1(VALU_DEP_1)
	v_add_f32_e32 v1, v1, v174
	v_add_f32_e32 v1, v1, v176
	s_delay_alu instid0(VALU_DEP_1) | instskip(NEXT) | instid1(VALU_DEP_1)
	v_add_f32_e32 v1, v1, v178
	v_add_f32_e32 v1, v1, v180
	;; [unrolled: 3-line block ×5, first 2 shown]
	v_dual_add_f32 v2, v2, v185 :: v_dual_mul_f32 v219, v7, v4
	s_delay_alu instid0(VALU_DEP_2) | instskip(NEXT) | instid1(VALU_DEP_2)
	v_add_f32_e32 v6, v6, v194
	v_add_f32_e32 v2, v2, v187
	s_delay_alu instid0(VALU_DEP_3) | instskip(NEXT) | instid1(VALU_DEP_3)
	v_fmac_f32_e32 v219, v8, v3
	v_add_f32_e32 v13, v6, v196
	s_delay_alu instid0(VALU_DEP_3) | instskip(SKIP_3) | instid1(VALU_DEP_2)
	v_add_f32_e32 v5, v2, v189
	ds_load_2addr_b64 v[1:4], v25 offset0:115 offset1:116
	v_add_f32_e32 v13, v13, v198
	v_add_f32_e32 v5, v5, v191
	;; [unrolled: 1-line block ×3, first 2 shown]
	s_delay_alu instid0(VALU_DEP_2) | instskip(NEXT) | instid1(VALU_DEP_2)
	v_add_f32_e32 v5, v5, v193
	v_add_f32_e32 v13, v13, v202
	s_delay_alu instid0(VALU_DEP_2)
	v_add_f32_e32 v14, v5, v195
	ds_load_2addr_b64 v[5:8], v25 offset0:117 offset1:118
	v_add_f32_e32 v18, v13, v204
	s_wait_loadcnt_dscnt 0x101
	v_mul_f32_e32 v30, v1, v10
	v_dual_mul_f32 v10, v2, v10 :: v_dual_mul_f32 v31, v3, v12
	v_mul_f32_e32 v12, v4, v12
	v_add_f32_e32 v14, v14, v197
	s_delay_alu instid0(VALU_DEP_4) | instskip(NEXT) | instid1(VALU_DEP_4)
	v_fmac_f32_e32 v30, v2, v9
	v_fma_f32 v32, v1, v9, -v10
	v_fmac_f32_e32 v31, v4, v11
	v_fma_f32 v33, v3, v11, -v12
	s_clause 0x1
	scratch_load_b128 v[1:4], off, off offset:440
	scratch_load_b128 v[9:12], off, off offset:456
	v_add_f32_e32 v14, v14, v199
	v_add_f32_e32 v18, v18, v206
	s_delay_alu instid0(VALU_DEP_2) | instskip(SKIP_2) | instid1(VALU_DEP_1)
	v_add_f32_e32 v17, v14, v201
	scratch_load_b128 v[13:16], off, off offset:472
	v_dual_add_f32 v18, v18, v208 :: v_dual_add_f32 v17, v17, v203
	v_add_f32_e32 v18, v18, v210
	s_delay_alu instid0(VALU_DEP_1) | instskip(NEXT) | instid1(VALU_DEP_1)
	v_add_f32_e32 v18, v18, v212
	v_add_f32_e32 v28, v18, v214
	s_delay_alu instid0(VALU_DEP_1) | instskip(NEXT) | instid1(VALU_DEP_1)
	v_dual_add_f32 v34, v28, v216 :: v_dual_add_f32 v17, v17, v205
	v_dual_add_f32 v34, v34, v218 :: v_dual_add_f32 v17, v17, v207
	s_delay_alu instid0(VALU_DEP_1) | instskip(NEXT) | instid1(VALU_DEP_1)
	v_dual_add_f32 v34, v34, v220 :: v_dual_add_f32 v17, v17, v209
	v_dual_add_f32 v32, v34, v32 :: v_dual_add_f32 v21, v17, v211
	ds_load_2addr_b64 v[17:20], v25 offset0:119 offset1:120
	v_add_f32_e32 v32, v32, v33
	s_wait_loadcnt_dscnt 0x201
	v_dual_mul_f32 v40, v7, v4 :: v_dual_add_f32 v29, v21, v213
	v_mul_f32_e32 v4, v8, v4
	ds_load_2addr_b64 v[21:24], v25 offset0:121 offset1:122
	v_mul_f32_e32 v39, v5, v2
	v_mul_f32_e32 v2, v6, v2
	v_add_f32_e32 v38, v29, v215
	ds_load_b64 v[28:29], v25 offset:984
	s_wait_loadcnt_dscnt 0x102
	v_dual_mul_f32 v34, v17, v10 :: v_dual_fmac_f32 v39, v6, v1
	v_fma_f32 v2, v5, v1, -v2
	v_add_f32_e32 v38, v38, v217
	v_fmac_f32_e32 v40, v8, v3
	v_fma_f32 v1, v7, v3, -v4
	v_mul_f32_e32 v3, v18, v10
	v_add_f32_e32 v2, v32, v2
	v_dual_add_f32 v38, v38, v219 :: v_dual_mul_f32 v5, v20, v12
	v_fmac_f32_e32 v34, v18, v9
	s_delay_alu instid0(VALU_DEP_4) | instskip(NEXT) | instid1(VALU_DEP_4)
	v_fma_f32 v3, v17, v9, -v3
	v_add_f32_e32 v1, v2, v1
	s_delay_alu instid0(VALU_DEP_4)
	v_add_f32_e32 v30, v38, v30
	s_wait_loadcnt_dscnt 0x1
	v_dual_mul_f32 v38, v19, v12 :: v_dual_mul_f32 v41, v21, v14
	v_fma_f32 v5, v19, v11, -v5
	v_add_f32_e32 v1, v1, v3
	v_add_f32_e32 v30, v30, v31
	s_delay_alu instid0(VALU_DEP_4) | instskip(SKIP_2) | instid1(VALU_DEP_4)
	v_dual_fmac_f32 v38, v20, v11 :: v_dual_mul_f32 v33, v23, v16
	v_mul_f32_e32 v3, v24, v16
	v_fmac_f32_e32 v41, v22, v13
	v_dual_add_f32 v4, v30, v39 :: v_dual_add_f32 v1, v1, v5
	s_wait_dscnt 0x0
	v_mul_f32_e32 v31, v28, v27
	v_mul_f32_e32 v5, v29, v27
	v_fmac_f32_e32 v33, v24, v15
	v_add_f32_e32 v2, v4, v40
	v_mul_f32_e32 v4, v22, v14
	v_fma_f32 v3, v23, v15, -v3
	v_fmac_f32_e32 v31, v29, v26
	s_delay_alu instid0(VALU_DEP_4) | instskip(NEXT) | instid1(VALU_DEP_4)
	v_add_f32_e32 v2, v2, v34
	v_fma_f32 v4, v21, v13, -v4
	s_delay_alu instid0(VALU_DEP_1) | instskip(SKIP_1) | instid1(VALU_DEP_2)
	v_dual_add_f32 v2, v2, v38 :: v_dual_add_f32 v1, v1, v4
	v_fma_f32 v4, v28, v26, -v5
	v_dual_add_f32 v2, v2, v41 :: v_dual_add_f32 v1, v1, v3
	s_delay_alu instid0(VALU_DEP_1) | instskip(NEXT) | instid1(VALU_DEP_1)
	v_dual_add_f32 v2, v2, v33 :: v_dual_add_f32 v1, v1, v4
	v_dual_add_f32 v2, v2, v31 :: v_dual_sub_f32 v1, v36, v1
	s_delay_alu instid0(VALU_DEP_1)
	v_sub_f32_e32 v2, v37, v2
	scratch_store_b64 off, v[1:2], off offset:96
	v_cmpx_lt_u32_e32 11, v0
	s_cbranch_execz .LBB61_363
; %bb.362:
	scratch_load_b64 v[1:2], off, off offset:88
	v_mov_b32_e32 v26, v25
	scratch_store_b64 off, v[25:26], off offset:88
	s_wait_loadcnt 0x0
	ds_store_b64 v35, v[1:2]
.LBB61_363:
	s_wait_alu 0xfffe
	s_or_b32 exec_lo, exec_lo, s0
	s_wait_storecnt_dscnt 0x0
	s_barrier_signal -1
	s_barrier_wait -1
	global_inv scope:SCOPE_SE
	s_clause 0x4
	scratch_load_b128 v[5:8], off, off offset:96
	scratch_load_b128 v[1:4], off, off offset:112
	scratch_load_b128 v[9:12], off, off offset:128
	scratch_load_b128 v[13:16], off, off offset:144
	scratch_load_b128 v[17:20], off, off offset:160
	ds_load_b128 v[21:24], v25 offset:592
	ds_load_b128 v[26:29], v25 offset:608
	;; [unrolled: 1-line block ×3, first 2 shown]
	scratch_load_b64 v[36:37], off, off offset:88
	s_mov_b32 s0, exec_lo
	s_wait_loadcnt_dscnt 0x502
	v_mul_f32_e32 v34, v21, v6
	v_mul_f32_e32 v38, v23, v8
	s_wait_loadcnt_dscnt 0x300
	v_dual_mul_f32 v8, v24, v8 :: v_dual_mul_f32 v39, v30, v10
	v_mul_f32_e32 v6, v22, v6
	v_fmac_f32_e32 v34, v22, v5
	v_mul_f32_e32 v10, v31, v10
	s_delay_alu instid0(VALU_DEP_4)
	v_fma_f32 v22, v23, v7, -v8
	v_dual_mul_f32 v23, v26, v2 :: v_dual_fmac_f32 v38, v24, v7
	v_fmac_f32_e32 v39, v31, v9
	v_fma_f32 v21, v21, v5, -v6
	ds_load_b128 v[5:8], v25 offset:640
	v_mul_f32_e32 v24, v28, v4
	v_mul_f32_e32 v4, v29, v4
	;; [unrolled: 1-line block ×5, first 2 shown]
	v_dual_fmac_f32 v23, v27, v1 :: v_dual_fmac_f32 v24, v29, v3
	v_fma_f32 v27, v28, v3, -v4
	v_fma_f32 v28, v30, v9, -v10
	v_fmac_f32_e32 v40, v33, v11
	v_fma_f32 v29, v32, v11, -v12
	ds_load_b128 v[9:12], v25 offset:656
	s_wait_loadcnt_dscnt 0x201
	v_dual_mul_f32 v31, v7, v16 :: v_dual_mul_f32 v30, v5, v14
	v_mul_f32_e32 v14, v6, v14
	v_mul_f32_e32 v16, v8, v16
	s_delay_alu instid0(VALU_DEP_3)
	v_fmac_f32_e32 v31, v8, v15
	v_fma_f32 v26, v26, v1, -v2
	scratch_load_b128 v[1:4], off, off offset:176
	v_fmac_f32_e32 v30, v6, v13
	v_fma_f32 v13, v5, v13, -v14
	v_fma_f32 v14, v7, v15, -v16
	ds_load_b128 v[5:8], v25 offset:672
	s_wait_loadcnt_dscnt 0x201
	v_mul_f32_e32 v15, v9, v18
	v_mul_f32_e32 v16, v10, v18
	;; [unrolled: 1-line block ×3, first 2 shown]
	s_delay_alu instid0(VALU_DEP_3) | instskip(NEXT) | instid1(VALU_DEP_3)
	v_dual_mul_f32 v20, v12, v20 :: v_dual_fmac_f32 v15, v10, v17
	v_fma_f32 v16, v9, v17, -v16
	s_delay_alu instid0(VALU_DEP_3) | instskip(NEXT) | instid1(VALU_DEP_3)
	v_fmac_f32_e32 v18, v12, v19
	v_fma_f32 v17, v11, v19, -v20
	scratch_load_b128 v[9:12], off, off offset:192
	s_wait_loadcnt_dscnt 0x100
	v_mul_f32_e32 v19, v5, v2
	v_mul_f32_e32 v2, v6, v2
	;; [unrolled: 1-line block ×3, first 2 shown]
	s_delay_alu instid0(VALU_DEP_3) | instskip(NEXT) | instid1(VALU_DEP_3)
	v_dual_mul_f32 v4, v8, v4 :: v_dual_fmac_f32 v19, v6, v1
	v_fma_f32 v32, v5, v1, -v2
	s_delay_alu instid0(VALU_DEP_3) | instskip(NEXT) | instid1(VALU_DEP_3)
	v_fmac_f32_e32 v20, v8, v3
	v_fma_f32 v33, v7, v3, -v4
	ds_load_b128 v[1:4], v25 offset:688
	ds_load_b128 v[5:8], v25 offset:704
	s_wait_loadcnt_dscnt 0x1
	v_mul_f32_e32 v41, v1, v10
	v_mul_f32_e32 v10, v2, v10
	s_delay_alu instid0(VALU_DEP_2) | instskip(NEXT) | instid1(VALU_DEP_2)
	v_dual_mul_f32 v42, v3, v12 :: v_dual_fmac_f32 v41, v2, v9
	v_fma_f32 v43, v1, v9, -v10
	v_mul_f32_e32 v1, v4, v12
	s_delay_alu instid0(VALU_DEP_3) | instskip(NEXT) | instid1(VALU_DEP_2)
	v_fmac_f32_e32 v42, v4, v11
	v_fma_f32 v44, v3, v11, -v1
	s_clause 0x1
	scratch_load_b128 v[1:4], off, off offset:208
	scratch_load_b128 v[9:12], off, off offset:224
	s_wait_loadcnt_dscnt 0x100
	v_mul_f32_e32 v169, v5, v2
	v_dual_mul_f32 v2, v6, v2 :: v_dual_mul_f32 v171, v7, v4
	s_delay_alu instid0(VALU_DEP_2) | instskip(NEXT) | instid1(VALU_DEP_2)
	v_fmac_f32_e32 v169, v6, v1
	v_fma_f32 v170, v5, v1, -v2
	v_mul_f32_e32 v1, v8, v4
	s_delay_alu instid0(VALU_DEP_4) | instskip(NEXT) | instid1(VALU_DEP_2)
	v_fmac_f32_e32 v171, v8, v3
	v_fma_f32 v172, v7, v3, -v1
	ds_load_b128 v[1:4], v25 offset:720
	ds_load_b128 v[5:8], v25 offset:736
	s_wait_loadcnt_dscnt 0x1
	v_mul_f32_e32 v173, v1, v10
	v_mul_f32_e32 v175, v3, v12
	s_delay_alu instid0(VALU_DEP_2) | instskip(NEXT) | instid1(VALU_DEP_2)
	v_fmac_f32_e32 v173, v2, v9
	v_dual_mul_f32 v2, v2, v10 :: v_dual_fmac_f32 v175, v4, v11
	s_delay_alu instid0(VALU_DEP_1) | instskip(SKIP_1) | instid1(VALU_DEP_1)
	v_fma_f32 v174, v1, v9, -v2
	v_mul_f32_e32 v1, v4, v12
	v_fma_f32 v176, v3, v11, -v1
	s_clause 0x1
	scratch_load_b128 v[1:4], off, off offset:240
	scratch_load_b128 v[9:12], off, off offset:256
	s_wait_loadcnt_dscnt 0x100
	v_mul_f32_e32 v177, v5, v2
	v_dual_mul_f32 v2, v6, v2 :: v_dual_mul_f32 v179, v7, v4
	s_delay_alu instid0(VALU_DEP_2) | instskip(NEXT) | instid1(VALU_DEP_2)
	v_fmac_f32_e32 v177, v6, v1
	v_fma_f32 v178, v5, v1, -v2
	v_mul_f32_e32 v1, v8, v4
	s_delay_alu instid0(VALU_DEP_4) | instskip(NEXT) | instid1(VALU_DEP_2)
	v_fmac_f32_e32 v179, v8, v3
	v_fma_f32 v180, v7, v3, -v1
	ds_load_b128 v[1:4], v25 offset:752
	ds_load_b128 v[5:8], v25 offset:768
	s_wait_loadcnt_dscnt 0x1
	v_mul_f32_e32 v181, v1, v10
	v_mul_f32_e32 v183, v3, v12
	s_delay_alu instid0(VALU_DEP_2) | instskip(NEXT) | instid1(VALU_DEP_2)
	v_fmac_f32_e32 v181, v2, v9
	v_dual_mul_f32 v2, v2, v10 :: v_dual_fmac_f32 v183, v4, v11
	s_delay_alu instid0(VALU_DEP_1) | instskip(SKIP_1) | instid1(VALU_DEP_1)
	v_fma_f32 v182, v1, v9, -v2
	v_mul_f32_e32 v1, v4, v12
	;; [unrolled: 25-line block ×6, first 2 shown]
	v_fma_f32 v216, v3, v11, -v1
	s_clause 0x1
	scratch_load_b128 v[1:4], off, off offset:400
	scratch_load_b128 v[9:12], off, off offset:416
	s_wait_loadcnt_dscnt 0x100
	v_mul_f32_e32 v217, v5, v2
	v_mul_f32_e32 v2, v6, v2
	s_delay_alu instid0(VALU_DEP_2) | instskip(NEXT) | instid1(VALU_DEP_2)
	v_fmac_f32_e32 v217, v6, v1
	v_fma_f32 v218, v5, v1, -v2
	v_dual_add_f32 v2, 0, v34 :: v_dual_mul_f32 v1, v8, v4
	s_delay_alu instid0(VALU_DEP_1) | instskip(NEXT) | instid1(VALU_DEP_2)
	v_add_f32_e32 v2, v2, v38
	v_fma_f32 v220, v7, v3, -v1
	s_delay_alu instid0(VALU_DEP_2) | instskip(NEXT) | instid1(VALU_DEP_1)
	v_dual_add_f32 v1, 0, v21 :: v_dual_add_f32 v2, v2, v23
	v_dual_add_f32 v1, v1, v22 :: v_dual_add_f32 v2, v2, v24
	s_delay_alu instid0(VALU_DEP_1) | instskip(NEXT) | instid1(VALU_DEP_1)
	v_add_f32_e32 v2, v2, v39
	v_add_f32_e32 v2, v2, v40
	s_delay_alu instid0(VALU_DEP_1) | instskip(NEXT) | instid1(VALU_DEP_1)
	v_add_f32_e32 v2, v2, v30
	v_add_f32_e32 v2, v2, v31
	;; [unrolled: 3-line block ×3, first 2 shown]
	s_delay_alu instid0(VALU_DEP_1) | instskip(NEXT) | instid1(VALU_DEP_1)
	v_add_f32_e32 v2, v2, v19
	v_dual_add_f32 v2, v2, v20 :: v_dual_add_f32 v1, v1, v26
	s_delay_alu instid0(VALU_DEP_1) | instskip(NEXT) | instid1(VALU_DEP_1)
	v_dual_add_f32 v2, v2, v41 :: v_dual_add_f32 v1, v1, v27
	v_dual_add_f32 v2, v2, v42 :: v_dual_add_f32 v1, v1, v28
	s_delay_alu instid0(VALU_DEP_1) | instskip(NEXT) | instid1(VALU_DEP_1)
	v_add_f32_e32 v2, v2, v169
	v_dual_add_f32 v1, v1, v29 :: v_dual_add_f32 v2, v2, v171
	s_delay_alu instid0(VALU_DEP_1) | instskip(NEXT) | instid1(VALU_DEP_1)
	v_add_f32_e32 v2, v2, v173
	v_add_f32_e32 v2, v2, v175
	s_delay_alu instid0(VALU_DEP_1) | instskip(NEXT) | instid1(VALU_DEP_1)
	v_add_f32_e32 v2, v2, v177
	v_add_f32_e32 v2, v2, v179
	;; [unrolled: 3-line block ×3, first 2 shown]
	s_delay_alu instid0(VALU_DEP_1) | instskip(NEXT) | instid1(VALU_DEP_1)
	v_add_f32_e32 v2, v2, v185
	v_dual_add_f32 v1, v1, v13 :: v_dual_add_f32 v2, v2, v187
	s_delay_alu instid0(VALU_DEP_1) | instskip(NEXT) | instid1(VALU_DEP_1)
	v_add_f32_e32 v1, v1, v14
	v_add_f32_e32 v1, v1, v16
	s_delay_alu instid0(VALU_DEP_1) | instskip(NEXT) | instid1(VALU_DEP_1)
	v_add_f32_e32 v1, v1, v17
	v_add_f32_e32 v1, v1, v32
	;; [unrolled: 3-line block ×10, first 2 shown]
	v_add_f32_e32 v2, v2, v189
	s_delay_alu instid0(VALU_DEP_2) | instskip(SKIP_1) | instid1(VALU_DEP_3)
	v_add_f32_e32 v14, v6, v196
	v_mul_f32_e32 v219, v7, v4
	v_add_f32_e32 v5, v2, v191
	s_delay_alu instid0(VALU_DEP_2) | instskip(NEXT) | instid1(VALU_DEP_2)
	v_dual_add_f32 v14, v14, v198 :: v_dual_fmac_f32 v219, v8, v3
	v_add_f32_e32 v13, v5, v193
	scratch_load_b128 v[5:8], off, off offset:432
	ds_load_b128 v[1:4], v25 offset:912
	v_add_f32_e32 v17, v14, v200
	v_add_f32_e32 v13, v13, v195
	s_delay_alu instid0(VALU_DEP_2) | instskip(NEXT) | instid1(VALU_DEP_2)
	v_add_f32_e32 v17, v17, v202
	v_add_f32_e32 v13, v13, v197
	s_delay_alu instid0(VALU_DEP_2) | instskip(NEXT) | instid1(VALU_DEP_2)
	v_add_f32_e32 v17, v17, v204
	v_add_f32_e32 v18, v13, v199
	ds_load_b128 v[13:16], v25 offset:928
	v_add_f32_e32 v17, v17, v206
	s_wait_loadcnt_dscnt 0x101
	v_mul_f32_e32 v26, v1, v10
	v_dual_mul_f32 v10, v2, v10 :: v_dual_mul_f32 v27, v3, v12
	v_mul_f32_e32 v12, v4, v12
	v_add_f32_e32 v18, v18, v201
	s_delay_alu instid0(VALU_DEP_4) | instskip(NEXT) | instid1(VALU_DEP_4)
	v_fmac_f32_e32 v26, v2, v9
	v_fma_f32 v28, v1, v9, -v10
	v_fmac_f32_e32 v27, v4, v11
	v_fma_f32 v29, v3, v11, -v12
	s_clause 0x1
	scratch_load_b128 v[1:4], off, off offset:448
	scratch_load_b128 v[9:12], off, off offset:464
	v_add_f32_e32 v18, v18, v203
	s_delay_alu instid0(VALU_DEP_1) | instskip(SKIP_2) | instid1(VALU_DEP_1)
	v_dual_add_f32 v22, v17, v208 :: v_dual_add_f32 v21, v18, v205
	scratch_load_b128 v[17:20], off, off offset:480
	v_dual_add_f32 v22, v22, v210 :: v_dual_add_f32 v21, v21, v207
	v_add_f32_e32 v22, v22, v212
	s_wait_loadcnt_dscnt 0x300
	v_mul_f32_e32 v30, v13, v6
	s_delay_alu instid0(VALU_DEP_3) | instskip(SKIP_2) | instid1(VALU_DEP_4)
	v_dual_mul_f32 v6, v14, v6 :: v_dual_add_f32 v21, v21, v209
	v_mul_f32_e32 v31, v15, v8
	v_mul_f32_e32 v8, v16, v8
	v_fmac_f32_e32 v30, v14, v5
	s_delay_alu instid0(VALU_DEP_4)
	v_fma_f32 v32, v13, v5, -v6
	v_add_f32_e32 v13, v21, v211
	v_add_f32_e32 v21, v22, v214
	v_fmac_f32_e32 v31, v16, v7
	v_fma_f32 v33, v15, v7, -v8
	ds_load_b128 v[5:8], v25 offset:944
	v_add_f32_e32 v22, v13, v213
	v_add_f32_e32 v34, v21, v216
	ds_load_b128 v[13:16], v25 offset:960
	v_add_f32_e32 v38, v22, v215
	ds_load_b128 v[21:24], v25 offset:976
	v_add_f32_e32 v25, v34, v218
	s_delay_alu instid0(VALU_DEP_1) | instskip(NEXT) | instid1(VALU_DEP_1)
	v_dual_add_f32 v34, v38, v217 :: v_dual_add_f32 v25, v25, v220
	v_dual_add_f32 v34, v34, v219 :: v_dual_add_f32 v25, v25, v28
	s_wait_loadcnt_dscnt 0x202
	v_mul_f32_e32 v38, v5, v2
	s_delay_alu instid0(VALU_DEP_2) | instskip(NEXT) | instid1(VALU_DEP_3)
	v_add_f32_e32 v26, v34, v26
	v_dual_mul_f32 v2, v6, v2 :: v_dual_add_f32 v25, v25, v29
	v_mul_f32_e32 v28, v7, v4
	v_mul_f32_e32 v4, v8, v4
	s_delay_alu instid0(VALU_DEP_4) | instskip(NEXT) | instid1(VALU_DEP_4)
	v_add_f32_e32 v26, v26, v27
	v_fma_f32 v2, v5, v1, -v2
	v_dual_add_f32 v25, v25, v32 :: v_dual_fmac_f32 v38, v6, v1
	s_wait_loadcnt_dscnt 0x101
	v_mul_f32_e32 v34, v13, v10
	v_add_f32_e32 v26, v26, v30
	s_delay_alu instid0(VALU_DEP_3) | instskip(SKIP_2) | instid1(VALU_DEP_4)
	v_dual_mul_f32 v6, v14, v10 :: v_dual_add_f32 v1, v25, v33
	v_fmac_f32_e32 v28, v8, v3
	v_fma_f32 v3, v7, v3, -v4
	v_add_f32_e32 v5, v26, v31
	v_mul_f32_e32 v39, v15, v12
	v_dual_add_f32 v1, v1, v2 :: v_dual_mul_f32 v4, v16, v12
	v_fmac_f32_e32 v34, v14, v9
	s_delay_alu instid0(VALU_DEP_4) | instskip(SKIP_1) | instid1(VALU_DEP_4)
	v_add_f32_e32 v2, v5, v38
	v_fma_f32 v5, v13, v9, -v6
	v_add_f32_e32 v1, v1, v3
	s_wait_loadcnt_dscnt 0x0
	v_mul_f32_e32 v27, v21, v18
	v_mul_f32_e32 v3, v22, v18
	v_dual_add_f32 v2, v2, v28 :: v_dual_fmac_f32 v39, v16, v11
	v_fma_f32 v4, v15, v11, -v4
	v_add_f32_e32 v1, v1, v5
	s_delay_alu instid0(VALU_DEP_3) | instskip(SKIP_3) | instid1(VALU_DEP_4)
	v_dual_mul_f32 v29, v23, v20 :: v_dual_add_f32 v2, v2, v34
	v_mul_f32_e32 v5, v24, v20
	v_fmac_f32_e32 v27, v22, v17
	v_fma_f32 v3, v21, v17, -v3
	v_dual_add_f32 v1, v1, v4 :: v_dual_add_f32 v2, v2, v39
	v_fmac_f32_e32 v29, v24, v19
	v_fma_f32 v4, v23, v19, -v5
	s_delay_alu instid0(VALU_DEP_3) | instskip(NEXT) | instid1(VALU_DEP_1)
	v_add_f32_e32 v1, v1, v3
	v_dual_add_f32 v2, v2, v27 :: v_dual_add_f32 v1, v1, v4
	s_delay_alu instid0(VALU_DEP_1) | instskip(NEXT) | instid1(VALU_DEP_1)
	v_add_f32_e32 v2, v2, v29
	v_dual_sub_f32 v1, v36, v1 :: v_dual_sub_f32 v2, v37, v2
	scratch_store_b64 off, v[1:2], off offset:88
	v_cmpx_lt_u32_e32 10, v0
	s_cbranch_execz .LBB61_365
; %bb.364:
	scratch_load_b64 v[1:2], off, off offset:80
	v_mov_b32_e32 v3, 0
	s_delay_alu instid0(VALU_DEP_1)
	v_mov_b32_e32 v4, v3
	scratch_store_b64 off, v[3:4], off offset:80
	s_wait_loadcnt 0x0
	ds_store_b64 v35, v[1:2]
.LBB61_365:
	s_wait_alu 0xfffe
	s_or_b32 exec_lo, exec_lo, s0
	s_wait_storecnt_dscnt 0x0
	s_barrier_signal -1
	s_barrier_wait -1
	global_inv scope:SCOPE_SE
	s_clause 0x4
	scratch_load_b128 v[5:8], off, off offset:88
	scratch_load_b128 v[1:4], off, off offset:104
	;; [unrolled: 1-line block ×5, first 2 shown]
	v_mov_b32_e32 v25, 0
	ds_load_2addr_b64 v[21:24], v25 offset0:73 offset1:74
	ds_load_2addr_b64 v[26:29], v25 offset0:75 offset1:76
	;; [unrolled: 1-line block ×3, first 2 shown]
	scratch_load_b64 v[36:37], off, off offset:80
	s_mov_b32 s0, exec_lo
	s_wait_loadcnt_dscnt 0x502
	v_mul_f32_e32 v34, v21, v6
	v_mul_f32_e32 v38, v23, v8
	s_wait_loadcnt_dscnt 0x300
	v_dual_mul_f32 v8, v24, v8 :: v_dual_mul_f32 v39, v30, v10
	v_mul_f32_e32 v6, v22, v6
	v_fmac_f32_e32 v34, v22, v5
	v_mul_f32_e32 v10, v31, v10
	s_delay_alu instid0(VALU_DEP_4) | instskip(SKIP_2) | instid1(VALU_DEP_2)
	v_fma_f32 v22, v23, v7, -v8
	v_dual_mul_f32 v23, v26, v2 :: v_dual_fmac_f32 v38, v24, v7
	v_dual_fmac_f32 v39, v31, v9 :: v_dual_mul_f32 v24, v28, v4
	v_dual_mul_f32 v4, v29, v4 :: v_dual_fmac_f32 v23, v27, v1
	v_fma_f32 v21, v21, v5, -v6
	ds_load_2addr_b64 v[5:8], v25 offset0:79 offset1:80
	v_mul_f32_e32 v40, v32, v12
	v_mul_f32_e32 v12, v33, v12
	;; [unrolled: 1-line block ×3, first 2 shown]
	v_fmac_f32_e32 v24, v29, v3
	v_fma_f32 v27, v28, v3, -v4
	v_fma_f32 v28, v30, v9, -v10
	v_fmac_f32_e32 v40, v33, v11
	v_fma_f32 v29, v32, v11, -v12
	ds_load_2addr_b64 v[9:12], v25 offset0:81 offset1:82
	s_wait_loadcnt_dscnt 0x201
	v_dual_mul_f32 v31, v7, v16 :: v_dual_mul_f32 v30, v5, v14
	v_mul_f32_e32 v14, v6, v14
	v_mul_f32_e32 v16, v8, v16
	s_delay_alu instid0(VALU_DEP_3)
	v_fmac_f32_e32 v31, v8, v15
	v_fma_f32 v26, v26, v1, -v2
	scratch_load_b128 v[1:4], off, off offset:168
	v_fmac_f32_e32 v30, v6, v13
	v_fma_f32 v13, v5, v13, -v14
	v_fma_f32 v14, v7, v15, -v16
	s_wait_loadcnt_dscnt 0x200
	v_mul_f32_e32 v15, v9, v18
	v_mul_f32_e32 v16, v10, v18
	;; [unrolled: 1-line block ×4, first 2 shown]
	ds_load_2addr_b64 v[5:8], v25 offset0:83 offset1:84
	v_fmac_f32_e32 v15, v10, v17
	v_fma_f32 v16, v9, v17, -v16
	v_fmac_f32_e32 v18, v12, v19
	v_fma_f32 v17, v11, v19, -v20
	scratch_load_b128 v[9:12], off, off offset:184
	s_wait_loadcnt_dscnt 0x100
	v_mul_f32_e32 v19, v5, v2
	v_mul_f32_e32 v2, v6, v2
	;; [unrolled: 1-line block ×3, first 2 shown]
	s_delay_alu instid0(VALU_DEP_3) | instskip(NEXT) | instid1(VALU_DEP_3)
	v_dual_mul_f32 v4, v8, v4 :: v_dual_fmac_f32 v19, v6, v1
	v_fma_f32 v32, v5, v1, -v2
	s_delay_alu instid0(VALU_DEP_3) | instskip(NEXT) | instid1(VALU_DEP_3)
	v_fmac_f32_e32 v20, v8, v3
	v_fma_f32 v33, v7, v3, -v4
	ds_load_2addr_b64 v[1:4], v25 offset0:85 offset1:86
	ds_load_2addr_b64 v[5:8], v25 offset0:87 offset1:88
	s_wait_loadcnt_dscnt 0x1
	v_mul_f32_e32 v41, v1, v10
	v_mul_f32_e32 v10, v2, v10
	s_delay_alu instid0(VALU_DEP_2) | instskip(NEXT) | instid1(VALU_DEP_2)
	v_dual_mul_f32 v42, v3, v12 :: v_dual_fmac_f32 v41, v2, v9
	v_fma_f32 v43, v1, v9, -v10
	v_mul_f32_e32 v1, v4, v12
	s_delay_alu instid0(VALU_DEP_3) | instskip(NEXT) | instid1(VALU_DEP_2)
	v_fmac_f32_e32 v42, v4, v11
	v_fma_f32 v44, v3, v11, -v1
	s_clause 0x1
	scratch_load_b128 v[1:4], off, off offset:200
	scratch_load_b128 v[9:12], off, off offset:216
	s_wait_loadcnt_dscnt 0x100
	v_mul_f32_e32 v169, v5, v2
	v_dual_mul_f32 v2, v6, v2 :: v_dual_mul_f32 v171, v7, v4
	s_delay_alu instid0(VALU_DEP_2) | instskip(NEXT) | instid1(VALU_DEP_2)
	v_fmac_f32_e32 v169, v6, v1
	v_fma_f32 v170, v5, v1, -v2
	v_mul_f32_e32 v1, v8, v4
	s_delay_alu instid0(VALU_DEP_4) | instskip(NEXT) | instid1(VALU_DEP_2)
	v_fmac_f32_e32 v171, v8, v3
	v_fma_f32 v172, v7, v3, -v1
	ds_load_2addr_b64 v[1:4], v25 offset0:89 offset1:90
	ds_load_2addr_b64 v[5:8], v25 offset0:91 offset1:92
	s_wait_loadcnt_dscnt 0x1
	v_mul_f32_e32 v173, v1, v10
	v_mul_f32_e32 v175, v3, v12
	s_delay_alu instid0(VALU_DEP_2) | instskip(NEXT) | instid1(VALU_DEP_2)
	v_fmac_f32_e32 v173, v2, v9
	v_dual_mul_f32 v2, v2, v10 :: v_dual_fmac_f32 v175, v4, v11
	s_delay_alu instid0(VALU_DEP_1) | instskip(SKIP_1) | instid1(VALU_DEP_1)
	v_fma_f32 v174, v1, v9, -v2
	v_mul_f32_e32 v1, v4, v12
	v_fma_f32 v176, v3, v11, -v1
	s_clause 0x1
	scratch_load_b128 v[1:4], off, off offset:232
	scratch_load_b128 v[9:12], off, off offset:248
	s_wait_loadcnt_dscnt 0x100
	v_mul_f32_e32 v177, v5, v2
	v_dual_mul_f32 v2, v6, v2 :: v_dual_mul_f32 v179, v7, v4
	s_delay_alu instid0(VALU_DEP_2) | instskip(NEXT) | instid1(VALU_DEP_2)
	v_fmac_f32_e32 v177, v6, v1
	v_fma_f32 v178, v5, v1, -v2
	v_mul_f32_e32 v1, v8, v4
	s_delay_alu instid0(VALU_DEP_4) | instskip(NEXT) | instid1(VALU_DEP_2)
	v_fmac_f32_e32 v179, v8, v3
	v_fma_f32 v180, v7, v3, -v1
	ds_load_2addr_b64 v[1:4], v25 offset0:93 offset1:94
	ds_load_2addr_b64 v[5:8], v25 offset0:95 offset1:96
	s_wait_loadcnt_dscnt 0x1
	v_mul_f32_e32 v181, v1, v10
	v_mul_f32_e32 v183, v3, v12
	s_delay_alu instid0(VALU_DEP_2) | instskip(NEXT) | instid1(VALU_DEP_2)
	v_fmac_f32_e32 v181, v2, v9
	v_dual_mul_f32 v2, v2, v10 :: v_dual_fmac_f32 v183, v4, v11
	s_delay_alu instid0(VALU_DEP_1) | instskip(SKIP_1) | instid1(VALU_DEP_1)
	v_fma_f32 v182, v1, v9, -v2
	v_mul_f32_e32 v1, v4, v12
	v_fma_f32 v184, v3, v11, -v1
	s_clause 0x1
	scratch_load_b128 v[1:4], off, off offset:264
	scratch_load_b128 v[9:12], off, off offset:280
	s_wait_loadcnt_dscnt 0x100
	v_mul_f32_e32 v185, v5, v2
	v_dual_mul_f32 v2, v6, v2 :: v_dual_mul_f32 v187, v7, v4
	s_delay_alu instid0(VALU_DEP_2) | instskip(NEXT) | instid1(VALU_DEP_2)
	v_fmac_f32_e32 v185, v6, v1
	v_fma_f32 v186, v5, v1, -v2
	v_mul_f32_e32 v1, v8, v4
	s_delay_alu instid0(VALU_DEP_4) | instskip(NEXT) | instid1(VALU_DEP_2)
	v_fmac_f32_e32 v187, v8, v3
	v_fma_f32 v188, v7, v3, -v1
	ds_load_2addr_b64 v[1:4], v25 offset0:97 offset1:98
	ds_load_2addr_b64 v[5:8], v25 offset0:99 offset1:100
	s_wait_loadcnt_dscnt 0x1
	v_mul_f32_e32 v189, v1, v10
	v_mul_f32_e32 v191, v3, v12
	s_delay_alu instid0(VALU_DEP_2) | instskip(NEXT) | instid1(VALU_DEP_2)
	v_fmac_f32_e32 v189, v2, v9
	v_dual_mul_f32 v2, v2, v10 :: v_dual_fmac_f32 v191, v4, v11
	s_delay_alu instid0(VALU_DEP_1) | instskip(SKIP_1) | instid1(VALU_DEP_1)
	v_fma_f32 v190, v1, v9, -v2
	v_mul_f32_e32 v1, v4, v12
	v_fma_f32 v192, v3, v11, -v1
	s_clause 0x1
	scratch_load_b128 v[1:4], off, off offset:296
	scratch_load_b128 v[9:12], off, off offset:312
	s_wait_loadcnt_dscnt 0x100
	v_mul_f32_e32 v193, v5, v2
	v_dual_mul_f32 v2, v6, v2 :: v_dual_mul_f32 v195, v7, v4
	s_delay_alu instid0(VALU_DEP_2) | instskip(NEXT) | instid1(VALU_DEP_2)
	v_fmac_f32_e32 v193, v6, v1
	v_fma_f32 v194, v5, v1, -v2
	v_mul_f32_e32 v1, v8, v4
	s_delay_alu instid0(VALU_DEP_4) | instskip(NEXT) | instid1(VALU_DEP_2)
	v_fmac_f32_e32 v195, v8, v3
	v_fma_f32 v196, v7, v3, -v1
	ds_load_2addr_b64 v[1:4], v25 offset0:101 offset1:102
	ds_load_2addr_b64 v[5:8], v25 offset0:103 offset1:104
	s_wait_loadcnt_dscnt 0x1
	v_mul_f32_e32 v197, v1, v10
	v_mul_f32_e32 v199, v3, v12
	s_delay_alu instid0(VALU_DEP_2) | instskip(NEXT) | instid1(VALU_DEP_2)
	v_fmac_f32_e32 v197, v2, v9
	v_dual_mul_f32 v2, v2, v10 :: v_dual_fmac_f32 v199, v4, v11
	s_delay_alu instid0(VALU_DEP_1) | instskip(SKIP_1) | instid1(VALU_DEP_1)
	v_fma_f32 v198, v1, v9, -v2
	v_mul_f32_e32 v1, v4, v12
	v_fma_f32 v200, v3, v11, -v1
	s_clause 0x1
	scratch_load_b128 v[1:4], off, off offset:328
	scratch_load_b128 v[9:12], off, off offset:344
	s_wait_loadcnt_dscnt 0x100
	v_mul_f32_e32 v201, v5, v2
	v_dual_mul_f32 v2, v6, v2 :: v_dual_mul_f32 v203, v7, v4
	s_delay_alu instid0(VALU_DEP_2) | instskip(NEXT) | instid1(VALU_DEP_2)
	v_fmac_f32_e32 v201, v6, v1
	v_fma_f32 v202, v5, v1, -v2
	v_mul_f32_e32 v1, v8, v4
	s_delay_alu instid0(VALU_DEP_4) | instskip(NEXT) | instid1(VALU_DEP_2)
	v_fmac_f32_e32 v203, v8, v3
	v_fma_f32 v204, v7, v3, -v1
	ds_load_2addr_b64 v[1:4], v25 offset0:105 offset1:106
	ds_load_2addr_b64 v[5:8], v25 offset0:107 offset1:108
	s_wait_loadcnt_dscnt 0x1
	v_mul_f32_e32 v205, v1, v10
	v_mul_f32_e32 v207, v3, v12
	s_delay_alu instid0(VALU_DEP_2) | instskip(NEXT) | instid1(VALU_DEP_2)
	v_fmac_f32_e32 v205, v2, v9
	v_dual_mul_f32 v2, v2, v10 :: v_dual_fmac_f32 v207, v4, v11
	s_delay_alu instid0(VALU_DEP_1) | instskip(SKIP_1) | instid1(VALU_DEP_1)
	v_fma_f32 v206, v1, v9, -v2
	v_mul_f32_e32 v1, v4, v12
	v_fma_f32 v208, v3, v11, -v1
	s_clause 0x1
	scratch_load_b128 v[1:4], off, off offset:360
	scratch_load_b128 v[9:12], off, off offset:376
	s_wait_loadcnt_dscnt 0x100
	v_mul_f32_e32 v209, v5, v2
	v_dual_mul_f32 v2, v6, v2 :: v_dual_mul_f32 v211, v7, v4
	s_delay_alu instid0(VALU_DEP_2) | instskip(NEXT) | instid1(VALU_DEP_2)
	v_fmac_f32_e32 v209, v6, v1
	v_fma_f32 v210, v5, v1, -v2
	v_mul_f32_e32 v1, v8, v4
	s_delay_alu instid0(VALU_DEP_4) | instskip(NEXT) | instid1(VALU_DEP_2)
	v_fmac_f32_e32 v211, v8, v3
	v_fma_f32 v212, v7, v3, -v1
	ds_load_2addr_b64 v[1:4], v25 offset0:109 offset1:110
	ds_load_2addr_b64 v[5:8], v25 offset0:111 offset1:112
	s_wait_loadcnt_dscnt 0x1
	v_mul_f32_e32 v213, v1, v10
	v_mul_f32_e32 v215, v3, v12
	s_delay_alu instid0(VALU_DEP_2) | instskip(NEXT) | instid1(VALU_DEP_2)
	v_fmac_f32_e32 v213, v2, v9
	v_dual_mul_f32 v2, v2, v10 :: v_dual_fmac_f32 v215, v4, v11
	s_delay_alu instid0(VALU_DEP_1) | instskip(SKIP_1) | instid1(VALU_DEP_1)
	v_fma_f32 v214, v1, v9, -v2
	v_mul_f32_e32 v1, v4, v12
	v_fma_f32 v216, v3, v11, -v1
	s_clause 0x1
	scratch_load_b128 v[1:4], off, off offset:392
	scratch_load_b128 v[9:12], off, off offset:408
	s_wait_loadcnt_dscnt 0x100
	v_mul_f32_e32 v217, v5, v2
	v_mul_f32_e32 v2, v6, v2
	s_delay_alu instid0(VALU_DEP_2) | instskip(NEXT) | instid1(VALU_DEP_2)
	v_fmac_f32_e32 v217, v6, v1
	v_fma_f32 v218, v5, v1, -v2
	v_dual_add_f32 v2, 0, v34 :: v_dual_mul_f32 v1, v8, v4
	s_delay_alu instid0(VALU_DEP_1) | instskip(NEXT) | instid1(VALU_DEP_2)
	v_add_f32_e32 v2, v2, v38
	v_fma_f32 v220, v7, v3, -v1
	s_delay_alu instid0(VALU_DEP_2) | instskip(NEXT) | instid1(VALU_DEP_1)
	v_dual_add_f32 v1, 0, v21 :: v_dual_add_f32 v2, v2, v23
	v_dual_add_f32 v1, v1, v22 :: v_dual_add_f32 v2, v2, v24
	s_delay_alu instid0(VALU_DEP_1) | instskip(NEXT) | instid1(VALU_DEP_1)
	v_add_f32_e32 v2, v2, v39
	v_add_f32_e32 v2, v2, v40
	s_delay_alu instid0(VALU_DEP_1) | instskip(NEXT) | instid1(VALU_DEP_1)
	v_add_f32_e32 v2, v2, v30
	v_add_f32_e32 v2, v2, v31
	;; [unrolled: 3-line block ×3, first 2 shown]
	s_delay_alu instid0(VALU_DEP_1) | instskip(NEXT) | instid1(VALU_DEP_1)
	v_add_f32_e32 v2, v2, v19
	v_dual_add_f32 v2, v2, v20 :: v_dual_add_f32 v1, v1, v26
	s_delay_alu instid0(VALU_DEP_1) | instskip(SKIP_2) | instid1(VALU_DEP_1)
	v_dual_add_f32 v2, v2, v41 :: v_dual_add_f32 v1, v1, v27
	scratch_load_b64 v[26:27], off, off offset:488
	v_dual_add_f32 v2, v2, v42 :: v_dual_add_f32 v1, v1, v28
	v_add_f32_e32 v2, v2, v169
	s_delay_alu instid0(VALU_DEP_1) | instskip(NEXT) | instid1(VALU_DEP_1)
	v_dual_add_f32 v1, v1, v29 :: v_dual_add_f32 v2, v2, v171
	v_add_f32_e32 v1, v1, v13
	s_delay_alu instid0(VALU_DEP_1) | instskip(NEXT) | instid1(VALU_DEP_1)
	v_dual_add_f32 v2, v2, v173 :: v_dual_add_f32 v1, v1, v14
	v_dual_add_f32 v2, v2, v175 :: v_dual_add_f32 v1, v1, v16
	s_delay_alu instid0(VALU_DEP_1) | instskip(NEXT) | instid1(VALU_DEP_1)
	v_add_f32_e32 v2, v2, v177
	v_dual_add_f32 v1, v1, v17 :: v_dual_add_f32 v2, v2, v179
	s_delay_alu instid0(VALU_DEP_1) | instskip(NEXT) | instid1(VALU_DEP_1)
	v_dual_add_f32 v1, v1, v32 :: v_dual_add_f32 v2, v2, v181
	v_dual_add_f32 v1, v1, v33 :: v_dual_add_f32 v2, v2, v183
	s_delay_alu instid0(VALU_DEP_1) | instskip(NEXT) | instid1(VALU_DEP_1)
	v_add_f32_e32 v1, v1, v43
	v_add_f32_e32 v1, v1, v44
	s_delay_alu instid0(VALU_DEP_1) | instskip(NEXT) | instid1(VALU_DEP_1)
	v_add_f32_e32 v1, v1, v170
	v_add_f32_e32 v1, v1, v172
	;; [unrolled: 3-line block ×7, first 2 shown]
	s_delay_alu instid0(VALU_DEP_1) | instskip(SKIP_1) | instid1(VALU_DEP_2)
	v_add_f32_e32 v6, v1, v194
	v_add_f32_e32 v2, v2, v185
	;; [unrolled: 1-line block ×3, first 2 shown]
	s_delay_alu instid0(VALU_DEP_2) | instskip(NEXT) | instid1(VALU_DEP_2)
	v_dual_add_f32 v2, v2, v187 :: v_dual_mul_f32 v219, v7, v4
	v_add_f32_e32 v14, v14, v198
	s_delay_alu instid0(VALU_DEP_2) | instskip(NEXT) | instid1(VALU_DEP_2)
	v_dual_add_f32 v2, v2, v189 :: v_dual_fmac_f32 v219, v8, v3
	v_add_f32_e32 v17, v14, v200
	s_delay_alu instid0(VALU_DEP_2)
	v_add_f32_e32 v5, v2, v191
	scratch_load_b128 v[1:4], off, off offset:424
	v_add_f32_e32 v17, v17, v202
	v_add_f32_e32 v13, v5, v193
	ds_load_2addr_b64 v[5:8], v25 offset0:113 offset1:114
	v_add_f32_e32 v17, v17, v204
	v_add_f32_e32 v13, v13, v195
	s_delay_alu instid0(VALU_DEP_2) | instskip(NEXT) | instid1(VALU_DEP_2)
	v_add_f32_e32 v17, v17, v206
	v_add_f32_e32 v13, v13, v197
	s_delay_alu instid0(VALU_DEP_2) | instskip(NEXT) | instid1(VALU_DEP_2)
	v_add_f32_e32 v22, v17, v208
	v_add_f32_e32 v18, v13, v199
	ds_load_2addr_b64 v[13:16], v25 offset0:115 offset1:116
	v_add_f32_e32 v22, v22, v210
	v_add_f32_e32 v18, v18, v201
	s_wait_loadcnt_dscnt 0x201
	v_mul_f32_e32 v30, v5, v10
	v_dual_mul_f32 v10, v6, v10 :: v_dual_mul_f32 v31, v7, v12
	v_mul_f32_e32 v12, v8, v12
	v_add_f32_e32 v18, v18, v203
	s_delay_alu instid0(VALU_DEP_4) | instskip(NEXT) | instid1(VALU_DEP_4)
	v_fmac_f32_e32 v30, v6, v9
	v_fma_f32 v32, v5, v9, -v10
	v_fmac_f32_e32 v31, v8, v11
	v_fma_f32 v33, v7, v11, -v12
	s_clause 0x1
	scratch_load_b128 v[5:8], off, off offset:440
	scratch_load_b128 v[9:12], off, off offset:456
	v_add_f32_e32 v22, v22, v212
	s_delay_alu instid0(VALU_DEP_1)
	v_add_f32_e32 v22, v22, v214
	s_wait_loadcnt_dscnt 0x200
	v_dual_mul_f32 v34, v13, v2 :: v_dual_add_f32 v21, v18, v205
	scratch_load_b128 v[17:20], off, off offset:472
	v_mul_f32_e32 v38, v15, v4
	v_mul_f32_e32 v2, v14, v2
	v_dual_mul_f32 v4, v16, v4 :: v_dual_add_f32 v21, v21, v207
	v_fmac_f32_e32 v34, v14, v1
	v_add_f32_e32 v14, v22, v216
	s_delay_alu instid0(VALU_DEP_4) | instskip(NEXT) | instid1(VALU_DEP_4)
	v_fma_f32 v39, v13, v1, -v2
	v_dual_fmac_f32 v38, v16, v3 :: v_dual_add_f32 v21, v21, v209
	v_fma_f32 v40, v15, v3, -v4
	ds_load_2addr_b64 v[1:4], v25 offset0:117 offset1:118
	v_dual_add_f32 v28, v14, v218 :: v_dual_add_f32 v21, v21, v211
	s_delay_alu instid0(VALU_DEP_1) | instskip(NEXT) | instid1(VALU_DEP_2)
	v_add_f32_e32 v41, v28, v220
	v_add_f32_e32 v13, v21, v213
	s_delay_alu instid0(VALU_DEP_2) | instskip(NEXT) | instid1(VALU_DEP_2)
	v_add_f32_e32 v32, v41, v32
	v_add_f32_e32 v21, v13, v215
	ds_load_2addr_b64 v[13:16], v25 offset0:119 offset1:120
	v_add_f32_e32 v32, v32, v33
	v_add_f32_e32 v29, v21, v217
	ds_load_2addr_b64 v[21:24], v25 offset0:121 offset1:122
	s_wait_loadcnt_dscnt 0x202
	v_mul_f32_e32 v41, v1, v6
	v_mul_f32_e32 v6, v2, v6
	v_add_f32_e32 v42, v29, v219
	v_add_f32_e32 v32, v32, v39
	ds_load_b64 v[28:29], v25 offset:984
	v_fmac_f32_e32 v41, v2, v5
	v_fma_f32 v1, v1, v5, -v6
	v_add_f32_e32 v30, v42, v30
	v_add_f32_e32 v32, v32, v40
	s_delay_alu instid0(VALU_DEP_2) | instskip(SKIP_2) | instid1(VALU_DEP_2)
	v_dual_add_f32 v30, v30, v31 :: v_dual_mul_f32 v31, v3, v8
	s_wait_loadcnt_dscnt 0x102
	v_dual_mul_f32 v8, v4, v8 :: v_dual_mul_f32 v33, v13, v10
	v_dual_add_f32 v1, v32, v1 :: v_dual_add_f32 v30, v30, v34
	s_delay_alu instid0(VALU_DEP_3) | instskip(NEXT) | instid1(VALU_DEP_3)
	v_fmac_f32_e32 v31, v4, v7
	v_fma_f32 v2, v3, v7, -v8
	v_dual_mul_f32 v3, v14, v10 :: v_dual_mul_f32 v34, v15, v12
	s_delay_alu instid0(VALU_DEP_4) | instskip(SKIP_1) | instid1(VALU_DEP_3)
	v_dual_add_f32 v30, v30, v38 :: v_dual_mul_f32 v5, v16, v12
	v_fmac_f32_e32 v33, v14, v9
	v_fma_f32 v3, v13, v9, -v3
	s_delay_alu instid0(VALU_DEP_3)
	v_dual_add_f32 v1, v1, v2 :: v_dual_add_f32 v4, v30, v41
	v_fmac_f32_e32 v34, v16, v11
	v_fma_f32 v5, v15, v11, -v5
	s_wait_dscnt 0x0
	v_mul_f32_e32 v38, v28, v27
	v_add_f32_e32 v1, v1, v3
	v_add_f32_e32 v2, v4, v31
	s_delay_alu instid0(VALU_DEP_3) | instskip(NEXT) | instid1(VALU_DEP_3)
	v_fmac_f32_e32 v38, v29, v26
	v_add_f32_e32 v1, v1, v5
	s_delay_alu instid0(VALU_DEP_3) | instskip(NEXT) | instid1(VALU_DEP_1)
	v_dual_add_f32 v2, v2, v33 :: v_dual_mul_f32 v5, v29, v27
	v_add_f32_e32 v2, v2, v34
	s_wait_loadcnt 0x0
	v_mul_f32_e32 v39, v21, v18
	v_mul_f32_e32 v4, v22, v18
	;; [unrolled: 1-line block ×4, first 2 shown]
	s_delay_alu instid0(VALU_DEP_4) | instskip(NEXT) | instid1(VALU_DEP_4)
	v_fmac_f32_e32 v39, v22, v17
	v_fma_f32 v4, v21, v17, -v4
	s_delay_alu instid0(VALU_DEP_4) | instskip(NEXT) | instid1(VALU_DEP_4)
	v_fmac_f32_e32 v40, v24, v19
	v_fma_f32 v3, v23, v19, -v3
	s_delay_alu instid0(VALU_DEP_3) | instskip(SKIP_1) | instid1(VALU_DEP_2)
	v_dual_add_f32 v2, v2, v39 :: v_dual_add_f32 v1, v1, v4
	v_fma_f32 v4, v28, v26, -v5
	v_dual_add_f32 v2, v2, v40 :: v_dual_add_f32 v1, v1, v3
	s_delay_alu instid0(VALU_DEP_1) | instskip(NEXT) | instid1(VALU_DEP_1)
	v_dual_add_f32 v2, v2, v38 :: v_dual_add_f32 v1, v1, v4
	v_dual_sub_f32 v2, v37, v2 :: v_dual_sub_f32 v1, v36, v1
	scratch_store_b64 off, v[1:2], off offset:80
	v_cmpx_lt_u32_e32 9, v0
	s_cbranch_execz .LBB61_367
; %bb.366:
	scratch_load_b64 v[1:2], off, off offset:72
	v_mov_b32_e32 v26, v25
	scratch_store_b64 off, v[25:26], off offset:72
	s_wait_loadcnt 0x0
	ds_store_b64 v35, v[1:2]
.LBB61_367:
	s_wait_alu 0xfffe
	s_or_b32 exec_lo, exec_lo, s0
	s_wait_storecnt_dscnt 0x0
	s_barrier_signal -1
	s_barrier_wait -1
	global_inv scope:SCOPE_SE
	s_clause 0x4
	scratch_load_b128 v[5:8], off, off offset:80
	scratch_load_b128 v[1:4], off, off offset:96
	;; [unrolled: 1-line block ×5, first 2 shown]
	ds_load_b128 v[21:24], v25 offset:576
	ds_load_b128 v[26:29], v25 offset:592
	;; [unrolled: 1-line block ×3, first 2 shown]
	scratch_load_b64 v[36:37], off, off offset:72
	s_mov_b32 s0, exec_lo
	s_wait_loadcnt_dscnt 0x502
	v_mul_f32_e32 v34, v21, v6
	v_mul_f32_e32 v38, v23, v8
	s_wait_loadcnt_dscnt 0x300
	v_dual_mul_f32 v8, v24, v8 :: v_dual_mul_f32 v39, v30, v10
	v_mul_f32_e32 v6, v22, v6
	v_fmac_f32_e32 v34, v22, v5
	v_mul_f32_e32 v10, v31, v10
	s_delay_alu instid0(VALU_DEP_4)
	v_fma_f32 v22, v23, v7, -v8
	v_dual_mul_f32 v23, v26, v2 :: v_dual_fmac_f32 v38, v24, v7
	v_fmac_f32_e32 v39, v31, v9
	v_fma_f32 v21, v21, v5, -v6
	ds_load_b128 v[5:8], v25 offset:624
	v_mul_f32_e32 v24, v28, v4
	v_mul_f32_e32 v4, v29, v4
	;; [unrolled: 1-line block ×5, first 2 shown]
	v_dual_fmac_f32 v23, v27, v1 :: v_dual_fmac_f32 v24, v29, v3
	v_fma_f32 v27, v28, v3, -v4
	v_fma_f32 v28, v30, v9, -v10
	v_fmac_f32_e32 v40, v33, v11
	v_fma_f32 v29, v32, v11, -v12
	ds_load_b128 v[9:12], v25 offset:640
	s_wait_loadcnt_dscnt 0x201
	v_dual_mul_f32 v31, v7, v16 :: v_dual_mul_f32 v30, v5, v14
	v_mul_f32_e32 v14, v6, v14
	v_mul_f32_e32 v16, v8, v16
	s_delay_alu instid0(VALU_DEP_3)
	v_fmac_f32_e32 v31, v8, v15
	v_fma_f32 v26, v26, v1, -v2
	scratch_load_b128 v[1:4], off, off offset:160
	v_fmac_f32_e32 v30, v6, v13
	v_fma_f32 v13, v5, v13, -v14
	v_fma_f32 v14, v7, v15, -v16
	ds_load_b128 v[5:8], v25 offset:656
	s_wait_loadcnt_dscnt 0x201
	v_mul_f32_e32 v15, v9, v18
	v_mul_f32_e32 v16, v10, v18
	;; [unrolled: 1-line block ×3, first 2 shown]
	s_delay_alu instid0(VALU_DEP_3) | instskip(NEXT) | instid1(VALU_DEP_3)
	v_dual_mul_f32 v20, v12, v20 :: v_dual_fmac_f32 v15, v10, v17
	v_fma_f32 v16, v9, v17, -v16
	s_delay_alu instid0(VALU_DEP_3) | instskip(NEXT) | instid1(VALU_DEP_3)
	v_fmac_f32_e32 v18, v12, v19
	v_fma_f32 v17, v11, v19, -v20
	scratch_load_b128 v[9:12], off, off offset:176
	s_wait_loadcnt_dscnt 0x100
	v_mul_f32_e32 v19, v5, v2
	v_mul_f32_e32 v2, v6, v2
	;; [unrolled: 1-line block ×3, first 2 shown]
	s_delay_alu instid0(VALU_DEP_3) | instskip(NEXT) | instid1(VALU_DEP_3)
	v_dual_mul_f32 v4, v8, v4 :: v_dual_fmac_f32 v19, v6, v1
	v_fma_f32 v32, v5, v1, -v2
	s_delay_alu instid0(VALU_DEP_3) | instskip(NEXT) | instid1(VALU_DEP_3)
	v_fmac_f32_e32 v20, v8, v3
	v_fma_f32 v33, v7, v3, -v4
	ds_load_b128 v[1:4], v25 offset:672
	ds_load_b128 v[5:8], v25 offset:688
	s_wait_loadcnt_dscnt 0x1
	v_mul_f32_e32 v41, v1, v10
	v_mul_f32_e32 v10, v2, v10
	s_delay_alu instid0(VALU_DEP_2) | instskip(NEXT) | instid1(VALU_DEP_2)
	v_dual_mul_f32 v42, v3, v12 :: v_dual_fmac_f32 v41, v2, v9
	v_fma_f32 v43, v1, v9, -v10
	v_mul_f32_e32 v1, v4, v12
	s_delay_alu instid0(VALU_DEP_3) | instskip(NEXT) | instid1(VALU_DEP_2)
	v_fmac_f32_e32 v42, v4, v11
	v_fma_f32 v44, v3, v11, -v1
	s_clause 0x1
	scratch_load_b128 v[1:4], off, off offset:192
	scratch_load_b128 v[9:12], off, off offset:208
	s_wait_loadcnt_dscnt 0x100
	v_mul_f32_e32 v169, v5, v2
	v_dual_mul_f32 v2, v6, v2 :: v_dual_mul_f32 v171, v7, v4
	s_delay_alu instid0(VALU_DEP_2) | instskip(NEXT) | instid1(VALU_DEP_2)
	v_fmac_f32_e32 v169, v6, v1
	v_fma_f32 v170, v5, v1, -v2
	v_mul_f32_e32 v1, v8, v4
	s_delay_alu instid0(VALU_DEP_4) | instskip(NEXT) | instid1(VALU_DEP_2)
	v_fmac_f32_e32 v171, v8, v3
	v_fma_f32 v172, v7, v3, -v1
	ds_load_b128 v[1:4], v25 offset:704
	ds_load_b128 v[5:8], v25 offset:720
	s_wait_loadcnt_dscnt 0x1
	v_mul_f32_e32 v173, v1, v10
	v_mul_f32_e32 v175, v3, v12
	s_delay_alu instid0(VALU_DEP_2) | instskip(NEXT) | instid1(VALU_DEP_2)
	v_fmac_f32_e32 v173, v2, v9
	v_dual_mul_f32 v2, v2, v10 :: v_dual_fmac_f32 v175, v4, v11
	s_delay_alu instid0(VALU_DEP_1) | instskip(SKIP_1) | instid1(VALU_DEP_1)
	v_fma_f32 v174, v1, v9, -v2
	v_mul_f32_e32 v1, v4, v12
	v_fma_f32 v176, v3, v11, -v1
	s_clause 0x1
	scratch_load_b128 v[1:4], off, off offset:224
	scratch_load_b128 v[9:12], off, off offset:240
	s_wait_loadcnt_dscnt 0x100
	v_mul_f32_e32 v177, v5, v2
	v_dual_mul_f32 v2, v6, v2 :: v_dual_mul_f32 v179, v7, v4
	s_delay_alu instid0(VALU_DEP_2) | instskip(NEXT) | instid1(VALU_DEP_2)
	v_fmac_f32_e32 v177, v6, v1
	v_fma_f32 v178, v5, v1, -v2
	v_mul_f32_e32 v1, v8, v4
	s_delay_alu instid0(VALU_DEP_4) | instskip(NEXT) | instid1(VALU_DEP_2)
	v_fmac_f32_e32 v179, v8, v3
	v_fma_f32 v180, v7, v3, -v1
	ds_load_b128 v[1:4], v25 offset:736
	ds_load_b128 v[5:8], v25 offset:752
	s_wait_loadcnt_dscnt 0x1
	v_mul_f32_e32 v181, v1, v10
	v_mul_f32_e32 v183, v3, v12
	s_delay_alu instid0(VALU_DEP_2) | instskip(NEXT) | instid1(VALU_DEP_2)
	v_fmac_f32_e32 v181, v2, v9
	v_dual_mul_f32 v2, v2, v10 :: v_dual_fmac_f32 v183, v4, v11
	s_delay_alu instid0(VALU_DEP_1) | instskip(SKIP_1) | instid1(VALU_DEP_1)
	v_fma_f32 v182, v1, v9, -v2
	v_mul_f32_e32 v1, v4, v12
	;; [unrolled: 25-line block ×7, first 2 shown]
	v_fma_f32 v224, v3, v11, -v1
	s_clause 0x1
	scratch_load_b128 v[1:4], off, off offset:416
	scratch_load_b128 v[9:12], off, off offset:432
	s_wait_loadcnt_dscnt 0x100
	v_mul_f32_e32 v225, v5, v2
	v_dual_mul_f32 v2, v6, v2 :: v_dual_mul_f32 v227, v7, v4
	s_delay_alu instid0(VALU_DEP_2) | instskip(NEXT) | instid1(VALU_DEP_2)
	v_fmac_f32_e32 v225, v6, v1
	v_fma_f32 v226, v5, v1, -v2
	v_add_f32_e32 v2, 0, v34
	s_delay_alu instid0(VALU_DEP_1) | instskip(NEXT) | instid1(VALU_DEP_1)
	v_add_f32_e32 v2, v2, v38
	v_add_f32_e32 v2, v2, v23
	s_delay_alu instid0(VALU_DEP_1) | instskip(NEXT) | instid1(VALU_DEP_1)
	v_add_f32_e32 v2, v2, v24
	v_add_f32_e32 v2, v2, v39
	s_delay_alu instid0(VALU_DEP_1) | instskip(NEXT) | instid1(VALU_DEP_1)
	v_add_f32_e32 v2, v2, v40
	v_add_f32_e32 v2, v2, v30
	s_delay_alu instid0(VALU_DEP_1) | instskip(NEXT) | instid1(VALU_DEP_1)
	v_add_f32_e32 v2, v2, v31
	v_add_f32_e32 v2, v2, v15
	s_delay_alu instid0(VALU_DEP_1) | instskip(NEXT) | instid1(VALU_DEP_1)
	v_add_f32_e32 v2, v2, v18
	v_add_f32_e32 v2, v2, v19
	s_delay_alu instid0(VALU_DEP_1) | instskip(NEXT) | instid1(VALU_DEP_1)
	v_add_f32_e32 v2, v2, v20
	v_dual_mul_f32 v1, v8, v4 :: v_dual_add_f32 v2, v2, v41
	s_delay_alu instid0(VALU_DEP_1) | instskip(NEXT) | instid1(VALU_DEP_2)
	v_fma_f32 v228, v7, v3, -v1
	v_dual_add_f32 v1, 0, v21 :: v_dual_add_f32 v2, v2, v42
	s_delay_alu instid0(VALU_DEP_1) | instskip(NEXT) | instid1(VALU_DEP_1)
	v_dual_add_f32 v1, v1, v22 :: v_dual_add_f32 v2, v2, v169
	v_dual_add_f32 v1, v1, v26 :: v_dual_add_f32 v2, v2, v171
	s_delay_alu instid0(VALU_DEP_1) | instskip(NEXT) | instid1(VALU_DEP_1)
	v_dual_add_f32 v1, v1, v27 :: v_dual_add_f32 v2, v2, v173
	v_dual_add_f32 v1, v1, v28 :: v_dual_add_f32 v2, v2, v175
	s_delay_alu instid0(VALU_DEP_1) | instskip(NEXT) | instid1(VALU_DEP_2)
	v_add_f32_e32 v1, v1, v29
	v_add_f32_e32 v2, v2, v177
	s_delay_alu instid0(VALU_DEP_1) | instskip(NEXT) | instid1(VALU_DEP_1)
	v_dual_add_f32 v1, v1, v13 :: v_dual_add_f32 v2, v2, v179
	v_dual_add_f32 v1, v1, v14 :: v_dual_add_f32 v2, v2, v181
	s_delay_alu instid0(VALU_DEP_1) | instskip(NEXT) | instid1(VALU_DEP_1)
	v_dual_add_f32 v1, v1, v16 :: v_dual_add_f32 v2, v2, v183
	v_add_f32_e32 v1, v1, v17
	s_delay_alu instid0(VALU_DEP_1) | instskip(NEXT) | instid1(VALU_DEP_1)
	v_dual_add_f32 v2, v2, v185 :: v_dual_add_f32 v1, v1, v32
	v_dual_add_f32 v2, v2, v187 :: v_dual_add_f32 v1, v1, v33
	s_delay_alu instid0(VALU_DEP_1) | instskip(NEXT) | instid1(VALU_DEP_1)
	v_add_f32_e32 v1, v1, v43
	v_add_f32_e32 v1, v1, v44
	s_delay_alu instid0(VALU_DEP_1) | instskip(NEXT) | instid1(VALU_DEP_1)
	v_add_f32_e32 v1, v1, v170
	v_add_f32_e32 v1, v1, v172
	;; [unrolled: 3-line block ×9, first 2 shown]
	v_add_f32_e32 v2, v2, v189
	s_delay_alu instid0(VALU_DEP_2) | instskip(NEXT) | instid1(VALU_DEP_2)
	v_add_f32_e32 v6, v6, v202
	v_add_f32_e32 v2, v2, v191
	s_delay_alu instid0(VALU_DEP_2) | instskip(NEXT) | instid1(VALU_DEP_1)
	v_add_f32_e32 v13, v6, v204
	v_dual_add_f32 v2, v2, v193 :: v_dual_add_f32 v13, v13, v206
	s_delay_alu instid0(VALU_DEP_1) | instskip(NEXT) | instid1(VALU_DEP_1)
	v_dual_add_f32 v2, v2, v195 :: v_dual_add_f32 v13, v13, v208
	v_add_f32_e32 v5, v2, v197
	s_delay_alu instid0(VALU_DEP_2) | instskip(NEXT) | instid1(VALU_DEP_2)
	v_add_f32_e32 v13, v13, v210
	v_add_f32_e32 v5, v5, v199
	s_delay_alu instid0(VALU_DEP_2) | instskip(SKIP_2) | instid1(VALU_DEP_1)
	v_dual_add_f32 v18, v13, v212 :: v_dual_fmac_f32 v227, v8, v3
	ds_load_b128 v[1:4], v25 offset:928
	v_dual_add_f32 v5, v5, v201 :: v_dual_add_f32 v18, v18, v214
	v_add_f32_e32 v14, v5, v203
	ds_load_b128 v[5:8], v25 offset:944
	v_add_f32_e32 v18, v18, v216
	v_add_f32_e32 v14, v14, v205
	s_delay_alu instid0(VALU_DEP_2) | instskip(NEXT) | instid1(VALU_DEP_2)
	v_add_f32_e32 v21, v18, v218
	v_add_f32_e32 v14, v14, v207
	s_delay_alu instid0(VALU_DEP_2) | instskip(SKIP_4) | instid1(VALU_DEP_3)
	v_add_f32_e32 v30, v21, v220
	s_wait_loadcnt_dscnt 0x1
	v_dual_mul_f32 v26, v1, v10 :: v_dual_mul_f32 v27, v3, v12
	v_mul_f32_e32 v10, v2, v10
	v_dual_mul_f32 v12, v4, v12 :: v_dual_add_f32 v17, v14, v209
	v_dual_fmac_f32 v26, v2, v9 :: v_dual_fmac_f32 v27, v4, v11
	s_delay_alu instid0(VALU_DEP_3) | instskip(NEXT) | instid1(VALU_DEP_3)
	v_fma_f32 v28, v1, v9, -v10
	v_fma_f32 v29, v3, v11, -v12
	s_clause 0x2
	scratch_load_b128 v[1:4], off, off offset:448
	scratch_load_b128 v[9:12], off, off offset:464
	;; [unrolled: 1-line block ×3, first 2 shown]
	s_wait_loadcnt_dscnt 0x200
	v_dual_add_f32 v17, v17, v211 :: v_dual_mul_f32 v32, v7, v4
	s_delay_alu instid0(VALU_DEP_1) | instskip(NEXT) | instid1(VALU_DEP_2)
	v_dual_add_f32 v17, v17, v213 :: v_dual_mul_f32 v4, v8, v4
	v_fmac_f32_e32 v32, v8, v3
	s_delay_alu instid0(VALU_DEP_2) | instskip(NEXT) | instid1(VALU_DEP_3)
	v_add_f32_e32 v17, v17, v215
	v_fma_f32 v3, v7, v3, -v4
	s_delay_alu instid0(VALU_DEP_2) | instskip(SKIP_4) | instid1(VALU_DEP_1)
	v_add_f32_e32 v22, v17, v217
	ds_load_b128 v[17:20], v25 offset:960
	v_add_f32_e32 v31, v22, v219
	ds_load_b128 v[21:24], v25 offset:976
	v_add_f32_e32 v25, v30, v222
	v_add_f32_e32 v25, v25, v224
	s_delay_alu instid0(VALU_DEP_1) | instskip(SKIP_2) | instid1(VALU_DEP_2)
	v_add_f32_e32 v25, v25, v226
	s_wait_loadcnt_dscnt 0x101
	v_mul_f32_e32 v33, v17, v10
	v_add_f32_e32 v25, v25, v228
	v_mul_f32_e32 v34, v19, v12
	v_mul_f32_e32 v4, v20, v12
	s_wait_loadcnt_dscnt 0x0
	v_mul_f32_e32 v38, v21, v14
	v_dual_add_f32 v30, v31, v221 :: v_dual_mul_f32 v31, v5, v2
	v_dual_mul_f32 v2, v6, v2 :: v_dual_add_f32 v25, v25, v28
	v_fmac_f32_e32 v33, v18, v9
	s_delay_alu instid0(VALU_DEP_3) | instskip(NEXT) | instid1(VALU_DEP_4)
	v_add_f32_e32 v30, v30, v223
	v_fmac_f32_e32 v31, v6, v1
	s_delay_alu instid0(VALU_DEP_4) | instskip(SKIP_1) | instid1(VALU_DEP_4)
	v_fma_f32 v2, v5, v1, -v2
	v_dual_add_f32 v1, v25, v29 :: v_dual_mul_f32 v6, v18, v10
	v_add_f32_e32 v30, v30, v225
	v_fmac_f32_e32 v34, v20, v11
	v_fma_f32 v4, v19, v11, -v4
	s_delay_alu instid0(VALU_DEP_4) | instskip(NEXT) | instid1(VALU_DEP_4)
	v_dual_add_f32 v1, v1, v2 :: v_dual_mul_f32 v28, v23, v16
	v_add_f32_e32 v30, v30, v227
	s_delay_alu instid0(VALU_DEP_2) | instskip(SKIP_1) | instid1(VALU_DEP_3)
	v_dual_fmac_f32 v38, v22, v13 :: v_dual_add_f32 v1, v1, v3
	v_mul_f32_e32 v3, v22, v14
	v_add_f32_e32 v26, v30, v26
	v_fmac_f32_e32 v28, v24, v15
	s_delay_alu instid0(VALU_DEP_3) | instskip(NEXT) | instid1(VALU_DEP_3)
	v_fma_f32 v3, v21, v13, -v3
	v_add_f32_e32 v5, v26, v27
	s_delay_alu instid0(VALU_DEP_1) | instskip(SKIP_1) | instid1(VALU_DEP_1)
	v_add_f32_e32 v2, v5, v31
	v_fma_f32 v5, v17, v9, -v6
	v_dual_add_f32 v2, v2, v32 :: v_dual_add_f32 v1, v1, v5
	s_delay_alu instid0(VALU_DEP_1) | instskip(NEXT) | instid1(VALU_DEP_2)
	v_dual_mul_f32 v5, v24, v16 :: v_dual_add_f32 v2, v2, v33
	v_add_f32_e32 v1, v1, v4
	s_delay_alu instid0(VALU_DEP_2) | instskip(NEXT) | instid1(VALU_DEP_2)
	v_fma_f32 v4, v23, v15, -v5
	v_dual_add_f32 v2, v2, v34 :: v_dual_add_f32 v1, v1, v3
	s_delay_alu instid0(VALU_DEP_1) | instskip(NEXT) | instid1(VALU_DEP_1)
	v_dual_add_f32 v2, v2, v38 :: v_dual_add_f32 v1, v1, v4
	v_dual_add_f32 v2, v2, v28 :: v_dual_sub_f32 v1, v36, v1
	s_delay_alu instid0(VALU_DEP_1)
	v_sub_f32_e32 v2, v37, v2
	scratch_store_b64 off, v[1:2], off offset:72
	v_cmpx_lt_u32_e32 8, v0
	s_cbranch_execz .LBB61_369
; %bb.368:
	scratch_load_b64 v[1:2], off, off offset:64
	v_mov_b32_e32 v3, 0
	s_delay_alu instid0(VALU_DEP_1)
	v_mov_b32_e32 v4, v3
	scratch_store_b64 off, v[3:4], off offset:64
	s_wait_loadcnt 0x0
	ds_store_b64 v35, v[1:2]
.LBB61_369:
	s_wait_alu 0xfffe
	s_or_b32 exec_lo, exec_lo, s0
	s_wait_storecnt_dscnt 0x0
	s_barrier_signal -1
	s_barrier_wait -1
	global_inv scope:SCOPE_SE
	s_clause 0x4
	scratch_load_b128 v[5:8], off, off offset:72
	scratch_load_b128 v[1:4], off, off offset:88
	;; [unrolled: 1-line block ×5, first 2 shown]
	v_mov_b32_e32 v25, 0
	ds_load_2addr_b64 v[21:24], v25 offset0:71 offset1:72
	ds_load_2addr_b64 v[26:29], v25 offset0:73 offset1:74
	;; [unrolled: 1-line block ×3, first 2 shown]
	scratch_load_b64 v[36:37], off, off offset:64
	s_mov_b32 s0, exec_lo
	s_wait_loadcnt_dscnt 0x502
	v_mul_f32_e32 v34, v21, v6
	v_mul_f32_e32 v38, v23, v8
	s_wait_loadcnt_dscnt 0x300
	v_dual_mul_f32 v8, v24, v8 :: v_dual_mul_f32 v39, v30, v10
	v_mul_f32_e32 v6, v22, v6
	v_fmac_f32_e32 v34, v22, v5
	v_mul_f32_e32 v40, v32, v12
	s_delay_alu instid0(VALU_DEP_4) | instskip(SKIP_2) | instid1(VALU_DEP_2)
	v_fma_f32 v22, v23, v7, -v8
	v_dual_mul_f32 v23, v26, v2 :: v_dual_fmac_f32 v38, v24, v7
	v_dual_fmac_f32 v39, v31, v9 :: v_dual_mul_f32 v24, v28, v4
	v_dual_mul_f32 v4, v29, v4 :: v_dual_fmac_f32 v23, v27, v1
	v_fma_f32 v21, v21, v5, -v6
	ds_load_2addr_b64 v[5:8], v25 offset0:77 offset1:78
	v_mul_f32_e32 v10, v31, v10
	v_mul_f32_e32 v12, v33, v12
	;; [unrolled: 1-line block ×3, first 2 shown]
	v_fmac_f32_e32 v24, v29, v3
	v_fma_f32 v27, v28, v3, -v4
	v_fmac_f32_e32 v40, v33, v11
	v_fma_f32 v28, v30, v9, -v10
	v_fma_f32 v29, v32, v11, -v12
	ds_load_2addr_b64 v[9:12], v25 offset0:79 offset1:80
	s_wait_loadcnt_dscnt 0x201
	v_dual_mul_f32 v31, v7, v16 :: v_dual_mul_f32 v30, v5, v14
	v_mul_f32_e32 v14, v6, v14
	v_mul_f32_e32 v16, v8, v16
	s_delay_alu instid0(VALU_DEP_3)
	v_fmac_f32_e32 v31, v8, v15
	v_fma_f32 v26, v26, v1, -v2
	scratch_load_b128 v[1:4], off, off offset:152
	v_fmac_f32_e32 v30, v6, v13
	v_fma_f32 v13, v5, v13, -v14
	v_fma_f32 v14, v7, v15, -v16
	s_wait_loadcnt_dscnt 0x200
	v_mul_f32_e32 v15, v9, v18
	v_mul_f32_e32 v16, v10, v18
	;; [unrolled: 1-line block ×4, first 2 shown]
	ds_load_2addr_b64 v[5:8], v25 offset0:81 offset1:82
	v_fmac_f32_e32 v15, v10, v17
	v_fma_f32 v16, v9, v17, -v16
	v_fmac_f32_e32 v18, v12, v19
	v_fma_f32 v17, v11, v19, -v20
	scratch_load_b128 v[9:12], off, off offset:168
	s_wait_loadcnt_dscnt 0x100
	v_mul_f32_e32 v19, v5, v2
	v_mul_f32_e32 v2, v6, v2
	;; [unrolled: 1-line block ×3, first 2 shown]
	s_delay_alu instid0(VALU_DEP_3) | instskip(NEXT) | instid1(VALU_DEP_3)
	v_dual_mul_f32 v4, v8, v4 :: v_dual_fmac_f32 v19, v6, v1
	v_fma_f32 v32, v5, v1, -v2
	s_delay_alu instid0(VALU_DEP_3) | instskip(NEXT) | instid1(VALU_DEP_3)
	v_fmac_f32_e32 v20, v8, v3
	v_fma_f32 v33, v7, v3, -v4
	ds_load_2addr_b64 v[1:4], v25 offset0:83 offset1:84
	ds_load_2addr_b64 v[5:8], v25 offset0:85 offset1:86
	s_wait_loadcnt_dscnt 0x1
	v_mul_f32_e32 v41, v1, v10
	v_mul_f32_e32 v10, v2, v10
	s_delay_alu instid0(VALU_DEP_2) | instskip(NEXT) | instid1(VALU_DEP_2)
	v_dual_mul_f32 v42, v3, v12 :: v_dual_fmac_f32 v41, v2, v9
	v_fma_f32 v43, v1, v9, -v10
	v_mul_f32_e32 v1, v4, v12
	s_delay_alu instid0(VALU_DEP_3) | instskip(NEXT) | instid1(VALU_DEP_2)
	v_fmac_f32_e32 v42, v4, v11
	v_fma_f32 v44, v3, v11, -v1
	s_clause 0x1
	scratch_load_b128 v[1:4], off, off offset:184
	scratch_load_b128 v[9:12], off, off offset:200
	s_wait_loadcnt_dscnt 0x100
	v_mul_f32_e32 v169, v5, v2
	v_dual_mul_f32 v2, v6, v2 :: v_dual_mul_f32 v171, v7, v4
	s_delay_alu instid0(VALU_DEP_2) | instskip(NEXT) | instid1(VALU_DEP_2)
	v_fmac_f32_e32 v169, v6, v1
	v_fma_f32 v170, v5, v1, -v2
	v_mul_f32_e32 v1, v8, v4
	s_delay_alu instid0(VALU_DEP_4) | instskip(NEXT) | instid1(VALU_DEP_2)
	v_fmac_f32_e32 v171, v8, v3
	v_fma_f32 v172, v7, v3, -v1
	ds_load_2addr_b64 v[1:4], v25 offset0:87 offset1:88
	ds_load_2addr_b64 v[5:8], v25 offset0:89 offset1:90
	s_wait_loadcnt_dscnt 0x1
	v_mul_f32_e32 v173, v1, v10
	v_mul_f32_e32 v175, v3, v12
	s_delay_alu instid0(VALU_DEP_2) | instskip(NEXT) | instid1(VALU_DEP_2)
	v_fmac_f32_e32 v173, v2, v9
	v_dual_mul_f32 v2, v2, v10 :: v_dual_fmac_f32 v175, v4, v11
	s_delay_alu instid0(VALU_DEP_1) | instskip(SKIP_1) | instid1(VALU_DEP_1)
	v_fma_f32 v174, v1, v9, -v2
	v_mul_f32_e32 v1, v4, v12
	v_fma_f32 v176, v3, v11, -v1
	s_clause 0x1
	scratch_load_b128 v[1:4], off, off offset:216
	scratch_load_b128 v[9:12], off, off offset:232
	s_wait_loadcnt_dscnt 0x100
	v_mul_f32_e32 v177, v5, v2
	v_dual_mul_f32 v2, v6, v2 :: v_dual_mul_f32 v179, v7, v4
	s_delay_alu instid0(VALU_DEP_2) | instskip(NEXT) | instid1(VALU_DEP_2)
	v_fmac_f32_e32 v177, v6, v1
	v_fma_f32 v178, v5, v1, -v2
	v_mul_f32_e32 v1, v8, v4
	s_delay_alu instid0(VALU_DEP_4) | instskip(NEXT) | instid1(VALU_DEP_2)
	v_fmac_f32_e32 v179, v8, v3
	v_fma_f32 v180, v7, v3, -v1
	ds_load_2addr_b64 v[1:4], v25 offset0:91 offset1:92
	ds_load_2addr_b64 v[5:8], v25 offset0:93 offset1:94
	s_wait_loadcnt_dscnt 0x1
	v_mul_f32_e32 v181, v1, v10
	v_mul_f32_e32 v183, v3, v12
	s_delay_alu instid0(VALU_DEP_2) | instskip(NEXT) | instid1(VALU_DEP_2)
	v_fmac_f32_e32 v181, v2, v9
	v_dual_mul_f32 v2, v2, v10 :: v_dual_fmac_f32 v183, v4, v11
	s_delay_alu instid0(VALU_DEP_1) | instskip(SKIP_1) | instid1(VALU_DEP_1)
	v_fma_f32 v182, v1, v9, -v2
	v_mul_f32_e32 v1, v4, v12
	;; [unrolled: 25-line block ×7, first 2 shown]
	v_fma_f32 v224, v3, v11, -v1
	s_clause 0x1
	scratch_load_b128 v[1:4], off, off offset:408
	scratch_load_b128 v[9:12], off, off offset:424
	s_wait_loadcnt_dscnt 0x100
	v_mul_f32_e32 v225, v5, v2
	v_dual_mul_f32 v2, v6, v2 :: v_dual_mul_f32 v227, v7, v4
	s_delay_alu instid0(VALU_DEP_2) | instskip(NEXT) | instid1(VALU_DEP_2)
	v_fmac_f32_e32 v225, v6, v1
	v_fma_f32 v226, v5, v1, -v2
	v_add_f32_e32 v2, 0, v34
	s_delay_alu instid0(VALU_DEP_1) | instskip(NEXT) | instid1(VALU_DEP_1)
	v_add_f32_e32 v2, v2, v38
	v_add_f32_e32 v2, v2, v23
	s_delay_alu instid0(VALU_DEP_1) | instskip(NEXT) | instid1(VALU_DEP_1)
	v_add_f32_e32 v2, v2, v24
	;; [unrolled: 3-line block ×6, first 2 shown]
	v_dual_mul_f32 v1, v8, v4 :: v_dual_add_f32 v2, v2, v41
	s_delay_alu instid0(VALU_DEP_1) | instskip(NEXT) | instid1(VALU_DEP_2)
	v_fma_f32 v228, v7, v3, -v1
	v_dual_add_f32 v1, 0, v21 :: v_dual_add_f32 v2, v2, v42
	s_delay_alu instid0(VALU_DEP_1) | instskip(NEXT) | instid1(VALU_DEP_1)
	v_dual_add_f32 v1, v1, v22 :: v_dual_add_f32 v2, v2, v169
	v_dual_add_f32 v1, v1, v26 :: v_dual_add_f32 v2, v2, v171
	s_delay_alu instid0(VALU_DEP_1) | instskip(SKIP_2) | instid1(VALU_DEP_1)
	v_add_f32_e32 v1, v1, v27
	scratch_load_b64 v[26:27], off, off offset:488
	v_dual_add_f32 v2, v2, v173 :: v_dual_add_f32 v1, v1, v28
	v_dual_add_f32 v2, v2, v175 :: v_dual_add_f32 v1, v1, v29
	s_delay_alu instid0(VALU_DEP_1) | instskip(NEXT) | instid1(VALU_DEP_1)
	v_add_f32_e32 v2, v2, v177
	v_dual_add_f32 v1, v1, v13 :: v_dual_add_f32 v2, v2, v179
	s_delay_alu instid0(VALU_DEP_1) | instskip(NEXT) | instid1(VALU_DEP_1)
	v_dual_add_f32 v1, v1, v14 :: v_dual_add_f32 v2, v2, v181
	v_dual_add_f32 v1, v1, v16 :: v_dual_add_f32 v2, v2, v183
	s_delay_alu instid0(VALU_DEP_1) | instskip(NEXT) | instid1(VALU_DEP_1)
	v_add_f32_e32 v1, v1, v17
	v_add_f32_e32 v1, v1, v32
	s_delay_alu instid0(VALU_DEP_1) | instskip(NEXT) | instid1(VALU_DEP_1)
	v_add_f32_e32 v1, v1, v33
	v_add_f32_e32 v1, v1, v43
	s_delay_alu instid0(VALU_DEP_1) | instskip(NEXT) | instid1(VALU_DEP_1)
	v_add_f32_e32 v1, v1, v44
	v_add_f32_e32 v1, v1, v170
	s_delay_alu instid0(VALU_DEP_1) | instskip(NEXT) | instid1(VALU_DEP_1)
	v_add_f32_e32 v1, v1, v172
	v_add_f32_e32 v1, v1, v174
	s_delay_alu instid0(VALU_DEP_1) | instskip(NEXT) | instid1(VALU_DEP_1)
	v_add_f32_e32 v1, v1, v176
	v_add_f32_e32 v1, v1, v178
	s_delay_alu instid0(VALU_DEP_1) | instskip(NEXT) | instid1(VALU_DEP_1)
	v_add_f32_e32 v1, v1, v180
	v_add_f32_e32 v1, v1, v182
	s_delay_alu instid0(VALU_DEP_1) | instskip(NEXT) | instid1(VALU_DEP_1)
	v_add_f32_e32 v1, v1, v184
	v_add_f32_e32 v1, v1, v186
	s_delay_alu instid0(VALU_DEP_1) | instskip(NEXT) | instid1(VALU_DEP_1)
	v_add_f32_e32 v1, v1, v188
	v_add_f32_e32 v1, v1, v190
	s_delay_alu instid0(VALU_DEP_1) | instskip(NEXT) | instid1(VALU_DEP_1)
	v_add_f32_e32 v1, v1, v192
	v_add_f32_e32 v1, v1, v194
	s_delay_alu instid0(VALU_DEP_1) | instskip(NEXT) | instid1(VALU_DEP_1)
	v_add_f32_e32 v1, v1, v196
	v_add_f32_e32 v1, v1, v198
	s_delay_alu instid0(VALU_DEP_1) | instskip(SKIP_1) | instid1(VALU_DEP_2)
	v_add_f32_e32 v6, v1, v200
	v_add_f32_e32 v2, v2, v185
	;; [unrolled: 1-line block ×3, first 2 shown]
	s_delay_alu instid0(VALU_DEP_2) | instskip(NEXT) | instid1(VALU_DEP_2)
	v_add_f32_e32 v2, v2, v187
	v_add_f32_e32 v13, v6, v204
	s_delay_alu instid0(VALU_DEP_1) | instskip(NEXT) | instid1(VALU_DEP_1)
	v_dual_add_f32 v2, v2, v189 :: v_dual_add_f32 v13, v13, v206
	v_dual_add_f32 v2, v2, v191 :: v_dual_add_f32 v13, v13, v208
	s_delay_alu instid0(VALU_DEP_1) | instskip(NEXT) | instid1(VALU_DEP_1)
	v_dual_add_f32 v2, v2, v193 :: v_dual_add_f32 v13, v13, v210
	v_add_f32_e32 v2, v2, v195
	s_delay_alu instid0(VALU_DEP_2) | instskip(NEXT) | instid1(VALU_DEP_2)
	v_dual_add_f32 v18, v13, v212 :: v_dual_fmac_f32 v227, v8, v3
	v_add_f32_e32 v5, v2, v197
	ds_load_2addr_b64 v[1:4], v25 offset0:115 offset1:116
	v_dual_add_f32 v18, v18, v214 :: v_dual_add_f32 v5, v5, v199
	s_delay_alu instid0(VALU_DEP_1) | instskip(NEXT) | instid1(VALU_DEP_1)
	v_dual_add_f32 v18, v18, v216 :: v_dual_add_f32 v5, v5, v201
	v_add_f32_e32 v18, v18, v218
	s_delay_alu instid0(VALU_DEP_2)
	v_add_f32_e32 v14, v5, v203
	ds_load_2addr_b64 v[5:8], v25 offset0:117 offset1:118
	v_add_f32_e32 v18, v18, v220
	s_wait_loadcnt_dscnt 0x101
	v_mul_f32_e32 v30, v1, v10
	v_dual_mul_f32 v10, v2, v10 :: v_dual_mul_f32 v31, v3, v12
	v_mul_f32_e32 v12, v4, v12
	v_add_f32_e32 v28, v18, v222
	s_delay_alu instid0(VALU_DEP_4) | instskip(NEXT) | instid1(VALU_DEP_4)
	v_fmac_f32_e32 v30, v2, v9
	v_fma_f32 v32, v1, v9, -v10
	v_fmac_f32_e32 v31, v4, v11
	v_fma_f32 v33, v3, v11, -v12
	s_clause 0x1
	scratch_load_b128 v[1:4], off, off offset:440
	scratch_load_b128 v[9:12], off, off offset:456
	v_add_f32_e32 v34, v28, v224
	v_add_f32_e32 v14, v14, v205
	s_delay_alu instid0(VALU_DEP_2) | instskip(NEXT) | instid1(VALU_DEP_2)
	v_add_f32_e32 v34, v34, v226
	v_add_f32_e32 v14, v14, v207
	s_delay_alu instid0(VALU_DEP_2) | instskip(NEXT) | instid1(VALU_DEP_2)
	v_add_f32_e32 v34, v34, v228
	v_add_f32_e32 v17, v14, v209
	scratch_load_b128 v[13:16], off, off offset:472
	v_dual_add_f32 v32, v34, v32 :: v_dual_add_f32 v17, v17, v211
	s_delay_alu instid0(VALU_DEP_1) | instskip(SKIP_1) | instid1(VALU_DEP_2)
	v_add_f32_e32 v32, v32, v33
	s_wait_loadcnt_dscnt 0x200
	v_dual_mul_f32 v40, v7, v4 :: v_dual_add_f32 v17, v17, v213
	v_dual_mul_f32 v4, v8, v4 :: v_dual_mul_f32 v39, v5, v2
	v_mul_f32_e32 v2, v6, v2
	s_delay_alu instid0(VALU_DEP_3) | instskip(NEXT) | instid1(VALU_DEP_4)
	v_fmac_f32_e32 v40, v8, v3
	v_add_f32_e32 v17, v17, v215
	s_delay_alu instid0(VALU_DEP_4) | instskip(NEXT) | instid1(VALU_DEP_4)
	v_fmac_f32_e32 v39, v6, v1
	v_fma_f32 v2, v5, v1, -v2
	v_fma_f32 v1, v7, v3, -v4
	s_delay_alu instid0(VALU_DEP_2) | instskip(NEXT) | instid1(VALU_DEP_1)
	v_dual_add_f32 v17, v17, v217 :: v_dual_add_f32 v2, v32, v2
	v_add_f32_e32 v21, v17, v219
	ds_load_2addr_b64 v[17:20], v25 offset0:119 offset1:120
	v_add_f32_e32 v1, v2, v1
	v_add_f32_e32 v29, v21, v221
	ds_load_2addr_b64 v[21:24], v25 offset0:121 offset1:122
	v_add_f32_e32 v38, v29, v223
	ds_load_b64 v[28:29], v25 offset:984
	v_add_f32_e32 v38, v38, v225
	s_delay_alu instid0(VALU_DEP_1) | instskip(SKIP_3) | instid1(VALU_DEP_3)
	v_add_f32_e32 v38, v38, v227
	s_wait_loadcnt_dscnt 0x102
	v_mul_f32_e32 v34, v17, v10
	v_mul_f32_e32 v3, v18, v10
	v_dual_mul_f32 v5, v20, v12 :: v_dual_add_f32 v30, v38, v30
	v_mul_f32_e32 v38, v19, v12
	s_delay_alu instid0(VALU_DEP_4) | instskip(NEXT) | instid1(VALU_DEP_4)
	v_fmac_f32_e32 v34, v18, v9
	v_fma_f32 v3, v17, v9, -v3
	s_wait_loadcnt_dscnt 0x1
	v_dual_mul_f32 v41, v21, v14 :: v_dual_add_f32 v30, v30, v31
	v_fmac_f32_e32 v38, v20, v11
	v_fma_f32 v5, v19, v11, -v5
	v_add_f32_e32 v1, v1, v3
	s_delay_alu instid0(VALU_DEP_4) | instskip(SKIP_2) | instid1(VALU_DEP_4)
	v_dual_mul_f32 v33, v23, v16 :: v_dual_add_f32 v4, v30, v39
	v_mul_f32_e32 v3, v24, v16
	v_fmac_f32_e32 v41, v22, v13
	v_add_f32_e32 v1, v1, v5
	s_wait_dscnt 0x0
	v_mul_f32_e32 v31, v28, v27
	v_add_f32_e32 v2, v4, v40
	v_dual_mul_f32 v4, v22, v14 :: v_dual_mul_f32 v5, v29, v27
	v_fmac_f32_e32 v33, v24, v15
	v_fma_f32 v3, v23, v15, -v3
	s_delay_alu instid0(VALU_DEP_4) | instskip(NEXT) | instid1(VALU_DEP_4)
	v_add_f32_e32 v2, v2, v34
	v_fma_f32 v4, v21, v13, -v4
	v_fmac_f32_e32 v31, v29, v26
	s_delay_alu instid0(VALU_DEP_2) | instskip(SKIP_1) | instid1(VALU_DEP_2)
	v_dual_add_f32 v2, v2, v38 :: v_dual_add_f32 v1, v1, v4
	v_fma_f32 v4, v28, v26, -v5
	v_dual_add_f32 v2, v2, v41 :: v_dual_add_f32 v1, v1, v3
	s_delay_alu instid0(VALU_DEP_1) | instskip(NEXT) | instid1(VALU_DEP_1)
	v_dual_add_f32 v2, v2, v33 :: v_dual_add_f32 v1, v1, v4
	v_dual_add_f32 v2, v2, v31 :: v_dual_sub_f32 v1, v36, v1
	s_delay_alu instid0(VALU_DEP_1)
	v_sub_f32_e32 v2, v37, v2
	scratch_store_b64 off, v[1:2], off offset:64
	v_cmpx_lt_u32_e32 7, v0
	s_cbranch_execz .LBB61_371
; %bb.370:
	scratch_load_b64 v[1:2], off, off offset:56
	v_mov_b32_e32 v26, v25
	scratch_store_b64 off, v[25:26], off offset:56
	s_wait_loadcnt 0x0
	ds_store_b64 v35, v[1:2]
.LBB61_371:
	s_wait_alu 0xfffe
	s_or_b32 exec_lo, exec_lo, s0
	s_wait_storecnt_dscnt 0x0
	s_barrier_signal -1
	s_barrier_wait -1
	global_inv scope:SCOPE_SE
	s_clause 0x4
	scratch_load_b128 v[5:8], off, off offset:64
	scratch_load_b128 v[1:4], off, off offset:80
	;; [unrolled: 1-line block ×5, first 2 shown]
	ds_load_b128 v[21:24], v25 offset:560
	ds_load_b128 v[26:29], v25 offset:576
	;; [unrolled: 1-line block ×3, first 2 shown]
	scratch_load_b64 v[36:37], off, off offset:56
	s_mov_b32 s0, exec_lo
	s_wait_loadcnt_dscnt 0x502
	v_mul_f32_e32 v34, v21, v6
	v_mul_f32_e32 v38, v23, v8
	s_wait_loadcnt_dscnt 0x300
	v_dual_mul_f32 v8, v24, v8 :: v_dual_mul_f32 v39, v30, v10
	v_mul_f32_e32 v6, v22, v6
	v_fmac_f32_e32 v34, v22, v5
	v_mul_f32_e32 v40, v32, v12
	s_delay_alu instid0(VALU_DEP_4)
	v_fma_f32 v22, v23, v7, -v8
	v_dual_mul_f32 v23, v26, v2 :: v_dual_fmac_f32 v38, v24, v7
	v_fmac_f32_e32 v39, v31, v9
	v_fma_f32 v21, v21, v5, -v6
	ds_load_b128 v[5:8], v25 offset:608
	v_mul_f32_e32 v24, v28, v4
	v_mul_f32_e32 v4, v29, v4
	v_mul_f32_e32 v10, v31, v10
	v_mul_f32_e32 v12, v33, v12
	v_mul_f32_e32 v2, v27, v2
	v_dual_fmac_f32 v23, v27, v1 :: v_dual_fmac_f32 v24, v29, v3
	v_fma_f32 v27, v28, v3, -v4
	v_fmac_f32_e32 v40, v33, v11
	v_fma_f32 v28, v30, v9, -v10
	v_fma_f32 v29, v32, v11, -v12
	ds_load_b128 v[9:12], v25 offset:624
	s_wait_loadcnt_dscnt 0x201
	v_dual_mul_f32 v31, v7, v16 :: v_dual_mul_f32 v30, v5, v14
	v_mul_f32_e32 v14, v6, v14
	v_mul_f32_e32 v16, v8, v16
	s_delay_alu instid0(VALU_DEP_3)
	v_fmac_f32_e32 v31, v8, v15
	v_fma_f32 v26, v26, v1, -v2
	scratch_load_b128 v[1:4], off, off offset:144
	v_fmac_f32_e32 v30, v6, v13
	v_fma_f32 v13, v5, v13, -v14
	v_fma_f32 v14, v7, v15, -v16
	ds_load_b128 v[5:8], v25 offset:640
	s_wait_loadcnt_dscnt 0x201
	v_mul_f32_e32 v15, v9, v18
	v_mul_f32_e32 v16, v10, v18
	;; [unrolled: 1-line block ×3, first 2 shown]
	s_delay_alu instid0(VALU_DEP_3) | instskip(NEXT) | instid1(VALU_DEP_3)
	v_dual_mul_f32 v20, v12, v20 :: v_dual_fmac_f32 v15, v10, v17
	v_fma_f32 v16, v9, v17, -v16
	s_delay_alu instid0(VALU_DEP_3) | instskip(NEXT) | instid1(VALU_DEP_3)
	v_fmac_f32_e32 v18, v12, v19
	v_fma_f32 v17, v11, v19, -v20
	scratch_load_b128 v[9:12], off, off offset:160
	s_wait_loadcnt_dscnt 0x100
	v_mul_f32_e32 v19, v5, v2
	v_mul_f32_e32 v2, v6, v2
	;; [unrolled: 1-line block ×3, first 2 shown]
	s_delay_alu instid0(VALU_DEP_3) | instskip(NEXT) | instid1(VALU_DEP_3)
	v_dual_mul_f32 v4, v8, v4 :: v_dual_fmac_f32 v19, v6, v1
	v_fma_f32 v32, v5, v1, -v2
	s_delay_alu instid0(VALU_DEP_3) | instskip(NEXT) | instid1(VALU_DEP_3)
	v_fmac_f32_e32 v20, v8, v3
	v_fma_f32 v33, v7, v3, -v4
	ds_load_b128 v[1:4], v25 offset:656
	ds_load_b128 v[5:8], v25 offset:672
	s_wait_loadcnt_dscnt 0x1
	v_mul_f32_e32 v41, v1, v10
	v_mul_f32_e32 v10, v2, v10
	s_delay_alu instid0(VALU_DEP_2) | instskip(NEXT) | instid1(VALU_DEP_2)
	v_dual_mul_f32 v42, v3, v12 :: v_dual_fmac_f32 v41, v2, v9
	v_fma_f32 v43, v1, v9, -v10
	v_mul_f32_e32 v1, v4, v12
	s_delay_alu instid0(VALU_DEP_3) | instskip(NEXT) | instid1(VALU_DEP_2)
	v_fmac_f32_e32 v42, v4, v11
	v_fma_f32 v44, v3, v11, -v1
	s_clause 0x1
	scratch_load_b128 v[1:4], off, off offset:176
	scratch_load_b128 v[9:12], off, off offset:192
	s_wait_loadcnt_dscnt 0x100
	v_mul_f32_e32 v169, v5, v2
	v_dual_mul_f32 v2, v6, v2 :: v_dual_mul_f32 v171, v7, v4
	s_delay_alu instid0(VALU_DEP_2) | instskip(NEXT) | instid1(VALU_DEP_2)
	v_fmac_f32_e32 v169, v6, v1
	v_fma_f32 v170, v5, v1, -v2
	v_mul_f32_e32 v1, v8, v4
	s_delay_alu instid0(VALU_DEP_4) | instskip(NEXT) | instid1(VALU_DEP_2)
	v_fmac_f32_e32 v171, v8, v3
	v_fma_f32 v172, v7, v3, -v1
	ds_load_b128 v[1:4], v25 offset:688
	ds_load_b128 v[5:8], v25 offset:704
	s_wait_loadcnt_dscnt 0x1
	v_mul_f32_e32 v173, v1, v10
	v_mul_f32_e32 v175, v3, v12
	s_delay_alu instid0(VALU_DEP_2) | instskip(NEXT) | instid1(VALU_DEP_2)
	v_fmac_f32_e32 v173, v2, v9
	v_dual_mul_f32 v2, v2, v10 :: v_dual_fmac_f32 v175, v4, v11
	s_delay_alu instid0(VALU_DEP_1) | instskip(SKIP_1) | instid1(VALU_DEP_1)
	v_fma_f32 v174, v1, v9, -v2
	v_mul_f32_e32 v1, v4, v12
	v_fma_f32 v176, v3, v11, -v1
	s_clause 0x1
	scratch_load_b128 v[1:4], off, off offset:208
	scratch_load_b128 v[9:12], off, off offset:224
	s_wait_loadcnt_dscnt 0x100
	v_mul_f32_e32 v177, v5, v2
	v_dual_mul_f32 v2, v6, v2 :: v_dual_mul_f32 v179, v7, v4
	s_delay_alu instid0(VALU_DEP_2) | instskip(NEXT) | instid1(VALU_DEP_2)
	v_fmac_f32_e32 v177, v6, v1
	v_fma_f32 v178, v5, v1, -v2
	v_mul_f32_e32 v1, v8, v4
	s_delay_alu instid0(VALU_DEP_4) | instskip(NEXT) | instid1(VALU_DEP_2)
	v_fmac_f32_e32 v179, v8, v3
	v_fma_f32 v180, v7, v3, -v1
	ds_load_b128 v[1:4], v25 offset:720
	ds_load_b128 v[5:8], v25 offset:736
	s_wait_loadcnt_dscnt 0x1
	v_mul_f32_e32 v181, v1, v10
	v_mul_f32_e32 v183, v3, v12
	s_delay_alu instid0(VALU_DEP_2) | instskip(NEXT) | instid1(VALU_DEP_2)
	v_fmac_f32_e32 v181, v2, v9
	v_dual_mul_f32 v2, v2, v10 :: v_dual_fmac_f32 v183, v4, v11
	s_delay_alu instid0(VALU_DEP_1) | instskip(SKIP_1) | instid1(VALU_DEP_1)
	v_fma_f32 v182, v1, v9, -v2
	v_mul_f32_e32 v1, v4, v12
	;; [unrolled: 25-line block ×7, first 2 shown]
	v_fma_f32 v224, v3, v11, -v1
	s_clause 0x1
	scratch_load_b128 v[1:4], off, off offset:400
	scratch_load_b128 v[9:12], off, off offset:416
	s_wait_loadcnt_dscnt 0x100
	v_mul_f32_e32 v225, v5, v2
	v_dual_mul_f32 v2, v6, v2 :: v_dual_mul_f32 v227, v7, v4
	s_delay_alu instid0(VALU_DEP_2) | instskip(NEXT) | instid1(VALU_DEP_2)
	v_fmac_f32_e32 v225, v6, v1
	v_fma_f32 v226, v5, v1, -v2
	v_dual_add_f32 v2, 0, v34 :: v_dual_mul_f32 v1, v8, v4
	s_delay_alu instid0(VALU_DEP_1) | instskip(NEXT) | instid1(VALU_DEP_2)
	v_add_f32_e32 v2, v2, v38
	v_fma_f32 v228, v7, v3, -v1
	s_delay_alu instid0(VALU_DEP_2) | instskip(NEXT) | instid1(VALU_DEP_1)
	v_add_f32_e32 v2, v2, v23
	v_add_f32_e32 v2, v2, v24
	s_delay_alu instid0(VALU_DEP_1) | instskip(NEXT) | instid1(VALU_DEP_1)
	v_add_f32_e32 v2, v2, v39
	v_add_f32_e32 v2, v2, v40
	s_delay_alu instid0(VALU_DEP_1) | instskip(NEXT) | instid1(VALU_DEP_1)
	;; [unrolled: 3-line block ×7, first 2 shown]
	v_add_f32_e32 v2, v2, v173
	v_dual_add_f32 v1, 0, v21 :: v_dual_add_f32 v2, v2, v175
	s_delay_alu instid0(VALU_DEP_1) | instskip(NEXT) | instid1(VALU_DEP_1)
	v_dual_add_f32 v1, v1, v22 :: v_dual_add_f32 v2, v2, v177
	v_dual_add_f32 v1, v1, v26 :: v_dual_add_f32 v2, v2, v179
	s_delay_alu instid0(VALU_DEP_1) | instskip(NEXT) | instid1(VALU_DEP_1)
	v_dual_add_f32 v1, v1, v27 :: v_dual_add_f32 v2, v2, v181
	v_dual_add_f32 v1, v1, v28 :: v_dual_add_f32 v2, v2, v183
	s_delay_alu instid0(VALU_DEP_1) | instskip(NEXT) | instid1(VALU_DEP_2)
	v_add_f32_e32 v1, v1, v29
	v_add_f32_e32 v2, v2, v185
	s_delay_alu instid0(VALU_DEP_1) | instskip(NEXT) | instid1(VALU_DEP_1)
	v_dual_add_f32 v1, v1, v13 :: v_dual_add_f32 v2, v2, v187
	v_add_f32_e32 v1, v1, v14
	s_delay_alu instid0(VALU_DEP_1) | instskip(NEXT) | instid1(VALU_DEP_1)
	v_add_f32_e32 v1, v1, v16
	v_add_f32_e32 v1, v1, v17
	s_delay_alu instid0(VALU_DEP_1) | instskip(NEXT) | instid1(VALU_DEP_1)
	v_add_f32_e32 v1, v1, v32
	;; [unrolled: 3-line block ×11, first 2 shown]
	v_add_f32_e32 v1, v1, v200
	s_delay_alu instid0(VALU_DEP_1) | instskip(SKIP_1) | instid1(VALU_DEP_2)
	v_add_f32_e32 v6, v1, v202
	v_add_f32_e32 v2, v2, v189
	;; [unrolled: 1-line block ×3, first 2 shown]
	s_delay_alu instid0(VALU_DEP_2) | instskip(NEXT) | instid1(VALU_DEP_2)
	v_add_f32_e32 v2, v2, v191
	v_add_f32_e32 v14, v14, v206
	s_delay_alu instid0(VALU_DEP_2) | instskip(NEXT) | instid1(VALU_DEP_2)
	v_add_f32_e32 v2, v2, v193
	v_add_f32_e32 v17, v14, v208
	s_delay_alu instid0(VALU_DEP_1) | instskip(NEXT) | instid1(VALU_DEP_1)
	v_dual_add_f32 v2, v2, v195 :: v_dual_add_f32 v17, v17, v210
	v_dual_add_f32 v2, v2, v197 :: v_dual_add_f32 v17, v17, v212
	s_delay_alu instid0(VALU_DEP_1) | instskip(NEXT) | instid1(VALU_DEP_2)
	v_add_f32_e32 v5, v2, v199
	v_add_f32_e32 v17, v17, v214
	s_delay_alu instid0(VALU_DEP_2) | instskip(NEXT) | instid1(VALU_DEP_2)
	v_add_f32_e32 v13, v5, v201
	v_add_f32_e32 v22, v17, v216
	s_delay_alu instid0(VALU_DEP_1) | instskip(NEXT) | instid1(VALU_DEP_1)
	v_dual_add_f32 v13, v13, v203 :: v_dual_add_f32 v22, v22, v218
	v_dual_add_f32 v13, v13, v205 :: v_dual_add_f32 v22, v22, v220
	s_delay_alu instid0(VALU_DEP_1)
	v_add_f32_e32 v18, v13, v207
	v_fmac_f32_e32 v227, v8, v3
	scratch_load_b128 v[5:8], off, off offset:432
	ds_load_b128 v[1:4], v25 offset:912
	ds_load_b128 v[13:16], v25 offset:928
	s_wait_loadcnt_dscnt 0x101
	v_mul_f32_e32 v26, v1, v10
	v_dual_mul_f32 v10, v2, v10 :: v_dual_mul_f32 v27, v3, v12
	v_mul_f32_e32 v12, v4, v12
	s_delay_alu instid0(VALU_DEP_3) | instskip(NEXT) | instid1(VALU_DEP_3)
	v_fmac_f32_e32 v26, v2, v9
	v_fma_f32 v28, v1, v9, -v10
	s_delay_alu instid0(VALU_DEP_4) | instskip(NEXT) | instid1(VALU_DEP_4)
	v_fmac_f32_e32 v27, v4, v11
	v_fma_f32 v29, v3, v11, -v12
	s_clause 0x1
	scratch_load_b128 v[1:4], off, off offset:448
	scratch_load_b128 v[9:12], off, off offset:464
	s_wait_loadcnt_dscnt 0x200
	v_mul_f32_e32 v30, v13, v6
	v_dual_add_f32 v18, v18, v209 :: v_dual_mul_f32 v31, v15, v8
	v_mul_f32_e32 v8, v16, v8
	v_mul_f32_e32 v6, v14, v6
	s_delay_alu instid0(VALU_DEP_4) | instskip(NEXT) | instid1(VALU_DEP_4)
	v_fmac_f32_e32 v30, v14, v5
	v_add_f32_e32 v18, v18, v211
	v_fmac_f32_e32 v31, v16, v7
	v_fma_f32 v33, v15, v7, -v8
	v_fma_f32 v32, v13, v5, -v6
	ds_load_b128 v[5:8], v25 offset:944
	v_add_f32_e32 v21, v18, v213
	scratch_load_b128 v[17:20], off, off offset:480
	v_add_f32_e32 v21, v21, v215
	s_delay_alu instid0(VALU_DEP_1) | instskip(NEXT) | instid1(VALU_DEP_1)
	v_add_f32_e32 v21, v21, v217
	v_add_f32_e32 v13, v21, v219
	s_delay_alu instid0(VALU_DEP_1) | instskip(NEXT) | instid1(VALU_DEP_1)
	v_dual_add_f32 v21, v22, v222 :: v_dual_add_f32 v22, v13, v221
	v_add_f32_e32 v34, v21, v224
	ds_load_b128 v[13:16], v25 offset:960
	v_add_f32_e32 v38, v22, v223
	ds_load_b128 v[21:24], v25 offset:976
	v_add_f32_e32 v25, v34, v226
	s_delay_alu instid0(VALU_DEP_1) | instskip(NEXT) | instid1(VALU_DEP_1)
	v_add_f32_e32 v25, v25, v228
	v_add_f32_e32 v25, v25, v28
	s_wait_loadcnt_dscnt 0x202
	v_mul_f32_e32 v28, v7, v4
	v_add_f32_e32 v34, v38, v225
	v_mul_f32_e32 v38, v5, v2
	v_dual_mul_f32 v2, v6, v2 :: v_dual_add_f32 v25, v25, v29
	v_mul_f32_e32 v4, v8, v4
	s_delay_alu instid0(VALU_DEP_4) | instskip(NEXT) | instid1(VALU_DEP_4)
	v_add_f32_e32 v34, v34, v227
	v_fmac_f32_e32 v38, v6, v1
	s_delay_alu instid0(VALU_DEP_4) | instskip(SKIP_4) | instid1(VALU_DEP_3)
	v_fma_f32 v2, v5, v1, -v2
	s_wait_loadcnt_dscnt 0x101
	v_dual_add_f32 v25, v25, v32 :: v_dual_mul_f32 v6, v14, v10
	v_add_f32_e32 v26, v34, v26
	v_mul_f32_e32 v34, v13, v10
	v_dual_fmac_f32 v28, v8, v3 :: v_dual_add_f32 v1, v25, v33
	v_fma_f32 v3, v7, v3, -v4
	s_delay_alu instid0(VALU_DEP_4) | instskip(NEXT) | instid1(VALU_DEP_3)
	v_dual_add_f32 v26, v26, v27 :: v_dual_mul_f32 v39, v15, v12
	v_dual_mul_f32 v4, v16, v12 :: v_dual_add_f32 v1, v1, v2
	v_fmac_f32_e32 v34, v14, v9
	s_delay_alu instid0(VALU_DEP_3) | instskip(NEXT) | instid1(VALU_DEP_3)
	v_dual_add_f32 v26, v26, v30 :: v_dual_fmac_f32 v39, v16, v11
	v_fma_f32 v4, v15, v11, -v4
	s_delay_alu instid0(VALU_DEP_4) | instskip(NEXT) | instid1(VALU_DEP_3)
	v_add_f32_e32 v1, v1, v3
	v_add_f32_e32 v5, v26, v31
	s_delay_alu instid0(VALU_DEP_1) | instskip(SKIP_1) | instid1(VALU_DEP_1)
	v_add_f32_e32 v2, v5, v38
	v_fma_f32 v5, v13, v9, -v6
	v_dual_add_f32 v2, v2, v28 :: v_dual_add_f32 v1, v1, v5
	s_delay_alu instid0(VALU_DEP_1) | instskip(SKIP_1) | instid1(VALU_DEP_1)
	v_dual_add_f32 v2, v2, v34 :: v_dual_add_f32 v1, v1, v4
	s_wait_loadcnt_dscnt 0x0
	v_dual_add_f32 v2, v2, v39 :: v_dual_mul_f32 v27, v21, v18
	v_mul_f32_e32 v3, v22, v18
	v_mul_f32_e32 v29, v23, v20
	;; [unrolled: 1-line block ×3, first 2 shown]
	s_delay_alu instid0(VALU_DEP_4) | instskip(NEXT) | instid1(VALU_DEP_4)
	v_fmac_f32_e32 v27, v22, v17
	v_fma_f32 v3, v21, v17, -v3
	s_delay_alu instid0(VALU_DEP_4) | instskip(NEXT) | instid1(VALU_DEP_4)
	v_fmac_f32_e32 v29, v24, v19
	v_fma_f32 v4, v23, v19, -v5
	s_delay_alu instid0(VALU_DEP_4) | instskip(NEXT) | instid1(VALU_DEP_1)
	v_add_f32_e32 v2, v2, v27
	v_dual_add_f32 v1, v1, v3 :: v_dual_add_f32 v2, v2, v29
	s_delay_alu instid0(VALU_DEP_1) | instskip(NEXT) | instid1(VALU_DEP_1)
	v_add_f32_e32 v1, v1, v4
	v_dual_sub_f32 v2, v37, v2 :: v_dual_sub_f32 v1, v36, v1
	scratch_store_b64 off, v[1:2], off offset:56
	v_cmpx_lt_u32_e32 6, v0
	s_cbranch_execz .LBB61_373
; %bb.372:
	scratch_load_b64 v[1:2], off, off offset:48
	v_mov_b32_e32 v3, 0
	s_delay_alu instid0(VALU_DEP_1)
	v_mov_b32_e32 v4, v3
	scratch_store_b64 off, v[3:4], off offset:48
	s_wait_loadcnt 0x0
	ds_store_b64 v35, v[1:2]
.LBB61_373:
	s_wait_alu 0xfffe
	s_or_b32 exec_lo, exec_lo, s0
	s_wait_storecnt_dscnt 0x0
	s_barrier_signal -1
	s_barrier_wait -1
	global_inv scope:SCOPE_SE
	s_clause 0x4
	scratch_load_b128 v[5:8], off, off offset:56
	scratch_load_b128 v[1:4], off, off offset:72
	;; [unrolled: 1-line block ×5, first 2 shown]
	v_mov_b32_e32 v29, 0
	ds_load_2addr_b64 v[21:24], v29 offset0:69 offset1:70
	ds_load_2addr_b64 v[25:28], v29 offset0:71 offset1:72
	;; [unrolled: 1-line block ×3, first 2 shown]
	scratch_load_b64 v[36:37], off, off offset:48
	s_mov_b32 s0, exec_lo
	s_wait_loadcnt_dscnt 0x502
	v_mul_f32_e32 v34, v21, v6
	v_mul_f32_e32 v38, v23, v8
	s_wait_loadcnt_dscnt 0x300
	v_dual_mul_f32 v8, v24, v8 :: v_dual_mul_f32 v39, v30, v10
	v_mul_f32_e32 v6, v22, v6
	v_fmac_f32_e32 v34, v22, v5
	v_mul_f32_e32 v40, v32, v12
	s_delay_alu instid0(VALU_DEP_4)
	v_fma_f32 v22, v23, v7, -v8
	v_dual_mul_f32 v23, v25, v2 :: v_dual_fmac_f32 v38, v24, v7
	v_dual_mul_f32 v2, v26, v2 :: v_dual_fmac_f32 v39, v31, v9
	v_fma_f32 v21, v21, v5, -v6
	ds_load_2addr_b64 v[5:8], v29 offset0:75 offset1:76
	v_mul_f32_e32 v24, v27, v4
	v_dual_mul_f32 v4, v28, v4 :: v_dual_fmac_f32 v23, v26, v1
	v_fma_f32 v25, v25, v1, -v2
	v_mul_f32_e32 v12, v33, v12
	s_delay_alu instid0(VALU_DEP_4) | instskip(NEXT) | instid1(VALU_DEP_4)
	v_fmac_f32_e32 v24, v28, v3
	v_fma_f32 v26, v27, v3, -v4
	scratch_load_b128 v[1:4], off, off offset:136
	v_mul_f32_e32 v10, v31, v10
	v_fmac_f32_e32 v40, v33, v11
	v_fma_f32 v28, v32, v11, -v12
	s_delay_alu instid0(VALU_DEP_3)
	v_fma_f32 v27, v30, v9, -v10
	ds_load_2addr_b64 v[9:12], v29 offset0:77 offset1:78
	s_wait_loadcnt_dscnt 0x301
	v_dual_mul_f32 v30, v5, v14 :: v_dual_mul_f32 v31, v7, v16
	v_mul_f32_e32 v14, v6, v14
	v_mul_f32_e32 v16, v8, v16
	s_delay_alu instid0(VALU_DEP_3) | instskip(NEXT) | instid1(VALU_DEP_3)
	v_dual_fmac_f32 v30, v6, v13 :: v_dual_fmac_f32 v31, v8, v15
	v_fma_f32 v13, v5, v13, -v14
	s_delay_alu instid0(VALU_DEP_3)
	v_fma_f32 v14, v7, v15, -v16
	ds_load_2addr_b64 v[5:8], v29 offset0:79 offset1:80
	s_wait_loadcnt_dscnt 0x201
	v_mul_f32_e32 v15, v9, v18
	v_mul_f32_e32 v16, v10, v18
	;; [unrolled: 1-line block ×3, first 2 shown]
	s_delay_alu instid0(VALU_DEP_3) | instskip(NEXT) | instid1(VALU_DEP_3)
	v_dual_mul_f32 v20, v12, v20 :: v_dual_fmac_f32 v15, v10, v17
	v_fma_f32 v16, v9, v17, -v16
	s_delay_alu instid0(VALU_DEP_3) | instskip(NEXT) | instid1(VALU_DEP_3)
	v_fmac_f32_e32 v18, v12, v19
	v_fma_f32 v17, v11, v19, -v20
	scratch_load_b128 v[9:12], off, off offset:152
	s_wait_loadcnt_dscnt 0x100
	v_mul_f32_e32 v19, v5, v2
	v_mul_f32_e32 v2, v6, v2
	;; [unrolled: 1-line block ×3, first 2 shown]
	s_delay_alu instid0(VALU_DEP_3) | instskip(NEXT) | instid1(VALU_DEP_3)
	v_dual_mul_f32 v4, v8, v4 :: v_dual_fmac_f32 v19, v6, v1
	v_fma_f32 v32, v5, v1, -v2
	s_delay_alu instid0(VALU_DEP_3) | instskip(NEXT) | instid1(VALU_DEP_3)
	v_fmac_f32_e32 v20, v8, v3
	v_fma_f32 v33, v7, v3, -v4
	ds_load_2addr_b64 v[1:4], v29 offset0:81 offset1:82
	ds_load_2addr_b64 v[5:8], v29 offset0:83 offset1:84
	s_wait_loadcnt_dscnt 0x1
	v_mul_f32_e32 v41, v1, v10
	v_mul_f32_e32 v10, v2, v10
	s_delay_alu instid0(VALU_DEP_2) | instskip(NEXT) | instid1(VALU_DEP_2)
	v_dual_mul_f32 v42, v3, v12 :: v_dual_fmac_f32 v41, v2, v9
	v_fma_f32 v43, v1, v9, -v10
	v_mul_f32_e32 v1, v4, v12
	s_delay_alu instid0(VALU_DEP_3) | instskip(NEXT) | instid1(VALU_DEP_2)
	v_fmac_f32_e32 v42, v4, v11
	v_fma_f32 v44, v3, v11, -v1
	s_clause 0x1
	scratch_load_b128 v[1:4], off, off offset:168
	scratch_load_b128 v[9:12], off, off offset:184
	s_wait_loadcnt_dscnt 0x100
	v_mul_f32_e32 v169, v5, v2
	v_dual_mul_f32 v2, v6, v2 :: v_dual_mul_f32 v171, v7, v4
	s_delay_alu instid0(VALU_DEP_2) | instskip(NEXT) | instid1(VALU_DEP_2)
	v_fmac_f32_e32 v169, v6, v1
	v_fma_f32 v170, v5, v1, -v2
	v_mul_f32_e32 v1, v8, v4
	s_delay_alu instid0(VALU_DEP_4) | instskip(NEXT) | instid1(VALU_DEP_2)
	v_fmac_f32_e32 v171, v8, v3
	v_fma_f32 v172, v7, v3, -v1
	ds_load_2addr_b64 v[1:4], v29 offset0:85 offset1:86
	ds_load_2addr_b64 v[5:8], v29 offset0:87 offset1:88
	s_wait_loadcnt_dscnt 0x1
	v_mul_f32_e32 v173, v1, v10
	v_mul_f32_e32 v175, v3, v12
	s_delay_alu instid0(VALU_DEP_2) | instskip(NEXT) | instid1(VALU_DEP_2)
	v_fmac_f32_e32 v173, v2, v9
	v_dual_mul_f32 v2, v2, v10 :: v_dual_fmac_f32 v175, v4, v11
	s_delay_alu instid0(VALU_DEP_1) | instskip(SKIP_1) | instid1(VALU_DEP_1)
	v_fma_f32 v174, v1, v9, -v2
	v_mul_f32_e32 v1, v4, v12
	v_fma_f32 v176, v3, v11, -v1
	s_clause 0x1
	scratch_load_b128 v[1:4], off, off offset:200
	scratch_load_b128 v[9:12], off, off offset:216
	s_wait_loadcnt_dscnt 0x100
	v_mul_f32_e32 v177, v5, v2
	v_dual_mul_f32 v2, v6, v2 :: v_dual_mul_f32 v179, v7, v4
	s_delay_alu instid0(VALU_DEP_2) | instskip(NEXT) | instid1(VALU_DEP_2)
	v_fmac_f32_e32 v177, v6, v1
	v_fma_f32 v178, v5, v1, -v2
	v_mul_f32_e32 v1, v8, v4
	s_delay_alu instid0(VALU_DEP_4) | instskip(NEXT) | instid1(VALU_DEP_2)
	v_fmac_f32_e32 v179, v8, v3
	v_fma_f32 v180, v7, v3, -v1
	ds_load_2addr_b64 v[1:4], v29 offset0:89 offset1:90
	ds_load_2addr_b64 v[5:8], v29 offset0:91 offset1:92
	s_wait_loadcnt_dscnt 0x1
	v_mul_f32_e32 v181, v1, v10
	v_mul_f32_e32 v183, v3, v12
	s_delay_alu instid0(VALU_DEP_2) | instskip(NEXT) | instid1(VALU_DEP_2)
	v_fmac_f32_e32 v181, v2, v9
	v_dual_mul_f32 v2, v2, v10 :: v_dual_fmac_f32 v183, v4, v11
	s_delay_alu instid0(VALU_DEP_1) | instskip(SKIP_1) | instid1(VALU_DEP_1)
	v_fma_f32 v182, v1, v9, -v2
	v_mul_f32_e32 v1, v4, v12
	;; [unrolled: 25-line block ×7, first 2 shown]
	v_fma_f32 v224, v3, v11, -v1
	s_clause 0x1
	scratch_load_b128 v[1:4], off, off offset:392
	scratch_load_b128 v[9:12], off, off offset:408
	s_wait_loadcnt_dscnt 0x100
	v_mul_f32_e32 v225, v5, v2
	v_dual_mul_f32 v2, v6, v2 :: v_dual_mul_f32 v227, v7, v4
	s_delay_alu instid0(VALU_DEP_2) | instskip(NEXT) | instid1(VALU_DEP_2)
	v_fmac_f32_e32 v225, v6, v1
	v_fma_f32 v226, v5, v1, -v2
	v_dual_add_f32 v2, 0, v34 :: v_dual_mul_f32 v1, v8, v4
	s_delay_alu instid0(VALU_DEP_1) | instskip(NEXT) | instid1(VALU_DEP_2)
	v_add_f32_e32 v2, v2, v38
	v_fma_f32 v228, v7, v3, -v1
	s_delay_alu instid0(VALU_DEP_2) | instskip(NEXT) | instid1(VALU_DEP_1)
	v_add_f32_e32 v2, v2, v23
	v_add_f32_e32 v2, v2, v24
	s_delay_alu instid0(VALU_DEP_1) | instskip(NEXT) | instid1(VALU_DEP_1)
	v_add_f32_e32 v2, v2, v39
	v_add_f32_e32 v2, v2, v40
	s_delay_alu instid0(VALU_DEP_1) | instskip(NEXT) | instid1(VALU_DEP_1)
	;; [unrolled: 3-line block ×7, first 2 shown]
	v_add_f32_e32 v2, v2, v173
	v_dual_add_f32 v1, 0, v21 :: v_dual_add_f32 v2, v2, v175
	s_delay_alu instid0(VALU_DEP_1) | instskip(NEXT) | instid1(VALU_DEP_1)
	v_dual_add_f32 v1, v1, v22 :: v_dual_add_f32 v2, v2, v177
	v_dual_add_f32 v1, v1, v25 :: v_dual_add_f32 v2, v2, v179
	s_delay_alu instid0(VALU_DEP_1) | instskip(SKIP_2) | instid1(VALU_DEP_1)
	v_add_f32_e32 v1, v1, v26
	scratch_load_b64 v[25:26], off, off offset:488
	v_dual_add_f32 v2, v2, v181 :: v_dual_add_f32 v1, v1, v27
	v_dual_add_f32 v2, v2, v183 :: v_dual_add_f32 v1, v1, v28
	s_delay_alu instid0(VALU_DEP_1) | instskip(NEXT) | instid1(VALU_DEP_1)
	v_add_f32_e32 v1, v1, v13
	v_add_f32_e32 v1, v1, v14
	s_delay_alu instid0(VALU_DEP_1) | instskip(NEXT) | instid1(VALU_DEP_1)
	v_add_f32_e32 v1, v1, v16
	v_add_f32_e32 v1, v1, v17
	;; [unrolled: 3-line block ×12, first 2 shown]
	s_delay_alu instid0(VALU_DEP_1) | instskip(SKIP_1) | instid1(VALU_DEP_2)
	v_add_f32_e32 v6, v1, v202
	v_add_f32_e32 v2, v2, v185
	;; [unrolled: 1-line block ×3, first 2 shown]
	s_delay_alu instid0(VALU_DEP_2) | instskip(NEXT) | instid1(VALU_DEP_2)
	v_add_f32_e32 v2, v2, v187
	v_add_f32_e32 v14, v14, v206
	s_delay_alu instid0(VALU_DEP_2) | instskip(NEXT) | instid1(VALU_DEP_2)
	v_add_f32_e32 v2, v2, v189
	v_add_f32_e32 v17, v14, v208
	s_delay_alu instid0(VALU_DEP_1) | instskip(NEXT) | instid1(VALU_DEP_1)
	v_dual_add_f32 v2, v2, v191 :: v_dual_add_f32 v17, v17, v210
	v_dual_add_f32 v2, v2, v193 :: v_dual_add_f32 v17, v17, v212
	s_delay_alu instid0(VALU_DEP_1) | instskip(NEXT) | instid1(VALU_DEP_1)
	v_dual_add_f32 v2, v2, v195 :: v_dual_add_f32 v17, v17, v214
	v_add_f32_e32 v2, v2, v197
	s_delay_alu instid0(VALU_DEP_1) | instskip(NEXT) | instid1(VALU_DEP_1)
	v_dual_add_f32 v22, v17, v216 :: v_dual_add_f32 v5, v2, v199
	v_dual_add_f32 v22, v22, v218 :: v_dual_add_f32 v13, v5, v201
	s_delay_alu instid0(VALU_DEP_1) | instskip(NEXT) | instid1(VALU_DEP_1)
	v_dual_add_f32 v22, v22, v220 :: v_dual_add_f32 v13, v13, v203
	v_dual_add_f32 v22, v22, v222 :: v_dual_add_f32 v13, v13, v205
	s_delay_alu instid0(VALU_DEP_1)
	v_add_f32_e32 v18, v13, v207
	v_fmac_f32_e32 v227, v8, v3
	scratch_load_b128 v[1:4], off, off offset:424
	ds_load_2addr_b64 v[5:8], v29 offset0:113 offset1:114
	ds_load_2addr_b64 v[13:16], v29 offset0:115 offset1:116
	s_wait_loadcnt_dscnt 0x201
	v_mul_f32_e32 v30, v5, v10
	v_dual_mul_f32 v10, v6, v10 :: v_dual_mul_f32 v31, v7, v12
	v_mul_f32_e32 v12, v8, v12
	s_delay_alu instid0(VALU_DEP_3) | instskip(NEXT) | instid1(VALU_DEP_3)
	v_fmac_f32_e32 v30, v6, v9
	v_fma_f32 v32, v5, v9, -v10
	s_delay_alu instid0(VALU_DEP_4) | instskip(NEXT) | instid1(VALU_DEP_4)
	v_fmac_f32_e32 v31, v8, v11
	v_fma_f32 v33, v7, v11, -v12
	s_clause 0x1
	scratch_load_b128 v[5:8], off, off offset:440
	scratch_load_b128 v[9:12], off, off offset:456
	s_wait_loadcnt_dscnt 0x200
	v_mul_f32_e32 v38, v15, v4
	v_add_f32_e32 v18, v18, v209
	v_mul_f32_e32 v4, v16, v4
	v_mul_f32_e32 v34, v13, v2
	;; [unrolled: 1-line block ×3, first 2 shown]
	v_fmac_f32_e32 v38, v16, v3
	v_add_f32_e32 v18, v18, v211
	v_fma_f32 v40, v15, v3, -v4
	v_fmac_f32_e32 v34, v14, v1
	v_add_f32_e32 v14, v22, v224
	v_fma_f32 v39, v13, v1, -v2
	v_add_f32_e32 v21, v18, v213
	scratch_load_b128 v[17:20], off, off offset:472
	ds_load_2addr_b64 v[1:4], v29 offset0:117 offset1:118
	v_add_f32_e32 v27, v14, v226
	v_add_f32_e32 v21, v21, v215
	s_delay_alu instid0(VALU_DEP_2) | instskip(NEXT) | instid1(VALU_DEP_2)
	v_add_f32_e32 v41, v27, v228
	v_add_f32_e32 v21, v21, v217
	s_delay_alu instid0(VALU_DEP_2) | instskip(NEXT) | instid1(VALU_DEP_1)
	v_add_f32_e32 v32, v41, v32
	v_dual_add_f32 v21, v21, v219 :: v_dual_add_f32 v32, v32, v33
	s_delay_alu instid0(VALU_DEP_1) | instskip(NEXT) | instid1(VALU_DEP_1)
	v_dual_add_f32 v13, v21, v221 :: v_dual_add_f32 v32, v32, v39
	v_add_f32_e32 v21, v13, v223
	ds_load_2addr_b64 v[13:16], v29 offset0:119 offset1:120
	s_wait_loadcnt_dscnt 0x201
	v_mul_f32_e32 v41, v1, v6
	v_mul_f32_e32 v6, v2, v6
	v_add_f32_e32 v32, v32, v40
	v_add_f32_e32 v28, v21, v225
	ds_load_2addr_b64 v[21:24], v29 offset0:121 offset1:122
	v_fmac_f32_e32 v41, v2, v5
	v_fma_f32 v1, v1, v5, -v6
	v_add_f32_e32 v42, v28, v227
	ds_load_b64 v[27:28], v29 offset:984
	v_dual_add_f32 v1, v32, v1 :: v_dual_add_f32 v30, v42, v30
	s_delay_alu instid0(VALU_DEP_1) | instskip(SKIP_2) | instid1(VALU_DEP_2)
	v_dual_add_f32 v30, v30, v31 :: v_dual_mul_f32 v31, v3, v8
	s_wait_loadcnt_dscnt 0x102
	v_dual_mul_f32 v8, v4, v8 :: v_dual_mul_f32 v33, v13, v10
	v_dual_mul_f32 v5, v16, v12 :: v_dual_add_f32 v30, v30, v34
	s_delay_alu instid0(VALU_DEP_3) | instskip(NEXT) | instid1(VALU_DEP_3)
	v_fmac_f32_e32 v31, v4, v7
	v_fma_f32 v2, v3, v7, -v8
	v_dual_mul_f32 v3, v14, v10 :: v_dual_mul_f32 v34, v15, v12
	s_delay_alu instid0(VALU_DEP_4) | instskip(SKIP_1) | instid1(VALU_DEP_4)
	v_add_f32_e32 v30, v30, v38
	v_fmac_f32_e32 v33, v14, v9
	v_add_f32_e32 v1, v1, v2
	s_delay_alu instid0(VALU_DEP_4)
	v_fma_f32 v3, v13, v9, -v3
	v_fmac_f32_e32 v34, v16, v11
	v_add_f32_e32 v4, v30, v41
	v_fma_f32 v5, v15, v11, -v5
	s_wait_dscnt 0x0
	v_dual_mul_f32 v38, v27, v26 :: v_dual_add_f32 v1, v1, v3
	s_delay_alu instid0(VALU_DEP_3) | instskip(NEXT) | instid1(VALU_DEP_2)
	v_add_f32_e32 v2, v4, v31
	v_fmac_f32_e32 v38, v28, v25
	s_delay_alu instid0(VALU_DEP_3) | instskip(NEXT) | instid1(VALU_DEP_3)
	v_add_f32_e32 v1, v1, v5
	v_dual_mul_f32 v5, v28, v26 :: v_dual_add_f32 v2, v2, v33
	s_delay_alu instid0(VALU_DEP_1)
	v_add_f32_e32 v2, v2, v34
	s_wait_loadcnt 0x0
	v_mul_f32_e32 v39, v21, v18
	v_mul_f32_e32 v4, v22, v18
	;; [unrolled: 1-line block ×4, first 2 shown]
	s_delay_alu instid0(VALU_DEP_4) | instskip(NEXT) | instid1(VALU_DEP_4)
	v_fmac_f32_e32 v39, v22, v17
	v_fma_f32 v4, v21, v17, -v4
	s_delay_alu instid0(VALU_DEP_4) | instskip(NEXT) | instid1(VALU_DEP_4)
	v_fmac_f32_e32 v40, v24, v19
	v_fma_f32 v3, v23, v19, -v3
	s_delay_alu instid0(VALU_DEP_3) | instskip(SKIP_1) | instid1(VALU_DEP_2)
	v_dual_add_f32 v2, v2, v39 :: v_dual_add_f32 v1, v1, v4
	v_fma_f32 v4, v27, v25, -v5
	v_dual_add_f32 v2, v2, v40 :: v_dual_add_f32 v1, v1, v3
	s_delay_alu instid0(VALU_DEP_1) | instskip(NEXT) | instid1(VALU_DEP_1)
	v_dual_add_f32 v2, v2, v38 :: v_dual_add_f32 v1, v1, v4
	v_dual_sub_f32 v2, v37, v2 :: v_dual_sub_f32 v1, v36, v1
	scratch_store_b64 off, v[1:2], off offset:48
	v_cmpx_lt_u32_e32 5, v0
	s_cbranch_execz .LBB61_375
; %bb.374:
	scratch_load_b64 v[1:2], off, off offset:40
	v_mov_b32_e32 v30, v29
	scratch_store_b64 off, v[29:30], off offset:40
	s_wait_loadcnt 0x0
	ds_store_b64 v35, v[1:2]
.LBB61_375:
	s_wait_alu 0xfffe
	s_or_b32 exec_lo, exec_lo, s0
	s_wait_storecnt_dscnt 0x0
	s_barrier_signal -1
	s_barrier_wait -1
	global_inv scope:SCOPE_SE
	s_clause 0x4
	scratch_load_b128 v[5:8], off, off offset:48
	scratch_load_b128 v[1:4], off, off offset:64
	;; [unrolled: 1-line block ×5, first 2 shown]
	ds_load_b128 v[21:24], v29 offset:544
	ds_load_b128 v[25:28], v29 offset:560
	ds_load_b128 v[30:33], v29 offset:576
	scratch_load_b64 v[36:37], off, off offset:40
	s_mov_b32 s0, exec_lo
	s_wait_loadcnt_dscnt 0x502
	v_mul_f32_e32 v34, v21, v6
	v_mul_f32_e32 v38, v23, v8
	s_wait_loadcnt_dscnt 0x300
	v_dual_mul_f32 v8, v24, v8 :: v_dual_mul_f32 v39, v30, v10
	v_mul_f32_e32 v6, v22, v6
	v_fmac_f32_e32 v34, v22, v5
	s_delay_alu instid0(VALU_DEP_3)
	v_fma_f32 v22, v23, v7, -v8
	v_dual_mul_f32 v23, v25, v2 :: v_dual_fmac_f32 v38, v24, v7
	v_dual_mul_f32 v2, v26, v2 :: v_dual_fmac_f32 v39, v31, v9
	v_fma_f32 v21, v21, v5, -v6
	ds_load_b128 v[5:8], v29 offset:592
	v_mul_f32_e32 v24, v27, v4
	v_dual_mul_f32 v4, v28, v4 :: v_dual_fmac_f32 v23, v26, v1
	v_fma_f32 v25, v25, v1, -v2
	s_delay_alu instid0(VALU_DEP_3) | instskip(NEXT) | instid1(VALU_DEP_3)
	v_fmac_f32_e32 v24, v28, v3
	v_fma_f32 v26, v27, v3, -v4
	scratch_load_b128 v[1:4], off, off offset:128
	v_mul_f32_e32 v40, v32, v12
	v_mul_f32_e32 v10, v31, v10
	;; [unrolled: 1-line block ×3, first 2 shown]
	s_delay_alu instid0(VALU_DEP_3) | instskip(NEXT) | instid1(VALU_DEP_3)
	v_fmac_f32_e32 v40, v33, v11
	v_fma_f32 v27, v30, v9, -v10
	s_delay_alu instid0(VALU_DEP_3)
	v_fma_f32 v28, v32, v11, -v12
	ds_load_b128 v[9:12], v29 offset:608
	s_wait_loadcnt_dscnt 0x301
	v_dual_mul_f32 v30, v5, v14 :: v_dual_mul_f32 v31, v7, v16
	v_mul_f32_e32 v14, v6, v14
	v_mul_f32_e32 v16, v8, v16
	s_delay_alu instid0(VALU_DEP_3) | instskip(NEXT) | instid1(VALU_DEP_3)
	v_dual_fmac_f32 v30, v6, v13 :: v_dual_fmac_f32 v31, v8, v15
	v_fma_f32 v13, v5, v13, -v14
	s_delay_alu instid0(VALU_DEP_3)
	v_fma_f32 v14, v7, v15, -v16
	ds_load_b128 v[5:8], v29 offset:624
	s_wait_loadcnt_dscnt 0x201
	v_mul_f32_e32 v15, v9, v18
	v_mul_f32_e32 v16, v10, v18
	;; [unrolled: 1-line block ×3, first 2 shown]
	s_delay_alu instid0(VALU_DEP_3) | instskip(NEXT) | instid1(VALU_DEP_3)
	v_dual_mul_f32 v20, v12, v20 :: v_dual_fmac_f32 v15, v10, v17
	v_fma_f32 v16, v9, v17, -v16
	s_delay_alu instid0(VALU_DEP_3) | instskip(NEXT) | instid1(VALU_DEP_3)
	v_fmac_f32_e32 v18, v12, v19
	v_fma_f32 v17, v11, v19, -v20
	scratch_load_b128 v[9:12], off, off offset:144
	s_wait_loadcnt_dscnt 0x100
	v_mul_f32_e32 v19, v5, v2
	v_mul_f32_e32 v2, v6, v2
	;; [unrolled: 1-line block ×3, first 2 shown]
	s_delay_alu instid0(VALU_DEP_3) | instskip(NEXT) | instid1(VALU_DEP_3)
	v_dual_mul_f32 v4, v8, v4 :: v_dual_fmac_f32 v19, v6, v1
	v_fma_f32 v32, v5, v1, -v2
	s_delay_alu instid0(VALU_DEP_3) | instskip(NEXT) | instid1(VALU_DEP_3)
	v_fmac_f32_e32 v20, v8, v3
	v_fma_f32 v33, v7, v3, -v4
	ds_load_b128 v[1:4], v29 offset:640
	ds_load_b128 v[5:8], v29 offset:656
	s_wait_loadcnt_dscnt 0x1
	v_mul_f32_e32 v41, v1, v10
	v_mul_f32_e32 v10, v2, v10
	s_delay_alu instid0(VALU_DEP_2) | instskip(NEXT) | instid1(VALU_DEP_2)
	v_dual_mul_f32 v42, v3, v12 :: v_dual_fmac_f32 v41, v2, v9
	v_fma_f32 v43, v1, v9, -v10
	v_mul_f32_e32 v1, v4, v12
	s_delay_alu instid0(VALU_DEP_3) | instskip(NEXT) | instid1(VALU_DEP_2)
	v_fmac_f32_e32 v42, v4, v11
	v_fma_f32 v44, v3, v11, -v1
	s_clause 0x1
	scratch_load_b128 v[1:4], off, off offset:160
	scratch_load_b128 v[9:12], off, off offset:176
	s_wait_loadcnt_dscnt 0x100
	v_mul_f32_e32 v169, v5, v2
	v_dual_mul_f32 v2, v6, v2 :: v_dual_mul_f32 v171, v7, v4
	s_delay_alu instid0(VALU_DEP_2) | instskip(NEXT) | instid1(VALU_DEP_2)
	v_fmac_f32_e32 v169, v6, v1
	v_fma_f32 v170, v5, v1, -v2
	v_mul_f32_e32 v1, v8, v4
	s_delay_alu instid0(VALU_DEP_4) | instskip(NEXT) | instid1(VALU_DEP_2)
	v_fmac_f32_e32 v171, v8, v3
	v_fma_f32 v172, v7, v3, -v1
	ds_load_b128 v[1:4], v29 offset:672
	ds_load_b128 v[5:8], v29 offset:688
	s_wait_loadcnt_dscnt 0x1
	v_mul_f32_e32 v173, v1, v10
	v_mul_f32_e32 v175, v3, v12
	s_delay_alu instid0(VALU_DEP_2) | instskip(NEXT) | instid1(VALU_DEP_2)
	v_fmac_f32_e32 v173, v2, v9
	v_dual_mul_f32 v2, v2, v10 :: v_dual_fmac_f32 v175, v4, v11
	s_delay_alu instid0(VALU_DEP_1) | instskip(SKIP_1) | instid1(VALU_DEP_1)
	v_fma_f32 v174, v1, v9, -v2
	v_mul_f32_e32 v1, v4, v12
	v_fma_f32 v176, v3, v11, -v1
	s_clause 0x1
	scratch_load_b128 v[1:4], off, off offset:192
	scratch_load_b128 v[9:12], off, off offset:208
	s_wait_loadcnt_dscnt 0x100
	v_mul_f32_e32 v177, v5, v2
	v_dual_mul_f32 v2, v6, v2 :: v_dual_mul_f32 v179, v7, v4
	s_delay_alu instid0(VALU_DEP_2) | instskip(NEXT) | instid1(VALU_DEP_2)
	v_fmac_f32_e32 v177, v6, v1
	v_fma_f32 v178, v5, v1, -v2
	v_mul_f32_e32 v1, v8, v4
	s_delay_alu instid0(VALU_DEP_4) | instskip(NEXT) | instid1(VALU_DEP_2)
	v_fmac_f32_e32 v179, v8, v3
	v_fma_f32 v180, v7, v3, -v1
	ds_load_b128 v[1:4], v29 offset:704
	ds_load_b128 v[5:8], v29 offset:720
	s_wait_loadcnt_dscnt 0x1
	v_mul_f32_e32 v181, v1, v10
	v_mul_f32_e32 v183, v3, v12
	s_delay_alu instid0(VALU_DEP_2) | instskip(NEXT) | instid1(VALU_DEP_2)
	v_fmac_f32_e32 v181, v2, v9
	v_dual_mul_f32 v2, v2, v10 :: v_dual_fmac_f32 v183, v4, v11
	s_delay_alu instid0(VALU_DEP_1) | instskip(SKIP_1) | instid1(VALU_DEP_1)
	v_fma_f32 v182, v1, v9, -v2
	v_mul_f32_e32 v1, v4, v12
	;; [unrolled: 25-line block ×8, first 2 shown]
	v_fma_f32 v232, v3, v11, -v1
	s_clause 0x1
	scratch_load_b128 v[1:4], off, off offset:416
	scratch_load_b128 v[9:12], off, off offset:432
	s_wait_loadcnt_dscnt 0x100
	v_mul_f32_e32 v233, v5, v2
	v_mul_f32_e32 v2, v6, v2
	s_delay_alu instid0(VALU_DEP_2) | instskip(NEXT) | instid1(VALU_DEP_2)
	v_fmac_f32_e32 v233, v6, v1
	v_fma_f32 v234, v5, v1, -v2
	v_dual_mul_f32 v1, v8, v4 :: v_dual_add_f32 v2, 0, v34
	s_delay_alu instid0(VALU_DEP_1) | instskip(NEXT) | instid1(VALU_DEP_2)
	v_fma_f32 v236, v7, v3, -v1
	v_dual_add_f32 v1, 0, v21 :: v_dual_add_f32 v2, v2, v38
	s_delay_alu instid0(VALU_DEP_1) | instskip(NEXT) | instid1(VALU_DEP_1)
	v_dual_add_f32 v1, v1, v22 :: v_dual_add_f32 v2, v2, v23
	v_dual_add_f32 v1, v1, v25 :: v_dual_add_f32 v2, v2, v24
	s_delay_alu instid0(VALU_DEP_1) | instskip(NEXT) | instid1(VALU_DEP_1)
	v_dual_add_f32 v1, v1, v26 :: v_dual_add_f32 v2, v2, v39
	;; [unrolled: 3-line block ×5, first 2 shown]
	v_add_f32_e32 v1, v1, v32
	s_delay_alu instid0(VALU_DEP_1) | instskip(NEXT) | instid1(VALU_DEP_1)
	v_dual_add_f32 v2, v2, v20 :: v_dual_add_f32 v1, v1, v33
	v_dual_add_f32 v2, v2, v41 :: v_dual_add_f32 v1, v1, v43
	s_delay_alu instid0(VALU_DEP_1) | instskip(NEXT) | instid1(VALU_DEP_1)
	v_dual_add_f32 v2, v2, v42 :: v_dual_add_f32 v1, v1, v44
	v_dual_add_f32 v2, v2, v169 :: v_dual_add_f32 v1, v1, v170
	;; [unrolled: 3-line block ×6, first 2 shown]
	s_delay_alu instid0(VALU_DEP_1) | instskip(NEXT) | instid1(VALU_DEP_1)
	v_dual_add_f32 v2, v2, v187 :: v_dual_add_f32 v1, v1, v188
	v_add_f32_e32 v1, v1, v190
	s_delay_alu instid0(VALU_DEP_1) | instskip(NEXT) | instid1(VALU_DEP_1)
	v_add_f32_e32 v1, v1, v192
	v_add_f32_e32 v1, v1, v194
	s_delay_alu instid0(VALU_DEP_1) | instskip(NEXT) | instid1(VALU_DEP_1)
	v_add_f32_e32 v1, v1, v196
	;; [unrolled: 3-line block ×4, first 2 shown]
	v_add_f32_e32 v1, v1, v206
	s_delay_alu instid0(VALU_DEP_1) | instskip(SKIP_1) | instid1(VALU_DEP_2)
	v_add_f32_e32 v6, v1, v208
	v_add_f32_e32 v2, v2, v189
	;; [unrolled: 1-line block ×3, first 2 shown]
	s_delay_alu instid0(VALU_DEP_2) | instskip(NEXT) | instid1(VALU_DEP_2)
	v_add_f32_e32 v2, v2, v191
	v_add_f32_e32 v13, v6, v212
	s_delay_alu instid0(VALU_DEP_1) | instskip(NEXT) | instid1(VALU_DEP_1)
	v_dual_add_f32 v2, v2, v193 :: v_dual_add_f32 v13, v13, v214
	v_dual_add_f32 v2, v2, v195 :: v_dual_add_f32 v13, v13, v216
	s_delay_alu instid0(VALU_DEP_1) | instskip(NEXT) | instid1(VALU_DEP_1)
	v_dual_add_f32 v2, v2, v197 :: v_dual_add_f32 v13, v13, v218
	v_add_f32_e32 v2, v2, v199
	s_delay_alu instid0(VALU_DEP_2) | instskip(NEXT) | instid1(VALU_DEP_2)
	v_add_f32_e32 v18, v13, v220
	v_dual_add_f32 v2, v2, v201 :: v_dual_mul_f32 v235, v7, v4
	s_delay_alu instid0(VALU_DEP_2) | instskip(NEXT) | instid1(VALU_DEP_2)
	v_add_f32_e32 v18, v18, v222
	v_add_f32_e32 v2, v2, v203
	s_delay_alu instid0(VALU_DEP_2) | instskip(NEXT) | instid1(VALU_DEP_2)
	v_dual_fmac_f32 v235, v8, v3 :: v_dual_add_f32 v18, v18, v224
	v_add_f32_e32 v5, v2, v205
	ds_load_b128 v[1:4], v29 offset:928
	v_add_f32_e32 v21, v18, v226
	v_add_f32_e32 v5, v5, v207
	s_delay_alu instid0(VALU_DEP_2) | instskip(NEXT) | instid1(VALU_DEP_2)
	v_add_f32_e32 v30, v21, v228
	v_add_f32_e32 v5, v5, v209
	s_delay_alu instid0(VALU_DEP_1)
	v_add_f32_e32 v14, v5, v211
	ds_load_b128 v[5:8], v29 offset:944
	s_wait_loadcnt_dscnt 0x1
	v_dual_add_f32 v14, v14, v213 :: v_dual_mul_f32 v25, v1, v10
	v_mul_f32_e32 v26, v3, v12
	v_mul_f32_e32 v10, v2, v10
	;; [unrolled: 1-line block ×3, first 2 shown]
	s_delay_alu instid0(VALU_DEP_4) | instskip(NEXT) | instid1(VALU_DEP_4)
	v_add_f32_e32 v14, v14, v215
	v_dual_fmac_f32 v25, v2, v9 :: v_dual_fmac_f32 v26, v4, v11
	s_delay_alu instid0(VALU_DEP_4) | instskip(NEXT) | instid1(VALU_DEP_4)
	v_fma_f32 v27, v1, v9, -v10
	v_fma_f32 v28, v3, v11, -v12
	s_clause 0x1
	scratch_load_b128 v[1:4], off, off offset:448
	scratch_load_b128 v[9:12], off, off offset:464
	s_wait_loadcnt_dscnt 0x100
	v_dual_mul_f32 v32, v7, v4 :: v_dual_add_f32 v17, v14, v217
	scratch_load_b128 v[13:16], off, off offset:480
	v_mul_f32_e32 v4, v8, v4
	v_fmac_f32_e32 v32, v8, v3
	v_add_f32_e32 v17, v17, v219
	s_delay_alu instid0(VALU_DEP_3) | instskip(NEXT) | instid1(VALU_DEP_2)
	v_fma_f32 v3, v7, v3, -v4
	v_add_f32_e32 v17, v17, v221
	s_delay_alu instid0(VALU_DEP_1) | instskip(NEXT) | instid1(VALU_DEP_1)
	v_add_f32_e32 v17, v17, v223
	v_add_f32_e32 v22, v17, v225
	ds_load_b128 v[17:20], v29 offset:960
	v_add_f32_e32 v31, v22, v227
	ds_load_b128 v[21:24], v29 offset:976
	v_dual_add_f32 v29, v30, v230 :: v_dual_add_f32 v30, v31, v229
	v_mul_f32_e32 v31, v5, v2
	s_delay_alu instid0(VALU_DEP_2) | instskip(NEXT) | instid1(VALU_DEP_3)
	v_dual_add_f32 v29, v29, v232 :: v_dual_mul_f32 v2, v6, v2
	v_add_f32_e32 v30, v30, v231
	s_delay_alu instid0(VALU_DEP_3) | instskip(NEXT) | instid1(VALU_DEP_3)
	v_fmac_f32_e32 v31, v6, v1
	v_add_f32_e32 v29, v29, v234
	s_delay_alu instid0(VALU_DEP_4) | instskip(SKIP_2) | instid1(VALU_DEP_3)
	v_fma_f32 v2, v5, v1, -v2
	s_wait_loadcnt_dscnt 0x101
	v_dual_add_f32 v30, v30, v233 :: v_dual_mul_f32 v33, v17, v10
	v_dual_add_f32 v29, v29, v236 :: v_dual_mul_f32 v6, v18, v10
	v_mul_f32_e32 v34, v19, v12
	s_delay_alu instid0(VALU_DEP_3) | instskip(NEXT) | instid1(VALU_DEP_3)
	v_add_f32_e32 v30, v30, v235
	v_dual_mul_f32 v4, v20, v12 :: v_dual_add_f32 v27, v29, v27
	s_delay_alu instid0(VALU_DEP_3) | instskip(NEXT) | instid1(VALU_DEP_3)
	v_dual_fmac_f32 v33, v18, v9 :: v_dual_fmac_f32 v34, v20, v11
	v_add_f32_e32 v25, v30, v25
	s_delay_alu instid0(VALU_DEP_3) | instskip(NEXT) | instid1(VALU_DEP_4)
	v_fma_f32 v4, v19, v11, -v4
	v_add_f32_e32 v1, v27, v28
	s_delay_alu instid0(VALU_DEP_3) | instskip(NEXT) | instid1(VALU_DEP_2)
	v_add_f32_e32 v5, v25, v26
	v_add_f32_e32 v1, v1, v2
	s_delay_alu instid0(VALU_DEP_2) | instskip(SKIP_1) | instid1(VALU_DEP_2)
	v_add_f32_e32 v2, v5, v31
	v_fma_f32 v5, v17, v9, -v6
	v_dual_add_f32 v1, v1, v3 :: v_dual_add_f32 v2, v2, v32
	s_delay_alu instid0(VALU_DEP_1) | instskip(NEXT) | instid1(VALU_DEP_1)
	v_add_f32_e32 v1, v1, v5
	v_dual_add_f32 v2, v2, v33 :: v_dual_add_f32 v1, v1, v4
	s_delay_alu instid0(VALU_DEP_1) | instskip(SKIP_4) | instid1(VALU_DEP_3)
	v_add_f32_e32 v2, v2, v34
	s_wait_loadcnt_dscnt 0x0
	v_mul_f32_e32 v38, v21, v14
	v_mul_f32_e32 v3, v22, v14
	;; [unrolled: 1-line block ×3, first 2 shown]
	v_dual_mul_f32 v5, v24, v16 :: v_dual_fmac_f32 v38, v22, v13
	s_delay_alu instid0(VALU_DEP_3) | instskip(NEXT) | instid1(VALU_DEP_3)
	v_fma_f32 v3, v21, v13, -v3
	v_fmac_f32_e32 v29, v24, v15
	s_delay_alu instid0(VALU_DEP_3) | instskip(NEXT) | instid1(VALU_DEP_3)
	v_fma_f32 v4, v23, v15, -v5
	v_dual_add_f32 v2, v2, v38 :: v_dual_add_f32 v1, v1, v3
	s_delay_alu instid0(VALU_DEP_1) | instskip(NEXT) | instid1(VALU_DEP_1)
	v_dual_add_f32 v2, v2, v29 :: v_dual_add_f32 v1, v1, v4
	v_dual_sub_f32 v2, v37, v2 :: v_dual_sub_f32 v1, v36, v1
	scratch_store_b64 off, v[1:2], off offset:40
	v_cmpx_lt_u32_e32 4, v0
	s_cbranch_execz .LBB61_377
; %bb.376:
	scratch_load_b64 v[1:2], off, off offset:32
	v_mov_b32_e32 v3, 0
	s_delay_alu instid0(VALU_DEP_1)
	v_mov_b32_e32 v4, v3
	scratch_store_b64 off, v[3:4], off offset:32
	s_wait_loadcnt 0x0
	ds_store_b64 v35, v[1:2]
.LBB61_377:
	s_wait_alu 0xfffe
	s_or_b32 exec_lo, exec_lo, s0
	s_wait_storecnt_dscnt 0x0
	s_barrier_signal -1
	s_barrier_wait -1
	global_inv scope:SCOPE_SE
	s_clause 0x4
	scratch_load_b128 v[5:8], off, off offset:40
	scratch_load_b128 v[1:4], off, off offset:56
	;; [unrolled: 1-line block ×5, first 2 shown]
	v_mov_b32_e32 v33, 0
	ds_load_2addr_b64 v[21:24], v33 offset0:67 offset1:68
	ds_load_2addr_b64 v[25:28], v33 offset0:69 offset1:70
	;; [unrolled: 1-line block ×3, first 2 shown]
	scratch_load_b64 v[36:37], off, off offset:32
	s_mov_b32 s0, exec_lo
	s_wait_loadcnt_dscnt 0x502
	v_mul_f32_e32 v34, v21, v6
	v_mul_f32_e32 v38, v23, v8
	;; [unrolled: 1-line block ×3, first 2 shown]
	s_wait_loadcnt_dscnt 0x300
	v_dual_mul_f32 v8, v24, v8 :: v_dual_mul_f32 v39, v29, v10
	v_fmac_f32_e32 v34, v22, v5
	v_mul_f32_e32 v40, v31, v12
	v_fma_f32 v21, v21, v5, -v6
	s_delay_alu instid0(VALU_DEP_4)
	v_fma_f32 v22, v23, v7, -v8
	v_dual_mul_f32 v23, v25, v2 :: v_dual_fmac_f32 v38, v24, v7
	ds_load_2addr_b64 v[5:8], v33 offset0:73 offset1:74
	v_dual_mul_f32 v24, v27, v4 :: v_dual_fmac_f32 v39, v30, v9
	v_mul_f32_e32 v2, v26, v2
	v_mul_f32_e32 v4, v28, v4
	;; [unrolled: 1-line block ×3, first 2 shown]
	s_delay_alu instid0(VALU_DEP_4) | instskip(NEXT) | instid1(VALU_DEP_4)
	v_dual_fmac_f32 v23, v26, v1 :: v_dual_fmac_f32 v24, v28, v3
	v_fma_f32 v25, v25, v1, -v2
	s_delay_alu instid0(VALU_DEP_4) | instskip(SKIP_4) | instid1(VALU_DEP_3)
	v_fma_f32 v26, v27, v3, -v4
	scratch_load_b128 v[1:4], off, off offset:120
	v_mul_f32_e32 v12, v32, v12
	v_fmac_f32_e32 v40, v32, v11
	v_fma_f32 v27, v29, v9, -v10
	v_fma_f32 v28, v31, v11, -v12
	ds_load_2addr_b64 v[9:12], v33 offset0:75 offset1:76
	s_wait_loadcnt_dscnt 0x301
	v_dual_mul_f32 v29, v5, v14 :: v_dual_mul_f32 v30, v7, v16
	v_mul_f32_e32 v14, v6, v14
	s_delay_alu instid0(VALU_DEP_2) | instskip(NEXT) | instid1(VALU_DEP_3)
	v_dual_mul_f32 v16, v8, v16 :: v_dual_fmac_f32 v29, v6, v13
	v_fmac_f32_e32 v30, v8, v15
	s_delay_alu instid0(VALU_DEP_3) | instskip(NEXT) | instid1(VALU_DEP_3)
	v_fma_f32 v13, v5, v13, -v14
	v_fma_f32 v14, v7, v15, -v16
	ds_load_2addr_b64 v[5:8], v33 offset0:77 offset1:78
	s_wait_loadcnt_dscnt 0x201
	v_dual_mul_f32 v15, v9, v18 :: v_dual_mul_f32 v16, v11, v20
	v_mul_f32_e32 v18, v10, v18
	s_delay_alu instid0(VALU_DEP_2) | instskip(NEXT) | instid1(VALU_DEP_3)
	v_dual_mul_f32 v20, v12, v20 :: v_dual_fmac_f32 v15, v10, v17
	v_fmac_f32_e32 v16, v12, v19
	s_delay_alu instid0(VALU_DEP_3) | instskip(NEXT) | instid1(VALU_DEP_3)
	v_fma_f32 v17, v9, v17, -v18
	v_fma_f32 v18, v11, v19, -v20
	scratch_load_b128 v[9:12], off, off offset:136
	s_wait_loadcnt_dscnt 0x100
	v_mul_f32_e32 v19, v5, v2
	v_mul_f32_e32 v2, v6, v2
	;; [unrolled: 1-line block ×3, first 2 shown]
	s_delay_alu instid0(VALU_DEP_3) | instskip(NEXT) | instid1(VALU_DEP_3)
	v_dual_mul_f32 v4, v8, v4 :: v_dual_fmac_f32 v19, v6, v1
	v_fma_f32 v31, v5, v1, -v2
	s_delay_alu instid0(VALU_DEP_3) | instskip(NEXT) | instid1(VALU_DEP_3)
	v_fmac_f32_e32 v20, v8, v3
	v_fma_f32 v32, v7, v3, -v4
	ds_load_2addr_b64 v[1:4], v33 offset0:79 offset1:80
	ds_load_2addr_b64 v[5:8], v33 offset0:81 offset1:82
	s_wait_loadcnt_dscnt 0x1
	v_mul_f32_e32 v41, v1, v10
	v_mul_f32_e32 v10, v2, v10
	s_delay_alu instid0(VALU_DEP_2) | instskip(NEXT) | instid1(VALU_DEP_2)
	v_dual_mul_f32 v42, v3, v12 :: v_dual_fmac_f32 v41, v2, v9
	v_fma_f32 v43, v1, v9, -v10
	v_mul_f32_e32 v1, v4, v12
	s_delay_alu instid0(VALU_DEP_3) | instskip(NEXT) | instid1(VALU_DEP_2)
	v_fmac_f32_e32 v42, v4, v11
	v_fma_f32 v44, v3, v11, -v1
	s_clause 0x1
	scratch_load_b128 v[1:4], off, off offset:152
	scratch_load_b128 v[9:12], off, off offset:168
	s_wait_loadcnt_dscnt 0x100
	v_mul_f32_e32 v169, v5, v2
	v_dual_mul_f32 v2, v6, v2 :: v_dual_mul_f32 v171, v7, v4
	s_delay_alu instid0(VALU_DEP_2) | instskip(NEXT) | instid1(VALU_DEP_2)
	v_fmac_f32_e32 v169, v6, v1
	v_fma_f32 v170, v5, v1, -v2
	v_mul_f32_e32 v1, v8, v4
	s_delay_alu instid0(VALU_DEP_4) | instskip(NEXT) | instid1(VALU_DEP_2)
	v_fmac_f32_e32 v171, v8, v3
	v_fma_f32 v172, v7, v3, -v1
	ds_load_2addr_b64 v[1:4], v33 offset0:83 offset1:84
	ds_load_2addr_b64 v[5:8], v33 offset0:85 offset1:86
	s_wait_loadcnt_dscnt 0x1
	v_mul_f32_e32 v173, v1, v10
	v_mul_f32_e32 v175, v3, v12
	s_delay_alu instid0(VALU_DEP_2) | instskip(NEXT) | instid1(VALU_DEP_2)
	v_fmac_f32_e32 v173, v2, v9
	v_dual_mul_f32 v2, v2, v10 :: v_dual_fmac_f32 v175, v4, v11
	s_delay_alu instid0(VALU_DEP_1) | instskip(SKIP_1) | instid1(VALU_DEP_1)
	v_fma_f32 v174, v1, v9, -v2
	v_mul_f32_e32 v1, v4, v12
	v_fma_f32 v176, v3, v11, -v1
	s_clause 0x1
	scratch_load_b128 v[1:4], off, off offset:184
	scratch_load_b128 v[9:12], off, off offset:200
	s_wait_loadcnt_dscnt 0x100
	v_mul_f32_e32 v177, v5, v2
	v_dual_mul_f32 v2, v6, v2 :: v_dual_mul_f32 v179, v7, v4
	s_delay_alu instid0(VALU_DEP_2) | instskip(NEXT) | instid1(VALU_DEP_2)
	v_fmac_f32_e32 v177, v6, v1
	v_fma_f32 v178, v5, v1, -v2
	v_mul_f32_e32 v1, v8, v4
	s_delay_alu instid0(VALU_DEP_4) | instskip(NEXT) | instid1(VALU_DEP_2)
	v_fmac_f32_e32 v179, v8, v3
	v_fma_f32 v180, v7, v3, -v1
	ds_load_2addr_b64 v[1:4], v33 offset0:87 offset1:88
	ds_load_2addr_b64 v[5:8], v33 offset0:89 offset1:90
	s_wait_loadcnt_dscnt 0x1
	v_mul_f32_e32 v181, v1, v10
	v_mul_f32_e32 v183, v3, v12
	s_delay_alu instid0(VALU_DEP_2) | instskip(NEXT) | instid1(VALU_DEP_2)
	v_fmac_f32_e32 v181, v2, v9
	v_dual_mul_f32 v2, v2, v10 :: v_dual_fmac_f32 v183, v4, v11
	s_delay_alu instid0(VALU_DEP_1) | instskip(SKIP_1) | instid1(VALU_DEP_1)
	v_fma_f32 v182, v1, v9, -v2
	v_mul_f32_e32 v1, v4, v12
	;; [unrolled: 25-line block ×8, first 2 shown]
	v_fma_f32 v232, v3, v11, -v1
	s_clause 0x1
	scratch_load_b128 v[1:4], off, off offset:408
	scratch_load_b128 v[9:12], off, off offset:424
	s_wait_loadcnt_dscnt 0x100
	v_mul_f32_e32 v233, v5, v2
	v_mul_f32_e32 v2, v6, v2
	s_delay_alu instid0(VALU_DEP_2) | instskip(NEXT) | instid1(VALU_DEP_2)
	v_fmac_f32_e32 v233, v6, v1
	v_fma_f32 v234, v5, v1, -v2
	v_dual_mul_f32 v1, v8, v4 :: v_dual_add_f32 v2, 0, v34
	s_delay_alu instid0(VALU_DEP_1) | instskip(NEXT) | instid1(VALU_DEP_2)
	v_fma_f32 v236, v7, v3, -v1
	v_dual_add_f32 v1, 0, v21 :: v_dual_add_f32 v2, v2, v38
	s_delay_alu instid0(VALU_DEP_1) | instskip(NEXT) | instid1(VALU_DEP_1)
	v_dual_add_f32 v1, v1, v22 :: v_dual_add_f32 v2, v2, v23
	v_dual_add_f32 v1, v1, v25 :: v_dual_add_f32 v2, v2, v24
	s_delay_alu instid0(VALU_DEP_1) | instskip(SKIP_2) | instid1(VALU_DEP_1)
	v_dual_add_f32 v1, v1, v26 :: v_dual_add_f32 v2, v2, v39
	scratch_load_b64 v[25:26], off, off offset:488
	v_dual_add_f32 v1, v1, v27 :: v_dual_add_f32 v2, v2, v40
	v_dual_add_f32 v1, v1, v28 :: v_dual_add_f32 v2, v2, v29
	s_delay_alu instid0(VALU_DEP_1) | instskip(NEXT) | instid1(VALU_DEP_1)
	v_dual_add_f32 v1, v1, v13 :: v_dual_add_f32 v2, v2, v30
	v_dual_add_f32 v1, v1, v14 :: v_dual_add_f32 v2, v2, v15
	s_delay_alu instid0(VALU_DEP_1) | instskip(NEXT) | instid1(VALU_DEP_1)
	;; [unrolled: 3-line block ×8, first 2 shown]
	v_dual_add_f32 v1, v1, v182 :: v_dual_add_f32 v2, v2, v183
	v_add_f32_e32 v1, v1, v184
	s_delay_alu instid0(VALU_DEP_1) | instskip(NEXT) | instid1(VALU_DEP_1)
	v_add_f32_e32 v1, v1, v186
	v_add_f32_e32 v1, v1, v188
	s_delay_alu instid0(VALU_DEP_1) | instskip(NEXT) | instid1(VALU_DEP_1)
	v_add_f32_e32 v1, v1, v190
	;; [unrolled: 3-line block ×6, first 2 shown]
	v_add_f32_e32 v6, v1, v208
	v_add_f32_e32 v2, v2, v185
	s_delay_alu instid0(VALU_DEP_2) | instskip(NEXT) | instid1(VALU_DEP_2)
	v_add_f32_e32 v6, v6, v210
	v_add_f32_e32 v2, v2, v187
	s_delay_alu instid0(VALU_DEP_2) | instskip(NEXT) | instid1(VALU_DEP_1)
	v_add_f32_e32 v13, v6, v212
	v_dual_add_f32 v2, v2, v189 :: v_dual_add_f32 v13, v13, v214
	s_delay_alu instid0(VALU_DEP_1) | instskip(NEXT) | instid1(VALU_DEP_1)
	v_dual_add_f32 v2, v2, v191 :: v_dual_add_f32 v13, v13, v216
	v_dual_add_f32 v2, v2, v193 :: v_dual_add_f32 v13, v13, v218
	s_delay_alu instid0(VALU_DEP_1) | instskip(NEXT) | instid1(VALU_DEP_2)
	v_add_f32_e32 v2, v2, v195
	v_add_f32_e32 v18, v13, v220
	s_delay_alu instid0(VALU_DEP_2) | instskip(NEXT) | instid1(VALU_DEP_2)
	v_dual_add_f32 v2, v2, v197 :: v_dual_mul_f32 v235, v7, v4
	v_add_f32_e32 v18, v18, v222
	s_delay_alu instid0(VALU_DEP_2) | instskip(NEXT) | instid1(VALU_DEP_2)
	v_add_f32_e32 v2, v2, v199
	v_add_f32_e32 v18, v18, v224
	s_delay_alu instid0(VALU_DEP_2) | instskip(NEXT) | instid1(VALU_DEP_2)
	v_dual_add_f32 v2, v2, v201 :: v_dual_fmac_f32 v235, v8, v3
	v_add_f32_e32 v18, v18, v226
	s_delay_alu instid0(VALU_DEP_2) | instskip(NEXT) | instid1(VALU_DEP_2)
	v_add_f32_e32 v2, v2, v203
	v_add_f32_e32 v18, v18, v228
	s_delay_alu instid0(VALU_DEP_2) | instskip(SKIP_2) | instid1(VALU_DEP_1)
	v_add_f32_e32 v5, v2, v205
	ds_load_2addr_b64 v[1:4], v33 offset0:115 offset1:116
	v_add_f32_e32 v27, v18, v230
	v_dual_add_f32 v5, v5, v207 :: v_dual_add_f32 v34, v27, v232
	s_delay_alu instid0(VALU_DEP_1) | instskip(NEXT) | instid1(VALU_DEP_1)
	v_dual_add_f32 v5, v5, v209 :: v_dual_add_f32 v34, v34, v234
	v_add_f32_e32 v14, v5, v211
	ds_load_2addr_b64 v[5:8], v33 offset0:117 offset1:118
	v_add_f32_e32 v34, v34, v236
	s_wait_loadcnt_dscnt 0x101
	v_dual_add_f32 v14, v14, v213 :: v_dual_mul_f32 v29, v1, v10
	v_mul_f32_e32 v10, v2, v10
	v_mul_f32_e32 v30, v3, v12
	;; [unrolled: 1-line block ×3, first 2 shown]
	s_delay_alu instid0(VALU_DEP_4)
	v_add_f32_e32 v14, v14, v215
	v_fmac_f32_e32 v29, v2, v9
	v_fma_f32 v31, v1, v9, -v10
	v_fmac_f32_e32 v30, v4, v11
	v_fma_f32 v32, v3, v11, -v12
	s_clause 0x1
	scratch_load_b128 v[1:4], off, off offset:440
	scratch_load_b128 v[9:12], off, off offset:456
	v_add_f32_e32 v31, v34, v31
	s_delay_alu instid0(VALU_DEP_1)
	v_add_f32_e32 v31, v31, v32
	s_wait_loadcnt_dscnt 0x100
	v_dual_mul_f32 v40, v7, v4 :: v_dual_add_f32 v17, v14, v217
	scratch_load_b128 v[13:16], off, off offset:472
	v_dual_mul_f32 v4, v8, v4 :: v_dual_mul_f32 v39, v5, v2
	v_dual_mul_f32 v2, v6, v2 :: v_dual_add_f32 v17, v17, v219
	s_delay_alu instid0(VALU_DEP_2) | instskip(NEXT) | instid1(VALU_DEP_2)
	v_dual_fmac_f32 v40, v8, v3 :: v_dual_fmac_f32 v39, v6, v1
	v_fma_f32 v2, v5, v1, -v2
	s_delay_alu instid0(VALU_DEP_3) | instskip(SKIP_1) | instid1(VALU_DEP_2)
	v_add_f32_e32 v17, v17, v221
	v_fma_f32 v1, v7, v3, -v4
	v_dual_add_f32 v2, v31, v2 :: v_dual_add_f32 v17, v17, v223
	s_delay_alu instid0(VALU_DEP_1) | instskip(NEXT) | instid1(VALU_DEP_2)
	v_add_f32_e32 v1, v2, v1
	v_add_f32_e32 v17, v17, v225
	s_delay_alu instid0(VALU_DEP_1)
	v_add_f32_e32 v21, v17, v227
	ds_load_2addr_b64 v[17:20], v33 offset0:119 offset1:120
	v_add_f32_e32 v28, v21, v229
	ds_load_2addr_b64 v[21:24], v33 offset0:121 offset1:122
	v_add_f32_e32 v38, v28, v231
	ds_load_b64 v[27:28], v33 offset:984
	s_wait_loadcnt_dscnt 0x102
	v_mul_f32_e32 v34, v17, v10
	v_mul_f32_e32 v3, v18, v10
	s_delay_alu instid0(VALU_DEP_2) | instskip(NEXT) | instid1(VALU_DEP_2)
	v_dual_mul_f32 v5, v20, v12 :: v_dual_fmac_f32 v34, v18, v9
	v_fma_f32 v3, v17, v9, -v3
	s_delay_alu instid0(VALU_DEP_2) | instskip(NEXT) | instid1(VALU_DEP_2)
	v_fma_f32 v5, v19, v11, -v5
	v_add_f32_e32 v1, v1, v3
	s_delay_alu instid0(VALU_DEP_1) | instskip(SKIP_4) | instid1(VALU_DEP_3)
	v_add_f32_e32 v1, v1, v5
	s_wait_loadcnt_dscnt 0x0
	v_dual_mul_f32 v5, v28, v26 :: v_dual_mul_f32 v32, v23, v16
	v_dual_add_f32 v38, v38, v233 :: v_dual_mul_f32 v41, v21, v14
	v_mul_f32_e32 v3, v24, v16
	v_fmac_f32_e32 v32, v24, v15
	s_delay_alu instid0(VALU_DEP_3) | instskip(NEXT) | instid1(VALU_DEP_4)
	v_add_f32_e32 v38, v38, v235
	v_fmac_f32_e32 v41, v22, v13
	s_delay_alu instid0(VALU_DEP_4) | instskip(NEXT) | instid1(VALU_DEP_3)
	v_fma_f32 v3, v23, v15, -v3
	v_dual_add_f32 v29, v38, v29 :: v_dual_mul_f32 v38, v19, v12
	s_delay_alu instid0(VALU_DEP_1) | instskip(SKIP_1) | instid1(VALU_DEP_2)
	v_dual_add_f32 v29, v29, v30 :: v_dual_fmac_f32 v38, v20, v11
	v_mul_f32_e32 v30, v27, v26
	v_add_f32_e32 v4, v29, v39
	s_delay_alu instid0(VALU_DEP_2) | instskip(NEXT) | instid1(VALU_DEP_2)
	v_fmac_f32_e32 v30, v28, v25
	v_add_f32_e32 v2, v4, v40
	v_mul_f32_e32 v4, v22, v14
	s_delay_alu instid0(VALU_DEP_2) | instskip(NEXT) | instid1(VALU_DEP_2)
	v_add_f32_e32 v2, v2, v34
	v_fma_f32 v4, v21, v13, -v4
	s_delay_alu instid0(VALU_DEP_1) | instskip(SKIP_1) | instid1(VALU_DEP_2)
	v_dual_add_f32 v2, v2, v38 :: v_dual_add_f32 v1, v1, v4
	v_fma_f32 v4, v27, v25, -v5
	v_dual_add_f32 v2, v2, v41 :: v_dual_add_f32 v1, v1, v3
	s_delay_alu instid0(VALU_DEP_1) | instskip(NEXT) | instid1(VALU_DEP_1)
	v_add_f32_e32 v2, v2, v32
	v_dual_add_f32 v1, v1, v4 :: v_dual_add_f32 v2, v2, v30
	s_delay_alu instid0(VALU_DEP_1)
	v_dual_sub_f32 v1, v36, v1 :: v_dual_sub_f32 v2, v37, v2
	scratch_store_b64 off, v[1:2], off offset:32
	v_cmpx_lt_u32_e32 3, v0
	s_cbranch_execz .LBB61_379
; %bb.378:
	scratch_load_b64 v[1:2], off, off offset:24
	v_mov_b32_e32 v34, v33
	scratch_store_b64 off, v[33:34], off offset:24
	s_wait_loadcnt 0x0
	ds_store_b64 v35, v[1:2]
.LBB61_379:
	s_wait_alu 0xfffe
	s_or_b32 exec_lo, exec_lo, s0
	s_wait_storecnt_dscnt 0x0
	s_barrier_signal -1
	s_barrier_wait -1
	global_inv scope:SCOPE_SE
	s_clause 0x4
	scratch_load_b128 v[5:8], off, off offset:32
	scratch_load_b128 v[1:4], off, off offset:48
	;; [unrolled: 1-line block ×5, first 2 shown]
	ds_load_b128 v[21:24], v33 offset:528
	ds_load_b128 v[25:28], v33 offset:544
	;; [unrolled: 1-line block ×3, first 2 shown]
	scratch_load_b64 v[36:37], off, off offset:24
	s_mov_b32 s0, exec_lo
	s_wait_loadcnt_dscnt 0x502
	v_mul_f32_e32 v34, v21, v6
	v_mul_f32_e32 v38, v23, v8
	;; [unrolled: 1-line block ×3, first 2 shown]
	s_wait_loadcnt_dscnt 0x300
	v_dual_mul_f32 v8, v24, v8 :: v_dual_mul_f32 v39, v29, v10
	v_fmac_f32_e32 v34, v22, v5
	v_mul_f32_e32 v40, v31, v12
	v_fma_f32 v21, v21, v5, -v6
	s_delay_alu instid0(VALU_DEP_4)
	v_fma_f32 v22, v23, v7, -v8
	v_dual_mul_f32 v23, v25, v2 :: v_dual_fmac_f32 v38, v24, v7
	v_fmac_f32_e32 v39, v30, v9
	ds_load_b128 v[5:8], v33 offset:576
	v_mul_f32_e32 v24, v27, v4
	v_mul_f32_e32 v2, v26, v2
	;; [unrolled: 1-line block ×4, first 2 shown]
	s_delay_alu instid0(VALU_DEP_4) | instskip(NEXT) | instid1(VALU_DEP_4)
	v_dual_fmac_f32 v23, v26, v1 :: v_dual_fmac_f32 v24, v28, v3
	v_fma_f32 v25, v25, v1, -v2
	s_delay_alu instid0(VALU_DEP_4) | instskip(SKIP_4) | instid1(VALU_DEP_3)
	v_fma_f32 v26, v27, v3, -v4
	scratch_load_b128 v[1:4], off, off offset:112
	v_mul_f32_e32 v12, v32, v12
	v_fmac_f32_e32 v40, v32, v11
	v_fma_f32 v27, v29, v9, -v10
	v_fma_f32 v28, v31, v11, -v12
	ds_load_b128 v[9:12], v33 offset:592
	s_wait_loadcnt_dscnt 0x301
	v_dual_mul_f32 v29, v5, v14 :: v_dual_mul_f32 v30, v7, v16
	v_mul_f32_e32 v14, v6, v14
	s_delay_alu instid0(VALU_DEP_2) | instskip(NEXT) | instid1(VALU_DEP_3)
	v_dual_mul_f32 v16, v8, v16 :: v_dual_fmac_f32 v29, v6, v13
	v_fmac_f32_e32 v30, v8, v15
	s_delay_alu instid0(VALU_DEP_3) | instskip(NEXT) | instid1(VALU_DEP_3)
	v_fma_f32 v13, v5, v13, -v14
	v_fma_f32 v14, v7, v15, -v16
	ds_load_b128 v[5:8], v33 offset:608
	s_wait_loadcnt_dscnt 0x201
	v_dual_mul_f32 v15, v9, v18 :: v_dual_mul_f32 v16, v11, v20
	v_mul_f32_e32 v18, v10, v18
	s_delay_alu instid0(VALU_DEP_2) | instskip(NEXT) | instid1(VALU_DEP_3)
	v_dual_mul_f32 v20, v12, v20 :: v_dual_fmac_f32 v15, v10, v17
	v_fmac_f32_e32 v16, v12, v19
	s_delay_alu instid0(VALU_DEP_3) | instskip(NEXT) | instid1(VALU_DEP_3)
	v_fma_f32 v17, v9, v17, -v18
	v_fma_f32 v18, v11, v19, -v20
	scratch_load_b128 v[9:12], off, off offset:128
	s_wait_loadcnt_dscnt 0x100
	v_mul_f32_e32 v19, v5, v2
	v_mul_f32_e32 v2, v6, v2
	;; [unrolled: 1-line block ×3, first 2 shown]
	s_delay_alu instid0(VALU_DEP_3) | instskip(NEXT) | instid1(VALU_DEP_3)
	v_dual_mul_f32 v4, v8, v4 :: v_dual_fmac_f32 v19, v6, v1
	v_fma_f32 v31, v5, v1, -v2
	s_delay_alu instid0(VALU_DEP_3) | instskip(NEXT) | instid1(VALU_DEP_3)
	v_fmac_f32_e32 v20, v8, v3
	v_fma_f32 v32, v7, v3, -v4
	ds_load_b128 v[1:4], v33 offset:624
	ds_load_b128 v[5:8], v33 offset:640
	s_wait_loadcnt_dscnt 0x1
	v_mul_f32_e32 v41, v1, v10
	v_mul_f32_e32 v10, v2, v10
	s_delay_alu instid0(VALU_DEP_2) | instskip(NEXT) | instid1(VALU_DEP_2)
	v_dual_mul_f32 v42, v3, v12 :: v_dual_fmac_f32 v41, v2, v9
	v_fma_f32 v43, v1, v9, -v10
	v_mul_f32_e32 v1, v4, v12
	s_delay_alu instid0(VALU_DEP_3) | instskip(NEXT) | instid1(VALU_DEP_2)
	v_fmac_f32_e32 v42, v4, v11
	v_fma_f32 v44, v3, v11, -v1
	s_clause 0x1
	scratch_load_b128 v[1:4], off, off offset:144
	scratch_load_b128 v[9:12], off, off offset:160
	s_wait_loadcnt_dscnt 0x100
	v_mul_f32_e32 v169, v5, v2
	v_dual_mul_f32 v2, v6, v2 :: v_dual_mul_f32 v171, v7, v4
	s_delay_alu instid0(VALU_DEP_2) | instskip(NEXT) | instid1(VALU_DEP_2)
	v_fmac_f32_e32 v169, v6, v1
	v_fma_f32 v170, v5, v1, -v2
	v_mul_f32_e32 v1, v8, v4
	s_delay_alu instid0(VALU_DEP_4) | instskip(NEXT) | instid1(VALU_DEP_2)
	v_fmac_f32_e32 v171, v8, v3
	v_fma_f32 v172, v7, v3, -v1
	ds_load_b128 v[1:4], v33 offset:656
	ds_load_b128 v[5:8], v33 offset:672
	s_wait_loadcnt_dscnt 0x1
	v_mul_f32_e32 v173, v1, v10
	v_mul_f32_e32 v175, v3, v12
	s_delay_alu instid0(VALU_DEP_2) | instskip(NEXT) | instid1(VALU_DEP_2)
	v_fmac_f32_e32 v173, v2, v9
	v_dual_mul_f32 v2, v2, v10 :: v_dual_fmac_f32 v175, v4, v11
	s_delay_alu instid0(VALU_DEP_1) | instskip(SKIP_1) | instid1(VALU_DEP_1)
	v_fma_f32 v174, v1, v9, -v2
	v_mul_f32_e32 v1, v4, v12
	v_fma_f32 v176, v3, v11, -v1
	s_clause 0x1
	scratch_load_b128 v[1:4], off, off offset:176
	scratch_load_b128 v[9:12], off, off offset:192
	s_wait_loadcnt_dscnt 0x100
	v_mul_f32_e32 v177, v5, v2
	v_dual_mul_f32 v2, v6, v2 :: v_dual_mul_f32 v179, v7, v4
	s_delay_alu instid0(VALU_DEP_2) | instskip(NEXT) | instid1(VALU_DEP_2)
	v_fmac_f32_e32 v177, v6, v1
	v_fma_f32 v178, v5, v1, -v2
	v_mul_f32_e32 v1, v8, v4
	s_delay_alu instid0(VALU_DEP_4) | instskip(NEXT) | instid1(VALU_DEP_2)
	v_fmac_f32_e32 v179, v8, v3
	v_fma_f32 v180, v7, v3, -v1
	ds_load_b128 v[1:4], v33 offset:688
	ds_load_b128 v[5:8], v33 offset:704
	s_wait_loadcnt_dscnt 0x1
	v_mul_f32_e32 v181, v1, v10
	v_mul_f32_e32 v183, v3, v12
	s_delay_alu instid0(VALU_DEP_2) | instskip(NEXT) | instid1(VALU_DEP_2)
	v_fmac_f32_e32 v181, v2, v9
	v_dual_mul_f32 v2, v2, v10 :: v_dual_fmac_f32 v183, v4, v11
	s_delay_alu instid0(VALU_DEP_1) | instskip(SKIP_1) | instid1(VALU_DEP_1)
	v_fma_f32 v182, v1, v9, -v2
	v_mul_f32_e32 v1, v4, v12
	;; [unrolled: 25-line block ×8, first 2 shown]
	v_fma_f32 v232, v3, v11, -v1
	s_clause 0x1
	scratch_load_b128 v[1:4], off, off offset:400
	scratch_load_b128 v[9:12], off, off offset:416
	s_wait_loadcnt_dscnt 0x100
	v_mul_f32_e32 v233, v5, v2
	v_mul_f32_e32 v2, v6, v2
	s_delay_alu instid0(VALU_DEP_2) | instskip(NEXT) | instid1(VALU_DEP_2)
	v_fmac_f32_e32 v233, v6, v1
	v_fma_f32 v234, v5, v1, -v2
	v_dual_mul_f32 v1, v8, v4 :: v_dual_add_f32 v2, 0, v34
	s_delay_alu instid0(VALU_DEP_1) | instskip(NEXT) | instid1(VALU_DEP_2)
	v_fma_f32 v236, v7, v3, -v1
	v_dual_add_f32 v1, 0, v21 :: v_dual_add_f32 v2, v2, v38
	s_delay_alu instid0(VALU_DEP_1) | instskip(NEXT) | instid1(VALU_DEP_1)
	v_dual_add_f32 v1, v1, v22 :: v_dual_add_f32 v2, v2, v23
	v_dual_add_f32 v1, v1, v25 :: v_dual_add_f32 v2, v2, v24
	s_delay_alu instid0(VALU_DEP_1) | instskip(NEXT) | instid1(VALU_DEP_1)
	v_dual_add_f32 v1, v1, v26 :: v_dual_add_f32 v2, v2, v39
	;; [unrolled: 3-line block ×10, first 2 shown]
	v_dual_add_f32 v1, v1, v182 :: v_dual_add_f32 v2, v2, v183
	s_delay_alu instid0(VALU_DEP_1) | instskip(SKIP_1) | instid1(VALU_DEP_2)
	v_dual_add_f32 v1, v1, v184 :: v_dual_add_f32 v2, v2, v185
	v_mul_f32_e32 v235, v7, v4
	v_dual_add_f32 v1, v1, v186 :: v_dual_add_f32 v2, v2, v187
	s_delay_alu instid0(VALU_DEP_1) | instskip(NEXT) | instid1(VALU_DEP_1)
	v_add_f32_e32 v1, v1, v188
	v_add_f32_e32 v1, v1, v190
	s_delay_alu instid0(VALU_DEP_1) | instskip(NEXT) | instid1(VALU_DEP_1)
	v_add_f32_e32 v1, v1, v192
	v_add_f32_e32 v1, v1, v194
	;; [unrolled: 3-line block ×6, first 2 shown]
	v_add_f32_e32 v2, v2, v189
	s_delay_alu instid0(VALU_DEP_2) | instskip(NEXT) | instid1(VALU_DEP_2)
	v_add_f32_e32 v14, v6, v212
	v_add_f32_e32 v2, v2, v191
	s_delay_alu instid0(VALU_DEP_2) | instskip(NEXT) | instid1(VALU_DEP_2)
	v_add_f32_e32 v14, v14, v214
	v_add_f32_e32 v2, v2, v193
	s_delay_alu instid0(VALU_DEP_2) | instskip(NEXT) | instid1(VALU_DEP_1)
	v_add_f32_e32 v17, v14, v216
	v_dual_add_f32 v2, v2, v195 :: v_dual_add_f32 v17, v17, v218
	s_delay_alu instid0(VALU_DEP_1) | instskip(NEXT) | instid1(VALU_DEP_1)
	v_dual_add_f32 v2, v2, v197 :: v_dual_add_f32 v17, v17, v220
	v_dual_add_f32 v2, v2, v199 :: v_dual_add_f32 v17, v17, v222
	s_delay_alu instid0(VALU_DEP_1) | instskip(NEXT) | instid1(VALU_DEP_2)
	v_add_f32_e32 v2, v2, v201
	v_add_f32_e32 v22, v17, v224
	s_delay_alu instid0(VALU_DEP_2) | instskip(NEXT) | instid1(VALU_DEP_2)
	v_add_f32_e32 v2, v2, v203
	v_dual_fmac_f32 v235, v8, v3 :: v_dual_add_f32 v22, v22, v226
	s_delay_alu instid0(VALU_DEP_2) | instskip(NEXT) | instid1(VALU_DEP_2)
	v_add_f32_e32 v2, v2, v205
	v_add_f32_e32 v22, v22, v228
	s_delay_alu instid0(VALU_DEP_2) | instskip(SKIP_4) | instid1(VALU_DEP_1)
	v_add_f32_e32 v5, v2, v207
	ds_load_b128 v[1:4], v33 offset:912
	v_add_f32_e32 v13, v5, v209
	scratch_load_b128 v[5:8], off, off offset:432
	v_add_f32_e32 v13, v13, v211
	v_add_f32_e32 v13, v13, v213
	s_delay_alu instid0(VALU_DEP_1)
	v_add_f32_e32 v18, v13, v215
	ds_load_b128 v[13:16], v33 offset:928
	s_wait_loadcnt_dscnt 0x101
	v_mul_f32_e32 v25, v1, v10
	v_mul_f32_e32 v10, v2, v10
	;; [unrolled: 1-line block ×3, first 2 shown]
	s_delay_alu instid0(VALU_DEP_3) | instskip(NEXT) | instid1(VALU_DEP_3)
	v_dual_mul_f32 v12, v4, v12 :: v_dual_fmac_f32 v25, v2, v9
	v_fma_f32 v27, v1, v9, -v10
	s_delay_alu instid0(VALU_DEP_3) | instskip(NEXT) | instid1(VALU_DEP_3)
	v_fmac_f32_e32 v26, v4, v11
	v_fma_f32 v28, v3, v11, -v12
	s_clause 0x1
	scratch_load_b128 v[1:4], off, off offset:448
	scratch_load_b128 v[9:12], off, off offset:464
	s_wait_loadcnt_dscnt 0x200
	v_mul_f32_e32 v30, v15, v8
	v_mul_f32_e32 v8, v16, v8
	v_dual_add_f32 v18, v18, v217 :: v_dual_mul_f32 v29, v13, v6
	v_mul_f32_e32 v6, v14, v6
	s_delay_alu instid0(VALU_DEP_4) | instskip(NEXT) | instid1(VALU_DEP_4)
	v_fmac_f32_e32 v30, v16, v7
	v_fma_f32 v32, v15, v7, -v8
	s_delay_alu instid0(VALU_DEP_4)
	v_add_f32_e32 v18, v18, v219
	v_fmac_f32_e32 v29, v14, v5
	v_fma_f32 v31, v13, v5, -v6
	ds_load_b128 v[5:8], v33 offset:944
	v_add_f32_e32 v21, v18, v221
	scratch_load_b128 v[17:20], off, off offset:480
	v_add_f32_e32 v21, v21, v223
	s_delay_alu instid0(VALU_DEP_1) | instskip(NEXT) | instid1(VALU_DEP_1)
	v_add_f32_e32 v21, v21, v225
	v_add_f32_e32 v13, v21, v227
	s_delay_alu instid0(VALU_DEP_1) | instskip(NEXT) | instid1(VALU_DEP_1)
	v_dual_add_f32 v21, v22, v230 :: v_dual_add_f32 v22, v13, v229
	v_add_f32_e32 v34, v21, v232
	ds_load_b128 v[13:16], v33 offset:960
	v_add_f32_e32 v38, v22, v231
	ds_load_b128 v[21:24], v33 offset:976
	v_add_f32_e32 v33, v34, v234
	v_add_f32_e32 v34, v38, v233
	s_wait_loadcnt_dscnt 0x202
	v_mul_f32_e32 v38, v5, v2
	s_delay_alu instid0(VALU_DEP_3) | instskip(NEXT) | instid1(VALU_DEP_3)
	v_dual_add_f32 v33, v33, v236 :: v_dual_mul_f32 v2, v6, v2
	v_add_f32_e32 v34, v34, v235
	s_delay_alu instid0(VALU_DEP_2) | instskip(SKIP_1) | instid1(VALU_DEP_3)
	v_dual_fmac_f32 v38, v6, v1 :: v_dual_add_f32 v27, v33, v27
	v_mul_f32_e32 v33, v7, v4
	v_dual_mul_f32 v4, v8, v4 :: v_dual_add_f32 v25, v34, v25
	v_fma_f32 v2, v5, v1, -v2
	s_wait_loadcnt_dscnt 0x101
	v_dual_add_f32 v27, v27, v28 :: v_dual_mul_f32 v34, v13, v10
	v_mul_f32_e32 v6, v14, v10
	v_add_f32_e32 v25, v25, v26
	v_fmac_f32_e32 v33, v8, v3
	s_delay_alu instid0(VALU_DEP_4) | instskip(SKIP_3) | instid1(VALU_DEP_4)
	v_add_f32_e32 v27, v27, v31
	v_fma_f32 v3, v7, v3, -v4
	v_mul_f32_e32 v39, v15, v12
	v_dual_add_f32 v25, v25, v29 :: v_dual_mul_f32 v4, v16, v12
	v_dual_add_f32 v1, v27, v32 :: v_dual_fmac_f32 v34, v14, v9
	s_delay_alu instid0(VALU_DEP_3) | instskip(NEXT) | instid1(VALU_DEP_3)
	v_fmac_f32_e32 v39, v16, v11
	v_add_f32_e32 v5, v25, v30
	s_delay_alu instid0(VALU_DEP_4) | instskip(NEXT) | instid1(VALU_DEP_4)
	v_fma_f32 v4, v15, v11, -v4
	v_add_f32_e32 v1, v1, v2
	s_delay_alu instid0(VALU_DEP_3) | instskip(SKIP_1) | instid1(VALU_DEP_2)
	v_add_f32_e32 v2, v5, v38
	v_fma_f32 v5, v13, v9, -v6
	v_dual_add_f32 v1, v1, v3 :: v_dual_add_f32 v2, v2, v33
	s_delay_alu instid0(VALU_DEP_1) | instskip(NEXT) | instid1(VALU_DEP_1)
	v_dual_add_f32 v1, v1, v5 :: v_dual_add_f32 v2, v2, v34
	v_dual_add_f32 v1, v1, v4 :: v_dual_add_f32 v2, v2, v39
	s_wait_loadcnt_dscnt 0x0
	v_mul_f32_e32 v26, v21, v18
	v_dual_mul_f32 v3, v22, v18 :: v_dual_mul_f32 v28, v23, v20
	s_delay_alu instid0(VALU_DEP_2) | instskip(NEXT) | instid1(VALU_DEP_2)
	v_dual_mul_f32 v5, v24, v20 :: v_dual_fmac_f32 v26, v22, v17
	v_fma_f32 v3, v21, v17, -v3
	s_delay_alu instid0(VALU_DEP_3) | instskip(NEXT) | instid1(VALU_DEP_3)
	v_fmac_f32_e32 v28, v24, v19
	v_fma_f32 v4, v23, v19, -v5
	s_delay_alu instid0(VALU_DEP_3) | instskip(NEXT) | instid1(VALU_DEP_1)
	v_dual_add_f32 v2, v2, v26 :: v_dual_add_f32 v1, v1, v3
	v_add_f32_e32 v2, v2, v28
	s_delay_alu instid0(VALU_DEP_2) | instskip(NEXT) | instid1(VALU_DEP_1)
	v_add_f32_e32 v1, v1, v4
	v_dual_sub_f32 v2, v37, v2 :: v_dual_sub_f32 v1, v36, v1
	scratch_store_b64 off, v[1:2], off offset:24
	v_cmpx_lt_u32_e32 2, v0
	s_cbranch_execz .LBB61_381
; %bb.380:
	scratch_load_b64 v[1:2], off, off offset:16
	v_mov_b32_e32 v3, 0
	s_delay_alu instid0(VALU_DEP_1)
	v_mov_b32_e32 v4, v3
	scratch_store_b64 off, v[3:4], off offset:16
	s_wait_loadcnt 0x0
	ds_store_b64 v35, v[1:2]
.LBB61_381:
	s_wait_alu 0xfffe
	s_or_b32 exec_lo, exec_lo, s0
	s_wait_storecnt_dscnt 0x0
	s_barrier_signal -1
	s_barrier_wait -1
	global_inv scope:SCOPE_SE
	s_clause 0x4
	scratch_load_b128 v[5:8], off, off offset:24
	scratch_load_b128 v[1:4], off, off offset:40
	;; [unrolled: 1-line block ×5, first 2 shown]
	v_mov_b32_e32 v33, 0
	ds_load_2addr_b64 v[21:24], v33 offset0:65 offset1:66
	ds_load_2addr_b64 v[25:28], v33 offset0:67 offset1:68
	ds_load_2addr_b64 v[29:32], v33 offset0:69 offset1:70
	scratch_load_b64 v[36:37], off, off offset:16
	s_mov_b32 s0, exec_lo
	s_wait_loadcnt_dscnt 0x502
	v_mul_f32_e32 v34, v21, v6
	v_mul_f32_e32 v38, v23, v8
	;; [unrolled: 1-line block ×3, first 2 shown]
	s_wait_loadcnt_dscnt 0x300
	v_dual_mul_f32 v8, v24, v8 :: v_dual_mul_f32 v39, v29, v10
	v_fmac_f32_e32 v34, v22, v5
	v_mul_f32_e32 v40, v31, v12
	v_fma_f32 v21, v21, v5, -v6
	s_delay_alu instid0(VALU_DEP_4)
	v_fma_f32 v22, v23, v7, -v8
	v_dual_mul_f32 v23, v25, v2 :: v_dual_fmac_f32 v38, v24, v7
	ds_load_2addr_b64 v[5:8], v33 offset0:71 offset1:72
	v_dual_mul_f32 v24, v27, v4 :: v_dual_fmac_f32 v39, v30, v9
	v_mul_f32_e32 v2, v26, v2
	v_mul_f32_e32 v4, v28, v4
	;; [unrolled: 1-line block ×3, first 2 shown]
	s_delay_alu instid0(VALU_DEP_4) | instskip(NEXT) | instid1(VALU_DEP_4)
	v_dual_fmac_f32 v23, v26, v1 :: v_dual_fmac_f32 v24, v28, v3
	v_fma_f32 v25, v25, v1, -v2
	s_delay_alu instid0(VALU_DEP_4) | instskip(SKIP_4) | instid1(VALU_DEP_3)
	v_fma_f32 v26, v27, v3, -v4
	scratch_load_b128 v[1:4], off, off offset:104
	v_mul_f32_e32 v12, v32, v12
	v_fmac_f32_e32 v40, v32, v11
	v_fma_f32 v27, v29, v9, -v10
	v_fma_f32 v28, v31, v11, -v12
	ds_load_2addr_b64 v[9:12], v33 offset0:73 offset1:74
	s_wait_loadcnt_dscnt 0x301
	v_dual_mul_f32 v29, v5, v14 :: v_dual_mul_f32 v30, v7, v16
	v_mul_f32_e32 v14, v6, v14
	s_delay_alu instid0(VALU_DEP_2) | instskip(NEXT) | instid1(VALU_DEP_3)
	v_dual_mul_f32 v16, v8, v16 :: v_dual_fmac_f32 v29, v6, v13
	v_fmac_f32_e32 v30, v8, v15
	s_delay_alu instid0(VALU_DEP_3) | instskip(NEXT) | instid1(VALU_DEP_3)
	v_fma_f32 v13, v5, v13, -v14
	v_fma_f32 v14, v7, v15, -v16
	ds_load_2addr_b64 v[5:8], v33 offset0:75 offset1:76
	s_wait_loadcnt_dscnt 0x201
	v_dual_mul_f32 v15, v9, v18 :: v_dual_mul_f32 v16, v11, v20
	v_mul_f32_e32 v18, v10, v18
	s_delay_alu instid0(VALU_DEP_2) | instskip(NEXT) | instid1(VALU_DEP_3)
	v_dual_mul_f32 v20, v12, v20 :: v_dual_fmac_f32 v15, v10, v17
	v_fmac_f32_e32 v16, v12, v19
	s_delay_alu instid0(VALU_DEP_3) | instskip(NEXT) | instid1(VALU_DEP_3)
	v_fma_f32 v17, v9, v17, -v18
	v_fma_f32 v18, v11, v19, -v20
	scratch_load_b128 v[9:12], off, off offset:120
	s_wait_loadcnt_dscnt 0x100
	v_dual_mul_f32 v19, v5, v2 :: v_dual_mul_f32 v20, v7, v4
	v_mul_f32_e32 v2, v6, v2
	s_delay_alu instid0(VALU_DEP_2) | instskip(NEXT) | instid1(VALU_DEP_3)
	v_dual_mul_f32 v4, v8, v4 :: v_dual_fmac_f32 v19, v6, v1
	v_fmac_f32_e32 v20, v8, v3
	s_delay_alu instid0(VALU_DEP_3) | instskip(NEXT) | instid1(VALU_DEP_3)
	v_fma_f32 v31, v5, v1, -v2
	v_fma_f32 v32, v7, v3, -v4
	ds_load_2addr_b64 v[1:4], v33 offset0:77 offset1:78
	ds_load_2addr_b64 v[5:8], v33 offset0:79 offset1:80
	s_wait_loadcnt_dscnt 0x1
	v_mul_f32_e32 v41, v1, v10
	v_mul_f32_e32 v10, v2, v10
	s_delay_alu instid0(VALU_DEP_2) | instskip(NEXT) | instid1(VALU_DEP_2)
	v_dual_mul_f32 v42, v3, v12 :: v_dual_fmac_f32 v41, v2, v9
	v_fma_f32 v43, v1, v9, -v10
	v_mul_f32_e32 v1, v4, v12
	s_delay_alu instid0(VALU_DEP_3) | instskip(NEXT) | instid1(VALU_DEP_2)
	v_fmac_f32_e32 v42, v4, v11
	v_fma_f32 v44, v3, v11, -v1
	s_clause 0x1
	scratch_load_b128 v[1:4], off, off offset:136
	scratch_load_b128 v[9:12], off, off offset:152
	s_wait_loadcnt_dscnt 0x100
	v_mul_f32_e32 v169, v5, v2
	v_dual_mul_f32 v2, v6, v2 :: v_dual_mul_f32 v171, v7, v4
	s_delay_alu instid0(VALU_DEP_2) | instskip(NEXT) | instid1(VALU_DEP_2)
	v_fmac_f32_e32 v169, v6, v1
	v_fma_f32 v170, v5, v1, -v2
	v_mul_f32_e32 v1, v8, v4
	s_delay_alu instid0(VALU_DEP_4) | instskip(NEXT) | instid1(VALU_DEP_2)
	v_fmac_f32_e32 v171, v8, v3
	v_fma_f32 v172, v7, v3, -v1
	ds_load_2addr_b64 v[1:4], v33 offset0:81 offset1:82
	ds_load_2addr_b64 v[5:8], v33 offset0:83 offset1:84
	s_wait_loadcnt_dscnt 0x1
	v_mul_f32_e32 v173, v1, v10
	v_mul_f32_e32 v175, v3, v12
	s_delay_alu instid0(VALU_DEP_2) | instskip(NEXT) | instid1(VALU_DEP_2)
	v_fmac_f32_e32 v173, v2, v9
	v_dual_mul_f32 v2, v2, v10 :: v_dual_fmac_f32 v175, v4, v11
	s_delay_alu instid0(VALU_DEP_1) | instskip(SKIP_1) | instid1(VALU_DEP_1)
	v_fma_f32 v174, v1, v9, -v2
	v_mul_f32_e32 v1, v4, v12
	v_fma_f32 v176, v3, v11, -v1
	s_clause 0x1
	scratch_load_b128 v[1:4], off, off offset:168
	scratch_load_b128 v[9:12], off, off offset:184
	s_wait_loadcnt_dscnt 0x100
	v_mul_f32_e32 v177, v5, v2
	v_dual_mul_f32 v2, v6, v2 :: v_dual_mul_f32 v179, v7, v4
	s_delay_alu instid0(VALU_DEP_2) | instskip(NEXT) | instid1(VALU_DEP_2)
	v_fmac_f32_e32 v177, v6, v1
	v_fma_f32 v178, v5, v1, -v2
	v_mul_f32_e32 v1, v8, v4
	s_delay_alu instid0(VALU_DEP_4) | instskip(NEXT) | instid1(VALU_DEP_2)
	v_fmac_f32_e32 v179, v8, v3
	v_fma_f32 v180, v7, v3, -v1
	ds_load_2addr_b64 v[1:4], v33 offset0:85 offset1:86
	ds_load_2addr_b64 v[5:8], v33 offset0:87 offset1:88
	s_wait_loadcnt_dscnt 0x1
	v_mul_f32_e32 v181, v1, v10
	v_mul_f32_e32 v183, v3, v12
	s_delay_alu instid0(VALU_DEP_2) | instskip(NEXT) | instid1(VALU_DEP_2)
	v_fmac_f32_e32 v181, v2, v9
	v_dual_mul_f32 v2, v2, v10 :: v_dual_fmac_f32 v183, v4, v11
	s_delay_alu instid0(VALU_DEP_1) | instskip(SKIP_1) | instid1(VALU_DEP_1)
	v_fma_f32 v182, v1, v9, -v2
	v_mul_f32_e32 v1, v4, v12
	;; [unrolled: 25-line block ×8, first 2 shown]
	v_fma_f32 v232, v3, v11, -v1
	s_clause 0x1
	scratch_load_b128 v[1:4], off, off offset:392
	scratch_load_b128 v[9:12], off, off offset:408
	s_wait_loadcnt_dscnt 0x100
	v_mul_f32_e32 v233, v5, v2
	v_mul_f32_e32 v2, v6, v2
	s_delay_alu instid0(VALU_DEP_2) | instskip(NEXT) | instid1(VALU_DEP_2)
	v_fmac_f32_e32 v233, v6, v1
	v_fma_f32 v234, v5, v1, -v2
	v_dual_mul_f32 v1, v8, v4 :: v_dual_add_f32 v2, 0, v34
	s_delay_alu instid0(VALU_DEP_1) | instskip(NEXT) | instid1(VALU_DEP_2)
	v_fma_f32 v236, v7, v3, -v1
	v_dual_add_f32 v1, 0, v21 :: v_dual_add_f32 v2, v2, v38
	s_delay_alu instid0(VALU_DEP_1) | instskip(NEXT) | instid1(VALU_DEP_1)
	v_dual_add_f32 v1, v1, v22 :: v_dual_add_f32 v2, v2, v23
	v_dual_add_f32 v1, v1, v25 :: v_dual_add_f32 v2, v2, v24
	s_delay_alu instid0(VALU_DEP_1) | instskip(SKIP_2) | instid1(VALU_DEP_1)
	v_add_f32_e32 v1, v1, v26
	scratch_load_b64 v[25:26], off, off offset:488
	v_add_f32_e32 v2, v2, v39
	v_dual_add_f32 v1, v1, v27 :: v_dual_add_f32 v2, v2, v40
	s_delay_alu instid0(VALU_DEP_1) | instskip(NEXT) | instid1(VALU_DEP_1)
	v_dual_add_f32 v1, v1, v28 :: v_dual_add_f32 v2, v2, v29
	v_dual_add_f32 v1, v1, v13 :: v_dual_add_f32 v2, v2, v30
	s_delay_alu instid0(VALU_DEP_1) | instskip(NEXT) | instid1(VALU_DEP_1)
	v_dual_add_f32 v1, v1, v14 :: v_dual_add_f32 v2, v2, v15
	;; [unrolled: 3-line block ×8, first 2 shown]
	v_dual_add_f32 v1, v1, v182 :: v_dual_add_f32 v2, v2, v183
	s_delay_alu instid0(VALU_DEP_1) | instskip(NEXT) | instid1(VALU_DEP_1)
	v_add_f32_e32 v1, v1, v184
	v_add_f32_e32 v1, v1, v186
	s_delay_alu instid0(VALU_DEP_1) | instskip(NEXT) | instid1(VALU_DEP_1)
	v_add_f32_e32 v1, v1, v188
	v_add_f32_e32 v1, v1, v190
	;; [unrolled: 3-line block ×7, first 2 shown]
	v_dual_add_f32 v2, v2, v185 :: v_dual_mul_f32 v235, v7, v4
	s_delay_alu instid0(VALU_DEP_2) | instskip(NEXT) | instid1(VALU_DEP_2)
	v_add_f32_e32 v14, v6, v212
	v_add_f32_e32 v2, v2, v187
	s_delay_alu instid0(VALU_DEP_2) | instskip(NEXT) | instid1(VALU_DEP_2)
	v_add_f32_e32 v14, v14, v214
	v_add_f32_e32 v2, v2, v189
	s_delay_alu instid0(VALU_DEP_2) | instskip(NEXT) | instid1(VALU_DEP_1)
	v_add_f32_e32 v17, v14, v216
	v_dual_add_f32 v2, v2, v191 :: v_dual_add_f32 v17, v17, v218
	s_delay_alu instid0(VALU_DEP_1) | instskip(NEXT) | instid1(VALU_DEP_1)
	v_dual_add_f32 v2, v2, v193 :: v_dual_add_f32 v17, v17, v220
	v_dual_add_f32 v2, v2, v195 :: v_dual_add_f32 v17, v17, v222
	s_delay_alu instid0(VALU_DEP_1) | instskip(NEXT) | instid1(VALU_DEP_2)
	v_add_f32_e32 v2, v2, v197
	v_add_f32_e32 v22, v17, v224
	s_delay_alu instid0(VALU_DEP_2) | instskip(NEXT) | instid1(VALU_DEP_2)
	v_add_f32_e32 v2, v2, v199
	v_dual_fmac_f32 v235, v8, v3 :: v_dual_add_f32 v22, v22, v226
	s_delay_alu instid0(VALU_DEP_2) | instskip(NEXT) | instid1(VALU_DEP_2)
	v_add_f32_e32 v2, v2, v201
	v_add_f32_e32 v22, v22, v228
	s_delay_alu instid0(VALU_DEP_2) | instskip(NEXT) | instid1(VALU_DEP_2)
	v_add_f32_e32 v2, v2, v203
	v_add_f32_e32 v22, v22, v230
	s_delay_alu instid0(VALU_DEP_2) | instskip(NEXT) | instid1(VALU_DEP_1)
	v_add_f32_e32 v2, v2, v205
	v_add_f32_e32 v5, v2, v207
	scratch_load_b128 v[1:4], off, off offset:424
	v_add_f32_e32 v13, v5, v209
	ds_load_2addr_b64 v[5:8], v33 offset0:113 offset1:114
	v_add_f32_e32 v13, v13, v211
	s_delay_alu instid0(VALU_DEP_1) | instskip(NEXT) | instid1(VALU_DEP_1)
	v_add_f32_e32 v13, v13, v213
	v_add_f32_e32 v18, v13, v215
	ds_load_2addr_b64 v[13:16], v33 offset0:115 offset1:116
	s_wait_loadcnt_dscnt 0x201
	v_mul_f32_e32 v29, v5, v10
	v_mul_f32_e32 v10, v6, v10
	;; [unrolled: 1-line block ×3, first 2 shown]
	s_delay_alu instid0(VALU_DEP_3) | instskip(NEXT) | instid1(VALU_DEP_3)
	v_dual_mul_f32 v12, v8, v12 :: v_dual_fmac_f32 v29, v6, v9
	v_fma_f32 v31, v5, v9, -v10
	s_delay_alu instid0(VALU_DEP_3) | instskip(NEXT) | instid1(VALU_DEP_3)
	v_fmac_f32_e32 v30, v8, v11
	v_fma_f32 v32, v7, v11, -v12
	s_clause 0x1
	scratch_load_b128 v[5:8], off, off offset:440
	scratch_load_b128 v[9:12], off, off offset:456
	s_wait_loadcnt_dscnt 0x200
	v_mul_f32_e32 v38, v15, v4
	v_mul_f32_e32 v4, v16, v4
	v_add_f32_e32 v18, v18, v217
	v_mul_f32_e32 v34, v13, v2
	v_mul_f32_e32 v2, v14, v2
	v_fmac_f32_e32 v38, v16, v3
	v_fma_f32 v40, v15, v3, -v4
	v_add_f32_e32 v18, v18, v219
	v_fmac_f32_e32 v34, v14, v1
	v_fma_f32 v39, v13, v1, -v2
	v_add_f32_e32 v14, v22, v232
	ds_load_2addr_b64 v[1:4], v33 offset0:117 offset1:118
	v_add_f32_e32 v21, v18, v221
	scratch_load_b128 v[17:20], off, off offset:472
	v_add_f32_e32 v21, v21, v223
	s_delay_alu instid0(VALU_DEP_1) | instskip(NEXT) | instid1(VALU_DEP_1)
	v_add_f32_e32 v21, v21, v225
	v_add_f32_e32 v21, v21, v227
	s_delay_alu instid0(VALU_DEP_1) | instskip(NEXT) | instid1(VALU_DEP_1)
	v_add_f32_e32 v13, v21, v229
	v_add_f32_e32 v21, v13, v231
	s_delay_alu instid0(VALU_DEP_1) | instskip(SKIP_2) | instid1(VALU_DEP_1)
	v_add_f32_e32 v28, v21, v233
	ds_load_2addr_b64 v[21:24], v33 offset0:121 offset1:122
	v_add_f32_e32 v42, v28, v235
	v_add_f32_e32 v29, v42, v29
	s_delay_alu instid0(VALU_DEP_1) | instskip(NEXT) | instid1(VALU_DEP_1)
	v_add_f32_e32 v29, v29, v30
	v_add_f32_e32 v29, v29, v34
	s_delay_alu instid0(VALU_DEP_1)
	v_add_f32_e32 v29, v29, v38
	v_add_f32_e32 v27, v14, v234
	ds_load_2addr_b64 v[13:16], v33 offset0:119 offset1:120
	s_wait_loadcnt_dscnt 0x202
	v_mul_f32_e32 v30, v3, v8
	v_mul_f32_e32 v8, v4, v8
	v_add_f32_e32 v41, v27, v236
	ds_load_b64 v[27:28], v33 offset:984
	v_fmac_f32_e32 v30, v4, v7
	v_add_f32_e32 v31, v41, v31
	v_mul_f32_e32 v41, v1, v6
	s_delay_alu instid0(VALU_DEP_2) | instskip(NEXT) | instid1(VALU_DEP_2)
	v_dual_mul_f32 v6, v2, v6 :: v_dual_add_f32 v31, v31, v32
	v_fmac_f32_e32 v41, v2, v5
	s_delay_alu instid0(VALU_DEP_2)
	v_fma_f32 v1, v1, v5, -v6
	v_fma_f32 v2, v3, v7, -v8
	s_wait_loadcnt_dscnt 0x101
	v_dual_add_f32 v31, v31, v39 :: v_dual_mul_f32 v32, v13, v10
	v_dual_mul_f32 v3, v14, v10 :: v_dual_add_f32 v4, v29, v41
	v_mul_f32_e32 v34, v15, v12
	s_delay_alu instid0(VALU_DEP_3) | instskip(NEXT) | instid1(VALU_DEP_4)
	v_add_f32_e32 v31, v31, v40
	v_dual_mul_f32 v5, v16, v12 :: v_dual_fmac_f32 v32, v14, v9
	s_delay_alu instid0(VALU_DEP_4) | instskip(NEXT) | instid1(VALU_DEP_3)
	v_fma_f32 v3, v13, v9, -v3
	v_dual_fmac_f32 v34, v16, v11 :: v_dual_add_f32 v1, v31, v1
	s_delay_alu instid0(VALU_DEP_3) | instskip(SKIP_2) | instid1(VALU_DEP_3)
	v_fma_f32 v5, v15, v11, -v5
	s_wait_dscnt 0x0
	v_mul_f32_e32 v38, v27, v26
	v_add_f32_e32 v1, v1, v2
	v_add_f32_e32 v2, v4, v30
	s_delay_alu instid0(VALU_DEP_2) | instskip(NEXT) | instid1(VALU_DEP_1)
	v_dual_fmac_f32 v38, v28, v25 :: v_dual_add_f32 v1, v1, v3
	v_dual_add_f32 v2, v2, v32 :: v_dual_add_f32 v1, v1, v5
	s_delay_alu instid0(VALU_DEP_1)
	v_add_f32_e32 v2, v2, v34
	v_mul_f32_e32 v5, v28, v26
	s_wait_loadcnt 0x0
	v_mul_f32_e32 v39, v21, v18
	v_mul_f32_e32 v4, v22, v18
	;; [unrolled: 1-line block ×4, first 2 shown]
	s_delay_alu instid0(VALU_DEP_4) | instskip(NEXT) | instid1(VALU_DEP_4)
	v_fmac_f32_e32 v39, v22, v17
	v_fma_f32 v4, v21, v17, -v4
	s_delay_alu instid0(VALU_DEP_4) | instskip(NEXT) | instid1(VALU_DEP_4)
	v_fmac_f32_e32 v40, v24, v19
	v_fma_f32 v3, v23, v19, -v3
	s_delay_alu instid0(VALU_DEP_3) | instskip(SKIP_1) | instid1(VALU_DEP_2)
	v_dual_add_f32 v2, v2, v39 :: v_dual_add_f32 v1, v1, v4
	v_fma_f32 v4, v27, v25, -v5
	v_dual_add_f32 v2, v2, v40 :: v_dual_add_f32 v1, v1, v3
	s_delay_alu instid0(VALU_DEP_1) | instskip(NEXT) | instid1(VALU_DEP_1)
	v_dual_add_f32 v2, v2, v38 :: v_dual_add_f32 v1, v1, v4
	v_dual_sub_f32 v2, v37, v2 :: v_dual_sub_f32 v1, v36, v1
	scratch_store_b64 off, v[1:2], off offset:16
	v_cmpx_lt_u32_e32 1, v0
	s_cbranch_execz .LBB61_383
; %bb.382:
	scratch_load_b64 v[1:2], off, off offset:8
	v_mov_b32_e32 v34, v33
	scratch_store_b64 off, v[33:34], off offset:8
	s_wait_loadcnt 0x0
	ds_store_b64 v35, v[1:2]
.LBB61_383:
	s_wait_alu 0xfffe
	s_or_b32 exec_lo, exec_lo, s0
	s_wait_storecnt_dscnt 0x0
	s_barrier_signal -1
	s_barrier_wait -1
	global_inv scope:SCOPE_SE
	s_clause 0x4
	scratch_load_b128 v[5:8], off, off offset:16
	scratch_load_b128 v[1:4], off, off offset:32
	;; [unrolled: 1-line block ×5, first 2 shown]
	ds_load_b128 v[21:24], v33 offset:512
	ds_load_b128 v[25:28], v33 offset:528
	;; [unrolled: 1-line block ×3, first 2 shown]
	scratch_load_b64 v[36:37], off, off offset:8
	s_mov_b32 s0, exec_lo
	s_wait_loadcnt_dscnt 0x502
	v_mul_f32_e32 v34, v21, v6
	v_mul_f32_e32 v38, v23, v8
	v_mul_f32_e32 v6, v22, v6
	s_wait_loadcnt_dscnt 0x300
	v_dual_mul_f32 v8, v24, v8 :: v_dual_mul_f32 v39, v29, v10
	v_fmac_f32_e32 v34, v22, v5
	v_mul_f32_e32 v40, v31, v12
	v_fma_f32 v21, v21, v5, -v6
	s_delay_alu instid0(VALU_DEP_4)
	v_fma_f32 v22, v23, v7, -v8
	v_dual_mul_f32 v23, v25, v2 :: v_dual_fmac_f32 v38, v24, v7
	v_fmac_f32_e32 v39, v30, v9
	ds_load_b128 v[5:8], v33 offset:560
	v_mul_f32_e32 v24, v27, v4
	v_mul_f32_e32 v2, v26, v2
	v_mul_f32_e32 v4, v28, v4
	v_mul_f32_e32 v10, v30, v10
	s_delay_alu instid0(VALU_DEP_4) | instskip(NEXT) | instid1(VALU_DEP_4)
	v_dual_fmac_f32 v23, v26, v1 :: v_dual_fmac_f32 v24, v28, v3
	v_fma_f32 v25, v25, v1, -v2
	s_delay_alu instid0(VALU_DEP_4) | instskip(SKIP_4) | instid1(VALU_DEP_3)
	v_fma_f32 v26, v27, v3, -v4
	scratch_load_b128 v[1:4], off, off offset:96
	v_mul_f32_e32 v12, v32, v12
	v_fmac_f32_e32 v40, v32, v11
	v_fma_f32 v27, v29, v9, -v10
	v_fma_f32 v28, v31, v11, -v12
	ds_load_b128 v[9:12], v33 offset:576
	s_wait_loadcnt_dscnt 0x301
	v_dual_mul_f32 v29, v5, v14 :: v_dual_mul_f32 v30, v7, v16
	v_mul_f32_e32 v14, v6, v14
	s_delay_alu instid0(VALU_DEP_2) | instskip(NEXT) | instid1(VALU_DEP_3)
	v_dual_mul_f32 v16, v8, v16 :: v_dual_fmac_f32 v29, v6, v13
	v_fmac_f32_e32 v30, v8, v15
	s_delay_alu instid0(VALU_DEP_3) | instskip(NEXT) | instid1(VALU_DEP_3)
	v_fma_f32 v13, v5, v13, -v14
	v_fma_f32 v14, v7, v15, -v16
	ds_load_b128 v[5:8], v33 offset:592
	s_wait_loadcnt_dscnt 0x201
	v_dual_mul_f32 v15, v9, v18 :: v_dual_mul_f32 v16, v11, v20
	v_mul_f32_e32 v18, v10, v18
	s_delay_alu instid0(VALU_DEP_2) | instskip(NEXT) | instid1(VALU_DEP_3)
	v_dual_mul_f32 v20, v12, v20 :: v_dual_fmac_f32 v15, v10, v17
	v_fmac_f32_e32 v16, v12, v19
	s_delay_alu instid0(VALU_DEP_3) | instskip(NEXT) | instid1(VALU_DEP_3)
	v_fma_f32 v17, v9, v17, -v18
	v_fma_f32 v18, v11, v19, -v20
	scratch_load_b128 v[9:12], off, off offset:112
	s_wait_loadcnt_dscnt 0x100
	v_dual_mul_f32 v19, v5, v2 :: v_dual_mul_f32 v20, v7, v4
	v_mul_f32_e32 v2, v6, v2
	s_delay_alu instid0(VALU_DEP_2) | instskip(NEXT) | instid1(VALU_DEP_3)
	v_dual_mul_f32 v4, v8, v4 :: v_dual_fmac_f32 v19, v6, v1
	v_fmac_f32_e32 v20, v8, v3
	s_delay_alu instid0(VALU_DEP_3) | instskip(NEXT) | instid1(VALU_DEP_3)
	v_fma_f32 v31, v5, v1, -v2
	v_fma_f32 v32, v7, v3, -v4
	ds_load_b128 v[1:4], v33 offset:608
	ds_load_b128 v[5:8], v33 offset:624
	s_wait_loadcnt_dscnt 0x1
	v_mul_f32_e32 v41, v1, v10
	v_mul_f32_e32 v10, v2, v10
	s_delay_alu instid0(VALU_DEP_2) | instskip(NEXT) | instid1(VALU_DEP_2)
	v_dual_mul_f32 v42, v3, v12 :: v_dual_fmac_f32 v41, v2, v9
	v_fma_f32 v43, v1, v9, -v10
	v_mul_f32_e32 v1, v4, v12
	s_delay_alu instid0(VALU_DEP_3) | instskip(NEXT) | instid1(VALU_DEP_2)
	v_fmac_f32_e32 v42, v4, v11
	v_fma_f32 v44, v3, v11, -v1
	s_clause 0x1
	scratch_load_b128 v[1:4], off, off offset:128
	scratch_load_b128 v[9:12], off, off offset:144
	s_wait_loadcnt_dscnt 0x100
	v_mul_f32_e32 v169, v5, v2
	v_dual_mul_f32 v2, v6, v2 :: v_dual_mul_f32 v171, v7, v4
	s_delay_alu instid0(VALU_DEP_2) | instskip(NEXT) | instid1(VALU_DEP_2)
	v_fmac_f32_e32 v169, v6, v1
	v_fma_f32 v170, v5, v1, -v2
	v_mul_f32_e32 v1, v8, v4
	s_delay_alu instid0(VALU_DEP_4) | instskip(NEXT) | instid1(VALU_DEP_2)
	v_fmac_f32_e32 v171, v8, v3
	v_fma_f32 v172, v7, v3, -v1
	ds_load_b128 v[1:4], v33 offset:640
	ds_load_b128 v[5:8], v33 offset:656
	s_wait_loadcnt_dscnt 0x1
	v_mul_f32_e32 v173, v1, v10
	v_mul_f32_e32 v175, v3, v12
	s_delay_alu instid0(VALU_DEP_2) | instskip(NEXT) | instid1(VALU_DEP_2)
	v_fmac_f32_e32 v173, v2, v9
	v_dual_mul_f32 v2, v2, v10 :: v_dual_fmac_f32 v175, v4, v11
	s_delay_alu instid0(VALU_DEP_1) | instskip(SKIP_1) | instid1(VALU_DEP_1)
	v_fma_f32 v174, v1, v9, -v2
	v_mul_f32_e32 v1, v4, v12
	v_fma_f32 v176, v3, v11, -v1
	s_clause 0x1
	scratch_load_b128 v[1:4], off, off offset:160
	scratch_load_b128 v[9:12], off, off offset:176
	s_wait_loadcnt_dscnt 0x100
	v_mul_f32_e32 v177, v5, v2
	v_dual_mul_f32 v2, v6, v2 :: v_dual_mul_f32 v179, v7, v4
	s_delay_alu instid0(VALU_DEP_2) | instskip(NEXT) | instid1(VALU_DEP_2)
	v_fmac_f32_e32 v177, v6, v1
	v_fma_f32 v178, v5, v1, -v2
	v_mul_f32_e32 v1, v8, v4
	s_delay_alu instid0(VALU_DEP_4) | instskip(NEXT) | instid1(VALU_DEP_2)
	v_fmac_f32_e32 v179, v8, v3
	v_fma_f32 v180, v7, v3, -v1
	ds_load_b128 v[1:4], v33 offset:672
	ds_load_b128 v[5:8], v33 offset:688
	s_wait_loadcnt_dscnt 0x1
	v_mul_f32_e32 v181, v1, v10
	v_mul_f32_e32 v183, v3, v12
	s_delay_alu instid0(VALU_DEP_2) | instskip(NEXT) | instid1(VALU_DEP_2)
	v_fmac_f32_e32 v181, v2, v9
	v_dual_mul_f32 v2, v2, v10 :: v_dual_fmac_f32 v183, v4, v11
	s_delay_alu instid0(VALU_DEP_1) | instskip(SKIP_1) | instid1(VALU_DEP_1)
	v_fma_f32 v182, v1, v9, -v2
	v_mul_f32_e32 v1, v4, v12
	;; [unrolled: 25-line block ×9, first 2 shown]
	v_fma_f32 v240, v3, v11, -v1
	s_clause 0x1
	scratch_load_b128 v[1:4], off, off offset:416
	scratch_load_b128 v[9:12], off, off offset:432
	s_wait_loadcnt_dscnt 0x100
	v_mul_f32_e32 v241, v5, v2
	v_mul_f32_e32 v2, v6, v2
	s_delay_alu instid0(VALU_DEP_2) | instskip(NEXT) | instid1(VALU_DEP_2)
	v_fmac_f32_e32 v241, v6, v1
	v_fma_f32 v242, v5, v1, -v2
	v_dual_mul_f32 v1, v8, v4 :: v_dual_add_f32 v2, 0, v34
	s_delay_alu instid0(VALU_DEP_1) | instskip(NEXT) | instid1(VALU_DEP_2)
	v_fma_f32 v244, v7, v3, -v1
	v_dual_add_f32 v1, 0, v21 :: v_dual_add_f32 v2, v2, v38
	s_delay_alu instid0(VALU_DEP_1) | instskip(NEXT) | instid1(VALU_DEP_1)
	v_dual_add_f32 v1, v1, v22 :: v_dual_add_f32 v2, v2, v23
	v_dual_add_f32 v1, v1, v25 :: v_dual_add_f32 v2, v2, v24
	s_delay_alu instid0(VALU_DEP_1) | instskip(NEXT) | instid1(VALU_DEP_1)
	v_dual_add_f32 v1, v1, v26 :: v_dual_add_f32 v2, v2, v39
	;; [unrolled: 3-line block ×11, first 2 shown]
	v_dual_add_f32 v1, v1, v186 :: v_dual_add_f32 v2, v2, v187
	s_delay_alu instid0(VALU_DEP_1) | instskip(NEXT) | instid1(VALU_DEP_1)
	v_add_f32_e32 v1, v1, v188
	v_add_f32_e32 v1, v1, v190
	s_delay_alu instid0(VALU_DEP_1) | instskip(NEXT) | instid1(VALU_DEP_1)
	v_add_f32_e32 v1, v1, v192
	v_add_f32_e32 v1, v1, v194
	;; [unrolled: 3-line block ×7, first 2 shown]
	s_delay_alu instid0(VALU_DEP_1) | instskip(SKIP_1) | instid1(VALU_DEP_2)
	v_add_f32_e32 v6, v1, v216
	v_add_f32_e32 v2, v2, v189
	;; [unrolled: 1-line block ×3, first 2 shown]
	s_delay_alu instid0(VALU_DEP_2) | instskip(NEXT) | instid1(VALU_DEP_2)
	v_dual_add_f32 v2, v2, v191 :: v_dual_mul_f32 v243, v7, v4
	v_add_f32_e32 v13, v6, v220
	s_delay_alu instid0(VALU_DEP_2) | instskip(NEXT) | instid1(VALU_DEP_1)
	v_dual_add_f32 v2, v2, v193 :: v_dual_fmac_f32 v243, v8, v3
	v_dual_add_f32 v13, v13, v222 :: v_dual_add_f32 v2, v2, v195
	s_delay_alu instid0(VALU_DEP_1) | instskip(NEXT) | instid1(VALU_DEP_1)
	v_dual_add_f32 v13, v13, v224 :: v_dual_add_f32 v2, v2, v197
	v_dual_add_f32 v13, v13, v226 :: v_dual_add_f32 v2, v2, v199
	s_delay_alu instid0(VALU_DEP_1) | instskip(NEXT) | instid1(VALU_DEP_2)
	v_add_f32_e32 v18, v13, v228
	v_add_f32_e32 v2, v2, v201
	s_delay_alu instid0(VALU_DEP_2) | instskip(NEXT) | instid1(VALU_DEP_2)
	v_add_f32_e32 v18, v18, v230
	v_add_f32_e32 v2, v2, v203
	s_delay_alu instid0(VALU_DEP_2) | instskip(NEXT) | instid1(VALU_DEP_2)
	v_add_f32_e32 v18, v18, v232
	v_add_f32_e32 v2, v2, v205
	s_delay_alu instid0(VALU_DEP_2) | instskip(NEXT) | instid1(VALU_DEP_1)
	v_add_f32_e32 v21, v18, v234
	v_dual_add_f32 v2, v2, v207 :: v_dual_add_f32 v29, v21, v236
	s_delay_alu instid0(VALU_DEP_1) | instskip(NEXT) | instid1(VALU_DEP_1)
	v_dual_add_f32 v2, v2, v209 :: v_dual_add_f32 v29, v29, v238
	v_dual_add_f32 v2, v2, v211 :: v_dual_add_f32 v29, v29, v240
	s_delay_alu instid0(VALU_DEP_1) | instskip(SKIP_3) | instid1(VALU_DEP_2)
	v_add_f32_e32 v5, v2, v213
	ds_load_b128 v[1:4], v33 offset:928
	v_add_f32_e32 v29, v29, v242
	v_add_f32_e32 v5, v5, v215
	;; [unrolled: 1-line block ×3, first 2 shown]
	s_delay_alu instid0(VALU_DEP_2) | instskip(NEXT) | instid1(VALU_DEP_1)
	v_add_f32_e32 v5, v5, v217
	v_add_f32_e32 v14, v5, v219
	ds_load_b128 v[5:8], v33 offset:944
	s_wait_loadcnt_dscnt 0x1
	v_dual_add_f32 v14, v14, v221 :: v_dual_mul_f32 v25, v1, v10
	v_mul_f32_e32 v26, v3, v12
	v_mul_f32_e32 v10, v2, v10
	;; [unrolled: 1-line block ×3, first 2 shown]
	s_delay_alu instid0(VALU_DEP_4) | instskip(NEXT) | instid1(VALU_DEP_4)
	v_add_f32_e32 v14, v14, v223
	v_dual_fmac_f32 v25, v2, v9 :: v_dual_fmac_f32 v26, v4, v11
	s_delay_alu instid0(VALU_DEP_4) | instskip(NEXT) | instid1(VALU_DEP_4)
	v_fma_f32 v27, v1, v9, -v10
	v_fma_f32 v28, v3, v11, -v12
	s_clause 0x1
	scratch_load_b128 v[1:4], off, off offset:448
	scratch_load_b128 v[9:12], off, off offset:464
	s_wait_loadcnt_dscnt 0x100
	v_dual_add_f32 v27, v29, v27 :: v_dual_mul_f32 v32, v7, v4
	v_dual_mul_f32 v4, v8, v4 :: v_dual_add_f32 v17, v14, v225
	scratch_load_b128 v[13:16], off, off offset:480
	v_dual_mul_f32 v31, v5, v2 :: v_dual_fmac_f32 v32, v8, v3
	v_fma_f32 v3, v7, v3, -v4
	v_dual_add_f32 v17, v17, v227 :: v_dual_mul_f32 v2, v6, v2
	s_delay_alu instid0(VALU_DEP_3) | instskip(NEXT) | instid1(VALU_DEP_2)
	v_fmac_f32_e32 v31, v6, v1
	v_add_f32_e32 v17, v17, v229
	s_delay_alu instid0(VALU_DEP_3) | instskip(SKIP_1) | instid1(VALU_DEP_3)
	v_fma_f32 v2, v5, v1, -v2
	v_add_f32_e32 v1, v27, v28
	v_add_f32_e32 v17, v17, v231
	s_delay_alu instid0(VALU_DEP_2) | instskip(NEXT) | instid1(VALU_DEP_2)
	v_add_f32_e32 v1, v1, v2
	v_add_f32_e32 v22, v17, v233
	ds_load_b128 v[17:20], v33 offset:960
	v_add_f32_e32 v1, v1, v3
	v_add_f32_e32 v30, v22, v235
	ds_load_b128 v[21:24], v33 offset:976
	s_wait_loadcnt_dscnt 0x101
	v_mul_f32_e32 v4, v20, v12
	v_add_f32_e32 v30, v30, v237
	v_dual_mul_f32 v34, v19, v12 :: v_dual_mul_f32 v33, v17, v10
	v_mul_f32_e32 v6, v18, v10
	s_delay_alu instid0(VALU_DEP_4) | instskip(NEXT) | instid1(VALU_DEP_4)
	v_fma_f32 v4, v19, v11, -v4
	v_add_f32_e32 v30, v30, v239
	s_delay_alu instid0(VALU_DEP_4) | instskip(NEXT) | instid1(VALU_DEP_2)
	v_dual_fmac_f32 v34, v20, v11 :: v_dual_fmac_f32 v33, v18, v9
	v_add_f32_e32 v30, v30, v241
	s_delay_alu instid0(VALU_DEP_1) | instskip(NEXT) | instid1(VALU_DEP_1)
	v_add_f32_e32 v30, v30, v243
	v_add_f32_e32 v25, v30, v25
	s_delay_alu instid0(VALU_DEP_1) | instskip(NEXT) | instid1(VALU_DEP_1)
	v_add_f32_e32 v5, v25, v26
	v_add_f32_e32 v2, v5, v31
	v_fma_f32 v5, v17, v9, -v6
	s_delay_alu instid0(VALU_DEP_1) | instskip(NEXT) | instid1(VALU_DEP_1)
	v_dual_add_f32 v2, v2, v32 :: v_dual_add_f32 v1, v1, v5
	v_dual_add_f32 v2, v2, v33 :: v_dual_add_f32 v1, v1, v4
	s_delay_alu instid0(VALU_DEP_1) | instskip(SKIP_4) | instid1(VALU_DEP_3)
	v_add_f32_e32 v2, v2, v34
	s_wait_loadcnt_dscnt 0x0
	v_mul_f32_e32 v38, v21, v14
	v_mul_f32_e32 v3, v22, v14
	;; [unrolled: 1-line block ×3, first 2 shown]
	v_dual_mul_f32 v5, v24, v16 :: v_dual_fmac_f32 v38, v22, v13
	s_delay_alu instid0(VALU_DEP_3) | instskip(NEXT) | instid1(VALU_DEP_3)
	v_fma_f32 v3, v21, v13, -v3
	v_fmac_f32_e32 v29, v24, v15
	s_delay_alu instid0(VALU_DEP_3) | instskip(NEXT) | instid1(VALU_DEP_3)
	v_fma_f32 v4, v23, v15, -v5
	v_dual_add_f32 v2, v2, v38 :: v_dual_add_f32 v1, v1, v3
	s_delay_alu instid0(VALU_DEP_1) | instskip(NEXT) | instid1(VALU_DEP_1)
	v_dual_add_f32 v2, v2, v29 :: v_dual_add_f32 v1, v1, v4
	v_dual_sub_f32 v2, v37, v2 :: v_dual_sub_f32 v1, v36, v1
	scratch_store_b64 off, v[1:2], off offset:8
	v_cmpx_ne_u32_e32 0, v0
	s_cbranch_execz .LBB61_385
; %bb.384:
	scratch_load_b64 v[0:1], off, off
	v_mov_b32_e32 v2, 0
	s_delay_alu instid0(VALU_DEP_1)
	v_mov_b32_e32 v3, v2
	scratch_store_b64 off, v[2:3], off
	s_wait_loadcnt 0x0
	ds_store_b64 v35, v[0:1]
.LBB61_385:
	s_wait_alu 0xfffe
	s_or_b32 exec_lo, exec_lo, s0
	s_wait_storecnt_dscnt 0x0
	s_barrier_signal -1
	s_barrier_wait -1
	global_inv scope:SCOPE_SE
	s_clause 0x6
	scratch_load_b128 v[0:3], off, off offset:8
	scratch_load_b128 v[4:7], off, off offset:24
	;; [unrolled: 1-line block ×7, first 2 shown]
	v_mov_b32_e32 v32, 0
	scratch_load_b64 v[37:38], off, off
	s_and_b32 vcc_lo, exec_lo, s18
	ds_load_2addr_b64 v[28:31], v32 offset0:63 offset1:64
	ds_load_2addr_b64 v[33:36], v32 offset0:65 offset1:66
	s_wait_loadcnt_dscnt 0x701
	v_dual_mul_f32 v39, v28, v1 :: v_dual_mul_f32 v40, v30, v3
	v_mul_f32_e32 v1, v29, v1
	v_mul_f32_e32 v3, v31, v3
	s_delay_alu instid0(VALU_DEP_3) | instskip(NEXT) | instid1(VALU_DEP_3)
	v_dual_fmac_f32 v39, v29, v0 :: v_dual_fmac_f32 v40, v31, v2
	v_fma_f32 v28, v28, v0, -v1
	s_delay_alu instid0(VALU_DEP_3) | instskip(SKIP_4) | instid1(VALU_DEP_2)
	v_fma_f32 v29, v30, v2, -v3
	ds_load_2addr_b64 v[0:3], v32 offset0:67 offset1:68
	s_wait_loadcnt_dscnt 0x601
	v_dual_mul_f32 v30, v33, v5 :: v_dual_mul_f32 v31, v35, v7
	v_mul_f32_e32 v5, v34, v5
	v_dual_mul_f32 v7, v36, v7 :: v_dual_fmac_f32 v30, v34, v4
	s_delay_alu instid0(VALU_DEP_3) | instskip(NEXT) | instid1(VALU_DEP_3)
	v_fmac_f32_e32 v31, v36, v6
	v_fma_f32 v33, v33, v4, -v5
	s_delay_alu instid0(VALU_DEP_3) | instskip(SKIP_4) | instid1(VALU_DEP_2)
	v_fma_f32 v34, v35, v6, -v7
	ds_load_2addr_b64 v[4:7], v32 offset0:69 offset1:70
	s_wait_loadcnt_dscnt 0x501
	v_dual_mul_f32 v35, v0, v9 :: v_dual_mul_f32 v36, v2, v11
	v_mul_f32_e32 v11, v3, v11
	v_fmac_f32_e32 v36, v3, v10
	s_delay_alu instid0(VALU_DEP_2) | instskip(SKIP_2) | instid1(VALU_DEP_1)
	v_fma_f32 v42, v2, v10, -v11
	s_wait_loadcnt_dscnt 0x400
	v_dual_mul_f32 v44, v6, v15 :: v_dual_mul_f32 v9, v1, v9
	v_dual_fmac_f32 v35, v1, v8 :: v_dual_fmac_f32 v44, v7, v14
	s_delay_alu instid0(VALU_DEP_2) | instskip(SKIP_3) | instid1(VALU_DEP_2)
	v_fma_f32 v41, v0, v8, -v9
	ds_load_2addr_b64 v[0:3], v32 offset0:71 offset1:72
	v_mul_f32_e32 v43, v4, v13
	v_dual_mul_f32 v8, v5, v13 :: v_dual_mul_f32 v9, v7, v15
	v_fmac_f32_e32 v43, v5, v12
	s_delay_alu instid0(VALU_DEP_2) | instskip(NEXT) | instid1(VALU_DEP_3)
	v_fma_f32 v12, v4, v12, -v8
	v_fma_f32 v13, v6, v14, -v9
	ds_load_2addr_b64 v[4:7], v32 offset0:73 offset1:74
	s_wait_loadcnt_dscnt 0x301
	v_dual_mul_f32 v14, v0, v17 :: v_dual_mul_f32 v15, v2, v19
	v_dual_mul_f32 v8, v1, v17 :: v_dual_mul_f32 v9, v3, v19
	s_delay_alu instid0(VALU_DEP_2) | instskip(NEXT) | instid1(VALU_DEP_2)
	v_fmac_f32_e32 v14, v1, v16
	v_fma_f32 v16, v0, v16, -v8
	s_delay_alu instid0(VALU_DEP_3) | instskip(SKIP_4) | instid1(VALU_DEP_1)
	v_fma_f32 v17, v2, v18, -v9
	s_wait_loadcnt_dscnt 0x200
	v_dual_mul_f32 v8, v5, v21 :: v_dual_fmac_f32 v15, v3, v18
	ds_load_2addr_b64 v[0:3], v32 offset0:75 offset1:76
	v_dual_mul_f32 v18, v4, v21 :: v_dual_mul_f32 v19, v6, v23
	v_dual_mul_f32 v9, v7, v23 :: v_dual_fmac_f32 v18, v5, v20
	s_delay_alu instid0(VALU_DEP_2) | instskip(SKIP_1) | instid1(VALU_DEP_3)
	v_fmac_f32_e32 v19, v7, v22
	v_fma_f32 v20, v4, v20, -v8
	v_fma_f32 v21, v6, v22, -v9
	ds_load_2addr_b64 v[4:7], v32 offset0:77 offset1:78
	s_wait_loadcnt_dscnt 0x101
	v_mul_f32_e32 v8, v1, v25
	v_dual_mul_f32 v22, v0, v25 :: v_dual_mul_f32 v23, v2, v27
	v_mul_f32_e32 v9, v3, v27
	s_delay_alu instid0(VALU_DEP_3) | instskip(NEXT) | instid1(VALU_DEP_3)
	v_fma_f32 v25, v0, v24, -v8
	v_dual_fmac_f32 v22, v1, v24 :: v_dual_fmac_f32 v23, v3, v26
	s_delay_alu instid0(VALU_DEP_3)
	v_fma_f32 v24, v2, v26, -v9
	s_clause 0x1
	scratch_load_b128 v[0:3], off, off offset:120
	scratch_load_b128 v[8:11], off, off offset:136
	s_wait_loadcnt_dscnt 0x100
	v_mul_f32_e32 v26, v4, v1
	v_mul_f32_e32 v1, v5, v1
	s_delay_alu instid0(VALU_DEP_2) | instskip(NEXT) | instid1(VALU_DEP_2)
	v_dual_mul_f32 v169, v6, v3 :: v_dual_fmac_f32 v26, v5, v0
	v_fma_f32 v27, v4, v0, -v1
	v_mul_f32_e32 v0, v7, v3
	s_delay_alu instid0(VALU_DEP_3) | instskip(NEXT) | instid1(VALU_DEP_2)
	v_fmac_f32_e32 v169, v7, v2
	v_fma_f32 v170, v6, v2, -v0
	ds_load_2addr_b64 v[0:3], v32 offset0:79 offset1:80
	ds_load_2addr_b64 v[4:7], v32 offset0:81 offset1:82
	s_wait_loadcnt_dscnt 0x1
	v_mul_f32_e32 v171, v0, v9
	v_mul_f32_e32 v173, v2, v11
	s_delay_alu instid0(VALU_DEP_2) | instskip(SKIP_1) | instid1(VALU_DEP_3)
	v_fmac_f32_e32 v171, v1, v8
	v_mul_f32_e32 v1, v1, v9
	v_fmac_f32_e32 v173, v3, v10
	s_delay_alu instid0(VALU_DEP_2) | instskip(SKIP_1) | instid1(VALU_DEP_1)
	v_fma_f32 v172, v0, v8, -v1
	v_mul_f32_e32 v0, v3, v11
	v_fma_f32 v174, v2, v10, -v0
	s_clause 0x1
	scratch_load_b128 v[0:3], off, off offset:152
	scratch_load_b128 v[8:11], off, off offset:168
	s_wait_loadcnt_dscnt 0x100
	v_mul_f32_e32 v175, v4, v1
	v_mul_f32_e32 v1, v5, v1
	v_mul_f32_e32 v177, v6, v3
	s_delay_alu instid0(VALU_DEP_3) | instskip(NEXT) | instid1(VALU_DEP_3)
	v_fmac_f32_e32 v175, v5, v0
	v_fma_f32 v176, v4, v0, -v1
	v_mul_f32_e32 v0, v7, v3
	s_delay_alu instid0(VALU_DEP_4) | instskip(NEXT) | instid1(VALU_DEP_2)
	v_fmac_f32_e32 v177, v7, v2
	v_fma_f32 v178, v6, v2, -v0
	ds_load_2addr_b64 v[0:3], v32 offset0:83 offset1:84
	ds_load_2addr_b64 v[4:7], v32 offset0:85 offset1:86
	s_wait_loadcnt_dscnt 0x1
	v_mul_f32_e32 v179, v0, v9
	v_mul_f32_e32 v181, v2, v11
	s_delay_alu instid0(VALU_DEP_2) | instskip(SKIP_1) | instid1(VALU_DEP_3)
	v_fmac_f32_e32 v179, v1, v8
	v_mul_f32_e32 v1, v1, v9
	v_fmac_f32_e32 v181, v3, v10
	s_delay_alu instid0(VALU_DEP_2) | instskip(SKIP_1) | instid1(VALU_DEP_1)
	v_fma_f32 v180, v0, v8, -v1
	v_mul_f32_e32 v0, v3, v11
	v_fma_f32 v182, v2, v10, -v0
	s_clause 0x1
	scratch_load_b128 v[0:3], off, off offset:184
	scratch_load_b128 v[8:11], off, off offset:200
	s_wait_loadcnt_dscnt 0x100
	v_mul_f32_e32 v183, v4, v1
	v_mul_f32_e32 v1, v5, v1
	v_mul_f32_e32 v185, v6, v3
	s_delay_alu instid0(VALU_DEP_3) | instskip(NEXT) | instid1(VALU_DEP_3)
	v_fmac_f32_e32 v183, v5, v0
	v_fma_f32 v184, v4, v0, -v1
	v_mul_f32_e32 v0, v7, v3
	s_delay_alu instid0(VALU_DEP_4) | instskip(NEXT) | instid1(VALU_DEP_2)
	;; [unrolled: 27-line block ×8, first 2 shown]
	v_fmac_f32_e32 v233, v7, v2
	v_fma_f32 v234, v6, v2, -v0
	ds_load_2addr_b64 v[0:3], v32 offset0:111 offset1:112
	ds_load_2addr_b64 v[4:7], v32 offset0:113 offset1:114
	s_wait_loadcnt_dscnt 0x1
	v_mul_f32_e32 v235, v0, v9
	v_mul_f32_e32 v237, v2, v11
	s_delay_alu instid0(VALU_DEP_2) | instskip(SKIP_1) | instid1(VALU_DEP_3)
	v_fmac_f32_e32 v235, v1, v8
	v_mul_f32_e32 v1, v1, v9
	v_fmac_f32_e32 v237, v3, v10
	s_delay_alu instid0(VALU_DEP_2) | instskip(SKIP_1) | instid1(VALU_DEP_1)
	v_fma_f32 v236, v0, v8, -v1
	v_mul_f32_e32 v0, v3, v11
	v_fma_f32 v238, v2, v10, -v0
	s_clause 0x1
	scratch_load_b128 v[0:3], off, off offset:408
	scratch_load_b128 v[8:11], off, off offset:424
	s_wait_loadcnt_dscnt 0x100
	v_mul_f32_e32 v239, v4, v1
	v_mul_f32_e32 v1, v5, v1
	;; [unrolled: 1-line block ×3, first 2 shown]
	s_delay_alu instid0(VALU_DEP_3) | instskip(NEXT) | instid1(VALU_DEP_3)
	v_fmac_f32_e32 v239, v5, v0
	v_fma_f32 v240, v4, v0, -v1
	v_mul_f32_e32 v0, v7, v3
	v_add_f32_e32 v1, 0, v39
	v_fmac_f32_e32 v241, v7, v2
	s_delay_alu instid0(VALU_DEP_3) | instskip(SKIP_1) | instid1(VALU_DEP_1)
	v_fma_f32 v242, v6, v2, -v0
	v_add_f32_e32 v0, 0, v28
	v_dual_add_f32 v1, v1, v40 :: v_dual_add_f32 v0, v0, v29
	s_delay_alu instid0(VALU_DEP_1) | instskip(NEXT) | instid1(VALU_DEP_1)
	v_dual_add_f32 v1, v1, v30 :: v_dual_add_f32 v0, v0, v33
	v_dual_add_f32 v1, v1, v31 :: v_dual_add_f32 v0, v0, v34
	s_delay_alu instid0(VALU_DEP_1) | instskip(NEXT) | instid1(VALU_DEP_1)
	v_dual_add_f32 v1, v1, v35 :: v_dual_add_f32 v0, v0, v41
	;; [unrolled: 3-line block ×6, first 2 shown]
	v_dual_add_f32 v1, v1, v23 :: v_dual_add_f32 v0, v0, v24
	s_delay_alu instid0(VALU_DEP_1) | instskip(SKIP_2) | instid1(VALU_DEP_1)
	v_add_f32_e32 v1, v1, v26
	scratch_load_b64 v[24:25], off, off offset:488
	v_dual_add_f32 v0, v0, v27 :: v_dual_add_f32 v1, v1, v169
	v_dual_add_f32 v0, v0, v170 :: v_dual_add_f32 v1, v1, v171
	s_delay_alu instid0(VALU_DEP_1) | instskip(NEXT) | instid1(VALU_DEP_1)
	v_dual_add_f32 v0, v0, v172 :: v_dual_add_f32 v1, v1, v173
	v_dual_add_f32 v0, v0, v174 :: v_dual_add_f32 v1, v1, v175
	s_delay_alu instid0(VALU_DEP_1) | instskip(NEXT) | instid1(VALU_DEP_1)
	;; [unrolled: 3-line block ×9, first 2 shown]
	v_dual_add_f32 v0, v0, v204 :: v_dual_add_f32 v1, v1, v205
	v_dual_add_f32 v0, v0, v206 :: v_dual_add_f32 v1, v1, v207
	s_delay_alu instid0(VALU_DEP_1) | instskip(NEXT) | instid1(VALU_DEP_2)
	v_add_f32_e32 v0, v0, v208
	v_add_f32_e32 v4, v1, v209
	s_delay_alu instid0(VALU_DEP_2) | instskip(NEXT) | instid1(VALU_DEP_2)
	v_add_f32_e32 v0, v0, v210
	v_add_f32_e32 v4, v4, v211
	s_delay_alu instid0(VALU_DEP_2) | instskip(SKIP_2) | instid1(VALU_DEP_1)
	v_add_f32_e32 v5, v0, v212
	ds_load_2addr_b64 v[0:3], v32 offset0:115 offset1:116
	v_dual_add_f32 v4, v4, v213 :: v_dual_add_f32 v5, v5, v214
	v_dual_add_f32 v13, v4, v215 :: v_dual_add_f32 v12, v5, v216
	ds_load_2addr_b64 v[4:7], v32 offset0:117 offset1:118
	v_add_f32_e32 v12, v12, v218
	s_delay_alu instid0(VALU_DEP_1)
	v_add_f32_e32 v12, v12, v220
	s_wait_loadcnt_dscnt 0x101
	v_mul_f32_e32 v28, v0, v9
	v_mul_f32_e32 v9, v1, v9
	;; [unrolled: 1-line block ×4, first 2 shown]
	v_add_f32_e32 v13, v13, v217
	v_fmac_f32_e32 v28, v1, v8
	v_fma_f32 v30, v0, v8, -v9
	v_fmac_f32_e32 v29, v3, v10
	v_fma_f32 v31, v2, v10, -v11
	s_clause 0x1
	scratch_load_b128 v[0:3], off, off offset:440
	scratch_load_b128 v[8:11], off, off offset:456
	v_dual_add_f32 v12, v12, v222 :: v_dual_add_f32 v13, v13, v219
	s_delay_alu instid0(VALU_DEP_1) | instskip(SKIP_2) | instid1(VALU_DEP_1)
	v_dual_add_f32 v17, v12, v224 :: v_dual_add_f32 v16, v13, v221
	scratch_load_b128 v[12:15], off, off offset:472
	v_dual_add_f32 v17, v17, v226 :: v_dual_add_f32 v16, v16, v223
	v_dual_add_f32 v17, v17, v228 :: v_dual_add_f32 v16, v16, v225
	s_delay_alu instid0(VALU_DEP_1) | instskip(NEXT) | instid1(VALU_DEP_1)
	v_dual_add_f32 v17, v17, v230 :: v_dual_add_f32 v16, v16, v227
	v_dual_add_f32 v17, v17, v232 :: v_dual_add_f32 v16, v16, v229
	s_delay_alu instid0(VALU_DEP_1) | instskip(NEXT) | instid1(VALU_DEP_2)
	v_add_f32_e32 v26, v17, v234
	v_add_f32_e32 v20, v16, v231
	ds_load_2addr_b64 v[16:19], v32 offset0:119 offset1:120
	v_add_f32_e32 v33, v26, v236
	v_add_f32_e32 v27, v20, v233
	ds_load_2addr_b64 v[20:23], v32 offset0:121 offset1:122
	v_dual_add_f32 v33, v33, v238 :: v_dual_add_f32 v34, v27, v235
	ds_load_b64 v[26:27], v32 offset:984
	v_dual_add_f32 v33, v33, v240 :: v_dual_add_f32 v34, v34, v237
	s_delay_alu instid0(VALU_DEP_1) | instskip(NEXT) | instid1(VALU_DEP_1)
	v_dual_add_f32 v33, v33, v242 :: v_dual_add_f32 v34, v34, v239
	v_add_f32_e32 v30, v33, v30
	s_delay_alu instid0(VALU_DEP_2) | instskip(NEXT) | instid1(VALU_DEP_1)
	v_add_f32_e32 v34, v34, v241
	v_add_f32_e32 v28, v34, v28
	s_wait_loadcnt_dscnt 0x300
	v_mul_f32_e32 v34, v26, v25
	s_wait_loadcnt 0x2
	s_delay_alu instid0(VALU_DEP_1)
	v_dual_fmac_f32 v34, v27, v24 :: v_dual_mul_f32 v35, v4, v1
	v_dual_mul_f32 v1, v5, v1 :: v_dual_mul_f32 v36, v6, v3
	v_mul_f32_e32 v3, v7, v3
	s_wait_loadcnt 0x1
	v_mul_f32_e32 v39, v16, v9
	v_fmac_f32_e32 v35, v5, v0
	v_fma_f32 v0, v4, v0, -v1
	v_dual_add_f32 v1, v30, v31 :: v_dual_add_f32 v4, v28, v29
	v_dual_mul_f32 v5, v17, v9 :: v_dual_fmac_f32 v36, v7, v2
	v_fma_f32 v2, v6, v2, -v3
	s_delay_alu instid0(VALU_DEP_3)
	v_dual_add_f32 v0, v1, v0 :: v_dual_add_f32 v1, v4, v35
	v_mul_f32_e32 v40, v18, v11
	v_mul_f32_e32 v3, v19, v11
	v_fmac_f32_e32 v39, v17, v8
	v_fma_f32 v4, v16, v8, -v5
	v_dual_add_f32 v0, v0, v2 :: v_dual_add_f32 v1, v1, v36
	s_wait_loadcnt 0x0
	v_mul_f32_e32 v41, v20, v13
	v_mul_f32_e32 v2, v21, v13
	v_fmac_f32_e32 v40, v19, v10
	v_fma_f32 v3, v18, v10, -v3
	v_dual_add_f32 v0, v0, v4 :: v_dual_add_f32 v1, v1, v39
	v_mul_f32_e32 v33, v22, v15
	v_dual_mul_f32 v4, v23, v15 :: v_dual_fmac_f32 v41, v21, v12
	v_fma_f32 v2, v20, v12, -v2
	s_delay_alu instid0(VALU_DEP_4) | instskip(SKIP_3) | instid1(VALU_DEP_4)
	v_dual_add_f32 v0, v0, v3 :: v_dual_add_f32 v1, v1, v40
	v_mul_f32_e32 v3, v27, v25
	v_fmac_f32_e32 v33, v23, v14
	v_fma_f32 v4, v22, v14, -v4
	v_dual_add_f32 v0, v0, v2 :: v_dual_add_f32 v1, v1, v41
	s_delay_alu instid0(VALU_DEP_4) | instskip(NEXT) | instid1(VALU_DEP_2)
	v_fma_f32 v2, v26, v24, -v3
	v_dual_add_f32 v0, v0, v4 :: v_dual_add_f32 v1, v1, v33
	s_delay_alu instid0(VALU_DEP_1) | instskip(NEXT) | instid1(VALU_DEP_2)
	v_add_f32_e32 v0, v0, v2
	v_add_f32_e32 v1, v1, v34
	s_delay_alu instid0(VALU_DEP_1)
	v_dual_sub_f32 v0, v37, v0 :: v_dual_sub_f32 v1, v38, v1
	scratch_store_b64 off, v[0:1], off
	s_wait_alu 0xfffe
	s_cbranch_vccz .LBB61_508
; %bb.386:
	global_load_b32 v0, v32, s[2:3] offset:240
	s_wait_loadcnt 0x0
	v_cmp_ne_u32_e32 vcc_lo, 61, v0
	s_cbranch_vccz .LBB61_388
; %bb.387:
	v_lshlrev_b32_e32 v0, 3, v0
	s_delay_alu instid0(VALU_DEP_1)
	v_mov_b32_e32 v4, v0
	scratch_load_b64 v[0:1], v4, off offset:-8
	scratch_load_b64 v[2:3], off, off offset:480
	s_wait_loadcnt 0x1
	scratch_store_b64 off, v[0:1], off offset:480
	s_wait_loadcnt 0x0
	scratch_store_b64 v4, v[2:3], off offset:-8
.LBB61_388:
	v_mov_b32_e32 v0, 0
	global_load_b32 v1, v0, s[2:3] offset:236
	s_wait_loadcnt 0x0
	v_cmp_eq_u32_e32 vcc_lo, 60, v1
	s_cbranch_vccnz .LBB61_390
; %bb.389:
	v_lshlrev_b32_e32 v1, 3, v1
	s_delay_alu instid0(VALU_DEP_1)
	v_mov_b32_e32 v5, v1
	scratch_load_b64 v[1:2], v5, off offset:-8
	scratch_load_b64 v[3:4], off, off offset:472
	s_wait_loadcnt 0x1
	scratch_store_b64 off, v[1:2], off offset:472
	s_wait_loadcnt 0x0
	scratch_store_b64 v5, v[3:4], off offset:-8
.LBB61_390:
	global_load_b32 v0, v0, s[2:3] offset:232
	s_wait_loadcnt 0x0
	v_cmp_eq_u32_e32 vcc_lo, 59, v0
	s_cbranch_vccnz .LBB61_392
; %bb.391:
	v_lshlrev_b32_e32 v0, 3, v0
	s_delay_alu instid0(VALU_DEP_1)
	v_mov_b32_e32 v4, v0
	scratch_load_b64 v[0:1], v4, off offset:-8
	scratch_load_b64 v[2:3], off, off offset:464
	s_wait_loadcnt 0x1
	scratch_store_b64 off, v[0:1], off offset:464
	s_wait_loadcnt 0x0
	scratch_store_b64 v4, v[2:3], off offset:-8
.LBB61_392:
	v_mov_b32_e32 v0, 0
	global_load_b32 v1, v0, s[2:3] offset:228
	s_wait_loadcnt 0x0
	v_cmp_eq_u32_e32 vcc_lo, 58, v1
	s_cbranch_vccnz .LBB61_394
; %bb.393:
	v_lshlrev_b32_e32 v1, 3, v1
	s_delay_alu instid0(VALU_DEP_1)
	v_mov_b32_e32 v5, v1
	scratch_load_b64 v[1:2], v5, off offset:-8
	scratch_load_b64 v[3:4], off, off offset:456
	s_wait_loadcnt 0x1
	scratch_store_b64 off, v[1:2], off offset:456
	s_wait_loadcnt 0x0
	scratch_store_b64 v5, v[3:4], off offset:-8
.LBB61_394:
	global_load_b32 v0, v0, s[2:3] offset:224
	s_wait_loadcnt 0x0
	v_cmp_eq_u32_e32 vcc_lo, 57, v0
	s_cbranch_vccnz .LBB61_396
; %bb.395:
	v_lshlrev_b32_e32 v0, 3, v0
	s_delay_alu instid0(VALU_DEP_1)
	v_mov_b32_e32 v4, v0
	scratch_load_b64 v[0:1], v4, off offset:-8
	scratch_load_b64 v[2:3], off, off offset:448
	s_wait_loadcnt 0x1
	scratch_store_b64 off, v[0:1], off offset:448
	s_wait_loadcnt 0x0
	scratch_store_b64 v4, v[2:3], off offset:-8
.LBB61_396:
	;; [unrolled: 31-line block ×29, first 2 shown]
	v_mov_b32_e32 v0, 0
	global_load_b32 v1, v0, s[2:3] offset:4
	s_wait_loadcnt 0x0
	v_cmp_eq_u32_e32 vcc_lo, 2, v1
	s_cbranch_vccnz .LBB61_506
; %bb.505:
	v_lshlrev_b32_e32 v1, 3, v1
	s_delay_alu instid0(VALU_DEP_1)
	v_mov_b32_e32 v5, v1
	scratch_load_b64 v[1:2], v5, off offset:-8
	scratch_load_b64 v[3:4], off, off offset:8
	s_wait_loadcnt 0x1
	scratch_store_b64 off, v[1:2], off offset:8
	s_wait_loadcnt 0x0
	scratch_store_b64 v5, v[3:4], off offset:-8
.LBB61_506:
	global_load_b32 v0, v0, s[2:3]
	s_wait_loadcnt 0x0
	v_cmp_eq_u32_e32 vcc_lo, 1, v0
	s_cbranch_vccnz .LBB61_508
; %bb.507:
	v_lshlrev_b32_e32 v0, 3, v0
	s_delay_alu instid0(VALU_DEP_1)
	v_mov_b32_e32 v4, v0
	scratch_load_b64 v[0:1], v4, off offset:-8
	scratch_load_b64 v[2:3], off, off
	s_wait_loadcnt 0x1
	scratch_store_b64 off, v[0:1], off
	s_wait_loadcnt 0x0
	scratch_store_b64 v4, v[2:3], off offset:-8
.LBB61_508:
	s_clause 0x1e
	scratch_load_b128 v[0:3], off, off
	scratch_load_b128 v[4:7], off, off offset:16
	scratch_load_b128 v[8:11], off, off offset:32
	;; [unrolled: 1-line block ×30, first 2 shown]
	s_wait_loadcnt 0x1e
	s_clause 0x1
	global_store_b64 v[45:46], v[0:1], off
	global_store_b64 v[47:48], v[2:3], off
	s_wait_loadcnt 0x1d
	s_clause 0x1
	global_store_b64 v[49:50], v[4:5], off
	global_store_b64 v[51:52], v[6:7], off
	;; [unrolled: 4-line block ×31, first 2 shown]
	s_nop 0
	s_sendmsg sendmsg(MSG_DEALLOC_VGPRS)
	s_endpgm
	.section	.rodata,"a",@progbits
	.p2align	6, 0x0
	.amdhsa_kernel _ZN9rocsolver6v33100L18getri_kernel_smallILi62E19rocblas_complex_numIfEPS3_EEvT1_iilPiilS6_bb
		.amdhsa_group_segment_fixed_size 996
		.amdhsa_private_segment_fixed_size 512
		.amdhsa_kernarg_size 60
		.amdhsa_user_sgpr_count 2
		.amdhsa_user_sgpr_dispatch_ptr 0
		.amdhsa_user_sgpr_queue_ptr 0
		.amdhsa_user_sgpr_kernarg_segment_ptr 1
		.amdhsa_user_sgpr_dispatch_id 0
		.amdhsa_user_sgpr_private_segment_size 0
		.amdhsa_wavefront_size32 1
		.amdhsa_uses_dynamic_stack 0
		.amdhsa_enable_private_segment 1
		.amdhsa_system_sgpr_workgroup_id_x 1
		.amdhsa_system_sgpr_workgroup_id_y 0
		.amdhsa_system_sgpr_workgroup_id_z 0
		.amdhsa_system_sgpr_workgroup_info 0
		.amdhsa_system_vgpr_workitem_id 0
		.amdhsa_next_free_vgpr 254
		.amdhsa_next_free_sgpr 19
		.amdhsa_reserve_vcc 1
		.amdhsa_float_round_mode_32 0
		.amdhsa_float_round_mode_16_64 0
		.amdhsa_float_denorm_mode_32 3
		.amdhsa_float_denorm_mode_16_64 3
		.amdhsa_fp16_overflow 0
		.amdhsa_workgroup_processor_mode 1
		.amdhsa_memory_ordered 1
		.amdhsa_forward_progress 1
		.amdhsa_inst_pref_size 255
		.amdhsa_round_robin_scheduling 0
		.amdhsa_exception_fp_ieee_invalid_op 0
		.amdhsa_exception_fp_denorm_src 0
		.amdhsa_exception_fp_ieee_div_zero 0
		.amdhsa_exception_fp_ieee_overflow 0
		.amdhsa_exception_fp_ieee_underflow 0
		.amdhsa_exception_fp_ieee_inexact 0
		.amdhsa_exception_int_div_zero 0
	.end_amdhsa_kernel
	.section	.text._ZN9rocsolver6v33100L18getri_kernel_smallILi62E19rocblas_complex_numIfEPS3_EEvT1_iilPiilS6_bb,"axG",@progbits,_ZN9rocsolver6v33100L18getri_kernel_smallILi62E19rocblas_complex_numIfEPS3_EEvT1_iilPiilS6_bb,comdat
.Lfunc_end61:
	.size	_ZN9rocsolver6v33100L18getri_kernel_smallILi62E19rocblas_complex_numIfEPS3_EEvT1_iilPiilS6_bb, .Lfunc_end61-_ZN9rocsolver6v33100L18getri_kernel_smallILi62E19rocblas_complex_numIfEPS3_EEvT1_iilPiilS6_bb
                                        ; -- End function
	.set _ZN9rocsolver6v33100L18getri_kernel_smallILi62E19rocblas_complex_numIfEPS3_EEvT1_iilPiilS6_bb.num_vgpr, 254
	.set _ZN9rocsolver6v33100L18getri_kernel_smallILi62E19rocblas_complex_numIfEPS3_EEvT1_iilPiilS6_bb.num_agpr, 0
	.set _ZN9rocsolver6v33100L18getri_kernel_smallILi62E19rocblas_complex_numIfEPS3_EEvT1_iilPiilS6_bb.numbered_sgpr, 19
	.set _ZN9rocsolver6v33100L18getri_kernel_smallILi62E19rocblas_complex_numIfEPS3_EEvT1_iilPiilS6_bb.num_named_barrier, 0
	.set _ZN9rocsolver6v33100L18getri_kernel_smallILi62E19rocblas_complex_numIfEPS3_EEvT1_iilPiilS6_bb.private_seg_size, 512
	.set _ZN9rocsolver6v33100L18getri_kernel_smallILi62E19rocblas_complex_numIfEPS3_EEvT1_iilPiilS6_bb.uses_vcc, 1
	.set _ZN9rocsolver6v33100L18getri_kernel_smallILi62E19rocblas_complex_numIfEPS3_EEvT1_iilPiilS6_bb.uses_flat_scratch, 1
	.set _ZN9rocsolver6v33100L18getri_kernel_smallILi62E19rocblas_complex_numIfEPS3_EEvT1_iilPiilS6_bb.has_dyn_sized_stack, 0
	.set _ZN9rocsolver6v33100L18getri_kernel_smallILi62E19rocblas_complex_numIfEPS3_EEvT1_iilPiilS6_bb.has_recursion, 0
	.set _ZN9rocsolver6v33100L18getri_kernel_smallILi62E19rocblas_complex_numIfEPS3_EEvT1_iilPiilS6_bb.has_indirect_call, 0
	.section	.AMDGPU.csdata,"",@progbits
; Kernel info:
; codeLenInByte = 123388
; TotalNumSgprs: 21
; NumVgprs: 254
; ScratchSize: 512
; MemoryBound: 0
; FloatMode: 240
; IeeeMode: 1
; LDSByteSize: 996 bytes/workgroup (compile time only)
; SGPRBlocks: 0
; VGPRBlocks: 31
; NumSGPRsForWavesPerEU: 21
; NumVGPRsForWavesPerEU: 254
; Occupancy: 5
; WaveLimiterHint : 1
; COMPUTE_PGM_RSRC2:SCRATCH_EN: 1
; COMPUTE_PGM_RSRC2:USER_SGPR: 2
; COMPUTE_PGM_RSRC2:TRAP_HANDLER: 0
; COMPUTE_PGM_RSRC2:TGID_X_EN: 1
; COMPUTE_PGM_RSRC2:TGID_Y_EN: 0
; COMPUTE_PGM_RSRC2:TGID_Z_EN: 0
; COMPUTE_PGM_RSRC2:TIDIG_COMP_CNT: 0
	.section	.text._ZN9rocsolver6v33100L18getri_kernel_smallILi63E19rocblas_complex_numIfEPS3_EEvT1_iilPiilS6_bb,"axG",@progbits,_ZN9rocsolver6v33100L18getri_kernel_smallILi63E19rocblas_complex_numIfEPS3_EEvT1_iilPiilS6_bb,comdat
	.globl	_ZN9rocsolver6v33100L18getri_kernel_smallILi63E19rocblas_complex_numIfEPS3_EEvT1_iilPiilS6_bb ; -- Begin function _ZN9rocsolver6v33100L18getri_kernel_smallILi63E19rocblas_complex_numIfEPS3_EEvT1_iilPiilS6_bb
	.p2align	8
	.type	_ZN9rocsolver6v33100L18getri_kernel_smallILi63E19rocblas_complex_numIfEPS3_EEvT1_iilPiilS6_bb,@function
_ZN9rocsolver6v33100L18getri_kernel_smallILi63E19rocblas_complex_numIfEPS3_EEvT1_iilPiilS6_bb: ; @_ZN9rocsolver6v33100L18getri_kernel_smallILi63E19rocblas_complex_numIfEPS3_EEvT1_iilPiilS6_bb
; %bb.0:
	s_mov_b32 s2, exec_lo
	v_cmpx_gt_u32_e32 63, v0
	s_cbranch_execz .LBB62_266
; %bb.1:
	s_clause 0x2
	s_load_b32 s2, s[0:1], 0x38
	s_load_b128 s[12:15], s[0:1], 0x10
	s_load_b128 s[4:7], s[0:1], 0x28
	s_mov_b32 s16, ttmp9
	s_wait_kmcnt 0x0
	s_bitcmp1_b32 s2, 8
	s_cselect_b32 s18, -1, 0
	s_bfe_u32 s2, s2, 0x10008
	s_ashr_i32 s17, ttmp9, 31
	s_cmp_eq_u32 s2, 0
                                        ; implicit-def: $sgpr2_sgpr3
	s_cbranch_scc1 .LBB62_3
; %bb.2:
	s_load_b32 s2, s[0:1], 0x20
	s_mul_u64 s[4:5], s[4:5], s[16:17]
	s_delay_alu instid0(SALU_CYCLE_1) | instskip(NEXT) | instid1(SALU_CYCLE_1)
	s_lshl_b64 s[4:5], s[4:5], 2
	s_add_nc_u64 s[4:5], s[14:15], s[4:5]
	s_wait_kmcnt 0x0
	s_ashr_i32 s3, s2, 31
	s_delay_alu instid0(SALU_CYCLE_1) | instskip(NEXT) | instid1(SALU_CYCLE_1)
	s_lshl_b64 s[2:3], s[2:3], 2
	s_add_nc_u64 s[2:3], s[4:5], s[2:3]
.LBB62_3:
	s_clause 0x1
	s_load_b128 s[8:11], s[0:1], 0x0
	s_load_b32 s4, s[0:1], 0x38
	s_mul_u64 s[0:1], s[12:13], s[16:17]
	v_lshlrev_b32_e32 v171, 3, v0
	s_lshl_b64 s[0:1], s[0:1], 3
	s_wait_kmcnt 0x0
	v_add3_u32 v3, s11, s11, v0
	s_ashr_i32 s13, s10, 31
	s_mov_b32 s12, s10
	s_add_nc_u64 s[0:1], s[8:9], s[0:1]
	s_lshl_b64 s[12:13], s[12:13], 3
	v_add_nc_u32_e32 v5, s11, v3
	v_ashrrev_i32_e32 v4, 31, v3
	s_add_nc_u64 s[0:1], s[0:1], s[12:13]
	s_ashr_i32 s9, s11, 31
	v_add_co_u32 v45, s5, s0, v171
	v_add_nc_u32_e32 v7, s11, v5
	v_ashrrev_i32_e32 v6, 31, v5
	s_mov_b32 s8, s11
	v_lshlrev_b64_e32 v[3:4], 3, v[3:4]
	v_add_co_ci_u32_e64 v46, null, s1, 0, s5
	v_add_nc_u32_e32 v9, s11, v7
	s_lshl_b64 s[8:9], s[8:9], 3
	v_lshlrev_b64_e32 v[5:6], 3, v[5:6]
	v_ashrrev_i32_e32 v8, 31, v7
	v_add_co_u32 v47, vcc_lo, v45, s8
	v_ashrrev_i32_e32 v10, 31, v9
	v_add_co_ci_u32_e64 v48, null, s9, v46, vcc_lo
	v_add_co_u32 v49, vcc_lo, s0, v3
	s_wait_alu 0xfffd
	v_add_co_ci_u32_e64 v50, null, s1, v4, vcc_lo
	v_add_nc_u32_e32 v3, s11, v9
	v_lshlrev_b64_e32 v[7:8], 3, v[7:8]
	v_add_co_u32 v51, vcc_lo, s0, v5
	s_wait_alu 0xfffd
	v_add_co_ci_u32_e64 v52, null, s1, v6, vcc_lo
	v_lshlrev_b64_e32 v[5:6], 3, v[9:10]
	v_ashrrev_i32_e32 v4, 31, v3
	v_add_co_u32 v53, vcc_lo, s0, v7
	global_load_b64 v[1:2], v171, s[0:1]
	s_wait_alu 0xfffd
	v_add_co_ci_u32_e64 v54, null, s1, v8, vcc_lo
	v_add_co_u32 v55, vcc_lo, s0, v5
	v_add_nc_u32_e32 v11, s11, v3
	v_lshlrev_b64_e32 v[13:14], 3, v[3:4]
	s_wait_alu 0xfffd
	v_add_co_ci_u32_e64 v56, null, s1, v6, vcc_lo
	s_clause 0x3
	global_load_b64 v[3:4], v[47:48], off
	global_load_b64 v[5:6], v[49:50], off
	;; [unrolled: 1-line block ×4, first 2 shown]
	v_add_nc_u32_e32 v15, s11, v11
	v_ashrrev_i32_e32 v12, 31, v11
	v_add_co_u32 v57, vcc_lo, s0, v13
	s_wait_alu 0xfffd
	v_add_co_ci_u32_e64 v58, null, s1, v14, vcc_lo
	v_ashrrev_i32_e32 v16, 31, v15
	v_add_nc_u32_e32 v17, s11, v15
	v_lshlrev_b64_e32 v[11:12], 3, v[11:12]
	s_bitcmp0_b32 s4, 0
	s_delay_alu instid0(VALU_DEP_3) | instskip(NEXT) | instid1(VALU_DEP_3)
	v_lshlrev_b64_e32 v[13:14], 3, v[15:16]
	v_ashrrev_i32_e32 v18, 31, v17
	v_add_nc_u32_e32 v15, s11, v17
	s_delay_alu instid0(VALU_DEP_4)
	v_add_co_u32 v59, vcc_lo, s0, v11
	s_wait_alu 0xfffd
	v_add_co_ci_u32_e64 v60, null, s1, v12, vcc_lo
	v_lshlrev_b64_e32 v[11:12], 3, v[17:18]
	v_ashrrev_i32_e32 v16, 31, v15
	v_add_nc_u32_e32 v17, s11, v15
	v_add_co_u32 v61, vcc_lo, s0, v13
	s_wait_alu 0xfffd
	v_add_co_ci_u32_e64 v62, null, s1, v14, vcc_lo
	v_lshlrev_b64_e32 v[13:14], 3, v[15:16]
	v_ashrrev_i32_e32 v18, 31, v17
	v_add_nc_u32_e32 v15, s11, v17
	;; [unrolled: 6-line block ×23, first 2 shown]
	v_add_co_u32 v105, vcc_lo, s0, v13
	s_wait_alu 0xfffd
	v_add_co_ci_u32_e64 v106, null, s1, v14, vcc_lo
	v_lshlrev_b64_e32 v[13:14], 3, v[15:16]
	v_add_nc_u32_e32 v15, s11, v17
	v_ashrrev_i32_e32 v18, 31, v17
	v_add_co_u32 v107, vcc_lo, s0, v11
	s_wait_alu 0xfffd
	v_add_co_ci_u32_e64 v108, null, s1, v12, vcc_lo
	v_add_nc_u32_e32 v43, s11, v15
	v_lshlrev_b64_e32 v[11:12], 3, v[17:18]
	v_ashrrev_i32_e32 v16, 31, v15
	v_add_co_u32 v109, vcc_lo, s0, v13
	s_delay_alu instid0(VALU_DEP_4)
	v_add_nc_u32_e32 v117, s11, v43
	v_ashrrev_i32_e32 v44, 31, v43
	s_wait_alu 0xfffd
	v_add_co_ci_u32_e64 v110, null, s1, v14, vcc_lo
	v_lshlrev_b64_e32 v[13:14], 3, v[15:16]
	v_add_nc_u32_e32 v119, s11, v117
	v_ashrrev_i32_e32 v118, 31, v117
	v_add_co_u32 v111, vcc_lo, s0, v11
	s_wait_alu 0xfffd
	v_add_co_ci_u32_e64 v112, null, s1, v12, vcc_lo
	v_add_nc_u32_e32 v121, s11, v119
	v_ashrrev_i32_e32 v120, 31, v119
	v_lshlrev_b64_e32 v[11:12], 3, v[43:44]
	v_lshlrev_b64_e32 v[117:118], 3, v[117:118]
	v_add_co_u32 v113, vcc_lo, s0, v13
	v_add_nc_u32_e32 v123, s11, v121
	v_ashrrev_i32_e32 v122, 31, v121
	v_lshlrev_b64_e32 v[119:120], 3, v[119:120]
	s_wait_alu 0xfffd
	v_add_co_ci_u32_e64 v114, null, s1, v14, vcc_lo
	v_add_nc_u32_e32 v125, s11, v123
	v_ashrrev_i32_e32 v124, 31, v123
	v_add_co_u32 v115, vcc_lo, s0, v11
	v_lshlrev_b64_e32 v[121:122], 3, v[121:122]
	s_delay_alu instid0(VALU_DEP_4)
	v_ashrrev_i32_e32 v126, 31, v125
	s_wait_alu 0xfffd
	v_add_co_ci_u32_e64 v116, null, s1, v12, vcc_lo
	v_add_co_u32 v117, vcc_lo, s0, v117
	v_lshlrev_b64_e32 v[123:124], 3, v[123:124]
	v_add_nc_u32_e32 v128, s11, v125
	s_wait_alu 0xfffd
	v_add_co_ci_u32_e64 v118, null, s1, v118, vcc_lo
	v_add_co_u32 v119, vcc_lo, s0, v119
	v_lshlrev_b64_e32 v[126:127], 3, v[125:126]
	s_wait_alu 0xfffd
	v_add_co_ci_u32_e64 v120, null, s1, v120, vcc_lo
	v_add_co_u32 v121, vcc_lo, s0, v121
	v_ashrrev_i32_e32 v129, 31, v128
	v_add_nc_u32_e32 v130, s11, v128
	s_wait_alu 0xfffd
	v_add_co_ci_u32_e64 v122, null, s1, v122, vcc_lo
	v_add_co_u32 v123, vcc_lo, s0, v123
	s_wait_alu 0xfffd
	v_add_co_ci_u32_e64 v124, null, s1, v124, vcc_lo
	v_add_co_u32 v125, vcc_lo, s0, v126
	s_wait_alu 0xfffd
	v_add_co_ci_u32_e64 v126, null, s1, v127, vcc_lo
	v_lshlrev_b64_e32 v[127:128], 3, v[128:129]
	v_add_nc_u32_e32 v129, s11, v130
	v_ashrrev_i32_e32 v131, 31, v130
	s_clause 0x17
	global_load_b64 v[11:12], v[55:56], off
	global_load_b64 v[13:14], v[57:58], off
	;; [unrolled: 1-line block ×24, first 2 shown]
	v_add_nc_u32_e32 v133, s11, v129
	v_lshlrev_b64_e32 v[131:132], 3, v[130:131]
	v_ashrrev_i32_e32 v130, 31, v129
	v_add_co_u32 v127, vcc_lo, s0, v127
	s_delay_alu instid0(VALU_DEP_4) | instskip(SKIP_1) | instid1(VALU_DEP_4)
	v_ashrrev_i32_e32 v134, 31, v133
	v_add_nc_u32_e32 v139, s11, v133
	v_lshlrev_b64_e32 v[135:136], 3, v[129:130]
	s_wait_alu 0xfffd
	v_add_co_ci_u32_e64 v128, null, s1, v128, vcc_lo
	v_lshlrev_b64_e32 v[137:138], 3, v[133:134]
	v_add_co_u32 v129, vcc_lo, s0, v131
	s_wait_alu 0xfffd
	v_add_co_ci_u32_e64 v130, null, s1, v132, vcc_lo
	v_add_co_u32 v131, vcc_lo, s0, v135
	v_ashrrev_i32_e32 v140, 31, v139
	v_add_nc_u32_e32 v135, s11, v139
	s_wait_alu 0xfffd
	v_add_co_ci_u32_e64 v132, null, s1, v136, vcc_lo
	v_add_co_u32 v133, vcc_lo, s0, v137
	s_wait_alu 0xfffd
	v_add_co_ci_u32_e64 v134, null, s1, v138, vcc_lo
	v_lshlrev_b64_e32 v[137:138], 3, v[139:140]
	v_add_nc_u32_e32 v139, s11, v135
	v_ashrrev_i32_e32 v136, 31, v135
	s_clause 0xb
	global_load_b64 v[186:187], v[103:104], off
	global_load_b64 v[188:189], v[105:106], off
	;; [unrolled: 1-line block ×12, first 2 shown]
	v_add_nc_u32_e32 v143, s11, v139
	v_lshlrev_b64_e32 v[141:142], 3, v[135:136]
	v_add_co_u32 v135, vcc_lo, s0, v137
	s_wait_alu 0xfffd
	v_add_co_ci_u32_e64 v136, null, s1, v138, vcc_lo
	v_ashrrev_i32_e32 v144, 31, v143
	s_delay_alu instid0(VALU_DEP_4) | instskip(SKIP_2) | instid1(VALU_DEP_3)
	v_add_co_u32 v137, vcc_lo, s0, v141
	s_wait_alu 0xfffd
	v_add_co_ci_u32_e64 v138, null, s1, v142, vcc_lo
	v_lshlrev_b64_e32 v[141:142], 3, v[143:144]
	v_add_nc_u32_e32 v143, s11, v143
	v_ashrrev_i32_e32 v140, 31, v139
	s_clause 0x3
	global_load_b64 v[210:211], v[127:128], off
	global_load_b64 v[212:213], v[129:130], off
	global_load_b64 v[214:215], v[131:132], off
	global_load_b64 v[216:217], v[133:134], off
	v_add_nc_u32_e32 v145, s11, v143
	v_ashrrev_i32_e32 v144, 31, v143
	v_lshlrev_b64_e32 v[139:140], 3, v[139:140]
	s_delay_alu instid0(VALU_DEP_3) | instskip(SKIP_1) | instid1(VALU_DEP_4)
	v_add_nc_u32_e32 v147, s11, v145
	v_ashrrev_i32_e32 v146, 31, v145
	v_lshlrev_b64_e32 v[143:144], 3, v[143:144]
	s_delay_alu instid0(VALU_DEP_4) | instskip(NEXT) | instid1(VALU_DEP_4)
	v_add_co_u32 v139, vcc_lo, s0, v139
	v_add_nc_u32_e32 v149, s11, v147
	v_ashrrev_i32_e32 v148, 31, v147
	v_lshlrev_b64_e32 v[145:146], 3, v[145:146]
	s_wait_alu 0xfffd
	v_add_co_ci_u32_e64 v140, null, s1, v140, vcc_lo
	v_ashrrev_i32_e32 v150, 31, v149
	v_add_co_u32 v141, vcc_lo, s0, v141
	v_lshlrev_b64_e32 v[147:148], 3, v[147:148]
	v_add_nc_u32_e32 v152, s11, v149
	s_wait_alu 0xfffd
	v_add_co_ci_u32_e64 v142, null, s1, v142, vcc_lo
	v_add_co_u32 v143, vcc_lo, s0, v143
	v_lshlrev_b64_e32 v[150:151], 3, v[149:150]
	s_wait_alu 0xfffd
	v_add_co_ci_u32_e64 v144, null, s1, v144, vcc_lo
	v_add_co_u32 v145, vcc_lo, s0, v145
	v_ashrrev_i32_e32 v153, 31, v152
	v_add_nc_u32_e32 v154, s11, v152
	s_wait_alu 0xfffd
	v_add_co_ci_u32_e64 v146, null, s1, v146, vcc_lo
	v_add_co_u32 v147, vcc_lo, s0, v147
	s_wait_alu 0xfffd
	v_add_co_ci_u32_e64 v148, null, s1, v148, vcc_lo
	v_add_co_u32 v149, vcc_lo, s0, v150
	s_wait_alu 0xfffd
	v_add_co_ci_u32_e64 v150, null, s1, v151, vcc_lo
	v_lshlrev_b64_e32 v[151:152], 3, v[152:153]
	v_add_nc_u32_e32 v153, s11, v154
	v_ashrrev_i32_e32 v155, 31, v154
	s_clause 0x7
	global_load_b64 v[218:219], v[135:136], off
	global_load_b64 v[220:221], v[137:138], off
	;; [unrolled: 1-line block ×8, first 2 shown]
	v_add_nc_u32_e32 v157, s11, v153
	v_lshlrev_b64_e32 v[155:156], 3, v[154:155]
	v_ashrrev_i32_e32 v154, 31, v153
	v_add_co_u32 v151, vcc_lo, s0, v151
	s_delay_alu instid0(VALU_DEP_4) | instskip(SKIP_1) | instid1(VALU_DEP_4)
	v_ashrrev_i32_e32 v158, 31, v157
	v_add_nc_u32_e32 v163, s11, v157
	v_lshlrev_b64_e32 v[159:160], 3, v[153:154]
	s_wait_alu 0xfffd
	v_add_co_ci_u32_e64 v152, null, s1, v152, vcc_lo
	v_lshlrev_b64_e32 v[161:162], 3, v[157:158]
	v_add_co_u32 v153, vcc_lo, s0, v155
	s_wait_alu 0xfffd
	v_add_co_ci_u32_e64 v154, null, s1, v156, vcc_lo
	v_add_co_u32 v155, vcc_lo, s0, v159
	v_ashrrev_i32_e32 v164, 31, v163
	v_add_nc_u32_e32 v159, s11, v163
	s_wait_alu 0xfffd
	v_add_co_ci_u32_e64 v156, null, s1, v160, vcc_lo
	v_add_co_u32 v157, vcc_lo, s0, v161
	s_wait_alu 0xfffd
	v_add_co_ci_u32_e64 v158, null, s1, v162, vcc_lo
	v_lshlrev_b64_e32 v[161:162], 3, v[163:164]
	v_add_nc_u32_e32 v163, s11, v159
	v_ashrrev_i32_e32 v160, 31, v159
	s_clause 0x3
	global_load_b64 v[234:235], v[151:152], off
	global_load_b64 v[236:237], v[153:154], off
	global_load_b64 v[238:239], v[155:156], off
	global_load_b64 v[240:241], v[157:158], off
	v_add_nc_u32_e32 v167, s11, v163
	v_lshlrev_b64_e32 v[165:166], 3, v[159:160]
	v_add_co_u32 v159, vcc_lo, s0, v161
	s_wait_alu 0xfffd
	v_add_co_ci_u32_e64 v160, null, s1, v162, vcc_lo
	v_ashrrev_i32_e32 v168, 31, v167
	v_add_nc_u32_e32 v169, s11, v167
	v_add_co_u32 v161, vcc_lo, s0, v165
	v_ashrrev_i32_e32 v164, 31, v163
	s_wait_alu 0xfffd
	v_add_co_ci_u32_e64 v162, null, s1, v166, vcc_lo
	v_lshlrev_b64_e32 v[165:166], 3, v[167:168]
	v_add_nc_u32_e32 v167, s11, v169
	v_ashrrev_i32_e32 v170, 31, v169
	v_lshlrev_b64_e32 v[163:164], 3, v[163:164]
	s_delay_alu instid0(VALU_DEP_3) | instskip(NEXT) | instid1(VALU_DEP_3)
	v_ashrrev_i32_e32 v168, 31, v167
	v_lshlrev_b64_e32 v[169:170], 3, v[169:170]
	s_delay_alu instid0(VALU_DEP_3) | instskip(NEXT) | instid1(VALU_DEP_3)
	v_add_co_u32 v163, vcc_lo, s0, v163
	v_lshlrev_b64_e32 v[242:243], 3, v[167:168]
	s_wait_alu 0xfffd
	v_add_co_ci_u32_e64 v164, null, s1, v164, vcc_lo
	v_add_co_u32 v165, vcc_lo, s0, v165
	s_wait_alu 0xfffd
	v_add_co_ci_u32_e64 v166, null, s1, v166, vcc_lo
	v_add_co_u32 v167, vcc_lo, s0, v169
	;; [unrolled: 3-line block ×3, first 2 shown]
	s_wait_alu 0xfffd
	v_add_co_ci_u32_e64 v170, null, s1, v243, vcc_lo
	s_clause 0x2
	global_load_b64 v[242:243], v[159:160], off
	global_load_b64 v[244:245], v[161:162], off
	;; [unrolled: 1-line block ×3, first 2 shown]
	s_wait_loadcnt 0x3a
	scratch_store_b128 off, v[1:4], off
	s_clause 0x2
	global_load_b64 v[1:2], v[165:166], off
	global_load_b64 v[3:4], v[167:168], off
	global_load_b64 v[248:249], v[169:170], off
	s_mov_b32 s1, -1
	s_wait_loadcnt 0x3b
	scratch_store_b128 off, v[5:8], off offset:16
	s_wait_loadcnt 0x39
	scratch_store_b128 off, v[9:12], off offset:32
	;; [unrolled: 2-line block ×30, first 2 shown]
	s_wait_loadcnt 0x0
	scratch_store_b64 off, v[248:249], off offset:496
	s_cbranch_scc1 .LBB62_264
; %bb.4:
	v_cmp_eq_u32_e64 s0, 0, v0
	s_and_saveexec_b32 s1, s0
; %bb.5:
	v_mov_b32_e32 v1, 0
	ds_store_b32 v1, v1 offset:504
; %bb.6:
	s_wait_alu 0xfffe
	s_or_b32 exec_lo, exec_lo, s1
	s_wait_storecnt_dscnt 0x0
	s_barrier_signal -1
	s_barrier_wait -1
	global_inv scope:SCOPE_SE
	scratch_load_b64 v[1:2], v171, off
	s_wait_loadcnt 0x0
	v_cmp_eq_f32_e32 vcc_lo, 0, v1
	v_cmp_eq_f32_e64 s1, 0, v2
	s_and_b32 s1, vcc_lo, s1
	s_wait_alu 0xfffe
	s_and_saveexec_b32 s4, s1
	s_cbranch_execz .LBB62_10
; %bb.7:
	v_mov_b32_e32 v1, 0
	s_mov_b32 s5, 0
	ds_load_b32 v2, v1 offset:504
	s_wait_dscnt 0x0
	v_readfirstlane_b32 s1, v2
	v_add_nc_u32_e32 v2, 1, v0
	s_cmp_eq_u32 s1, 0
	s_delay_alu instid0(VALU_DEP_1)
	v_cmp_gt_i32_e32 vcc_lo, s1, v2
	s_cselect_b32 s8, -1, 0
	s_wait_alu 0xfffe
	s_or_b32 s8, s8, vcc_lo
	s_wait_alu 0xfffe
	s_and_b32 exec_lo, exec_lo, s8
	s_cbranch_execz .LBB62_10
; %bb.8:
	v_mov_b32_e32 v3, s1
.LBB62_9:                               ; =>This Inner Loop Header: Depth=1
	ds_cmpstore_rtn_b32 v3, v1, v2, v3 offset:504
	s_wait_dscnt 0x0
	v_cmp_ne_u32_e32 vcc_lo, 0, v3
	v_cmp_le_i32_e64 s1, v3, v2
	s_and_b32 s1, vcc_lo, s1
	s_wait_alu 0xfffe
	s_and_b32 s1, exec_lo, s1
	s_wait_alu 0xfffe
	s_or_b32 s5, s1, s5
	s_wait_alu 0xfffe
	s_and_not1_b32 exec_lo, exec_lo, s5
	s_cbranch_execnz .LBB62_9
.LBB62_10:
	s_wait_alu 0xfffe
	s_or_b32 exec_lo, exec_lo, s4
	v_mov_b32_e32 v1, 0
	s_barrier_signal -1
	s_barrier_wait -1
	global_inv scope:SCOPE_SE
	ds_load_b32 v2, v1 offset:504
	s_and_saveexec_b32 s1, s0
	s_cbranch_execz .LBB62_12
; %bb.11:
	s_lshl_b64 s[4:5], s[16:17], 2
	s_wait_alu 0xfffe
	s_add_nc_u64 s[4:5], s[6:7], s[4:5]
	s_wait_dscnt 0x0
	global_store_b32 v1, v2, s[4:5]
.LBB62_12:
	s_wait_alu 0xfffe
	s_or_b32 exec_lo, exec_lo, s1
	s_wait_dscnt 0x0
	v_cmp_ne_u32_e32 vcc_lo, 0, v2
	s_mov_b32 s1, 0
	s_cbranch_vccnz .LBB62_264
; %bb.13:
	v_mov_b32_e32 v7, v171
                                        ; implicit-def: $vgpr3
                                        ; implicit-def: $vgpr5
	scratch_load_b64 v[1:2], v7, off
	s_wait_loadcnt 0x0
	v_cmp_ngt_f32_e64 s1, |v1|, |v2|
	s_wait_alu 0xfffe
	s_and_saveexec_b32 s4, s1
	s_wait_alu 0xfffe
	s_xor_b32 s1, exec_lo, s4
	s_cbranch_execz .LBB62_15
; %bb.14:
	v_div_scale_f32 v3, null, v2, v2, v1
	v_div_scale_f32 v6, vcc_lo, v1, v2, v1
	s_delay_alu instid0(VALU_DEP_2) | instskip(NEXT) | instid1(TRANS32_DEP_1)
	v_rcp_f32_e32 v4, v3
	v_fma_f32 v5, -v3, v4, 1.0
	s_delay_alu instid0(VALU_DEP_1) | instskip(NEXT) | instid1(VALU_DEP_1)
	v_fmac_f32_e32 v4, v5, v4
	v_mul_f32_e32 v5, v6, v4
	s_delay_alu instid0(VALU_DEP_1) | instskip(NEXT) | instid1(VALU_DEP_1)
	v_fma_f32 v8, -v3, v5, v6
	v_fmac_f32_e32 v5, v8, v4
	s_delay_alu instid0(VALU_DEP_1) | instskip(SKIP_1) | instid1(VALU_DEP_1)
	v_fma_f32 v3, -v3, v5, v6
	s_wait_alu 0xfffd
	v_div_fmas_f32 v3, v3, v4, v5
	s_delay_alu instid0(VALU_DEP_1) | instskip(NEXT) | instid1(VALU_DEP_1)
	v_div_fixup_f32 v3, v3, v2, v1
	v_fmac_f32_e32 v2, v1, v3
	s_delay_alu instid0(VALU_DEP_1) | instskip(NEXT) | instid1(VALU_DEP_1)
	v_div_scale_f32 v1, null, v2, v2, 1.0
	v_rcp_f32_e32 v4, v1
	s_delay_alu instid0(TRANS32_DEP_1) | instskip(NEXT) | instid1(VALU_DEP_1)
	v_fma_f32 v5, -v1, v4, 1.0
	v_fmac_f32_e32 v4, v5, v4
	v_div_scale_f32 v5, vcc_lo, 1.0, v2, 1.0
	s_delay_alu instid0(VALU_DEP_1) | instskip(NEXT) | instid1(VALU_DEP_1)
	v_mul_f32_e32 v6, v5, v4
	v_fma_f32 v8, -v1, v6, v5
	s_delay_alu instid0(VALU_DEP_1) | instskip(NEXT) | instid1(VALU_DEP_1)
	v_fmac_f32_e32 v6, v8, v4
	v_fma_f32 v1, -v1, v6, v5
	s_wait_alu 0xfffd
	s_delay_alu instid0(VALU_DEP_1) | instskip(NEXT) | instid1(VALU_DEP_1)
	v_div_fmas_f32 v1, v1, v4, v6
	v_div_fixup_f32 v1, v1, v2, 1.0
	s_delay_alu instid0(VALU_DEP_1) | instskip(SKIP_1) | instid1(VALU_DEP_2)
	v_mul_f32_e32 v3, v3, v1
	v_xor_b32_e32 v4, 0x80000000, v1
                                        ; implicit-def: $vgpr1_vgpr2
	v_xor_b32_e32 v5, 0x80000000, v3
.LBB62_15:
	s_wait_alu 0xfffe
	s_and_not1_saveexec_b32 s1, s1
	s_cbranch_execz .LBB62_17
; %bb.16:
	v_div_scale_f32 v3, null, v1, v1, v2
	v_div_scale_f32 v6, vcc_lo, v2, v1, v2
	s_delay_alu instid0(VALU_DEP_2) | instskip(NEXT) | instid1(TRANS32_DEP_1)
	v_rcp_f32_e32 v4, v3
	v_fma_f32 v5, -v3, v4, 1.0
	s_delay_alu instid0(VALU_DEP_1) | instskip(NEXT) | instid1(VALU_DEP_1)
	v_fmac_f32_e32 v4, v5, v4
	v_mul_f32_e32 v5, v6, v4
	s_delay_alu instid0(VALU_DEP_1) | instskip(NEXT) | instid1(VALU_DEP_1)
	v_fma_f32 v8, -v3, v5, v6
	v_fmac_f32_e32 v5, v8, v4
	s_delay_alu instid0(VALU_DEP_1) | instskip(SKIP_1) | instid1(VALU_DEP_1)
	v_fma_f32 v3, -v3, v5, v6
	s_wait_alu 0xfffd
	v_div_fmas_f32 v3, v3, v4, v5
	s_delay_alu instid0(VALU_DEP_1) | instskip(NEXT) | instid1(VALU_DEP_1)
	v_div_fixup_f32 v4, v3, v1, v2
	v_fmac_f32_e32 v1, v2, v4
	s_delay_alu instid0(VALU_DEP_1) | instskip(SKIP_1) | instid1(VALU_DEP_2)
	v_div_scale_f32 v2, null, v1, v1, 1.0
	v_div_scale_f32 v6, vcc_lo, 1.0, v1, 1.0
	v_rcp_f32_e32 v3, v2
	s_delay_alu instid0(TRANS32_DEP_1) | instskip(NEXT) | instid1(VALU_DEP_1)
	v_fma_f32 v5, -v2, v3, 1.0
	v_fmac_f32_e32 v3, v5, v3
	s_delay_alu instid0(VALU_DEP_1) | instskip(NEXT) | instid1(VALU_DEP_1)
	v_mul_f32_e32 v5, v6, v3
	v_fma_f32 v8, -v2, v5, v6
	s_delay_alu instid0(VALU_DEP_1) | instskip(NEXT) | instid1(VALU_DEP_1)
	v_fmac_f32_e32 v5, v8, v3
	v_fma_f32 v2, -v2, v5, v6
	s_wait_alu 0xfffd
	s_delay_alu instid0(VALU_DEP_1) | instskip(NEXT) | instid1(VALU_DEP_1)
	v_div_fmas_f32 v2, v2, v3, v5
	v_div_fixup_f32 v3, v2, v1, 1.0
	s_delay_alu instid0(VALU_DEP_1)
	v_xor_b32_e32 v5, 0x80000000, v3
	v_mul_f32_e64 v4, v4, -v3
.LBB62_17:
	s_wait_alu 0xfffe
	s_or_b32 exec_lo, exec_lo, s1
	scratch_store_b64 v7, v[3:4], off
	scratch_load_b64 v[2:3], off, off offset:8
	v_xor_b32_e32 v6, 0x80000000, v4
	v_or_b32_e32 v1, 0x200, v171
	s_wait_loadcnt 0x0
	ds_store_2addr_stride64_b64 v171, v[5:6], v[2:3] offset1:1
	s_wait_storecnt_dscnt 0x0
	s_barrier_signal -1
	s_barrier_wait -1
	global_inv scope:SCOPE_SE
	s_and_saveexec_b32 s1, s0
	s_cbranch_execz .LBB62_19
; %bb.18:
	scratch_load_b64 v[2:3], v7, off
	ds_load_b64 v[4:5], v1
	v_mov_b32_e32 v6, 0
	ds_load_b64 v[8:9], v6 offset:8
	s_wait_loadcnt_dscnt 0x1
	v_mul_f32_e32 v6, v4, v3
	v_mul_f32_e32 v3, v5, v3
	s_delay_alu instid0(VALU_DEP_2) | instskip(NEXT) | instid1(VALU_DEP_2)
	v_fmac_f32_e32 v6, v5, v2
	v_fma_f32 v2, v4, v2, -v3
	s_delay_alu instid0(VALU_DEP_2) | instskip(SKIP_1) | instid1(VALU_DEP_1)
	v_add_f32_e32 v4, 0, v6
	s_wait_dscnt 0x0
	v_dual_add_f32 v2, 0, v2 :: v_dual_mul_f32 v5, v4, v9
	s_delay_alu instid0(VALU_DEP_1) | instskip(NEXT) | instid1(VALU_DEP_1)
	v_mul_f32_e32 v3, v2, v9
	v_fmac_f32_e32 v3, v4, v8
	s_delay_alu instid0(VALU_DEP_3)
	v_fma_f32 v2, v2, v8, -v5
	scratch_store_b64 off, v[2:3], off offset:8
.LBB62_19:
	s_wait_alu 0xfffe
	s_or_b32 exec_lo, exec_lo, s1
	s_wait_loadcnt 0x0
	s_wait_storecnt 0x0
	s_barrier_signal -1
	s_barrier_wait -1
	global_inv scope:SCOPE_SE
	scratch_load_b64 v[2:3], off, off offset:16
	s_mov_b32 s1, exec_lo
	s_wait_loadcnt 0x0
	ds_store_b64 v1, v[2:3]
	s_wait_dscnt 0x0
	s_barrier_signal -1
	s_barrier_wait -1
	global_inv scope:SCOPE_SE
	v_cmpx_gt_u32_e32 2, v0
	s_cbranch_execz .LBB62_23
; %bb.20:
	scratch_load_b64 v[2:3], v7, off
	ds_load_b64 v[4:5], v1
	s_wait_loadcnt_dscnt 0x0
	v_mul_f32_e32 v6, v5, v3
	v_mul_f32_e32 v8, v4, v3
	s_delay_alu instid0(VALU_DEP_2) | instskip(NEXT) | instid1(VALU_DEP_1)
	v_fma_f32 v3, v4, v2, -v6
	v_dual_fmac_f32 v8, v5, v2 :: v_dual_add_f32 v3, 0, v3
	s_delay_alu instid0(VALU_DEP_1)
	v_add_f32_e32 v2, 0, v8
	s_and_saveexec_b32 s4, s0
	s_cbranch_execz .LBB62_22
; %bb.21:
	scratch_load_b64 v[4:5], off, off offset:8
	v_mov_b32_e32 v6, 0
	ds_load_b64 v[8:9], v6 offset:520
	s_wait_loadcnt_dscnt 0x0
	v_mul_f32_e32 v6, v8, v5
	v_mul_f32_e32 v5, v9, v5
	s_delay_alu instid0(VALU_DEP_2) | instskip(NEXT) | instid1(VALU_DEP_2)
	v_fmac_f32_e32 v6, v9, v4
	v_fma_f32 v4, v8, v4, -v5
	s_delay_alu instid0(VALU_DEP_1)
	v_dual_add_f32 v2, v2, v6 :: v_dual_add_f32 v3, v3, v4
.LBB62_22:
	s_wait_alu 0xfffe
	s_or_b32 exec_lo, exec_lo, s4
	v_mov_b32_e32 v4, 0
	ds_load_b64 v[4:5], v4 offset:16
	s_wait_dscnt 0x0
	v_mul_f32_e32 v8, v2, v5
	v_mul_f32_e32 v6, v3, v5
	s_delay_alu instid0(VALU_DEP_2) | instskip(NEXT) | instid1(VALU_DEP_2)
	v_fma_f32 v5, v3, v4, -v8
	v_fmac_f32_e32 v6, v2, v4
	scratch_store_b64 off, v[5:6], off offset:16
.LBB62_23:
	s_wait_alu 0xfffe
	s_or_b32 exec_lo, exec_lo, s1
	s_wait_loadcnt 0x0
	s_wait_storecnt 0x0
	s_barrier_signal -1
	s_barrier_wait -1
	global_inv scope:SCOPE_SE
	scratch_load_b64 v[3:4], off, off offset:24
	v_add_nc_u32_e32 v2, -1, v0
	s_mov_b32 s0, exec_lo
	s_wait_loadcnt 0x0
	ds_store_b64 v1, v[3:4]
	s_wait_dscnt 0x0
	s_barrier_signal -1
	s_barrier_wait -1
	global_inv scope:SCOPE_SE
	v_cmpx_gt_u32_e32 3, v0
	s_cbranch_execz .LBB62_27
; %bb.24:
	v_dual_mov_b32 v3, 0 :: v_dual_add_nc_u32 v4, -1, v0
	v_or_b32_e32 v5, 0x200, v171
	v_mov_b32_e32 v6, v171
	v_mov_b32_e32 v8, 0
	s_mov_b32 s1, 0
.LBB62_25:                              ; =>This Inner Loop Header: Depth=1
	scratch_load_b64 v[9:10], v6, off
	ds_load_b64 v[11:12], v5
	v_add_nc_u32_e32 v6, 8, v6
	v_add_nc_u32_e32 v4, 1, v4
	v_add_nc_u32_e32 v5, 8, v5
	s_delay_alu instid0(VALU_DEP_2)
	v_cmp_lt_u32_e32 vcc_lo, 1, v4
	s_wait_alu 0xfffe
	s_or_b32 s1, vcc_lo, s1
	s_wait_loadcnt_dscnt 0x0
	v_mul_f32_e32 v13, v12, v10
	v_mul_f32_e32 v10, v11, v10
	s_delay_alu instid0(VALU_DEP_2) | instskip(NEXT) | instid1(VALU_DEP_2)
	v_fma_f32 v11, v11, v9, -v13
	v_fmac_f32_e32 v10, v12, v9
	s_delay_alu instid0(VALU_DEP_1)
	v_dual_add_f32 v8, v8, v11 :: v_dual_add_f32 v3, v3, v10
	s_wait_alu 0xfffe
	s_and_not1_b32 exec_lo, exec_lo, s1
	s_cbranch_execnz .LBB62_25
; %bb.26:
	s_or_b32 exec_lo, exec_lo, s1
	v_mov_b32_e32 v4, 0
	ds_load_b64 v[4:5], v4 offset:24
	s_wait_dscnt 0x0
	v_mul_f32_e32 v9, v3, v5
	v_mul_f32_e32 v6, v8, v5
	s_delay_alu instid0(VALU_DEP_2) | instskip(NEXT) | instid1(VALU_DEP_2)
	v_fma_f32 v5, v8, v4, -v9
	v_fmac_f32_e32 v6, v3, v4
	scratch_store_b64 off, v[5:6], off offset:24
.LBB62_27:
	s_wait_alu 0xfffe
	s_or_b32 exec_lo, exec_lo, s0
	s_wait_loadcnt 0x0
	s_wait_storecnt 0x0
	s_barrier_signal -1
	s_barrier_wait -1
	global_inv scope:SCOPE_SE
	scratch_load_b64 v[3:4], off, off offset:32
	s_mov_b32 s0, exec_lo
	s_wait_loadcnt 0x0
	ds_store_b64 v1, v[3:4]
	s_wait_dscnt 0x0
	s_barrier_signal -1
	s_barrier_wait -1
	global_inv scope:SCOPE_SE
	v_cmpx_gt_u32_e32 4, v0
	s_cbranch_execz .LBB62_31
; %bb.28:
	v_dual_mov_b32 v3, 0 :: v_dual_add_nc_u32 v4, -1, v0
	v_or_b32_e32 v5, 0x200, v171
	v_mov_b32_e32 v6, v171
	v_mov_b32_e32 v8, 0
	s_mov_b32 s1, 0
.LBB62_29:                              ; =>This Inner Loop Header: Depth=1
	scratch_load_b64 v[9:10], v6, off
	ds_load_b64 v[11:12], v5
	v_add_nc_u32_e32 v6, 8, v6
	v_add_nc_u32_e32 v4, 1, v4
	v_add_nc_u32_e32 v5, 8, v5
	s_delay_alu instid0(VALU_DEP_2)
	v_cmp_lt_u32_e32 vcc_lo, 2, v4
	s_wait_alu 0xfffe
	s_or_b32 s1, vcc_lo, s1
	s_wait_loadcnt_dscnt 0x0
	v_mul_f32_e32 v13, v12, v10
	v_mul_f32_e32 v10, v11, v10
	s_delay_alu instid0(VALU_DEP_2) | instskip(NEXT) | instid1(VALU_DEP_2)
	v_fma_f32 v11, v11, v9, -v13
	v_fmac_f32_e32 v10, v12, v9
	s_delay_alu instid0(VALU_DEP_1)
	v_dual_add_f32 v8, v8, v11 :: v_dual_add_f32 v3, v3, v10
	s_wait_alu 0xfffe
	s_and_not1_b32 exec_lo, exec_lo, s1
	s_cbranch_execnz .LBB62_29
; %bb.30:
	s_or_b32 exec_lo, exec_lo, s1
	v_mov_b32_e32 v4, 0
	ds_load_b64 v[4:5], v4 offset:32
	s_wait_dscnt 0x0
	v_mul_f32_e32 v9, v3, v5
	v_mul_f32_e32 v6, v8, v5
	s_delay_alu instid0(VALU_DEP_2) | instskip(NEXT) | instid1(VALU_DEP_2)
	v_fma_f32 v5, v8, v4, -v9
	v_fmac_f32_e32 v6, v3, v4
	scratch_store_b64 off, v[5:6], off offset:32
.LBB62_31:
	s_wait_alu 0xfffe
	s_or_b32 exec_lo, exec_lo, s0
	s_wait_loadcnt 0x0
	s_wait_storecnt 0x0
	s_barrier_signal -1
	s_barrier_wait -1
	global_inv scope:SCOPE_SE
	scratch_load_b64 v[3:4], off, off offset:40
	;; [unrolled: 56-line block ×19, first 2 shown]
	s_mov_b32 s0, exec_lo
	s_wait_loadcnt 0x0
	ds_store_b64 v1, v[3:4]
	s_wait_dscnt 0x0
	s_barrier_signal -1
	s_barrier_wait -1
	global_inv scope:SCOPE_SE
	v_cmpx_gt_u32_e32 22, v0
	s_cbranch_execz .LBB62_103
; %bb.100:
	v_dual_mov_b32 v3, 0 :: v_dual_add_nc_u32 v4, -1, v0
	v_or_b32_e32 v5, 0x200, v171
	v_mov_b32_e32 v6, v171
	v_mov_b32_e32 v8, 0
	s_mov_b32 s1, 0
.LBB62_101:                             ; =>This Inner Loop Header: Depth=1
	scratch_load_b64 v[9:10], v6, off
	ds_load_b64 v[11:12], v5
	v_add_nc_u32_e32 v6, 8, v6
	v_add_nc_u32_e32 v4, 1, v4
	v_add_nc_u32_e32 v5, 8, v5
	s_delay_alu instid0(VALU_DEP_2)
	v_cmp_lt_u32_e32 vcc_lo, 20, v4
	s_wait_alu 0xfffe
	s_or_b32 s1, vcc_lo, s1
	s_wait_loadcnt_dscnt 0x0
	v_mul_f32_e32 v13, v12, v10
	v_mul_f32_e32 v10, v11, v10
	s_delay_alu instid0(VALU_DEP_2) | instskip(NEXT) | instid1(VALU_DEP_2)
	v_fma_f32 v11, v11, v9, -v13
	v_fmac_f32_e32 v10, v12, v9
	s_delay_alu instid0(VALU_DEP_1)
	v_dual_add_f32 v8, v8, v11 :: v_dual_add_f32 v3, v3, v10
	s_wait_alu 0xfffe
	s_and_not1_b32 exec_lo, exec_lo, s1
	s_cbranch_execnz .LBB62_101
; %bb.102:
	s_or_b32 exec_lo, exec_lo, s1
	v_mov_b32_e32 v4, 0
	ds_load_b64 v[4:5], v4 offset:176
	s_wait_dscnt 0x0
	v_mul_f32_e32 v9, v3, v5
	v_mul_f32_e32 v6, v8, v5
	s_delay_alu instid0(VALU_DEP_2) | instskip(NEXT) | instid1(VALU_DEP_2)
	v_fma_f32 v5, v8, v4, -v9
	v_fmac_f32_e32 v6, v3, v4
	scratch_store_b64 off, v[5:6], off offset:176
.LBB62_103:
	s_wait_alu 0xfffe
	s_or_b32 exec_lo, exec_lo, s0
	s_wait_loadcnt 0x0
	s_wait_storecnt 0x0
	s_barrier_signal -1
	s_barrier_wait -1
	global_inv scope:SCOPE_SE
	scratch_load_b64 v[3:4], off, off offset:184
	s_mov_b32 s0, exec_lo
	s_wait_loadcnt 0x0
	ds_store_b64 v1, v[3:4]
	s_wait_dscnt 0x0
	s_barrier_signal -1
	s_barrier_wait -1
	global_inv scope:SCOPE_SE
	v_cmpx_gt_u32_e32 23, v0
	s_cbranch_execz .LBB62_107
; %bb.104:
	v_dual_mov_b32 v3, 0 :: v_dual_add_nc_u32 v4, -1, v0
	v_or_b32_e32 v5, 0x200, v171
	v_mov_b32_e32 v6, v171
	v_mov_b32_e32 v8, 0
	s_mov_b32 s1, 0
.LBB62_105:                             ; =>This Inner Loop Header: Depth=1
	scratch_load_b64 v[9:10], v6, off
	ds_load_b64 v[11:12], v5
	v_add_nc_u32_e32 v6, 8, v6
	v_add_nc_u32_e32 v4, 1, v4
	v_add_nc_u32_e32 v5, 8, v5
	s_delay_alu instid0(VALU_DEP_2)
	v_cmp_lt_u32_e32 vcc_lo, 21, v4
	s_wait_alu 0xfffe
	s_or_b32 s1, vcc_lo, s1
	s_wait_loadcnt_dscnt 0x0
	v_mul_f32_e32 v13, v12, v10
	v_mul_f32_e32 v10, v11, v10
	s_delay_alu instid0(VALU_DEP_2) | instskip(NEXT) | instid1(VALU_DEP_2)
	v_fma_f32 v11, v11, v9, -v13
	v_fmac_f32_e32 v10, v12, v9
	s_delay_alu instid0(VALU_DEP_1)
	v_dual_add_f32 v8, v8, v11 :: v_dual_add_f32 v3, v3, v10
	s_wait_alu 0xfffe
	s_and_not1_b32 exec_lo, exec_lo, s1
	s_cbranch_execnz .LBB62_105
; %bb.106:
	s_or_b32 exec_lo, exec_lo, s1
	v_mov_b32_e32 v4, 0
	ds_load_b64 v[4:5], v4 offset:184
	s_wait_dscnt 0x0
	v_mul_f32_e32 v9, v3, v5
	v_mul_f32_e32 v6, v8, v5
	s_delay_alu instid0(VALU_DEP_2) | instskip(NEXT) | instid1(VALU_DEP_2)
	v_fma_f32 v5, v8, v4, -v9
	v_fmac_f32_e32 v6, v3, v4
	scratch_store_b64 off, v[5:6], off offset:184
.LBB62_107:
	s_wait_alu 0xfffe
	s_or_b32 exec_lo, exec_lo, s0
	s_wait_loadcnt 0x0
	s_wait_storecnt 0x0
	s_barrier_signal -1
	s_barrier_wait -1
	global_inv scope:SCOPE_SE
	scratch_load_b64 v[3:4], off, off offset:192
	;; [unrolled: 56-line block ×40, first 2 shown]
	s_mov_b32 s0, exec_lo
	s_wait_loadcnt 0x0
	ds_store_b64 v1, v[3:4]
	s_wait_dscnt 0x0
	s_barrier_signal -1
	s_barrier_wait -1
	global_inv scope:SCOPE_SE
	v_cmpx_ne_u32_e32 62, v0
	s_cbranch_execz .LBB62_263
; %bb.260:
	v_dual_mov_b32 v3, 0 :: v_dual_mov_b32 v4, 0
	s_mov_b32 s1, 0
.LBB62_261:                             ; =>This Inner Loop Header: Depth=1
	scratch_load_b64 v[5:6], v7, off
	ds_load_b64 v[8:9], v1
	v_add_nc_u32_e32 v2, 1, v2
	v_add_nc_u32_e32 v1, 8, v1
	;; [unrolled: 1-line block ×3, first 2 shown]
	s_delay_alu instid0(VALU_DEP_3)
	v_cmp_lt_u32_e32 vcc_lo, 60, v2
	s_wait_alu 0xfffe
	s_or_b32 s1, vcc_lo, s1
	s_wait_loadcnt_dscnt 0x0
	v_mul_f32_e32 v10, v9, v6
	v_mul_f32_e32 v6, v8, v6
	s_delay_alu instid0(VALU_DEP_2) | instskip(NEXT) | instid1(VALU_DEP_2)
	v_fma_f32 v8, v8, v5, -v10
	v_fmac_f32_e32 v6, v9, v5
	s_delay_alu instid0(VALU_DEP_1)
	v_dual_add_f32 v4, v4, v8 :: v_dual_add_f32 v3, v3, v6
	s_wait_alu 0xfffe
	s_and_not1_b32 exec_lo, exec_lo, s1
	s_cbranch_execnz .LBB62_261
; %bb.262:
	s_or_b32 exec_lo, exec_lo, s1
	v_mov_b32_e32 v1, 0
	ds_load_b64 v[1:2], v1 offset:496
	s_wait_dscnt 0x0
	v_mul_f32_e32 v6, v3, v2
	v_mul_f32_e32 v5, v4, v2
	s_delay_alu instid0(VALU_DEP_2) | instskip(NEXT) | instid1(VALU_DEP_2)
	v_fma_f32 v4, v4, v1, -v6
	v_fmac_f32_e32 v5, v3, v1
	scratch_store_b64 off, v[4:5], off offset:496
.LBB62_263:
	s_wait_alu 0xfffe
	s_or_b32 exec_lo, exec_lo, s0
	s_mov_b32 s1, -1
	s_wait_loadcnt 0x0
	s_wait_storecnt 0x0
	s_barrier_signal -1
	s_barrier_wait -1
	global_inv scope:SCOPE_SE
.LBB62_264:
	s_wait_alu 0xfffe
	s_and_b32 vcc_lo, exec_lo, s1
	s_wait_alu 0xfffe
	s_cbranch_vccz .LBB62_266
; %bb.265:
	v_mov_b32_e32 v1, 0
	s_lshl_b64 s[0:1], s[16:17], 2
	s_wait_alu 0xfffe
	s_add_nc_u64 s[0:1], s[6:7], s[0:1]
	global_load_b32 v1, v1, s[0:1]
	s_wait_loadcnt 0x0
	v_cmp_ne_u32_e32 vcc_lo, 0, v1
	s_cbranch_vccz .LBB62_267
.LBB62_266:
	s_nop 0
	s_sendmsg sendmsg(MSG_DEALLOC_VGPRS)
	s_endpgm
.LBB62_267:
	v_lshl_or_b32 v35, v0, 3, 0x200
	s_mov_b32 s0, exec_lo
	v_cmpx_eq_u32_e32 62, v0
	s_cbranch_execz .LBB62_269
; %bb.268:
	scratch_load_b64 v[1:2], off, off offset:488
	v_mov_b32_e32 v3, 0
	s_delay_alu instid0(VALU_DEP_1)
	v_mov_b32_e32 v4, v3
	scratch_store_b64 off, v[3:4], off offset:488
	s_wait_loadcnt 0x0
	ds_store_b64 v35, v[1:2]
.LBB62_269:
	s_wait_alu 0xfffe
	s_or_b32 exec_lo, exec_lo, s0
	s_wait_storecnt_dscnt 0x0
	s_barrier_signal -1
	s_barrier_wait -1
	global_inv scope:SCOPE_SE
	s_clause 0x1
	scratch_load_b64 v[2:3], off, off offset:496
	scratch_load_b64 v[4:5], off, off offset:488
	v_mov_b32_e32 v1, 0
	s_mov_b32 s0, exec_lo
	ds_load_b64 v[6:7], v1 offset:1008
	s_wait_loadcnt_dscnt 0x100
	v_mul_f32_e32 v8, v7, v3
	v_mul_f32_e32 v3, v6, v3
	s_delay_alu instid0(VALU_DEP_2) | instskip(NEXT) | instid1(VALU_DEP_2)
	v_fma_f32 v6, v6, v2, -v8
	v_fmac_f32_e32 v3, v7, v2
	s_delay_alu instid0(VALU_DEP_1) | instskip(SKIP_1) | instid1(VALU_DEP_1)
	v_dual_add_f32 v2, 0, v6 :: v_dual_add_f32 v3, 0, v3
	s_wait_loadcnt 0x0
	v_dual_sub_f32 v2, v4, v2 :: v_dual_sub_f32 v3, v5, v3
	scratch_store_b64 off, v[2:3], off offset:488
	v_cmpx_lt_u32_e32 60, v0
	s_cbranch_execz .LBB62_271
; %bb.270:
	scratch_load_b64 v[3:4], off, off offset:480
	v_mov_b32_e32 v2, v1
	scratch_store_b64 off, v[1:2], off offset:480
	s_wait_loadcnt 0x0
	ds_store_b64 v35, v[3:4]
.LBB62_271:
	s_wait_alu 0xfffe
	s_or_b32 exec_lo, exec_lo, s0
	s_wait_storecnt_dscnt 0x0
	s_barrier_signal -1
	s_barrier_wait -1
	global_inv scope:SCOPE_SE
	s_clause 0x1
	scratch_load_b128 v[2:5], off, off offset:488
	scratch_load_b64 v[10:11], off, off offset:480
	ds_load_2addr_b64 v[6:9], v1 offset0:125 offset1:126
	s_mov_b32 s0, exec_lo
	s_wait_loadcnt_dscnt 0x100
	v_dual_mul_f32 v1, v7, v3 :: v_dual_mul_f32 v12, v8, v5
	v_mul_f32_e32 v3, v6, v3
	s_delay_alu instid0(VALU_DEP_2) | instskip(NEXT) | instid1(VALU_DEP_2)
	v_fma_f32 v1, v6, v2, -v1
	v_dual_fmac_f32 v12, v9, v4 :: v_dual_fmac_f32 v3, v7, v2
	s_delay_alu instid0(VALU_DEP_2) | instskip(NEXT) | instid1(VALU_DEP_2)
	v_add_f32_e32 v1, 0, v1
	v_add_f32_e32 v3, 0, v3
	v_mul_f32_e32 v5, v9, v5
	s_delay_alu instid0(VALU_DEP_1) | instskip(NEXT) | instid1(VALU_DEP_1)
	v_fma_f32 v2, v8, v4, -v5
	v_dual_add_f32 v1, v1, v2 :: v_dual_add_f32 v2, v3, v12
	s_wait_loadcnt 0x0
	s_delay_alu instid0(VALU_DEP_1)
	v_dual_sub_f32 v1, v10, v1 :: v_dual_sub_f32 v2, v11, v2
	scratch_store_b64 off, v[1:2], off offset:480
	v_cmpx_lt_u32_e32 59, v0
	s_cbranch_execz .LBB62_273
; %bb.272:
	scratch_load_b64 v[1:2], off, off offset:472
	v_mov_b32_e32 v3, 0
	s_delay_alu instid0(VALU_DEP_1)
	v_mov_b32_e32 v4, v3
	scratch_store_b64 off, v[3:4], off offset:472
	s_wait_loadcnt 0x0
	ds_store_b64 v35, v[1:2]
.LBB62_273:
	s_wait_alu 0xfffe
	s_or_b32 exec_lo, exec_lo, s0
	s_wait_storecnt_dscnt 0x0
	s_barrier_signal -1
	s_barrier_wait -1
	global_inv scope:SCOPE_SE
	s_clause 0x2
	scratch_load_b128 v[2:5], off, off offset:480
	scratch_load_b64 v[10:11], off, off offset:496
	scratch_load_b64 v[12:13], off, off offset:472
	v_mov_b32_e32 v1, 0
	ds_load_b128 v[6:9], v1 offset:992
	ds_load_b64 v[14:15], v1 offset:1008
	s_mov_b32 s0, exec_lo
	s_wait_loadcnt_dscnt 0x201
	v_dual_mul_f32 v16, v7, v3 :: v_dual_mul_f32 v17, v8, v5
	s_wait_loadcnt_dscnt 0x100
	v_mul_f32_e32 v18, v14, v11
	v_mul_f32_e32 v3, v6, v3
	;; [unrolled: 1-line block ×3, first 2 shown]
	v_fma_f32 v6, v6, v2, -v16
	s_delay_alu instid0(VALU_DEP_4) | instskip(NEXT) | instid1(VALU_DEP_4)
	v_fmac_f32_e32 v18, v15, v10
	v_fmac_f32_e32 v3, v7, v2
	v_mul_f32_e32 v2, v15, v11
	s_delay_alu instid0(VALU_DEP_1) | instskip(SKIP_3) | instid1(VALU_DEP_1)
	v_fma_f32 v2, v14, v10, -v2
	v_fmac_f32_e32 v17, v9, v4
	v_fma_f32 v4, v8, v4, -v5
	v_add_f32_e32 v5, 0, v6
	v_add_f32_e32 v4, v5, v4
	s_delay_alu instid0(VALU_DEP_1) | instskip(SKIP_1) | instid1(VALU_DEP_1)
	v_dual_add_f32 v2, v4, v2 :: v_dual_add_f32 v3, 0, v3
	s_wait_loadcnt 0x0
	v_dual_sub_f32 v2, v12, v2 :: v_dual_add_f32 v3, v3, v17
	s_delay_alu instid0(VALU_DEP_1) | instskip(NEXT) | instid1(VALU_DEP_1)
	v_add_f32_e32 v3, v3, v18
	v_sub_f32_e32 v3, v13, v3
	scratch_store_b64 off, v[2:3], off offset:472
	v_cmpx_lt_u32_e32 58, v0
	s_cbranch_execz .LBB62_275
; %bb.274:
	scratch_load_b64 v[3:4], off, off offset:464
	v_mov_b32_e32 v2, v1
	scratch_store_b64 off, v[1:2], off offset:464
	s_wait_loadcnt 0x0
	ds_store_b64 v35, v[3:4]
.LBB62_275:
	s_wait_alu 0xfffe
	s_or_b32 exec_lo, exec_lo, s0
	s_wait_storecnt_dscnt 0x0
	s_barrier_signal -1
	s_barrier_wait -1
	global_inv scope:SCOPE_SE
	s_clause 0x2
	scratch_load_b128 v[2:5], off, off offset:472
	scratch_load_b128 v[6:9], off, off offset:488
	scratch_load_b64 v[18:19], off, off offset:464
	ds_load_2addr_b64 v[10:13], v1 offset0:123 offset1:124
	ds_load_2addr_b64 v[14:17], v1 offset0:125 offset1:126
	s_mov_b32 s0, exec_lo
	s_wait_loadcnt_dscnt 0x201
	v_dual_mul_f32 v1, v10, v3 :: v_dual_mul_f32 v20, v12, v5
	s_wait_loadcnt_dscnt 0x100
	v_dual_mul_f32 v3, v11, v3 :: v_dual_mul_f32 v22, v16, v9
	v_mul_f32_e32 v5, v13, v5
	s_delay_alu instid0(VALU_DEP_3) | instskip(NEXT) | instid1(VALU_DEP_3)
	v_dual_mul_f32 v21, v14, v7 :: v_dual_fmac_f32 v20, v13, v4
	v_fma_f32 v3, v10, v2, -v3
	s_delay_alu instid0(VALU_DEP_4) | instskip(SKIP_2) | instid1(VALU_DEP_4)
	v_dual_fmac_f32 v1, v11, v2 :: v_dual_fmac_f32 v22, v17, v8
	v_mul_f32_e32 v2, v15, v7
	v_fma_f32 v4, v12, v4, -v5
	v_add_f32_e32 v3, 0, v3
	v_fmac_f32_e32 v21, v15, v6
	s_delay_alu instid0(VALU_DEP_4) | instskip(NEXT) | instid1(VALU_DEP_3)
	v_fma_f32 v2, v14, v6, -v2
	v_add_f32_e32 v3, v3, v4
	s_delay_alu instid0(VALU_DEP_1) | instskip(NEXT) | instid1(VALU_DEP_1)
	v_dual_add_f32 v1, 0, v1 :: v_dual_add_f32 v2, v3, v2
	v_add_f32_e32 v1, v1, v20
	s_delay_alu instid0(VALU_DEP_1) | instskip(NEXT) | instid1(VALU_DEP_1)
	v_add_f32_e32 v1, v1, v21
	v_add_f32_e32 v3, v1, v22
	v_mul_f32_e32 v5, v17, v9
	s_delay_alu instid0(VALU_DEP_1) | instskip(NEXT) | instid1(VALU_DEP_1)
	v_fma_f32 v4, v16, v8, -v5
	v_add_f32_e32 v2, v2, v4
	s_wait_loadcnt 0x0
	s_delay_alu instid0(VALU_DEP_1)
	v_dual_sub_f32 v1, v18, v2 :: v_dual_sub_f32 v2, v19, v3
	scratch_store_b64 off, v[1:2], off offset:464
	v_cmpx_lt_u32_e32 57, v0
	s_cbranch_execz .LBB62_277
; %bb.276:
	scratch_load_b64 v[1:2], off, off offset:456
	v_mov_b32_e32 v3, 0
	s_delay_alu instid0(VALU_DEP_1)
	v_mov_b32_e32 v4, v3
	scratch_store_b64 off, v[3:4], off offset:456
	s_wait_loadcnt 0x0
	ds_store_b64 v35, v[1:2]
.LBB62_277:
	s_wait_alu 0xfffe
	s_or_b32 exec_lo, exec_lo, s0
	s_wait_storecnt_dscnt 0x0
	s_barrier_signal -1
	s_barrier_wait -1
	global_inv scope:SCOPE_SE
	s_clause 0x3
	scratch_load_b128 v[2:5], off, off offset:464
	scratch_load_b128 v[6:9], off, off offset:480
	scratch_load_b64 v[18:19], off, off offset:496
	scratch_load_b64 v[20:21], off, off offset:456
	v_mov_b32_e32 v1, 0
	ds_load_b128 v[10:13], v1 offset:976
	ds_load_b128 v[14:17], v1 offset:992
	ds_load_b64 v[22:23], v1 offset:1008
	s_mov_b32 s0, exec_lo
	s_wait_loadcnt_dscnt 0x302
	v_dual_mul_f32 v24, v10, v3 :: v_dual_mul_f32 v25, v12, v5
	s_wait_loadcnt_dscnt 0x201
	v_dual_mul_f32 v26, v14, v7 :: v_dual_mul_f32 v5, v13, v5
	;; [unrolled: 2-line block ×3, first 2 shown]
	v_dual_fmac_f32 v24, v11, v2 :: v_dual_fmac_f32 v25, v13, v4
	s_delay_alu instid0(VALU_DEP_3) | instskip(SKIP_1) | instid1(VALU_DEP_3)
	v_fmac_f32_e32 v26, v15, v6
	v_fma_f32 v4, v12, v4, -v5
	v_dual_fmac_f32 v28, v23, v18 :: v_dual_add_f32 v5, 0, v24
	v_mul_f32_e32 v3, v11, v3
	s_delay_alu instid0(VALU_DEP_1) | instskip(SKIP_1) | instid1(VALU_DEP_2)
	v_fma_f32 v3, v10, v2, -v3
	v_dual_mul_f32 v2, v15, v7 :: v_dual_mul_f32 v7, v17, v9
	v_add_f32_e32 v3, 0, v3
	s_delay_alu instid0(VALU_DEP_2) | instskip(NEXT) | instid1(VALU_DEP_3)
	v_fma_f32 v2, v14, v6, -v2
	v_fma_f32 v6, v16, v8, -v7
	s_delay_alu instid0(VALU_DEP_3) | instskip(NEXT) | instid1(VALU_DEP_1)
	v_add_f32_e32 v3, v3, v4
	v_add_f32_e32 v2, v3, v2
	;; [unrolled: 1-line block ×3, first 2 shown]
	s_delay_alu instid0(VALU_DEP_2) | instskip(NEXT) | instid1(VALU_DEP_2)
	v_dual_add_f32 v2, v2, v6 :: v_dual_mul_f32 v5, v23, v19
	v_add_f32_e32 v3, v4, v26
	s_delay_alu instid0(VALU_DEP_2) | instskip(NEXT) | instid1(VALU_DEP_1)
	v_fma_f32 v4, v22, v18, -v5
	v_add_f32_e32 v2, v2, v4
	s_wait_loadcnt 0x0
	s_delay_alu instid0(VALU_DEP_1) | instskip(NEXT) | instid1(VALU_DEP_1)
	v_dual_fmac_f32 v27, v17, v8 :: v_dual_sub_f32 v2, v20, v2
	v_add_f32_e32 v3, v3, v27
	s_delay_alu instid0(VALU_DEP_1) | instskip(NEXT) | instid1(VALU_DEP_1)
	v_add_f32_e32 v3, v3, v28
	v_sub_f32_e32 v3, v21, v3
	scratch_store_b64 off, v[2:3], off offset:456
	v_cmpx_lt_u32_e32 56, v0
	s_cbranch_execz .LBB62_279
; %bb.278:
	scratch_load_b64 v[3:4], off, off offset:448
	v_mov_b32_e32 v2, v1
	scratch_store_b64 off, v[1:2], off offset:448
	s_wait_loadcnt 0x0
	ds_store_b64 v35, v[3:4]
.LBB62_279:
	s_wait_alu 0xfffe
	s_or_b32 exec_lo, exec_lo, s0
	s_wait_storecnt_dscnt 0x0
	s_barrier_signal -1
	s_barrier_wait -1
	global_inv scope:SCOPE_SE
	s_clause 0x3
	scratch_load_b128 v[2:5], off, off offset:456
	scratch_load_b128 v[6:9], off, off offset:472
	scratch_load_b128 v[10:13], off, off offset:488
	scratch_load_b64 v[26:27], off, off offset:448
	ds_load_2addr_b64 v[14:17], v1 offset0:121 offset1:122
	ds_load_2addr_b64 v[18:21], v1 offset0:123 offset1:124
	;; [unrolled: 1-line block ×3, first 2 shown]
	s_mov_b32 s0, exec_lo
	s_wait_loadcnt_dscnt 0x302
	v_dual_mul_f32 v1, v14, v3 :: v_dual_mul_f32 v28, v16, v5
	s_wait_loadcnt_dscnt 0x100
	v_dual_mul_f32 v3, v15, v3 :: v_dual_mul_f32 v32, v24, v13
	v_dual_mul_f32 v29, v18, v7 :: v_dual_mul_f32 v30, v20, v9
	v_mul_f32_e32 v5, v17, v5
	s_delay_alu instid0(VALU_DEP_3)
	v_fma_f32 v3, v14, v2, -v3
	v_fmac_f32_e32 v1, v15, v2
	v_mul_f32_e32 v2, v19, v7
	v_dual_mul_f32 v31, v22, v11 :: v_dual_fmac_f32 v28, v17, v4
	v_fma_f32 v4, v16, v4, -v5
	v_fmac_f32_e32 v30, v21, v8
	s_delay_alu instid0(VALU_DEP_4) | instskip(SKIP_4) | instid1(VALU_DEP_4)
	v_fma_f32 v2, v18, v6, -v2
	v_mul_f32_e32 v5, v21, v9
	v_add_f32_e32 v1, 0, v1
	v_dual_fmac_f32 v29, v19, v6 :: v_dual_fmac_f32 v32, v25, v12
	v_fmac_f32_e32 v31, v23, v10
	v_fma_f32 v5, v20, v8, -v5
	v_add_f32_e32 v3, 0, v3
	s_delay_alu instid0(VALU_DEP_1) | instskip(SKIP_1) | instid1(VALU_DEP_2)
	v_add_f32_e32 v3, v3, v4
	v_mul_f32_e32 v4, v23, v11
	v_add_f32_e32 v2, v3, v2
	s_delay_alu instid0(VALU_DEP_2) | instskip(NEXT) | instid1(VALU_DEP_2)
	v_fma_f32 v4, v22, v10, -v4
	v_add_f32_e32 v2, v2, v5
	s_delay_alu instid0(VALU_DEP_1) | instskip(NEXT) | instid1(VALU_DEP_1)
	v_dual_mul_f32 v3, v25, v13 :: v_dual_add_f32 v2, v2, v4
	v_fma_f32 v3, v24, v12, -v3
	s_delay_alu instid0(VALU_DEP_1) | instskip(NEXT) | instid1(VALU_DEP_1)
	v_dual_add_f32 v1, v1, v28 :: v_dual_add_f32 v2, v2, v3
	v_add_f32_e32 v1, v1, v29
	s_delay_alu instid0(VALU_DEP_1) | instskip(NEXT) | instid1(VALU_DEP_1)
	v_add_f32_e32 v1, v1, v30
	v_add_f32_e32 v1, v1, v31
	s_delay_alu instid0(VALU_DEP_1) | instskip(SKIP_1) | instid1(VALU_DEP_1)
	v_add_f32_e32 v3, v1, v32
	s_wait_loadcnt 0x0
	v_dual_sub_f32 v1, v26, v2 :: v_dual_sub_f32 v2, v27, v3
	scratch_store_b64 off, v[1:2], off offset:448
	v_cmpx_lt_u32_e32 55, v0
	s_cbranch_execz .LBB62_281
; %bb.280:
	scratch_load_b64 v[1:2], off, off offset:440
	v_mov_b32_e32 v3, 0
	s_delay_alu instid0(VALU_DEP_1)
	v_mov_b32_e32 v4, v3
	scratch_store_b64 off, v[3:4], off offset:440
	s_wait_loadcnt 0x0
	ds_store_b64 v35, v[1:2]
.LBB62_281:
	s_wait_alu 0xfffe
	s_or_b32 exec_lo, exec_lo, s0
	s_wait_storecnt_dscnt 0x0
	s_barrier_signal -1
	s_barrier_wait -1
	global_inv scope:SCOPE_SE
	s_clause 0x4
	scratch_load_b128 v[2:5], off, off offset:448
	scratch_load_b128 v[6:9], off, off offset:464
	;; [unrolled: 1-line block ×3, first 2 shown]
	scratch_load_b64 v[26:27], off, off offset:496
	scratch_load_b64 v[28:29], off, off offset:440
	v_mov_b32_e32 v1, 0
	ds_load_b128 v[14:17], v1 offset:960
	ds_load_b128 v[18:21], v1 offset:976
	;; [unrolled: 1-line block ×3, first 2 shown]
	ds_load_b64 v[30:31], v1 offset:1008
	s_mov_b32 s0, exec_lo
	s_wait_loadcnt_dscnt 0x403
	v_mul_f32_e32 v32, v14, v3
	s_wait_loadcnt_dscnt 0x302
	v_dual_mul_f32 v36, v20, v9 :: v_dual_mul_f32 v3, v15, v3
	v_dual_mul_f32 v33, v16, v5 :: v_dual_mul_f32 v34, v18, v7
	s_wait_loadcnt_dscnt 0x100
	v_dual_mul_f32 v39, v30, v27 :: v_dual_fmac_f32 v32, v15, v2
	v_mul_f32_e32 v5, v17, v5
	v_fma_f32 v3, v14, v2, -v3
	v_dual_mul_f32 v2, v19, v7 :: v_dual_fmac_f32 v33, v17, v4
	v_fmac_f32_e32 v34, v19, v6
	s_delay_alu instid0(VALU_DEP_4) | instskip(SKIP_1) | instid1(VALU_DEP_4)
	v_fma_f32 v4, v16, v4, -v5
	v_dual_mul_f32 v37, v22, v11 :: v_dual_mul_f32 v38, v24, v13
	v_fma_f32 v2, v18, v6, -v2
	v_add_f32_e32 v5, 0, v32
	v_dual_add_f32 v3, 0, v3 :: v_dual_fmac_f32 v36, v21, v8
	s_delay_alu instid0(VALU_DEP_4) | instskip(NEXT) | instid1(VALU_DEP_2)
	v_dual_fmac_f32 v37, v23, v10 :: v_dual_fmac_f32 v38, v25, v12
	v_add_f32_e32 v3, v3, v4
	s_delay_alu instid0(VALU_DEP_1) | instskip(SKIP_1) | instid1(VALU_DEP_2)
	v_dual_add_f32 v2, v3, v2 :: v_dual_mul_f32 v7, v21, v9
	v_dual_add_f32 v4, v5, v33 :: v_dual_mul_f32 v5, v23, v11
	v_fma_f32 v6, v20, v8, -v7
	s_delay_alu instid0(VALU_DEP_2) | instskip(NEXT) | instid1(VALU_DEP_3)
	v_dual_add_f32 v3, v4, v34 :: v_dual_mul_f32 v4, v25, v13
	v_fma_f32 v5, v22, v10, -v5
	s_delay_alu instid0(VALU_DEP_3) | instskip(SKIP_1) | instid1(VALU_DEP_4)
	v_add_f32_e32 v2, v2, v6
	v_mul_f32_e32 v6, v31, v27
	v_add_f32_e32 v3, v3, v36
	v_fma_f32 v4, v24, v12, -v4
	s_delay_alu instid0(VALU_DEP_4) | instskip(NEXT) | instid1(VALU_DEP_4)
	v_add_f32_e32 v2, v2, v5
	v_fma_f32 v5, v30, v26, -v6
	s_delay_alu instid0(VALU_DEP_2) | instskip(SKIP_1) | instid1(VALU_DEP_2)
	v_dual_add_f32 v3, v3, v37 :: v_dual_add_f32 v2, v2, v4
	v_fmac_f32_e32 v39, v31, v26
	v_dual_add_f32 v3, v3, v38 :: v_dual_add_f32 v2, v2, v5
	s_wait_loadcnt 0x0
	s_delay_alu instid0(VALU_DEP_1) | instskip(NEXT) | instid1(VALU_DEP_1)
	v_dual_add_f32 v3, v3, v39 :: v_dual_sub_f32 v2, v28, v2
	v_sub_f32_e32 v3, v29, v3
	scratch_store_b64 off, v[2:3], off offset:440
	v_cmpx_lt_u32_e32 54, v0
	s_cbranch_execz .LBB62_283
; %bb.282:
	scratch_load_b64 v[3:4], off, off offset:432
	v_mov_b32_e32 v2, v1
	scratch_store_b64 off, v[1:2], off offset:432
	s_wait_loadcnt 0x0
	ds_store_b64 v35, v[3:4]
.LBB62_283:
	s_wait_alu 0xfffe
	s_or_b32 exec_lo, exec_lo, s0
	s_wait_storecnt_dscnt 0x0
	s_barrier_signal -1
	s_barrier_wait -1
	global_inv scope:SCOPE_SE
	s_clause 0x4
	scratch_load_b128 v[2:5], off, off offset:440
	scratch_load_b128 v[6:9], off, off offset:456
	;; [unrolled: 1-line block ×4, first 2 shown]
	scratch_load_b64 v[36:37], off, off offset:432
	ds_load_2addr_b64 v[18:21], v1 offset0:119 offset1:120
	ds_load_2addr_b64 v[22:25], v1 offset0:121 offset1:122
	;; [unrolled: 1-line block ×4, first 2 shown]
	s_mov_b32 s0, exec_lo
	s_wait_loadcnt_dscnt 0x403
	v_dual_mul_f32 v1, v18, v3 :: v_dual_mul_f32 v34, v20, v5
	v_mul_f32_e32 v3, v19, v3
	s_wait_loadcnt_dscnt 0x302
	v_dual_mul_f32 v5, v21, v5 :: v_dual_mul_f32 v38, v22, v7
	s_delay_alu instid0(VALU_DEP_3) | instskip(NEXT) | instid1(VALU_DEP_3)
	v_dual_mul_f32 v39, v24, v9 :: v_dual_fmac_f32 v34, v21, v4
	v_fma_f32 v3, v18, v2, -v3
	v_fmac_f32_e32 v1, v19, v2
	v_mul_f32_e32 v2, v23, v7
	v_fma_f32 v4, v20, v4, -v5
	s_delay_alu instid0(VALU_DEP_4)
	v_dual_fmac_f32 v38, v23, v6 :: v_dual_add_f32 v3, 0, v3
	s_wait_loadcnt_dscnt 0x100
	v_dual_mul_f32 v42, v30, v15 :: v_dual_mul_f32 v43, v32, v17
	v_fma_f32 v2, v22, v6, -v2
	v_dual_mul_f32 v40, v26, v11 :: v_dual_mul_f32 v41, v28, v13
	v_add_f32_e32 v3, v3, v4
	v_mul_f32_e32 v5, v25, v9
	s_delay_alu instid0(VALU_DEP_3) | instskip(SKIP_1) | instid1(VALU_DEP_4)
	v_dual_fmac_f32 v39, v25, v8 :: v_dual_fmac_f32 v40, v27, v10
	v_mul_f32_e32 v4, v27, v11
	v_add_f32_e32 v2, v3, v2
	s_delay_alu instid0(VALU_DEP_4) | instskip(SKIP_1) | instid1(VALU_DEP_4)
	v_fma_f32 v5, v24, v8, -v5
	v_dual_mul_f32 v3, v29, v13 :: v_dual_fmac_f32 v42, v31, v14
	v_fma_f32 v4, v26, v10, -v4
	s_delay_alu instid0(VALU_DEP_3) | instskip(SKIP_3) | instid1(VALU_DEP_3)
	v_dual_fmac_f32 v43, v33, v16 :: v_dual_add_f32 v2, v2, v5
	v_add_f32_e32 v1, 0, v1
	v_mul_f32_e32 v5, v31, v15
	v_fma_f32 v3, v28, v12, -v3
	v_dual_add_f32 v2, v2, v4 :: v_dual_add_f32 v1, v1, v34
	v_mul_f32_e32 v4, v33, v17
	s_delay_alu instid0(VALU_DEP_4) | instskip(NEXT) | instid1(VALU_DEP_3)
	v_fma_f32 v5, v30, v14, -v5
	v_dual_add_f32 v2, v2, v3 :: v_dual_add_f32 v1, v1, v38
	s_delay_alu instid0(VALU_DEP_3) | instskip(NEXT) | instid1(VALU_DEP_2)
	v_fma_f32 v3, v32, v16, -v4
	v_dual_add_f32 v2, v2, v5 :: v_dual_add_f32 v1, v1, v39
	s_delay_alu instid0(VALU_DEP_1) | instskip(NEXT) | instid1(VALU_DEP_2)
	v_dual_fmac_f32 v41, v29, v12 :: v_dual_add_f32 v2, v2, v3
	v_add_f32_e32 v1, v1, v40
	s_delay_alu instid0(VALU_DEP_1) | instskip(NEXT) | instid1(VALU_DEP_1)
	v_add_f32_e32 v1, v1, v41
	v_add_f32_e32 v1, v1, v42
	s_delay_alu instid0(VALU_DEP_1) | instskip(SKIP_1) | instid1(VALU_DEP_1)
	v_add_f32_e32 v3, v1, v43
	s_wait_loadcnt 0x0
	v_dual_sub_f32 v1, v36, v2 :: v_dual_sub_f32 v2, v37, v3
	scratch_store_b64 off, v[1:2], off offset:432
	v_cmpx_lt_u32_e32 53, v0
	s_cbranch_execz .LBB62_285
; %bb.284:
	scratch_load_b64 v[1:2], off, off offset:424
	v_mov_b32_e32 v3, 0
	s_delay_alu instid0(VALU_DEP_1)
	v_mov_b32_e32 v4, v3
	scratch_store_b64 off, v[3:4], off offset:424
	s_wait_loadcnt 0x0
	ds_store_b64 v35, v[1:2]
.LBB62_285:
	s_wait_alu 0xfffe
	s_or_b32 exec_lo, exec_lo, s0
	s_wait_storecnt_dscnt 0x0
	s_barrier_signal -1
	s_barrier_wait -1
	global_inv scope:SCOPE_SE
	s_clause 0x5
	scratch_load_b128 v[2:5], off, off offset:432
	scratch_load_b128 v[6:9], off, off offset:448
	scratch_load_b128 v[10:13], off, off offset:464
	scratch_load_b128 v[14:17], off, off offset:480
	scratch_load_b64 v[36:37], off, off offset:496
	scratch_load_b64 v[38:39], off, off offset:424
	v_mov_b32_e32 v1, 0
	ds_load_b128 v[18:21], v1 offset:944
	ds_load_b128 v[22:25], v1 offset:960
	;; [unrolled: 1-line block ×4, first 2 shown]
	ds_load_b64 v[40:41], v1 offset:1008
	s_mov_b32 s0, exec_lo
	s_wait_loadcnt_dscnt 0x504
	v_mul_f32_e32 v34, v18, v3
	s_wait_loadcnt_dscnt 0x302
	v_dual_mul_f32 v3, v19, v3 :: v_dual_mul_f32 v172, v28, v13
	v_dual_mul_f32 v42, v20, v5 :: v_dual_mul_f32 v43, v22, v7
	s_wait_loadcnt_dscnt 0x100
	v_dual_mul_f32 v175, v40, v37 :: v_dual_fmac_f32 v34, v19, v2
	v_mul_f32_e32 v5, v21, v5
	v_fma_f32 v3, v18, v2, -v3
	v_dual_mul_f32 v44, v24, v9 :: v_dual_mul_f32 v171, v26, v11
	v_mul_f32_e32 v2, v23, v7
	s_delay_alu instid0(VALU_DEP_3) | instskip(SKIP_1) | instid1(VALU_DEP_4)
	v_dual_fmac_f32 v42, v21, v4 :: v_dual_add_f32 v3, 0, v3
	v_fma_f32 v4, v20, v4, -v5
	v_dual_add_f32 v5, 0, v34 :: v_dual_fmac_f32 v44, v25, v8
	s_delay_alu instid0(VALU_DEP_4) | instskip(SKIP_1) | instid1(VALU_DEP_3)
	v_fma_f32 v2, v22, v6, -v2
	v_fmac_f32_e32 v43, v23, v6
	v_dual_add_f32 v3, v3, v4 :: v_dual_add_f32 v4, v5, v42
	v_mul_f32_e32 v7, v25, v9
	v_dual_mul_f32 v173, v30, v15 :: v_dual_mul_f32 v174, v32, v17
	s_delay_alu instid0(VALU_DEP_3) | instskip(SKIP_1) | instid1(VALU_DEP_4)
	v_dual_add_f32 v2, v3, v2 :: v_dual_add_f32 v3, v4, v43
	v_fmac_f32_e32 v172, v29, v12
	v_fma_f32 v6, v24, v8, -v7
	v_dual_mul_f32 v5, v27, v11 :: v_dual_mul_f32 v4, v29, v13
	s_delay_alu instid0(VALU_DEP_4) | instskip(SKIP_1) | instid1(VALU_DEP_4)
	v_add_f32_e32 v3, v3, v44
	v_fmac_f32_e32 v174, v33, v16
	v_add_f32_e32 v2, v2, v6
	s_delay_alu instid0(VALU_DEP_4) | instskip(SKIP_3) | instid1(VALU_DEP_4)
	v_fma_f32 v5, v26, v10, -v5
	v_fmac_f32_e32 v171, v27, v10
	v_mul_f32_e32 v6, v31, v15
	v_fma_f32 v4, v28, v12, -v4
	v_add_f32_e32 v2, v2, v5
	v_mul_f32_e32 v5, v33, v17
	v_fmac_f32_e32 v173, v31, v14
	v_fma_f32 v6, v30, v14, -v6
	s_delay_alu instid0(VALU_DEP_4) | instskip(SKIP_2) | instid1(VALU_DEP_3)
	v_add_f32_e32 v2, v2, v4
	v_dual_mul_f32 v4, v41, v37 :: v_dual_add_f32 v3, v3, v171
	v_fma_f32 v5, v32, v16, -v5
	v_dual_add_f32 v2, v2, v6 :: v_dual_fmac_f32 v175, v41, v36
	s_delay_alu instid0(VALU_DEP_3) | instskip(NEXT) | instid1(VALU_DEP_4)
	v_add_f32_e32 v3, v3, v172
	v_fma_f32 v4, v40, v36, -v4
	s_delay_alu instid0(VALU_DEP_3) | instskip(NEXT) | instid1(VALU_DEP_1)
	v_add_f32_e32 v2, v2, v5
	v_dual_add_f32 v3, v3, v173 :: v_dual_add_f32 v2, v2, v4
	s_delay_alu instid0(VALU_DEP_1) | instskip(SKIP_1) | instid1(VALU_DEP_1)
	v_add_f32_e32 v3, v3, v174
	s_wait_loadcnt 0x0
	v_dual_sub_f32 v2, v38, v2 :: v_dual_add_f32 v3, v3, v175
	s_delay_alu instid0(VALU_DEP_1)
	v_sub_f32_e32 v3, v39, v3
	scratch_store_b64 off, v[2:3], off offset:424
	v_cmpx_lt_u32_e32 52, v0
	s_cbranch_execz .LBB62_287
; %bb.286:
	scratch_load_b64 v[3:4], off, off offset:416
	v_mov_b32_e32 v2, v1
	scratch_store_b64 off, v[1:2], off offset:416
	s_wait_loadcnt 0x0
	ds_store_b64 v35, v[3:4]
.LBB62_287:
	s_wait_alu 0xfffe
	s_or_b32 exec_lo, exec_lo, s0
	s_wait_storecnt_dscnt 0x0
	s_barrier_signal -1
	s_barrier_wait -1
	global_inv scope:SCOPE_SE
	s_clause 0x5
	scratch_load_b128 v[2:5], off, off offset:424
	scratch_load_b128 v[6:9], off, off offset:440
	;; [unrolled: 1-line block ×5, first 2 shown]
	scratch_load_b64 v[171:172], off, off offset:416
	ds_load_2addr_b64 v[22:25], v1 offset0:117 offset1:118
	ds_load_2addr_b64 v[26:29], v1 offset0:119 offset1:120
	;; [unrolled: 1-line block ×5, first 2 shown]
	s_mov_b32 s0, exec_lo
	s_wait_loadcnt_dscnt 0x504
	v_dual_mul_f32 v1, v22, v3 :: v_dual_mul_f32 v34, v24, v5
	v_mul_f32_e32 v3, v23, v3
	s_wait_loadcnt_dscnt 0x403
	v_dual_mul_f32 v5, v25, v5 :: v_dual_mul_f32 v44, v26, v7
	s_delay_alu instid0(VALU_DEP_3) | instskip(NEXT) | instid1(VALU_DEP_3)
	v_dual_mul_f32 v173, v28, v9 :: v_dual_fmac_f32 v34, v25, v4
	v_fma_f32 v3, v22, v2, -v3
	s_wait_loadcnt_dscnt 0x201
	v_dual_mul_f32 v176, v36, v15 :: v_dual_mul_f32 v177, v38, v17
	v_fmac_f32_e32 v1, v23, v2
	v_mul_f32_e32 v2, v27, v7
	v_fma_f32 v4, v24, v4, -v5
	v_dual_add_f32 v3, 0, v3 :: v_dual_fmac_f32 v44, v27, v6
	v_fmac_f32_e32 v176, v37, v14
	s_delay_alu instid0(VALU_DEP_4) | instskip(SKIP_1) | instid1(VALU_DEP_4)
	v_fma_f32 v2, v26, v6, -v2
	v_dual_mul_f32 v174, v30, v11 :: v_dual_mul_f32 v175, v32, v13
	v_add_f32_e32 v3, v3, v4
	v_dual_mul_f32 v5, v29, v9 :: v_dual_mul_f32 v4, v31, v11
	s_delay_alu instid0(VALU_DEP_3) | instskip(NEXT) | instid1(VALU_DEP_3)
	v_dual_fmac_f32 v173, v29, v8 :: v_dual_fmac_f32 v174, v31, v10
	v_add_f32_e32 v2, v3, v2
	s_delay_alu instid0(VALU_DEP_3) | instskip(NEXT) | instid1(VALU_DEP_4)
	v_fma_f32 v5, v28, v8, -v5
	v_fma_f32 v4, v30, v10, -v4
	s_wait_loadcnt_dscnt 0x100
	v_dual_mul_f32 v178, v40, v19 :: v_dual_mul_f32 v179, v42, v21
	s_delay_alu instid0(VALU_DEP_3) | instskip(SKIP_2) | instid1(VALU_DEP_4)
	v_dual_fmac_f32 v177, v39, v16 :: v_dual_add_f32 v2, v2, v5
	v_add_f32_e32 v1, 0, v1
	v_mul_f32_e32 v5, v37, v15
	v_dual_fmac_f32 v178, v41, v18 :: v_dual_fmac_f32 v179, v43, v20
	s_delay_alu instid0(VALU_DEP_3) | instskip(SKIP_1) | instid1(VALU_DEP_4)
	v_dual_add_f32 v2, v2, v4 :: v_dual_add_f32 v1, v1, v34
	v_mul_f32_e32 v4, v39, v17
	v_fma_f32 v5, v36, v14, -v5
	s_delay_alu instid0(VALU_DEP_3) | instskip(NEXT) | instid1(VALU_DEP_3)
	v_add_f32_e32 v1, v1, v44
	v_fma_f32 v4, v38, v16, -v4
	v_mul_f32_e32 v3, v33, v13
	s_delay_alu instid0(VALU_DEP_1) | instskip(NEXT) | instid1(VALU_DEP_1)
	v_fma_f32 v3, v32, v12, -v3
	v_dual_add_f32 v1, v1, v173 :: v_dual_add_f32 v2, v2, v3
	v_fmac_f32_e32 v175, v33, v12
	s_delay_alu instid0(VALU_DEP_2) | instskip(SKIP_1) | instid1(VALU_DEP_2)
	v_dual_mul_f32 v3, v41, v19 :: v_dual_add_f32 v2, v2, v5
	v_mul_f32_e32 v5, v43, v21
	v_fma_f32 v3, v40, v18, -v3
	s_delay_alu instid0(VALU_DEP_3) | instskip(NEXT) | instid1(VALU_DEP_3)
	v_dual_add_f32 v2, v2, v4 :: v_dual_add_f32 v1, v1, v174
	v_fma_f32 v4, v42, v20, -v5
	s_delay_alu instid0(VALU_DEP_2) | instskip(NEXT) | instid1(VALU_DEP_1)
	v_add_f32_e32 v2, v2, v3
	v_dual_add_f32 v1, v1, v175 :: v_dual_add_f32 v2, v2, v4
	s_delay_alu instid0(VALU_DEP_1) | instskip(NEXT) | instid1(VALU_DEP_1)
	v_add_f32_e32 v1, v1, v176
	v_add_f32_e32 v1, v1, v177
	s_delay_alu instid0(VALU_DEP_1) | instskip(NEXT) | instid1(VALU_DEP_1)
	v_add_f32_e32 v1, v1, v178
	v_add_f32_e32 v3, v1, v179
	s_wait_loadcnt 0x0
	s_delay_alu instid0(VALU_DEP_1)
	v_dual_sub_f32 v1, v171, v2 :: v_dual_sub_f32 v2, v172, v3
	scratch_store_b64 off, v[1:2], off offset:416
	v_cmpx_lt_u32_e32 51, v0
	s_cbranch_execz .LBB62_289
; %bb.288:
	scratch_load_b64 v[1:2], off, off offset:408
	v_mov_b32_e32 v3, 0
	s_delay_alu instid0(VALU_DEP_1)
	v_mov_b32_e32 v4, v3
	scratch_store_b64 off, v[3:4], off offset:408
	s_wait_loadcnt 0x0
	ds_store_b64 v35, v[1:2]
.LBB62_289:
	s_wait_alu 0xfffe
	s_or_b32 exec_lo, exec_lo, s0
	s_wait_storecnt_dscnt 0x0
	s_barrier_signal -1
	s_barrier_wait -1
	global_inv scope:SCOPE_SE
	s_clause 0x6
	scratch_load_b128 v[2:5], off, off offset:416
	scratch_load_b128 v[6:9], off, off offset:432
	scratch_load_b128 v[10:13], off, off offset:448
	scratch_load_b128 v[14:17], off, off offset:464
	scratch_load_b128 v[18:21], off, off offset:480
	scratch_load_b64 v[171:172], off, off offset:496
	scratch_load_b64 v[173:174], off, off offset:408
	v_mov_b32_e32 v1, 0
	ds_load_b128 v[22:25], v1 offset:928
	ds_load_b128 v[26:29], v1 offset:944
	;; [unrolled: 1-line block ×5, first 2 shown]
	ds_load_b64 v[175:176], v1 offset:1008
	s_mov_b32 s0, exec_lo
	s_wait_loadcnt_dscnt 0x605
	v_mul_f32_e32 v34, v22, v3
	s_wait_loadcnt_dscnt 0x403
	v_dual_mul_f32 v3, v23, v3 :: v_dual_mul_f32 v180, v32, v13
	v_dual_mul_f32 v44, v24, v5 :: v_dual_mul_f32 v177, v26, v7
	s_delay_alu instid0(VALU_DEP_3) | instskip(NEXT) | instid1(VALU_DEP_3)
	v_dual_mul_f32 v5, v25, v5 :: v_dual_fmac_f32 v34, v23, v2
	v_fma_f32 v3, v22, v2, -v3
	v_mul_f32_e32 v2, v27, v7
	s_delay_alu instid0(VALU_DEP_4) | instskip(NEXT) | instid1(VALU_DEP_4)
	v_fmac_f32_e32 v44, v25, v4
	v_fma_f32 v4, v24, v4, -v5
	v_add_f32_e32 v5, 0, v34
	v_add_f32_e32 v3, 0, v3
	v_fma_f32 v2, v26, v6, -v2
	v_dual_mul_f32 v178, v28, v9 :: v_dual_mul_f32 v179, v30, v11
	v_fmac_f32_e32 v177, v27, v6
	s_delay_alu instid0(VALU_DEP_4) | instskip(SKIP_3) | instid1(VALU_DEP_4)
	v_add_f32_e32 v3, v3, v4
	v_mul_f32_e32 v7, v29, v9
	v_dual_add_f32 v4, v5, v44 :: v_dual_mul_f32 v5, v31, v11
	v_fmac_f32_e32 v178, v29, v8
	v_add_f32_e32 v2, v3, v2
	s_delay_alu instid0(VALU_DEP_4)
	v_fma_f32 v6, v28, v8, -v7
	s_wait_loadcnt_dscnt 0x100
	v_mul_f32_e32 v185, v175, v172
	v_add_f32_e32 v3, v4, v177
	v_mul_f32_e32 v4, v33, v13
	v_fma_f32 v5, v30, v10, -v5
	v_add_f32_e32 v2, v2, v6
	v_dual_fmac_f32 v179, v31, v10 :: v_dual_fmac_f32 v180, v33, v12
	v_dual_mul_f32 v6, v37, v15 :: v_dual_add_f32 v3, v3, v178
	s_delay_alu instid0(VALU_DEP_3) | instskip(SKIP_2) | instid1(VALU_DEP_4)
	v_add_f32_e32 v2, v2, v5
	v_fma_f32 v4, v32, v12, -v4
	v_dual_mul_f32 v181, v36, v15 :: v_dual_mul_f32 v182, v38, v17
	v_add_f32_e32 v3, v3, v179
	v_mul_f32_e32 v5, v39, v17
	v_fma_f32 v6, v36, v14, -v6
	s_delay_alu instid0(VALU_DEP_4) | instskip(SKIP_3) | instid1(VALU_DEP_4)
	v_dual_add_f32 v2, v2, v4 :: v_dual_fmac_f32 v181, v37, v14
	v_fmac_f32_e32 v182, v39, v16
	v_dual_add_f32 v3, v3, v180 :: v_dual_mul_f32 v4, v41, v19
	v_fma_f32 v5, v38, v16, -v5
	v_dual_add_f32 v2, v2, v6 :: v_dual_mul_f32 v183, v40, v19
	v_mul_f32_e32 v184, v42, v21
	v_mul_f32_e32 v6, v43, v21
	v_fma_f32 v4, v40, v18, -v4
	s_delay_alu instid0(VALU_DEP_4) | instskip(SKIP_4) | instid1(VALU_DEP_4)
	v_add_f32_e32 v2, v2, v5
	v_add_f32_e32 v3, v3, v181
	v_fmac_f32_e32 v183, v41, v18
	v_fma_f32 v6, v42, v20, -v6
	v_dual_fmac_f32 v184, v43, v20 :: v_dual_fmac_f32 v185, v176, v171
	v_dual_add_f32 v2, v2, v4 :: v_dual_add_f32 v3, v3, v182
	s_delay_alu instid0(VALU_DEP_1) | instskip(NEXT) | instid1(VALU_DEP_1)
	v_dual_mul_f32 v5, v176, v172 :: v_dual_add_f32 v2, v2, v6
	v_fma_f32 v4, v175, v171, -v5
	s_delay_alu instid0(VALU_DEP_1) | instskip(SKIP_1) | instid1(VALU_DEP_1)
	v_dual_add_f32 v3, v3, v183 :: v_dual_add_f32 v2, v2, v4
	s_wait_loadcnt 0x0
	v_dual_add_f32 v3, v3, v184 :: v_dual_sub_f32 v2, v173, v2
	s_delay_alu instid0(VALU_DEP_1) | instskip(NEXT) | instid1(VALU_DEP_1)
	v_add_f32_e32 v3, v3, v185
	v_sub_f32_e32 v3, v174, v3
	scratch_store_b64 off, v[2:3], off offset:408
	v_cmpx_lt_u32_e32 50, v0
	s_cbranch_execz .LBB62_291
; %bb.290:
	scratch_load_b64 v[3:4], off, off offset:400
	v_mov_b32_e32 v2, v1
	scratch_store_b64 off, v[1:2], off offset:400
	s_wait_loadcnt 0x0
	ds_store_b64 v35, v[3:4]
.LBB62_291:
	s_wait_alu 0xfffe
	s_or_b32 exec_lo, exec_lo, s0
	s_wait_storecnt_dscnt 0x0
	s_barrier_signal -1
	s_barrier_wait -1
	global_inv scope:SCOPE_SE
	s_clause 0x6
	scratch_load_b128 v[2:5], off, off offset:408
	scratch_load_b128 v[6:9], off, off offset:424
	scratch_load_b128 v[10:13], off, off offset:440
	scratch_load_b128 v[14:17], off, off offset:456
	scratch_load_b128 v[18:21], off, off offset:472
	scratch_load_b128 v[22:25], off, off offset:488
	scratch_load_b64 v[179:180], off, off offset:400
	ds_load_2addr_b64 v[26:29], v1 offset0:115 offset1:116
	ds_load_2addr_b64 v[30:33], v1 offset0:117 offset1:118
	;; [unrolled: 1-line block ×6, first 2 shown]
	s_mov_b32 s0, exec_lo
	s_wait_loadcnt_dscnt 0x605
	v_dual_mul_f32 v1, v26, v3 :: v_dual_mul_f32 v34, v28, v5
	v_mul_f32_e32 v3, v27, v3
	s_wait_loadcnt_dscnt 0x504
	v_dual_mul_f32 v5, v29, v5 :: v_dual_mul_f32 v44, v30, v7
	s_delay_alu instid0(VALU_DEP_3) | instskip(NEXT) | instid1(VALU_DEP_3)
	v_dual_mul_f32 v181, v32, v9 :: v_dual_fmac_f32 v34, v29, v4
	v_fma_f32 v3, v26, v2, -v3
	v_fmac_f32_e32 v1, v27, v2
	v_mul_f32_e32 v2, v31, v7
	v_fma_f32 v4, v28, v4, -v5
	s_wait_loadcnt_dscnt 0x403
	v_dual_mul_f32 v182, v36, v11 :: v_dual_mul_f32 v183, v38, v13
	v_dual_add_f32 v3, 0, v3 :: v_dual_fmac_f32 v44, v31, v6
	v_fma_f32 v2, v30, v6, -v2
	s_delay_alu instid0(VALU_DEP_3)
	v_fmac_f32_e32 v182, v37, v10
	s_wait_loadcnt_dscnt 0x302
	v_dual_mul_f32 v184, v40, v15 :: v_dual_mul_f32 v185, v42, v17
	v_dual_add_f32 v3, v3, v4 :: v_dual_mul_f32 v4, v37, v11
	v_add_f32_e32 v1, 0, v1
	v_fmac_f32_e32 v181, v33, v8
	s_delay_alu instid0(VALU_DEP_4) | instskip(NEXT) | instid1(VALU_DEP_4)
	v_fmac_f32_e32 v184, v41, v14
	v_add_f32_e32 v2, v3, v2
	v_fma_f32 v4, v36, v10, -v4
	v_mul_f32_e32 v5, v33, v9
	v_mul_f32_e32 v3, v39, v13
	s_wait_loadcnt_dscnt 0x201
	v_dual_mul_f32 v186, v171, v19 :: v_dual_mul_f32 v187, v173, v21
	s_wait_loadcnt_dscnt 0x100
	v_dual_mul_f32 v188, v175, v23 :: v_dual_mul_f32 v189, v177, v25
	v_fma_f32 v5, v32, v8, -v5
	v_add_f32_e32 v1, v1, v34
	v_fma_f32 v3, v38, v12, -v3
	v_dual_fmac_f32 v187, v174, v20 :: v_dual_fmac_f32 v186, v172, v18
	s_delay_alu instid0(VALU_DEP_4) | instskip(SKIP_1) | instid1(VALU_DEP_2)
	v_add_f32_e32 v2, v2, v5
	v_dual_fmac_f32 v189, v178, v24 :: v_dual_fmac_f32 v188, v176, v22
	v_add_f32_e32 v2, v2, v4
	v_dual_mul_f32 v4, v43, v17 :: v_dual_add_f32 v1, v1, v44
	s_delay_alu instid0(VALU_DEP_2) | instskip(NEXT) | instid1(VALU_DEP_2)
	v_add_f32_e32 v2, v2, v3
	v_fma_f32 v4, v42, v16, -v4
	v_mul_f32_e32 v5, v41, v15
	s_delay_alu instid0(VALU_DEP_4) | instskip(NEXT) | instid1(VALU_DEP_2)
	v_add_f32_e32 v1, v1, v181
	v_fma_f32 v5, v40, v14, -v5
	v_fmac_f32_e32 v183, v39, v12
	s_delay_alu instid0(VALU_DEP_2) | instskip(SKIP_1) | instid1(VALU_DEP_2)
	v_dual_add_f32 v1, v1, v182 :: v_dual_add_f32 v2, v2, v5
	v_mul_f32_e32 v5, v174, v21
	v_add_f32_e32 v2, v2, v4
	s_delay_alu instid0(VALU_DEP_2) | instskip(SKIP_3) | instid1(VALU_DEP_3)
	v_fma_f32 v5, v173, v20, -v5
	v_mul_f32_e32 v3, v172, v19
	v_mul_f32_e32 v4, v176, v23
	v_add_f32_e32 v1, v1, v183
	v_fma_f32 v3, v171, v18, -v3
	v_fmac_f32_e32 v185, v43, v16
	s_delay_alu instid0(VALU_DEP_4) | instskip(NEXT) | instid1(VALU_DEP_3)
	v_fma_f32 v4, v175, v22, -v4
	v_add_f32_e32 v2, v2, v3
	v_mul_f32_e32 v3, v178, v25
	s_delay_alu instid0(VALU_DEP_2) | instskip(NEXT) | instid1(VALU_DEP_2)
	v_add_f32_e32 v2, v2, v5
	v_fma_f32 v3, v177, v24, -v3
	s_delay_alu instid0(VALU_DEP_2) | instskip(NEXT) | instid1(VALU_DEP_1)
	v_add_f32_e32 v2, v2, v4
	v_dual_add_f32 v1, v1, v184 :: v_dual_add_f32 v2, v2, v3
	s_delay_alu instid0(VALU_DEP_1) | instskip(NEXT) | instid1(VALU_DEP_1)
	v_add_f32_e32 v1, v1, v185
	v_add_f32_e32 v1, v1, v186
	s_delay_alu instid0(VALU_DEP_1) | instskip(NEXT) | instid1(VALU_DEP_1)
	v_add_f32_e32 v1, v1, v187
	v_add_f32_e32 v1, v1, v188
	s_delay_alu instid0(VALU_DEP_1) | instskip(SKIP_1) | instid1(VALU_DEP_1)
	v_add_f32_e32 v3, v1, v189
	s_wait_loadcnt 0x0
	v_dual_sub_f32 v1, v179, v2 :: v_dual_sub_f32 v2, v180, v3
	scratch_store_b64 off, v[1:2], off offset:400
	v_cmpx_lt_u32_e32 49, v0
	s_cbranch_execz .LBB62_293
; %bb.292:
	scratch_load_b64 v[1:2], off, off offset:392
	v_mov_b32_e32 v3, 0
	s_delay_alu instid0(VALU_DEP_1)
	v_mov_b32_e32 v4, v3
	scratch_store_b64 off, v[3:4], off offset:392
	s_wait_loadcnt 0x0
	ds_store_b64 v35, v[1:2]
.LBB62_293:
	s_wait_alu 0xfffe
	s_or_b32 exec_lo, exec_lo, s0
	s_wait_storecnt_dscnt 0x0
	s_barrier_signal -1
	s_barrier_wait -1
	global_inv scope:SCOPE_SE
	s_clause 0x7
	scratch_load_b128 v[2:5], off, off offset:400
	scratch_load_b128 v[6:9], off, off offset:416
	;; [unrolled: 1-line block ×6, first 2 shown]
	scratch_load_b64 v[179:180], off, off offset:496
	scratch_load_b64 v[181:182], off, off offset:392
	v_mov_b32_e32 v1, 0
	ds_load_b128 v[26:29], v1 offset:912
	ds_load_b128 v[30:33], v1 offset:928
	;; [unrolled: 1-line block ×6, first 2 shown]
	ds_load_b64 v[183:184], v1 offset:1008
	s_mov_b32 s0, exec_lo
	s_wait_loadcnt_dscnt 0x706
	v_mul_f32_e32 v34, v26, v3
	v_dual_mul_f32 v3, v27, v3 :: v_dual_mul_f32 v44, v28, v5
	s_wait_loadcnt_dscnt 0x302
	v_dual_mul_f32 v185, v30, v7 :: v_dual_mul_f32 v192, v173, v21
	s_delay_alu instid0(VALU_DEP_3) | instskip(NEXT) | instid1(VALU_DEP_3)
	v_dual_mul_f32 v5, v29, v5 :: v_dual_fmac_f32 v34, v27, v2
	v_fma_f32 v3, v26, v2, -v3
	v_mul_f32_e32 v2, v31, v7
	v_fmac_f32_e32 v44, v29, v4
	s_delay_alu instid0(VALU_DEP_4)
	v_fma_f32 v4, v28, v4, -v5
	v_add_f32_e32 v5, 0, v34
	v_dual_add_f32 v3, 0, v3 :: v_dual_mul_f32 v186, v32, v9
	v_mul_f32_e32 v191, v171, v19
	v_fmac_f32_e32 v185, v31, v6
	v_fma_f32 v2, v30, v6, -v2
	s_delay_alu instid0(VALU_DEP_4)
	v_add_f32_e32 v3, v3, v4
	v_mul_f32_e32 v7, v33, v9
	v_dual_add_f32 v4, v5, v44 :: v_dual_mul_f32 v187, v36, v11
	v_dual_mul_f32 v188, v38, v13 :: v_dual_mul_f32 v5, v37, v11
	v_fmac_f32_e32 v186, v33, v8
	v_add_f32_e32 v2, v3, v2
	v_fma_f32 v6, v32, v8, -v7
	v_add_f32_e32 v3, v4, v185
	s_wait_loadcnt_dscnt 0x100
	v_mul_f32_e32 v195, v183, v180
	v_dual_mul_f32 v4, v39, v13 :: v_dual_fmac_f32 v187, v37, v10
	v_fmac_f32_e32 v188, v39, v12
	v_fma_f32 v5, v36, v10, -v5
	v_add_f32_e32 v2, v2, v6
	v_add_f32_e32 v3, v3, v186
	v_dual_mul_f32 v189, v40, v15 :: v_dual_mul_f32 v190, v42, v17
	v_mul_f32_e32 v6, v41, v15
	v_fma_f32 v4, v38, v12, -v4
	s_delay_alu instid0(VALU_DEP_4) | instskip(SKIP_3) | instid1(VALU_DEP_4)
	v_dual_add_f32 v2, v2, v5 :: v_dual_add_f32 v3, v3, v187
	v_mul_f32_e32 v5, v43, v17
	v_dual_fmac_f32 v189, v41, v14 :: v_dual_fmac_f32 v190, v43, v16
	v_fma_f32 v6, v40, v14, -v6
	v_add_f32_e32 v2, v2, v4
	v_dual_add_f32 v3, v3, v188 :: v_dual_mul_f32 v4, v172, v19
	v_fma_f32 v5, v42, v16, -v5
	v_fmac_f32_e32 v191, v172, v18
	s_delay_alu instid0(VALU_DEP_3) | instskip(SKIP_3) | instid1(VALU_DEP_4)
	v_dual_add_f32 v2, v2, v6 :: v_dual_add_f32 v3, v3, v189
	v_fmac_f32_e32 v192, v174, v20
	v_mul_f32_e32 v6, v174, v21
	v_fma_f32 v4, v171, v18, -v4
	v_dual_add_f32 v2, v2, v5 :: v_dual_add_f32 v3, v3, v190
	v_dual_mul_f32 v193, v175, v23 :: v_dual_mul_f32 v194, v177, v25
	s_delay_alu instid0(VALU_DEP_2) | instskip(SKIP_1) | instid1(VALU_DEP_4)
	v_dual_mul_f32 v5, v176, v23 :: v_dual_add_f32 v2, v2, v4
	v_fma_f32 v6, v173, v20, -v6
	v_dual_add_f32 v3, v3, v191 :: v_dual_mul_f32 v4, v178, v25
	s_delay_alu instid0(VALU_DEP_4) | instskip(NEXT) | instid1(VALU_DEP_4)
	v_dual_fmac_f32 v193, v176, v22 :: v_dual_fmac_f32 v194, v178, v24
	v_fma_f32 v5, v175, v22, -v5
	s_delay_alu instid0(VALU_DEP_3) | instskip(SKIP_2) | instid1(VALU_DEP_3)
	v_dual_add_f32 v2, v2, v6 :: v_dual_add_f32 v3, v3, v192
	v_mul_f32_e32 v6, v184, v180
	v_fma_f32 v4, v177, v24, -v4
	v_dual_fmac_f32 v195, v184, v179 :: v_dual_add_f32 v2, v2, v5
	s_delay_alu instid0(VALU_DEP_4) | instskip(NEXT) | instid1(VALU_DEP_4)
	v_add_f32_e32 v3, v3, v193
	v_fma_f32 v5, v183, v179, -v6
	s_delay_alu instid0(VALU_DEP_2) | instskip(NEXT) | instid1(VALU_DEP_1)
	v_dual_add_f32 v2, v2, v4 :: v_dual_add_f32 v3, v3, v194
	v_dual_add_f32 v2, v2, v5 :: v_dual_add_f32 v3, v3, v195
	s_wait_loadcnt 0x0
	s_delay_alu instid0(VALU_DEP_1)
	v_dual_sub_f32 v2, v181, v2 :: v_dual_sub_f32 v3, v182, v3
	scratch_store_b64 off, v[2:3], off offset:392
	v_cmpx_lt_u32_e32 48, v0
	s_cbranch_execz .LBB62_295
; %bb.294:
	scratch_load_b64 v[3:4], off, off offset:384
	v_mov_b32_e32 v2, v1
	scratch_store_b64 off, v[1:2], off offset:384
	s_wait_loadcnt 0x0
	ds_store_b64 v35, v[3:4]
.LBB62_295:
	s_wait_alu 0xfffe
	s_or_b32 exec_lo, exec_lo, s0
	s_wait_storecnt_dscnt 0x0
	s_barrier_signal -1
	s_barrier_wait -1
	global_inv scope:SCOPE_SE
	s_clause 0x7
	scratch_load_b128 v[2:5], off, off offset:392
	scratch_load_b128 v[6:9], off, off offset:408
	;; [unrolled: 1-line block ×7, first 2 shown]
	scratch_load_b64 v[187:188], off, off offset:384
	ds_load_2addr_b64 v[30:33], v1 offset0:113 offset1:114
	ds_load_2addr_b64 v[36:39], v1 offset0:115 offset1:116
	ds_load_2addr_b64 v[40:43], v1 offset0:117 offset1:118
	ds_load_2addr_b64 v[171:174], v1 offset0:119 offset1:120
	ds_load_2addr_b64 v[175:178], v1 offset0:121 offset1:122
	ds_load_2addr_b64 v[179:182], v1 offset0:123 offset1:124
	ds_load_2addr_b64 v[183:186], v1 offset0:125 offset1:126
	s_mov_b32 s0, exec_lo
	s_wait_loadcnt_dscnt 0x706
	v_dual_mul_f32 v1, v30, v3 :: v_dual_mul_f32 v34, v32, v5
	v_mul_f32_e32 v3, v31, v3
	s_wait_loadcnt_dscnt 0x605
	v_dual_mul_f32 v44, v36, v7 :: v_dual_mul_f32 v189, v38, v9
	s_delay_alu instid0(VALU_DEP_3) | instskip(NEXT) | instid1(VALU_DEP_3)
	v_dual_fmac_f32 v1, v31, v2 :: v_dual_fmac_f32 v34, v33, v4
	v_fma_f32 v3, v30, v2, -v3
	v_mul_f32_e32 v2, v37, v7
	s_wait_loadcnt_dscnt 0x504
	v_dual_mul_f32 v190, v40, v11 :: v_dual_mul_f32 v191, v42, v13
	s_delay_alu instid0(VALU_DEP_3) | instskip(NEXT) | instid1(VALU_DEP_3)
	v_dual_fmac_f32 v44, v37, v6 :: v_dual_add_f32 v3, 0, v3
	v_fma_f32 v2, v36, v6, -v2
	v_mul_f32_e32 v5, v33, v5
	s_delay_alu instid0(VALU_DEP_4) | instskip(SKIP_2) | instid1(VALU_DEP_3)
	v_dual_fmac_f32 v190, v41, v10 :: v_dual_add_f32 v1, 0, v1
	s_wait_loadcnt_dscnt 0x302
	v_dual_mul_f32 v194, v175, v19 :: v_dual_mul_f32 v195, v177, v21
	v_fma_f32 v4, v32, v4, -v5
	v_mul_f32_e32 v5, v39, v9
	v_fmac_f32_e32 v189, v39, v8
	v_dual_mul_f32 v192, v171, v15 :: v_dual_mul_f32 v193, v173, v17
	v_fmac_f32_e32 v194, v176, v18
	s_delay_alu instid0(VALU_DEP_4)
	v_fma_f32 v5, v38, v8, -v5
	v_dual_add_f32 v3, v3, v4 :: v_dual_mul_f32 v4, v41, v11
	s_wait_loadcnt_dscnt 0x201
	v_dual_mul_f32 v196, v179, v23 :: v_dual_mul_f32 v197, v181, v25
	s_wait_loadcnt_dscnt 0x100
	v_dual_mul_f32 v198, v183, v27 :: v_dual_mul_f32 v199, v185, v29
	v_add_f32_e32 v2, v3, v2
	v_fma_f32 v4, v40, v10, -v4
	v_dual_mul_f32 v3, v43, v13 :: v_dual_fmac_f32 v192, v172, v14
	s_delay_alu instid0(VALU_DEP_4) | instskip(NEXT) | instid1(VALU_DEP_4)
	v_dual_fmac_f32 v193, v174, v16 :: v_dual_fmac_f32 v198, v184, v26
	v_dual_add_f32 v2, v2, v5 :: v_dual_add_f32 v1, v1, v34
	s_delay_alu instid0(VALU_DEP_3) | instskip(SKIP_2) | instid1(VALU_DEP_4)
	v_fma_f32 v3, v42, v12, -v3
	v_fmac_f32_e32 v195, v178, v20
	v_fmac_f32_e32 v197, v182, v24
	v_add_f32_e32 v2, v2, v4
	v_dual_mul_f32 v4, v174, v17 :: v_dual_add_f32 v1, v1, v44
	v_dual_fmac_f32 v199, v186, v28 :: v_dual_fmac_f32 v196, v180, v22
	s_delay_alu instid0(VALU_DEP_3) | instskip(NEXT) | instid1(VALU_DEP_3)
	v_add_f32_e32 v2, v2, v3
	v_fma_f32 v4, v173, v16, -v4
	v_mul_f32_e32 v5, v172, v15
	v_add_f32_e32 v1, v1, v189
	s_delay_alu instid0(VALU_DEP_2) | instskip(SKIP_1) | instid1(VALU_DEP_2)
	v_fma_f32 v5, v171, v14, -v5
	v_fmac_f32_e32 v191, v43, v12
	v_dual_add_f32 v1, v1, v190 :: v_dual_add_f32 v2, v2, v5
	v_mul_f32_e32 v5, v178, v21
	s_delay_alu instid0(VALU_DEP_2) | instskip(NEXT) | instid1(VALU_DEP_2)
	v_add_f32_e32 v2, v2, v4
	v_fma_f32 v5, v177, v20, -v5
	v_mul_f32_e32 v3, v176, v19
	v_mul_f32_e32 v4, v180, v23
	v_add_f32_e32 v1, v1, v191
	s_delay_alu instid0(VALU_DEP_3) | instskip(NEXT) | instid1(VALU_DEP_3)
	v_fma_f32 v3, v175, v18, -v3
	v_fma_f32 v4, v179, v22, -v4
	s_delay_alu instid0(VALU_DEP_2) | instskip(SKIP_1) | instid1(VALU_DEP_2)
	v_dual_add_f32 v1, v1, v192 :: v_dual_add_f32 v2, v2, v3
	v_mul_f32_e32 v3, v182, v25
	v_add_f32_e32 v2, v2, v5
	s_delay_alu instid0(VALU_DEP_3) | instskip(SKIP_1) | instid1(VALU_DEP_4)
	v_add_f32_e32 v1, v1, v193
	v_mul_f32_e32 v5, v184, v27
	v_fma_f32 v3, v181, v24, -v3
	s_delay_alu instid0(VALU_DEP_3) | instskip(SKIP_1) | instid1(VALU_DEP_4)
	v_dual_add_f32 v2, v2, v4 :: v_dual_add_f32 v1, v1, v194
	v_mul_f32_e32 v4, v186, v29
	v_fma_f32 v5, v183, v26, -v5
	s_delay_alu instid0(VALU_DEP_3) | instskip(NEXT) | instid1(VALU_DEP_4)
	v_add_f32_e32 v2, v2, v3
	v_add_f32_e32 v1, v1, v195
	s_delay_alu instid0(VALU_DEP_4) | instskip(NEXT) | instid1(VALU_DEP_2)
	v_fma_f32 v3, v185, v28, -v4
	v_dual_add_f32 v2, v2, v5 :: v_dual_add_f32 v1, v1, v196
	s_delay_alu instid0(VALU_DEP_1) | instskip(NEXT) | instid1(VALU_DEP_1)
	v_dual_add_f32 v2, v2, v3 :: v_dual_add_f32 v1, v1, v197
	v_add_f32_e32 v1, v1, v198
	s_delay_alu instid0(VALU_DEP_1) | instskip(SKIP_1) | instid1(VALU_DEP_1)
	v_add_f32_e32 v3, v1, v199
	s_wait_loadcnt 0x0
	v_dual_sub_f32 v1, v187, v2 :: v_dual_sub_f32 v2, v188, v3
	scratch_store_b64 off, v[1:2], off offset:384
	v_cmpx_lt_u32_e32 47, v0
	s_cbranch_execz .LBB62_297
; %bb.296:
	scratch_load_b64 v[1:2], off, off offset:376
	v_mov_b32_e32 v3, 0
	s_delay_alu instid0(VALU_DEP_1)
	v_mov_b32_e32 v4, v3
	scratch_store_b64 off, v[3:4], off offset:376
	s_wait_loadcnt 0x0
	ds_store_b64 v35, v[1:2]
.LBB62_297:
	s_wait_alu 0xfffe
	s_or_b32 exec_lo, exec_lo, s0
	s_wait_storecnt_dscnt 0x0
	s_barrier_signal -1
	s_barrier_wait -1
	global_inv scope:SCOPE_SE
	s_clause 0x8
	scratch_load_b128 v[2:5], off, off offset:384
	scratch_load_b128 v[6:9], off, off offset:400
	;; [unrolled: 1-line block ×7, first 2 shown]
	scratch_load_b64 v[187:188], off, off offset:496
	scratch_load_b64 v[189:190], off, off offset:376
	v_mov_b32_e32 v1, 0
	ds_load_b128 v[30:33], v1 offset:896
	ds_load_b128 v[36:39], v1 offset:912
	;; [unrolled: 1-line block ×7, first 2 shown]
	ds_load_b64 v[191:192], v1 offset:1008
	s_mov_b32 s0, exec_lo
	s_wait_loadcnt_dscnt 0x807
	v_mul_f32_e32 v34, v30, v3
	v_dual_mul_f32 v3, v31, v3 :: v_dual_mul_f32 v44, v32, v5
	s_wait_loadcnt_dscnt 0x504
	v_mul_f32_e32 v197, v171, v15
	s_delay_alu instid0(VALU_DEP_3)
	v_dual_mul_f32 v5, v33, v5 :: v_dual_fmac_f32 v34, v31, v2
	s_wait_loadcnt_dscnt 0x302
	v_mul_f32_e32 v202, v181, v25
	v_fma_f32 v3, v30, v2, -v3
	v_dual_mul_f32 v193, v36, v7 :: v_dual_mul_f32 v194, v38, v9
	s_wait_loadcnt_dscnt 0x100
	v_dual_mul_f32 v205, v191, v188 :: v_dual_mul_f32 v2, v37, v7
	s_delay_alu instid0(VALU_DEP_3)
	v_dual_fmac_f32 v44, v33, v4 :: v_dual_add_f32 v3, 0, v3
	v_fma_f32 v4, v32, v4, -v5
	v_dual_add_f32 v5, 0, v34 :: v_dual_fmac_f32 v194, v39, v8
	v_mul_f32_e32 v7, v39, v9
	v_fmac_f32_e32 v193, v37, v6
	v_fma_f32 v2, v36, v6, -v2
	v_add_f32_e32 v3, v3, v4
	v_dual_add_f32 v4, v5, v44 :: v_dual_mul_f32 v195, v40, v11
	v_dual_mul_f32 v196, v42, v13 :: v_dual_mul_f32 v5, v41, v11
	s_delay_alu instid0(VALU_DEP_3) | instskip(SKIP_1) | instid1(VALU_DEP_3)
	v_add_f32_e32 v2, v3, v2
	v_fma_f32 v6, v38, v8, -v7
	v_dual_add_f32 v3, v4, v193 :: v_dual_fmac_f32 v196, v43, v12
	v_dual_mul_f32 v4, v43, v13 :: v_dual_fmac_f32 v195, v41, v10
	v_fma_f32 v5, v40, v10, -v5
	s_delay_alu instid0(VALU_DEP_4) | instskip(NEXT) | instid1(VALU_DEP_4)
	v_add_f32_e32 v2, v2, v6
	v_dual_add_f32 v3, v3, v194 :: v_dual_mul_f32 v6, v172, v15
	s_delay_alu instid0(VALU_DEP_4) | instskip(SKIP_1) | instid1(VALU_DEP_3)
	v_fma_f32 v4, v42, v12, -v4
	v_dual_mul_f32 v198, v173, v17 :: v_dual_mul_f32 v199, v175, v19
	v_dual_add_f32 v2, v2, v5 :: v_dual_add_f32 v3, v3, v195
	v_mul_f32_e32 v5, v174, v17
	s_delay_alu instid0(VALU_DEP_3) | instskip(SKIP_1) | instid1(VALU_DEP_4)
	v_dual_fmac_f32 v197, v172, v14 :: v_dual_fmac_f32 v198, v174, v16
	v_fma_f32 v6, v171, v14, -v6
	v_add_f32_e32 v2, v2, v4
	v_dual_add_f32 v3, v3, v196 :: v_dual_mul_f32 v200, v177, v21
	v_mul_f32_e32 v201, v179, v23
	v_mul_f32_e32 v4, v176, v19
	v_fma_f32 v5, v173, v16, -v5
	s_delay_alu instid0(VALU_DEP_4) | instskip(SKIP_3) | instid1(VALU_DEP_4)
	v_dual_add_f32 v2, v2, v6 :: v_dual_add_f32 v3, v3, v197
	v_fmac_f32_e32 v200, v178, v20
	v_dual_mul_f32 v6, v178, v21 :: v_dual_fmac_f32 v199, v176, v18
	v_fma_f32 v4, v175, v18, -v4
	v_dual_add_f32 v2, v2, v5 :: v_dual_add_f32 v3, v3, v198
	v_mul_f32_e32 v5, v180, v23
	s_delay_alu instid0(VALU_DEP_4) | instskip(SKIP_1) | instid1(VALU_DEP_4)
	v_fma_f32 v6, v177, v20, -v6
	v_dual_fmac_f32 v201, v180, v22 :: v_dual_fmac_f32 v202, v182, v24
	v_dual_add_f32 v2, v2, v4 :: v_dual_add_f32 v3, v3, v199
	v_mul_f32_e32 v4, v182, v25
	v_fma_f32 v5, v179, v22, -v5
	v_dual_mul_f32 v203, v183, v27 :: v_dual_mul_f32 v204, v185, v29
	s_delay_alu instid0(VALU_DEP_4) | instskip(SKIP_2) | instid1(VALU_DEP_3)
	v_dual_add_f32 v2, v2, v6 :: v_dual_add_f32 v3, v3, v200
	v_mul_f32_e32 v6, v184, v27
	v_fma_f32 v4, v181, v24, -v4
	v_dual_fmac_f32 v203, v184, v26 :: v_dual_add_f32 v2, v2, v5
	s_delay_alu instid0(VALU_DEP_4) | instskip(SKIP_2) | instid1(VALU_DEP_4)
	v_add_f32_e32 v3, v3, v201
	v_mul_f32_e32 v5, v186, v29
	v_fma_f32 v6, v183, v26, -v6
	v_dual_fmac_f32 v205, v192, v187 :: v_dual_add_f32 v2, v2, v4
	s_delay_alu instid0(VALU_DEP_4) | instskip(SKIP_2) | instid1(VALU_DEP_3)
	v_dual_add_f32 v3, v3, v202 :: v_dual_mul_f32 v4, v192, v188
	v_fmac_f32_e32 v204, v186, v28
	v_fma_f32 v5, v185, v28, -v5
	v_dual_add_f32 v2, v2, v6 :: v_dual_add_f32 v3, v3, v203
	s_delay_alu instid0(VALU_DEP_4) | instskip(NEXT) | instid1(VALU_DEP_2)
	v_fma_f32 v4, v191, v187, -v4
	v_dual_add_f32 v2, v2, v5 :: v_dual_add_f32 v3, v3, v204
	s_delay_alu instid0(VALU_DEP_1) | instskip(SKIP_1) | instid1(VALU_DEP_1)
	v_dual_add_f32 v2, v2, v4 :: v_dual_add_f32 v3, v3, v205
	s_wait_loadcnt 0x0
	v_dual_sub_f32 v2, v189, v2 :: v_dual_sub_f32 v3, v190, v3
	scratch_store_b64 off, v[2:3], off offset:376
	v_cmpx_lt_u32_e32 46, v0
	s_cbranch_execz .LBB62_299
; %bb.298:
	scratch_load_b64 v[3:4], off, off offset:368
	v_mov_b32_e32 v2, v1
	scratch_store_b64 off, v[1:2], off offset:368
	s_wait_loadcnt 0x0
	ds_store_b64 v35, v[3:4]
.LBB62_299:
	s_wait_alu 0xfffe
	s_or_b32 exec_lo, exec_lo, s0
	s_wait_storecnt_dscnt 0x0
	s_barrier_signal -1
	s_barrier_wait -1
	global_inv scope:SCOPE_SE
	s_clause 0x8
	scratch_load_b128 v[2:5], off, off offset:376
	scratch_load_b128 v[6:9], off, off offset:392
	;; [unrolled: 1-line block ×8, first 2 shown]
	scratch_load_b64 v[195:196], off, off offset:368
	ds_load_2addr_b64 v[36:39], v1 offset0:111 offset1:112
	ds_load_2addr_b64 v[40:43], v1 offset0:113 offset1:114
	;; [unrolled: 1-line block ×8, first 2 shown]
	s_mov_b32 s0, exec_lo
	s_wait_loadcnt_dscnt 0x807
	v_dual_mul_f32 v1, v36, v3 :: v_dual_mul_f32 v34, v38, v5
	v_mul_f32_e32 v3, v37, v3
	s_wait_loadcnt_dscnt 0x706
	v_dual_mul_f32 v5, v39, v5 :: v_dual_mul_f32 v44, v40, v7
	s_delay_alu instid0(VALU_DEP_3) | instskip(NEXT) | instid1(VALU_DEP_3)
	v_dual_mul_f32 v197, v42, v9 :: v_dual_fmac_f32 v34, v39, v4
	v_fma_f32 v3, v36, v2, -v3
	s_wait_loadcnt_dscnt 0x605
	v_dual_mul_f32 v198, v171, v11 :: v_dual_mul_f32 v199, v173, v13
	v_fmac_f32_e32 v1, v37, v2
	v_mul_f32_e32 v2, v41, v7
	v_fma_f32 v4, v38, v4, -v5
	v_dual_add_f32 v3, 0, v3 :: v_dual_fmac_f32 v44, v41, v6
	v_dual_mul_f32 v5, v43, v9 :: v_dual_fmac_f32 v198, v172, v10
	s_delay_alu instid0(VALU_DEP_4) | instskip(SKIP_2) | instid1(VALU_DEP_3)
	v_fma_f32 v2, v40, v6, -v2
	s_wait_loadcnt_dscnt 0x403
	v_dual_mul_f32 v202, v179, v19 :: v_dual_mul_f32 v203, v181, v21
	v_fma_f32 v5, v42, v8, -v5
	v_dual_add_f32 v3, v3, v4 :: v_dual_mul_f32 v4, v172, v11
	v_add_f32_e32 v1, 0, v1
	v_fmac_f32_e32 v197, v43, v8
	v_dual_mul_f32 v200, v175, v15 :: v_dual_mul_f32 v201, v177, v17
	s_delay_alu instid0(VALU_DEP_4) | instskip(SKIP_2) | instid1(VALU_DEP_4)
	v_add_f32_e32 v2, v3, v2
	v_fma_f32 v4, v171, v10, -v4
	v_dual_mul_f32 v3, v174, v13 :: v_dual_fmac_f32 v202, v180, v18
	v_fmac_f32_e32 v200, v176, v14
	s_delay_alu instid0(VALU_DEP_4) | instskip(NEXT) | instid1(VALU_DEP_3)
	v_dual_add_f32 v2, v2, v5 :: v_dual_add_f32 v1, v1, v34
	v_fma_f32 v3, v173, v12, -v3
	s_wait_loadcnt_dscnt 0x100
	v_dual_mul_f32 v208, v191, v31 :: v_dual_mul_f32 v209, v193, v33
	s_delay_alu instid0(VALU_DEP_3) | instskip(SKIP_1) | instid1(VALU_DEP_3)
	v_add_f32_e32 v2, v2, v4
	v_dual_mul_f32 v4, v178, v17 :: v_dual_add_f32 v1, v1, v44
	v_dual_fmac_f32 v199, v174, v12 :: v_dual_fmac_f32 v208, v192, v30
	s_delay_alu instid0(VALU_DEP_3) | instskip(NEXT) | instid1(VALU_DEP_3)
	v_add_f32_e32 v2, v2, v3
	v_fma_f32 v4, v177, v16, -v4
	v_mul_f32_e32 v5, v176, v15
	v_dual_add_f32 v1, v1, v197 :: v_dual_mul_f32 v204, v183, v23
	v_dual_mul_f32 v205, v185, v25 :: v_dual_mul_f32 v206, v187, v27
	v_mul_f32_e32 v207, v189, v29
	s_delay_alu instid0(VALU_DEP_4) | instskip(NEXT) | instid1(VALU_DEP_4)
	v_fma_f32 v5, v175, v14, -v5
	v_add_f32_e32 v1, v1, v198
	s_delay_alu instid0(VALU_DEP_4) | instskip(SKIP_1) | instid1(VALU_DEP_4)
	v_dual_fmac_f32 v201, v178, v16 :: v_dual_fmac_f32 v206, v188, v26
	v_fmac_f32_e32 v204, v184, v22
	v_add_f32_e32 v2, v2, v5
	v_mul_f32_e32 v5, v182, v21
	v_fmac_f32_e32 v203, v182, v20
	v_fmac_f32_e32 v205, v186, v24
	;; [unrolled: 1-line block ×3, first 2 shown]
	v_add_f32_e32 v2, v2, v4
	v_fma_f32 v5, v181, v20, -v5
	v_mul_f32_e32 v3, v180, v19
	v_mul_f32_e32 v4, v184, v23
	v_add_f32_e32 v1, v1, v199
	v_fmac_f32_e32 v209, v194, v32
	s_delay_alu instid0(VALU_DEP_4) | instskip(NEXT) | instid1(VALU_DEP_4)
	v_fma_f32 v3, v179, v18, -v3
	v_fma_f32 v4, v183, v22, -v4
	s_delay_alu instid0(VALU_DEP_2) | instskip(SKIP_1) | instid1(VALU_DEP_2)
	v_dual_add_f32 v1, v1, v200 :: v_dual_add_f32 v2, v2, v3
	v_mul_f32_e32 v3, v186, v25
	v_add_f32_e32 v2, v2, v5
	s_delay_alu instid0(VALU_DEP_3) | instskip(NEXT) | instid1(VALU_DEP_3)
	v_add_f32_e32 v1, v1, v201
	v_fma_f32 v3, v185, v24, -v3
	s_delay_alu instid0(VALU_DEP_2) | instskip(SKIP_1) | instid1(VALU_DEP_2)
	v_dual_add_f32 v2, v2, v4 :: v_dual_add_f32 v1, v1, v202
	v_mul_f32_e32 v4, v190, v29
	v_add_f32_e32 v2, v2, v3
	s_delay_alu instid0(VALU_DEP_2) | instskip(SKIP_1) | instid1(VALU_DEP_1)
	v_fma_f32 v4, v189, v28, -v4
	v_mul_f32_e32 v5, v188, v27
	v_fma_f32 v5, v187, v26, -v5
	s_delay_alu instid0(VALU_DEP_1) | instskip(SKIP_1) | instid1(VALU_DEP_2)
	v_dual_add_f32 v1, v1, v203 :: v_dual_add_f32 v2, v2, v5
	v_mul_f32_e32 v5, v194, v33
	v_add_f32_e32 v2, v2, v4
	s_delay_alu instid0(VALU_DEP_2) | instskip(SKIP_1) | instid1(VALU_DEP_1)
	v_fma_f32 v4, v193, v32, -v5
	v_mul_f32_e32 v3, v192, v31
	v_fma_f32 v3, v191, v30, -v3
	s_delay_alu instid0(VALU_DEP_1) | instskip(NEXT) | instid1(VALU_DEP_1)
	v_dual_add_f32 v1, v1, v204 :: v_dual_add_f32 v2, v2, v3
	v_dual_add_f32 v1, v1, v205 :: v_dual_add_f32 v2, v2, v4
	s_delay_alu instid0(VALU_DEP_1) | instskip(NEXT) | instid1(VALU_DEP_1)
	v_add_f32_e32 v1, v1, v206
	v_add_f32_e32 v1, v1, v207
	s_delay_alu instid0(VALU_DEP_1) | instskip(NEXT) | instid1(VALU_DEP_1)
	v_add_f32_e32 v1, v1, v208
	v_add_f32_e32 v3, v1, v209
	s_wait_loadcnt 0x0
	s_delay_alu instid0(VALU_DEP_1)
	v_dual_sub_f32 v1, v195, v2 :: v_dual_sub_f32 v2, v196, v3
	scratch_store_b64 off, v[1:2], off offset:368
	v_cmpx_lt_u32_e32 45, v0
	s_cbranch_execz .LBB62_301
; %bb.300:
	scratch_load_b64 v[1:2], off, off offset:360
	v_mov_b32_e32 v3, 0
	s_delay_alu instid0(VALU_DEP_1)
	v_mov_b32_e32 v4, v3
	scratch_store_b64 off, v[3:4], off offset:360
	s_wait_loadcnt 0x0
	ds_store_b64 v35, v[1:2]
.LBB62_301:
	s_wait_alu 0xfffe
	s_or_b32 exec_lo, exec_lo, s0
	s_wait_storecnt_dscnt 0x0
	s_barrier_signal -1
	s_barrier_wait -1
	global_inv scope:SCOPE_SE
	s_clause 0x9
	scratch_load_b128 v[2:5], off, off offset:368
	scratch_load_b128 v[6:9], off, off offset:384
	;; [unrolled: 1-line block ×8, first 2 shown]
	scratch_load_b64 v[195:196], off, off offset:496
	scratch_load_b64 v[197:198], off, off offset:360
	v_mov_b32_e32 v1, 0
	ds_load_b128 v[36:39], v1 offset:880
	ds_load_b128 v[40:43], v1 offset:896
	;; [unrolled: 1-line block ×8, first 2 shown]
	ds_load_b64 v[199:200], v1 offset:1008
	s_mov_b32 s0, exec_lo
	s_wait_loadcnt_dscnt 0x908
	v_mul_f32_e32 v34, v36, v3
	s_wait_loadcnt_dscnt 0x807
	v_dual_mul_f32 v44, v38, v5 :: v_dual_mul_f32 v201, v40, v7
	v_mul_f32_e32 v3, v37, v3
	s_delay_alu instid0(VALU_DEP_3) | instskip(NEXT) | instid1(VALU_DEP_3)
	v_dual_mul_f32 v5, v39, v5 :: v_dual_fmac_f32 v34, v37, v2
	v_fmac_f32_e32 v44, v39, v4
	s_wait_loadcnt_dscnt 0x706
	v_dual_mul_f32 v202, v42, v9 :: v_dual_mul_f32 v203, v171, v11
	v_fma_f32 v3, v36, v2, -v3
	v_mul_f32_e32 v2, v41, v7
	v_fma_f32 v4, v38, v4, -v5
	v_add_f32_e32 v5, 0, v34
	v_dual_fmac_f32 v201, v41, v6 :: v_dual_fmac_f32 v202, v43, v8
	v_add_f32_e32 v3, 0, v3
	v_fma_f32 v2, v40, v6, -v2
	s_wait_loadcnt_dscnt 0x605
	v_dual_mul_f32 v204, v173, v13 :: v_dual_mul_f32 v205, v175, v15
	s_wait_loadcnt_dscnt 0x504
	v_dual_mul_f32 v206, v177, v17 :: v_dual_mul_f32 v207, v179, v19
	v_add_f32_e32 v3, v3, v4
	v_dual_add_f32 v4, v5, v44 :: v_dual_mul_f32 v5, v172, v11
	v_dual_fmac_f32 v204, v174, v12 :: v_dual_fmac_f32 v205, v176, v14
	s_delay_alu instid0(VALU_DEP_4) | instskip(NEXT) | instid1(VALU_DEP_4)
	v_fmac_f32_e32 v206, v178, v16
	v_add_f32_e32 v2, v3, v2
	v_mul_f32_e32 v7, v43, v9
	v_add_f32_e32 v3, v4, v201
	v_mul_f32_e32 v4, v174, v13
	v_fma_f32 v5, v171, v10, -v5
	s_wait_loadcnt_dscnt 0x403
	v_dual_mul_f32 v208, v181, v21 :: v_dual_mul_f32 v209, v183, v23
	v_fma_f32 v6, v42, v8, -v7
	v_add_f32_e32 v3, v3, v202
	v_fma_f32 v4, v173, v12, -v4
	s_wait_loadcnt_dscnt 0x302
	v_dual_mul_f32 v210, v185, v25 :: v_dual_mul_f32 v211, v187, v27
	v_add_f32_e32 v2, v2, v6
	v_fmac_f32_e32 v203, v172, v10
	v_mul_f32_e32 v6, v176, v15
	v_dual_fmac_f32 v207, v180, v18 :: v_dual_fmac_f32 v208, v182, v20
	s_delay_alu instid0(VALU_DEP_3) | instskip(SKIP_1) | instid1(VALU_DEP_4)
	v_dual_add_f32 v2, v2, v5 :: v_dual_add_f32 v3, v3, v203
	v_mul_f32_e32 v5, v178, v17
	v_fma_f32 v6, v175, v14, -v6
	v_dual_fmac_f32 v209, v184, v22 :: v_dual_fmac_f32 v210, v186, v24
	s_delay_alu instid0(VALU_DEP_4) | instskip(SKIP_4) | instid1(VALU_DEP_3)
	v_add_f32_e32 v2, v2, v4
	v_dual_add_f32 v3, v3, v204 :: v_dual_mul_f32 v4, v180, v19
	v_fma_f32 v5, v177, v16, -v5
	s_wait_loadcnt_dscnt 0x201
	v_dual_mul_f32 v212, v189, v29 :: v_dual_mul_f32 v213, v191, v31
	v_dual_add_f32 v2, v2, v6 :: v_dual_add_f32 v3, v3, v205
	v_mul_f32_e32 v6, v182, v21
	v_fma_f32 v4, v179, v18, -v4
	s_wait_loadcnt_dscnt 0x100
	v_dual_mul_f32 v214, v193, v33 :: v_dual_mul_f32 v215, v199, v196
	v_dual_add_f32 v2, v2, v5 :: v_dual_add_f32 v3, v3, v206
	v_mul_f32_e32 v5, v184, v23
	v_fma_f32 v6, v181, v20, -v6
	s_delay_alu instid0(VALU_DEP_3) | instskip(NEXT) | instid1(VALU_DEP_4)
	v_dual_fmac_f32 v211, v188, v26 :: v_dual_add_f32 v2, v2, v4
	v_dual_add_f32 v3, v3, v207 :: v_dual_mul_f32 v4, v186, v25
	s_delay_alu instid0(VALU_DEP_4) | instskip(SKIP_1) | instid1(VALU_DEP_3)
	v_fma_f32 v5, v183, v22, -v5
	v_fmac_f32_e32 v213, v192, v30
	v_dual_add_f32 v2, v2, v6 :: v_dual_add_f32 v3, v3, v208
	v_mul_f32_e32 v6, v188, v27
	v_fma_f32 v4, v185, v24, -v4
	s_delay_alu instid0(VALU_DEP_3) | instskip(NEXT) | instid1(VALU_DEP_4)
	v_dual_fmac_f32 v215, v200, v195 :: v_dual_add_f32 v2, v2, v5
	v_add_f32_e32 v3, v3, v209
	v_mul_f32_e32 v5, v190, v29
	v_fma_f32 v6, v187, v26, -v6
	s_delay_alu instid0(VALU_DEP_3) | instskip(SKIP_3) | instid1(VALU_DEP_4)
	v_dual_add_f32 v2, v2, v4 :: v_dual_add_f32 v3, v3, v210
	v_mul_f32_e32 v4, v192, v31
	v_fmac_f32_e32 v212, v190, v28
	v_fma_f32 v5, v189, v28, -v5
	v_dual_add_f32 v3, v3, v211 :: v_dual_add_f32 v2, v2, v6
	v_mul_f32_e32 v6, v194, v33
	v_fma_f32 v4, v191, v30, -v4
	s_delay_alu instid0(VALU_DEP_3) | instskip(SKIP_3) | instid1(VALU_DEP_4)
	v_dual_add_f32 v3, v3, v212 :: v_dual_add_f32 v2, v2, v5
	v_mul_f32_e32 v5, v200, v196
	v_fmac_f32_e32 v214, v194, v32
	v_fma_f32 v6, v193, v32, -v6
	v_dual_add_f32 v3, v3, v213 :: v_dual_add_f32 v2, v2, v4
	s_delay_alu instid0(VALU_DEP_4) | instskip(NEXT) | instid1(VALU_DEP_2)
	v_fma_f32 v4, v199, v195, -v5
	v_add_f32_e32 v3, v3, v214
	s_delay_alu instid0(VALU_DEP_1) | instskip(NEXT) | instid1(VALU_DEP_1)
	v_dual_add_f32 v2, v2, v6 :: v_dual_add_f32 v3, v3, v215
	v_add_f32_e32 v2, v2, v4
	s_wait_loadcnt 0x0
	s_delay_alu instid0(VALU_DEP_1)
	v_dual_sub_f32 v3, v198, v3 :: v_dual_sub_f32 v2, v197, v2
	scratch_store_b64 off, v[2:3], off offset:360
	v_cmpx_lt_u32_e32 44, v0
	s_cbranch_execz .LBB62_303
; %bb.302:
	scratch_load_b64 v[3:4], off, off offset:352
	v_mov_b32_e32 v2, v1
	scratch_store_b64 off, v[1:2], off offset:352
	s_wait_loadcnt 0x0
	ds_store_b64 v35, v[3:4]
.LBB62_303:
	s_wait_alu 0xfffe
	s_or_b32 exec_lo, exec_lo, s0
	s_wait_storecnt_dscnt 0x0
	s_barrier_signal -1
	s_barrier_wait -1
	global_inv scope:SCOPE_SE
	s_clause 0x9
	scratch_load_b128 v[2:5], off, off offset:360
	scratch_load_b128 v[6:9], off, off offset:376
	;; [unrolled: 1-line block ×9, first 2 shown]
	scratch_load_b64 v[203:204], off, off offset:352
	ds_load_2addr_b64 v[40:43], v1 offset0:109 offset1:110
	ds_load_2addr_b64 v[171:174], v1 offset0:111 offset1:112
	;; [unrolled: 1-line block ×9, first 2 shown]
	s_mov_b32 s0, exec_lo
	s_wait_loadcnt_dscnt 0x908
	v_dual_mul_f32 v1, v40, v3 :: v_dual_mul_f32 v34, v42, v5
	v_mul_f32_e32 v3, v41, v3
	v_mul_f32_e32 v5, v43, v5
	s_wait_loadcnt_dscnt 0x807
	v_dual_mul_f32 v44, v171, v7 :: v_dual_mul_f32 v205, v173, v9
	s_wait_loadcnt_dscnt 0x706
	v_dual_mul_f32 v206, v175, v11 :: v_dual_mul_f32 v207, v177, v13
	s_wait_loadcnt_dscnt 0x100
	v_mul_f32_e32 v218, v199, v37
	v_fma_f32 v3, v40, v2, -v3
	v_dual_mul_f32 v219, v201, v39 :: v_dual_fmac_f32 v34, v43, v4
	v_dual_fmac_f32 v1, v41, v2 :: v_dual_mul_f32 v2, v172, v7
	v_fma_f32 v4, v42, v4, -v5
	s_delay_alu instid0(VALU_DEP_4) | instskip(SKIP_1) | instid1(VALU_DEP_4)
	v_dual_add_f32 v3, 0, v3 :: v_dual_fmac_f32 v44, v172, v6
	v_dual_mul_f32 v5, v174, v9 :: v_dual_fmac_f32 v206, v176, v10
	v_fma_f32 v2, v171, v6, -v2
	v_dual_mul_f32 v210, v183, v19 :: v_dual_mul_f32 v211, v185, v21
	s_delay_alu instid0(VALU_DEP_3) | instskip(SKIP_2) | instid1(VALU_DEP_2)
	v_fma_f32 v5, v173, v8, -v5
	v_dual_add_f32 v3, v3, v4 :: v_dual_mul_f32 v4, v176, v11
	v_dual_add_f32 v1, 0, v1 :: v_dual_mul_f32 v208, v179, v15
	v_dual_mul_f32 v209, v181, v17 :: v_dual_add_f32 v2, v3, v2
	s_delay_alu instid0(VALU_DEP_3) | instskip(SKIP_1) | instid1(VALU_DEP_4)
	v_fma_f32 v4, v175, v10, -v4
	v_dual_mul_f32 v3, v178, v13 :: v_dual_fmac_f32 v210, v184, v18
	v_dual_fmac_f32 v205, v174, v8 :: v_dual_fmac_f32 v208, v180, v14
	s_delay_alu instid0(VALU_DEP_4) | instskip(NEXT) | instid1(VALU_DEP_3)
	v_dual_add_f32 v2, v2, v5 :: v_dual_add_f32 v1, v1, v34
	v_fma_f32 v3, v177, v12, -v3
	v_dual_mul_f32 v216, v195, v31 :: v_dual_mul_f32 v217, v197, v33
	s_delay_alu instid0(VALU_DEP_3) | instskip(NEXT) | instid1(VALU_DEP_4)
	v_add_f32_e32 v2, v2, v4
	v_dual_add_f32 v1, v1, v44 :: v_dual_mul_f32 v4, v182, v17
	v_dual_fmac_f32 v207, v178, v12 :: v_dual_mul_f32 v212, v187, v23
	v_mul_f32_e32 v213, v189, v25
	s_delay_alu instid0(VALU_DEP_3) | instskip(NEXT) | instid1(VALU_DEP_4)
	v_dual_add_f32 v1, v1, v205 :: v_dual_add_f32 v2, v2, v3
	v_fma_f32 v4, v181, v16, -v4
	v_mul_f32_e32 v5, v180, v15
	v_fmac_f32_e32 v216, v196, v30
	v_dual_mul_f32 v214, v191, v27 :: v_dual_mul_f32 v215, v193, v29
	v_fmac_f32_e32 v209, v182, v16
	s_delay_alu instid0(VALU_DEP_4) | instskip(SKIP_3) | instid1(VALU_DEP_4)
	v_fma_f32 v5, v179, v14, -v5
	v_add_f32_e32 v1, v1, v206
	v_fmac_f32_e32 v212, v188, v22
	v_dual_fmac_f32 v214, v192, v26 :: v_dual_fmac_f32 v213, v190, v24
	v_add_f32_e32 v2, v2, v5
	v_dual_mul_f32 v5, v186, v21 :: v_dual_fmac_f32 v218, v200, v36
	v_fmac_f32_e32 v211, v186, v20
	v_fmac_f32_e32 v215, v194, v28
	s_delay_alu instid0(VALU_DEP_4) | instskip(NEXT) | instid1(VALU_DEP_4)
	v_add_f32_e32 v2, v2, v4
	v_fma_f32 v5, v185, v20, -v5
	v_mul_f32_e32 v3, v184, v19
	v_mul_f32_e32 v4, v188, v23
	v_add_f32_e32 v1, v1, v207
	v_fmac_f32_e32 v217, v198, v32
	v_fmac_f32_e32 v219, v202, v38
	v_fma_f32 v3, v183, v18, -v3
	v_fma_f32 v4, v187, v22, -v4
	s_delay_alu instid0(VALU_DEP_2) | instskip(SKIP_1) | instid1(VALU_DEP_2)
	v_dual_add_f32 v1, v1, v208 :: v_dual_add_f32 v2, v2, v3
	v_mul_f32_e32 v3, v190, v25
	v_add_f32_e32 v2, v2, v5
	s_delay_alu instid0(VALU_DEP_3) | instskip(NEXT) | instid1(VALU_DEP_3)
	v_add_f32_e32 v1, v1, v209
	v_fma_f32 v3, v189, v24, -v3
	s_delay_alu instid0(VALU_DEP_2) | instskip(SKIP_1) | instid1(VALU_DEP_2)
	v_dual_add_f32 v2, v2, v4 :: v_dual_add_f32 v1, v1, v210
	v_mul_f32_e32 v4, v194, v29
	v_add_f32_e32 v2, v2, v3
	s_delay_alu instid0(VALU_DEP_2) | instskip(SKIP_1) | instid1(VALU_DEP_1)
	v_fma_f32 v4, v193, v28, -v4
	v_mul_f32_e32 v5, v192, v27
	v_fma_f32 v5, v191, v26, -v5
	s_delay_alu instid0(VALU_DEP_1) | instskip(SKIP_1) | instid1(VALU_DEP_2)
	v_dual_mul_f32 v3, v196, v31 :: v_dual_add_f32 v2, v2, v5
	v_mul_f32_e32 v5, v198, v33
	v_fma_f32 v3, v195, v30, -v3
	s_delay_alu instid0(VALU_DEP_3) | instskip(SKIP_1) | instid1(VALU_DEP_4)
	v_add_f32_e32 v2, v2, v4
	v_mul_f32_e32 v4, v200, v37
	v_fma_f32 v5, v197, v32, -v5
	s_delay_alu instid0(VALU_DEP_3) | instskip(SKIP_3) | instid1(VALU_DEP_4)
	v_add_f32_e32 v2, v2, v3
	v_add_f32_e32 v1, v1, v211
	v_mul_f32_e32 v3, v202, v39
	v_fma_f32 v4, v199, v36, -v4
	v_add_f32_e32 v2, v2, v5
	s_delay_alu instid0(VALU_DEP_3) | instskip(NEXT) | instid1(VALU_DEP_2)
	v_fma_f32 v3, v201, v38, -v3
	v_add_f32_e32 v2, v2, v4
	s_delay_alu instid0(VALU_DEP_1) | instskip(NEXT) | instid1(VALU_DEP_1)
	v_dual_add_f32 v1, v1, v212 :: v_dual_add_f32 v2, v2, v3
	v_add_f32_e32 v1, v1, v213
	s_delay_alu instid0(VALU_DEP_1) | instskip(NEXT) | instid1(VALU_DEP_1)
	v_add_f32_e32 v1, v1, v214
	v_add_f32_e32 v1, v1, v215
	s_delay_alu instid0(VALU_DEP_1) | instskip(NEXT) | instid1(VALU_DEP_1)
	v_add_f32_e32 v1, v1, v216
	v_add_f32_e32 v1, v1, v217
	s_delay_alu instid0(VALU_DEP_1) | instskip(NEXT) | instid1(VALU_DEP_1)
	v_add_f32_e32 v1, v1, v218
	v_add_f32_e32 v3, v1, v219
	s_wait_loadcnt 0x0
	s_delay_alu instid0(VALU_DEP_1)
	v_dual_sub_f32 v1, v203, v2 :: v_dual_sub_f32 v2, v204, v3
	scratch_store_b64 off, v[1:2], off offset:352
	v_cmpx_lt_u32_e32 43, v0
	s_cbranch_execz .LBB62_305
; %bb.304:
	scratch_load_b64 v[1:2], off, off offset:344
	v_mov_b32_e32 v3, 0
	s_delay_alu instid0(VALU_DEP_1)
	v_mov_b32_e32 v4, v3
	scratch_store_b64 off, v[3:4], off offset:344
	s_wait_loadcnt 0x0
	ds_store_b64 v35, v[1:2]
.LBB62_305:
	s_wait_alu 0xfffe
	s_or_b32 exec_lo, exec_lo, s0
	s_wait_storecnt_dscnt 0x0
	s_barrier_signal -1
	s_barrier_wait -1
	global_inv scope:SCOPE_SE
	s_clause 0xa
	scratch_load_b128 v[2:5], off, off offset:352
	scratch_load_b128 v[6:9], off, off offset:368
	;; [unrolled: 1-line block ×9, first 2 shown]
	scratch_load_b64 v[203:204], off, off offset:496
	scratch_load_b64 v[205:206], off, off offset:344
	v_mov_b32_e32 v1, 0
	ds_load_b128 v[40:43], v1 offset:864
	ds_load_b128 v[171:174], v1 offset:880
	ds_load_b128 v[175:178], v1 offset:896
	ds_load_b128 v[179:182], v1 offset:912
	ds_load_b128 v[183:186], v1 offset:928
	ds_load_b128 v[187:190], v1 offset:944
	ds_load_b128 v[191:194], v1 offset:960
	ds_load_b128 v[195:198], v1 offset:976
	ds_load_b128 v[199:202], v1 offset:992
	ds_load_b64 v[207:208], v1 offset:1008
	s_mov_b32 s0, exec_lo
	s_wait_loadcnt_dscnt 0xa09
	v_mul_f32_e32 v34, v40, v3
	s_wait_loadcnt_dscnt 0x908
	v_dual_mul_f32 v44, v42, v5 :: v_dual_mul_f32 v209, v171, v7
	v_mul_f32_e32 v3, v41, v3
	s_delay_alu instid0(VALU_DEP_3) | instskip(NEXT) | instid1(VALU_DEP_3)
	v_dual_mul_f32 v5, v43, v5 :: v_dual_fmac_f32 v34, v41, v2
	v_fmac_f32_e32 v44, v43, v4
	s_wait_loadcnt_dscnt 0x807
	v_dual_mul_f32 v210, v173, v9 :: v_dual_mul_f32 v211, v175, v11
	v_fma_f32 v3, v40, v2, -v3
	v_mul_f32_e32 v2, v172, v7
	v_fma_f32 v4, v42, v4, -v5
	v_add_f32_e32 v5, 0, v34
	v_dual_fmac_f32 v209, v172, v6 :: v_dual_fmac_f32 v210, v174, v8
	v_add_f32_e32 v3, 0, v3
	v_fma_f32 v2, v171, v6, -v2
	s_wait_loadcnt_dscnt 0x706
	v_dual_mul_f32 v212, v177, v13 :: v_dual_mul_f32 v213, v179, v15
	s_wait_loadcnt_dscnt 0x605
	v_dual_mul_f32 v214, v181, v17 :: v_dual_mul_f32 v215, v183, v19
	v_add_f32_e32 v3, v3, v4
	v_dual_mul_f32 v7, v174, v9 :: v_dual_add_f32 v4, v5, v44
	v_dual_fmac_f32 v212, v178, v12 :: v_dual_fmac_f32 v213, v180, v14
	s_delay_alu instid0(VALU_DEP_4) | instskip(NEXT) | instid1(VALU_DEP_4)
	v_fmac_f32_e32 v214, v182, v16
	v_add_f32_e32 v2, v3, v2
	s_delay_alu instid0(VALU_DEP_4)
	v_fma_f32 v6, v173, v8, -v7
	v_mul_f32_e32 v5, v176, v11
	v_add_f32_e32 v3, v4, v209
	v_mul_f32_e32 v4, v178, v13
	s_wait_loadcnt_dscnt 0x504
	v_dual_mul_f32 v216, v185, v21 :: v_dual_mul_f32 v217, v187, v23
	v_add_f32_e32 v2, v2, v6
	v_fma_f32 v5, v175, v10, -v5
	v_fmac_f32_e32 v211, v176, v10
	v_dual_add_f32 v3, v3, v210 :: v_dual_mul_f32 v6, v180, v15
	v_fma_f32 v4, v177, v12, -v4
	s_delay_alu instid0(VALU_DEP_4) | instskip(SKIP_1) | instid1(VALU_DEP_4)
	v_add_f32_e32 v2, v2, v5
	v_mul_f32_e32 v5, v182, v17
	v_add_f32_e32 v3, v3, v211
	v_fma_f32 v6, v179, v14, -v6
	s_delay_alu instid0(VALU_DEP_4) | instskip(NEXT) | instid1(VALU_DEP_3)
	v_dual_fmac_f32 v215, v184, v18 :: v_dual_add_f32 v2, v2, v4
	v_dual_mul_f32 v4, v184, v19 :: v_dual_add_f32 v3, v3, v212
	v_fma_f32 v5, v181, v16, -v5
	v_fmac_f32_e32 v216, v186, v20
	s_delay_alu instid0(VALU_DEP_4)
	v_add_f32_e32 v2, v2, v6
	v_mul_f32_e32 v6, v186, v21
	v_add_f32_e32 v3, v3, v213
	v_fma_f32 v4, v183, v18, -v4
	s_wait_loadcnt_dscnt 0x403
	v_dual_mul_f32 v218, v189, v25 :: v_dual_mul_f32 v219, v191, v27
	s_delay_alu instid0(VALU_DEP_3) | instskip(SKIP_2) | instid1(VALU_DEP_4)
	v_dual_add_f32 v2, v2, v5 :: v_dual_add_f32 v3, v3, v214
	v_mul_f32_e32 v5, v188, v23
	v_fma_f32 v6, v185, v20, -v6
	v_dual_fmac_f32 v217, v188, v22 :: v_dual_fmac_f32 v218, v190, v24
	s_delay_alu instid0(VALU_DEP_4)
	v_dual_add_f32 v2, v2, v4 :: v_dual_add_f32 v3, v3, v215
	v_mul_f32_e32 v4, v190, v25
	v_fma_f32 v5, v187, v22, -v5
	s_wait_loadcnt_dscnt 0x302
	v_dual_mul_f32 v220, v193, v29 :: v_dual_mul_f32 v221, v195, v31
	v_dual_add_f32 v2, v2, v6 :: v_dual_add_f32 v3, v3, v216
	v_mul_f32_e32 v6, v192, v27
	v_fma_f32 v4, v189, v24, -v4
	s_delay_alu instid0(VALU_DEP_3) | instskip(NEXT) | instid1(VALU_DEP_4)
	v_dual_fmac_f32 v219, v192, v26 :: v_dual_add_f32 v2, v2, v5
	v_add_f32_e32 v3, v3, v217
	v_mul_f32_e32 v5, v194, v29
	v_fma_f32 v6, v191, v26, -v6
	s_wait_loadcnt_dscnt 0x100
	v_dual_mul_f32 v222, v197, v33 :: v_dual_mul_f32 v225, v207, v204
	v_dual_add_f32 v2, v2, v4 :: v_dual_add_f32 v3, v3, v218
	v_mul_f32_e32 v4, v196, v31
	v_fmac_f32_e32 v220, v194, v28
	v_fma_f32 v5, v193, v28, -v5
	v_dual_mul_f32 v223, v199, v37 :: v_dual_mul_f32 v224, v201, v39
	v_dual_add_f32 v3, v3, v219 :: v_dual_add_f32 v2, v2, v6
	v_dual_mul_f32 v6, v198, v33 :: v_dual_fmac_f32 v221, v196, v30
	v_fma_f32 v4, v195, v30, -v4
	s_delay_alu instid0(VALU_DEP_3) | instskip(SKIP_2) | instid1(VALU_DEP_3)
	v_dual_add_f32 v3, v3, v220 :: v_dual_add_f32 v2, v2, v5
	v_fmac_f32_e32 v223, v200, v36
	v_dual_mul_f32 v5, v200, v37 :: v_dual_fmac_f32 v222, v198, v32
	v_dual_add_f32 v3, v3, v221 :: v_dual_add_f32 v2, v2, v4
	v_fma_f32 v6, v197, v32, -v6
	v_mul_f32_e32 v4, v202, v39
	s_delay_alu instid0(VALU_DEP_4) | instskip(NEXT) | instid1(VALU_DEP_4)
	v_fma_f32 v5, v199, v36, -v5
	v_add_f32_e32 v3, v3, v222
	v_dual_fmac_f32 v224, v202, v38 :: v_dual_fmac_f32 v225, v208, v203
	v_add_f32_e32 v2, v2, v6
	v_fma_f32 v4, v201, v38, -v4
	s_delay_alu instid0(VALU_DEP_2) | instskip(NEXT) | instid1(VALU_DEP_1)
	v_dual_add_f32 v3, v3, v223 :: v_dual_add_f32 v2, v2, v5
	v_add_f32_e32 v3, v3, v224
	v_mul_f32_e32 v6, v208, v204
	s_delay_alu instid0(VALU_DEP_2) | instskip(NEXT) | instid1(VALU_DEP_2)
	v_dual_add_f32 v2, v2, v4 :: v_dual_add_f32 v3, v3, v225
	v_fma_f32 v5, v207, v203, -v6
	s_wait_loadcnt 0x0
	s_delay_alu instid0(VALU_DEP_2) | instskip(NEXT) | instid1(VALU_DEP_2)
	v_sub_f32_e32 v3, v206, v3
	v_add_f32_e32 v2, v2, v5
	s_delay_alu instid0(VALU_DEP_1)
	v_sub_f32_e32 v2, v205, v2
	scratch_store_b64 off, v[2:3], off offset:344
	v_cmpx_lt_u32_e32 42, v0
	s_cbranch_execz .LBB62_307
; %bb.306:
	scratch_load_b64 v[3:4], off, off offset:336
	v_mov_b32_e32 v2, v1
	scratch_store_b64 off, v[1:2], off offset:336
	s_wait_loadcnt 0x0
	ds_store_b64 v35, v[3:4]
.LBB62_307:
	s_wait_alu 0xfffe
	s_or_b32 exec_lo, exec_lo, s0
	s_wait_storecnt_dscnt 0x0
	s_barrier_signal -1
	s_barrier_wait -1
	global_inv scope:SCOPE_SE
	s_clause 0xa
	scratch_load_b128 v[2:5], off, off offset:344
	scratch_load_b128 v[6:9], off, off offset:360
	;; [unrolled: 1-line block ×10, first 2 shown]
	scratch_load_b64 v[211:212], off, off offset:336
	ds_load_2addr_b64 v[171:174], v1 offset0:107 offset1:108
	ds_load_2addr_b64 v[175:178], v1 offset0:109 offset1:110
	;; [unrolled: 1-line block ×10, first 2 shown]
	s_mov_b32 s0, exec_lo
	s_wait_loadcnt_dscnt 0xa09
	v_dual_mul_f32 v1, v171, v3 :: v_dual_mul_f32 v34, v173, v5
	s_wait_loadcnt_dscnt 0x908
	v_dual_mul_f32 v5, v174, v5 :: v_dual_mul_f32 v44, v175, v7
	v_mul_f32_e32 v213, v177, v9
	v_mul_f32_e32 v3, v172, v3
	s_wait_loadcnt_dscnt 0x807
	v_dual_mul_f32 v214, v179, v11 :: v_dual_mul_f32 v215, v181, v13
	s_wait_loadcnt_dscnt 0x100
	v_dual_mul_f32 v226, v203, v37 :: v_dual_mul_f32 v229, v209, v43
	v_fmac_f32_e32 v34, v174, v4
	v_fma_f32 v3, v171, v2, -v3
	v_fmac_f32_e32 v1, v172, v2
	v_mul_f32_e32 v2, v176, v7
	v_fma_f32 v4, v173, v4, -v5
	s_delay_alu instid0(VALU_DEP_4) | instskip(SKIP_1) | instid1(VALU_DEP_4)
	v_dual_fmac_f32 v44, v176, v6 :: v_dual_add_f32 v3, 0, v3
	v_dual_mul_f32 v218, v187, v19 :: v_dual_mul_f32 v219, v189, v21
	v_fma_f32 v2, v175, v6, -v2
	s_delay_alu instid0(VALU_DEP_3) | instskip(SKIP_2) | instid1(VALU_DEP_3)
	v_dual_fmac_f32 v214, v180, v10 :: v_dual_add_f32 v3, v3, v4
	v_dual_mul_f32 v5, v178, v9 :: v_dual_mul_f32 v216, v183, v15
	v_mul_f32_e32 v217, v185, v17
	v_dual_fmac_f32 v213, v178, v8 :: v_dual_add_f32 v2, v3, v2
	s_delay_alu instid0(VALU_DEP_3) | instskip(SKIP_3) | instid1(VALU_DEP_4)
	v_fma_f32 v5, v177, v8, -v5
	v_dual_mul_f32 v3, v182, v13 :: v_dual_fmac_f32 v218, v188, v18
	v_mul_f32_e32 v4, v180, v11
	v_fmac_f32_e32 v216, v184, v14
	v_add_f32_e32 v2, v2, v5
	v_add_f32_e32 v1, 0, v1
	v_fma_f32 v3, v181, v12, -v3
	v_fma_f32 v4, v179, v10, -v4
	v_dual_mul_f32 v224, v199, v31 :: v_dual_mul_f32 v225, v201, v33
	s_delay_alu instid0(VALU_DEP_4) | instskip(SKIP_1) | instid1(VALU_DEP_4)
	v_add_f32_e32 v1, v1, v34
	v_fmac_f32_e32 v215, v182, v12
	v_add_f32_e32 v2, v2, v4
	v_mul_f32_e32 v4, v186, v17
	v_dual_mul_f32 v220, v191, v23 :: v_dual_mul_f32 v221, v193, v25
	s_delay_alu instid0(VALU_DEP_3) | instskip(NEXT) | instid1(VALU_DEP_3)
	v_dual_add_f32 v1, v1, v44 :: v_dual_add_f32 v2, v2, v3
	v_fma_f32 v4, v185, v16, -v4
	v_mul_f32_e32 v5, v184, v15
	v_dual_mul_f32 v222, v195, v27 :: v_dual_mul_f32 v223, v197, v29
	s_delay_alu instid0(VALU_DEP_4) | instskip(SKIP_1) | instid1(VALU_DEP_4)
	v_add_f32_e32 v1, v1, v213
	v_fmac_f32_e32 v217, v186, v16
	v_fma_f32 v5, v183, v14, -v5
	s_delay_alu instid0(VALU_DEP_4)
	v_fmac_f32_e32 v222, v196, v26
	v_fmac_f32_e32 v224, v200, v30
	v_add_f32_e32 v1, v1, v214
	v_fmac_f32_e32 v221, v194, v24
	v_add_f32_e32 v2, v2, v5
	v_dual_mul_f32 v5, v190, v21 :: v_dual_fmac_f32 v220, v192, v22
	v_fmac_f32_e32 v219, v190, v20
	v_dual_mul_f32 v227, v205, v39 :: v_dual_mul_f32 v228, v207, v41
	s_delay_alu instid0(VALU_DEP_3) | instskip(SKIP_4) | instid1(VALU_DEP_4)
	v_fma_f32 v5, v189, v20, -v5
	v_dual_mul_f32 v3, v188, v19 :: v_dual_add_f32 v2, v2, v4
	v_mul_f32_e32 v4, v192, v23
	v_add_f32_e32 v1, v1, v215
	v_fmac_f32_e32 v223, v198, v28
	v_fma_f32 v3, v187, v18, -v3
	v_fmac_f32_e32 v226, v204, v36
	v_fma_f32 v4, v191, v22, -v4
	v_add_f32_e32 v1, v1, v216
	v_fmac_f32_e32 v225, v202, v32
	v_add_f32_e32 v2, v2, v3
	v_mul_f32_e32 v3, v194, v25
	v_fmac_f32_e32 v227, v206, v38
	v_dual_fmac_f32 v229, v210, v42 :: v_dual_fmac_f32 v228, v208, v40
	s_delay_alu instid0(VALU_DEP_4) | instskip(SKIP_2) | instid1(VALU_DEP_2)
	v_add_f32_e32 v2, v2, v5
	v_add_f32_e32 v1, v1, v217
	v_fma_f32 v3, v193, v24, -v3
	v_dual_add_f32 v2, v2, v4 :: v_dual_add_f32 v1, v1, v218
	v_mul_f32_e32 v4, v198, v29
	s_delay_alu instid0(VALU_DEP_2) | instskip(NEXT) | instid1(VALU_DEP_2)
	v_add_f32_e32 v2, v2, v3
	v_fma_f32 v4, v197, v28, -v4
	v_mul_f32_e32 v5, v196, v27
	s_delay_alu instid0(VALU_DEP_1) | instskip(NEXT) | instid1(VALU_DEP_1)
	v_fma_f32 v5, v195, v26, -v5
	v_dual_mul_f32 v3, v200, v31 :: v_dual_add_f32 v2, v2, v5
	v_mul_f32_e32 v5, v202, v33
	s_delay_alu instid0(VALU_DEP_2) | instskip(NEXT) | instid1(VALU_DEP_3)
	v_fma_f32 v3, v199, v30, -v3
	v_add_f32_e32 v2, v2, v4
	v_mul_f32_e32 v4, v204, v37
	s_delay_alu instid0(VALU_DEP_4) | instskip(NEXT) | instid1(VALU_DEP_3)
	v_fma_f32 v5, v201, v32, -v5
	v_add_f32_e32 v2, v2, v3
	v_add_f32_e32 v1, v1, v219
	s_delay_alu instid0(VALU_DEP_4) | instskip(SKIP_1) | instid1(VALU_DEP_3)
	v_fma_f32 v4, v203, v36, -v4
	v_mul_f32_e32 v3, v206, v39
	v_dual_add_f32 v2, v2, v5 :: v_dual_add_f32 v1, v1, v220
	v_mul_f32_e32 v5, v208, v41
	s_delay_alu instid0(VALU_DEP_3) | instskip(NEXT) | instid1(VALU_DEP_3)
	v_fma_f32 v3, v205, v38, -v3
	v_add_f32_e32 v2, v2, v4
	s_delay_alu instid0(VALU_DEP_4) | instskip(NEXT) | instid1(VALU_DEP_4)
	v_dual_mul_f32 v4, v210, v43 :: v_dual_add_f32 v1, v1, v221
	v_fma_f32 v5, v207, v40, -v5
	s_delay_alu instid0(VALU_DEP_3) | instskip(NEXT) | instid1(VALU_DEP_3)
	v_add_f32_e32 v2, v2, v3
	v_fma_f32 v3, v209, v42, -v4
	s_delay_alu instid0(VALU_DEP_2) | instskip(NEXT) | instid1(VALU_DEP_1)
	v_dual_add_f32 v1, v1, v222 :: v_dual_add_f32 v2, v2, v5
	v_add_f32_e32 v1, v1, v223
	s_delay_alu instid0(VALU_DEP_1) | instskip(NEXT) | instid1(VALU_DEP_1)
	v_dual_add_f32 v2, v2, v3 :: v_dual_add_f32 v1, v1, v224
	v_add_f32_e32 v1, v1, v225
	s_delay_alu instid0(VALU_DEP_1) | instskip(NEXT) | instid1(VALU_DEP_1)
	v_add_f32_e32 v1, v1, v226
	v_add_f32_e32 v1, v1, v227
	s_delay_alu instid0(VALU_DEP_1) | instskip(NEXT) | instid1(VALU_DEP_1)
	v_add_f32_e32 v1, v1, v228
	v_add_f32_e32 v3, v1, v229
	s_wait_loadcnt 0x0
	s_delay_alu instid0(VALU_DEP_1)
	v_dual_sub_f32 v1, v211, v2 :: v_dual_sub_f32 v2, v212, v3
	scratch_store_b64 off, v[1:2], off offset:336
	v_cmpx_lt_u32_e32 41, v0
	s_cbranch_execz .LBB62_309
; %bb.308:
	scratch_load_b64 v[1:2], off, off offset:328
	v_mov_b32_e32 v3, 0
	s_delay_alu instid0(VALU_DEP_1)
	v_mov_b32_e32 v4, v3
	scratch_store_b64 off, v[3:4], off offset:328
	s_wait_loadcnt 0x0
	ds_store_b64 v35, v[1:2]
.LBB62_309:
	s_wait_alu 0xfffe
	s_or_b32 exec_lo, exec_lo, s0
	s_wait_storecnt_dscnt 0x0
	s_barrier_signal -1
	s_barrier_wait -1
	global_inv scope:SCOPE_SE
	s_clause 0xb
	scratch_load_b128 v[2:5], off, off offset:336
	scratch_load_b128 v[6:9], off, off offset:352
	;; [unrolled: 1-line block ×10, first 2 shown]
	scratch_load_b64 v[211:212], off, off offset:496
	scratch_load_b64 v[213:214], off, off offset:328
	v_mov_b32_e32 v1, 0
	ds_load_b128 v[171:174], v1 offset:848
	ds_load_b128 v[175:178], v1 offset:864
	;; [unrolled: 1-line block ×10, first 2 shown]
	ds_load_b64 v[215:216], v1 offset:1008
	s_mov_b32 s0, exec_lo
	s_wait_loadcnt_dscnt 0xb0a
	v_mul_f32_e32 v34, v171, v3
	s_wait_loadcnt_dscnt 0xa09
	v_dual_mul_f32 v44, v173, v5 :: v_dual_mul_f32 v217, v175, v7
	v_mul_f32_e32 v3, v172, v3
	v_mul_f32_e32 v5, v174, v5
	s_wait_loadcnt_dscnt 0x908
	v_dual_mul_f32 v218, v177, v9 :: v_dual_mul_f32 v219, v179, v11
	s_wait_loadcnt_dscnt 0x403
	v_mul_f32_e32 v230, v201, v33
	v_fma_f32 v3, v171, v2, -v3
	s_wait_loadcnt_dscnt 0x100
	v_dual_fmac_f32 v34, v172, v2 :: v_dual_mul_f32 v235, v215, v212
	v_mul_f32_e32 v2, v176, v7
	s_delay_alu instid0(VALU_DEP_3) | instskip(SKIP_1) | instid1(VALU_DEP_4)
	v_dual_fmac_f32 v44, v174, v4 :: v_dual_add_f32 v3, 0, v3
	v_fma_f32 v4, v173, v4, -v5
	v_dual_add_f32 v5, 0, v34 :: v_dual_fmac_f32 v218, v178, v8
	v_mul_f32_e32 v7, v178, v9
	v_fmac_f32_e32 v217, v176, v6
	v_fma_f32 v2, v175, v6, -v2
	v_add_f32_e32 v3, v3, v4
	v_add_f32_e32 v4, v5, v44
	v_dual_mul_f32 v220, v181, v13 :: v_dual_mul_f32 v221, v183, v15
	s_delay_alu instid0(VALU_DEP_3) | instskip(SKIP_1) | instid1(VALU_DEP_3)
	v_dual_mul_f32 v5, v180, v11 :: v_dual_add_f32 v2, v3, v2
	v_fma_f32 v6, v177, v8, -v7
	v_dual_add_f32 v3, v4, v217 :: v_dual_fmac_f32 v220, v182, v12
	v_mul_f32_e32 v4, v182, v13
	s_delay_alu instid0(VALU_DEP_4) | instskip(NEXT) | instid1(VALU_DEP_4)
	v_fma_f32 v5, v179, v10, -v5
	v_add_f32_e32 v2, v2, v6
	v_fmac_f32_e32 v219, v180, v10
	v_dual_add_f32 v3, v3, v218 :: v_dual_mul_f32 v6, v184, v15
	v_fma_f32 v4, v181, v12, -v4
	s_delay_alu instid0(VALU_DEP_4) | instskip(SKIP_1) | instid1(VALU_DEP_4)
	v_add_f32_e32 v2, v2, v5
	v_dual_mul_f32 v222, v185, v17 :: v_dual_mul_f32 v223, v187, v19
	v_add_f32_e32 v3, v3, v219
	v_mul_f32_e32 v5, v186, v17
	s_delay_alu instid0(VALU_DEP_3)
	v_dual_fmac_f32 v221, v184, v14 :: v_dual_fmac_f32 v222, v186, v16
	v_fma_f32 v6, v183, v14, -v6
	v_add_f32_e32 v2, v2, v4
	v_dual_add_f32 v3, v3, v220 :: v_dual_mul_f32 v224, v189, v21
	v_mul_f32_e32 v225, v191, v23
	v_mul_f32_e32 v4, v188, v19
	v_fma_f32 v5, v185, v16, -v5
	s_delay_alu instid0(VALU_DEP_4) | instskip(SKIP_3) | instid1(VALU_DEP_4)
	v_dual_add_f32 v2, v2, v6 :: v_dual_add_f32 v3, v3, v221
	v_fmac_f32_e32 v224, v190, v20
	v_dual_mul_f32 v6, v190, v21 :: v_dual_fmac_f32 v223, v188, v18
	v_fma_f32 v4, v187, v18, -v4
	v_dual_add_f32 v2, v2, v5 :: v_dual_add_f32 v3, v3, v222
	v_mul_f32_e32 v5, v192, v23
	s_delay_alu instid0(VALU_DEP_4) | instskip(SKIP_1) | instid1(VALU_DEP_4)
	v_fma_f32 v6, v189, v20, -v6
	v_dual_mul_f32 v226, v193, v25 :: v_dual_mul_f32 v227, v195, v27
	v_dual_add_f32 v2, v2, v4 :: v_dual_add_f32 v3, v3, v223
	v_dual_mul_f32 v4, v194, v25 :: v_dual_fmac_f32 v225, v192, v22
	s_delay_alu instid0(VALU_DEP_3) | instskip(SKIP_1) | instid1(VALU_DEP_4)
	v_fmac_f32_e32 v226, v194, v24
	v_fma_f32 v5, v191, v22, -v5
	v_dual_add_f32 v2, v2, v6 :: v_dual_add_f32 v3, v3, v224
	v_mul_f32_e32 v6, v196, v27
	v_fma_f32 v4, v193, v24, -v4
	v_dual_mul_f32 v228, v197, v29 :: v_dual_mul_f32 v229, v199, v31
	s_delay_alu instid0(VALU_DEP_4) | instskip(SKIP_3) | instid1(VALU_DEP_4)
	v_dual_add_f32 v2, v2, v5 :: v_dual_fmac_f32 v227, v196, v26
	v_add_f32_e32 v3, v3, v225
	v_mul_f32_e32 v5, v198, v29
	v_fma_f32 v6, v195, v26, -v6
	v_add_f32_e32 v2, v2, v4
	s_delay_alu instid0(VALU_DEP_4) | instskip(SKIP_3) | instid1(VALU_DEP_4)
	v_dual_mul_f32 v4, v200, v31 :: v_dual_add_f32 v3, v3, v226
	v_fmac_f32_e32 v228, v198, v28
	v_fma_f32 v5, v197, v28, -v5
	v_dual_mul_f32 v231, v203, v37 :: v_dual_mul_f32 v232, v205, v39
	v_dual_add_f32 v3, v3, v227 :: v_dual_add_f32 v2, v2, v6
	v_dual_mul_f32 v6, v202, v33 :: v_dual_fmac_f32 v229, v200, v30
	v_fma_f32 v4, v199, v30, -v4
	s_delay_alu instid0(VALU_DEP_3) | instskip(SKIP_2) | instid1(VALU_DEP_3)
	v_dual_add_f32 v3, v3, v228 :: v_dual_add_f32 v2, v2, v5
	v_fmac_f32_e32 v231, v204, v36
	v_dual_mul_f32 v5, v204, v37 :: v_dual_fmac_f32 v230, v202, v32
	v_dual_add_f32 v3, v3, v229 :: v_dual_add_f32 v2, v2, v4
	v_fma_f32 v6, v201, v32, -v6
	v_dual_mul_f32 v4, v206, v39 :: v_dual_mul_f32 v233, v207, v41
	s_delay_alu instid0(VALU_DEP_3) | instskip(SKIP_1) | instid1(VALU_DEP_4)
	v_dual_mul_f32 v234, v209, v43 :: v_dual_add_f32 v3, v3, v230
	v_fma_f32 v5, v203, v36, -v5
	v_add_f32_e32 v2, v2, v6
	s_delay_alu instid0(VALU_DEP_4) | instskip(NEXT) | instid1(VALU_DEP_4)
	v_dual_fmac_f32 v232, v206, v38 :: v_dual_fmac_f32 v233, v208, v40
	v_dual_add_f32 v3, v3, v231 :: v_dual_mul_f32 v6, v208, v41
	v_fma_f32 v4, v205, v38, -v4
	s_delay_alu instid0(VALU_DEP_4) | instskip(SKIP_1) | instid1(VALU_DEP_4)
	v_add_f32_e32 v2, v2, v5
	v_mul_f32_e32 v5, v210, v43
	v_add_f32_e32 v3, v3, v232
	v_fma_f32 v6, v207, v40, -v6
	v_dual_fmac_f32 v234, v210, v42 :: v_dual_fmac_f32 v235, v216, v211
	s_delay_alu instid0(VALU_DEP_3) | instskip(SKIP_2) | instid1(VALU_DEP_3)
	v_dual_add_f32 v2, v2, v4 :: v_dual_add_f32 v3, v3, v233
	v_mul_f32_e32 v4, v216, v212
	v_fma_f32 v5, v209, v42, -v5
	v_add_f32_e32 v3, v3, v234
	s_delay_alu instid0(VALU_DEP_4) | instskip(NEXT) | instid1(VALU_DEP_4)
	v_add_f32_e32 v2, v2, v6
	v_fma_f32 v4, v215, v211, -v4
	s_delay_alu instid0(VALU_DEP_2) | instskip(SKIP_1) | instid1(VALU_DEP_1)
	v_dual_add_f32 v3, v3, v235 :: v_dual_add_f32 v2, v2, v5
	s_wait_loadcnt 0x0
	v_sub_f32_e32 v3, v214, v3
	s_delay_alu instid0(VALU_DEP_2) | instskip(NEXT) | instid1(VALU_DEP_1)
	v_add_f32_e32 v2, v2, v4
	v_sub_f32_e32 v2, v213, v2
	scratch_store_b64 off, v[2:3], off offset:328
	v_cmpx_lt_u32_e32 40, v0
	s_cbranch_execz .LBB62_311
; %bb.310:
	scratch_load_b64 v[3:4], off, off offset:320
	v_mov_b32_e32 v2, v1
	scratch_store_b64 off, v[1:2], off offset:320
	s_wait_loadcnt 0x0
	ds_store_b64 v35, v[3:4]
.LBB62_311:
	s_wait_alu 0xfffe
	s_or_b32 exec_lo, exec_lo, s0
	s_wait_storecnt_dscnt 0x0
	s_barrier_signal -1
	s_barrier_wait -1
	global_inv scope:SCOPE_SE
	s_clause 0xb
	scratch_load_b128 v[2:5], off, off offset:328
	scratch_load_b128 v[6:9], off, off offset:344
	;; [unrolled: 1-line block ×11, first 2 shown]
	scratch_load_b64 v[219:220], off, off offset:320
	ds_load_2addr_b64 v[175:178], v1 offset0:105 offset1:106
	ds_load_2addr_b64 v[179:182], v1 offset0:107 offset1:108
	;; [unrolled: 1-line block ×11, first 2 shown]
	s_mov_b32 s0, exec_lo
	s_wait_loadcnt_dscnt 0xb0a
	v_dual_mul_f32 v1, v175, v3 :: v_dual_mul_f32 v34, v177, v5
	s_wait_loadcnt_dscnt 0xa09
	v_dual_mul_f32 v44, v179, v7 :: v_dual_mul_f32 v221, v181, v9
	v_mul_f32_e32 v5, v178, v5
	v_mul_f32_e32 v3, v176, v3
	s_wait_loadcnt_dscnt 0x908
	v_dual_mul_f32 v222, v183, v11 :: v_dual_mul_f32 v223, v185, v13
	v_dual_fmac_f32 v1, v176, v2 :: v_dual_fmac_f32 v34, v178, v4
	s_wait_loadcnt_dscnt 0x201
	v_mul_f32_e32 v236, v211, v41
	v_fma_f32 v3, v175, v2, -v3
	s_wait_loadcnt_dscnt 0x100
	v_dual_mul_f32 v239, v217, v174 :: v_dual_mul_f32 v2, v180, v7
	v_fmac_f32_e32 v44, v180, v6
	v_fma_f32 v4, v177, v4, -v5
	v_dual_add_f32 v3, 0, v3 :: v_dual_fmac_f32 v222, v184, v10
	s_delay_alu instid0(VALU_DEP_4) | instskip(SKIP_2) | instid1(VALU_DEP_4)
	v_fma_f32 v2, v179, v6, -v2
	v_dual_add_f32 v1, 0, v1 :: v_dual_mul_f32 v226, v191, v19
	v_mul_f32_e32 v227, v193, v21
	v_add_f32_e32 v3, v3, v4
	v_dual_mul_f32 v5, v182, v9 :: v_dual_mul_f32 v4, v184, v11
	v_dual_mul_f32 v224, v187, v15 :: v_dual_mul_f32 v225, v189, v17
	s_delay_alu instid0(VALU_DEP_3) | instskip(NEXT) | instid1(VALU_DEP_3)
	v_add_f32_e32 v2, v3, v2
	v_fma_f32 v5, v181, v8, -v5
	s_delay_alu instid0(VALU_DEP_4) | instskip(SKIP_2) | instid1(VALU_DEP_4)
	v_fma_f32 v4, v183, v10, -v4
	v_dual_mul_f32 v3, v186, v13 :: v_dual_fmac_f32 v226, v192, v18
	v_dual_fmac_f32 v221, v182, v8 :: v_dual_fmac_f32 v224, v188, v14
	v_dual_add_f32 v2, v2, v5 :: v_dual_add_f32 v1, v1, v34
	s_delay_alu instid0(VALU_DEP_3) | instskip(SKIP_1) | instid1(VALU_DEP_3)
	v_fma_f32 v3, v185, v12, -v3
	v_dual_mul_f32 v232, v203, v31 :: v_dual_mul_f32 v233, v205, v33
	v_add_f32_e32 v2, v2, v4
	s_delay_alu instid0(VALU_DEP_4) | instskip(SKIP_2) | instid1(VALU_DEP_3)
	v_dual_add_f32 v1, v1, v44 :: v_dual_mul_f32 v4, v190, v17
	v_dual_fmac_f32 v223, v186, v12 :: v_dual_mul_f32 v228, v195, v23
	v_mul_f32_e32 v229, v197, v25
	v_dual_add_f32 v1, v1, v221 :: v_dual_add_f32 v2, v2, v3
	s_delay_alu instid0(VALU_DEP_4) | instskip(SKIP_3) | instid1(VALU_DEP_3)
	v_fma_f32 v4, v189, v16, -v4
	v_mul_f32_e32 v5, v188, v15
	v_dual_mul_f32 v230, v199, v27 :: v_dual_mul_f32 v231, v201, v29
	v_dual_fmac_f32 v232, v204, v30 :: v_dual_fmac_f32 v225, v190, v16
	v_fma_f32 v5, v187, v14, -v5
	v_add_f32_e32 v1, v1, v222
	v_fmac_f32_e32 v228, v196, v22
	v_fmac_f32_e32 v230, v200, v26
	v_dual_mul_f32 v234, v207, v37 :: v_dual_mul_f32 v235, v209, v39
	v_add_f32_e32 v2, v2, v5
	v_mul_f32_e32 v5, v194, v21
	v_dual_mul_f32 v237, v213, v43 :: v_dual_mul_f32 v238, v215, v172
	v_fmac_f32_e32 v229, v198, v24
	s_delay_alu instid0(VALU_DEP_4) | instskip(NEXT) | instid1(VALU_DEP_4)
	v_add_f32_e32 v2, v2, v4
	v_fma_f32 v5, v193, v20, -v5
	v_mul_f32_e32 v3, v192, v19
	v_mul_f32_e32 v4, v196, v23
	v_dual_add_f32 v1, v1, v223 :: v_dual_fmac_f32 v234, v208, v36
	v_fmac_f32_e32 v238, v216, v171
	s_delay_alu instid0(VALU_DEP_4) | instskip(NEXT) | instid1(VALU_DEP_4)
	v_fma_f32 v3, v191, v18, -v3
	v_fma_f32 v4, v195, v22, -v4
	s_delay_alu instid0(VALU_DEP_4)
	v_add_f32_e32 v1, v1, v224
	v_fmac_f32_e32 v227, v194, v20
	v_fmac_f32_e32 v231, v202, v28
	v_add_f32_e32 v2, v2, v3
	v_mul_f32_e32 v3, v198, v25
	v_fmac_f32_e32 v233, v206, v32
	v_fmac_f32_e32 v235, v210, v38
	;; [unrolled: 1-line block ×3, first 2 shown]
	v_add_f32_e32 v2, v2, v5
	v_add_f32_e32 v1, v1, v225
	v_fma_f32 v3, v197, v24, -v3
	v_dual_fmac_f32 v239, v218, v173 :: v_dual_fmac_f32 v236, v212, v40
	s_delay_alu instid0(VALU_DEP_3) | instskip(SKIP_1) | instid1(VALU_DEP_2)
	v_dual_add_f32 v2, v2, v4 :: v_dual_add_f32 v1, v1, v226
	v_mul_f32_e32 v4, v202, v29
	v_add_f32_e32 v2, v2, v3
	s_delay_alu instid0(VALU_DEP_2) | instskip(SKIP_1) | instid1(VALU_DEP_1)
	v_fma_f32 v4, v201, v28, -v4
	v_mul_f32_e32 v5, v200, v27
	v_fma_f32 v5, v199, v26, -v5
	s_delay_alu instid0(VALU_DEP_1) | instskip(SKIP_1) | instid1(VALU_DEP_2)
	v_dual_mul_f32 v3, v204, v31 :: v_dual_add_f32 v2, v2, v5
	v_mul_f32_e32 v5, v206, v33
	v_fma_f32 v3, v203, v30, -v3
	s_delay_alu instid0(VALU_DEP_3) | instskip(SKIP_1) | instid1(VALU_DEP_4)
	v_add_f32_e32 v2, v2, v4
	v_mul_f32_e32 v4, v208, v37
	v_fma_f32 v5, v205, v32, -v5
	s_delay_alu instid0(VALU_DEP_3) | instskip(SKIP_1) | instid1(VALU_DEP_4)
	v_add_f32_e32 v2, v2, v3
	v_add_f32_e32 v1, v1, v227
	v_fma_f32 v4, v207, v36, -v4
	v_mul_f32_e32 v3, v210, v39
	s_delay_alu instid0(VALU_DEP_3) | instskip(SKIP_1) | instid1(VALU_DEP_3)
	v_dual_add_f32 v2, v2, v5 :: v_dual_add_f32 v1, v1, v228
	v_mul_f32_e32 v5, v212, v41
	v_fma_f32 v3, v209, v38, -v3
	s_delay_alu instid0(VALU_DEP_3) | instskip(NEXT) | instid1(VALU_DEP_4)
	v_add_f32_e32 v2, v2, v4
	v_dual_mul_f32 v4, v214, v43 :: v_dual_add_f32 v1, v1, v229
	s_delay_alu instid0(VALU_DEP_4) | instskip(NEXT) | instid1(VALU_DEP_3)
	v_fma_f32 v5, v211, v40, -v5
	v_dual_add_f32 v2, v2, v3 :: v_dual_mul_f32 v3, v216, v172
	s_delay_alu instid0(VALU_DEP_3) | instskip(NEXT) | instid1(VALU_DEP_4)
	v_add_f32_e32 v1, v1, v230
	v_fma_f32 v4, v213, v42, -v4
	s_delay_alu instid0(VALU_DEP_3) | instskip(SKIP_1) | instid1(VALU_DEP_4)
	v_add_f32_e32 v2, v2, v5
	v_mul_f32_e32 v5, v218, v174
	v_add_f32_e32 v1, v1, v231
	v_fma_f32 v3, v215, v171, -v3
	s_delay_alu instid0(VALU_DEP_4) | instskip(NEXT) | instid1(VALU_DEP_4)
	v_add_f32_e32 v2, v2, v4
	v_fma_f32 v4, v217, v173, -v5
	s_delay_alu instid0(VALU_DEP_2) | instskip(NEXT) | instid1(VALU_DEP_1)
	v_dual_add_f32 v1, v1, v232 :: v_dual_add_f32 v2, v2, v3
	v_dual_add_f32 v1, v1, v233 :: v_dual_add_f32 v2, v2, v4
	s_delay_alu instid0(VALU_DEP_1) | instskip(NEXT) | instid1(VALU_DEP_1)
	v_add_f32_e32 v1, v1, v234
	v_add_f32_e32 v1, v1, v235
	s_delay_alu instid0(VALU_DEP_1) | instskip(NEXT) | instid1(VALU_DEP_1)
	v_add_f32_e32 v1, v1, v236
	v_add_f32_e32 v1, v1, v237
	;; [unrolled: 3-line block ×3, first 2 shown]
	s_wait_loadcnt 0x0
	s_delay_alu instid0(VALU_DEP_1)
	v_dual_sub_f32 v1, v219, v2 :: v_dual_sub_f32 v2, v220, v3
	scratch_store_b64 off, v[1:2], off offset:320
	v_cmpx_lt_u32_e32 39, v0
	s_cbranch_execz .LBB62_313
; %bb.312:
	scratch_load_b64 v[1:2], off, off offset:312
	v_mov_b32_e32 v3, 0
	s_delay_alu instid0(VALU_DEP_1)
	v_mov_b32_e32 v4, v3
	scratch_store_b64 off, v[3:4], off offset:312
	s_wait_loadcnt 0x0
	ds_store_b64 v35, v[1:2]
.LBB62_313:
	s_wait_alu 0xfffe
	s_or_b32 exec_lo, exec_lo, s0
	s_wait_storecnt_dscnt 0x0
	s_barrier_signal -1
	s_barrier_wait -1
	global_inv scope:SCOPE_SE
	s_clause 0xc
	scratch_load_b128 v[2:5], off, off offset:320
	scratch_load_b128 v[6:9], off, off offset:336
	;; [unrolled: 1-line block ×11, first 2 shown]
	scratch_load_b64 v[219:220], off, off offset:496
	scratch_load_b64 v[221:222], off, off offset:312
	v_mov_b32_e32 v1, 0
	ds_load_b128 v[175:178], v1 offset:832
	ds_load_b128 v[179:182], v1 offset:848
	;; [unrolled: 1-line block ×11, first 2 shown]
	ds_load_b64 v[223:224], v1 offset:1008
	s_mov_b32 s0, exec_lo
	s_wait_loadcnt_dscnt 0xc0b
	v_mul_f32_e32 v34, v175, v3
	s_wait_loadcnt_dscnt 0xb0a
	v_dual_mul_f32 v44, v177, v5 :: v_dual_mul_f32 v225, v179, v7
	v_mul_f32_e32 v3, v176, v3
	v_mul_f32_e32 v5, v178, v5
	s_wait_loadcnt_dscnt 0xa09
	v_dual_mul_f32 v226, v181, v9 :: v_dual_mul_f32 v227, v183, v11
	s_wait_loadcnt_dscnt 0x504
	v_mul_f32_e32 v238, v205, v33
	v_fma_f32 v3, v175, v2, -v3
	v_fmac_f32_e32 v34, v176, v2
	s_wait_loadcnt_dscnt 0x100
	v_dual_mul_f32 v2, v180, v7 :: v_dual_mul_f32 v245, v223, v220
	s_delay_alu instid0(VALU_DEP_3)
	v_dual_fmac_f32 v44, v178, v4 :: v_dual_add_f32 v3, 0, v3
	v_fma_f32 v4, v177, v4, -v5
	v_dual_add_f32 v5, 0, v34 :: v_dual_fmac_f32 v226, v182, v8
	v_mul_f32_e32 v7, v182, v9
	v_fmac_f32_e32 v225, v180, v6
	v_fma_f32 v2, v179, v6, -v2
	v_add_f32_e32 v3, v3, v4
	v_add_f32_e32 v4, v5, v44
	v_dual_mul_f32 v228, v185, v13 :: v_dual_mul_f32 v229, v187, v15
	s_delay_alu instid0(VALU_DEP_3) | instskip(SKIP_1) | instid1(VALU_DEP_3)
	v_dual_mul_f32 v5, v184, v11 :: v_dual_add_f32 v2, v3, v2
	v_fma_f32 v6, v181, v8, -v7
	v_dual_add_f32 v3, v4, v225 :: v_dual_fmac_f32 v228, v186, v12
	v_mul_f32_e32 v4, v186, v13
	s_delay_alu instid0(VALU_DEP_4) | instskip(NEXT) | instid1(VALU_DEP_4)
	v_fma_f32 v5, v183, v10, -v5
	v_add_f32_e32 v2, v2, v6
	v_fmac_f32_e32 v227, v184, v10
	v_dual_add_f32 v3, v3, v226 :: v_dual_mul_f32 v6, v188, v15
	v_fma_f32 v4, v185, v12, -v4
	s_delay_alu instid0(VALU_DEP_4) | instskip(SKIP_1) | instid1(VALU_DEP_4)
	v_add_f32_e32 v2, v2, v5
	v_dual_mul_f32 v230, v189, v17 :: v_dual_mul_f32 v231, v191, v19
	v_add_f32_e32 v3, v3, v227
	v_mul_f32_e32 v5, v190, v17
	s_delay_alu instid0(VALU_DEP_3)
	v_dual_fmac_f32 v229, v188, v14 :: v_dual_fmac_f32 v230, v190, v16
	v_fma_f32 v6, v187, v14, -v6
	v_add_f32_e32 v2, v2, v4
	v_dual_add_f32 v3, v3, v228 :: v_dual_mul_f32 v232, v193, v21
	v_mul_f32_e32 v233, v195, v23
	v_mul_f32_e32 v4, v192, v19
	v_fma_f32 v5, v189, v16, -v5
	s_delay_alu instid0(VALU_DEP_4) | instskip(SKIP_3) | instid1(VALU_DEP_4)
	v_dual_add_f32 v2, v2, v6 :: v_dual_add_f32 v3, v3, v229
	v_fmac_f32_e32 v232, v194, v20
	v_dual_mul_f32 v6, v194, v21 :: v_dual_fmac_f32 v231, v192, v18
	v_fma_f32 v4, v191, v18, -v4
	v_dual_add_f32 v2, v2, v5 :: v_dual_add_f32 v3, v3, v230
	v_mul_f32_e32 v5, v196, v23
	s_delay_alu instid0(VALU_DEP_4) | instskip(SKIP_1) | instid1(VALU_DEP_4)
	v_fma_f32 v6, v193, v20, -v6
	v_dual_mul_f32 v234, v197, v25 :: v_dual_mul_f32 v235, v199, v27
	v_dual_add_f32 v2, v2, v4 :: v_dual_add_f32 v3, v3, v231
	v_dual_mul_f32 v4, v198, v25 :: v_dual_fmac_f32 v233, v196, v22
	s_delay_alu instid0(VALU_DEP_3) | instskip(SKIP_1) | instid1(VALU_DEP_4)
	v_fmac_f32_e32 v234, v198, v24
	v_fma_f32 v5, v195, v22, -v5
	v_dual_add_f32 v2, v2, v6 :: v_dual_add_f32 v3, v3, v232
	v_mul_f32_e32 v6, v200, v27
	v_fma_f32 v4, v197, v24, -v4
	v_dual_mul_f32 v236, v201, v29 :: v_dual_mul_f32 v237, v203, v31
	s_delay_alu instid0(VALU_DEP_4) | instskip(SKIP_3) | instid1(VALU_DEP_4)
	v_dual_add_f32 v2, v2, v5 :: v_dual_fmac_f32 v235, v200, v26
	v_add_f32_e32 v3, v3, v233
	v_mul_f32_e32 v5, v202, v29
	v_fma_f32 v6, v199, v26, -v6
	v_add_f32_e32 v2, v2, v4
	s_delay_alu instid0(VALU_DEP_4) | instskip(SKIP_3) | instid1(VALU_DEP_4)
	v_dual_mul_f32 v4, v204, v31 :: v_dual_add_f32 v3, v3, v234
	v_fmac_f32_e32 v236, v202, v28
	v_fma_f32 v5, v201, v28, -v5
	v_dual_mul_f32 v239, v207, v37 :: v_dual_mul_f32 v240, v209, v39
	v_dual_add_f32 v3, v3, v235 :: v_dual_add_f32 v2, v2, v6
	v_dual_mul_f32 v6, v206, v33 :: v_dual_fmac_f32 v237, v204, v30
	v_fma_f32 v4, v203, v30, -v4
	s_delay_alu instid0(VALU_DEP_3) | instskip(SKIP_2) | instid1(VALU_DEP_3)
	v_dual_add_f32 v3, v3, v236 :: v_dual_add_f32 v2, v2, v5
	v_fmac_f32_e32 v239, v208, v36
	v_dual_mul_f32 v5, v208, v37 :: v_dual_fmac_f32 v238, v206, v32
	v_dual_add_f32 v3, v3, v237 :: v_dual_add_f32 v2, v2, v4
	v_fma_f32 v6, v205, v32, -v6
	v_dual_mul_f32 v4, v210, v39 :: v_dual_mul_f32 v241, v211, v41
	s_delay_alu instid0(VALU_DEP_3) | instskip(SKIP_1) | instid1(VALU_DEP_4)
	v_dual_mul_f32 v242, v213, v43 :: v_dual_add_f32 v3, v3, v238
	v_fma_f32 v5, v207, v36, -v5
	v_add_f32_e32 v2, v2, v6
	s_delay_alu instid0(VALU_DEP_4) | instskip(NEXT) | instid1(VALU_DEP_4)
	v_dual_fmac_f32 v240, v210, v38 :: v_dual_fmac_f32 v241, v212, v40
	v_dual_add_f32 v3, v3, v239 :: v_dual_mul_f32 v6, v212, v41
	v_fma_f32 v4, v209, v38, -v4
	s_delay_alu instid0(VALU_DEP_4) | instskip(NEXT) | instid1(VALU_DEP_3)
	v_dual_add_f32 v2, v2, v5 :: v_dual_mul_f32 v243, v215, v172
	v_dual_mul_f32 v244, v217, v174 :: v_dual_add_f32 v3, v3, v240
	v_mul_f32_e32 v5, v214, v43
	v_fma_f32 v6, v211, v40, -v6
	s_delay_alu instid0(VALU_DEP_4) | instskip(SKIP_3) | instid1(VALU_DEP_4)
	v_add_f32_e32 v2, v2, v4
	v_dual_fmac_f32 v242, v214, v42 :: v_dual_fmac_f32 v243, v216, v171
	v_dual_add_f32 v3, v3, v241 :: v_dual_mul_f32 v4, v216, v172
	v_fma_f32 v5, v213, v42, -v5
	v_add_f32_e32 v2, v2, v6
	s_delay_alu instid0(VALU_DEP_3) | instskip(SKIP_2) | instid1(VALU_DEP_4)
	v_dual_fmac_f32 v244, v218, v173 :: v_dual_add_f32 v3, v3, v242
	v_mul_f32_e32 v6, v218, v174
	v_fma_f32 v4, v215, v171, -v4
	v_dual_add_f32 v2, v2, v5 :: v_dual_fmac_f32 v245, v224, v219
	s_delay_alu instid0(VALU_DEP_4) | instskip(SKIP_2) | instid1(VALU_DEP_3)
	v_add_f32_e32 v3, v3, v243
	v_mul_f32_e32 v5, v224, v220
	v_fma_f32 v6, v217, v173, -v6
	v_add_f32_e32 v3, v3, v244
	v_add_f32_e32 v2, v2, v4
	s_delay_alu instid0(VALU_DEP_4) | instskip(NEXT) | instid1(VALU_DEP_2)
	v_fma_f32 v4, v223, v219, -v5
	v_dual_add_f32 v3, v3, v245 :: v_dual_add_f32 v2, v2, v6
	s_wait_loadcnt 0x0
	s_delay_alu instid0(VALU_DEP_1) | instskip(NEXT) | instid1(VALU_DEP_2)
	v_sub_f32_e32 v3, v222, v3
	v_add_f32_e32 v2, v2, v4
	s_delay_alu instid0(VALU_DEP_1)
	v_sub_f32_e32 v2, v221, v2
	scratch_store_b64 off, v[2:3], off offset:312
	v_cmpx_lt_u32_e32 38, v0
	s_cbranch_execz .LBB62_315
; %bb.314:
	scratch_load_b64 v[3:4], off, off offset:304
	v_mov_b32_e32 v2, v1
	scratch_store_b64 off, v[1:2], off offset:304
	s_wait_loadcnt 0x0
	ds_store_b64 v35, v[3:4]
.LBB62_315:
	s_wait_alu 0xfffe
	s_or_b32 exec_lo, exec_lo, s0
	s_wait_storecnt_dscnt 0x0
	s_barrier_signal -1
	s_barrier_wait -1
	global_inv scope:SCOPE_SE
	s_clause 0xc
	scratch_load_b128 v[2:5], off, off offset:312
	scratch_load_b128 v[6:9], off, off offset:328
	;; [unrolled: 1-line block ×12, first 2 shown]
	scratch_load_b64 v[227:228], off, off offset:304
	ds_load_2addr_b64 v[179:182], v1 offset0:103 offset1:104
	ds_load_2addr_b64 v[183:186], v1 offset0:105 offset1:106
	;; [unrolled: 1-line block ×12, first 2 shown]
	s_mov_b32 s0, exec_lo
	s_wait_loadcnt_dscnt 0xc0b
	v_dual_mul_f32 v1, v179, v3 :: v_dual_mul_f32 v34, v181, v5
	s_wait_loadcnt_dscnt 0xb0a
	v_dual_mul_f32 v44, v183, v7 :: v_dual_mul_f32 v229, v185, v9
	;; [unrolled: 2-line block ×3, first 2 shown]
	v_mul_f32_e32 v231, v189, v13
	v_mul_f32_e32 v3, v180, v3
	v_dual_fmac_f32 v1, v180, v2 :: v_dual_fmac_f32 v34, v182, v4
	s_wait_loadcnt_dscnt 0x100
	v_dual_mul_f32 v246, v219, v172 :: v_dual_mul_f32 v249, v225, v178
	s_delay_alu instid0(VALU_DEP_3) | instskip(SKIP_3) | instid1(VALU_DEP_4)
	v_fma_f32 v3, v179, v2, -v3
	v_mul_f32_e32 v2, v184, v7
	v_fmac_f32_e32 v44, v184, v6
	v_fma_f32 v4, v181, v4, -v5
	v_dual_fmac_f32 v230, v188, v10 :: v_dual_add_f32 v3, 0, v3
	s_delay_alu instid0(VALU_DEP_4) | instskip(SKIP_2) | instid1(VALU_DEP_4)
	v_fma_f32 v2, v183, v6, -v2
	v_dual_add_f32 v1, 0, v1 :: v_dual_mul_f32 v234, v195, v19
	v_mul_f32_e32 v235, v197, v21
	v_add_f32_e32 v3, v3, v4
	v_dual_mul_f32 v5, v186, v9 :: v_dual_mul_f32 v4, v188, v11
	v_dual_mul_f32 v232, v191, v15 :: v_dual_mul_f32 v233, v193, v17
	s_delay_alu instid0(VALU_DEP_3) | instskip(NEXT) | instid1(VALU_DEP_3)
	v_add_f32_e32 v2, v3, v2
	v_fma_f32 v5, v185, v8, -v5
	s_delay_alu instid0(VALU_DEP_4) | instskip(SKIP_2) | instid1(VALU_DEP_4)
	v_fma_f32 v4, v187, v10, -v4
	v_dual_mul_f32 v3, v190, v13 :: v_dual_fmac_f32 v234, v196, v18
	v_dual_fmac_f32 v229, v186, v8 :: v_dual_fmac_f32 v232, v192, v14
	v_dual_add_f32 v2, v2, v5 :: v_dual_add_f32 v1, v1, v34
	s_delay_alu instid0(VALU_DEP_3) | instskip(SKIP_1) | instid1(VALU_DEP_3)
	v_fma_f32 v3, v189, v12, -v3
	v_dual_mul_f32 v240, v207, v31 :: v_dual_mul_f32 v241, v209, v33
	v_add_f32_e32 v2, v2, v4
	s_delay_alu instid0(VALU_DEP_4) | instskip(SKIP_2) | instid1(VALU_DEP_3)
	v_dual_add_f32 v1, v1, v44 :: v_dual_mul_f32 v4, v194, v17
	v_dual_fmac_f32 v231, v190, v12 :: v_dual_mul_f32 v236, v199, v23
	v_mul_f32_e32 v237, v201, v25
	v_dual_add_f32 v1, v1, v229 :: v_dual_add_f32 v2, v2, v3
	s_delay_alu instid0(VALU_DEP_4) | instskip(SKIP_3) | instid1(VALU_DEP_3)
	v_fma_f32 v4, v193, v16, -v4
	v_mul_f32_e32 v5, v192, v15
	v_dual_mul_f32 v238, v203, v27 :: v_dual_mul_f32 v239, v205, v29
	v_dual_fmac_f32 v240, v208, v30 :: v_dual_fmac_f32 v233, v194, v16
	v_fma_f32 v5, v191, v14, -v5
	v_add_f32_e32 v1, v1, v230
	s_delay_alu instid0(VALU_DEP_4)
	v_fmac_f32_e32 v238, v204, v26
	v_fmac_f32_e32 v236, v200, v22
	v_dual_mul_f32 v242, v211, v37 :: v_dual_mul_f32 v243, v213, v39
	v_add_f32_e32 v2, v2, v5
	v_mul_f32_e32 v5, v198, v21
	v_dual_fmac_f32 v237, v202, v24 :: v_dual_fmac_f32 v246, v220, v171
	v_fmac_f32_e32 v235, v198, v20
	s_delay_alu instid0(VALU_DEP_4) | instskip(NEXT) | instid1(VALU_DEP_4)
	v_add_f32_e32 v2, v2, v4
	v_fma_f32 v5, v197, v20, -v5
	v_mul_f32_e32 v3, v196, v19
	v_mul_f32_e32 v4, v200, v23
	v_dual_add_f32 v1, v1, v231 :: v_dual_fmac_f32 v242, v212, v36
	v_dual_mul_f32 v244, v215, v41 :: v_dual_mul_f32 v245, v217, v43
	s_delay_alu instid0(VALU_DEP_4) | instskip(NEXT) | instid1(VALU_DEP_3)
	v_fma_f32 v3, v195, v18, -v3
	v_add_f32_e32 v1, v1, v232
	v_fma_f32 v4, v199, v22, -v4
	v_dual_mul_f32 v247, v221, v174 :: v_dual_mul_f32 v248, v223, v176
	s_delay_alu instid0(VALU_DEP_4) | instskip(SKIP_2) | instid1(VALU_DEP_4)
	v_add_f32_e32 v2, v2, v3
	v_mul_f32_e32 v3, v202, v25
	v_fmac_f32_e32 v239, v206, v28
	v_dual_fmac_f32 v241, v210, v32 :: v_dual_fmac_f32 v248, v224, v175
	s_delay_alu instid0(VALU_DEP_4) | instskip(SKIP_4) | instid1(VALU_DEP_4)
	v_add_f32_e32 v2, v2, v5
	v_add_f32_e32 v1, v1, v233
	v_fma_f32 v3, v201, v24, -v3
	v_fmac_f32_e32 v243, v214, v38
	v_fmac_f32_e32 v245, v218, v42
	v_dual_add_f32 v2, v2, v4 :: v_dual_add_f32 v1, v1, v234
	v_mul_f32_e32 v4, v206, v29
	v_fmac_f32_e32 v249, v226, v177
	v_fmac_f32_e32 v247, v222, v173
	s_delay_alu instid0(VALU_DEP_4) | instskip(SKIP_3) | instid1(VALU_DEP_1)
	v_add_f32_e32 v2, v2, v3
	v_fmac_f32_e32 v244, v216, v40
	v_fma_f32 v4, v205, v28, -v4
	v_mul_f32_e32 v5, v204, v27
	v_fma_f32 v5, v203, v26, -v5
	s_delay_alu instid0(VALU_DEP_1) | instskip(SKIP_1) | instid1(VALU_DEP_2)
	v_dual_mul_f32 v3, v208, v31 :: v_dual_add_f32 v2, v2, v5
	v_mul_f32_e32 v5, v210, v33
	v_fma_f32 v3, v207, v30, -v3
	s_delay_alu instid0(VALU_DEP_3) | instskip(SKIP_1) | instid1(VALU_DEP_4)
	v_add_f32_e32 v2, v2, v4
	v_mul_f32_e32 v4, v212, v37
	v_fma_f32 v5, v209, v32, -v5
	s_delay_alu instid0(VALU_DEP_3) | instskip(SKIP_1) | instid1(VALU_DEP_4)
	v_add_f32_e32 v2, v2, v3
	v_add_f32_e32 v1, v1, v235
	v_fma_f32 v4, v211, v36, -v4
	v_mul_f32_e32 v3, v214, v39
	s_delay_alu instid0(VALU_DEP_3) | instskip(SKIP_1) | instid1(VALU_DEP_3)
	v_dual_add_f32 v2, v2, v5 :: v_dual_add_f32 v1, v1, v236
	v_mul_f32_e32 v5, v216, v41
	v_fma_f32 v3, v213, v38, -v3
	s_delay_alu instid0(VALU_DEP_3) | instskip(NEXT) | instid1(VALU_DEP_4)
	v_add_f32_e32 v2, v2, v4
	v_dual_mul_f32 v4, v218, v43 :: v_dual_add_f32 v1, v1, v237
	s_delay_alu instid0(VALU_DEP_4) | instskip(NEXT) | instid1(VALU_DEP_3)
	v_fma_f32 v5, v215, v40, -v5
	v_dual_add_f32 v2, v2, v3 :: v_dual_mul_f32 v3, v220, v172
	s_delay_alu instid0(VALU_DEP_3) | instskip(NEXT) | instid1(VALU_DEP_4)
	v_add_f32_e32 v1, v1, v238
	v_fma_f32 v4, v217, v42, -v4
	s_delay_alu instid0(VALU_DEP_3) | instskip(SKIP_1) | instid1(VALU_DEP_4)
	v_add_f32_e32 v2, v2, v5
	v_mul_f32_e32 v5, v222, v174
	v_add_f32_e32 v1, v1, v239
	v_fma_f32 v3, v219, v171, -v3
	s_delay_alu instid0(VALU_DEP_4) | instskip(SKIP_1) | instid1(VALU_DEP_4)
	v_add_f32_e32 v2, v2, v4
	v_mul_f32_e32 v4, v224, v176
	v_add_f32_e32 v1, v1, v240
	v_fma_f32 v5, v221, v173, -v5
	s_delay_alu instid0(VALU_DEP_4) | instskip(SKIP_1) | instid1(VALU_DEP_4)
	v_add_f32_e32 v2, v2, v3
	v_mul_f32_e32 v3, v226, v178
	v_add_f32_e32 v1, v1, v241
	v_fma_f32 v4, v223, v175, -v4
	s_delay_alu instid0(VALU_DEP_4) | instskip(NEXT) | instid1(VALU_DEP_4)
	v_add_f32_e32 v2, v2, v5
	v_fma_f32 v3, v225, v177, -v3
	s_delay_alu instid0(VALU_DEP_2) | instskip(NEXT) | instid1(VALU_DEP_1)
	v_dual_add_f32 v1, v1, v242 :: v_dual_add_f32 v2, v2, v4
	v_add_f32_e32 v1, v1, v243
	s_delay_alu instid0(VALU_DEP_1) | instskip(NEXT) | instid1(VALU_DEP_1)
	v_dual_add_f32 v2, v2, v3 :: v_dual_add_f32 v1, v1, v244
	v_add_f32_e32 v1, v1, v245
	s_delay_alu instid0(VALU_DEP_1) | instskip(NEXT) | instid1(VALU_DEP_1)
	v_add_f32_e32 v1, v1, v246
	v_add_f32_e32 v1, v1, v247
	s_delay_alu instid0(VALU_DEP_1) | instskip(NEXT) | instid1(VALU_DEP_1)
	v_add_f32_e32 v1, v1, v248
	v_add_f32_e32 v3, v1, v249
	s_wait_loadcnt 0x0
	s_delay_alu instid0(VALU_DEP_1)
	v_dual_sub_f32 v1, v227, v2 :: v_dual_sub_f32 v2, v228, v3
	scratch_store_b64 off, v[1:2], off offset:304
	v_cmpx_lt_u32_e32 37, v0
	s_cbranch_execz .LBB62_317
; %bb.316:
	scratch_load_b64 v[1:2], off, off offset:296
	v_mov_b32_e32 v3, 0
	s_delay_alu instid0(VALU_DEP_1)
	v_mov_b32_e32 v4, v3
	scratch_store_b64 off, v[3:4], off offset:296
	s_wait_loadcnt 0x0
	ds_store_b64 v35, v[1:2]
.LBB62_317:
	s_wait_alu 0xfffe
	s_or_b32 exec_lo, exec_lo, s0
	s_wait_storecnt_dscnt 0x0
	s_barrier_signal -1
	s_barrier_wait -1
	global_inv scope:SCOPE_SE
	s_clause 0x4
	scratch_load_b128 v[2:5], off, off offset:304
	scratch_load_b128 v[6:9], off, off offset:320
	;; [unrolled: 1-line block ×5, first 2 shown]
	v_mov_b32_e32 v1, 0
	ds_load_b128 v[22:25], v1 offset:816
	ds_load_b128 v[26:29], v1 offset:832
	;; [unrolled: 1-line block ×3, first 2 shown]
	scratch_load_b64 v[36:37], off, off offset:296
	s_mov_b32 s0, exec_lo
	s_wait_loadcnt_dscnt 0x502
	v_mul_f32_e32 v34, v23, v3
	v_dual_mul_f32 v38, v22, v3 :: v_dual_mul_f32 v39, v24, v5
	v_mul_f32_e32 v3, v25, v5
	s_wait_loadcnt_dscnt 0x300
	v_mul_f32_e32 v40, v32, v13
	v_fma_f32 v22, v22, v2, -v34
	v_dual_fmac_f32 v38, v23, v2 :: v_dual_fmac_f32 v39, v25, v4
	v_fma_f32 v23, v24, v4, -v3
	ds_load_b128 v[2:5], v1 offset:864
	v_mul_f32_e32 v24, v26, v7
	v_mul_f32_e32 v7, v27, v7
	v_dual_mul_f32 v25, v28, v9 :: v_dual_mul_f32 v34, v30, v11
	s_delay_alu instid0(VALU_DEP_3) | instskip(SKIP_2) | instid1(VALU_DEP_4)
	v_dual_mul_f32 v9, v29, v9 :: v_dual_fmac_f32 v24, v27, v6
	v_dual_mul_f32 v11, v31, v11 :: v_dual_fmac_f32 v40, v33, v12
	v_mul_f32_e32 v13, v33, v13
	v_dual_fmac_f32 v25, v29, v8 :: v_dual_fmac_f32 v34, v31, v10
	s_delay_alu instid0(VALU_DEP_4) | instskip(NEXT) | instid1(VALU_DEP_4)
	v_fma_f32 v27, v28, v8, -v9
	v_fma_f32 v28, v30, v10, -v11
	s_delay_alu instid0(VALU_DEP_4)
	v_fma_f32 v29, v32, v12, -v13
	ds_load_b128 v[10:13], v1 offset:880
	v_fma_f32 v26, v26, v6, -v7
	scratch_load_b128 v[6:9], off, off offset:384
	s_wait_loadcnt_dscnt 0x301
	v_mul_f32_e32 v30, v2, v15
	v_mul_f32_e32 v15, v3, v15
	;; [unrolled: 1-line block ×3, first 2 shown]
	s_delay_alu instid0(VALU_DEP_3) | instskip(NEXT) | instid1(VALU_DEP_3)
	v_dual_mul_f32 v17, v5, v17 :: v_dual_fmac_f32 v30, v3, v14
	v_fma_f32 v14, v2, v14, -v15
	s_wait_loadcnt_dscnt 0x200
	s_delay_alu instid0(VALU_DEP_3) | instskip(NEXT) | instid1(VALU_DEP_3)
	v_dual_fmac_f32 v31, v5, v16 :: v_dual_mul_f32 v32, v10, v19
	v_fma_f32 v15, v4, v16, -v17
	v_dual_mul_f32 v16, v11, v19 :: v_dual_mul_f32 v19, v12, v21
	s_delay_alu instid0(VALU_DEP_3)
	v_dual_mul_f32 v17, v13, v21 :: v_dual_fmac_f32 v32, v11, v18
	ds_load_b128 v[2:5], v1 offset:896
	v_fma_f32 v18, v10, v18, -v16
	v_fmac_f32_e32 v19, v13, v20
	v_fma_f32 v20, v12, v20, -v17
	scratch_load_b128 v[10:13], off, off offset:400
	s_wait_loadcnt_dscnt 0x100
	v_mul_f32_e32 v21, v2, v7
	v_mul_f32_e32 v7, v3, v7
	;; [unrolled: 1-line block ×4, first 2 shown]
	s_delay_alu instid0(VALU_DEP_4) | instskip(NEXT) | instid1(VALU_DEP_4)
	v_fmac_f32_e32 v21, v3, v6
	v_fma_f32 v41, v2, v6, -v7
	s_delay_alu instid0(VALU_DEP_4) | instskip(NEXT) | instid1(VALU_DEP_4)
	v_fmac_f32_e32 v33, v5, v8
	v_fma_f32 v42, v4, v8, -v9
	ds_load_b128 v[2:5], v1 offset:912
	ds_load_b128 v[6:9], v1 offset:928
	s_wait_loadcnt_dscnt 0x1
	v_mul_f32_e32 v43, v2, v11
	v_dual_mul_f32 v11, v3, v11 :: v_dual_mul_f32 v44, v4, v13
	s_delay_alu instid0(VALU_DEP_2) | instskip(NEXT) | instid1(VALU_DEP_2)
	v_fmac_f32_e32 v43, v3, v10
	v_fma_f32 v171, v2, v10, -v11
	v_mul_f32_e32 v2, v5, v13
	s_delay_alu instid0(VALU_DEP_4) | instskip(NEXT) | instid1(VALU_DEP_2)
	v_fmac_f32_e32 v44, v5, v12
	v_fma_f32 v172, v4, v12, -v2
	s_clause 0x1
	scratch_load_b128 v[2:5], off, off offset:416
	scratch_load_b128 v[10:13], off, off offset:432
	s_wait_loadcnt_dscnt 0x100
	v_mul_f32_e32 v173, v6, v3
	v_mul_f32_e32 v3, v7, v3
	s_delay_alu instid0(VALU_DEP_2) | instskip(NEXT) | instid1(VALU_DEP_2)
	v_fmac_f32_e32 v173, v7, v2
	v_fma_f32 v174, v6, v2, -v3
	v_dual_mul_f32 v2, v9, v5 :: v_dual_add_f32 v7, 0, v38
	s_delay_alu instid0(VALU_DEP_1) | instskip(SKIP_1) | instid1(VALU_DEP_1)
	v_fma_f32 v176, v8, v4, -v2
	v_add_f32_e32 v2, 0, v22
	v_add_f32_e32 v6, v2, v23
	s_delay_alu instid0(VALU_DEP_1) | instskip(NEXT) | instid1(VALU_DEP_1)
	v_add_f32_e32 v6, v6, v26
	v_add_f32_e32 v16, v6, v27
	scratch_load_b64 v[26:27], off, off offset:496
	v_add_f32_e32 v16, v16, v28
	s_delay_alu instid0(VALU_DEP_1) | instskip(NEXT) | instid1(VALU_DEP_1)
	v_add_f32_e32 v16, v16, v29
	v_add_f32_e32 v14, v16, v14
	s_delay_alu instid0(VALU_DEP_1) | instskip(NEXT) | instid1(VALU_DEP_1)
	v_add_f32_e32 v23, v14, v15
	v_add_f32_e32 v18, v23, v18
	s_delay_alu instid0(VALU_DEP_1) | instskip(NEXT) | instid1(VALU_DEP_1)
	v_dual_add_f32 v7, v7, v39 :: v_dual_add_f32 v18, v18, v20
	v_dual_add_f32 v7, v7, v24 :: v_dual_add_f32 v18, v18, v41
	s_delay_alu instid0(VALU_DEP_1) | instskip(NEXT) | instid1(VALU_DEP_1)
	v_dual_add_f32 v17, v7, v25 :: v_dual_add_f32 v18, v18, v42
	v_dual_add_f32 v17, v17, v34 :: v_dual_add_f32 v28, v18, v171
	s_delay_alu instid0(VALU_DEP_1) | instskip(NEXT) | instid1(VALU_DEP_1)
	v_add_f32_e32 v17, v17, v40
	v_dual_mul_f32 v175, v8, v5 :: v_dual_add_f32 v22, v17, v30
	s_delay_alu instid0(VALU_DEP_1)
	v_fmac_f32_e32 v175, v9, v4
	ds_load_b128 v[2:5], v1 offset:944
	ds_load_b128 v[6:9], v1 offset:960
	v_add_f32_e32 v30, v28, v172
	scratch_load_b128 v[14:17], off, off offset:480
	v_add_f32_e32 v22, v22, v31
	v_add_f32_e32 v30, v30, v174
	s_delay_alu instid0(VALU_DEP_2) | instskip(NEXT) | instid1(VALU_DEP_1)
	v_add_f32_e32 v22, v22, v32
	v_add_f32_e32 v19, v22, v19
	s_wait_loadcnt_dscnt 0x201
	v_mul_f32_e32 v38, v2, v11
	v_dual_mul_f32 v11, v3, v11 :: v_dual_mul_f32 v34, v4, v13
	s_delay_alu instid0(VALU_DEP_2) | instskip(NEXT) | instid1(VALU_DEP_2)
	v_dual_mul_f32 v13, v5, v13 :: v_dual_fmac_f32 v38, v3, v10
	v_fma_f32 v39, v2, v10, -v11
	s_delay_alu instid0(VALU_DEP_3) | instskip(NEXT) | instid1(VALU_DEP_3)
	v_fmac_f32_e32 v34, v5, v12
	v_fma_f32 v177, v4, v12, -v13
	s_clause 0x1
	scratch_load_b128 v[2:5], off, off offset:448
	scratch_load_b128 v[10:13], off, off offset:464
	v_dual_add_f32 v19, v19, v21 :: v_dual_add_f32 v30, v30, v176
	s_wait_loadcnt_dscnt 0x100
	v_mul_f32_e32 v32, v6, v3
	s_delay_alu instid0(VALU_DEP_2)
	v_add_f32_e32 v22, v19, v33
	ds_load_b128 v[18:21], v1 offset:976
	v_mul_f32_e32 v3, v7, v3
	v_add_f32_e32 v30, v30, v39
	v_dual_fmac_f32 v32, v7, v2 :: v_dual_add_f32 v29, v22, v43
	ds_load_b128 v[22:25], v1 offset:992
	v_mul_f32_e32 v33, v8, v5
	v_add_f32_e32 v30, v30, v177
	v_fma_f32 v3, v6, v2, -v3
	v_add_f32_e32 v31, v29, v44
	ds_load_b64 v[28:29], v1 offset:1008
	v_mul_f32_e32 v5, v9, v5
	v_add_f32_e32 v3, v30, v3
	v_add_f32_e32 v31, v31, v173
	s_wait_loadcnt_dscnt 0x2
	v_dual_mul_f32 v39, v18, v11 :: v_dual_mul_f32 v6, v21, v13
	s_wait_dscnt 0x1
	v_mul_f32_e32 v40, v22, v15
	v_add_f32_e32 v31, v31, v175
	v_fmac_f32_e32 v33, v9, v4
	v_fma_f32 v6, v20, v12, -v6
	v_fmac_f32_e32 v39, v19, v10
	v_fmac_f32_e32 v40, v23, v14
	v_dual_add_f32 v31, v31, v38 :: v_dual_mul_f32 v38, v20, v13
	s_delay_alu instid0(VALU_DEP_1) | instskip(SKIP_4) | instid1(VALU_DEP_3)
	v_dual_fmac_f32 v38, v21, v12 :: v_dual_add_f32 v31, v31, v34
	s_wait_dscnt 0x0
	v_mul_f32_e32 v34, v28, v27
	v_fma_f32 v2, v8, v4, -v5
	v_dual_mul_f32 v4, v19, v11 :: v_dual_mul_f32 v41, v24, v17
	v_fmac_f32_e32 v34, v29, v26
	s_delay_alu instid0(VALU_DEP_3) | instskip(NEXT) | instid1(VALU_DEP_3)
	v_add_f32_e32 v2, v3, v2
	v_fma_f32 v4, v18, v10, -v4
	s_delay_alu instid0(VALU_DEP_1) | instskip(SKIP_1) | instid1(VALU_DEP_2)
	v_add_f32_e32 v2, v2, v4
	v_dual_add_f32 v5, v31, v32 :: v_dual_mul_f32 v4, v25, v17
	v_add_f32_e32 v2, v2, v6
	v_mul_f32_e32 v6, v29, v27
	s_delay_alu instid0(VALU_DEP_3) | instskip(NEXT) | instid1(VALU_DEP_4)
	v_fma_f32 v4, v24, v16, -v4
	v_add_f32_e32 v3, v5, v33
	v_mul_f32_e32 v5, v23, v15
	s_delay_alu instid0(VALU_DEP_1) | instskip(NEXT) | instid1(VALU_DEP_1)
	v_fma_f32 v5, v22, v14, -v5
	v_dual_fmac_f32 v41, v25, v16 :: v_dual_add_f32 v2, v2, v5
	v_fma_f32 v5, v28, v26, -v6
	s_delay_alu instid0(VALU_DEP_2) | instskip(NEXT) | instid1(VALU_DEP_1)
	v_dual_add_f32 v2, v2, v4 :: v_dual_add_f32 v3, v3, v39
	v_dual_add_f32 v2, v2, v5 :: v_dual_add_f32 v3, v3, v38
	s_delay_alu instid0(VALU_DEP_1) | instskip(NEXT) | instid1(VALU_DEP_1)
	v_dual_sub_f32 v2, v36, v2 :: v_dual_add_f32 v3, v3, v40
	v_add_f32_e32 v3, v3, v41
	s_delay_alu instid0(VALU_DEP_1) | instskip(NEXT) | instid1(VALU_DEP_1)
	v_add_f32_e32 v3, v3, v34
	v_sub_f32_e32 v3, v37, v3
	scratch_store_b64 off, v[2:3], off offset:296
	v_cmpx_lt_u32_e32 36, v0
	s_cbranch_execz .LBB62_319
; %bb.318:
	scratch_load_b64 v[3:4], off, off offset:288
	v_mov_b32_e32 v2, v1
	scratch_store_b64 off, v[1:2], off offset:288
	s_wait_loadcnt 0x0
	ds_store_b64 v35, v[3:4]
.LBB62_319:
	s_wait_alu 0xfffe
	s_or_b32 exec_lo, exec_lo, s0
	s_wait_storecnt_dscnt 0x0
	s_barrier_signal -1
	s_barrier_wait -1
	global_inv scope:SCOPE_SE
	s_clause 0x4
	scratch_load_b128 v[2:5], off, off offset:296
	scratch_load_b128 v[6:9], off, off offset:312
	;; [unrolled: 1-line block ×5, first 2 shown]
	ds_load_2addr_b64 v[22:25], v1 offset0:101 offset1:102
	ds_load_2addr_b64 v[26:29], v1 offset0:103 offset1:104
	;; [unrolled: 1-line block ×3, first 2 shown]
	scratch_load_b64 v[36:37], off, off offset:288
	s_mov_b32 s0, exec_lo
	s_wait_loadcnt_dscnt 0x502
	v_dual_mul_f32 v34, v23, v3 :: v_dual_mul_f32 v39, v24, v5
	v_dual_mul_f32 v38, v22, v3 :: v_dual_mul_f32 v3, v25, v5
	s_wait_loadcnt_dscnt 0x300
	v_mul_f32_e32 v40, v32, v13
	s_delay_alu instid0(VALU_DEP_3) | instskip(NEXT) | instid1(VALU_DEP_3)
	v_fma_f32 v22, v22, v2, -v34
	v_dual_fmac_f32 v39, v25, v4 :: v_dual_fmac_f32 v38, v23, v2
	v_fma_f32 v23, v24, v4, -v3
	ds_load_2addr_b64 v[2:5], v1 offset0:107 offset1:108
	v_dual_mul_f32 v24, v26, v7 :: v_dual_mul_f32 v25, v28, v9
	v_mul_f32_e32 v7, v27, v7
	v_dual_mul_f32 v9, v29, v9 :: v_dual_mul_f32 v34, v30, v11
	v_dual_mul_f32 v11, v31, v11 :: v_dual_fmac_f32 v40, v33, v12
	s_delay_alu instid0(VALU_DEP_4) | instskip(SKIP_1) | instid1(VALU_DEP_4)
	v_dual_mul_f32 v13, v33, v13 :: v_dual_fmac_f32 v24, v27, v6
	v_fmac_f32_e32 v25, v29, v8
	v_fma_f32 v27, v28, v8, -v9
	v_fmac_f32_e32 v34, v31, v10
	v_fma_f32 v28, v30, v10, -v11
	v_fma_f32 v29, v32, v12, -v13
	ds_load_2addr_b64 v[10:13], v1 offset0:109 offset1:110
	v_fma_f32 v26, v26, v6, -v7
	scratch_load_b128 v[6:9], off, off offset:376
	s_wait_loadcnt_dscnt 0x301
	v_dual_mul_f32 v30, v2, v15 :: v_dual_mul_f32 v31, v4, v17
	v_mul_f32_e32 v15, v3, v15
	s_delay_alu instid0(VALU_DEP_2) | instskip(NEXT) | instid1(VALU_DEP_3)
	v_dual_mul_f32 v17, v5, v17 :: v_dual_fmac_f32 v30, v3, v14
	v_fmac_f32_e32 v31, v5, v16
	s_delay_alu instid0(VALU_DEP_2)
	v_fma_f32 v33, v4, v16, -v17
	s_wait_loadcnt_dscnt 0x200
	v_mul_f32_e32 v42, v12, v21
	v_fma_f32 v32, v2, v14, -v15
	v_mul_f32_e32 v41, v10, v19
	v_dual_mul_f32 v14, v11, v19 :: v_dual_mul_f32 v15, v13, v21
	ds_load_2addr_b64 v[2:5], v1 offset0:111 offset1:112
	v_dual_fmac_f32 v42, v13, v20 :: v_dual_fmac_f32 v41, v11, v18
	v_fma_f32 v18, v10, v18, -v14
	v_fma_f32 v19, v12, v20, -v15
	scratch_load_b128 v[10:13], off, off offset:392
	s_wait_loadcnt_dscnt 0x100
	v_dual_mul_f32 v44, v4, v9 :: v_dual_mul_f32 v43, v2, v7
	v_mul_f32_e32 v7, v3, v7
	v_mul_f32_e32 v9, v5, v9
	s_delay_alu instid0(VALU_DEP_3) | instskip(NEXT) | instid1(VALU_DEP_3)
	v_dual_fmac_f32 v44, v5, v8 :: v_dual_fmac_f32 v43, v3, v6
	v_fma_f32 v171, v2, v6, -v7
	s_delay_alu instid0(VALU_DEP_3)
	v_fma_f32 v172, v4, v8, -v9
	ds_load_2addr_b64 v[2:5], v1 offset0:113 offset1:114
	ds_load_2addr_b64 v[6:9], v1 offset0:115 offset1:116
	s_wait_loadcnt_dscnt 0x1
	v_mul_f32_e32 v173, v2, v11
	v_dual_mul_f32 v11, v3, v11 :: v_dual_mul_f32 v174, v4, v13
	s_delay_alu instid0(VALU_DEP_1) | instskip(NEXT) | instid1(VALU_DEP_3)
	v_fma_f32 v175, v2, v10, -v11
	v_dual_mul_f32 v2, v5, v13 :: v_dual_fmac_f32 v173, v3, v10
	s_delay_alu instid0(VALU_DEP_3) | instskip(NEXT) | instid1(VALU_DEP_2)
	v_fmac_f32_e32 v174, v5, v12
	v_fma_f32 v176, v4, v12, -v2
	s_clause 0x1
	scratch_load_b128 v[2:5], off, off offset:408
	scratch_load_b128 v[10:13], off, off offset:424
	s_wait_loadcnt_dscnt 0x100
	v_mul_f32_e32 v177, v6, v3
	v_mul_f32_e32 v3, v7, v3
	s_delay_alu instid0(VALU_DEP_1) | instskip(SKIP_1) | instid1(VALU_DEP_1)
	v_fma_f32 v178, v6, v2, -v3
	v_add_f32_e32 v3, 0, v38
	v_dual_mul_f32 v179, v8, v5 :: v_dual_add_f32 v6, v3, v39
	s_delay_alu instid0(VALU_DEP_1) | instskip(NEXT) | instid1(VALU_DEP_2)
	v_fmac_f32_e32 v179, v9, v4
	v_dual_add_f32 v14, v6, v24 :: v_dual_fmac_f32 v177, v7, v2
	v_mul_f32_e32 v2, v9, v5
	s_delay_alu instid0(VALU_DEP_2) | instskip(NEXT) | instid1(VALU_DEP_2)
	v_add_f32_e32 v14, v14, v25
	v_fma_f32 v180, v8, v4, -v2
	v_add_f32_e32 v2, 0, v22
	s_delay_alu instid0(VALU_DEP_3) | instskip(NEXT) | instid1(VALU_DEP_2)
	v_add_f32_e32 v14, v14, v34
	v_add_f32_e32 v2, v2, v23
	s_delay_alu instid0(VALU_DEP_1)
	v_add_f32_e32 v7, v2, v26
	ds_load_2addr_b64 v[2:5], v1 offset0:117 offset1:118
	v_add_f32_e32 v21, v14, v40
	v_add_f32_e32 v15, v7, v27
	scratch_load_b128 v[6:9], off, off offset:440
	v_add_f32_e32 v21, v21, v30
	s_delay_alu instid0(VALU_DEP_1) | instskip(NEXT) | instid1(VALU_DEP_1)
	v_add_f32_e32 v21, v21, v31
	v_dual_add_f32 v15, v15, v28 :: v_dual_add_f32 v22, v21, v41
	s_delay_alu instid0(VALU_DEP_1)
	v_add_f32_e32 v20, v15, v29
	ds_load_2addr_b64 v[14:17], v1 offset0:119 offset1:120
	s_wait_loadcnt_dscnt 0x101
	v_mul_f32_e32 v26, v2, v11
	v_dual_mul_f32 v11, v3, v11 :: v_dual_add_f32 v22, v22, v42
	v_add_f32_e32 v20, v20, v32
	v_mul_f32_e32 v27, v4, v13
	s_delay_alu instid0(VALU_DEP_4) | instskip(NEXT) | instid1(VALU_DEP_4)
	v_dual_mul_f32 v13, v5, v13 :: v_dual_fmac_f32 v26, v3, v10
	v_fma_f32 v28, v2, v10, -v11
	s_delay_alu instid0(VALU_DEP_4) | instskip(SKIP_1) | instid1(VALU_DEP_4)
	v_add_f32_e32 v20, v20, v33
	v_add_f32_e32 v22, v22, v43
	v_fma_f32 v29, v4, v12, -v13
	s_delay_alu instid0(VALU_DEP_3) | instskip(NEXT) | instid1(VALU_DEP_1)
	v_add_f32_e32 v18, v20, v18
	v_add_f32_e32 v23, v18, v19
	scratch_load_b128 v[18:21], off, off offset:488
	v_add_f32_e32 v23, v23, v171
	s_delay_alu instid0(VALU_DEP_1)
	v_add_f32_e32 v23, v23, v172
	v_fmac_f32_e32 v27, v5, v12
	s_clause 0x1
	scratch_load_b128 v[2:5], off, off offset:456
	scratch_load_b128 v[10:13], off, off offset:472
	s_wait_loadcnt_dscnt 0x300
	v_mul_f32_e32 v30, v14, v7
	v_mul_f32_e32 v7, v15, v7
	s_delay_alu instid0(VALU_DEP_2) | instskip(NEXT) | instid1(VALU_DEP_2)
	v_fmac_f32_e32 v30, v15, v6
	v_fma_f32 v32, v14, v6, -v7
	v_add_f32_e32 v14, v22, v44
	s_delay_alu instid0(VALU_DEP_1) | instskip(SKIP_1) | instid1(VALU_DEP_2)
	v_dual_add_f32 v22, v23, v175 :: v_dual_add_f32 v23, v14, v173
	v_mul_f32_e32 v31, v16, v9
	v_dual_mul_f32 v9, v17, v9 :: v_dual_add_f32 v34, v22, v176
	s_delay_alu instid0(VALU_DEP_2) | instskip(NEXT) | instid1(VALU_DEP_2)
	v_dual_add_f32 v38, v23, v174 :: v_dual_fmac_f32 v31, v17, v8
	v_fma_f32 v33, v16, v8, -v9
	ds_load_2addr_b64 v[6:9], v1 offset0:121 offset1:122
	ds_load_2addr_b64 v[14:17], v1 offset0:123 offset1:124
	;; [unrolled: 1-line block ×3, first 2 shown]
	v_add_f32_e32 v1, v34, v178
	v_add_f32_e32 v34, v38, v177
	s_delay_alu instid0(VALU_DEP_1) | instskip(NEXT) | instid1(VALU_DEP_1)
	v_add_f32_e32 v34, v34, v179
	v_add_f32_e32 v26, v34, v26
	s_delay_alu instid0(VALU_DEP_1) | instskip(NEXT) | instid1(VALU_DEP_1)
	v_add_f32_e32 v26, v26, v27
	v_add_f32_e32 v26, v26, v30
	s_wait_loadcnt_dscnt 0x102
	v_mul_f32_e32 v38, v6, v3
	s_wait_loadcnt_dscnt 0x1
	v_dual_mul_f32 v34, v14, v11 :: v_dual_mul_f32 v39, v16, v13
	s_delay_alu instid0(VALU_DEP_2) | instskip(SKIP_1) | instid1(VALU_DEP_3)
	v_fmac_f32_e32 v38, v7, v2
	v_mul_f32_e32 v3, v7, v3
	v_fmac_f32_e32 v34, v15, v10
	s_delay_alu instid0(VALU_DEP_2) | instskip(SKIP_1) | instid1(VALU_DEP_1)
	v_fma_f32 v3, v6, v2, -v3
	v_dual_mul_f32 v6, v15, v11 :: v_dual_add_f32 v1, v1, v180
	v_dual_add_f32 v2, v26, v31 :: v_dual_add_f32 v1, v1, v28
	s_wait_dscnt 0x0
	v_dual_mul_f32 v28, v8, v5 :: v_dual_mul_f32 v27, v22, v19
	s_delay_alu instid0(VALU_DEP_2) | instskip(NEXT) | instid1(VALU_DEP_3)
	v_dual_add_f32 v2, v2, v38 :: v_dual_mul_f32 v5, v9, v5
	v_add_f32_e32 v1, v1, v29
	s_delay_alu instid0(VALU_DEP_3) | instskip(NEXT) | instid1(VALU_DEP_3)
	v_dual_fmac_f32 v28, v9, v4 :: v_dual_mul_f32 v29, v24, v21
	v_fma_f32 v4, v8, v4, -v5
	s_delay_alu instid0(VALU_DEP_3) | instskip(NEXT) | instid1(VALU_DEP_3)
	v_add_f32_e32 v1, v1, v32
	v_add_f32_e32 v2, v2, v28
	s_delay_alu instid0(VALU_DEP_4) | instskip(SKIP_1) | instid1(VALU_DEP_3)
	v_fmac_f32_e32 v29, v25, v20
	v_fma_f32 v5, v14, v10, -v6
	v_dual_add_f32 v1, v1, v33 :: v_dual_add_f32 v2, v2, v34
	v_fmac_f32_e32 v27, v23, v18
	v_fmac_f32_e32 v39, v17, v12
	s_delay_alu instid0(VALU_DEP_1) | instskip(NEXT) | instid1(VALU_DEP_1)
	v_add_f32_e32 v2, v2, v39
	v_add_f32_e32 v2, v2, v27
	;; [unrolled: 1-line block ×3, first 2 shown]
	v_mul_f32_e32 v3, v17, v13
	s_delay_alu instid0(VALU_DEP_2) | instskip(SKIP_1) | instid1(VALU_DEP_3)
	v_dual_add_f32 v2, v2, v29 :: v_dual_add_f32 v1, v1, v4
	v_mul_f32_e32 v4, v23, v19
	v_fma_f32 v3, v16, v12, -v3
	s_delay_alu instid0(VALU_DEP_3) | instskip(NEXT) | instid1(VALU_DEP_4)
	v_sub_f32_e32 v2, v37, v2
	v_add_f32_e32 v1, v1, v5
	v_mul_f32_e32 v5, v25, v21
	v_fma_f32 v4, v22, v18, -v4
	s_delay_alu instid0(VALU_DEP_3) | instskip(NEXT) | instid1(VALU_DEP_3)
	v_add_f32_e32 v1, v1, v3
	v_fma_f32 v3, v24, v20, -v5
	s_delay_alu instid0(VALU_DEP_2) | instskip(NEXT) | instid1(VALU_DEP_1)
	v_add_f32_e32 v1, v1, v4
	v_add_f32_e32 v1, v1, v3
	s_delay_alu instid0(VALU_DEP_1)
	v_sub_f32_e32 v1, v36, v1
	scratch_store_b64 off, v[1:2], off offset:288
	v_cmpx_lt_u32_e32 35, v0
	s_cbranch_execz .LBB62_321
; %bb.320:
	scratch_load_b64 v[1:2], off, off offset:280
	v_mov_b32_e32 v3, 0
	s_delay_alu instid0(VALU_DEP_1)
	v_mov_b32_e32 v4, v3
	scratch_store_b64 off, v[3:4], off offset:280
	s_wait_loadcnt 0x0
	ds_store_b64 v35, v[1:2]
.LBB62_321:
	s_wait_alu 0xfffe
	s_or_b32 exec_lo, exec_lo, s0
	s_wait_storecnt_dscnt 0x0
	s_barrier_signal -1
	s_barrier_wait -1
	global_inv scope:SCOPE_SE
	s_clause 0x4
	scratch_load_b128 v[2:5], off, off offset:288
	scratch_load_b128 v[6:9], off, off offset:304
	;; [unrolled: 1-line block ×5, first 2 shown]
	v_mov_b32_e32 v1, 0
	ds_load_b128 v[22:25], v1 offset:800
	ds_load_b128 v[26:29], v1 offset:816
	;; [unrolled: 1-line block ×3, first 2 shown]
	scratch_load_b64 v[36:37], off, off offset:280
	s_mov_b32 s0, exec_lo
	s_wait_loadcnt_dscnt 0x502
	v_mul_f32_e32 v34, v23, v3
	v_dual_mul_f32 v38, v22, v3 :: v_dual_mul_f32 v39, v24, v5
	v_mul_f32_e32 v3, v25, v5
	s_wait_loadcnt_dscnt 0x300
	v_mul_f32_e32 v40, v32, v13
	v_fma_f32 v22, v22, v2, -v34
	v_dual_fmac_f32 v38, v23, v2 :: v_dual_fmac_f32 v39, v25, v4
	v_fma_f32 v23, v24, v4, -v3
	v_mul_f32_e32 v24, v26, v7
	v_mul_f32_e32 v7, v27, v7
	v_dual_mul_f32 v25, v28, v9 :: v_dual_mul_f32 v34, v30, v11
	s_delay_alu instid0(VALU_DEP_3) | instskip(NEXT) | instid1(VALU_DEP_3)
	v_dual_mul_f32 v9, v29, v9 :: v_dual_fmac_f32 v24, v27, v6
	v_fma_f32 v26, v26, v6, -v7
	s_delay_alu instid0(VALU_DEP_3) | instskip(NEXT) | instid1(VALU_DEP_3)
	v_dual_fmac_f32 v25, v29, v8 :: v_dual_fmac_f32 v34, v31, v10
	v_fma_f32 v27, v28, v8, -v9
	scratch_load_b128 v[6:9], off, off offset:368
	ds_load_b128 v[2:5], v1 offset:848
	v_dual_mul_f32 v11, v31, v11 :: v_dual_fmac_f32 v40, v33, v12
	v_mul_f32_e32 v13, v33, v13
	s_delay_alu instid0(VALU_DEP_2) | instskip(NEXT) | instid1(VALU_DEP_2)
	v_fma_f32 v28, v30, v10, -v11
	v_fma_f32 v29, v32, v12, -v13
	ds_load_b128 v[10:13], v1 offset:864
	s_wait_loadcnt_dscnt 0x301
	v_mul_f32_e32 v30, v2, v15
	v_mul_f32_e32 v15, v3, v15
	;; [unrolled: 1-line block ×3, first 2 shown]
	s_delay_alu instid0(VALU_DEP_3) | instskip(SKIP_1) | instid1(VALU_DEP_2)
	v_dual_mul_f32 v17, v5, v17 :: v_dual_fmac_f32 v30, v3, v14
	s_wait_loadcnt_dscnt 0x200
	v_dual_fmac_f32 v31, v5, v16 :: v_dual_mul_f32 v42, v12, v21
	v_fma_f32 v32, v2, v14, -v15
	v_mul_f32_e32 v14, v11, v19
	v_fma_f32 v33, v4, v16, -v17
	ds_load_b128 v[2:5], v1 offset:880
	v_dual_mul_f32 v41, v10, v19 :: v_dual_fmac_f32 v42, v13, v20
	v_mul_f32_e32 v15, v13, v21
	s_delay_alu instid0(VALU_DEP_1) | instskip(SKIP_1) | instid1(VALU_DEP_3)
	v_fma_f32 v19, v12, v20, -v15
	s_wait_loadcnt_dscnt 0x0
	v_dual_mul_f32 v44, v4, v9 :: v_dual_fmac_f32 v41, v11, v18
	v_fma_f32 v18, v10, v18, -v14
	scratch_load_b128 v[10:13], off, off offset:384
	v_mul_f32_e32 v43, v2, v7
	v_mul_f32_e32 v7, v3, v7
	;; [unrolled: 1-line block ×3, first 2 shown]
	s_delay_alu instid0(VALU_DEP_3) | instskip(NEXT) | instid1(VALU_DEP_3)
	v_dual_fmac_f32 v44, v5, v8 :: v_dual_fmac_f32 v43, v3, v6
	v_fma_f32 v171, v2, v6, -v7
	s_delay_alu instid0(VALU_DEP_3)
	v_fma_f32 v172, v4, v8, -v9
	ds_load_b128 v[2:5], v1 offset:896
	ds_load_b128 v[6:9], v1 offset:912
	s_wait_loadcnt_dscnt 0x1
	v_mul_f32_e32 v173, v2, v11
	v_dual_mul_f32 v11, v3, v11 :: v_dual_mul_f32 v174, v4, v13
	s_delay_alu instid0(VALU_DEP_2) | instskip(NEXT) | instid1(VALU_DEP_2)
	v_fmac_f32_e32 v173, v3, v10
	v_fma_f32 v175, v2, v10, -v11
	v_mul_f32_e32 v2, v5, v13
	s_delay_alu instid0(VALU_DEP_4) | instskip(NEXT) | instid1(VALU_DEP_2)
	v_fmac_f32_e32 v174, v5, v12
	v_fma_f32 v176, v4, v12, -v2
	s_clause 0x1
	scratch_load_b128 v[2:5], off, off offset:400
	scratch_load_b128 v[10:13], off, off offset:416
	s_wait_loadcnt_dscnt 0x100
	v_mul_f32_e32 v177, v6, v3
	v_mul_f32_e32 v3, v7, v3
	s_delay_alu instid0(VALU_DEP_2) | instskip(NEXT) | instid1(VALU_DEP_2)
	v_fmac_f32_e32 v177, v7, v2
	v_fma_f32 v178, v6, v2, -v3
	v_dual_mul_f32 v2, v9, v5 :: v_dual_add_f32 v3, 0, v38
	v_mul_f32_e32 v179, v8, v5
	s_delay_alu instid0(VALU_DEP_2) | instskip(SKIP_1) | instid1(VALU_DEP_3)
	v_fma_f32 v180, v8, v4, -v2
	v_add_f32_e32 v2, 0, v22
	v_dual_add_f32 v6, v3, v39 :: v_dual_fmac_f32 v179, v9, v4
	s_delay_alu instid0(VALU_DEP_2) | instskip(NEXT) | instid1(VALU_DEP_2)
	v_add_f32_e32 v2, v2, v23
	v_add_f32_e32 v14, v6, v24
	s_delay_alu instid0(VALU_DEP_2)
	v_add_f32_e32 v7, v2, v26
	scratch_load_b128 v[2:5], off, off offset:432
	v_dual_add_f32 v14, v14, v25 :: v_dual_add_f32 v15, v7, v27
	ds_load_b128 v[6:9], v1 offset:928
	v_add_f32_e32 v14, v14, v34
	scratch_load_b64 v[26:27], off, off offset:496
	v_add_f32_e32 v15, v15, v28
	s_delay_alu instid0(VALU_DEP_1) | instskip(SKIP_2) | instid1(VALU_DEP_1)
	v_dual_add_f32 v21, v14, v40 :: v_dual_add_f32 v20, v15, v29
	ds_load_b128 v[14:17], v1 offset:944
	v_add_f32_e32 v20, v20, v32
	v_add_f32_e32 v20, v20, v33
	s_wait_loadcnt_dscnt 0x201
	v_mul_f32_e32 v32, v6, v11
	s_delay_alu instid0(VALU_DEP_2) | instskip(NEXT) | instid1(VALU_DEP_2)
	v_add_f32_e32 v18, v20, v18
	v_fmac_f32_e32 v32, v7, v10
	v_dual_add_f32 v21, v21, v30 :: v_dual_mul_f32 v30, v8, v13
	s_delay_alu instid0(VALU_DEP_1) | instskip(NEXT) | instid1(VALU_DEP_2)
	v_add_f32_e32 v21, v21, v31
	v_dual_mul_f32 v11, v7, v11 :: v_dual_fmac_f32 v30, v9, v12
	s_delay_alu instid0(VALU_DEP_2) | instskip(SKIP_1) | instid1(VALU_DEP_3)
	v_add_f32_e32 v22, v21, v41
	v_mul_f32_e32 v13, v9, v13
	v_fma_f32 v33, v6, v10, -v11
	s_delay_alu instid0(VALU_DEP_3) | instskip(NEXT) | instid1(VALU_DEP_3)
	v_add_f32_e32 v22, v22, v42
	v_fma_f32 v34, v8, v12, -v13
	s_clause 0x1
	scratch_load_b128 v[6:9], off, off offset:448
	scratch_load_b128 v[10:13], off, off offset:464
	v_add_f32_e32 v23, v18, v19
	scratch_load_b128 v[18:21], off, off offset:480
	v_add_f32_e32 v22, v22, v43
	s_delay_alu instid0(VALU_DEP_1) | instskip(SKIP_4) | instid1(VALU_DEP_2)
	v_add_f32_e32 v22, v22, v44
	s_wait_loadcnt_dscnt 0x400
	v_mul_f32_e32 v31, v14, v3
	v_dual_mul_f32 v3, v15, v3 :: v_dual_mul_f32 v38, v16, v5
	v_add_f32_e32 v23, v23, v171
	v_fma_f32 v39, v14, v2, -v3
	s_delay_alu instid0(VALU_DEP_3) | instskip(NEXT) | instid1(VALU_DEP_3)
	v_fmac_f32_e32 v38, v17, v4
	v_dual_add_f32 v23, v23, v172 :: v_dual_add_f32 v14, v22, v173
	s_delay_alu instid0(VALU_DEP_1) | instskip(NEXT) | instid1(VALU_DEP_1)
	v_add_f32_e32 v22, v14, v174
	v_add_f32_e32 v29, v22, v177
	s_delay_alu instid0(VALU_DEP_1) | instskip(NEXT) | instid1(VALU_DEP_1)
	v_dual_fmac_f32 v31, v15, v2 :: v_dual_add_f32 v42, v29, v179
	v_dual_add_f32 v23, v23, v175 :: v_dual_add_f32 v32, v42, v32
	s_delay_alu instid0(VALU_DEP_1) | instskip(NEXT) | instid1(VALU_DEP_1)
	v_dual_mul_f32 v5, v17, v5 :: v_dual_add_f32 v30, v32, v30
	v_fma_f32 v40, v16, v4, -v5
	ds_load_b128 v[2:5], v1 offset:960
	v_add_f32_e32 v15, v23, v176
	ds_load_b128 v[22:25], v1 offset:992
	v_add_f32_e32 v30, v30, v31
	v_add_f32_e32 v28, v15, v178
	ds_load_b128 v[14:17], v1 offset:976
	v_dual_add_f32 v30, v30, v38 :: v_dual_add_f32 v41, v28, v180
	ds_load_b64 v[28:29], v1 offset:1008
	v_add_f32_e32 v33, v41, v33
	s_wait_loadcnt_dscnt 0x203
	v_mul_f32_e32 v41, v2, v7
	s_delay_alu instid0(VALU_DEP_2) | instskip(SKIP_1) | instid1(VALU_DEP_2)
	v_add_f32_e32 v33, v33, v34
	v_dual_mul_f32 v7, v3, v7 :: v_dual_mul_f32 v32, v4, v9
	v_add_f32_e32 v33, v33, v39
	s_wait_loadcnt_dscnt 0x101
	v_dual_mul_f32 v34, v14, v11 :: v_dual_mul_f32 v9, v5, v9
	s_delay_alu instid0(VALU_DEP_3)
	v_fma_f32 v2, v2, v6, -v7
	v_dual_mul_f32 v31, v16, v13 :: v_dual_fmac_f32 v32, v5, v8
	v_add_f32_e32 v33, v33, v40
	s_wait_loadcnt 0x0
	v_dual_mul_f32 v39, v22, v19 :: v_dual_mul_f32 v40, v24, v21
	v_dual_fmac_f32 v41, v3, v6 :: v_dual_mul_f32 v6, v17, v13
	s_delay_alu instid0(VALU_DEP_3) | instskip(SKIP_2) | instid1(VALU_DEP_4)
	v_add_f32_e32 v2, v33, v2
	v_fmac_f32_e32 v34, v15, v10
	v_fma_f32 v3, v4, v8, -v9
	v_dual_mul_f32 v4, v15, v11 :: v_dual_add_f32 v5, v30, v41
	v_fma_f32 v6, v16, v12, -v6
	s_wait_dscnt 0x0
	v_mul_f32_e32 v38, v28, v27
	v_add_f32_e32 v2, v2, v3
	v_fma_f32 v4, v14, v10, -v4
	v_fmac_f32_e32 v40, v25, v20
	s_delay_alu instid0(VALU_DEP_4) | instskip(NEXT) | instid1(VALU_DEP_3)
	v_fmac_f32_e32 v38, v29, v26
	v_add_f32_e32 v2, v2, v4
	v_fmac_f32_e32 v31, v17, v12
	v_mul_f32_e32 v4, v25, v21
	s_delay_alu instid0(VALU_DEP_3) | instskip(SKIP_4) | instid1(VALU_DEP_2)
	v_add_f32_e32 v2, v2, v6
	v_mul_f32_e32 v6, v29, v27
	v_add_f32_e32 v3, v5, v32
	v_mul_f32_e32 v5, v23, v19
	v_fma_f32 v4, v24, v20, -v4
	v_fma_f32 v5, v22, v18, -v5
	s_delay_alu instid0(VALU_DEP_1) | instskip(SKIP_2) | instid1(VALU_DEP_3)
	v_dual_add_f32 v2, v2, v5 :: v_dual_add_f32 v3, v3, v34
	v_fmac_f32_e32 v39, v23, v18
	v_fma_f32 v5, v28, v26, -v6
	v_dual_add_f32 v2, v2, v4 :: v_dual_add_f32 v3, v3, v31
	s_delay_alu instid0(VALU_DEP_1) | instskip(NEXT) | instid1(VALU_DEP_1)
	v_dual_add_f32 v2, v2, v5 :: v_dual_add_f32 v3, v3, v39
	v_dual_sub_f32 v2, v36, v2 :: v_dual_add_f32 v3, v3, v40
	s_delay_alu instid0(VALU_DEP_1) | instskip(NEXT) | instid1(VALU_DEP_1)
	v_add_f32_e32 v3, v3, v38
	v_sub_f32_e32 v3, v37, v3
	scratch_store_b64 off, v[2:3], off offset:280
	v_cmpx_lt_u32_e32 34, v0
	s_cbranch_execz .LBB62_323
; %bb.322:
	scratch_load_b64 v[3:4], off, off offset:272
	v_mov_b32_e32 v2, v1
	scratch_store_b64 off, v[1:2], off offset:272
	s_wait_loadcnt 0x0
	ds_store_b64 v35, v[3:4]
.LBB62_323:
	s_wait_alu 0xfffe
	s_or_b32 exec_lo, exec_lo, s0
	s_wait_storecnt_dscnt 0x0
	s_barrier_signal -1
	s_barrier_wait -1
	global_inv scope:SCOPE_SE
	s_clause 0x4
	scratch_load_b128 v[2:5], off, off offset:280
	scratch_load_b128 v[6:9], off, off offset:296
	;; [unrolled: 1-line block ×5, first 2 shown]
	ds_load_2addr_b64 v[22:25], v1 offset0:99 offset1:100
	ds_load_2addr_b64 v[26:29], v1 offset0:101 offset1:102
	ds_load_2addr_b64 v[30:33], v1 offset0:103 offset1:104
	scratch_load_b64 v[36:37], off, off offset:272
	s_mov_b32 s0, exec_lo
	s_wait_loadcnt_dscnt 0x502
	v_dual_mul_f32 v34, v23, v3 :: v_dual_mul_f32 v39, v24, v5
	v_dual_mul_f32 v38, v22, v3 :: v_dual_mul_f32 v3, v25, v5
	s_wait_loadcnt_dscnt 0x300
	v_mul_f32_e32 v40, v32, v13
	s_delay_alu instid0(VALU_DEP_3) | instskip(NEXT) | instid1(VALU_DEP_3)
	v_fma_f32 v22, v22, v2, -v34
	v_dual_fmac_f32 v39, v25, v4 :: v_dual_fmac_f32 v38, v23, v2
	v_fma_f32 v23, v24, v4, -v3
	ds_load_2addr_b64 v[2:5], v1 offset0:105 offset1:106
	v_dual_mul_f32 v24, v26, v7 :: v_dual_mul_f32 v25, v28, v9
	v_mul_f32_e32 v7, v27, v7
	v_dual_mul_f32 v9, v29, v9 :: v_dual_mul_f32 v34, v30, v11
	v_dual_mul_f32 v11, v31, v11 :: v_dual_fmac_f32 v40, v33, v12
	s_delay_alu instid0(VALU_DEP_4) | instskip(SKIP_1) | instid1(VALU_DEP_4)
	v_dual_mul_f32 v13, v33, v13 :: v_dual_fmac_f32 v24, v27, v6
	v_fmac_f32_e32 v25, v29, v8
	v_fma_f32 v27, v28, v8, -v9
	v_fmac_f32_e32 v34, v31, v10
	v_fma_f32 v28, v30, v10, -v11
	v_fma_f32 v29, v32, v12, -v13
	ds_load_2addr_b64 v[10:13], v1 offset0:107 offset1:108
	v_fma_f32 v26, v26, v6, -v7
	scratch_load_b128 v[6:9], off, off offset:360
	s_wait_loadcnt_dscnt 0x301
	v_dual_mul_f32 v30, v2, v15 :: v_dual_mul_f32 v31, v4, v17
	v_mul_f32_e32 v15, v3, v15
	s_delay_alu instid0(VALU_DEP_2) | instskip(NEXT) | instid1(VALU_DEP_3)
	v_dual_mul_f32 v17, v5, v17 :: v_dual_fmac_f32 v30, v3, v14
	v_fmac_f32_e32 v31, v5, v16
	s_delay_alu instid0(VALU_DEP_3) | instskip(NEXT) | instid1(VALU_DEP_3)
	v_fma_f32 v14, v2, v14, -v15
	v_fma_f32 v15, v4, v16, -v17
	ds_load_2addr_b64 v[2:5], v1 offset0:109 offset1:110
	s_wait_loadcnt_dscnt 0x201
	v_mul_f32_e32 v16, v10, v19
	v_mul_f32_e32 v17, v11, v19
	;; [unrolled: 1-line block ×3, first 2 shown]
	s_delay_alu instid0(VALU_DEP_3) | instskip(NEXT) | instid1(VALU_DEP_3)
	v_dual_mul_f32 v21, v13, v21 :: v_dual_fmac_f32 v16, v11, v18
	v_fma_f32 v17, v10, v18, -v17
	s_delay_alu instid0(VALU_DEP_3) | instskip(NEXT) | instid1(VALU_DEP_3)
	v_fmac_f32_e32 v19, v13, v20
	v_fma_f32 v18, v12, v20, -v21
	scratch_load_b128 v[10:13], off, off offset:376
	s_wait_loadcnt_dscnt 0x100
	v_mul_f32_e32 v20, v2, v7
	v_mul_f32_e32 v7, v3, v7
	;; [unrolled: 1-line block ×3, first 2 shown]
	s_delay_alu instid0(VALU_DEP_3) | instskip(NEXT) | instid1(VALU_DEP_3)
	v_dual_mul_f32 v9, v5, v9 :: v_dual_fmac_f32 v20, v3, v6
	v_fma_f32 v32, v2, v6, -v7
	s_delay_alu instid0(VALU_DEP_3) | instskip(NEXT) | instid1(VALU_DEP_3)
	v_fmac_f32_e32 v21, v5, v8
	v_fma_f32 v33, v4, v8, -v9
	ds_load_2addr_b64 v[2:5], v1 offset0:111 offset1:112
	ds_load_2addr_b64 v[6:9], v1 offset0:113 offset1:114
	s_wait_loadcnt_dscnt 0x1
	v_mul_f32_e32 v41, v2, v11
	v_dual_mul_f32 v11, v3, v11 :: v_dual_mul_f32 v42, v4, v13
	s_delay_alu instid0(VALU_DEP_2) | instskip(NEXT) | instid1(VALU_DEP_2)
	v_fmac_f32_e32 v41, v3, v10
	v_fma_f32 v43, v2, v10, -v11
	v_mul_f32_e32 v2, v5, v13
	s_delay_alu instid0(VALU_DEP_4) | instskip(NEXT) | instid1(VALU_DEP_2)
	v_fmac_f32_e32 v42, v5, v12
	v_fma_f32 v44, v4, v12, -v2
	s_clause 0x1
	scratch_load_b128 v[2:5], off, off offset:392
	scratch_load_b128 v[10:13], off, off offset:408
	s_wait_loadcnt_dscnt 0x100
	v_mul_f32_e32 v171, v6, v3
	v_mul_f32_e32 v3, v7, v3
	;; [unrolled: 1-line block ×3, first 2 shown]
	s_delay_alu instid0(VALU_DEP_3) | instskip(NEXT) | instid1(VALU_DEP_3)
	v_fmac_f32_e32 v171, v7, v2
	v_fma_f32 v172, v6, v2, -v3
	v_mul_f32_e32 v2, v9, v5
	s_delay_alu instid0(VALU_DEP_4) | instskip(NEXT) | instid1(VALU_DEP_2)
	v_fmac_f32_e32 v173, v9, v4
	v_fma_f32 v174, v8, v4, -v2
	ds_load_2addr_b64 v[2:5], v1 offset0:115 offset1:116
	ds_load_2addr_b64 v[6:9], v1 offset0:117 offset1:118
	s_wait_loadcnt_dscnt 0x1
	v_mul_f32_e32 v175, v2, v11
	v_mul_f32_e32 v177, v4, v13
	s_delay_alu instid0(VALU_DEP_2) | instskip(SKIP_1) | instid1(VALU_DEP_3)
	v_fmac_f32_e32 v175, v3, v10
	v_mul_f32_e32 v3, v3, v11
	v_fmac_f32_e32 v177, v5, v12
	s_delay_alu instid0(VALU_DEP_2) | instskip(SKIP_1) | instid1(VALU_DEP_1)
	v_fma_f32 v176, v2, v10, -v3
	v_mul_f32_e32 v2, v5, v13
	v_fma_f32 v178, v4, v12, -v2
	s_clause 0x1
	scratch_load_b128 v[2:5], off, off offset:424
	scratch_load_b128 v[10:13], off, off offset:440
	s_wait_loadcnt_dscnt 0x100
	v_mul_f32_e32 v179, v6, v3
	v_mul_f32_e32 v3, v7, v3
	s_delay_alu instid0(VALU_DEP_2) | instskip(NEXT) | instid1(VALU_DEP_2)
	v_fmac_f32_e32 v179, v7, v2
	v_fma_f32 v180, v6, v2, -v3
	v_dual_mul_f32 v2, v9, v5 :: v_dual_add_f32 v3, 0, v38
	s_delay_alu instid0(VALU_DEP_1) | instskip(NEXT) | instid1(VALU_DEP_2)
	v_fma_f32 v182, v8, v4, -v2
	v_dual_add_f32 v2, 0, v22 :: v_dual_add_f32 v3, v3, v39
	s_delay_alu instid0(VALU_DEP_1) | instskip(NEXT) | instid1(VALU_DEP_1)
	v_add_f32_e32 v2, v2, v23
	v_add_f32_e32 v2, v2, v26
	s_delay_alu instid0(VALU_DEP_1) | instskip(NEXT) | instid1(VALU_DEP_1)
	v_add_f32_e32 v2, v2, v27
	v_add_f32_e32 v2, v2, v28
	;; [unrolled: 3-line block ×5, first 2 shown]
	v_add_f32_e32 v3, v3, v24
	s_delay_alu instid0(VALU_DEP_1) | instskip(NEXT) | instid1(VALU_DEP_1)
	v_add_f32_e32 v3, v3, v25
	v_add_f32_e32 v6, v3, v34
	s_delay_alu instid0(VALU_DEP_1) | instskip(NEXT) | instid1(VALU_DEP_1)
	v_add_f32_e32 v6, v6, v40
	;; [unrolled: 3-line block ×4, first 2 shown]
	v_dual_add_f32 v19, v14, v33 :: v_dual_add_f32 v18, v15, v20
	scratch_load_b128 v[14:17], off, off offset:488
	v_dual_add_f32 v19, v19, v43 :: v_dual_add_f32 v18, v18, v21
	s_delay_alu instid0(VALU_DEP_1) | instskip(NEXT) | instid1(VALU_DEP_1)
	v_dual_add_f32 v19, v19, v44 :: v_dual_add_f32 v18, v18, v41
	v_dual_mul_f32 v181, v8, v5 :: v_dual_add_f32 v22, v19, v172
	s_delay_alu instid0(VALU_DEP_1) | instskip(NEXT) | instid1(VALU_DEP_2)
	v_dual_add_f32 v18, v18, v42 :: v_dual_fmac_f32 v181, v9, v4
	v_add_f32_e32 v30, v22, v174
	ds_load_2addr_b64 v[2:5], v1 offset0:119 offset1:120
	ds_load_2addr_b64 v[6:9], v1 offset0:121 offset1:122
	v_add_f32_e32 v23, v18, v171
	ds_load_2addr_b64 v[18:21], v1 offset0:123 offset1:124
	v_add_f32_e32 v31, v23, v173
	ds_load_2addr_b64 v[22:25], v1 offset0:125 offset1:126
	v_dual_add_f32 v1, v30, v176 :: v_dual_add_f32 v30, v31, v175
	s_delay_alu instid0(VALU_DEP_1) | instskip(NEXT) | instid1(VALU_DEP_1)
	v_add_f32_e32 v1, v1, v178
	v_add_f32_e32 v1, v1, v180
	s_wait_loadcnt_dscnt 0x103
	v_dual_mul_f32 v27, v4, v13 :: v_dual_mul_f32 v26, v2, v11
	s_delay_alu instid0(VALU_DEP_2) | instskip(NEXT) | instid1(VALU_DEP_2)
	v_dual_add_f32 v30, v30, v177 :: v_dual_add_f32 v1, v1, v182
	v_dual_fmac_f32 v27, v5, v12 :: v_dual_fmac_f32 v26, v3, v10
	s_delay_alu instid0(VALU_DEP_2) | instskip(NEXT) | instid1(VALU_DEP_1)
	v_add_f32_e32 v30, v30, v179
	v_dual_add_f32 v30, v30, v181 :: v_dual_mul_f32 v11, v3, v11
	s_delay_alu instid0(VALU_DEP_1) | instskip(NEXT) | instid1(VALU_DEP_2)
	v_add_f32_e32 v26, v30, v26
	v_fma_f32 v28, v2, v10, -v11
	s_wait_loadcnt_dscnt 0x0
	s_delay_alu instid0(VALU_DEP_1) | instskip(SKIP_1) | instid1(VALU_DEP_2)
	v_dual_add_f32 v1, v1, v28 :: v_dual_mul_f32 v28, v24, v17
	v_dual_mul_f32 v13, v5, v13 :: v_dual_mul_f32 v38, v22, v15
	v_fmac_f32_e32 v28, v25, v16
	s_delay_alu instid0(VALU_DEP_2)
	v_fma_f32 v29, v4, v12, -v13
	s_clause 0x1
	scratch_load_b128 v[2:5], off, off offset:456
	scratch_load_b128 v[10:13], off, off offset:472
	v_dual_fmac_f32 v38, v23, v14 :: v_dual_add_f32 v1, v1, v29
	s_wait_loadcnt 0x1
	v_mul_f32_e32 v31, v6, v3
	v_dual_mul_f32 v3, v7, v3 :: v_dual_mul_f32 v32, v8, v5
	v_mul_f32_e32 v5, v9, v5
	s_wait_loadcnt 0x0
	v_mul_f32_e32 v33, v18, v11
	v_fmac_f32_e32 v31, v7, v2
	v_fma_f32 v3, v6, v2, -v3
	v_add_f32_e32 v2, v26, v27
	v_mul_f32_e32 v6, v19, v11
	v_fmac_f32_e32 v32, v9, v4
	v_fma_f32 v4, v8, v4, -v5
	v_add_f32_e32 v1, v1, v3
	v_add_f32_e32 v2, v2, v31
	v_mul_f32_e32 v34, v20, v13
	v_mul_f32_e32 v3, v21, v13
	v_fmac_f32_e32 v33, v19, v10
	v_fma_f32 v5, v18, v10, -v6
	v_add_f32_e32 v1, v1, v4
	v_add_f32_e32 v2, v2, v32
	v_mul_f32_e32 v4, v23, v15
	v_fmac_f32_e32 v34, v21, v12
	v_fma_f32 v3, v20, v12, -v3
	v_add_f32_e32 v1, v1, v5
	v_add_f32_e32 v2, v2, v33
	v_mul_f32_e32 v5, v25, v17
	v_fma_f32 v4, v22, v14, -v4
	s_delay_alu instid0(VALU_DEP_3) | instskip(NEXT) | instid1(VALU_DEP_3)
	v_dual_add_f32 v1, v1, v3 :: v_dual_add_f32 v2, v2, v34
	v_fma_f32 v3, v24, v16, -v5
	s_delay_alu instid0(VALU_DEP_2) | instskip(NEXT) | instid1(VALU_DEP_1)
	v_dual_add_f32 v1, v1, v4 :: v_dual_add_f32 v2, v2, v38
	v_dual_add_f32 v1, v1, v3 :: v_dual_add_f32 v2, v2, v28
	s_delay_alu instid0(VALU_DEP_1)
	v_dual_sub_f32 v1, v36, v1 :: v_dual_sub_f32 v2, v37, v2
	scratch_store_b64 off, v[1:2], off offset:272
	v_cmpx_lt_u32_e32 33, v0
	s_cbranch_execz .LBB62_325
; %bb.324:
	scratch_load_b64 v[1:2], off, off offset:264
	v_mov_b32_e32 v3, 0
	s_delay_alu instid0(VALU_DEP_1)
	v_mov_b32_e32 v4, v3
	scratch_store_b64 off, v[3:4], off offset:264
	s_wait_loadcnt 0x0
	ds_store_b64 v35, v[1:2]
.LBB62_325:
	s_wait_alu 0xfffe
	s_or_b32 exec_lo, exec_lo, s0
	s_wait_storecnt_dscnt 0x0
	s_barrier_signal -1
	s_barrier_wait -1
	global_inv scope:SCOPE_SE
	s_clause 0x4
	scratch_load_b128 v[2:5], off, off offset:272
	scratch_load_b128 v[6:9], off, off offset:288
	scratch_load_b128 v[10:13], off, off offset:304
	scratch_load_b128 v[14:17], off, off offset:320
	scratch_load_b128 v[18:21], off, off offset:336
	v_mov_b32_e32 v1, 0
	ds_load_b128 v[22:25], v1 offset:784
	ds_load_b128 v[26:29], v1 offset:800
	;; [unrolled: 1-line block ×3, first 2 shown]
	scratch_load_b64 v[36:37], off, off offset:264
	s_mov_b32 s0, exec_lo
	s_wait_loadcnt_dscnt 0x502
	v_mul_f32_e32 v34, v23, v3
	v_dual_mul_f32 v38, v22, v3 :: v_dual_mul_f32 v39, v24, v5
	v_mul_f32_e32 v3, v25, v5
	s_wait_loadcnt_dscnt 0x300
	v_mul_f32_e32 v40, v32, v13
	v_fma_f32 v22, v22, v2, -v34
	v_dual_fmac_f32 v38, v23, v2 :: v_dual_fmac_f32 v39, v25, v4
	v_fma_f32 v23, v24, v4, -v3
	ds_load_b128 v[2:5], v1 offset:832
	v_mul_f32_e32 v24, v26, v7
	v_mul_f32_e32 v7, v27, v7
	v_dual_mul_f32 v25, v28, v9 :: v_dual_mul_f32 v34, v30, v11
	s_delay_alu instid0(VALU_DEP_3) | instskip(SKIP_2) | instid1(VALU_DEP_4)
	v_dual_mul_f32 v9, v29, v9 :: v_dual_fmac_f32 v24, v27, v6
	v_dual_mul_f32 v11, v31, v11 :: v_dual_fmac_f32 v40, v33, v12
	v_mul_f32_e32 v13, v33, v13
	v_dual_fmac_f32 v25, v29, v8 :: v_dual_fmac_f32 v34, v31, v10
	s_delay_alu instid0(VALU_DEP_4) | instskip(NEXT) | instid1(VALU_DEP_4)
	v_fma_f32 v27, v28, v8, -v9
	v_fma_f32 v28, v30, v10, -v11
	s_delay_alu instid0(VALU_DEP_4)
	v_fma_f32 v29, v32, v12, -v13
	ds_load_b128 v[10:13], v1 offset:848
	v_fma_f32 v26, v26, v6, -v7
	scratch_load_b128 v[6:9], off, off offset:352
	s_wait_loadcnt_dscnt 0x301
	v_mul_f32_e32 v30, v2, v15
	v_mul_f32_e32 v15, v3, v15
	;; [unrolled: 1-line block ×3, first 2 shown]
	s_delay_alu instid0(VALU_DEP_3) | instskip(NEXT) | instid1(VALU_DEP_3)
	v_dual_mul_f32 v17, v5, v17 :: v_dual_fmac_f32 v30, v3, v14
	v_fma_f32 v14, v2, v14, -v15
	s_delay_alu instid0(VALU_DEP_3) | instskip(NEXT) | instid1(VALU_DEP_3)
	v_fmac_f32_e32 v31, v5, v16
	v_fma_f32 v15, v4, v16, -v17
	ds_load_b128 v[2:5], v1 offset:864
	s_wait_loadcnt_dscnt 0x201
	v_mul_f32_e32 v16, v10, v19
	v_mul_f32_e32 v17, v11, v19
	v_mul_f32_e32 v19, v12, v21
	s_delay_alu instid0(VALU_DEP_3) | instskip(NEXT) | instid1(VALU_DEP_3)
	v_dual_mul_f32 v21, v13, v21 :: v_dual_fmac_f32 v16, v11, v18
	v_fma_f32 v17, v10, v18, -v17
	s_delay_alu instid0(VALU_DEP_3) | instskip(NEXT) | instid1(VALU_DEP_3)
	v_fmac_f32_e32 v19, v13, v20
	v_fma_f32 v18, v12, v20, -v21
	scratch_load_b128 v[10:13], off, off offset:368
	s_wait_loadcnt_dscnt 0x100
	v_mul_f32_e32 v20, v2, v7
	v_mul_f32_e32 v7, v3, v7
	;; [unrolled: 1-line block ×3, first 2 shown]
	s_delay_alu instid0(VALU_DEP_3) | instskip(NEXT) | instid1(VALU_DEP_3)
	v_dual_mul_f32 v9, v5, v9 :: v_dual_fmac_f32 v20, v3, v6
	v_fma_f32 v32, v2, v6, -v7
	s_delay_alu instid0(VALU_DEP_3) | instskip(NEXT) | instid1(VALU_DEP_3)
	v_fmac_f32_e32 v21, v5, v8
	v_fma_f32 v33, v4, v8, -v9
	ds_load_b128 v[2:5], v1 offset:880
	ds_load_b128 v[6:9], v1 offset:896
	s_wait_loadcnt_dscnt 0x1
	v_mul_f32_e32 v41, v2, v11
	v_dual_mul_f32 v11, v3, v11 :: v_dual_mul_f32 v42, v4, v13
	s_delay_alu instid0(VALU_DEP_2) | instskip(NEXT) | instid1(VALU_DEP_2)
	v_fmac_f32_e32 v41, v3, v10
	v_fma_f32 v43, v2, v10, -v11
	v_mul_f32_e32 v2, v5, v13
	s_delay_alu instid0(VALU_DEP_4) | instskip(NEXT) | instid1(VALU_DEP_2)
	v_fmac_f32_e32 v42, v5, v12
	v_fma_f32 v44, v4, v12, -v2
	s_clause 0x1
	scratch_load_b128 v[2:5], off, off offset:384
	scratch_load_b128 v[10:13], off, off offset:400
	s_wait_loadcnt_dscnt 0x100
	v_mul_f32_e32 v171, v6, v3
	v_mul_f32_e32 v3, v7, v3
	v_mul_f32_e32 v173, v8, v5
	s_delay_alu instid0(VALU_DEP_3) | instskip(NEXT) | instid1(VALU_DEP_3)
	v_fmac_f32_e32 v171, v7, v2
	v_fma_f32 v172, v6, v2, -v3
	v_mul_f32_e32 v2, v9, v5
	s_delay_alu instid0(VALU_DEP_4) | instskip(NEXT) | instid1(VALU_DEP_2)
	v_fmac_f32_e32 v173, v9, v4
	v_fma_f32 v174, v8, v4, -v2
	ds_load_b128 v[2:5], v1 offset:912
	ds_load_b128 v[6:9], v1 offset:928
	s_wait_loadcnt_dscnt 0x1
	v_mul_f32_e32 v175, v2, v11
	v_mul_f32_e32 v177, v4, v13
	s_delay_alu instid0(VALU_DEP_2) | instskip(SKIP_1) | instid1(VALU_DEP_3)
	v_fmac_f32_e32 v175, v3, v10
	v_mul_f32_e32 v3, v3, v11
	v_fmac_f32_e32 v177, v5, v12
	s_delay_alu instid0(VALU_DEP_2) | instskip(SKIP_1) | instid1(VALU_DEP_1)
	v_fma_f32 v176, v2, v10, -v3
	v_mul_f32_e32 v2, v5, v13
	v_fma_f32 v178, v4, v12, -v2
	s_clause 0x1
	scratch_load_b128 v[2:5], off, off offset:416
	scratch_load_b128 v[10:13], off, off offset:432
	s_wait_loadcnt_dscnt 0x100
	v_mul_f32_e32 v179, v6, v3
	v_mul_f32_e32 v3, v7, v3
	s_delay_alu instid0(VALU_DEP_2) | instskip(NEXT) | instid1(VALU_DEP_2)
	v_fmac_f32_e32 v179, v7, v2
	v_fma_f32 v180, v6, v2, -v3
	v_mul_f32_e32 v2, v9, v5
	s_delay_alu instid0(VALU_DEP_1) | instskip(SKIP_1) | instid1(VALU_DEP_1)
	v_fma_f32 v182, v8, v4, -v2
	v_add_f32_e32 v2, 0, v22
	v_add_f32_e32 v2, v2, v23
	s_delay_alu instid0(VALU_DEP_1) | instskip(NEXT) | instid1(VALU_DEP_1)
	v_add_f32_e32 v2, v2, v26
	v_add_f32_e32 v2, v2, v27
	scratch_load_b64 v[26:27], off, off offset:496
	v_add_f32_e32 v2, v2, v28
	s_delay_alu instid0(VALU_DEP_1) | instskip(NEXT) | instid1(VALU_DEP_1)
	v_add_f32_e32 v7, v2, v29
	v_add_f32_e32 v7, v7, v14
	s_delay_alu instid0(VALU_DEP_1) | instskip(NEXT) | instid1(VALU_DEP_1)
	v_dual_add_f32 v14, v7, v15 :: v_dual_add_f32 v3, 0, v38
	v_dual_add_f32 v14, v14, v17 :: v_dual_add_f32 v3, v3, v39
	s_delay_alu instid0(VALU_DEP_1) | instskip(NEXT) | instid1(VALU_DEP_1)
	v_dual_add_f32 v14, v14, v18 :: v_dual_add_f32 v3, v3, v24
	v_dual_add_f32 v14, v14, v32 :: v_dual_add_f32 v3, v3, v25
	s_delay_alu instid0(VALU_DEP_1) | instskip(NEXT) | instid1(VALU_DEP_1)
	v_add_f32_e32 v6, v3, v34
	v_add_f32_e32 v6, v6, v40
	s_delay_alu instid0(VALU_DEP_1) | instskip(NEXT) | instid1(VALU_DEP_1)
	v_add_f32_e32 v6, v6, v30
	v_add_f32_e32 v15, v6, v31
	;; [unrolled: 3-line block ×3, first 2 shown]
	s_delay_alu instid0(VALU_DEP_1) | instskip(NEXT) | instid1(VALU_DEP_1)
	v_dual_add_f32 v19, v14, v33 :: v_dual_add_f32 v18, v15, v20
	v_add_f32_e32 v19, v19, v43
	scratch_load_b128 v[14:17], off, off offset:480
	v_add_f32_e32 v18, v18, v21
	s_delay_alu instid0(VALU_DEP_1) | instskip(NEXT) | instid1(VALU_DEP_1)
	v_add_f32_e32 v18, v18, v41
	v_dual_mul_f32 v181, v8, v5 :: v_dual_add_f32 v18, v18, v42
	s_delay_alu instid0(VALU_DEP_1) | instskip(SKIP_3) | instid1(VALU_DEP_1)
	v_fmac_f32_e32 v181, v9, v4
	ds_load_b128 v[2:5], v1 offset:944
	ds_load_b128 v[6:9], v1 offset:960
	v_add_f32_e32 v18, v18, v171
	v_add_f32_e32 v22, v18, v173
	s_delay_alu instid0(VALU_DEP_1) | instskip(SKIP_4) | instid1(VALU_DEP_2)
	v_add_f32_e32 v29, v22, v175
	ds_load_b128 v[22:25], v1 offset:992
	s_wait_loadcnt_dscnt 0x202
	v_dual_add_f32 v33, v29, v177 :: v_dual_mul_f32 v30, v2, v11
	v_mul_f32_e32 v31, v4, v13
	v_dual_add_f32 v33, v33, v179 :: v_dual_fmac_f32 v30, v3, v10
	s_delay_alu instid0(VALU_DEP_2) | instskip(NEXT) | instid1(VALU_DEP_2)
	v_fmac_f32_e32 v31, v5, v12
	v_add_f32_e32 v33, v33, v181
	s_delay_alu instid0(VALU_DEP_1) | instskip(SKIP_1) | instid1(VALU_DEP_2)
	v_dual_mul_f32 v11, v3, v11 :: v_dual_add_f32 v30, v33, v30
	v_add_f32_e32 v19, v19, v44
	v_fma_f32 v34, v2, v10, -v11
	s_delay_alu instid0(VALU_DEP_2) | instskip(NEXT) | instid1(VALU_DEP_1)
	v_add_f32_e32 v19, v19, v172
	v_add_f32_e32 v19, v19, v174
	s_delay_alu instid0(VALU_DEP_1) | instskip(SKIP_4) | instid1(VALU_DEP_1)
	v_add_f32_e32 v28, v19, v176
	ds_load_b128 v[18:21], v1 offset:976
	v_add_f32_e32 v32, v28, v178
	ds_load_b64 v[28:29], v1 offset:1008
	v_add_f32_e32 v32, v32, v180
	v_add_f32_e32 v32, v32, v182
	s_delay_alu instid0(VALU_DEP_1) | instskip(NEXT) | instid1(VALU_DEP_1)
	v_dual_add_f32 v32, v32, v34 :: v_dual_mul_f32 v13, v5, v13
	v_fma_f32 v38, v4, v12, -v13
	s_clause 0x1
	scratch_load_b128 v[2:5], off, off offset:448
	scratch_load_b128 v[10:13], off, off offset:464
	v_add_f32_e32 v32, v32, v38
	s_wait_loadcnt_dscnt 0x202
	v_mul_f32_e32 v38, v24, v17
	v_add_f32_e32 v30, v30, v31
	s_delay_alu instid0(VALU_DEP_2) | instskip(NEXT) | instid1(VALU_DEP_1)
	v_dual_mul_f32 v41, v22, v15 :: v_dual_fmac_f32 v38, v25, v16
	v_fmac_f32_e32 v41, v23, v14
	s_wait_loadcnt 0x1
	v_mul_f32_e32 v39, v6, v3
	v_dual_mul_f32 v3, v7, v3 :: v_dual_mul_f32 v40, v8, v5
	s_wait_loadcnt_dscnt 0x1
	v_dual_mul_f32 v5, v9, v5 :: v_dual_mul_f32 v34, v18, v11
	s_delay_alu instid0(VALU_DEP_3) | instskip(NEXT) | instid1(VALU_DEP_3)
	v_fmac_f32_e32 v39, v7, v2
	v_fma_f32 v3, v6, v2, -v3
	v_fmac_f32_e32 v40, v9, v4
	s_delay_alu instid0(VALU_DEP_4) | instskip(SKIP_4) | instid1(VALU_DEP_4)
	v_fma_f32 v2, v8, v4, -v5
	v_mul_f32_e32 v4, v19, v11
	v_add_f32_e32 v5, v30, v39
	v_dual_add_f32 v3, v32, v3 :: v_dual_mul_f32 v6, v21, v13
	v_mul_f32_e32 v33, v20, v13
	v_fma_f32 v4, v18, v10, -v4
	v_fmac_f32_e32 v34, v19, v10
	s_delay_alu instid0(VALU_DEP_4) | instskip(SKIP_3) | instid1(VALU_DEP_4)
	v_dual_add_f32 v2, v3, v2 :: v_dual_add_f32 v3, v5, v40
	v_mul_f32_e32 v5, v23, v15
	v_fma_f32 v6, v20, v12, -v6
	v_fmac_f32_e32 v33, v21, v12
	v_dual_add_f32 v2, v2, v4 :: v_dual_add_f32 v3, v3, v34
	v_mul_f32_e32 v4, v25, v17
	v_fma_f32 v5, v22, v14, -v5
	s_delay_alu instid0(VALU_DEP_3) | instskip(SKIP_3) | instid1(VALU_DEP_3)
	v_dual_add_f32 v2, v2, v6 :: v_dual_add_f32 v3, v3, v33
	s_wait_dscnt 0x0
	v_mul_f32_e32 v6, v29, v27
	v_fma_f32 v4, v24, v16, -v4
	v_add_f32_e32 v2, v2, v5
	v_add_f32_e32 v3, v3, v41
	s_delay_alu instid0(VALU_DEP_4) | instskip(NEXT) | instid1(VALU_DEP_3)
	v_fma_f32 v5, v28, v26, -v6
	v_dual_add_f32 v2, v2, v4 :: v_dual_mul_f32 v31, v28, v27
	s_delay_alu instid0(VALU_DEP_1) | instskip(NEXT) | instid1(VALU_DEP_2)
	v_dual_add_f32 v3, v3, v38 :: v_dual_add_f32 v2, v2, v5
	v_fmac_f32_e32 v31, v29, v26
	s_delay_alu instid0(VALU_DEP_1) | instskip(NEXT) | instid1(VALU_DEP_1)
	v_dual_sub_f32 v2, v36, v2 :: v_dual_add_f32 v3, v3, v31
	v_sub_f32_e32 v3, v37, v3
	scratch_store_b64 off, v[2:3], off offset:264
	v_cmpx_lt_u32_e32 32, v0
	s_cbranch_execz .LBB62_327
; %bb.326:
	scratch_load_b64 v[3:4], off, off offset:256
	v_mov_b32_e32 v2, v1
	scratch_store_b64 off, v[1:2], off offset:256
	s_wait_loadcnt 0x0
	ds_store_b64 v35, v[3:4]
.LBB62_327:
	s_wait_alu 0xfffe
	s_or_b32 exec_lo, exec_lo, s0
	s_wait_storecnt_dscnt 0x0
	s_barrier_signal -1
	s_barrier_wait -1
	global_inv scope:SCOPE_SE
	s_clause 0x4
	scratch_load_b128 v[2:5], off, off offset:264
	scratch_load_b128 v[6:9], off, off offset:280
	;; [unrolled: 1-line block ×5, first 2 shown]
	ds_load_2addr_b64 v[22:25], v1 offset0:97 offset1:98
	ds_load_2addr_b64 v[26:29], v1 offset0:99 offset1:100
	;; [unrolled: 1-line block ×3, first 2 shown]
	scratch_load_b64 v[36:37], off, off offset:256
	s_mov_b32 s0, exec_lo
	s_wait_loadcnt_dscnt 0x502
	v_dual_mul_f32 v34, v23, v3 :: v_dual_mul_f32 v39, v24, v5
	v_dual_mul_f32 v38, v22, v3 :: v_dual_mul_f32 v3, v25, v5
	s_wait_loadcnt_dscnt 0x300
	v_mul_f32_e32 v40, v32, v13
	s_delay_alu instid0(VALU_DEP_3) | instskip(NEXT) | instid1(VALU_DEP_3)
	v_fma_f32 v22, v22, v2, -v34
	v_dual_fmac_f32 v39, v25, v4 :: v_dual_fmac_f32 v38, v23, v2
	v_fma_f32 v23, v24, v4, -v3
	ds_load_2addr_b64 v[2:5], v1 offset0:103 offset1:104
	v_dual_mul_f32 v24, v26, v7 :: v_dual_mul_f32 v25, v28, v9
	v_mul_f32_e32 v7, v27, v7
	v_dual_mul_f32 v9, v29, v9 :: v_dual_mul_f32 v34, v30, v11
	v_dual_mul_f32 v11, v31, v11 :: v_dual_fmac_f32 v40, v33, v12
	s_delay_alu instid0(VALU_DEP_4) | instskip(SKIP_1) | instid1(VALU_DEP_4)
	v_dual_mul_f32 v13, v33, v13 :: v_dual_fmac_f32 v24, v27, v6
	v_fmac_f32_e32 v25, v29, v8
	v_fma_f32 v27, v28, v8, -v9
	v_fmac_f32_e32 v34, v31, v10
	v_fma_f32 v28, v30, v10, -v11
	v_fma_f32 v29, v32, v12, -v13
	ds_load_2addr_b64 v[10:13], v1 offset0:105 offset1:106
	v_fma_f32 v26, v26, v6, -v7
	scratch_load_b128 v[6:9], off, off offset:344
	s_wait_loadcnt_dscnt 0x301
	v_dual_mul_f32 v30, v2, v15 :: v_dual_mul_f32 v31, v4, v17
	v_mul_f32_e32 v15, v3, v15
	s_delay_alu instid0(VALU_DEP_2) | instskip(NEXT) | instid1(VALU_DEP_3)
	v_dual_mul_f32 v17, v5, v17 :: v_dual_fmac_f32 v30, v3, v14
	v_fmac_f32_e32 v31, v5, v16
	s_delay_alu instid0(VALU_DEP_3) | instskip(NEXT) | instid1(VALU_DEP_3)
	v_fma_f32 v14, v2, v14, -v15
	v_fma_f32 v15, v4, v16, -v17
	ds_load_2addr_b64 v[2:5], v1 offset0:107 offset1:108
	s_wait_loadcnt_dscnt 0x201
	v_mul_f32_e32 v16, v10, v19
	v_mul_f32_e32 v17, v11, v19
	;; [unrolled: 1-line block ×3, first 2 shown]
	s_delay_alu instid0(VALU_DEP_3) | instskip(NEXT) | instid1(VALU_DEP_3)
	v_dual_mul_f32 v21, v13, v21 :: v_dual_fmac_f32 v16, v11, v18
	v_fma_f32 v17, v10, v18, -v17
	s_delay_alu instid0(VALU_DEP_3) | instskip(NEXT) | instid1(VALU_DEP_3)
	v_fmac_f32_e32 v19, v13, v20
	v_fma_f32 v18, v12, v20, -v21
	scratch_load_b128 v[10:13], off, off offset:360
	s_wait_loadcnt_dscnt 0x100
	v_mul_f32_e32 v20, v2, v7
	v_mul_f32_e32 v7, v3, v7
	;; [unrolled: 1-line block ×3, first 2 shown]
	s_delay_alu instid0(VALU_DEP_3) | instskip(NEXT) | instid1(VALU_DEP_3)
	v_dual_mul_f32 v9, v5, v9 :: v_dual_fmac_f32 v20, v3, v6
	v_fma_f32 v32, v2, v6, -v7
	s_delay_alu instid0(VALU_DEP_3) | instskip(NEXT) | instid1(VALU_DEP_3)
	v_fmac_f32_e32 v21, v5, v8
	v_fma_f32 v33, v4, v8, -v9
	ds_load_2addr_b64 v[2:5], v1 offset0:109 offset1:110
	ds_load_2addr_b64 v[6:9], v1 offset0:111 offset1:112
	s_wait_loadcnt_dscnt 0x1
	v_mul_f32_e32 v41, v2, v11
	v_dual_mul_f32 v11, v3, v11 :: v_dual_mul_f32 v42, v4, v13
	s_delay_alu instid0(VALU_DEP_2) | instskip(NEXT) | instid1(VALU_DEP_2)
	v_fmac_f32_e32 v41, v3, v10
	v_fma_f32 v43, v2, v10, -v11
	v_mul_f32_e32 v2, v5, v13
	s_delay_alu instid0(VALU_DEP_4) | instskip(NEXT) | instid1(VALU_DEP_2)
	v_fmac_f32_e32 v42, v5, v12
	v_fma_f32 v44, v4, v12, -v2
	s_clause 0x1
	scratch_load_b128 v[2:5], off, off offset:376
	scratch_load_b128 v[10:13], off, off offset:392
	s_wait_loadcnt_dscnt 0x100
	v_mul_f32_e32 v171, v6, v3
	v_mul_f32_e32 v3, v7, v3
	;; [unrolled: 1-line block ×3, first 2 shown]
	s_delay_alu instid0(VALU_DEP_3) | instskip(NEXT) | instid1(VALU_DEP_3)
	v_fmac_f32_e32 v171, v7, v2
	v_fma_f32 v172, v6, v2, -v3
	v_mul_f32_e32 v2, v9, v5
	s_delay_alu instid0(VALU_DEP_4) | instskip(NEXT) | instid1(VALU_DEP_2)
	v_fmac_f32_e32 v173, v9, v4
	v_fma_f32 v174, v8, v4, -v2
	ds_load_2addr_b64 v[2:5], v1 offset0:113 offset1:114
	ds_load_2addr_b64 v[6:9], v1 offset0:115 offset1:116
	s_wait_loadcnt_dscnt 0x1
	v_mul_f32_e32 v175, v2, v11
	v_mul_f32_e32 v177, v4, v13
	s_delay_alu instid0(VALU_DEP_2) | instskip(SKIP_1) | instid1(VALU_DEP_3)
	v_fmac_f32_e32 v175, v3, v10
	v_mul_f32_e32 v3, v3, v11
	v_fmac_f32_e32 v177, v5, v12
	s_delay_alu instid0(VALU_DEP_2) | instskip(SKIP_1) | instid1(VALU_DEP_1)
	v_fma_f32 v176, v2, v10, -v3
	v_mul_f32_e32 v2, v5, v13
	v_fma_f32 v178, v4, v12, -v2
	s_clause 0x1
	scratch_load_b128 v[2:5], off, off offset:408
	scratch_load_b128 v[10:13], off, off offset:424
	s_wait_loadcnt_dscnt 0x100
	v_mul_f32_e32 v179, v6, v3
	v_mul_f32_e32 v3, v7, v3
	s_delay_alu instid0(VALU_DEP_2) | instskip(NEXT) | instid1(VALU_DEP_2)
	v_fmac_f32_e32 v179, v7, v2
	v_fma_f32 v180, v6, v2, -v3
	v_dual_mul_f32 v2, v9, v5 :: v_dual_add_f32 v3, 0, v38
	s_delay_alu instid0(VALU_DEP_1) | instskip(SKIP_1) | instid1(VALU_DEP_1)
	v_fma_f32 v182, v8, v4, -v2
	v_add_f32_e32 v2, 0, v22
	v_add_f32_e32 v2, v2, v23
	s_delay_alu instid0(VALU_DEP_1) | instskip(NEXT) | instid1(VALU_DEP_1)
	v_add_f32_e32 v2, v2, v26
	v_add_f32_e32 v2, v2, v27
	s_delay_alu instid0(VALU_DEP_1) | instskip(NEXT) | instid1(VALU_DEP_1)
	v_add_f32_e32 v2, v2, v28
	v_dual_add_f32 v2, v2, v29 :: v_dual_add_f32 v3, v3, v39
	s_delay_alu instid0(VALU_DEP_1) | instskip(NEXT) | instid1(VALU_DEP_2)
	v_add_f32_e32 v7, v2, v14
	v_add_f32_e32 v3, v3, v24
	s_delay_alu instid0(VALU_DEP_2) | instskip(NEXT) | instid1(VALU_DEP_2)
	v_add_f32_e32 v15, v7, v15
	v_add_f32_e32 v3, v3, v25
	s_delay_alu instid0(VALU_DEP_2) | instskip(NEXT) | instid1(VALU_DEP_1)
	v_add_f32_e32 v15, v15, v17
	v_add_f32_e32 v18, v15, v18
	s_delay_alu instid0(VALU_DEP_1) | instskip(NEXT) | instid1(VALU_DEP_1)
	v_add_f32_e32 v18, v18, v32
	v_dual_add_f32 v18, v18, v33 :: v_dual_add_f32 v3, v3, v34
	s_delay_alu instid0(VALU_DEP_1) | instskip(NEXT) | instid1(VALU_DEP_2)
	v_dual_mul_f32 v181, v8, v5 :: v_dual_add_f32 v18, v18, v43
	v_add_f32_e32 v6, v3, v40
	s_delay_alu instid0(VALU_DEP_1) | instskip(NEXT) | instid1(VALU_DEP_1)
	v_add_f32_e32 v14, v6, v30
	v_add_f32_e32 v14, v14, v31
	s_delay_alu instid0(VALU_DEP_1) | instskip(NEXT) | instid1(VALU_DEP_1)
	v_add_f32_e32 v14, v14, v16
	v_add_f32_e32 v19, v14, v19
	ds_load_2addr_b64 v[14:17], v1 offset0:119 offset1:120
	v_add_f32_e32 v19, v19, v20
	s_delay_alu instid0(VALU_DEP_1) | instskip(SKIP_4) | instid1(VALU_DEP_1)
	v_add_f32_e32 v19, v19, v21
	v_fmac_f32_e32 v181, v9, v4
	scratch_load_b128 v[6:9], off, off offset:440
	ds_load_2addr_b64 v[2:5], v1 offset0:117 offset1:118
	v_add_f32_e32 v22, v19, v41
	v_add_f32_e32 v22, v22, v42
	s_delay_alu instid0(VALU_DEP_1) | instskip(SKIP_2) | instid1(VALU_DEP_1)
	v_add_f32_e32 v22, v22, v171
	s_wait_loadcnt_dscnt 0x100
	v_dual_mul_f32 v26, v2, v11 :: v_dual_mul_f32 v27, v4, v13
	v_fmac_f32_e32 v26, v3, v10
	v_mul_f32_e32 v11, v3, v11
	s_delay_alu instid0(VALU_DEP_3) | instskip(SKIP_1) | instid1(VALU_DEP_3)
	v_fmac_f32_e32 v27, v5, v12
	v_mul_f32_e32 v13, v5, v13
	v_fma_f32 v28, v2, v10, -v11
	s_delay_alu instid0(VALU_DEP_2)
	v_fma_f32 v29, v4, v12, -v13
	s_clause 0x1
	scratch_load_b128 v[2:5], off, off offset:456
	scratch_load_b128 v[10:13], off, off offset:472
	s_wait_loadcnt 0x2
	v_mul_f32_e32 v30, v14, v7
	v_mul_f32_e32 v7, v15, v7
	;; [unrolled: 1-line block ×3, first 2 shown]
	s_delay_alu instid0(VALU_DEP_3) | instskip(NEXT) | instid1(VALU_DEP_3)
	v_dual_mul_f32 v9, v17, v9 :: v_dual_fmac_f32 v30, v15, v6
	v_fma_f32 v32, v14, v6, -v7
	s_delay_alu instid0(VALU_DEP_3) | instskip(NEXT) | instid1(VALU_DEP_3)
	v_fmac_f32_e32 v31, v17, v8
	v_fma_f32 v33, v16, v8, -v9
	ds_load_2addr_b64 v[6:9], v1 offset0:121 offset1:122
	v_add_f32_e32 v23, v18, v44
	scratch_load_b128 v[18:21], off, off offset:488
	v_dual_add_f32 v14, v22, v173 :: v_dual_add_f32 v23, v23, v172
	s_delay_alu instid0(VALU_DEP_1) | instskip(NEXT) | instid1(VALU_DEP_1)
	v_add_f32_e32 v23, v23, v174
	v_dual_add_f32 v22, v23, v176 :: v_dual_add_f32 v23, v14, v175
	ds_load_2addr_b64 v[14:17], v1 offset0:123 offset1:124
	v_add_f32_e32 v34, v22, v178
	v_add_f32_e32 v38, v23, v177
	ds_load_2addr_b64 v[22:25], v1 offset0:125 offset1:126
	v_add_f32_e32 v1, v34, v180
	v_add_f32_e32 v34, v38, v179
	s_wait_loadcnt_dscnt 0x202
	v_mul_f32_e32 v38, v6, v3
	s_delay_alu instid0(VALU_DEP_2) | instskip(NEXT) | instid1(VALU_DEP_2)
	v_dual_mul_f32 v3, v7, v3 :: v_dual_add_f32 v34, v34, v181
	v_fmac_f32_e32 v38, v7, v2
	s_delay_alu instid0(VALU_DEP_2) | instskip(NEXT) | instid1(VALU_DEP_3)
	v_fma_f32 v3, v6, v2, -v3
	v_add_f32_e32 v26, v34, v26
	s_wait_loadcnt_dscnt 0x101
	v_mul_f32_e32 v34, v14, v11
	v_mul_f32_e32 v6, v15, v11
	s_delay_alu instid0(VALU_DEP_3) | instskip(NEXT) | instid1(VALU_DEP_3)
	v_add_f32_e32 v26, v26, v27
	v_fmac_f32_e32 v34, v15, v10
	s_delay_alu instid0(VALU_DEP_2) | instskip(NEXT) | instid1(VALU_DEP_1)
	v_add_f32_e32 v26, v26, v30
	v_add_f32_e32 v2, v26, v31
	s_delay_alu instid0(VALU_DEP_1) | instskip(SKIP_2) | instid1(VALU_DEP_1)
	v_add_f32_e32 v2, v2, v38
	s_wait_loadcnt_dscnt 0x0
	v_mul_f32_e32 v27, v22, v19
	v_fmac_f32_e32 v27, v23, v18
	v_mul_f32_e32 v39, v16, v13
	s_delay_alu instid0(VALU_DEP_1) | instskip(SKIP_1) | instid1(VALU_DEP_1)
	v_fmac_f32_e32 v39, v17, v12
	v_add_f32_e32 v1, v1, v182
	v_dual_add_f32 v1, v1, v28 :: v_dual_mul_f32 v28, v8, v5
	v_mul_f32_e32 v5, v9, v5
	s_delay_alu instid0(VALU_DEP_2) | instskip(NEXT) | instid1(VALU_DEP_2)
	v_fmac_f32_e32 v28, v9, v4
	v_fma_f32 v4, v8, v4, -v5
	v_fma_f32 v5, v14, v10, -v6
	s_delay_alu instid0(VALU_DEP_3) | instskip(NEXT) | instid1(VALU_DEP_1)
	v_add_f32_e32 v2, v2, v28
	v_dual_add_f32 v2, v2, v34 :: v_dual_add_f32 v1, v1, v29
	s_delay_alu instid0(VALU_DEP_1) | instskip(NEXT) | instid1(VALU_DEP_2)
	v_dual_mul_f32 v29, v24, v21 :: v_dual_add_f32 v2, v2, v39
	v_add_f32_e32 v1, v1, v32
	s_delay_alu instid0(VALU_DEP_2) | instskip(NEXT) | instid1(VALU_DEP_2)
	v_dual_fmac_f32 v29, v25, v20 :: v_dual_add_f32 v2, v2, v27
	v_add_f32_e32 v1, v1, v33
	s_delay_alu instid0(VALU_DEP_1) | instskip(SKIP_1) | instid1(VALU_DEP_2)
	v_dual_add_f32 v2, v2, v29 :: v_dual_add_f32 v1, v1, v3
	v_mul_f32_e32 v3, v17, v13
	v_sub_f32_e32 v2, v37, v2
	s_delay_alu instid0(VALU_DEP_3) | instskip(NEXT) | instid1(VALU_DEP_3)
	v_dual_add_f32 v1, v1, v4 :: v_dual_mul_f32 v4, v23, v19
	v_fma_f32 v3, v16, v12, -v3
	s_delay_alu instid0(VALU_DEP_2) | instskip(SKIP_1) | instid1(VALU_DEP_4)
	v_add_f32_e32 v1, v1, v5
	v_mul_f32_e32 v5, v25, v21
	v_fma_f32 v4, v22, v18, -v4
	s_delay_alu instid0(VALU_DEP_3) | instskip(NEXT) | instid1(VALU_DEP_3)
	v_add_f32_e32 v1, v1, v3
	v_fma_f32 v3, v24, v20, -v5
	s_delay_alu instid0(VALU_DEP_2) | instskip(NEXT) | instid1(VALU_DEP_1)
	v_add_f32_e32 v1, v1, v4
	v_add_f32_e32 v1, v1, v3
	s_delay_alu instid0(VALU_DEP_1)
	v_sub_f32_e32 v1, v36, v1
	scratch_store_b64 off, v[1:2], off offset:256
	v_cmpx_lt_u32_e32 31, v0
	s_cbranch_execz .LBB62_329
; %bb.328:
	scratch_load_b64 v[1:2], off, off offset:248
	v_mov_b32_e32 v3, 0
	s_delay_alu instid0(VALU_DEP_1)
	v_mov_b32_e32 v4, v3
	scratch_store_b64 off, v[3:4], off offset:248
	s_wait_loadcnt 0x0
	ds_store_b64 v35, v[1:2]
.LBB62_329:
	s_wait_alu 0xfffe
	s_or_b32 exec_lo, exec_lo, s0
	s_wait_storecnt_dscnt 0x0
	s_barrier_signal -1
	s_barrier_wait -1
	global_inv scope:SCOPE_SE
	s_clause 0x4
	scratch_load_b128 v[5:8], off, off offset:256
	scratch_load_b128 v[1:4], off, off offset:272
	;; [unrolled: 1-line block ×5, first 2 shown]
	v_mov_b32_e32 v21, 0
	ds_load_b128 v[22:25], v21 offset:768
	ds_load_b128 v[26:29], v21 offset:784
	;; [unrolled: 1-line block ×3, first 2 shown]
	scratch_load_b64 v[36:37], off, off offset:248
	s_mov_b32 s0, exec_lo
	s_wait_loadcnt_dscnt 0x502
	v_mul_f32_e32 v34, v23, v6
	v_dual_mul_f32 v38, v22, v6 :: v_dual_mul_f32 v39, v24, v8
	v_mul_f32_e32 v6, v25, v8
	s_wait_loadcnt_dscnt 0x300
	v_mul_f32_e32 v40, v32, v12
	v_fma_f32 v22, v22, v5, -v34
	v_dual_fmac_f32 v38, v23, v5 :: v_dual_fmac_f32 v39, v25, v7
	v_fma_f32 v23, v24, v7, -v6
	v_dual_mul_f32 v24, v26, v2 :: v_dual_mul_f32 v25, v28, v4
	v_mul_f32_e32 v2, v27, v2
	v_mul_f32_e32 v4, v29, v4
	ds_load_b128 v[5:8], v21 offset:816
	v_mul_f32_e32 v34, v30, v10
	v_dual_fmac_f32 v24, v27, v1 :: v_dual_fmac_f32 v25, v29, v3
	v_fma_f32 v26, v26, v1, -v2
	v_fma_f32 v27, v28, v3, -v4
	v_mul_f32_e32 v12, v33, v12
	scratch_load_b128 v[1:4], off, off offset:336
	v_mul_f32_e32 v10, v31, v10
	v_fmac_f32_e32 v34, v31, v9
	v_fmac_f32_e32 v40, v33, v11
	v_fma_f32 v29, v32, v11, -v12
	s_delay_alu instid0(VALU_DEP_4)
	v_fma_f32 v28, v30, v9, -v10
	ds_load_b128 v[9:12], v21 offset:832
	s_wait_loadcnt_dscnt 0x301
	v_mul_f32_e32 v30, v5, v14
	v_dual_mul_f32 v14, v6, v14 :: v_dual_mul_f32 v31, v7, v16
	v_mul_f32_e32 v16, v8, v16
	s_delay_alu instid0(VALU_DEP_3) | instskip(NEXT) | instid1(VALU_DEP_3)
	v_fmac_f32_e32 v30, v6, v13
	v_fma_f32 v13, v5, v13, -v14
	s_delay_alu instid0(VALU_DEP_4) | instskip(NEXT) | instid1(VALU_DEP_4)
	v_fmac_f32_e32 v31, v8, v15
	v_fma_f32 v14, v7, v15, -v16
	ds_load_b128 v[5:8], v21 offset:848
	s_wait_loadcnt_dscnt 0x201
	v_mul_f32_e32 v15, v9, v18
	v_mul_f32_e32 v16, v10, v18
	;; [unrolled: 1-line block ×3, first 2 shown]
	s_delay_alu instid0(VALU_DEP_3) | instskip(NEXT) | instid1(VALU_DEP_3)
	v_dual_mul_f32 v20, v12, v20 :: v_dual_fmac_f32 v15, v10, v17
	v_fma_f32 v16, v9, v17, -v16
	s_delay_alu instid0(VALU_DEP_3) | instskip(NEXT) | instid1(VALU_DEP_3)
	v_fmac_f32_e32 v18, v12, v19
	v_fma_f32 v17, v11, v19, -v20
	scratch_load_b128 v[9:12], off, off offset:352
	s_wait_loadcnt_dscnt 0x100
	v_mul_f32_e32 v19, v5, v2
	v_mul_f32_e32 v2, v6, v2
	;; [unrolled: 1-line block ×3, first 2 shown]
	s_delay_alu instid0(VALU_DEP_3) | instskip(NEXT) | instid1(VALU_DEP_3)
	v_dual_mul_f32 v4, v8, v4 :: v_dual_fmac_f32 v19, v6, v1
	v_fma_f32 v32, v5, v1, -v2
	s_delay_alu instid0(VALU_DEP_3) | instskip(NEXT) | instid1(VALU_DEP_3)
	v_fmac_f32_e32 v20, v8, v3
	v_fma_f32 v33, v7, v3, -v4
	ds_load_b128 v[1:4], v21 offset:864
	ds_load_b128 v[5:8], v21 offset:880
	s_wait_loadcnt_dscnt 0x1
	v_mul_f32_e32 v41, v1, v10
	v_mul_f32_e32 v10, v2, v10
	s_delay_alu instid0(VALU_DEP_2) | instskip(NEXT) | instid1(VALU_DEP_2)
	v_dual_mul_f32 v42, v3, v12 :: v_dual_fmac_f32 v41, v2, v9
	v_fma_f32 v43, v1, v9, -v10
	v_mul_f32_e32 v1, v4, v12
	s_delay_alu instid0(VALU_DEP_3) | instskip(NEXT) | instid1(VALU_DEP_2)
	v_fmac_f32_e32 v42, v4, v11
	v_fma_f32 v44, v3, v11, -v1
	s_clause 0x1
	scratch_load_b128 v[1:4], off, off offset:368
	scratch_load_b128 v[9:12], off, off offset:384
	s_wait_loadcnt_dscnt 0x100
	v_mul_f32_e32 v171, v5, v2
	v_dual_mul_f32 v2, v6, v2 :: v_dual_mul_f32 v173, v7, v4
	s_delay_alu instid0(VALU_DEP_2) | instskip(NEXT) | instid1(VALU_DEP_2)
	v_fmac_f32_e32 v171, v6, v1
	v_fma_f32 v172, v5, v1, -v2
	v_mul_f32_e32 v1, v8, v4
	s_delay_alu instid0(VALU_DEP_4) | instskip(NEXT) | instid1(VALU_DEP_2)
	v_fmac_f32_e32 v173, v8, v3
	v_fma_f32 v174, v7, v3, -v1
	ds_load_b128 v[1:4], v21 offset:896
	ds_load_b128 v[5:8], v21 offset:912
	s_wait_loadcnt_dscnt 0x1
	v_mul_f32_e32 v175, v1, v10
	v_mul_f32_e32 v177, v3, v12
	s_delay_alu instid0(VALU_DEP_2) | instskip(NEXT) | instid1(VALU_DEP_2)
	v_fmac_f32_e32 v175, v2, v9
	v_dual_mul_f32 v2, v2, v10 :: v_dual_fmac_f32 v177, v4, v11
	s_delay_alu instid0(VALU_DEP_1) | instskip(SKIP_1) | instid1(VALU_DEP_1)
	v_fma_f32 v176, v1, v9, -v2
	v_mul_f32_e32 v1, v4, v12
	v_fma_f32 v178, v3, v11, -v1
	s_clause 0x1
	scratch_load_b128 v[1:4], off, off offset:400
	scratch_load_b128 v[9:12], off, off offset:416
	s_wait_loadcnt_dscnt 0x100
	v_mul_f32_e32 v179, v5, v2
	v_dual_mul_f32 v2, v6, v2 :: v_dual_mul_f32 v181, v7, v4
	s_delay_alu instid0(VALU_DEP_2) | instskip(NEXT) | instid1(VALU_DEP_2)
	v_fmac_f32_e32 v179, v6, v1
	v_fma_f32 v180, v5, v1, -v2
	v_mul_f32_e32 v1, v8, v4
	s_delay_alu instid0(VALU_DEP_4) | instskip(NEXT) | instid1(VALU_DEP_2)
	v_fmac_f32_e32 v181, v8, v3
	v_fma_f32 v182, v7, v3, -v1
	v_add_f32_e32 v1, 0, v22
	s_delay_alu instid0(VALU_DEP_1) | instskip(NEXT) | instid1(VALU_DEP_1)
	v_add_f32_e32 v1, v1, v23
	v_add_f32_e32 v1, v1, v26
	s_delay_alu instid0(VALU_DEP_1) | instskip(SKIP_2) | instid1(VALU_DEP_1)
	v_dual_add_f32 v1, v1, v27 :: v_dual_add_f32 v2, 0, v38
	scratch_load_b64 v[26:27], off, off offset:496
	v_dual_add_f32 v1, v1, v28 :: v_dual_add_f32 v2, v2, v39
	v_dual_add_f32 v1, v1, v29 :: v_dual_add_f32 v2, v2, v24
	s_delay_alu instid0(VALU_DEP_1) | instskip(NEXT) | instid1(VALU_DEP_2)
	v_add_f32_e32 v6, v1, v13
	v_add_f32_e32 v2, v2, v25
	s_delay_alu instid0(VALU_DEP_1) | instskip(NEXT) | instid1(VALU_DEP_1)
	v_add_f32_e32 v2, v2, v34
	v_add_f32_e32 v5, v2, v40
	scratch_load_b128 v[1:4], off, off offset:432
	v_add_f32_e32 v13, v5, v30
	s_delay_alu instid0(VALU_DEP_1) | instskip(SKIP_2) | instid1(VALU_DEP_1)
	v_dual_add_f32 v13, v13, v31 :: v_dual_add_f32 v14, v6, v14
	ds_load_b128 v[5:8], v21 offset:928
	v_dual_add_f32 v13, v13, v15 :: v_dual_add_f32 v14, v14, v16
	v_dual_add_f32 v18, v13, v18 :: v_dual_add_f32 v17, v14, v17
	ds_load_b128 v[13:16], v21 offset:944
	v_add_f32_e32 v17, v17, v32
	s_wait_loadcnt_dscnt 0x201
	v_dual_mul_f32 v30, v5, v10 :: v_dual_mul_f32 v31, v7, v12
	s_delay_alu instid0(VALU_DEP_2) | instskip(SKIP_1) | instid1(VALU_DEP_3)
	v_dual_mul_f32 v10, v6, v10 :: v_dual_add_f32 v17, v17, v33
	v_mul_f32_e32 v12, v8, v12
	v_dual_fmac_f32 v30, v6, v9 :: v_dual_fmac_f32 v31, v8, v11
	s_delay_alu instid0(VALU_DEP_3) | instskip(NEXT) | instid1(VALU_DEP_4)
	v_fma_f32 v32, v5, v9, -v10
	v_add_f32_e32 v17, v17, v43
	s_delay_alu instid0(VALU_DEP_4) | instskip(SKIP_4) | instid1(VALU_DEP_1)
	v_fma_f32 v33, v7, v11, -v12
	s_clause 0x1
	scratch_load_b128 v[5:8], off, off offset:448
	scratch_load_b128 v[9:12], off, off offset:464
	v_dual_add_f32 v18, v18, v19 :: v_dual_add_f32 v23, v17, v44
	v_add_f32_e32 v23, v23, v172
	s_delay_alu instid0(VALU_DEP_1) | instskip(NEXT) | instid1(VALU_DEP_1)
	v_dual_add_f32 v18, v18, v20 :: v_dual_add_f32 v23, v23, v174
	v_add_f32_e32 v22, v18, v41
	scratch_load_b128 v[17:20], off, off offset:480
	s_wait_loadcnt_dscnt 0x300
	v_dual_add_f32 v23, v23, v176 :: v_dual_mul_f32 v34, v13, v2
	v_mul_f32_e32 v2, v14, v2
	v_mul_f32_e32 v38, v15, v4
	;; [unrolled: 1-line block ×3, first 2 shown]
	s_delay_alu instid0(VALU_DEP_4) | instskip(NEXT) | instid1(VALU_DEP_4)
	v_fmac_f32_e32 v34, v14, v1
	v_fma_f32 v39, v13, v1, -v2
	s_delay_alu instid0(VALU_DEP_4) | instskip(NEXT) | instid1(VALU_DEP_4)
	v_fmac_f32_e32 v38, v16, v3
	v_fma_f32 v40, v15, v3, -v4
	ds_load_b128 v[1:4], v21 offset:960
	v_add_f32_e32 v22, v22, v42
	v_add_f32_e32 v14, v23, v178
	s_delay_alu instid0(VALU_DEP_2) | instskip(NEXT) | instid1(VALU_DEP_2)
	v_add_f32_e32 v22, v22, v171
	v_add_f32_e32 v28, v14, v180
	s_delay_alu instid0(VALU_DEP_1) | instskip(NEXT) | instid1(VALU_DEP_1)
	v_dual_add_f32 v22, v22, v173 :: v_dual_add_f32 v41, v28, v182
	v_add_f32_e32 v13, v22, v175
	s_delay_alu instid0(VALU_DEP_1)
	v_add_f32_e32 v22, v13, v177
	ds_load_b128 v[13:16], v21 offset:976
	v_dual_add_f32 v32, v41, v32 :: v_dual_add_f32 v29, v22, v179
	ds_load_b128 v[22:25], v21 offset:992
	v_add_f32_e32 v42, v29, v181
	ds_load_b64 v[28:29], v21 offset:1008
	s_wait_loadcnt_dscnt 0x203
	v_mul_f32_e32 v41, v1, v6
	v_mul_f32_e32 v6, v2, v6
	s_delay_alu instid0(VALU_DEP_2) | instskip(NEXT) | instid1(VALU_DEP_2)
	v_fmac_f32_e32 v41, v2, v5
	v_fma_f32 v1, v1, v5, -v6
	s_wait_loadcnt_dscnt 0x102
	v_dual_mul_f32 v5, v16, v12 :: v_dual_add_f32 v30, v42, v30
	s_delay_alu instid0(VALU_DEP_1) | instskip(NEXT) | instid1(VALU_DEP_2)
	v_fma_f32 v5, v15, v11, -v5
	v_dual_add_f32 v30, v30, v31 :: v_dual_mul_f32 v31, v3, v8
	v_mul_f32_e32 v8, v4, v8
	s_delay_alu instid0(VALU_DEP_2) | instskip(NEXT) | instid1(VALU_DEP_2)
	v_fmac_f32_e32 v31, v4, v7
	v_fma_f32 v2, v3, v7, -v8
	v_dual_add_f32 v32, v32, v33 :: v_dual_mul_f32 v3, v14, v10
	s_delay_alu instid0(VALU_DEP_1) | instskip(SKIP_2) | instid1(VALU_DEP_3)
	v_dual_mul_f32 v33, v13, v10 :: v_dual_add_f32 v32, v32, v39
	s_wait_loadcnt_dscnt 0x1
	v_mul_f32_e32 v39, v22, v18
	v_fma_f32 v3, v13, v9, -v3
	s_delay_alu instid0(VALU_DEP_3) | instskip(NEXT) | instid1(VALU_DEP_3)
	v_dual_fmac_f32 v33, v14, v9 :: v_dual_add_f32 v32, v32, v40
	v_dual_fmac_f32 v39, v23, v17 :: v_dual_add_f32 v30, v30, v34
	v_mul_f32_e32 v40, v24, v20
	s_delay_alu instid0(VALU_DEP_1) | instskip(NEXT) | instid1(VALU_DEP_1)
	v_dual_add_f32 v1, v32, v1 :: v_dual_fmac_f32 v40, v25, v19
	v_add_f32_e32 v1, v1, v2
	s_delay_alu instid0(VALU_DEP_1) | instskip(SKIP_1) | instid1(VALU_DEP_2)
	v_add_f32_e32 v1, v1, v3
	v_mul_f32_e32 v3, v25, v20
	v_add_f32_e32 v1, v1, v5
	s_wait_dscnt 0x0
	v_dual_mul_f32 v5, v29, v27 :: v_dual_add_f32 v30, v30, v38
	s_delay_alu instid0(VALU_DEP_3) | instskip(SKIP_1) | instid1(VALU_DEP_3)
	v_fma_f32 v3, v24, v19, -v3
	v_mul_f32_e32 v38, v28, v27
	v_add_f32_e32 v4, v30, v41
	s_delay_alu instid0(VALU_DEP_2) | instskip(NEXT) | instid1(VALU_DEP_2)
	v_fmac_f32_e32 v38, v29, v26
	v_add_f32_e32 v2, v4, v31
	v_mul_f32_e32 v4, v23, v18
	s_delay_alu instid0(VALU_DEP_2) | instskip(NEXT) | instid1(VALU_DEP_2)
	v_add_f32_e32 v2, v2, v33
	v_fma_f32 v4, v22, v17, -v4
	s_delay_alu instid0(VALU_DEP_1) | instskip(SKIP_2) | instid1(VALU_DEP_3)
	v_add_f32_e32 v1, v1, v4
	v_mul_f32_e32 v34, v15, v12
	v_fma_f32 v4, v28, v26, -v5
	v_add_f32_e32 v1, v1, v3
	s_delay_alu instid0(VALU_DEP_1) | instskip(NEXT) | instid1(VALU_DEP_1)
	v_dual_fmac_f32 v34, v16, v11 :: v_dual_add_f32 v1, v1, v4
	v_dual_add_f32 v2, v2, v34 :: v_dual_sub_f32 v1, v36, v1
	s_delay_alu instid0(VALU_DEP_1) | instskip(NEXT) | instid1(VALU_DEP_1)
	v_add_f32_e32 v2, v2, v39
	v_add_f32_e32 v2, v2, v40
	s_delay_alu instid0(VALU_DEP_1) | instskip(NEXT) | instid1(VALU_DEP_1)
	v_add_f32_e32 v2, v2, v38
	v_sub_f32_e32 v2, v37, v2
	scratch_store_b64 off, v[1:2], off offset:248
	v_cmpx_lt_u32_e32 30, v0
	s_cbranch_execz .LBB62_331
; %bb.330:
	scratch_load_b64 v[1:2], off, off offset:240
	v_mov_b32_e32 v22, v21
	scratch_store_b64 off, v[21:22], off offset:240
	s_wait_loadcnt 0x0
	ds_store_b64 v35, v[1:2]
.LBB62_331:
	s_wait_alu 0xfffe
	s_or_b32 exec_lo, exec_lo, s0
	s_wait_storecnt_dscnt 0x0
	s_barrier_signal -1
	s_barrier_wait -1
	global_inv scope:SCOPE_SE
	s_clause 0x4
	scratch_load_b128 v[5:8], off, off offset:248
	scratch_load_b128 v[1:4], off, off offset:264
	scratch_load_b128 v[9:12], off, off offset:280
	scratch_load_b128 v[13:16], off, off offset:296
	scratch_load_b128 v[17:20], off, off offset:312
	ds_load_2addr_b64 v[22:25], v21 offset0:95 offset1:96
	ds_load_2addr_b64 v[26:29], v21 offset0:97 offset1:98
	ds_load_2addr_b64 v[30:33], v21 offset0:99 offset1:100
	scratch_load_b64 v[36:37], off, off offset:240
	s_mov_b32 s0, exec_lo
	s_wait_loadcnt_dscnt 0x502
	v_dual_mul_f32 v34, v23, v6 :: v_dual_mul_f32 v39, v24, v8
	v_mul_f32_e32 v38, v22, v6
	v_mul_f32_e32 v6, v25, v8
	s_wait_loadcnt_dscnt 0x300
	v_mul_f32_e32 v40, v32, v12
	v_fma_f32 v22, v22, v5, -v34
	v_dual_fmac_f32 v39, v25, v7 :: v_dual_fmac_f32 v38, v23, v5
	v_mul_f32_e32 v25, v28, v4
	v_fma_f32 v23, v24, v7, -v6
	ds_load_2addr_b64 v[5:8], v21 offset0:101 offset1:102
	v_mul_f32_e32 v24, v26, v2
	v_mul_f32_e32 v4, v29, v4
	;; [unrolled: 1-line block ×5, first 2 shown]
	v_dual_mul_f32 v2, v27, v2 :: v_dual_fmac_f32 v25, v29, v3
	v_fmac_f32_e32 v24, v27, v1
	v_fma_f32 v27, v28, v3, -v4
	v_fmac_f32_e32 v34, v31, v9
	v_fma_f32 v28, v30, v9, -v10
	v_fmac_f32_e32 v40, v33, v11
	v_fma_f32 v29, v32, v11, -v12
	ds_load_2addr_b64 v[9:12], v21 offset0:103 offset1:104
	s_wait_loadcnt_dscnt 0x201
	v_mul_f32_e32 v30, v5, v14
	v_dual_mul_f32 v14, v6, v14 :: v_dual_mul_f32 v31, v7, v16
	v_mul_f32_e32 v16, v8, v16
	s_delay_alu instid0(VALU_DEP_3) | instskip(NEXT) | instid1(VALU_DEP_3)
	v_fmac_f32_e32 v30, v6, v13
	v_fma_f32 v13, v5, v13, -v14
	s_delay_alu instid0(VALU_DEP_4) | instskip(NEXT) | instid1(VALU_DEP_4)
	v_fmac_f32_e32 v31, v8, v15
	v_fma_f32 v14, v7, v15, -v16
	ds_load_2addr_b64 v[5:8], v21 offset0:105 offset1:106
	s_wait_loadcnt_dscnt 0x101
	v_mul_f32_e32 v15, v9, v18
	v_mul_f32_e32 v16, v10, v18
	;; [unrolled: 1-line block ×3, first 2 shown]
	s_delay_alu instid0(VALU_DEP_3)
	v_dual_mul_f32 v20, v12, v20 :: v_dual_fmac_f32 v15, v10, v17
	v_fma_f32 v26, v26, v1, -v2
	scratch_load_b128 v[1:4], off, off offset:328
	v_fma_f32 v16, v9, v17, -v16
	v_fmac_f32_e32 v18, v12, v19
	v_fma_f32 v17, v11, v19, -v20
	scratch_load_b128 v[9:12], off, off offset:344
	s_wait_loadcnt_dscnt 0x100
	v_mul_f32_e32 v19, v5, v2
	v_mul_f32_e32 v2, v6, v2
	;; [unrolled: 1-line block ×3, first 2 shown]
	s_delay_alu instid0(VALU_DEP_3) | instskip(NEXT) | instid1(VALU_DEP_3)
	v_dual_mul_f32 v4, v8, v4 :: v_dual_fmac_f32 v19, v6, v1
	v_fma_f32 v32, v5, v1, -v2
	s_delay_alu instid0(VALU_DEP_3) | instskip(NEXT) | instid1(VALU_DEP_3)
	v_fmac_f32_e32 v20, v8, v3
	v_fma_f32 v33, v7, v3, -v4
	ds_load_2addr_b64 v[1:4], v21 offset0:107 offset1:108
	ds_load_2addr_b64 v[5:8], v21 offset0:109 offset1:110
	s_wait_loadcnt_dscnt 0x1
	v_mul_f32_e32 v41, v1, v10
	v_mul_f32_e32 v10, v2, v10
	s_delay_alu instid0(VALU_DEP_2) | instskip(NEXT) | instid1(VALU_DEP_2)
	v_dual_mul_f32 v42, v3, v12 :: v_dual_fmac_f32 v41, v2, v9
	v_fma_f32 v43, v1, v9, -v10
	v_mul_f32_e32 v1, v4, v12
	s_delay_alu instid0(VALU_DEP_3) | instskip(NEXT) | instid1(VALU_DEP_2)
	v_fmac_f32_e32 v42, v4, v11
	v_fma_f32 v44, v3, v11, -v1
	s_clause 0x1
	scratch_load_b128 v[1:4], off, off offset:360
	scratch_load_b128 v[9:12], off, off offset:376
	s_wait_loadcnt_dscnt 0x100
	v_mul_f32_e32 v171, v5, v2
	v_dual_mul_f32 v2, v6, v2 :: v_dual_mul_f32 v173, v7, v4
	s_delay_alu instid0(VALU_DEP_2) | instskip(NEXT) | instid1(VALU_DEP_2)
	v_fmac_f32_e32 v171, v6, v1
	v_fma_f32 v172, v5, v1, -v2
	v_mul_f32_e32 v1, v8, v4
	s_delay_alu instid0(VALU_DEP_4) | instskip(NEXT) | instid1(VALU_DEP_2)
	v_fmac_f32_e32 v173, v8, v3
	v_fma_f32 v174, v7, v3, -v1
	ds_load_2addr_b64 v[1:4], v21 offset0:111 offset1:112
	ds_load_2addr_b64 v[5:8], v21 offset0:113 offset1:114
	s_wait_loadcnt_dscnt 0x1
	v_mul_f32_e32 v175, v1, v10
	v_mul_f32_e32 v177, v3, v12
	s_delay_alu instid0(VALU_DEP_2) | instskip(NEXT) | instid1(VALU_DEP_2)
	v_fmac_f32_e32 v175, v2, v9
	v_dual_mul_f32 v2, v2, v10 :: v_dual_fmac_f32 v177, v4, v11
	s_delay_alu instid0(VALU_DEP_1) | instskip(SKIP_1) | instid1(VALU_DEP_1)
	v_fma_f32 v176, v1, v9, -v2
	v_mul_f32_e32 v1, v4, v12
	v_fma_f32 v178, v3, v11, -v1
	s_clause 0x1
	scratch_load_b128 v[1:4], off, off offset:392
	scratch_load_b128 v[9:12], off, off offset:408
	s_wait_loadcnt_dscnt 0x100
	v_mul_f32_e32 v179, v5, v2
	v_dual_mul_f32 v2, v6, v2 :: v_dual_mul_f32 v181, v7, v4
	s_delay_alu instid0(VALU_DEP_2) | instskip(NEXT) | instid1(VALU_DEP_2)
	v_fmac_f32_e32 v179, v6, v1
	v_fma_f32 v180, v5, v1, -v2
	v_mul_f32_e32 v1, v8, v4
	s_delay_alu instid0(VALU_DEP_4) | instskip(NEXT) | instid1(VALU_DEP_2)
	v_fmac_f32_e32 v181, v8, v3
	v_fma_f32 v182, v7, v3, -v1
	ds_load_2addr_b64 v[1:4], v21 offset0:115 offset1:116
	ds_load_2addr_b64 v[5:8], v21 offset0:117 offset1:118
	s_wait_loadcnt_dscnt 0x1
	v_mul_f32_e32 v183, v1, v10
	v_mul_f32_e32 v185, v3, v12
	s_delay_alu instid0(VALU_DEP_2) | instskip(NEXT) | instid1(VALU_DEP_2)
	v_fmac_f32_e32 v183, v2, v9
	v_dual_mul_f32 v2, v2, v10 :: v_dual_fmac_f32 v185, v4, v11
	s_delay_alu instid0(VALU_DEP_1) | instskip(SKIP_1) | instid1(VALU_DEP_1)
	v_fma_f32 v184, v1, v9, -v2
	v_mul_f32_e32 v1, v4, v12
	v_fma_f32 v186, v3, v11, -v1
	s_clause 0x1
	scratch_load_b128 v[1:4], off, off offset:424
	scratch_load_b128 v[9:12], off, off offset:440
	s_wait_loadcnt_dscnt 0x100
	v_mul_f32_e32 v187, v5, v2
	v_dual_mul_f32 v2, v6, v2 :: v_dual_mul_f32 v189, v7, v4
	s_delay_alu instid0(VALU_DEP_1) | instskip(NEXT) | instid1(VALU_DEP_2)
	v_fma_f32 v188, v5, v1, -v2
	v_dual_fmac_f32 v189, v8, v3 :: v_dual_add_f32 v2, 0, v38
	s_delay_alu instid0(VALU_DEP_1) | instskip(NEXT) | instid1(VALU_DEP_1)
	v_add_f32_e32 v2, v2, v39
	v_add_f32_e32 v2, v2, v24
	s_delay_alu instid0(VALU_DEP_1) | instskip(NEXT) | instid1(VALU_DEP_1)
	v_add_f32_e32 v2, v2, v25
	v_add_f32_e32 v2, v2, v34
	;; [unrolled: 3-line block ×5, first 2 shown]
	v_fmac_f32_e32 v187, v6, v1
	v_mul_f32_e32 v1, v8, v4
	s_delay_alu instid0(VALU_DEP_1) | instskip(SKIP_1) | instid1(VALU_DEP_1)
	v_fma_f32 v190, v7, v3, -v1
	v_add_f32_e32 v1, 0, v22
	v_add_f32_e32 v1, v1, v23
	s_delay_alu instid0(VALU_DEP_1) | instskip(NEXT) | instid1(VALU_DEP_1)
	v_add_f32_e32 v1, v1, v26
	v_add_f32_e32 v1, v1, v27
	s_delay_alu instid0(VALU_DEP_1) | instskip(NEXT) | instid1(VALU_DEP_1)
	;; [unrolled: 3-line block ×3, first 2 shown]
	v_add_f32_e32 v1, v1, v13
	v_add_f32_e32 v1, v1, v14
	;; [unrolled: 1-line block ×3, first 2 shown]
	s_delay_alu instid0(VALU_DEP_1) | instskip(NEXT) | instid1(VALU_DEP_1)
	v_dual_add_f32 v1, v1, v16 :: v_dual_add_f32 v14, v14, v41
	v_add_f32_e32 v6, v1, v17
	ds_load_2addr_b64 v[1:4], v21 offset0:119 offset1:120
	v_add_f32_e32 v14, v14, v42
	v_add_f32_e32 v6, v6, v32
	s_delay_alu instid0(VALU_DEP_1) | instskip(SKIP_4) | instid1(VALU_DEP_2)
	v_add_f32_e32 v13, v6, v33
	ds_load_2addr_b64 v[5:8], v21 offset0:121 offset1:122
	s_wait_loadcnt_dscnt 0x1
	v_dual_mul_f32 v25, v1, v10 :: v_dual_mul_f32 v26, v3, v12
	v_mul_f32_e32 v10, v2, v10
	v_dual_mul_f32 v12, v4, v12 :: v_dual_fmac_f32 v25, v2, v9
	s_delay_alu instid0(VALU_DEP_3) | instskip(NEXT) | instid1(VALU_DEP_3)
	v_fmac_f32_e32 v26, v4, v11
	v_fma_f32 v27, v1, v9, -v10
	s_delay_alu instid0(VALU_DEP_3) | instskip(SKIP_4) | instid1(VALU_DEP_1)
	v_fma_f32 v28, v3, v11, -v12
	s_clause 0x1
	scratch_load_b128 v[1:4], off, off offset:456
	scratch_load_b128 v[9:12], off, off offset:472
	v_add_f32_e32 v17, v14, v171
	v_add_f32_e32 v17, v17, v173
	s_delay_alu instid0(VALU_DEP_1) | instskip(NEXT) | instid1(VALU_DEP_1)
	v_add_f32_e32 v17, v17, v175
	v_add_f32_e32 v17, v17, v177
	s_delay_alu instid0(VALU_DEP_1) | instskip(NEXT) | instid1(VALU_DEP_1)
	;; [unrolled: 3-line block ×4, first 2 shown]
	v_add_f32_e32 v30, v30, v187
	v_add_f32_e32 v30, v30, v189
	s_wait_loadcnt_dscnt 0x100
	v_dual_mul_f32 v32, v7, v4 :: v_dual_add_f32 v13, v13, v43
	v_mul_f32_e32 v4, v8, v4
	s_delay_alu instid0(VALU_DEP_2) | instskip(NEXT) | instid1(VALU_DEP_2)
	v_dual_fmac_f32 v32, v8, v3 :: v_dual_add_f32 v13, v13, v44
	v_fma_f32 v3, v7, v3, -v4
	s_delay_alu instid0(VALU_DEP_2) | instskip(NEXT) | instid1(VALU_DEP_1)
	v_add_f32_e32 v13, v13, v172
	v_add_f32_e32 v18, v13, v174
	scratch_load_b128 v[13:16], off, off offset:488
	v_add_f32_e32 v25, v30, v25
	v_add_f32_e32 v18, v18, v176
	s_delay_alu instid0(VALU_DEP_1) | instskip(NEXT) | instid1(VALU_DEP_1)
	v_add_f32_e32 v18, v18, v178
	v_add_f32_e32 v22, v18, v180
	ds_load_2addr_b64 v[17:20], v21 offset0:123 offset1:124
	v_mul_f32_e32 v31, v5, v2
	v_mul_f32_e32 v2, v6, v2
	v_add_f32_e32 v29, v22, v182
	ds_load_2addr_b64 v[21:24], v21 offset0:125 offset1:126
	v_fma_f32 v2, v5, v1, -v2
	v_add_f32_e32 v29, v29, v184
	s_delay_alu instid0(VALU_DEP_1) | instskip(NEXT) | instid1(VALU_DEP_1)
	v_add_f32_e32 v29, v29, v186
	v_add_f32_e32 v29, v29, v188
	s_wait_loadcnt_dscnt 0x101
	v_mul_f32_e32 v34, v19, v12
	v_dual_mul_f32 v4, v20, v12 :: v_dual_fmac_f32 v31, v6, v1
	v_mul_f32_e32 v6, v18, v10
	s_delay_alu instid0(VALU_DEP_3) | instskip(NEXT) | instid1(VALU_DEP_3)
	v_dual_add_f32 v29, v29, v190 :: v_dual_fmac_f32 v34, v20, v11
	v_fma_f32 v4, v19, v11, -v4
	s_delay_alu instid0(VALU_DEP_2) | instskip(NEXT) | instid1(VALU_DEP_1)
	v_add_f32_e32 v27, v29, v27
	v_add_f32_e32 v1, v27, v28
	s_delay_alu instid0(VALU_DEP_1) | instskip(SKIP_2) | instid1(VALU_DEP_1)
	v_add_f32_e32 v1, v1, v2
	s_wait_loadcnt_dscnt 0x0
	v_mul_f32_e32 v38, v21, v14
	v_dual_add_f32 v5, v25, v26 :: v_dual_fmac_f32 v38, v22, v13
	s_delay_alu instid0(VALU_DEP_1) | instskip(SKIP_2) | instid1(VALU_DEP_3)
	v_dual_mul_f32 v29, v23, v16 :: v_dual_add_f32 v2, v5, v31
	v_mul_f32_e32 v33, v17, v10
	v_fma_f32 v5, v17, v9, -v6
	v_dual_fmac_f32 v29, v24, v15 :: v_dual_add_f32 v2, v2, v32
	s_delay_alu instid0(VALU_DEP_3) | instskip(NEXT) | instid1(VALU_DEP_1)
	v_fmac_f32_e32 v33, v18, v9
	v_add_f32_e32 v2, v2, v33
	s_delay_alu instid0(VALU_DEP_1) | instskip(NEXT) | instid1(VALU_DEP_1)
	v_add_f32_e32 v2, v2, v34
	v_add_f32_e32 v2, v2, v38
	s_delay_alu instid0(VALU_DEP_1) | instskip(SKIP_1) | instid1(VALU_DEP_2)
	v_dual_add_f32 v2, v2, v29 :: v_dual_add_f32 v1, v1, v3
	v_mul_f32_e32 v3, v22, v14
	v_sub_f32_e32 v2, v37, v2
	s_delay_alu instid0(VALU_DEP_3) | instskip(SKIP_1) | instid1(VALU_DEP_4)
	v_add_f32_e32 v1, v1, v5
	v_mul_f32_e32 v5, v24, v16
	v_fma_f32 v3, v21, v13, -v3
	s_delay_alu instid0(VALU_DEP_3) | instskip(NEXT) | instid1(VALU_DEP_3)
	v_add_f32_e32 v1, v1, v4
	v_fma_f32 v4, v23, v15, -v5
	s_delay_alu instid0(VALU_DEP_2) | instskip(NEXT) | instid1(VALU_DEP_1)
	v_add_f32_e32 v1, v1, v3
	v_add_f32_e32 v1, v1, v4
	s_delay_alu instid0(VALU_DEP_1)
	v_sub_f32_e32 v1, v36, v1
	scratch_store_b64 off, v[1:2], off offset:240
	v_cmpx_lt_u32_e32 29, v0
	s_cbranch_execz .LBB62_333
; %bb.332:
	scratch_load_b64 v[1:2], off, off offset:232
	v_mov_b32_e32 v3, 0
	s_delay_alu instid0(VALU_DEP_1)
	v_mov_b32_e32 v4, v3
	scratch_store_b64 off, v[3:4], off offset:232
	s_wait_loadcnt 0x0
	ds_store_b64 v35, v[1:2]
.LBB62_333:
	s_wait_alu 0xfffe
	s_or_b32 exec_lo, exec_lo, s0
	s_wait_storecnt_dscnt 0x0
	s_barrier_signal -1
	s_barrier_wait -1
	global_inv scope:SCOPE_SE
	s_clause 0x4
	scratch_load_b128 v[5:8], off, off offset:240
	scratch_load_b128 v[1:4], off, off offset:256
	scratch_load_b128 v[9:12], off, off offset:272
	scratch_load_b128 v[13:16], off, off offset:288
	scratch_load_b128 v[17:20], off, off offset:304
	v_mov_b32_e32 v21, 0
	ds_load_b128 v[22:25], v21 offset:752
	ds_load_b128 v[26:29], v21 offset:768
	;; [unrolled: 1-line block ×3, first 2 shown]
	scratch_load_b64 v[36:37], off, off offset:232
	s_mov_b32 s0, exec_lo
	s_wait_loadcnt_dscnt 0x502
	v_mul_f32_e32 v34, v23, v6
	v_dual_mul_f32 v38, v22, v6 :: v_dual_mul_f32 v39, v24, v8
	v_mul_f32_e32 v6, v25, v8
	s_wait_loadcnt_dscnt 0x300
	v_mul_f32_e32 v40, v32, v12
	v_fma_f32 v22, v22, v5, -v34
	v_dual_fmac_f32 v38, v23, v5 :: v_dual_fmac_f32 v39, v25, v7
	v_fma_f32 v23, v24, v7, -v6
	v_dual_mul_f32 v24, v26, v2 :: v_dual_mul_f32 v25, v28, v4
	v_mul_f32_e32 v2, v27, v2
	v_mul_f32_e32 v4, v29, v4
	ds_load_b128 v[5:8], v21 offset:800
	v_mul_f32_e32 v34, v30, v10
	v_dual_fmac_f32 v24, v27, v1 :: v_dual_fmac_f32 v25, v29, v3
	v_fma_f32 v26, v26, v1, -v2
	v_fma_f32 v27, v28, v3, -v4
	v_mul_f32_e32 v12, v33, v12
	scratch_load_b128 v[1:4], off, off offset:320
	v_mul_f32_e32 v10, v31, v10
	v_fmac_f32_e32 v34, v31, v9
	v_fmac_f32_e32 v40, v33, v11
	v_fma_f32 v29, v32, v11, -v12
	s_delay_alu instid0(VALU_DEP_4)
	v_fma_f32 v28, v30, v9, -v10
	ds_load_b128 v[9:12], v21 offset:816
	s_wait_loadcnt_dscnt 0x301
	v_mul_f32_e32 v30, v5, v14
	v_dual_mul_f32 v14, v6, v14 :: v_dual_mul_f32 v31, v7, v16
	v_mul_f32_e32 v16, v8, v16
	s_delay_alu instid0(VALU_DEP_3) | instskip(NEXT) | instid1(VALU_DEP_3)
	v_fmac_f32_e32 v30, v6, v13
	v_fma_f32 v13, v5, v13, -v14
	s_delay_alu instid0(VALU_DEP_4) | instskip(NEXT) | instid1(VALU_DEP_4)
	v_fmac_f32_e32 v31, v8, v15
	v_fma_f32 v14, v7, v15, -v16
	ds_load_b128 v[5:8], v21 offset:832
	s_wait_loadcnt_dscnt 0x201
	v_mul_f32_e32 v15, v9, v18
	v_mul_f32_e32 v16, v10, v18
	;; [unrolled: 1-line block ×3, first 2 shown]
	s_delay_alu instid0(VALU_DEP_3) | instskip(NEXT) | instid1(VALU_DEP_3)
	v_dual_mul_f32 v20, v12, v20 :: v_dual_fmac_f32 v15, v10, v17
	v_fma_f32 v16, v9, v17, -v16
	s_delay_alu instid0(VALU_DEP_3) | instskip(NEXT) | instid1(VALU_DEP_3)
	v_fmac_f32_e32 v18, v12, v19
	v_fma_f32 v17, v11, v19, -v20
	scratch_load_b128 v[9:12], off, off offset:336
	s_wait_loadcnt_dscnt 0x100
	v_mul_f32_e32 v19, v5, v2
	v_mul_f32_e32 v2, v6, v2
	;; [unrolled: 1-line block ×3, first 2 shown]
	s_delay_alu instid0(VALU_DEP_3) | instskip(NEXT) | instid1(VALU_DEP_3)
	v_dual_mul_f32 v4, v8, v4 :: v_dual_fmac_f32 v19, v6, v1
	v_fma_f32 v32, v5, v1, -v2
	s_delay_alu instid0(VALU_DEP_3) | instskip(NEXT) | instid1(VALU_DEP_3)
	v_fmac_f32_e32 v20, v8, v3
	v_fma_f32 v33, v7, v3, -v4
	ds_load_b128 v[1:4], v21 offset:848
	ds_load_b128 v[5:8], v21 offset:864
	s_wait_loadcnt_dscnt 0x1
	v_mul_f32_e32 v41, v1, v10
	v_mul_f32_e32 v10, v2, v10
	s_delay_alu instid0(VALU_DEP_2) | instskip(NEXT) | instid1(VALU_DEP_2)
	v_dual_mul_f32 v42, v3, v12 :: v_dual_fmac_f32 v41, v2, v9
	v_fma_f32 v43, v1, v9, -v10
	v_mul_f32_e32 v1, v4, v12
	s_delay_alu instid0(VALU_DEP_3) | instskip(NEXT) | instid1(VALU_DEP_2)
	v_fmac_f32_e32 v42, v4, v11
	v_fma_f32 v44, v3, v11, -v1
	s_clause 0x1
	scratch_load_b128 v[1:4], off, off offset:352
	scratch_load_b128 v[9:12], off, off offset:368
	s_wait_loadcnt_dscnt 0x100
	v_mul_f32_e32 v171, v5, v2
	v_dual_mul_f32 v2, v6, v2 :: v_dual_mul_f32 v173, v7, v4
	s_delay_alu instid0(VALU_DEP_2) | instskip(NEXT) | instid1(VALU_DEP_2)
	v_fmac_f32_e32 v171, v6, v1
	v_fma_f32 v172, v5, v1, -v2
	v_mul_f32_e32 v1, v8, v4
	s_delay_alu instid0(VALU_DEP_4) | instskip(NEXT) | instid1(VALU_DEP_2)
	v_fmac_f32_e32 v173, v8, v3
	v_fma_f32 v174, v7, v3, -v1
	ds_load_b128 v[1:4], v21 offset:880
	ds_load_b128 v[5:8], v21 offset:896
	s_wait_loadcnt_dscnt 0x1
	v_mul_f32_e32 v175, v1, v10
	v_mul_f32_e32 v177, v3, v12
	s_delay_alu instid0(VALU_DEP_2) | instskip(NEXT) | instid1(VALU_DEP_2)
	v_fmac_f32_e32 v175, v2, v9
	v_dual_mul_f32 v2, v2, v10 :: v_dual_fmac_f32 v177, v4, v11
	s_delay_alu instid0(VALU_DEP_1) | instskip(SKIP_1) | instid1(VALU_DEP_1)
	v_fma_f32 v176, v1, v9, -v2
	v_mul_f32_e32 v1, v4, v12
	v_fma_f32 v178, v3, v11, -v1
	s_clause 0x1
	scratch_load_b128 v[1:4], off, off offset:384
	scratch_load_b128 v[9:12], off, off offset:400
	s_wait_loadcnt_dscnt 0x100
	v_mul_f32_e32 v179, v5, v2
	v_dual_mul_f32 v2, v6, v2 :: v_dual_mul_f32 v181, v7, v4
	s_delay_alu instid0(VALU_DEP_2) | instskip(NEXT) | instid1(VALU_DEP_2)
	v_fmac_f32_e32 v179, v6, v1
	v_fma_f32 v180, v5, v1, -v2
	v_mul_f32_e32 v1, v8, v4
	s_delay_alu instid0(VALU_DEP_4) | instskip(NEXT) | instid1(VALU_DEP_2)
	v_fmac_f32_e32 v181, v8, v3
	v_fma_f32 v182, v7, v3, -v1
	ds_load_b128 v[1:4], v21 offset:912
	ds_load_b128 v[5:8], v21 offset:928
	s_wait_loadcnt_dscnt 0x1
	v_mul_f32_e32 v183, v1, v10
	v_mul_f32_e32 v185, v3, v12
	s_delay_alu instid0(VALU_DEP_2) | instskip(NEXT) | instid1(VALU_DEP_2)
	v_fmac_f32_e32 v183, v2, v9
	v_dual_mul_f32 v2, v2, v10 :: v_dual_fmac_f32 v185, v4, v11
	s_delay_alu instid0(VALU_DEP_1) | instskip(SKIP_1) | instid1(VALU_DEP_1)
	v_fma_f32 v184, v1, v9, -v2
	v_mul_f32_e32 v1, v4, v12
	v_fma_f32 v186, v3, v11, -v1
	s_clause 0x1
	scratch_load_b128 v[1:4], off, off offset:416
	scratch_load_b128 v[9:12], off, off offset:432
	s_wait_loadcnt_dscnt 0x100
	v_mul_f32_e32 v187, v5, v2
	v_dual_mul_f32 v2, v6, v2 :: v_dual_mul_f32 v189, v7, v4
	s_delay_alu instid0(VALU_DEP_1) | instskip(SKIP_1) | instid1(VALU_DEP_1)
	v_fma_f32 v188, v5, v1, -v2
	v_add_f32_e32 v2, 0, v38
	v_add_f32_e32 v2, v2, v39
	s_delay_alu instid0(VALU_DEP_1) | instskip(NEXT) | instid1(VALU_DEP_1)
	v_dual_fmac_f32 v189, v8, v3 :: v_dual_add_f32 v2, v2, v24
	v_add_f32_e32 v2, v2, v25
	s_delay_alu instid0(VALU_DEP_1) | instskip(NEXT) | instid1(VALU_DEP_1)
	v_add_f32_e32 v2, v2, v34
	v_add_f32_e32 v2, v2, v40
	s_delay_alu instid0(VALU_DEP_1) | instskip(NEXT) | instid1(VALU_DEP_1)
	v_add_f32_e32 v2, v2, v30
	v_add_f32_e32 v2, v2, v31
	s_delay_alu instid0(VALU_DEP_1) | instskip(NEXT) | instid1(VALU_DEP_1)
	v_add_f32_e32 v5, v2, v15
	v_add_f32_e32 v5, v5, v18
	s_delay_alu instid0(VALU_DEP_1) | instskip(SKIP_2) | instid1(VALU_DEP_1)
	v_add_f32_e32 v5, v5, v19
	v_fmac_f32_e32 v187, v6, v1
	v_mul_f32_e32 v1, v8, v4
	v_fma_f32 v190, v7, v3, -v1
	v_add_f32_e32 v1, 0, v22
	s_delay_alu instid0(VALU_DEP_1) | instskip(NEXT) | instid1(VALU_DEP_1)
	v_add_f32_e32 v1, v1, v23
	v_add_f32_e32 v1, v1, v26
	s_delay_alu instid0(VALU_DEP_1) | instskip(SKIP_2) | instid1(VALU_DEP_1)
	v_add_f32_e32 v1, v1, v27
	scratch_load_b64 v[26:27], off, off offset:496
	v_add_f32_e32 v1, v1, v28
	v_add_f32_e32 v1, v1, v29
	s_delay_alu instid0(VALU_DEP_1) | instskip(NEXT) | instid1(VALU_DEP_1)
	v_add_f32_e32 v1, v1, v13
	v_add_f32_e32 v1, v1, v14
	v_add_f32_e32 v14, v5, v20
	s_delay_alu instid0(VALU_DEP_1) | instskip(NEXT) | instid1(VALU_DEP_1)
	v_dual_add_f32 v1, v1, v16 :: v_dual_add_f32 v14, v14, v41
	v_add_f32_e32 v6, v1, v17
	ds_load_b128 v[1:4], v21 offset:944
	v_add_f32_e32 v14, v14, v42
	v_add_f32_e32 v6, v6, v32
	s_delay_alu instid0(VALU_DEP_2) | instskip(NEXT) | instid1(VALU_DEP_2)
	v_add_f32_e32 v17, v14, v171
	v_add_f32_e32 v13, v6, v33
	ds_load_b128 v[5:8], v21 offset:960
	s_wait_loadcnt_dscnt 0x101
	v_mul_f32_e32 v30, v1, v10
	v_dual_add_f32 v13, v13, v43 :: v_dual_mul_f32 v10, v2, v10
	s_delay_alu instid0(VALU_DEP_1) | instskip(NEXT) | instid1(VALU_DEP_2)
	v_dual_fmac_f32 v30, v2, v9 :: v_dual_add_f32 v13, v13, v44
	v_fma_f32 v32, v1, v9, -v10
	s_delay_alu instid0(VALU_DEP_2) | instskip(SKIP_2) | instid1(VALU_DEP_3)
	v_add_f32_e32 v13, v13, v172
	v_mul_f32_e32 v31, v3, v12
	v_mul_f32_e32 v12, v4, v12
	v_add_f32_e32 v18, v13, v174
	scratch_load_b128 v[13:16], off, off offset:480
	v_fma_f32 v33, v3, v11, -v12
	v_add_f32_e32 v18, v18, v176
	s_delay_alu instid0(VALU_DEP_1) | instskip(SKIP_4) | instid1(VALU_DEP_1)
	v_dual_add_f32 v18, v18, v178 :: v_dual_fmac_f32 v31, v4, v11
	s_clause 0x1
	scratch_load_b128 v[1:4], off, off offset:448
	scratch_load_b128 v[9:12], off, off offset:464
	v_add_f32_e32 v18, v18, v180
	v_dual_add_f32 v18, v18, v182 :: v_dual_add_f32 v17, v17, v173
	s_delay_alu instid0(VALU_DEP_1) | instskip(NEXT) | instid1(VALU_DEP_1)
	v_add_f32_e32 v28, v18, v184
	v_dual_add_f32 v34, v28, v186 :: v_dual_add_f32 v17, v17, v175
	s_delay_alu instid0(VALU_DEP_1) | instskip(NEXT) | instid1(VALU_DEP_1)
	v_dual_add_f32 v34, v34, v188 :: v_dual_add_f32 v17, v17, v177
	v_dual_add_f32 v34, v34, v190 :: v_dual_add_f32 v17, v17, v179
	s_delay_alu instid0(VALU_DEP_1)
	v_add_f32_e32 v22, v17, v181
	ds_load_b128 v[17:20], v21 offset:976
	v_add_f32_e32 v29, v22, v183
	ds_load_b128 v[22:25], v21 offset:992
	s_wait_loadcnt_dscnt 0x200
	v_mul_f32_e32 v41, v22, v14
	s_delay_alu instid0(VALU_DEP_1)
	v_fmac_f32_e32 v41, v23, v13
	s_wait_loadcnt 0x1
	v_mul_f32_e32 v40, v7, v4
	v_add_f32_e32 v38, v29, v185
	ds_load_b64 v[28:29], v21 offset:1008
	v_mul_f32_e32 v4, v8, v4
	v_fmac_f32_e32 v40, v8, v3
	v_dual_add_f32 v38, v38, v187 :: v_dual_mul_f32 v39, v5, v2
	v_mul_f32_e32 v2, v6, v2
	s_delay_alu instid0(VALU_DEP_2) | instskip(NEXT) | instid1(VALU_DEP_3)
	v_add_f32_e32 v38, v38, v189
	v_fmac_f32_e32 v39, v6, v1
	s_delay_alu instid0(VALU_DEP_2) | instskip(SKIP_2) | instid1(VALU_DEP_2)
	v_add_f32_e32 v30, v38, v30
	s_wait_loadcnt 0x0
	v_mul_f32_e32 v38, v19, v12
	v_add_f32_e32 v30, v30, v31
	s_wait_dscnt 0x0
	v_mul_f32_e32 v31, v28, v27
	v_fma_f32 v2, v5, v1, -v2
	v_fma_f32 v1, v7, v3, -v4
	v_mul_f32_e32 v3, v18, v10
	v_dual_mul_f32 v5, v20, v12 :: v_dual_add_f32 v4, v30, v39
	v_fmac_f32_e32 v31, v29, v26
	s_delay_alu instid0(VALU_DEP_3) | instskip(SKIP_3) | instid1(VALU_DEP_3)
	v_fma_f32 v3, v17, v9, -v3
	v_add_f32_e32 v32, v34, v32
	v_mul_f32_e32 v34, v17, v10
	v_fma_f32 v5, v19, v11, -v5
	v_add_f32_e32 v32, v32, v33
	s_delay_alu instid0(VALU_DEP_3) | instskip(NEXT) | instid1(VALU_DEP_1)
	v_dual_mul_f32 v33, v24, v16 :: v_dual_fmac_f32 v34, v18, v9
	v_dual_add_f32 v2, v32, v2 :: v_dual_fmac_f32 v33, v25, v15
	s_delay_alu instid0(VALU_DEP_1) | instskip(NEXT) | instid1(VALU_DEP_1)
	v_dual_add_f32 v1, v2, v1 :: v_dual_add_f32 v2, v4, v40
	v_add_f32_e32 v1, v1, v3
	v_mul_f32_e32 v3, v25, v16
	s_delay_alu instid0(VALU_DEP_2) | instskip(NEXT) | instid1(VALU_DEP_2)
	v_add_f32_e32 v1, v1, v5
	v_fma_f32 v3, v24, v15, -v3
	v_dual_mul_f32 v4, v23, v14 :: v_dual_mul_f32 v5, v29, v27
	s_delay_alu instid0(VALU_DEP_1) | instskip(NEXT) | instid1(VALU_DEP_1)
	v_fma_f32 v4, v22, v13, -v4
	v_dual_fmac_f32 v38, v20, v11 :: v_dual_add_f32 v1, v1, v4
	s_delay_alu instid0(VALU_DEP_3) | instskip(NEXT) | instid1(VALU_DEP_2)
	v_fma_f32 v4, v28, v26, -v5
	v_dual_add_f32 v1, v1, v3 :: v_dual_add_f32 v2, v2, v34
	s_delay_alu instid0(VALU_DEP_1) | instskip(NEXT) | instid1(VALU_DEP_1)
	v_dual_add_f32 v1, v1, v4 :: v_dual_add_f32 v2, v2, v38
	v_sub_f32_e32 v1, v36, v1
	s_delay_alu instid0(VALU_DEP_2) | instskip(NEXT) | instid1(VALU_DEP_1)
	v_add_f32_e32 v2, v2, v41
	v_add_f32_e32 v2, v2, v33
	s_delay_alu instid0(VALU_DEP_1) | instskip(NEXT) | instid1(VALU_DEP_1)
	v_add_f32_e32 v2, v2, v31
	v_sub_f32_e32 v2, v37, v2
	scratch_store_b64 off, v[1:2], off offset:232
	v_cmpx_lt_u32_e32 28, v0
	s_cbranch_execz .LBB62_335
; %bb.334:
	scratch_load_b64 v[1:2], off, off offset:224
	v_mov_b32_e32 v22, v21
	scratch_store_b64 off, v[21:22], off offset:224
	s_wait_loadcnt 0x0
	ds_store_b64 v35, v[1:2]
.LBB62_335:
	s_wait_alu 0xfffe
	s_or_b32 exec_lo, exec_lo, s0
	s_wait_storecnt_dscnt 0x0
	s_barrier_signal -1
	s_barrier_wait -1
	global_inv scope:SCOPE_SE
	s_clause 0x4
	scratch_load_b128 v[5:8], off, off offset:232
	scratch_load_b128 v[1:4], off, off offset:248
	scratch_load_b128 v[9:12], off, off offset:264
	scratch_load_b128 v[13:16], off, off offset:280
	scratch_load_b128 v[17:20], off, off offset:296
	ds_load_2addr_b64 v[22:25], v21 offset0:93 offset1:94
	ds_load_2addr_b64 v[26:29], v21 offset0:95 offset1:96
	;; [unrolled: 1-line block ×3, first 2 shown]
	scratch_load_b64 v[36:37], off, off offset:224
	s_mov_b32 s0, exec_lo
	s_wait_loadcnt_dscnt 0x502
	v_dual_mul_f32 v34, v23, v6 :: v_dual_mul_f32 v39, v24, v8
	v_mul_f32_e32 v38, v22, v6
	v_mul_f32_e32 v6, v25, v8
	s_wait_loadcnt_dscnt 0x300
	v_mul_f32_e32 v40, v32, v12
	v_fma_f32 v22, v22, v5, -v34
	v_dual_fmac_f32 v39, v25, v7 :: v_dual_fmac_f32 v38, v23, v5
	v_mul_f32_e32 v25, v28, v4
	v_fma_f32 v23, v24, v7, -v6
	ds_load_2addr_b64 v[5:8], v21 offset0:99 offset1:100
	v_mul_f32_e32 v24, v26, v2
	v_mul_f32_e32 v4, v29, v4
	;; [unrolled: 1-line block ×5, first 2 shown]
	v_dual_mul_f32 v2, v27, v2 :: v_dual_fmac_f32 v25, v29, v3
	v_fmac_f32_e32 v24, v27, v1
	v_fma_f32 v27, v28, v3, -v4
	v_fmac_f32_e32 v34, v31, v9
	v_fma_f32 v28, v30, v9, -v10
	;; [unrolled: 2-line block ×3, first 2 shown]
	ds_load_2addr_b64 v[9:12], v21 offset0:101 offset1:102
	s_wait_loadcnt_dscnt 0x201
	v_mul_f32_e32 v30, v5, v14
	v_dual_mul_f32 v14, v6, v14 :: v_dual_mul_f32 v31, v7, v16
	v_mul_f32_e32 v16, v8, v16
	s_delay_alu instid0(VALU_DEP_3) | instskip(NEXT) | instid1(VALU_DEP_3)
	v_fmac_f32_e32 v30, v6, v13
	v_fma_f32 v13, v5, v13, -v14
	s_delay_alu instid0(VALU_DEP_4) | instskip(NEXT) | instid1(VALU_DEP_4)
	v_fmac_f32_e32 v31, v8, v15
	v_fma_f32 v14, v7, v15, -v16
	ds_load_2addr_b64 v[5:8], v21 offset0:103 offset1:104
	s_wait_loadcnt_dscnt 0x101
	v_mul_f32_e32 v15, v9, v18
	v_mul_f32_e32 v16, v10, v18
	;; [unrolled: 1-line block ×3, first 2 shown]
	s_delay_alu instid0(VALU_DEP_3)
	v_dual_mul_f32 v20, v12, v20 :: v_dual_fmac_f32 v15, v10, v17
	v_fma_f32 v26, v26, v1, -v2
	scratch_load_b128 v[1:4], off, off offset:312
	v_fma_f32 v16, v9, v17, -v16
	v_fmac_f32_e32 v18, v12, v19
	v_fma_f32 v17, v11, v19, -v20
	scratch_load_b128 v[9:12], off, off offset:328
	s_wait_loadcnt_dscnt 0x100
	v_mul_f32_e32 v19, v5, v2
	v_mul_f32_e32 v2, v6, v2
	;; [unrolled: 1-line block ×3, first 2 shown]
	s_delay_alu instid0(VALU_DEP_3) | instskip(NEXT) | instid1(VALU_DEP_3)
	v_dual_mul_f32 v4, v8, v4 :: v_dual_fmac_f32 v19, v6, v1
	v_fma_f32 v32, v5, v1, -v2
	s_delay_alu instid0(VALU_DEP_3) | instskip(NEXT) | instid1(VALU_DEP_3)
	v_fmac_f32_e32 v20, v8, v3
	v_fma_f32 v33, v7, v3, -v4
	ds_load_2addr_b64 v[1:4], v21 offset0:105 offset1:106
	ds_load_2addr_b64 v[5:8], v21 offset0:107 offset1:108
	s_wait_loadcnt_dscnt 0x1
	v_mul_f32_e32 v41, v1, v10
	v_mul_f32_e32 v10, v2, v10
	s_delay_alu instid0(VALU_DEP_2) | instskip(NEXT) | instid1(VALU_DEP_2)
	v_dual_mul_f32 v42, v3, v12 :: v_dual_fmac_f32 v41, v2, v9
	v_fma_f32 v43, v1, v9, -v10
	v_mul_f32_e32 v1, v4, v12
	s_delay_alu instid0(VALU_DEP_3) | instskip(NEXT) | instid1(VALU_DEP_2)
	v_fmac_f32_e32 v42, v4, v11
	v_fma_f32 v44, v3, v11, -v1
	s_clause 0x1
	scratch_load_b128 v[1:4], off, off offset:344
	scratch_load_b128 v[9:12], off, off offset:360
	s_wait_loadcnt_dscnt 0x100
	v_mul_f32_e32 v171, v5, v2
	v_dual_mul_f32 v2, v6, v2 :: v_dual_mul_f32 v173, v7, v4
	s_delay_alu instid0(VALU_DEP_2) | instskip(NEXT) | instid1(VALU_DEP_2)
	v_fmac_f32_e32 v171, v6, v1
	v_fma_f32 v172, v5, v1, -v2
	v_mul_f32_e32 v1, v8, v4
	s_delay_alu instid0(VALU_DEP_4) | instskip(NEXT) | instid1(VALU_DEP_2)
	v_fmac_f32_e32 v173, v8, v3
	v_fma_f32 v174, v7, v3, -v1
	ds_load_2addr_b64 v[1:4], v21 offset0:109 offset1:110
	ds_load_2addr_b64 v[5:8], v21 offset0:111 offset1:112
	s_wait_loadcnt_dscnt 0x1
	v_mul_f32_e32 v175, v1, v10
	v_mul_f32_e32 v177, v3, v12
	s_delay_alu instid0(VALU_DEP_2) | instskip(NEXT) | instid1(VALU_DEP_2)
	v_fmac_f32_e32 v175, v2, v9
	v_dual_mul_f32 v2, v2, v10 :: v_dual_fmac_f32 v177, v4, v11
	s_delay_alu instid0(VALU_DEP_1) | instskip(SKIP_1) | instid1(VALU_DEP_1)
	v_fma_f32 v176, v1, v9, -v2
	v_mul_f32_e32 v1, v4, v12
	v_fma_f32 v178, v3, v11, -v1
	s_clause 0x1
	scratch_load_b128 v[1:4], off, off offset:376
	scratch_load_b128 v[9:12], off, off offset:392
	s_wait_loadcnt_dscnt 0x100
	v_mul_f32_e32 v179, v5, v2
	v_dual_mul_f32 v2, v6, v2 :: v_dual_mul_f32 v181, v7, v4
	s_delay_alu instid0(VALU_DEP_2) | instskip(NEXT) | instid1(VALU_DEP_2)
	v_fmac_f32_e32 v179, v6, v1
	v_fma_f32 v180, v5, v1, -v2
	v_mul_f32_e32 v1, v8, v4
	s_delay_alu instid0(VALU_DEP_4) | instskip(NEXT) | instid1(VALU_DEP_2)
	v_fmac_f32_e32 v181, v8, v3
	v_fma_f32 v182, v7, v3, -v1
	ds_load_2addr_b64 v[1:4], v21 offset0:113 offset1:114
	ds_load_2addr_b64 v[5:8], v21 offset0:115 offset1:116
	s_wait_loadcnt_dscnt 0x1
	v_mul_f32_e32 v183, v1, v10
	v_mul_f32_e32 v185, v3, v12
	s_delay_alu instid0(VALU_DEP_2) | instskip(NEXT) | instid1(VALU_DEP_2)
	v_fmac_f32_e32 v183, v2, v9
	v_dual_mul_f32 v2, v2, v10 :: v_dual_fmac_f32 v185, v4, v11
	s_delay_alu instid0(VALU_DEP_1) | instskip(SKIP_1) | instid1(VALU_DEP_1)
	v_fma_f32 v184, v1, v9, -v2
	v_mul_f32_e32 v1, v4, v12
	v_fma_f32 v186, v3, v11, -v1
	s_clause 0x1
	scratch_load_b128 v[1:4], off, off offset:408
	scratch_load_b128 v[9:12], off, off offset:424
	s_wait_loadcnt_dscnt 0x100
	v_mul_f32_e32 v187, v5, v2
	v_dual_mul_f32 v2, v6, v2 :: v_dual_mul_f32 v189, v7, v4
	s_delay_alu instid0(VALU_DEP_1) | instskip(NEXT) | instid1(VALU_DEP_2)
	v_fma_f32 v188, v5, v1, -v2
	v_dual_fmac_f32 v189, v8, v3 :: v_dual_add_f32 v2, 0, v38
	s_delay_alu instid0(VALU_DEP_1) | instskip(SKIP_1) | instid1(VALU_DEP_2)
	v_add_f32_e32 v2, v2, v39
	v_fmac_f32_e32 v187, v6, v1
	v_add_f32_e32 v2, v2, v24
	s_delay_alu instid0(VALU_DEP_1) | instskip(NEXT) | instid1(VALU_DEP_1)
	v_dual_mul_f32 v1, v8, v4 :: v_dual_add_f32 v2, v2, v25
	v_fma_f32 v190, v7, v3, -v1
	s_delay_alu instid0(VALU_DEP_2) | instskip(NEXT) | instid1(VALU_DEP_1)
	v_add_f32_e32 v2, v2, v34
	v_dual_add_f32 v1, 0, v22 :: v_dual_add_f32 v2, v2, v40
	s_delay_alu instid0(VALU_DEP_1) | instskip(NEXT) | instid1(VALU_DEP_1)
	v_dual_add_f32 v1, v1, v23 :: v_dual_add_f32 v2, v2, v30
	v_dual_add_f32 v1, v1, v26 :: v_dual_add_f32 v2, v2, v31
	s_delay_alu instid0(VALU_DEP_1) | instskip(NEXT) | instid1(VALU_DEP_1)
	v_add_f32_e32 v1, v1, v27
	v_dual_add_f32 v2, v2, v15 :: v_dual_add_f32 v1, v1, v28
	s_delay_alu instid0(VALU_DEP_1) | instskip(NEXT) | instid1(VALU_DEP_2)
	v_add_f32_e32 v5, v2, v18
	v_add_f32_e32 v1, v1, v29
	s_delay_alu instid0(VALU_DEP_1) | instskip(NEXT) | instid1(VALU_DEP_3)
	v_add_f32_e32 v1, v1, v13
	v_add_f32_e32 v13, v5, v19
	s_delay_alu instid0(VALU_DEP_2) | instskip(NEXT) | instid1(VALU_DEP_2)
	v_add_f32_e32 v1, v1, v14
	v_add_f32_e32 v13, v13, v20
	s_delay_alu instid0(VALU_DEP_2) | instskip(NEXT) | instid1(VALU_DEP_2)
	v_add_f32_e32 v1, v1, v16
	v_add_f32_e32 v13, v13, v41
	s_delay_alu instid0(VALU_DEP_1) | instskip(NEXT) | instid1(VALU_DEP_1)
	v_add_f32_e32 v18, v13, v42
	v_dual_add_f32 v1, v1, v17 :: v_dual_add_f32 v18, v18, v171
	s_delay_alu instid0(VALU_DEP_1)
	v_add_f32_e32 v6, v1, v32
	ds_load_2addr_b64 v[1:4], v21 offset0:117 offset1:118
	v_add_f32_e32 v18, v18, v173
	v_add_f32_e32 v14, v6, v33
	scratch_load_b128 v[5:8], off, off offset:440
	v_add_f32_e32 v22, v18, v175
	v_add_f32_e32 v14, v14, v43
	s_delay_alu instid0(VALU_DEP_2) | instskip(NEXT) | instid1(VALU_DEP_2)
	v_add_f32_e32 v22, v22, v177
	v_add_f32_e32 v17, v14, v44
	ds_load_2addr_b64 v[13:16], v21 offset0:119 offset1:120
	s_wait_loadcnt_dscnt 0x101
	v_dual_add_f32 v22, v22, v179 :: v_dual_mul_f32 v25, v1, v10
	v_mul_f32_e32 v10, v2, v10
	v_mul_f32_e32 v26, v3, v12
	s_delay_alu instid0(VALU_DEP_3) | instskip(NEXT) | instid1(VALU_DEP_3)
	v_dual_mul_f32 v12, v4, v12 :: v_dual_fmac_f32 v25, v2, v9
	v_fma_f32 v27, v1, v9, -v10
	s_delay_alu instid0(VALU_DEP_3) | instskip(NEXT) | instid1(VALU_DEP_3)
	v_fmac_f32_e32 v26, v4, v11
	v_fma_f32 v28, v3, v11, -v12
	s_clause 0x1
	scratch_load_b128 v[1:4], off, off offset:456
	scratch_load_b128 v[9:12], off, off offset:472
	s_wait_loadcnt_dscnt 0x200
	v_dual_mul_f32 v29, v13, v6 :: v_dual_mul_f32 v30, v15, v8
	v_mul_f32_e32 v6, v14, v6
	v_mul_f32_e32 v8, v16, v8
	s_delay_alu instid0(VALU_DEP_3) | instskip(NEXT) | instid1(VALU_DEP_3)
	v_dual_fmac_f32 v30, v16, v7 :: v_dual_add_f32 v17, v17, v172
	v_fma_f32 v31, v13, v5, -v6
	s_delay_alu instid0(VALU_DEP_3) | instskip(NEXT) | instid1(VALU_DEP_3)
	v_fma_f32 v32, v15, v7, -v8
	v_add_f32_e32 v17, v17, v174
	s_delay_alu instid0(VALU_DEP_1) | instskip(NEXT) | instid1(VALU_DEP_1)
	v_add_f32_e32 v17, v17, v176
	v_add_f32_e32 v23, v17, v178
	scratch_load_b128 v[17:20], off, off offset:488
	v_add_f32_e32 v23, v23, v180
	s_delay_alu instid0(VALU_DEP_1) | instskip(SKIP_3) | instid1(VALU_DEP_1)
	v_add_f32_e32 v23, v23, v182
	v_fmac_f32_e32 v29, v14, v5
	ds_load_2addr_b64 v[5:8], v21 offset0:121 offset1:122
	v_dual_add_f32 v13, v22, v181 :: v_dual_add_f32 v22, v23, v184
	v_add_f32_e32 v23, v13, v183
	ds_load_2addr_b64 v[13:16], v21 offset0:123 offset1:124
	s_wait_loadcnt_dscnt 0x201
	v_mul_f32_e32 v38, v5, v2
	v_mul_f32_e32 v2, v6, v2
	v_dual_add_f32 v33, v22, v186 :: v_dual_add_f32 v34, v23, v185
	ds_load_2addr_b64 v[21:24], v21 offset0:125 offset1:126
	v_fmac_f32_e32 v38, v6, v1
	v_fma_f32 v2, v5, v1, -v2
	v_dual_add_f32 v33, v33, v188 :: v_dual_add_f32 v34, v34, v187
	s_wait_loadcnt_dscnt 0x101
	v_dual_mul_f32 v39, v15, v12 :: v_dual_mul_f32 v6, v14, v10
	s_delay_alu instid0(VALU_DEP_2) | instskip(NEXT) | instid1(VALU_DEP_2)
	v_dual_add_f32 v33, v33, v190 :: v_dual_add_f32 v34, v34, v189
	v_fmac_f32_e32 v39, v16, v11
	s_delay_alu instid0(VALU_DEP_2) | instskip(NEXT) | instid1(VALU_DEP_3)
	v_add_f32_e32 v27, v33, v27
	v_dual_add_f32 v25, v34, v25 :: v_dual_mul_f32 v34, v13, v10
	v_mul_f32_e32 v33, v7, v4
	s_delay_alu instid0(VALU_DEP_2) | instskip(NEXT) | instid1(VALU_DEP_3)
	v_dual_mul_f32 v4, v8, v4 :: v_dual_add_f32 v25, v25, v26
	v_fmac_f32_e32 v34, v14, v9
	s_wait_loadcnt_dscnt 0x0
	s_delay_alu instid0(VALU_DEP_3) | instskip(NEXT) | instid1(VALU_DEP_3)
	v_dual_mul_f32 v26, v21, v18 :: v_dual_fmac_f32 v33, v8, v3
	v_fma_f32 v3, v7, v3, -v4
	v_dual_mul_f32 v4, v16, v12 :: v_dual_add_f32 v25, v25, v29
	s_delay_alu instid0(VALU_DEP_3) | instskip(NEXT) | instid1(VALU_DEP_2)
	v_fmac_f32_e32 v26, v22, v17
	v_fma_f32 v4, v15, v11, -v4
	s_delay_alu instid0(VALU_DEP_3) | instskip(SKIP_2) | instid1(VALU_DEP_2)
	v_add_f32_e32 v5, v25, v30
	v_add_f32_e32 v27, v27, v28
	v_mul_f32_e32 v28, v23, v20
	v_add_f32_e32 v27, v27, v31
	s_delay_alu instid0(VALU_DEP_1) | instskip(NEXT) | instid1(VALU_DEP_1)
	v_dual_fmac_f32 v28, v24, v19 :: v_dual_add_f32 v1, v27, v32
	v_add_f32_e32 v1, v1, v2
	v_add_f32_e32 v2, v5, v38
	v_fma_f32 v5, v13, v9, -v6
	s_delay_alu instid0(VALU_DEP_2) | instskip(NEXT) | instid1(VALU_DEP_1)
	v_add_f32_e32 v2, v2, v33
	v_add_f32_e32 v2, v2, v34
	s_delay_alu instid0(VALU_DEP_1) | instskip(NEXT) | instid1(VALU_DEP_1)
	v_add_f32_e32 v2, v2, v39
	v_dual_add_f32 v2, v2, v26 :: v_dual_add_f32 v1, v1, v3
	v_mul_f32_e32 v3, v22, v18
	s_delay_alu instid0(VALU_DEP_2) | instskip(SKIP_1) | instid1(VALU_DEP_3)
	v_dual_add_f32 v2, v2, v28 :: v_dual_add_f32 v1, v1, v5
	v_mul_f32_e32 v5, v24, v20
	v_fma_f32 v3, v21, v17, -v3
	s_delay_alu instid0(VALU_DEP_3) | instskip(NEXT) | instid1(VALU_DEP_4)
	v_sub_f32_e32 v2, v37, v2
	v_add_f32_e32 v1, v1, v4
	s_delay_alu instid0(VALU_DEP_4) | instskip(NEXT) | instid1(VALU_DEP_2)
	v_fma_f32 v4, v23, v19, -v5
	v_add_f32_e32 v1, v1, v3
	s_delay_alu instid0(VALU_DEP_1) | instskip(NEXT) | instid1(VALU_DEP_1)
	v_add_f32_e32 v1, v1, v4
	v_sub_f32_e32 v1, v36, v1
	scratch_store_b64 off, v[1:2], off offset:224
	v_cmpx_lt_u32_e32 27, v0
	s_cbranch_execz .LBB62_337
; %bb.336:
	scratch_load_b64 v[1:2], off, off offset:216
	v_mov_b32_e32 v3, 0
	s_delay_alu instid0(VALU_DEP_1)
	v_mov_b32_e32 v4, v3
	scratch_store_b64 off, v[3:4], off offset:216
	s_wait_loadcnt 0x0
	ds_store_b64 v35, v[1:2]
.LBB62_337:
	s_wait_alu 0xfffe
	s_or_b32 exec_lo, exec_lo, s0
	s_wait_storecnt_dscnt 0x0
	s_barrier_signal -1
	s_barrier_wait -1
	global_inv scope:SCOPE_SE
	s_clause 0x4
	scratch_load_b128 v[5:8], off, off offset:224
	scratch_load_b128 v[1:4], off, off offset:240
	;; [unrolled: 1-line block ×5, first 2 shown]
	v_mov_b32_e32 v21, 0
	ds_load_b128 v[22:25], v21 offset:736
	ds_load_b128 v[26:29], v21 offset:752
	;; [unrolled: 1-line block ×3, first 2 shown]
	scratch_load_b64 v[36:37], off, off offset:216
	s_mov_b32 s0, exec_lo
	s_wait_loadcnt_dscnt 0x502
	v_mul_f32_e32 v34, v23, v6
	v_dual_mul_f32 v38, v22, v6 :: v_dual_mul_f32 v39, v24, v8
	v_mul_f32_e32 v6, v25, v8
	s_wait_loadcnt_dscnt 0x300
	v_mul_f32_e32 v40, v32, v12
	v_fma_f32 v22, v22, v5, -v34
	v_dual_fmac_f32 v38, v23, v5 :: v_dual_fmac_f32 v39, v25, v7
	v_fma_f32 v23, v24, v7, -v6
	v_dual_mul_f32 v24, v26, v2 :: v_dual_mul_f32 v25, v28, v4
	v_mul_f32_e32 v2, v27, v2
	v_mul_f32_e32 v4, v29, v4
	ds_load_b128 v[5:8], v21 offset:784
	v_mul_f32_e32 v34, v30, v10
	v_dual_fmac_f32 v24, v27, v1 :: v_dual_fmac_f32 v25, v29, v3
	v_fma_f32 v26, v26, v1, -v2
	v_fma_f32 v27, v28, v3, -v4
	v_mul_f32_e32 v12, v33, v12
	scratch_load_b128 v[1:4], off, off offset:304
	v_mul_f32_e32 v10, v31, v10
	v_fmac_f32_e32 v34, v31, v9
	v_fmac_f32_e32 v40, v33, v11
	v_fma_f32 v29, v32, v11, -v12
	s_delay_alu instid0(VALU_DEP_4)
	v_fma_f32 v28, v30, v9, -v10
	ds_load_b128 v[9:12], v21 offset:800
	s_wait_loadcnt_dscnt 0x301
	v_mul_f32_e32 v30, v5, v14
	v_dual_mul_f32 v14, v6, v14 :: v_dual_mul_f32 v31, v7, v16
	v_mul_f32_e32 v16, v8, v16
	s_delay_alu instid0(VALU_DEP_3) | instskip(NEXT) | instid1(VALU_DEP_3)
	v_fmac_f32_e32 v30, v6, v13
	v_fma_f32 v13, v5, v13, -v14
	s_delay_alu instid0(VALU_DEP_4) | instskip(NEXT) | instid1(VALU_DEP_4)
	v_fmac_f32_e32 v31, v8, v15
	v_fma_f32 v14, v7, v15, -v16
	ds_load_b128 v[5:8], v21 offset:816
	s_wait_loadcnt_dscnt 0x201
	v_mul_f32_e32 v15, v9, v18
	v_mul_f32_e32 v16, v10, v18
	;; [unrolled: 1-line block ×3, first 2 shown]
	s_delay_alu instid0(VALU_DEP_3) | instskip(NEXT) | instid1(VALU_DEP_3)
	v_dual_mul_f32 v20, v12, v20 :: v_dual_fmac_f32 v15, v10, v17
	v_fma_f32 v16, v9, v17, -v16
	s_delay_alu instid0(VALU_DEP_3) | instskip(NEXT) | instid1(VALU_DEP_3)
	v_fmac_f32_e32 v18, v12, v19
	v_fma_f32 v17, v11, v19, -v20
	scratch_load_b128 v[9:12], off, off offset:320
	s_wait_loadcnt_dscnt 0x100
	v_mul_f32_e32 v19, v5, v2
	v_mul_f32_e32 v2, v6, v2
	;; [unrolled: 1-line block ×3, first 2 shown]
	s_delay_alu instid0(VALU_DEP_3) | instskip(NEXT) | instid1(VALU_DEP_3)
	v_dual_mul_f32 v4, v8, v4 :: v_dual_fmac_f32 v19, v6, v1
	v_fma_f32 v32, v5, v1, -v2
	s_delay_alu instid0(VALU_DEP_3) | instskip(NEXT) | instid1(VALU_DEP_3)
	v_fmac_f32_e32 v20, v8, v3
	v_fma_f32 v33, v7, v3, -v4
	ds_load_b128 v[1:4], v21 offset:832
	ds_load_b128 v[5:8], v21 offset:848
	s_wait_loadcnt_dscnt 0x1
	v_mul_f32_e32 v41, v1, v10
	v_mul_f32_e32 v10, v2, v10
	s_delay_alu instid0(VALU_DEP_2) | instskip(NEXT) | instid1(VALU_DEP_2)
	v_dual_mul_f32 v42, v3, v12 :: v_dual_fmac_f32 v41, v2, v9
	v_fma_f32 v43, v1, v9, -v10
	v_mul_f32_e32 v1, v4, v12
	s_delay_alu instid0(VALU_DEP_3) | instskip(NEXT) | instid1(VALU_DEP_2)
	v_fmac_f32_e32 v42, v4, v11
	v_fma_f32 v44, v3, v11, -v1
	s_clause 0x1
	scratch_load_b128 v[1:4], off, off offset:336
	scratch_load_b128 v[9:12], off, off offset:352
	s_wait_loadcnt_dscnt 0x100
	v_mul_f32_e32 v171, v5, v2
	v_dual_mul_f32 v2, v6, v2 :: v_dual_mul_f32 v173, v7, v4
	s_delay_alu instid0(VALU_DEP_2) | instskip(NEXT) | instid1(VALU_DEP_2)
	v_fmac_f32_e32 v171, v6, v1
	v_fma_f32 v172, v5, v1, -v2
	v_mul_f32_e32 v1, v8, v4
	s_delay_alu instid0(VALU_DEP_4) | instskip(NEXT) | instid1(VALU_DEP_2)
	v_fmac_f32_e32 v173, v8, v3
	v_fma_f32 v174, v7, v3, -v1
	ds_load_b128 v[1:4], v21 offset:864
	ds_load_b128 v[5:8], v21 offset:880
	s_wait_loadcnt_dscnt 0x1
	v_mul_f32_e32 v175, v1, v10
	v_mul_f32_e32 v177, v3, v12
	s_delay_alu instid0(VALU_DEP_2) | instskip(NEXT) | instid1(VALU_DEP_2)
	v_fmac_f32_e32 v175, v2, v9
	v_dual_mul_f32 v2, v2, v10 :: v_dual_fmac_f32 v177, v4, v11
	s_delay_alu instid0(VALU_DEP_1) | instskip(SKIP_1) | instid1(VALU_DEP_1)
	v_fma_f32 v176, v1, v9, -v2
	v_mul_f32_e32 v1, v4, v12
	v_fma_f32 v178, v3, v11, -v1
	s_clause 0x1
	scratch_load_b128 v[1:4], off, off offset:368
	scratch_load_b128 v[9:12], off, off offset:384
	s_wait_loadcnt_dscnt 0x100
	v_mul_f32_e32 v179, v5, v2
	v_dual_mul_f32 v2, v6, v2 :: v_dual_mul_f32 v181, v7, v4
	s_delay_alu instid0(VALU_DEP_2) | instskip(NEXT) | instid1(VALU_DEP_2)
	v_fmac_f32_e32 v179, v6, v1
	v_fma_f32 v180, v5, v1, -v2
	v_mul_f32_e32 v1, v8, v4
	s_delay_alu instid0(VALU_DEP_4) | instskip(NEXT) | instid1(VALU_DEP_2)
	v_fmac_f32_e32 v181, v8, v3
	v_fma_f32 v182, v7, v3, -v1
	ds_load_b128 v[1:4], v21 offset:896
	ds_load_b128 v[5:8], v21 offset:912
	s_wait_loadcnt_dscnt 0x1
	v_mul_f32_e32 v183, v1, v10
	v_mul_f32_e32 v185, v3, v12
	s_delay_alu instid0(VALU_DEP_2) | instskip(NEXT) | instid1(VALU_DEP_2)
	v_fmac_f32_e32 v183, v2, v9
	v_dual_mul_f32 v2, v2, v10 :: v_dual_fmac_f32 v185, v4, v11
	s_delay_alu instid0(VALU_DEP_1) | instskip(SKIP_1) | instid1(VALU_DEP_1)
	v_fma_f32 v184, v1, v9, -v2
	v_mul_f32_e32 v1, v4, v12
	v_fma_f32 v186, v3, v11, -v1
	s_clause 0x1
	scratch_load_b128 v[1:4], off, off offset:400
	scratch_load_b128 v[9:12], off, off offset:416
	s_wait_loadcnt_dscnt 0x100
	v_mul_f32_e32 v187, v5, v2
	v_dual_mul_f32 v2, v6, v2 :: v_dual_mul_f32 v189, v7, v4
	s_delay_alu instid0(VALU_DEP_1) | instskip(SKIP_1) | instid1(VALU_DEP_1)
	v_fma_f32 v188, v5, v1, -v2
	v_add_f32_e32 v2, 0, v38
	v_add_f32_e32 v2, v2, v39
	s_delay_alu instid0(VALU_DEP_4) | instskip(SKIP_1) | instid1(VALU_DEP_3)
	v_fmac_f32_e32 v189, v8, v3
	v_fmac_f32_e32 v187, v6, v1
	v_add_f32_e32 v2, v2, v24
	s_delay_alu instid0(VALU_DEP_1) | instskip(NEXT) | instid1(VALU_DEP_1)
	v_dual_mul_f32 v1, v8, v4 :: v_dual_add_f32 v2, v2, v25
	v_fma_f32 v190, v7, v3, -v1
	s_delay_alu instid0(VALU_DEP_2) | instskip(NEXT) | instid1(VALU_DEP_1)
	v_add_f32_e32 v2, v2, v34
	v_dual_add_f32 v1, 0, v22 :: v_dual_add_f32 v2, v2, v40
	s_delay_alu instid0(VALU_DEP_1) | instskip(NEXT) | instid1(VALU_DEP_1)
	v_dual_add_f32 v1, v1, v23 :: v_dual_add_f32 v2, v2, v30
	v_dual_add_f32 v1, v1, v26 :: v_dual_add_f32 v2, v2, v31
	s_delay_alu instid0(VALU_DEP_1) | instskip(SKIP_2) | instid1(VALU_DEP_1)
	v_add_f32_e32 v1, v1, v27
	scratch_load_b64 v[26:27], off, off offset:496
	v_dual_add_f32 v2, v2, v15 :: v_dual_add_f32 v1, v1, v28
	v_add_f32_e32 v5, v2, v18
	s_delay_alu instid0(VALU_DEP_2) | instskip(NEXT) | instid1(VALU_DEP_1)
	v_add_f32_e32 v1, v1, v29
	v_add_f32_e32 v1, v1, v13
	s_delay_alu instid0(VALU_DEP_3) | instskip(NEXT) | instid1(VALU_DEP_1)
	v_add_f32_e32 v13, v5, v19
	v_add_f32_e32 v13, v13, v20
	s_delay_alu instid0(VALU_DEP_1) | instskip(NEXT) | instid1(VALU_DEP_1)
	v_add_f32_e32 v13, v13, v41
	v_add_f32_e32 v18, v13, v42
	s_delay_alu instid0(VALU_DEP_1) | instskip(NEXT) | instid1(VALU_DEP_1)
	v_dual_add_f32 v1, v1, v14 :: v_dual_add_f32 v18, v18, v171
	v_dual_add_f32 v1, v1, v16 :: v_dual_add_f32 v18, v18, v173
	s_delay_alu instid0(VALU_DEP_1) | instskip(NEXT) | instid1(VALU_DEP_1)
	v_dual_add_f32 v1, v1, v17 :: v_dual_add_f32 v22, v18, v175
	v_add_f32_e32 v6, v1, v32
	scratch_load_b128 v[1:4], off, off offset:432
	v_add_f32_e32 v22, v22, v177
	v_add_f32_e32 v14, v6, v33
	ds_load_b128 v[5:8], v21 offset:928
	v_add_f32_e32 v22, v22, v179
	v_add_f32_e32 v14, v14, v43
	s_delay_alu instid0(VALU_DEP_2) | instskip(NEXT) | instid1(VALU_DEP_2)
	v_add_f32_e32 v22, v22, v181
	v_add_f32_e32 v17, v14, v44
	ds_load_b128 v[13:16], v21 offset:944
	s_wait_loadcnt_dscnt 0x201
	v_mul_f32_e32 v30, v5, v10
	v_dual_mul_f32 v10, v6, v10 :: v_dual_mul_f32 v31, v7, v12
	v_mul_f32_e32 v12, v8, v12
	s_delay_alu instid0(VALU_DEP_3) | instskip(NEXT) | instid1(VALU_DEP_3)
	v_dual_add_f32 v17, v17, v172 :: v_dual_fmac_f32 v30, v6, v9
	v_fma_f32 v32, v5, v9, -v10
	s_delay_alu instid0(VALU_DEP_4) | instskip(NEXT) | instid1(VALU_DEP_4)
	v_fmac_f32_e32 v31, v8, v11
	v_fma_f32 v33, v7, v11, -v12
	s_clause 0x1
	scratch_load_b128 v[5:8], off, off offset:448
	scratch_load_b128 v[9:12], off, off offset:464
	v_add_f32_e32 v17, v17, v174
	s_delay_alu instid0(VALU_DEP_1) | instskip(SKIP_3) | instid1(VALU_DEP_3)
	v_add_f32_e32 v17, v17, v176
	s_wait_loadcnt_dscnt 0x200
	v_mul_f32_e32 v34, v13, v2
	v_mul_f32_e32 v2, v14, v2
	v_add_f32_e32 v23, v17, v178
	scratch_load_b128 v[17:20], off, off offset:480
	v_mul_f32_e32 v38, v15, v4
	v_fmac_f32_e32 v34, v14, v1
	v_mul_f32_e32 v4, v16, v4
	v_add_f32_e32 v23, v23, v180
	v_fma_f32 v39, v13, v1, -v2
	v_fmac_f32_e32 v38, v16, v3
	s_delay_alu instid0(VALU_DEP_4) | instskip(NEXT) | instid1(VALU_DEP_4)
	v_fma_f32 v40, v15, v3, -v4
	v_add_f32_e32 v23, v23, v182
	ds_load_b128 v[1:4], v21 offset:960
	v_add_f32_e32 v23, v23, v184
	s_delay_alu instid0(VALU_DEP_1) | instskip(NEXT) | instid1(VALU_DEP_1)
	v_dual_add_f32 v13, v22, v183 :: v_dual_add_f32 v14, v23, v186
	v_add_f32_e32 v28, v14, v188
	s_delay_alu instid0(VALU_DEP_2)
	v_add_f32_e32 v22, v13, v185
	ds_load_b128 v[13:16], v21 offset:976
	v_add_f32_e32 v41, v28, v190
	v_add_f32_e32 v29, v22, v187
	ds_load_b128 v[22:25], v21 offset:992
	v_add_f32_e32 v32, v41, v32
	v_add_f32_e32 v42, v29, v189
	s_wait_loadcnt_dscnt 0x202
	v_mul_f32_e32 v41, v1, v6
	ds_load_b64 v[28:29], v21 offset:1008
	v_add_f32_e32 v32, v32, v33
	v_add_f32_e32 v30, v42, v30
	v_fmac_f32_e32 v41, v2, v5
	s_wait_loadcnt_dscnt 0x102
	s_delay_alu instid0(VALU_DEP_2) | instskip(SKIP_1) | instid1(VALU_DEP_2)
	v_dual_add_f32 v30, v30, v31 :: v_dual_mul_f32 v33, v13, v10
	v_dual_add_f32 v32, v32, v39 :: v_dual_mul_f32 v31, v3, v8
	v_dual_mul_f32 v8, v4, v8 :: v_dual_fmac_f32 v33, v14, v9
	s_delay_alu instid0(VALU_DEP_2) | instskip(NEXT) | instid1(VALU_DEP_3)
	v_add_f32_e32 v32, v32, v40
	v_dual_mul_f32 v6, v2, v6 :: v_dual_fmac_f32 v31, v4, v7
	s_delay_alu instid0(VALU_DEP_1) | instskip(SKIP_1) | instid1(VALU_DEP_1)
	v_fma_f32 v1, v1, v5, -v6
	v_mul_f32_e32 v5, v16, v12
	v_fma_f32 v5, v15, v11, -v5
	s_wait_loadcnt_dscnt 0x1
	v_mul_f32_e32 v39, v22, v18
	v_fma_f32 v2, v3, v7, -v8
	v_mul_f32_e32 v3, v14, v10
	v_add_f32_e32 v1, v32, v1
	s_delay_alu instid0(VALU_DEP_4) | instskip(NEXT) | instid1(VALU_DEP_3)
	v_dual_mul_f32 v40, v24, v20 :: v_dual_fmac_f32 v39, v23, v17
	v_fma_f32 v3, v13, v9, -v3
	s_delay_alu instid0(VALU_DEP_3) | instskip(SKIP_3) | instid1(VALU_DEP_3)
	v_add_f32_e32 v1, v1, v2
	v_add_f32_e32 v30, v30, v34
	v_mul_f32_e32 v34, v15, v12
	v_fmac_f32_e32 v40, v25, v19
	v_dual_add_f32 v1, v1, v3 :: v_dual_add_f32 v30, v30, v38
	s_delay_alu instid0(VALU_DEP_3) | instskip(SKIP_1) | instid1(VALU_DEP_2)
	v_dual_mul_f32 v3, v25, v20 :: v_dual_fmac_f32 v34, v16, v11
	s_wait_dscnt 0x0
	v_dual_mul_f32 v38, v28, v27 :: v_dual_add_f32 v1, v1, v5
	s_delay_alu instid0(VALU_DEP_3) | instskip(NEXT) | instid1(VALU_DEP_3)
	v_dual_add_f32 v4, v30, v41 :: v_dual_mul_f32 v5, v29, v27
	v_fma_f32 v3, v24, v19, -v3
	s_delay_alu instid0(VALU_DEP_3) | instskip(NEXT) | instid1(VALU_DEP_3)
	v_fmac_f32_e32 v38, v29, v26
	v_add_f32_e32 v2, v4, v31
	v_mul_f32_e32 v4, v23, v18
	s_delay_alu instid0(VALU_DEP_1) | instskip(NEXT) | instid1(VALU_DEP_1)
	v_fma_f32 v4, v22, v17, -v4
	v_add_f32_e32 v1, v1, v4
	v_fma_f32 v4, v28, v26, -v5
	s_delay_alu instid0(VALU_DEP_2) | instskip(NEXT) | instid1(VALU_DEP_1)
	v_dual_add_f32 v1, v1, v3 :: v_dual_add_f32 v2, v2, v33
	v_dual_add_f32 v1, v1, v4 :: v_dual_add_f32 v2, v2, v34
	s_delay_alu instid0(VALU_DEP_1) | instskip(NEXT) | instid1(VALU_DEP_1)
	v_dual_sub_f32 v1, v36, v1 :: v_dual_add_f32 v2, v2, v39
	v_add_f32_e32 v2, v2, v40
	s_delay_alu instid0(VALU_DEP_1) | instskip(NEXT) | instid1(VALU_DEP_1)
	v_add_f32_e32 v2, v2, v38
	v_sub_f32_e32 v2, v37, v2
	scratch_store_b64 off, v[1:2], off offset:216
	v_cmpx_lt_u32_e32 26, v0
	s_cbranch_execz .LBB62_339
; %bb.338:
	scratch_load_b64 v[1:2], off, off offset:208
	v_mov_b32_e32 v22, v21
	scratch_store_b64 off, v[21:22], off offset:208
	s_wait_loadcnt 0x0
	ds_store_b64 v35, v[1:2]
.LBB62_339:
	s_wait_alu 0xfffe
	s_or_b32 exec_lo, exec_lo, s0
	s_wait_storecnt_dscnt 0x0
	s_barrier_signal -1
	s_barrier_wait -1
	global_inv scope:SCOPE_SE
	s_clause 0x4
	scratch_load_b128 v[5:8], off, off offset:216
	scratch_load_b128 v[1:4], off, off offset:232
	;; [unrolled: 1-line block ×5, first 2 shown]
	ds_load_2addr_b64 v[22:25], v21 offset0:91 offset1:92
	ds_load_2addr_b64 v[26:29], v21 offset0:93 offset1:94
	;; [unrolled: 1-line block ×3, first 2 shown]
	scratch_load_b64 v[36:37], off, off offset:208
	s_mov_b32 s0, exec_lo
	s_wait_loadcnt_dscnt 0x502
	v_dual_mul_f32 v34, v23, v6 :: v_dual_mul_f32 v39, v24, v8
	v_mul_f32_e32 v38, v22, v6
	v_mul_f32_e32 v6, v25, v8
	s_wait_loadcnt_dscnt 0x300
	v_mul_f32_e32 v40, v32, v12
	v_fma_f32 v22, v22, v5, -v34
	v_dual_fmac_f32 v39, v25, v7 :: v_dual_fmac_f32 v38, v23, v5
	v_mul_f32_e32 v25, v28, v4
	v_fma_f32 v23, v24, v7, -v6
	ds_load_2addr_b64 v[5:8], v21 offset0:97 offset1:98
	v_mul_f32_e32 v24, v26, v2
	v_mul_f32_e32 v4, v29, v4
	v_mul_f32_e32 v34, v30, v10
	v_mul_f32_e32 v10, v31, v10
	v_mul_f32_e32 v12, v33, v12
	v_dual_mul_f32 v2, v27, v2 :: v_dual_fmac_f32 v25, v29, v3
	v_fmac_f32_e32 v24, v27, v1
	v_fma_f32 v27, v28, v3, -v4
	v_fmac_f32_e32 v34, v31, v9
	v_fma_f32 v28, v30, v9, -v10
	;; [unrolled: 2-line block ×3, first 2 shown]
	ds_load_2addr_b64 v[9:12], v21 offset0:99 offset1:100
	s_wait_loadcnt_dscnt 0x201
	v_mul_f32_e32 v30, v5, v14
	v_dual_mul_f32 v14, v6, v14 :: v_dual_mul_f32 v31, v7, v16
	v_mul_f32_e32 v16, v8, v16
	s_delay_alu instid0(VALU_DEP_3) | instskip(NEXT) | instid1(VALU_DEP_3)
	v_fmac_f32_e32 v30, v6, v13
	v_fma_f32 v13, v5, v13, -v14
	s_delay_alu instid0(VALU_DEP_4) | instskip(NEXT) | instid1(VALU_DEP_4)
	v_fmac_f32_e32 v31, v8, v15
	v_fma_f32 v14, v7, v15, -v16
	ds_load_2addr_b64 v[5:8], v21 offset0:101 offset1:102
	s_wait_loadcnt_dscnt 0x101
	v_mul_f32_e32 v15, v9, v18
	v_mul_f32_e32 v16, v10, v18
	;; [unrolled: 1-line block ×3, first 2 shown]
	s_delay_alu instid0(VALU_DEP_3)
	v_dual_mul_f32 v20, v12, v20 :: v_dual_fmac_f32 v15, v10, v17
	v_fma_f32 v26, v26, v1, -v2
	scratch_load_b128 v[1:4], off, off offset:296
	v_fma_f32 v16, v9, v17, -v16
	v_fmac_f32_e32 v18, v12, v19
	v_fma_f32 v17, v11, v19, -v20
	scratch_load_b128 v[9:12], off, off offset:312
	s_wait_loadcnt_dscnt 0x100
	v_mul_f32_e32 v19, v5, v2
	v_mul_f32_e32 v2, v6, v2
	;; [unrolled: 1-line block ×3, first 2 shown]
	s_delay_alu instid0(VALU_DEP_3) | instskip(NEXT) | instid1(VALU_DEP_3)
	v_dual_mul_f32 v4, v8, v4 :: v_dual_fmac_f32 v19, v6, v1
	v_fma_f32 v32, v5, v1, -v2
	s_delay_alu instid0(VALU_DEP_3) | instskip(NEXT) | instid1(VALU_DEP_3)
	v_fmac_f32_e32 v20, v8, v3
	v_fma_f32 v33, v7, v3, -v4
	ds_load_2addr_b64 v[1:4], v21 offset0:103 offset1:104
	ds_load_2addr_b64 v[5:8], v21 offset0:105 offset1:106
	s_wait_loadcnt_dscnt 0x1
	v_mul_f32_e32 v41, v1, v10
	v_mul_f32_e32 v10, v2, v10
	s_delay_alu instid0(VALU_DEP_2) | instskip(NEXT) | instid1(VALU_DEP_2)
	v_dual_mul_f32 v42, v3, v12 :: v_dual_fmac_f32 v41, v2, v9
	v_fma_f32 v43, v1, v9, -v10
	v_mul_f32_e32 v1, v4, v12
	s_delay_alu instid0(VALU_DEP_3) | instskip(NEXT) | instid1(VALU_DEP_2)
	v_fmac_f32_e32 v42, v4, v11
	v_fma_f32 v44, v3, v11, -v1
	s_clause 0x1
	scratch_load_b128 v[1:4], off, off offset:328
	scratch_load_b128 v[9:12], off, off offset:344
	s_wait_loadcnt_dscnt 0x100
	v_mul_f32_e32 v171, v5, v2
	v_dual_mul_f32 v2, v6, v2 :: v_dual_mul_f32 v173, v7, v4
	s_delay_alu instid0(VALU_DEP_2) | instskip(NEXT) | instid1(VALU_DEP_2)
	v_fmac_f32_e32 v171, v6, v1
	v_fma_f32 v172, v5, v1, -v2
	v_mul_f32_e32 v1, v8, v4
	s_delay_alu instid0(VALU_DEP_4) | instskip(NEXT) | instid1(VALU_DEP_2)
	v_fmac_f32_e32 v173, v8, v3
	v_fma_f32 v174, v7, v3, -v1
	ds_load_2addr_b64 v[1:4], v21 offset0:107 offset1:108
	ds_load_2addr_b64 v[5:8], v21 offset0:109 offset1:110
	s_wait_loadcnt_dscnt 0x1
	v_mul_f32_e32 v175, v1, v10
	v_mul_f32_e32 v177, v3, v12
	s_delay_alu instid0(VALU_DEP_2) | instskip(NEXT) | instid1(VALU_DEP_2)
	v_fmac_f32_e32 v175, v2, v9
	v_dual_mul_f32 v2, v2, v10 :: v_dual_fmac_f32 v177, v4, v11
	s_delay_alu instid0(VALU_DEP_1) | instskip(SKIP_1) | instid1(VALU_DEP_1)
	v_fma_f32 v176, v1, v9, -v2
	v_mul_f32_e32 v1, v4, v12
	v_fma_f32 v178, v3, v11, -v1
	s_clause 0x1
	scratch_load_b128 v[1:4], off, off offset:360
	scratch_load_b128 v[9:12], off, off offset:376
	s_wait_loadcnt_dscnt 0x100
	v_mul_f32_e32 v179, v5, v2
	v_dual_mul_f32 v2, v6, v2 :: v_dual_mul_f32 v181, v7, v4
	s_delay_alu instid0(VALU_DEP_2) | instskip(NEXT) | instid1(VALU_DEP_2)
	v_fmac_f32_e32 v179, v6, v1
	v_fma_f32 v180, v5, v1, -v2
	v_mul_f32_e32 v1, v8, v4
	s_delay_alu instid0(VALU_DEP_4) | instskip(NEXT) | instid1(VALU_DEP_2)
	v_fmac_f32_e32 v181, v8, v3
	v_fma_f32 v182, v7, v3, -v1
	ds_load_2addr_b64 v[1:4], v21 offset0:111 offset1:112
	ds_load_2addr_b64 v[5:8], v21 offset0:113 offset1:114
	s_wait_loadcnt_dscnt 0x1
	v_mul_f32_e32 v183, v1, v10
	v_mul_f32_e32 v185, v3, v12
	s_delay_alu instid0(VALU_DEP_2) | instskip(NEXT) | instid1(VALU_DEP_2)
	v_fmac_f32_e32 v183, v2, v9
	v_dual_mul_f32 v2, v2, v10 :: v_dual_fmac_f32 v185, v4, v11
	s_delay_alu instid0(VALU_DEP_1) | instskip(SKIP_1) | instid1(VALU_DEP_1)
	v_fma_f32 v184, v1, v9, -v2
	v_mul_f32_e32 v1, v4, v12
	;; [unrolled: 25-line block ×3, first 2 shown]
	v_fma_f32 v194, v3, v11, -v1
	s_clause 0x1
	scratch_load_b128 v[1:4], off, off offset:424
	scratch_load_b128 v[9:12], off, off offset:440
	s_wait_loadcnt_dscnt 0x100
	v_mul_f32_e32 v195, v5, v2
	v_mul_f32_e32 v2, v6, v2
	s_delay_alu instid0(VALU_DEP_1) | instskip(SKIP_1) | instid1(VALU_DEP_1)
	v_fma_f32 v196, v5, v1, -v2
	v_add_f32_e32 v2, 0, v38
	v_add_f32_e32 v2, v2, v39
	s_delay_alu instid0(VALU_DEP_1) | instskip(NEXT) | instid1(VALU_DEP_1)
	v_add_f32_e32 v2, v2, v24
	v_add_f32_e32 v2, v2, v25
	s_delay_alu instid0(VALU_DEP_1) | instskip(NEXT) | instid1(VALU_DEP_1)
	v_add_f32_e32 v2, v2, v34
	v_add_f32_e32 v2, v2, v40
	v_fmac_f32_e32 v195, v6, v1
	s_delay_alu instid0(VALU_DEP_2) | instskip(NEXT) | instid1(VALU_DEP_1)
	v_dual_add_f32 v2, v2, v30 :: v_dual_mul_f32 v197, v7, v4
	v_dual_add_f32 v2, v2, v31 :: v_dual_mul_f32 v1, v8, v4
	s_delay_alu instid0(VALU_DEP_1) | instskip(NEXT) | instid1(VALU_DEP_3)
	v_add_f32_e32 v2, v2, v15
	v_fmac_f32_e32 v197, v8, v3
	s_delay_alu instid0(VALU_DEP_3) | instskip(NEXT) | instid1(VALU_DEP_3)
	v_fma_f32 v198, v7, v3, -v1
	v_add_f32_e32 v2, v2, v18
	s_delay_alu instid0(VALU_DEP_1) | instskip(NEXT) | instid1(VALU_DEP_1)
	v_dual_add_f32 v1, 0, v22 :: v_dual_add_f32 v2, v2, v19
	v_dual_add_f32 v1, v1, v23 :: v_dual_add_f32 v2, v2, v20
	s_delay_alu instid0(VALU_DEP_1) | instskip(NEXT) | instid1(VALU_DEP_2)
	v_add_f32_e32 v1, v1, v26
	v_add_f32_e32 v5, v2, v41
	s_delay_alu instid0(VALU_DEP_2) | instskip(NEXT) | instid1(VALU_DEP_2)
	v_add_f32_e32 v1, v1, v27
	v_add_f32_e32 v5, v5, v42
	s_delay_alu instid0(VALU_DEP_2) | instskip(NEXT) | instid1(VALU_DEP_2)
	v_add_f32_e32 v1, v1, v28
	v_add_f32_e32 v5, v5, v171
	s_delay_alu instid0(VALU_DEP_2) | instskip(NEXT) | instid1(VALU_DEP_1)
	v_add_f32_e32 v1, v1, v29
	v_add_f32_e32 v1, v1, v13
	s_delay_alu instid0(VALU_DEP_1) | instskip(NEXT) | instid1(VALU_DEP_4)
	v_add_f32_e32 v1, v1, v14
	v_add_f32_e32 v14, v5, v173
	s_delay_alu instid0(VALU_DEP_1) | instskip(NEXT) | instid1(VALU_DEP_1)
	v_add_f32_e32 v14, v14, v175
	v_dual_add_f32 v14, v14, v177 :: v_dual_add_f32 v1, v1, v16
	s_delay_alu instid0(VALU_DEP_1) | instskip(NEXT) | instid1(VALU_DEP_2)
	v_add_f32_e32 v1, v1, v17
	v_add_f32_e32 v17, v14, v179
	s_delay_alu instid0(VALU_DEP_1) | instskip(NEXT) | instid1(VALU_DEP_1)
	v_add_f32_e32 v17, v17, v181
	v_add_f32_e32 v17, v17, v183
	s_delay_alu instid0(VALU_DEP_1) | instskip(NEXT) | instid1(VALU_DEP_1)
	v_add_f32_e32 v17, v17, v185
	v_add_f32_e32 v23, v17, v187
	s_delay_alu instid0(VALU_DEP_1) | instskip(NEXT) | instid1(VALU_DEP_1)
	v_dual_add_f32 v1, v1, v32 :: v_dual_add_f32 v30, v23, v189
	v_add_f32_e32 v1, v1, v33
	s_delay_alu instid0(VALU_DEP_1) | instskip(NEXT) | instid1(VALU_DEP_1)
	v_add_f32_e32 v1, v1, v43
	v_add_f32_e32 v6, v1, v44
	ds_load_2addr_b64 v[1:4], v21 offset0:119 offset1:120
	v_add_f32_e32 v30, v30, v191
	v_add_f32_e32 v6, v6, v172
	s_delay_alu instid0(VALU_DEP_2) | instskip(NEXT) | instid1(VALU_DEP_2)
	v_add_f32_e32 v30, v30, v193
	v_add_f32_e32 v13, v6, v174
	ds_load_2addr_b64 v[5:8], v21 offset0:121 offset1:122
	s_wait_loadcnt_dscnt 0x1
	v_mul_f32_e32 v26, v3, v12
	v_dual_add_f32 v13, v13, v176 :: v_dual_add_f32 v30, v30, v195
	v_mul_f32_e32 v25, v1, v10
	v_mul_f32_e32 v10, v2, v10
	;; [unrolled: 1-line block ×3, first 2 shown]
	v_fmac_f32_e32 v26, v4, v11
	v_add_f32_e32 v30, v30, v197
	v_fmac_f32_e32 v25, v2, v9
	v_fma_f32 v27, v1, v9, -v10
	v_fma_f32 v28, v3, v11, -v12
	s_clause 0x1
	scratch_load_b128 v[1:4], off, off offset:456
	scratch_load_b128 v[9:12], off, off offset:472
	s_wait_loadcnt_dscnt 0x100
	v_dual_add_f32 v13, v13, v178 :: v_dual_mul_f32 v32, v7, v4
	v_mul_f32_e32 v4, v8, v4
	s_delay_alu instid0(VALU_DEP_2)
	v_add_f32_e32 v13, v13, v180
	v_mul_f32_e32 v31, v5, v2
	v_mul_f32_e32 v2, v6, v2
	v_fmac_f32_e32 v32, v8, v3
	v_fma_f32 v3, v7, v3, -v4
	v_add_f32_e32 v18, v13, v182
	scratch_load_b128 v[13:16], off, off offset:488
	v_fmac_f32_e32 v31, v6, v1
	v_fma_f32 v2, v5, v1, -v2
	v_add_f32_e32 v18, v18, v184
	s_delay_alu instid0(VALU_DEP_1) | instskip(NEXT) | instid1(VALU_DEP_1)
	v_add_f32_e32 v18, v18, v186
	v_add_f32_e32 v22, v18, v188
	ds_load_2addr_b64 v[17:20], v21 offset0:123 offset1:124
	v_add_f32_e32 v29, v22, v190
	ds_load_2addr_b64 v[21:24], v21 offset0:125 offset1:126
	s_wait_loadcnt_dscnt 0x101
	v_mul_f32_e32 v34, v19, v12
	v_add_f32_e32 v29, v29, v192
	v_mul_f32_e32 v33, v17, v10
	v_mul_f32_e32 v6, v18, v10
	;; [unrolled: 1-line block ×3, first 2 shown]
	s_delay_alu instid0(VALU_DEP_3) | instskip(NEXT) | instid1(VALU_DEP_2)
	v_dual_fmac_f32 v34, v20, v11 :: v_dual_fmac_f32 v33, v18, v9
	v_fma_f32 v4, v19, v11, -v4
	s_wait_loadcnt_dscnt 0x0
	v_mul_f32_e32 v38, v21, v14
	v_add_f32_e32 v29, v29, v194
	v_add_f32_e32 v25, v30, v25
	s_delay_alu instid0(VALU_DEP_2) | instskip(NEXT) | instid1(VALU_DEP_2)
	v_dual_fmac_f32 v38, v22, v13 :: v_dual_add_f32 v29, v29, v196
	v_add_f32_e32 v5, v25, v26
	s_delay_alu instid0(VALU_DEP_2) | instskip(NEXT) | instid1(VALU_DEP_1)
	v_add_f32_e32 v29, v29, v198
	v_add_f32_e32 v27, v29, v27
	v_mul_f32_e32 v29, v23, v16
	s_delay_alu instid0(VALU_DEP_2) | instskip(NEXT) | instid1(VALU_DEP_2)
	v_add_f32_e32 v1, v27, v28
	v_fmac_f32_e32 v29, v24, v15
	s_delay_alu instid0(VALU_DEP_2) | instskip(SKIP_2) | instid1(VALU_DEP_2)
	v_add_f32_e32 v1, v1, v2
	v_add_f32_e32 v2, v5, v31
	v_fma_f32 v5, v17, v9, -v6
	v_dual_add_f32 v1, v1, v3 :: v_dual_add_f32 v2, v2, v32
	v_mul_f32_e32 v3, v22, v14
	s_delay_alu instid0(VALU_DEP_2) | instskip(NEXT) | instid1(VALU_DEP_3)
	v_add_f32_e32 v1, v1, v5
	v_dual_add_f32 v2, v2, v33 :: v_dual_mul_f32 v5, v24, v16
	s_delay_alu instid0(VALU_DEP_3) | instskip(NEXT) | instid1(VALU_DEP_2)
	v_fma_f32 v3, v21, v13, -v3
	v_dual_add_f32 v1, v1, v4 :: v_dual_add_f32 v2, v2, v34
	s_delay_alu instid0(VALU_DEP_3) | instskip(NEXT) | instid1(VALU_DEP_2)
	v_fma_f32 v4, v23, v15, -v5
	v_dual_add_f32 v1, v1, v3 :: v_dual_add_f32 v2, v2, v38
	s_delay_alu instid0(VALU_DEP_1) | instskip(NEXT) | instid1(VALU_DEP_1)
	v_dual_add_f32 v1, v1, v4 :: v_dual_add_f32 v2, v2, v29
	v_dual_sub_f32 v1, v36, v1 :: v_dual_sub_f32 v2, v37, v2
	scratch_store_b64 off, v[1:2], off offset:208
	v_cmpx_lt_u32_e32 25, v0
	s_cbranch_execz .LBB62_341
; %bb.340:
	scratch_load_b64 v[1:2], off, off offset:200
	v_mov_b32_e32 v3, 0
	s_delay_alu instid0(VALU_DEP_1)
	v_mov_b32_e32 v4, v3
	scratch_store_b64 off, v[3:4], off offset:200
	s_wait_loadcnt 0x0
	ds_store_b64 v35, v[1:2]
.LBB62_341:
	s_wait_alu 0xfffe
	s_or_b32 exec_lo, exec_lo, s0
	s_wait_storecnt_dscnt 0x0
	s_barrier_signal -1
	s_barrier_wait -1
	global_inv scope:SCOPE_SE
	s_clause 0x4
	scratch_load_b128 v[5:8], off, off offset:208
	scratch_load_b128 v[1:4], off, off offset:224
	;; [unrolled: 1-line block ×5, first 2 shown]
	v_mov_b32_e32 v21, 0
	ds_load_b128 v[22:25], v21 offset:720
	ds_load_b128 v[26:29], v21 offset:736
	;; [unrolled: 1-line block ×3, first 2 shown]
	scratch_load_b64 v[36:37], off, off offset:200
	s_mov_b32 s0, exec_lo
	s_wait_loadcnt_dscnt 0x502
	v_mul_f32_e32 v34, v23, v6
	v_dual_mul_f32 v38, v22, v6 :: v_dual_mul_f32 v39, v24, v8
	v_mul_f32_e32 v6, v25, v8
	s_wait_loadcnt_dscnt 0x300
	v_mul_f32_e32 v40, v32, v12
	v_fma_f32 v22, v22, v5, -v34
	v_dual_fmac_f32 v38, v23, v5 :: v_dual_fmac_f32 v39, v25, v7
	v_fma_f32 v23, v24, v7, -v6
	v_dual_mul_f32 v24, v26, v2 :: v_dual_mul_f32 v25, v28, v4
	v_mul_f32_e32 v2, v27, v2
	v_mul_f32_e32 v4, v29, v4
	ds_load_b128 v[5:8], v21 offset:768
	v_mul_f32_e32 v34, v30, v10
	v_dual_fmac_f32 v24, v27, v1 :: v_dual_fmac_f32 v25, v29, v3
	v_fma_f32 v26, v26, v1, -v2
	v_fma_f32 v27, v28, v3, -v4
	v_mul_f32_e32 v12, v33, v12
	scratch_load_b128 v[1:4], off, off offset:288
	v_mul_f32_e32 v10, v31, v10
	v_fmac_f32_e32 v34, v31, v9
	v_fmac_f32_e32 v40, v33, v11
	v_fma_f32 v29, v32, v11, -v12
	s_delay_alu instid0(VALU_DEP_4)
	v_fma_f32 v28, v30, v9, -v10
	ds_load_b128 v[9:12], v21 offset:784
	s_wait_loadcnt_dscnt 0x301
	v_mul_f32_e32 v30, v5, v14
	v_dual_mul_f32 v14, v6, v14 :: v_dual_mul_f32 v31, v7, v16
	v_mul_f32_e32 v16, v8, v16
	s_delay_alu instid0(VALU_DEP_3) | instskip(NEXT) | instid1(VALU_DEP_3)
	v_fmac_f32_e32 v30, v6, v13
	v_fma_f32 v13, v5, v13, -v14
	s_delay_alu instid0(VALU_DEP_4) | instskip(NEXT) | instid1(VALU_DEP_4)
	v_fmac_f32_e32 v31, v8, v15
	v_fma_f32 v14, v7, v15, -v16
	ds_load_b128 v[5:8], v21 offset:800
	s_wait_loadcnt_dscnt 0x201
	v_mul_f32_e32 v15, v9, v18
	v_mul_f32_e32 v16, v10, v18
	;; [unrolled: 1-line block ×3, first 2 shown]
	s_delay_alu instid0(VALU_DEP_3) | instskip(NEXT) | instid1(VALU_DEP_3)
	v_dual_mul_f32 v20, v12, v20 :: v_dual_fmac_f32 v15, v10, v17
	v_fma_f32 v16, v9, v17, -v16
	s_delay_alu instid0(VALU_DEP_3) | instskip(NEXT) | instid1(VALU_DEP_3)
	v_fmac_f32_e32 v18, v12, v19
	v_fma_f32 v17, v11, v19, -v20
	scratch_load_b128 v[9:12], off, off offset:304
	s_wait_loadcnt_dscnt 0x100
	v_mul_f32_e32 v19, v5, v2
	v_mul_f32_e32 v2, v6, v2
	;; [unrolled: 1-line block ×3, first 2 shown]
	s_delay_alu instid0(VALU_DEP_3) | instskip(NEXT) | instid1(VALU_DEP_3)
	v_dual_mul_f32 v4, v8, v4 :: v_dual_fmac_f32 v19, v6, v1
	v_fma_f32 v32, v5, v1, -v2
	s_delay_alu instid0(VALU_DEP_3) | instskip(NEXT) | instid1(VALU_DEP_3)
	v_fmac_f32_e32 v20, v8, v3
	v_fma_f32 v33, v7, v3, -v4
	ds_load_b128 v[1:4], v21 offset:816
	ds_load_b128 v[5:8], v21 offset:832
	s_wait_loadcnt_dscnt 0x1
	v_mul_f32_e32 v41, v1, v10
	v_mul_f32_e32 v10, v2, v10
	s_delay_alu instid0(VALU_DEP_2) | instskip(NEXT) | instid1(VALU_DEP_2)
	v_dual_mul_f32 v42, v3, v12 :: v_dual_fmac_f32 v41, v2, v9
	v_fma_f32 v43, v1, v9, -v10
	v_mul_f32_e32 v1, v4, v12
	s_delay_alu instid0(VALU_DEP_3) | instskip(NEXT) | instid1(VALU_DEP_2)
	v_fmac_f32_e32 v42, v4, v11
	v_fma_f32 v44, v3, v11, -v1
	s_clause 0x1
	scratch_load_b128 v[1:4], off, off offset:320
	scratch_load_b128 v[9:12], off, off offset:336
	s_wait_loadcnt_dscnt 0x100
	v_mul_f32_e32 v171, v5, v2
	v_dual_mul_f32 v2, v6, v2 :: v_dual_mul_f32 v173, v7, v4
	s_delay_alu instid0(VALU_DEP_2) | instskip(NEXT) | instid1(VALU_DEP_2)
	v_fmac_f32_e32 v171, v6, v1
	v_fma_f32 v172, v5, v1, -v2
	v_mul_f32_e32 v1, v8, v4
	s_delay_alu instid0(VALU_DEP_4) | instskip(NEXT) | instid1(VALU_DEP_2)
	v_fmac_f32_e32 v173, v8, v3
	v_fma_f32 v174, v7, v3, -v1
	ds_load_b128 v[1:4], v21 offset:848
	ds_load_b128 v[5:8], v21 offset:864
	s_wait_loadcnt_dscnt 0x1
	v_mul_f32_e32 v175, v1, v10
	v_mul_f32_e32 v177, v3, v12
	s_delay_alu instid0(VALU_DEP_2) | instskip(NEXT) | instid1(VALU_DEP_2)
	v_fmac_f32_e32 v175, v2, v9
	v_dual_mul_f32 v2, v2, v10 :: v_dual_fmac_f32 v177, v4, v11
	s_delay_alu instid0(VALU_DEP_1) | instskip(SKIP_1) | instid1(VALU_DEP_1)
	v_fma_f32 v176, v1, v9, -v2
	v_mul_f32_e32 v1, v4, v12
	v_fma_f32 v178, v3, v11, -v1
	s_clause 0x1
	scratch_load_b128 v[1:4], off, off offset:352
	scratch_load_b128 v[9:12], off, off offset:368
	s_wait_loadcnt_dscnt 0x100
	v_mul_f32_e32 v179, v5, v2
	v_dual_mul_f32 v2, v6, v2 :: v_dual_mul_f32 v181, v7, v4
	s_delay_alu instid0(VALU_DEP_2) | instskip(NEXT) | instid1(VALU_DEP_2)
	v_fmac_f32_e32 v179, v6, v1
	v_fma_f32 v180, v5, v1, -v2
	v_mul_f32_e32 v1, v8, v4
	s_delay_alu instid0(VALU_DEP_4) | instskip(NEXT) | instid1(VALU_DEP_2)
	v_fmac_f32_e32 v181, v8, v3
	v_fma_f32 v182, v7, v3, -v1
	ds_load_b128 v[1:4], v21 offset:880
	ds_load_b128 v[5:8], v21 offset:896
	s_wait_loadcnt_dscnt 0x1
	v_mul_f32_e32 v183, v1, v10
	v_mul_f32_e32 v185, v3, v12
	s_delay_alu instid0(VALU_DEP_2) | instskip(NEXT) | instid1(VALU_DEP_2)
	v_fmac_f32_e32 v183, v2, v9
	v_dual_mul_f32 v2, v2, v10 :: v_dual_fmac_f32 v185, v4, v11
	s_delay_alu instid0(VALU_DEP_1) | instskip(SKIP_1) | instid1(VALU_DEP_1)
	v_fma_f32 v184, v1, v9, -v2
	v_mul_f32_e32 v1, v4, v12
	;; [unrolled: 25-line block ×3, first 2 shown]
	v_fma_f32 v194, v3, v11, -v1
	s_clause 0x1
	scratch_load_b128 v[1:4], off, off offset:416
	scratch_load_b128 v[9:12], off, off offset:432
	s_wait_loadcnt_dscnt 0x100
	v_mul_f32_e32 v195, v5, v2
	v_mul_f32_e32 v2, v6, v2
	s_delay_alu instid0(VALU_DEP_1) | instskip(SKIP_1) | instid1(VALU_DEP_1)
	v_fma_f32 v196, v5, v1, -v2
	v_add_f32_e32 v2, 0, v38
	v_add_f32_e32 v2, v2, v39
	s_delay_alu instid0(VALU_DEP_1) | instskip(NEXT) | instid1(VALU_DEP_1)
	v_add_f32_e32 v2, v2, v24
	v_add_f32_e32 v2, v2, v25
	s_delay_alu instid0(VALU_DEP_1) | instskip(NEXT) | instid1(VALU_DEP_1)
	v_add_f32_e32 v2, v2, v34
	v_add_f32_e32 v2, v2, v40
	v_fmac_f32_e32 v195, v6, v1
	s_delay_alu instid0(VALU_DEP_2) | instskip(NEXT) | instid1(VALU_DEP_1)
	v_dual_add_f32 v2, v2, v30 :: v_dual_mul_f32 v197, v7, v4
	v_dual_add_f32 v2, v2, v31 :: v_dual_mul_f32 v1, v8, v4
	s_delay_alu instid0(VALU_DEP_1) | instskip(NEXT) | instid1(VALU_DEP_3)
	v_add_f32_e32 v2, v2, v15
	v_fmac_f32_e32 v197, v8, v3
	s_delay_alu instid0(VALU_DEP_3) | instskip(NEXT) | instid1(VALU_DEP_3)
	v_fma_f32 v198, v7, v3, -v1
	v_add_f32_e32 v2, v2, v18
	s_delay_alu instid0(VALU_DEP_1) | instskip(NEXT) | instid1(VALU_DEP_1)
	v_dual_add_f32 v1, 0, v22 :: v_dual_add_f32 v2, v2, v19
	v_dual_add_f32 v1, v1, v23 :: v_dual_add_f32 v2, v2, v20
	s_delay_alu instid0(VALU_DEP_1) | instskip(NEXT) | instid1(VALU_DEP_2)
	v_add_f32_e32 v1, v1, v26
	v_add_f32_e32 v5, v2, v41
	s_delay_alu instid0(VALU_DEP_2) | instskip(SKIP_3) | instid1(VALU_DEP_2)
	v_add_f32_e32 v1, v1, v27
	scratch_load_b64 v[26:27], off, off offset:496
	v_add_f32_e32 v5, v5, v42
	v_add_f32_e32 v1, v1, v28
	;; [unrolled: 1-line block ×3, first 2 shown]
	s_delay_alu instid0(VALU_DEP_2) | instskip(NEXT) | instid1(VALU_DEP_1)
	v_add_f32_e32 v1, v1, v29
	v_add_f32_e32 v1, v1, v13
	s_delay_alu instid0(VALU_DEP_1) | instskip(NEXT) | instid1(VALU_DEP_4)
	v_add_f32_e32 v1, v1, v14
	v_add_f32_e32 v14, v5, v173
	s_delay_alu instid0(VALU_DEP_1) | instskip(NEXT) | instid1(VALU_DEP_1)
	v_dual_add_f32 v14, v14, v175 :: v_dual_add_f32 v1, v1, v16
	v_add_f32_e32 v14, v14, v177
	s_delay_alu instid0(VALU_DEP_2) | instskip(NEXT) | instid1(VALU_DEP_2)
	v_add_f32_e32 v1, v1, v17
	v_add_f32_e32 v17, v14, v179
	s_delay_alu instid0(VALU_DEP_2) | instskip(NEXT) | instid1(VALU_DEP_2)
	v_add_f32_e32 v1, v1, v32
	;; [unrolled: 3-line block ×4, first 2 shown]
	v_add_f32_e32 v17, v17, v185
	s_delay_alu instid0(VALU_DEP_2) | instskip(SKIP_2) | instid1(VALU_DEP_1)
	v_add_f32_e32 v6, v1, v44
	ds_load_b128 v[1:4], v21 offset:944
	v_dual_add_f32 v17, v17, v187 :: v_dual_add_f32 v6, v6, v172
	v_dual_add_f32 v22, v17, v189 :: v_dual_add_f32 v13, v6, v174
	ds_load_b128 v[5:8], v21 offset:960
	s_wait_loadcnt_dscnt 0x101
	v_mul_f32_e32 v30, v1, v10
	v_dual_mul_f32 v10, v2, v10 :: v_dual_mul_f32 v31, v3, v12
	v_dual_mul_f32 v12, v4, v12 :: v_dual_add_f32 v29, v22, v191
	s_delay_alu instid0(VALU_DEP_3) | instskip(NEXT) | instid1(VALU_DEP_3)
	v_fmac_f32_e32 v30, v2, v9
	v_fma_f32 v32, v1, v9, -v10
	s_delay_alu instid0(VALU_DEP_4) | instskip(NEXT) | instid1(VALU_DEP_4)
	v_fmac_f32_e32 v31, v4, v11
	v_fma_f32 v33, v3, v11, -v12
	s_clause 0x1
	scratch_load_b128 v[1:4], off, off offset:448
	scratch_load_b128 v[9:12], off, off offset:464
	v_add_f32_e32 v38, v29, v193
	v_add_f32_e32 v13, v13, v176
	ds_load_b128 v[22:25], v21 offset:992
	v_dual_add_f32 v38, v38, v195 :: v_dual_add_f32 v13, v13, v178
	s_delay_alu instid0(VALU_DEP_1) | instskip(NEXT) | instid1(VALU_DEP_1)
	v_dual_add_f32 v38, v38, v197 :: v_dual_add_f32 v13, v13, v180
	v_add_f32_e32 v30, v38, v30
	s_wait_loadcnt_dscnt 0x101
	s_delay_alu instid0(VALU_DEP_1)
	v_dual_add_f32 v30, v30, v31 :: v_dual_mul_f32 v39, v5, v2
	v_mul_f32_e32 v2, v6, v2
	v_add_f32_e32 v18, v13, v182
	scratch_load_b128 v[13:16], off, off offset:480
	v_mul_f32_e32 v40, v7, v4
	v_mul_f32_e32 v4, v8, v4
	v_fma_f32 v2, v5, v1, -v2
	v_add_f32_e32 v18, v18, v184
	s_delay_alu instid0(VALU_DEP_4) | instskip(NEXT) | instid1(VALU_DEP_2)
	v_fmac_f32_e32 v40, v8, v3
	v_add_f32_e32 v18, v18, v186
	s_delay_alu instid0(VALU_DEP_1) | instskip(NEXT) | instid1(VALU_DEP_1)
	v_add_f32_e32 v18, v18, v188
	v_add_f32_e32 v18, v18, v190
	s_delay_alu instid0(VALU_DEP_1) | instskip(SKIP_4) | instid1(VALU_DEP_1)
	v_add_f32_e32 v28, v18, v192
	ds_load_b128 v[17:20], v21 offset:976
	v_add_f32_e32 v34, v28, v194
	ds_load_b64 v[28:29], v21 offset:1008
	v_add_f32_e32 v34, v34, v196
	v_add_f32_e32 v34, v34, v198
	s_delay_alu instid0(VALU_DEP_1)
	v_add_f32_e32 v32, v34, v32
	s_wait_loadcnt_dscnt 0x101
	v_mul_f32_e32 v34, v17, v10
	v_mul_f32_e32 v38, v19, v12
	;; [unrolled: 1-line block ×3, first 2 shown]
	v_add_f32_e32 v32, v32, v33
	v_fmac_f32_e32 v39, v6, v1
	v_fma_f32 v1, v7, v3, -v4
	s_wait_dscnt 0x0
	v_dual_mul_f32 v31, v28, v27 :: v_dual_fmac_f32 v34, v18, v9
	v_add_f32_e32 v2, v32, v2
	v_add_f32_e32 v4, v30, v39
	v_dual_mul_f32 v3, v18, v10 :: v_dual_fmac_f32 v38, v20, v11
	v_fma_f32 v5, v19, v11, -v5
	s_delay_alu instid0(VALU_DEP_3) | instskip(NEXT) | instid1(VALU_DEP_3)
	v_dual_add_f32 v1, v2, v1 :: v_dual_add_f32 v2, v4, v40
	v_fma_f32 v3, v17, v9, -v3
	s_wait_loadcnt 0x0
	s_delay_alu instid0(VALU_DEP_2) | instskip(SKIP_1) | instid1(VALU_DEP_3)
	v_dual_add_f32 v2, v2, v34 :: v_dual_mul_f32 v33, v24, v16
	v_mul_f32_e32 v41, v22, v14
	v_dual_mul_f32 v4, v23, v14 :: v_dual_add_f32 v1, v1, v3
	s_delay_alu instid0(VALU_DEP_3) | instskip(NEXT) | instid1(VALU_DEP_3)
	v_dual_mul_f32 v3, v25, v16 :: v_dual_add_f32 v2, v2, v38
	v_fmac_f32_e32 v41, v23, v13
	v_fmac_f32_e32 v33, v25, v15
	s_delay_alu instid0(VALU_DEP_4) | instskip(NEXT) | instid1(VALU_DEP_4)
	v_fma_f32 v4, v22, v13, -v4
	v_fma_f32 v3, v24, v15, -v3
	s_delay_alu instid0(VALU_DEP_4) | instskip(NEXT) | instid1(VALU_DEP_1)
	v_dual_add_f32 v2, v2, v41 :: v_dual_fmac_f32 v31, v29, v26
	v_add_f32_e32 v2, v2, v33
	v_add_f32_e32 v1, v1, v5
	v_mul_f32_e32 v5, v29, v27
	s_delay_alu instid0(VALU_DEP_2) | instskip(NEXT) | instid1(VALU_DEP_2)
	v_dual_add_f32 v2, v2, v31 :: v_dual_add_f32 v1, v1, v4
	v_fma_f32 v4, v28, v26, -v5
	s_delay_alu instid0(VALU_DEP_2) | instskip(NEXT) | instid1(VALU_DEP_3)
	v_sub_f32_e32 v2, v37, v2
	v_add_f32_e32 v1, v1, v3
	s_delay_alu instid0(VALU_DEP_1) | instskip(NEXT) | instid1(VALU_DEP_1)
	v_add_f32_e32 v1, v1, v4
	v_sub_f32_e32 v1, v36, v1
	scratch_store_b64 off, v[1:2], off offset:200
	v_cmpx_lt_u32_e32 24, v0
	s_cbranch_execz .LBB62_343
; %bb.342:
	scratch_load_b64 v[1:2], off, off offset:192
	v_mov_b32_e32 v22, v21
	scratch_store_b64 off, v[21:22], off offset:192
	s_wait_loadcnt 0x0
	ds_store_b64 v35, v[1:2]
.LBB62_343:
	s_wait_alu 0xfffe
	s_or_b32 exec_lo, exec_lo, s0
	s_wait_storecnt_dscnt 0x0
	s_barrier_signal -1
	s_barrier_wait -1
	global_inv scope:SCOPE_SE
	s_clause 0x4
	scratch_load_b128 v[5:8], off, off offset:200
	scratch_load_b128 v[1:4], off, off offset:216
	;; [unrolled: 1-line block ×5, first 2 shown]
	ds_load_2addr_b64 v[22:25], v21 offset0:89 offset1:90
	ds_load_2addr_b64 v[26:29], v21 offset0:91 offset1:92
	;; [unrolled: 1-line block ×3, first 2 shown]
	scratch_load_b64 v[36:37], off, off offset:192
	s_mov_b32 s0, exec_lo
	s_wait_loadcnt_dscnt 0x502
	v_dual_mul_f32 v34, v23, v6 :: v_dual_mul_f32 v39, v24, v8
	v_mul_f32_e32 v38, v22, v6
	v_mul_f32_e32 v6, v25, v8
	s_wait_loadcnt_dscnt 0x300
	v_mul_f32_e32 v40, v32, v12
	v_fma_f32 v22, v22, v5, -v34
	v_dual_fmac_f32 v39, v25, v7 :: v_dual_fmac_f32 v38, v23, v5
	v_mul_f32_e32 v25, v28, v4
	v_fma_f32 v23, v24, v7, -v6
	ds_load_2addr_b64 v[5:8], v21 offset0:95 offset1:96
	v_mul_f32_e32 v24, v26, v2
	v_mul_f32_e32 v4, v29, v4
	;; [unrolled: 1-line block ×5, first 2 shown]
	v_dual_mul_f32 v2, v27, v2 :: v_dual_fmac_f32 v25, v29, v3
	v_fmac_f32_e32 v24, v27, v1
	v_fma_f32 v27, v28, v3, -v4
	v_fmac_f32_e32 v34, v31, v9
	v_fma_f32 v28, v30, v9, -v10
	;; [unrolled: 2-line block ×3, first 2 shown]
	ds_load_2addr_b64 v[9:12], v21 offset0:97 offset1:98
	s_wait_loadcnt_dscnt 0x201
	v_mul_f32_e32 v30, v5, v14
	v_dual_mul_f32 v14, v6, v14 :: v_dual_mul_f32 v31, v7, v16
	v_mul_f32_e32 v16, v8, v16
	s_delay_alu instid0(VALU_DEP_3) | instskip(NEXT) | instid1(VALU_DEP_3)
	v_fmac_f32_e32 v30, v6, v13
	v_fma_f32 v13, v5, v13, -v14
	s_delay_alu instid0(VALU_DEP_4) | instskip(NEXT) | instid1(VALU_DEP_4)
	v_fmac_f32_e32 v31, v8, v15
	v_fma_f32 v14, v7, v15, -v16
	ds_load_2addr_b64 v[5:8], v21 offset0:99 offset1:100
	s_wait_loadcnt_dscnt 0x101
	v_mul_f32_e32 v15, v9, v18
	v_mul_f32_e32 v16, v10, v18
	;; [unrolled: 1-line block ×3, first 2 shown]
	s_delay_alu instid0(VALU_DEP_3)
	v_dual_mul_f32 v20, v12, v20 :: v_dual_fmac_f32 v15, v10, v17
	v_fma_f32 v26, v26, v1, -v2
	scratch_load_b128 v[1:4], off, off offset:280
	v_fma_f32 v16, v9, v17, -v16
	v_fmac_f32_e32 v18, v12, v19
	v_fma_f32 v17, v11, v19, -v20
	scratch_load_b128 v[9:12], off, off offset:296
	s_wait_loadcnt_dscnt 0x100
	v_mul_f32_e32 v19, v5, v2
	v_mul_f32_e32 v2, v6, v2
	;; [unrolled: 1-line block ×3, first 2 shown]
	s_delay_alu instid0(VALU_DEP_3) | instskip(NEXT) | instid1(VALU_DEP_3)
	v_dual_mul_f32 v4, v8, v4 :: v_dual_fmac_f32 v19, v6, v1
	v_fma_f32 v32, v5, v1, -v2
	s_delay_alu instid0(VALU_DEP_3) | instskip(NEXT) | instid1(VALU_DEP_3)
	v_fmac_f32_e32 v20, v8, v3
	v_fma_f32 v33, v7, v3, -v4
	ds_load_2addr_b64 v[1:4], v21 offset0:101 offset1:102
	ds_load_2addr_b64 v[5:8], v21 offset0:103 offset1:104
	s_wait_loadcnt_dscnt 0x1
	v_mul_f32_e32 v41, v1, v10
	v_mul_f32_e32 v10, v2, v10
	s_delay_alu instid0(VALU_DEP_2) | instskip(NEXT) | instid1(VALU_DEP_2)
	v_dual_mul_f32 v42, v3, v12 :: v_dual_fmac_f32 v41, v2, v9
	v_fma_f32 v43, v1, v9, -v10
	v_mul_f32_e32 v1, v4, v12
	s_delay_alu instid0(VALU_DEP_3) | instskip(NEXT) | instid1(VALU_DEP_2)
	v_fmac_f32_e32 v42, v4, v11
	v_fma_f32 v44, v3, v11, -v1
	s_clause 0x1
	scratch_load_b128 v[1:4], off, off offset:312
	scratch_load_b128 v[9:12], off, off offset:328
	s_wait_loadcnt_dscnt 0x100
	v_mul_f32_e32 v171, v5, v2
	v_dual_mul_f32 v2, v6, v2 :: v_dual_mul_f32 v173, v7, v4
	s_delay_alu instid0(VALU_DEP_2) | instskip(NEXT) | instid1(VALU_DEP_2)
	v_fmac_f32_e32 v171, v6, v1
	v_fma_f32 v172, v5, v1, -v2
	v_mul_f32_e32 v1, v8, v4
	s_delay_alu instid0(VALU_DEP_4) | instskip(NEXT) | instid1(VALU_DEP_2)
	v_fmac_f32_e32 v173, v8, v3
	v_fma_f32 v174, v7, v3, -v1
	ds_load_2addr_b64 v[1:4], v21 offset0:105 offset1:106
	ds_load_2addr_b64 v[5:8], v21 offset0:107 offset1:108
	s_wait_loadcnt_dscnt 0x1
	v_mul_f32_e32 v175, v1, v10
	v_mul_f32_e32 v177, v3, v12
	s_delay_alu instid0(VALU_DEP_2) | instskip(NEXT) | instid1(VALU_DEP_2)
	v_fmac_f32_e32 v175, v2, v9
	v_dual_mul_f32 v2, v2, v10 :: v_dual_fmac_f32 v177, v4, v11
	s_delay_alu instid0(VALU_DEP_1) | instskip(SKIP_1) | instid1(VALU_DEP_1)
	v_fma_f32 v176, v1, v9, -v2
	v_mul_f32_e32 v1, v4, v12
	v_fma_f32 v178, v3, v11, -v1
	s_clause 0x1
	scratch_load_b128 v[1:4], off, off offset:344
	scratch_load_b128 v[9:12], off, off offset:360
	s_wait_loadcnt_dscnt 0x100
	v_mul_f32_e32 v179, v5, v2
	v_dual_mul_f32 v2, v6, v2 :: v_dual_mul_f32 v181, v7, v4
	s_delay_alu instid0(VALU_DEP_2) | instskip(NEXT) | instid1(VALU_DEP_2)
	v_fmac_f32_e32 v179, v6, v1
	v_fma_f32 v180, v5, v1, -v2
	v_mul_f32_e32 v1, v8, v4
	s_delay_alu instid0(VALU_DEP_4) | instskip(NEXT) | instid1(VALU_DEP_2)
	v_fmac_f32_e32 v181, v8, v3
	v_fma_f32 v182, v7, v3, -v1
	ds_load_2addr_b64 v[1:4], v21 offset0:109 offset1:110
	ds_load_2addr_b64 v[5:8], v21 offset0:111 offset1:112
	s_wait_loadcnt_dscnt 0x1
	v_mul_f32_e32 v183, v1, v10
	v_mul_f32_e32 v185, v3, v12
	s_delay_alu instid0(VALU_DEP_2) | instskip(NEXT) | instid1(VALU_DEP_2)
	v_fmac_f32_e32 v183, v2, v9
	v_dual_mul_f32 v2, v2, v10 :: v_dual_fmac_f32 v185, v4, v11
	s_delay_alu instid0(VALU_DEP_1) | instskip(SKIP_1) | instid1(VALU_DEP_1)
	v_fma_f32 v184, v1, v9, -v2
	v_mul_f32_e32 v1, v4, v12
	;; [unrolled: 25-line block ×3, first 2 shown]
	v_fma_f32 v194, v3, v11, -v1
	s_clause 0x1
	scratch_load_b128 v[1:4], off, off offset:408
	scratch_load_b128 v[9:12], off, off offset:424
	s_wait_loadcnt_dscnt 0x100
	v_mul_f32_e32 v195, v5, v2
	v_mul_f32_e32 v2, v6, v2
	s_delay_alu instid0(VALU_DEP_1) | instskip(SKIP_1) | instid1(VALU_DEP_1)
	v_fma_f32 v196, v5, v1, -v2
	v_add_f32_e32 v2, 0, v38
	v_add_f32_e32 v2, v2, v39
	s_delay_alu instid0(VALU_DEP_1) | instskip(NEXT) | instid1(VALU_DEP_1)
	v_add_f32_e32 v2, v2, v24
	v_add_f32_e32 v2, v2, v25
	s_delay_alu instid0(VALU_DEP_1) | instskip(NEXT) | instid1(VALU_DEP_1)
	v_add_f32_e32 v2, v2, v34
	v_add_f32_e32 v2, v2, v40
	v_fmac_f32_e32 v195, v6, v1
	s_delay_alu instid0(VALU_DEP_2) | instskip(NEXT) | instid1(VALU_DEP_1)
	v_dual_add_f32 v2, v2, v30 :: v_dual_mul_f32 v197, v7, v4
	v_dual_add_f32 v2, v2, v31 :: v_dual_mul_f32 v1, v8, v4
	s_delay_alu instid0(VALU_DEP_1) | instskip(NEXT) | instid1(VALU_DEP_3)
	v_add_f32_e32 v2, v2, v15
	v_fmac_f32_e32 v197, v8, v3
	s_delay_alu instid0(VALU_DEP_3) | instskip(NEXT) | instid1(VALU_DEP_3)
	v_fma_f32 v198, v7, v3, -v1
	v_add_f32_e32 v2, v2, v18
	s_delay_alu instid0(VALU_DEP_1) | instskip(NEXT) | instid1(VALU_DEP_1)
	v_dual_add_f32 v1, 0, v22 :: v_dual_add_f32 v2, v2, v19
	v_dual_add_f32 v1, v1, v23 :: v_dual_add_f32 v2, v2, v20
	s_delay_alu instid0(VALU_DEP_1) | instskip(NEXT) | instid1(VALU_DEP_1)
	v_dual_add_f32 v1, v1, v26 :: v_dual_add_f32 v2, v2, v41
	v_add_f32_e32 v1, v1, v27
	s_delay_alu instid0(VALU_DEP_2) | instskip(NEXT) | instid1(VALU_DEP_2)
	v_add_f32_e32 v5, v2, v42
	v_add_f32_e32 v1, v1, v28
	s_delay_alu instid0(VALU_DEP_1) | instskip(NEXT) | instid1(VALU_DEP_1)
	v_add_f32_e32 v1, v1, v29
	v_add_f32_e32 v1, v1, v13
	s_delay_alu instid0(VALU_DEP_4) | instskip(NEXT) | instid1(VALU_DEP_1)
	v_add_f32_e32 v13, v5, v171
	v_add_f32_e32 v13, v13, v173
	s_delay_alu instid0(VALU_DEP_1) | instskip(NEXT) | instid1(VALU_DEP_1)
	v_add_f32_e32 v13, v13, v175
	v_add_f32_e32 v18, v13, v177
	s_delay_alu instid0(VALU_DEP_1) | instskip(NEXT) | instid1(VALU_DEP_1)
	v_dual_add_f32 v18, v18, v179 :: v_dual_add_f32 v1, v1, v14
	v_dual_add_f32 v18, v18, v181 :: v_dual_add_f32 v1, v1, v16
	s_delay_alu instid0(VALU_DEP_1) | instskip(NEXT) | instid1(VALU_DEP_1)
	v_dual_add_f32 v22, v18, v183 :: v_dual_add_f32 v1, v1, v17
	v_dual_add_f32 v22, v22, v185 :: v_dual_add_f32 v1, v1, v32
	s_delay_alu instid0(VALU_DEP_1) | instskip(NEXT) | instid1(VALU_DEP_1)
	v_dual_add_f32 v22, v22, v187 :: v_dual_add_f32 v1, v1, v33
	v_add_f32_e32 v1, v1, v43
	s_delay_alu instid0(VALU_DEP_1) | instskip(NEXT) | instid1(VALU_DEP_1)
	v_add_f32_e32 v1, v1, v44
	v_add_f32_e32 v6, v1, v172
	ds_load_2addr_b64 v[1:4], v21 offset0:117 offset1:118
	v_add_f32_e32 v14, v6, v174
	scratch_load_b128 v[5:8], off, off offset:440
	v_add_f32_e32 v14, v14, v176
	s_delay_alu instid0(VALU_DEP_1)
	v_add_f32_e32 v17, v14, v178
	ds_load_2addr_b64 v[13:16], v21 offset0:119 offset1:120
	s_wait_loadcnt_dscnt 0x101
	v_dual_mul_f32 v26, v3, v12 :: v_dual_mul_f32 v25, v1, v10
	v_mul_f32_e32 v10, v2, v10
	v_mul_f32_e32 v12, v4, v12
	s_delay_alu instid0(VALU_DEP_3) | instskip(NEXT) | instid1(VALU_DEP_3)
	v_dual_fmac_f32 v26, v4, v11 :: v_dual_fmac_f32 v25, v2, v9
	v_fma_f32 v27, v1, v9, -v10
	s_delay_alu instid0(VALU_DEP_3)
	v_fma_f32 v28, v3, v11, -v12
	s_clause 0x1
	scratch_load_b128 v[1:4], off, off offset:456
	scratch_load_b128 v[9:12], off, off offset:472
	s_wait_loadcnt_dscnt 0x200
	v_dual_mul_f32 v30, v15, v8 :: v_dual_mul_f32 v29, v13, v6
	v_mul_f32_e32 v6, v14, v6
	v_mul_f32_e32 v8, v16, v8
	s_delay_alu instid0(VALU_DEP_3) | instskip(NEXT) | instid1(VALU_DEP_4)
	v_dual_fmac_f32 v30, v16, v7 :: v_dual_add_f32 v17, v17, v180
	v_fmac_f32_e32 v29, v14, v5
	s_delay_alu instid0(VALU_DEP_4) | instskip(NEXT) | instid1(VALU_DEP_4)
	v_fma_f32 v31, v13, v5, -v6
	v_fma_f32 v32, v15, v7, -v8
	ds_load_2addr_b64 v[5:8], v21 offset0:121 offset1:122
	v_add_f32_e32 v17, v17, v182
	v_add_f32_e32 v13, v22, v189
	s_delay_alu instid0(VALU_DEP_2) | instskip(NEXT) | instid1(VALU_DEP_1)
	v_add_f32_e32 v17, v17, v184
	v_add_f32_e32 v23, v17, v186
	scratch_load_b128 v[17:20], off, off offset:488
	v_add_f32_e32 v23, v23, v188
	s_delay_alu instid0(VALU_DEP_1) | instskip(NEXT) | instid1(VALU_DEP_1)
	v_add_f32_e32 v23, v23, v190
	v_dual_add_f32 v22, v23, v192 :: v_dual_add_f32 v23, v13, v191
	ds_load_2addr_b64 v[13:16], v21 offset0:123 offset1:124
	s_wait_loadcnt_dscnt 0x201
	v_mul_f32_e32 v38, v5, v2
	v_mul_f32_e32 v2, v6, v2
	v_add_f32_e32 v33, v22, v194
	s_delay_alu instid0(VALU_DEP_3) | instskip(NEXT) | instid1(VALU_DEP_3)
	v_fmac_f32_e32 v38, v6, v1
	v_fma_f32 v2, v5, v1, -v2
	s_wait_loadcnt_dscnt 0x100
	v_mul_f32_e32 v6, v14, v10
	v_add_f32_e32 v34, v23, v193
	ds_load_2addr_b64 v[21:24], v21 offset0:125 offset1:126
	v_add_f32_e32 v34, v34, v195
	s_delay_alu instid0(VALU_DEP_1) | instskip(NEXT) | instid1(VALU_DEP_1)
	v_add_f32_e32 v34, v34, v197
	v_dual_add_f32 v25, v34, v25 :: v_dual_mul_f32 v34, v13, v10
	v_add_f32_e32 v33, v33, v196
	s_delay_alu instid0(VALU_DEP_2) | instskip(SKIP_2) | instid1(VALU_DEP_3)
	v_dual_add_f32 v25, v25, v26 :: v_dual_fmac_f32 v34, v14, v9
	s_wait_loadcnt_dscnt 0x0
	v_mul_f32_e32 v26, v21, v18
	v_add_f32_e32 v33, v33, v198
	s_delay_alu instid0(VALU_DEP_3) | instskip(NEXT) | instid1(VALU_DEP_2)
	v_add_f32_e32 v25, v25, v29
	v_dual_fmac_f32 v26, v22, v17 :: v_dual_add_f32 v27, v33, v27
	v_mul_f32_e32 v39, v15, v12
	v_mul_f32_e32 v33, v7, v4
	s_delay_alu instid0(VALU_DEP_4) | instskip(NEXT) | instid1(VALU_DEP_3)
	v_dual_mul_f32 v4, v8, v4 :: v_dual_add_f32 v5, v25, v30
	v_fmac_f32_e32 v39, v16, v11
	v_add_f32_e32 v27, v27, v28
	s_delay_alu instid0(VALU_DEP_4) | instskip(NEXT) | instid1(VALU_DEP_4)
	v_fmac_f32_e32 v33, v8, v3
	v_fma_f32 v3, v7, v3, -v4
	v_mul_f32_e32 v4, v16, v12
	v_mul_f32_e32 v28, v23, v20
	v_add_f32_e32 v27, v27, v31
	s_delay_alu instid0(VALU_DEP_3) | instskip(NEXT) | instid1(VALU_DEP_2)
	v_fma_f32 v4, v15, v11, -v4
	v_dual_fmac_f32 v28, v24, v19 :: v_dual_add_f32 v1, v27, v32
	s_delay_alu instid0(VALU_DEP_1) | instskip(SKIP_2) | instid1(VALU_DEP_2)
	v_add_f32_e32 v1, v1, v2
	v_add_f32_e32 v2, v5, v38
	v_fma_f32 v5, v13, v9, -v6
	v_dual_add_f32 v1, v1, v3 :: v_dual_add_f32 v2, v2, v33
	v_mul_f32_e32 v3, v22, v18
	s_delay_alu instid0(VALU_DEP_2) | instskip(SKIP_1) | instid1(VALU_DEP_3)
	v_dual_add_f32 v1, v1, v5 :: v_dual_add_f32 v2, v2, v34
	v_mul_f32_e32 v5, v24, v20
	v_fma_f32 v3, v21, v17, -v3
	s_delay_alu instid0(VALU_DEP_3) | instskip(NEXT) | instid1(VALU_DEP_3)
	v_dual_add_f32 v1, v1, v4 :: v_dual_add_f32 v2, v2, v39
	v_fma_f32 v4, v23, v19, -v5
	s_delay_alu instid0(VALU_DEP_2) | instskip(NEXT) | instid1(VALU_DEP_1)
	v_dual_add_f32 v1, v1, v3 :: v_dual_add_f32 v2, v2, v26
	v_add_f32_e32 v1, v1, v4
	s_delay_alu instid0(VALU_DEP_1) | instskip(NEXT) | instid1(VALU_DEP_1)
	v_dual_add_f32 v2, v2, v28 :: v_dual_sub_f32 v1, v36, v1
	v_sub_f32_e32 v2, v37, v2
	scratch_store_b64 off, v[1:2], off offset:192
	v_cmpx_lt_u32_e32 23, v0
	s_cbranch_execz .LBB62_345
; %bb.344:
	scratch_load_b64 v[1:2], off, off offset:184
	v_mov_b32_e32 v3, 0
	s_delay_alu instid0(VALU_DEP_1)
	v_mov_b32_e32 v4, v3
	scratch_store_b64 off, v[3:4], off offset:184
	s_wait_loadcnt 0x0
	ds_store_b64 v35, v[1:2]
.LBB62_345:
	s_wait_alu 0xfffe
	s_or_b32 exec_lo, exec_lo, s0
	s_wait_storecnt_dscnt 0x0
	s_barrier_signal -1
	s_barrier_wait -1
	global_inv scope:SCOPE_SE
	s_clause 0x4
	scratch_load_b128 v[5:8], off, off offset:192
	scratch_load_b128 v[1:4], off, off offset:208
	;; [unrolled: 1-line block ×5, first 2 shown]
	v_mov_b32_e32 v21, 0
	ds_load_b128 v[22:25], v21 offset:704
	ds_load_b128 v[26:29], v21 offset:720
	ds_load_b128 v[30:33], v21 offset:736
	scratch_load_b64 v[36:37], off, off offset:184
	s_mov_b32 s0, exec_lo
	s_wait_loadcnt_dscnt 0x502
	v_mul_f32_e32 v34, v23, v6
	v_dual_mul_f32 v38, v22, v6 :: v_dual_mul_f32 v39, v24, v8
	v_mul_f32_e32 v6, v25, v8
	s_wait_loadcnt_dscnt 0x300
	v_mul_f32_e32 v40, v32, v12
	v_fma_f32 v22, v22, v5, -v34
	v_dual_fmac_f32 v38, v23, v5 :: v_dual_fmac_f32 v39, v25, v7
	v_fma_f32 v23, v24, v7, -v6
	v_dual_mul_f32 v24, v26, v2 :: v_dual_mul_f32 v25, v28, v4
	v_mul_f32_e32 v2, v27, v2
	v_mul_f32_e32 v4, v29, v4
	ds_load_b128 v[5:8], v21 offset:752
	v_mul_f32_e32 v34, v30, v10
	v_dual_fmac_f32 v24, v27, v1 :: v_dual_fmac_f32 v25, v29, v3
	v_fma_f32 v26, v26, v1, -v2
	v_fma_f32 v27, v28, v3, -v4
	v_mul_f32_e32 v12, v33, v12
	scratch_load_b128 v[1:4], off, off offset:272
	v_mul_f32_e32 v10, v31, v10
	v_fmac_f32_e32 v34, v31, v9
	v_fmac_f32_e32 v40, v33, v11
	v_fma_f32 v29, v32, v11, -v12
	s_delay_alu instid0(VALU_DEP_4)
	v_fma_f32 v28, v30, v9, -v10
	ds_load_b128 v[9:12], v21 offset:768
	s_wait_loadcnt_dscnt 0x301
	v_mul_f32_e32 v30, v5, v14
	v_dual_mul_f32 v14, v6, v14 :: v_dual_mul_f32 v31, v7, v16
	v_mul_f32_e32 v16, v8, v16
	s_delay_alu instid0(VALU_DEP_3) | instskip(NEXT) | instid1(VALU_DEP_3)
	v_fmac_f32_e32 v30, v6, v13
	v_fma_f32 v13, v5, v13, -v14
	s_delay_alu instid0(VALU_DEP_4) | instskip(NEXT) | instid1(VALU_DEP_4)
	v_fmac_f32_e32 v31, v8, v15
	v_fma_f32 v14, v7, v15, -v16
	ds_load_b128 v[5:8], v21 offset:784
	s_wait_loadcnt_dscnt 0x201
	v_mul_f32_e32 v15, v9, v18
	v_mul_f32_e32 v16, v10, v18
	;; [unrolled: 1-line block ×3, first 2 shown]
	s_delay_alu instid0(VALU_DEP_3) | instskip(NEXT) | instid1(VALU_DEP_3)
	v_dual_mul_f32 v20, v12, v20 :: v_dual_fmac_f32 v15, v10, v17
	v_fma_f32 v16, v9, v17, -v16
	s_delay_alu instid0(VALU_DEP_3) | instskip(NEXT) | instid1(VALU_DEP_3)
	v_fmac_f32_e32 v18, v12, v19
	v_fma_f32 v17, v11, v19, -v20
	scratch_load_b128 v[9:12], off, off offset:288
	s_wait_loadcnt_dscnt 0x100
	v_mul_f32_e32 v19, v5, v2
	v_mul_f32_e32 v2, v6, v2
	;; [unrolled: 1-line block ×3, first 2 shown]
	s_delay_alu instid0(VALU_DEP_3) | instskip(NEXT) | instid1(VALU_DEP_3)
	v_dual_mul_f32 v4, v8, v4 :: v_dual_fmac_f32 v19, v6, v1
	v_fma_f32 v32, v5, v1, -v2
	s_delay_alu instid0(VALU_DEP_3) | instskip(NEXT) | instid1(VALU_DEP_3)
	v_fmac_f32_e32 v20, v8, v3
	v_fma_f32 v33, v7, v3, -v4
	ds_load_b128 v[1:4], v21 offset:800
	ds_load_b128 v[5:8], v21 offset:816
	s_wait_loadcnt_dscnt 0x1
	v_mul_f32_e32 v41, v1, v10
	v_mul_f32_e32 v10, v2, v10
	s_delay_alu instid0(VALU_DEP_2) | instskip(NEXT) | instid1(VALU_DEP_2)
	v_dual_mul_f32 v42, v3, v12 :: v_dual_fmac_f32 v41, v2, v9
	v_fma_f32 v43, v1, v9, -v10
	v_mul_f32_e32 v1, v4, v12
	s_delay_alu instid0(VALU_DEP_3) | instskip(NEXT) | instid1(VALU_DEP_2)
	v_fmac_f32_e32 v42, v4, v11
	v_fma_f32 v44, v3, v11, -v1
	s_clause 0x1
	scratch_load_b128 v[1:4], off, off offset:304
	scratch_load_b128 v[9:12], off, off offset:320
	s_wait_loadcnt_dscnt 0x100
	v_mul_f32_e32 v171, v5, v2
	v_dual_mul_f32 v2, v6, v2 :: v_dual_mul_f32 v173, v7, v4
	s_delay_alu instid0(VALU_DEP_2) | instskip(NEXT) | instid1(VALU_DEP_2)
	v_fmac_f32_e32 v171, v6, v1
	v_fma_f32 v172, v5, v1, -v2
	v_mul_f32_e32 v1, v8, v4
	s_delay_alu instid0(VALU_DEP_4) | instskip(NEXT) | instid1(VALU_DEP_2)
	v_fmac_f32_e32 v173, v8, v3
	v_fma_f32 v174, v7, v3, -v1
	ds_load_b128 v[1:4], v21 offset:832
	ds_load_b128 v[5:8], v21 offset:848
	s_wait_loadcnt_dscnt 0x1
	v_mul_f32_e32 v175, v1, v10
	v_mul_f32_e32 v177, v3, v12
	s_delay_alu instid0(VALU_DEP_2) | instskip(NEXT) | instid1(VALU_DEP_2)
	v_fmac_f32_e32 v175, v2, v9
	v_dual_mul_f32 v2, v2, v10 :: v_dual_fmac_f32 v177, v4, v11
	s_delay_alu instid0(VALU_DEP_1) | instskip(SKIP_1) | instid1(VALU_DEP_1)
	v_fma_f32 v176, v1, v9, -v2
	v_mul_f32_e32 v1, v4, v12
	v_fma_f32 v178, v3, v11, -v1
	s_clause 0x1
	scratch_load_b128 v[1:4], off, off offset:336
	scratch_load_b128 v[9:12], off, off offset:352
	s_wait_loadcnt_dscnt 0x100
	v_mul_f32_e32 v179, v5, v2
	v_dual_mul_f32 v2, v6, v2 :: v_dual_mul_f32 v181, v7, v4
	s_delay_alu instid0(VALU_DEP_2) | instskip(NEXT) | instid1(VALU_DEP_2)
	v_fmac_f32_e32 v179, v6, v1
	v_fma_f32 v180, v5, v1, -v2
	v_mul_f32_e32 v1, v8, v4
	s_delay_alu instid0(VALU_DEP_4) | instskip(NEXT) | instid1(VALU_DEP_2)
	v_fmac_f32_e32 v181, v8, v3
	v_fma_f32 v182, v7, v3, -v1
	ds_load_b128 v[1:4], v21 offset:864
	ds_load_b128 v[5:8], v21 offset:880
	s_wait_loadcnt_dscnt 0x1
	v_mul_f32_e32 v183, v1, v10
	v_mul_f32_e32 v185, v3, v12
	s_delay_alu instid0(VALU_DEP_2) | instskip(NEXT) | instid1(VALU_DEP_2)
	v_fmac_f32_e32 v183, v2, v9
	v_dual_mul_f32 v2, v2, v10 :: v_dual_fmac_f32 v185, v4, v11
	s_delay_alu instid0(VALU_DEP_1) | instskip(SKIP_1) | instid1(VALU_DEP_1)
	v_fma_f32 v184, v1, v9, -v2
	v_mul_f32_e32 v1, v4, v12
	;; [unrolled: 25-line block ×3, first 2 shown]
	v_fma_f32 v194, v3, v11, -v1
	s_clause 0x1
	scratch_load_b128 v[1:4], off, off offset:400
	scratch_load_b128 v[9:12], off, off offset:416
	s_wait_loadcnt_dscnt 0x100
	v_mul_f32_e32 v195, v5, v2
	v_mul_f32_e32 v2, v6, v2
	s_delay_alu instid0(VALU_DEP_1) | instskip(SKIP_1) | instid1(VALU_DEP_1)
	v_fma_f32 v196, v5, v1, -v2
	v_add_f32_e32 v2, 0, v38
	v_add_f32_e32 v2, v2, v39
	s_delay_alu instid0(VALU_DEP_1) | instskip(NEXT) | instid1(VALU_DEP_1)
	v_add_f32_e32 v2, v2, v24
	v_add_f32_e32 v2, v2, v25
	s_delay_alu instid0(VALU_DEP_1) | instskip(NEXT) | instid1(VALU_DEP_1)
	v_add_f32_e32 v2, v2, v34
	v_add_f32_e32 v2, v2, v40
	v_fmac_f32_e32 v195, v6, v1
	s_delay_alu instid0(VALU_DEP_2) | instskip(NEXT) | instid1(VALU_DEP_1)
	v_dual_add_f32 v2, v2, v30 :: v_dual_mul_f32 v197, v7, v4
	v_dual_add_f32 v2, v2, v31 :: v_dual_mul_f32 v1, v8, v4
	s_delay_alu instid0(VALU_DEP_1) | instskip(NEXT) | instid1(VALU_DEP_3)
	v_add_f32_e32 v2, v2, v15
	v_fmac_f32_e32 v197, v8, v3
	s_delay_alu instid0(VALU_DEP_3) | instskip(NEXT) | instid1(VALU_DEP_3)
	v_fma_f32 v198, v7, v3, -v1
	v_add_f32_e32 v2, v2, v18
	s_delay_alu instid0(VALU_DEP_1) | instskip(NEXT) | instid1(VALU_DEP_1)
	v_dual_add_f32 v1, 0, v22 :: v_dual_add_f32 v2, v2, v19
	v_dual_add_f32 v1, v1, v23 :: v_dual_add_f32 v2, v2, v20
	s_delay_alu instid0(VALU_DEP_1) | instskip(NEXT) | instid1(VALU_DEP_1)
	v_dual_add_f32 v1, v1, v26 :: v_dual_add_f32 v2, v2, v41
	v_add_f32_e32 v1, v1, v27
	scratch_load_b64 v[26:27], off, off offset:496
	v_add_f32_e32 v5, v2, v42
	v_add_f32_e32 v1, v1, v28
	s_delay_alu instid0(VALU_DEP_1) | instskip(NEXT) | instid1(VALU_DEP_1)
	v_add_f32_e32 v1, v1, v29
	v_add_f32_e32 v1, v1, v13
	s_delay_alu instid0(VALU_DEP_4) | instskip(NEXT) | instid1(VALU_DEP_1)
	v_add_f32_e32 v13, v5, v171
	v_add_f32_e32 v13, v13, v173
	s_delay_alu instid0(VALU_DEP_1) | instskip(NEXT) | instid1(VALU_DEP_1)
	v_add_f32_e32 v13, v13, v175
	v_add_f32_e32 v18, v13, v177
	s_delay_alu instid0(VALU_DEP_1) | instskip(NEXT) | instid1(VALU_DEP_1)
	v_dual_add_f32 v18, v18, v179 :: v_dual_add_f32 v1, v1, v14
	v_dual_add_f32 v18, v18, v181 :: v_dual_add_f32 v1, v1, v16
	s_delay_alu instid0(VALU_DEP_1) | instskip(NEXT) | instid1(VALU_DEP_1)
	v_dual_add_f32 v22, v18, v183 :: v_dual_add_f32 v1, v1, v17
	v_dual_add_f32 v22, v22, v185 :: v_dual_add_f32 v1, v1, v32
	s_delay_alu instid0(VALU_DEP_1) | instskip(NEXT) | instid1(VALU_DEP_1)
	v_add_f32_e32 v1, v1, v33
	v_add_f32_e32 v1, v1, v43
	s_delay_alu instid0(VALU_DEP_1) | instskip(NEXT) | instid1(VALU_DEP_1)
	v_add_f32_e32 v1, v1, v44
	v_add_f32_e32 v6, v1, v172
	scratch_load_b128 v[1:4], off, off offset:432
	v_add_f32_e32 v22, v22, v187
	v_add_f32_e32 v14, v6, v174
	ds_load_b128 v[5:8], v21 offset:928
	v_add_f32_e32 v22, v22, v189
	v_add_f32_e32 v14, v14, v176
	s_delay_alu instid0(VALU_DEP_1)
	v_add_f32_e32 v17, v14, v178
	ds_load_b128 v[13:16], v21 offset:944
	s_wait_loadcnt_dscnt 0x201
	v_mul_f32_e32 v30, v5, v10
	v_dual_mul_f32 v10, v6, v10 :: v_dual_mul_f32 v31, v7, v12
	v_mul_f32_e32 v12, v8, v12
	s_delay_alu instid0(VALU_DEP_3) | instskip(NEXT) | instid1(VALU_DEP_3)
	v_fmac_f32_e32 v30, v6, v9
	v_fma_f32 v32, v5, v9, -v10
	s_delay_alu instid0(VALU_DEP_4) | instskip(NEXT) | instid1(VALU_DEP_4)
	v_fmac_f32_e32 v31, v8, v11
	v_fma_f32 v33, v7, v11, -v12
	s_clause 0x1
	scratch_load_b128 v[5:8], off, off offset:448
	scratch_load_b128 v[9:12], off, off offset:464
	s_wait_loadcnt_dscnt 0x200
	v_mul_f32_e32 v34, v13, v2
	v_mul_f32_e32 v2, v14, v2
	;; [unrolled: 1-line block ×4, first 2 shown]
	s_delay_alu instid0(VALU_DEP_4) | instskip(NEXT) | instid1(VALU_DEP_4)
	v_fmac_f32_e32 v34, v14, v1
	v_fma_f32 v39, v13, v1, -v2
	v_add_f32_e32 v13, v22, v191
	v_dual_fmac_f32 v38, v16, v3 :: v_dual_add_f32 v17, v17, v180
	v_fma_f32 v40, v15, v3, -v4
	ds_load_b128 v[1:4], v21 offset:960
	v_add_f32_e32 v22, v13, v193
	v_add_f32_e32 v17, v17, v182
	s_delay_alu instid0(VALU_DEP_2) | instskip(NEXT) | instid1(VALU_DEP_1)
	v_add_f32_e32 v29, v22, v195
	v_add_f32_e32 v42, v29, v197
	s_delay_alu instid0(VALU_DEP_1) | instskip(NEXT) | instid1(VALU_DEP_1)
	v_dual_add_f32 v17, v17, v184 :: v_dual_add_f32 v30, v42, v30
	v_add_f32_e32 v23, v17, v186
	scratch_load_b128 v[17:20], off, off offset:480
	v_dual_add_f32 v30, v30, v31 :: v_dual_add_f32 v23, v23, v188
	s_delay_alu instid0(VALU_DEP_1) | instskip(NEXT) | instid1(VALU_DEP_2)
	v_add_f32_e32 v30, v30, v34
	v_add_f32_e32 v23, v23, v190
	s_delay_alu instid0(VALU_DEP_1) | instskip(NEXT) | instid1(VALU_DEP_1)
	v_add_f32_e32 v23, v23, v192
	v_add_f32_e32 v14, v23, v194
	ds_load_b128 v[22:25], v21 offset:992
	v_add_f32_e32 v28, v14, v196
	ds_load_b128 v[13:16], v21 offset:976
	s_wait_loadcnt_dscnt 0x202
	v_mul_f32_e32 v31, v3, v8
	v_mul_f32_e32 v8, v4, v8
	v_add_f32_e32 v30, v30, v38
	v_add_f32_e32 v41, v28, v198
	ds_load_b64 v[28:29], v21 offset:1008
	s_wait_loadcnt_dscnt 0x101
	v_dual_fmac_f32 v31, v4, v7 :: v_dual_mul_f32 v34, v15, v12
	v_add_f32_e32 v32, v41, v32
	s_delay_alu instid0(VALU_DEP_2) | instskip(NEXT) | instid1(VALU_DEP_2)
	v_fmac_f32_e32 v34, v16, v11
	v_dual_add_f32 v32, v32, v33 :: v_dual_mul_f32 v41, v1, v6
	v_mul_f32_e32 v6, v2, v6
	s_delay_alu instid0(VALU_DEP_2) | instskip(SKIP_1) | instid1(VALU_DEP_3)
	v_dual_add_f32 v32, v32, v39 :: v_dual_mul_f32 v33, v13, v10
	s_wait_dscnt 0x0
	v_dual_mul_f32 v38, v28, v27 :: v_dual_fmac_f32 v41, v2, v5
	s_delay_alu instid0(VALU_DEP_3) | instskip(NEXT) | instid1(VALU_DEP_3)
	v_fma_f32 v1, v1, v5, -v6
	v_add_f32_e32 v32, v32, v40
	v_fma_f32 v2, v3, v7, -v8
	s_delay_alu instid0(VALU_DEP_4) | instskip(SKIP_1) | instid1(VALU_DEP_4)
	v_dual_mul_f32 v5, v16, v12 :: v_dual_add_f32 v4, v30, v41
	v_mul_f32_e32 v3, v14, v10
	v_add_f32_e32 v1, v32, v1
	v_fmac_f32_e32 v33, v14, v9
	s_delay_alu instid0(VALU_DEP_4) | instskip(SKIP_1) | instid1(VALU_DEP_4)
	v_fma_f32 v5, v15, v11, -v5
	v_fmac_f32_e32 v38, v29, v26
	v_dual_add_f32 v1, v1, v2 :: v_dual_add_f32 v2, v4, v31
	v_fma_f32 v3, v13, v9, -v3
	s_delay_alu instid0(VALU_DEP_1) | instskip(NEXT) | instid1(VALU_DEP_1)
	v_dual_add_f32 v2, v2, v33 :: v_dual_add_f32 v1, v1, v3
	v_add_f32_e32 v2, v2, v34
	s_wait_loadcnt 0x0
	v_dual_mul_f32 v39, v22, v18 :: v_dual_mul_f32 v40, v24, v20
	v_mul_f32_e32 v4, v23, v18
	s_delay_alu instid0(VALU_DEP_2) | instskip(SKIP_1) | instid1(VALU_DEP_3)
	v_dual_fmac_f32 v39, v23, v17 :: v_dual_fmac_f32 v40, v25, v19
	v_mul_f32_e32 v3, v25, v20
	v_fma_f32 v4, v22, v17, -v4
	s_delay_alu instid0(VALU_DEP_3) | instskip(NEXT) | instid1(VALU_DEP_3)
	v_dual_add_f32 v2, v2, v39 :: v_dual_add_f32 v1, v1, v5
	v_fma_f32 v3, v24, v19, -v3
	s_delay_alu instid0(VALU_DEP_2) | instskip(NEXT) | instid1(VALU_DEP_1)
	v_dual_add_f32 v2, v2, v40 :: v_dual_mul_f32 v5, v29, v27
	v_dual_add_f32 v1, v1, v4 :: v_dual_add_f32 v2, v2, v38
	s_delay_alu instid0(VALU_DEP_2) | instskip(NEXT) | instid1(VALU_DEP_2)
	v_fma_f32 v4, v28, v26, -v5
	v_add_f32_e32 v1, v1, v3
	s_delay_alu instid0(VALU_DEP_3) | instskip(NEXT) | instid1(VALU_DEP_2)
	v_sub_f32_e32 v2, v37, v2
	v_add_f32_e32 v1, v1, v4
	s_delay_alu instid0(VALU_DEP_1)
	v_sub_f32_e32 v1, v36, v1
	scratch_store_b64 off, v[1:2], off offset:184
	v_cmpx_lt_u32_e32 22, v0
	s_cbranch_execz .LBB62_347
; %bb.346:
	scratch_load_b64 v[1:2], off, off offset:176
	v_mov_b32_e32 v22, v21
	scratch_store_b64 off, v[21:22], off offset:176
	s_wait_loadcnt 0x0
	ds_store_b64 v35, v[1:2]
.LBB62_347:
	s_wait_alu 0xfffe
	s_or_b32 exec_lo, exec_lo, s0
	s_wait_storecnt_dscnt 0x0
	s_barrier_signal -1
	s_barrier_wait -1
	global_inv scope:SCOPE_SE
	s_clause 0x4
	scratch_load_b128 v[5:8], off, off offset:184
	scratch_load_b128 v[1:4], off, off offset:200
	;; [unrolled: 1-line block ×5, first 2 shown]
	ds_load_2addr_b64 v[22:25], v21 offset0:87 offset1:88
	ds_load_2addr_b64 v[26:29], v21 offset0:89 offset1:90
	ds_load_2addr_b64 v[30:33], v21 offset0:91 offset1:92
	scratch_load_b64 v[36:37], off, off offset:176
	s_mov_b32 s0, exec_lo
	s_wait_loadcnt_dscnt 0x502
	v_dual_mul_f32 v34, v23, v6 :: v_dual_mul_f32 v39, v24, v8
	v_mul_f32_e32 v38, v22, v6
	v_mul_f32_e32 v6, v25, v8
	s_wait_loadcnt_dscnt 0x300
	v_mul_f32_e32 v40, v32, v12
	v_fma_f32 v22, v22, v5, -v34
	v_dual_fmac_f32 v39, v25, v7 :: v_dual_fmac_f32 v38, v23, v5
	v_mul_f32_e32 v25, v28, v4
	v_fma_f32 v23, v24, v7, -v6
	ds_load_2addr_b64 v[5:8], v21 offset0:93 offset1:94
	v_mul_f32_e32 v24, v26, v2
	v_mul_f32_e32 v4, v29, v4
	;; [unrolled: 1-line block ×5, first 2 shown]
	v_dual_mul_f32 v2, v27, v2 :: v_dual_fmac_f32 v25, v29, v3
	v_fmac_f32_e32 v24, v27, v1
	v_fma_f32 v27, v28, v3, -v4
	v_fmac_f32_e32 v34, v31, v9
	v_fma_f32 v28, v30, v9, -v10
	;; [unrolled: 2-line block ×3, first 2 shown]
	ds_load_2addr_b64 v[9:12], v21 offset0:95 offset1:96
	s_wait_loadcnt_dscnt 0x201
	v_mul_f32_e32 v30, v5, v14
	v_dual_mul_f32 v14, v6, v14 :: v_dual_mul_f32 v31, v7, v16
	v_mul_f32_e32 v16, v8, v16
	s_delay_alu instid0(VALU_DEP_3) | instskip(NEXT) | instid1(VALU_DEP_3)
	v_fmac_f32_e32 v30, v6, v13
	v_fma_f32 v13, v5, v13, -v14
	s_delay_alu instid0(VALU_DEP_4) | instskip(NEXT) | instid1(VALU_DEP_4)
	v_fmac_f32_e32 v31, v8, v15
	v_fma_f32 v14, v7, v15, -v16
	ds_load_2addr_b64 v[5:8], v21 offset0:97 offset1:98
	s_wait_loadcnt_dscnt 0x101
	v_mul_f32_e32 v15, v9, v18
	v_mul_f32_e32 v16, v10, v18
	;; [unrolled: 1-line block ×3, first 2 shown]
	s_delay_alu instid0(VALU_DEP_3)
	v_dual_mul_f32 v20, v12, v20 :: v_dual_fmac_f32 v15, v10, v17
	v_fma_f32 v26, v26, v1, -v2
	scratch_load_b128 v[1:4], off, off offset:264
	v_fma_f32 v16, v9, v17, -v16
	v_fmac_f32_e32 v18, v12, v19
	v_fma_f32 v17, v11, v19, -v20
	scratch_load_b128 v[9:12], off, off offset:280
	s_wait_loadcnt_dscnt 0x100
	v_mul_f32_e32 v19, v5, v2
	v_mul_f32_e32 v2, v6, v2
	;; [unrolled: 1-line block ×3, first 2 shown]
	s_delay_alu instid0(VALU_DEP_3) | instskip(NEXT) | instid1(VALU_DEP_3)
	v_dual_mul_f32 v4, v8, v4 :: v_dual_fmac_f32 v19, v6, v1
	v_fma_f32 v32, v5, v1, -v2
	s_delay_alu instid0(VALU_DEP_3) | instskip(NEXT) | instid1(VALU_DEP_3)
	v_fmac_f32_e32 v20, v8, v3
	v_fma_f32 v33, v7, v3, -v4
	ds_load_2addr_b64 v[1:4], v21 offset0:99 offset1:100
	ds_load_2addr_b64 v[5:8], v21 offset0:101 offset1:102
	s_wait_loadcnt_dscnt 0x1
	v_mul_f32_e32 v41, v1, v10
	v_mul_f32_e32 v10, v2, v10
	s_delay_alu instid0(VALU_DEP_2) | instskip(NEXT) | instid1(VALU_DEP_2)
	v_dual_mul_f32 v42, v3, v12 :: v_dual_fmac_f32 v41, v2, v9
	v_fma_f32 v43, v1, v9, -v10
	v_mul_f32_e32 v1, v4, v12
	s_delay_alu instid0(VALU_DEP_3) | instskip(NEXT) | instid1(VALU_DEP_2)
	v_fmac_f32_e32 v42, v4, v11
	v_fma_f32 v44, v3, v11, -v1
	s_clause 0x1
	scratch_load_b128 v[1:4], off, off offset:296
	scratch_load_b128 v[9:12], off, off offset:312
	s_wait_loadcnt_dscnt 0x100
	v_mul_f32_e32 v171, v5, v2
	v_dual_mul_f32 v2, v6, v2 :: v_dual_mul_f32 v173, v7, v4
	s_delay_alu instid0(VALU_DEP_2) | instskip(NEXT) | instid1(VALU_DEP_2)
	v_fmac_f32_e32 v171, v6, v1
	v_fma_f32 v172, v5, v1, -v2
	v_mul_f32_e32 v1, v8, v4
	s_delay_alu instid0(VALU_DEP_4) | instskip(NEXT) | instid1(VALU_DEP_2)
	v_fmac_f32_e32 v173, v8, v3
	v_fma_f32 v174, v7, v3, -v1
	ds_load_2addr_b64 v[1:4], v21 offset0:103 offset1:104
	ds_load_2addr_b64 v[5:8], v21 offset0:105 offset1:106
	s_wait_loadcnt_dscnt 0x1
	v_mul_f32_e32 v175, v1, v10
	v_mul_f32_e32 v177, v3, v12
	s_delay_alu instid0(VALU_DEP_2) | instskip(NEXT) | instid1(VALU_DEP_2)
	v_fmac_f32_e32 v175, v2, v9
	v_dual_mul_f32 v2, v2, v10 :: v_dual_fmac_f32 v177, v4, v11
	s_delay_alu instid0(VALU_DEP_1) | instskip(SKIP_1) | instid1(VALU_DEP_1)
	v_fma_f32 v176, v1, v9, -v2
	v_mul_f32_e32 v1, v4, v12
	v_fma_f32 v178, v3, v11, -v1
	s_clause 0x1
	scratch_load_b128 v[1:4], off, off offset:328
	scratch_load_b128 v[9:12], off, off offset:344
	s_wait_loadcnt_dscnt 0x100
	v_mul_f32_e32 v179, v5, v2
	v_dual_mul_f32 v2, v6, v2 :: v_dual_mul_f32 v181, v7, v4
	s_delay_alu instid0(VALU_DEP_2) | instskip(NEXT) | instid1(VALU_DEP_2)
	v_fmac_f32_e32 v179, v6, v1
	v_fma_f32 v180, v5, v1, -v2
	v_mul_f32_e32 v1, v8, v4
	s_delay_alu instid0(VALU_DEP_4) | instskip(NEXT) | instid1(VALU_DEP_2)
	v_fmac_f32_e32 v181, v8, v3
	v_fma_f32 v182, v7, v3, -v1
	ds_load_2addr_b64 v[1:4], v21 offset0:107 offset1:108
	ds_load_2addr_b64 v[5:8], v21 offset0:109 offset1:110
	s_wait_loadcnt_dscnt 0x1
	v_mul_f32_e32 v183, v1, v10
	v_mul_f32_e32 v185, v3, v12
	s_delay_alu instid0(VALU_DEP_2) | instskip(NEXT) | instid1(VALU_DEP_2)
	v_fmac_f32_e32 v183, v2, v9
	v_dual_mul_f32 v2, v2, v10 :: v_dual_fmac_f32 v185, v4, v11
	s_delay_alu instid0(VALU_DEP_1) | instskip(SKIP_1) | instid1(VALU_DEP_1)
	v_fma_f32 v184, v1, v9, -v2
	v_mul_f32_e32 v1, v4, v12
	;; [unrolled: 25-line block ×4, first 2 shown]
	v_fma_f32 v202, v3, v11, -v1
	s_clause 0x1
	scratch_load_b128 v[1:4], off, off offset:424
	scratch_load_b128 v[9:12], off, off offset:440
	s_wait_loadcnt_dscnt 0x100
	v_mul_f32_e32 v203, v5, v2
	v_mul_f32_e32 v2, v6, v2
	s_delay_alu instid0(VALU_DEP_1) | instskip(SKIP_1) | instid1(VALU_DEP_1)
	v_fma_f32 v204, v5, v1, -v2
	v_add_f32_e32 v2, 0, v38
	v_add_f32_e32 v2, v2, v39
	s_delay_alu instid0(VALU_DEP_1) | instskip(NEXT) | instid1(VALU_DEP_1)
	v_add_f32_e32 v2, v2, v24
	v_add_f32_e32 v2, v2, v25
	s_delay_alu instid0(VALU_DEP_1) | instskip(NEXT) | instid1(VALU_DEP_1)
	;; [unrolled: 3-line block ×5, first 2 shown]
	v_add_f32_e32 v2, v2, v19
	v_add_f32_e32 v2, v2, v20
	s_delay_alu instid0(VALU_DEP_1) | instskip(SKIP_1) | instid1(VALU_DEP_2)
	v_add_f32_e32 v2, v2, v41
	v_fmac_f32_e32 v203, v6, v1
	v_dual_mul_f32 v205, v7, v4 :: v_dual_add_f32 v2, v2, v42
	s_delay_alu instid0(VALU_DEP_1) | instskip(NEXT) | instid1(VALU_DEP_1)
	v_dual_mul_f32 v1, v8, v4 :: v_dual_add_f32 v2, v2, v171
	v_fma_f32 v206, v7, v3, -v1
	v_add_f32_e32 v1, 0, v22
	s_delay_alu instid0(VALU_DEP_3) | instskip(NEXT) | instid1(VALU_DEP_2)
	v_dual_fmac_f32 v205, v8, v3 :: v_dual_add_f32 v2, v2, v173
	v_add_f32_e32 v1, v1, v23
	s_delay_alu instid0(VALU_DEP_1) | instskip(NEXT) | instid1(VALU_DEP_1)
	v_add_f32_e32 v1, v1, v26
	v_add_f32_e32 v1, v1, v27
	s_delay_alu instid0(VALU_DEP_1) | instskip(NEXT) | instid1(VALU_DEP_1)
	v_add_f32_e32 v1, v1, v28
	;; [unrolled: 3-line block ×10, first 2 shown]
	v_add_f32_e32 v13, v13, v186
	s_delay_alu instid0(VALU_DEP_1) | instskip(SKIP_3) | instid1(VALU_DEP_1)
	v_add_f32_e32 v13, v13, v188
	v_add_f32_e32 v5, v2, v175
	ds_load_2addr_b64 v[1:4], v21 offset0:119 offset1:120
	v_add_f32_e32 v18, v13, v190
	v_dual_add_f32 v5, v5, v177 :: v_dual_add_f32 v18, v18, v192
	s_delay_alu instid0(VALU_DEP_1) | instskip(NEXT) | instid1(VALU_DEP_1)
	v_dual_add_f32 v5, v5, v179 :: v_dual_add_f32 v18, v18, v194
	v_add_f32_e32 v14, v5, v181
	ds_load_2addr_b64 v[5:8], v21 offset0:121 offset1:122
	v_add_f32_e32 v22, v18, v196
	s_wait_loadcnt_dscnt 0x1
	v_dual_add_f32 v14, v14, v183 :: v_dual_mul_f32 v25, v1, v10
	v_mul_f32_e32 v26, v3, v12
	v_mul_f32_e32 v10, v2, v10
	v_mul_f32_e32 v12, v4, v12
	s_delay_alu instid0(VALU_DEP_4) | instskip(NEXT) | instid1(VALU_DEP_4)
	v_add_f32_e32 v14, v14, v185
	v_dual_add_f32 v29, v22, v198 :: v_dual_fmac_f32 v26, v4, v11
	s_delay_alu instid0(VALU_DEP_4) | instskip(NEXT) | instid1(VALU_DEP_4)
	v_fma_f32 v27, v1, v9, -v10
	v_fma_f32 v28, v3, v11, -v12
	s_delay_alu instid0(VALU_DEP_4) | instskip(SKIP_3) | instid1(VALU_DEP_2)
	v_add_f32_e32 v17, v14, v187
	scratch_load_b128 v[13:16], off, off offset:488
	v_add_f32_e32 v29, v29, v200
	v_add_f32_e32 v17, v17, v189
	;; [unrolled: 1-line block ×3, first 2 shown]
	s_delay_alu instid0(VALU_DEP_2) | instskip(NEXT) | instid1(VALU_DEP_2)
	v_add_f32_e32 v17, v17, v191
	v_add_f32_e32 v29, v29, v204
	s_delay_alu instid0(VALU_DEP_2) | instskip(NEXT) | instid1(VALU_DEP_2)
	v_add_f32_e32 v17, v17, v193
	v_add_f32_e32 v29, v29, v206
	s_delay_alu instid0(VALU_DEP_2)
	v_add_f32_e32 v23, v17, v195
	ds_load_2addr_b64 v[17:20], v21 offset0:123 offset1:124
	v_dual_add_f32 v27, v29, v27 :: v_dual_add_f32 v30, v23, v197
	ds_load_2addr_b64 v[21:24], v21 offset0:125 offset1:126
	v_fmac_f32_e32 v25, v2, v9
	s_clause 0x1
	scratch_load_b128 v[1:4], off, off offset:456
	scratch_load_b128 v[9:12], off, off offset:472
	v_add_f32_e32 v30, v30, v199
	s_delay_alu instid0(VALU_DEP_1) | instskip(NEXT) | instid1(VALU_DEP_1)
	v_add_f32_e32 v30, v30, v201
	v_add_f32_e32 v30, v30, v203
	s_delay_alu instid0(VALU_DEP_1) | instskip(SKIP_1) | instid1(VALU_DEP_1)
	v_add_f32_e32 v30, v30, v205
	s_wait_loadcnt_dscnt 0x200
	v_dual_mul_f32 v38, v21, v14 :: v_dual_add_f32 v25, v30, v25
	s_delay_alu instid0(VALU_DEP_1) | instskip(NEXT) | instid1(VALU_DEP_1)
	v_dual_mul_f32 v29, v23, v16 :: v_dual_fmac_f32 v38, v22, v13
	v_fmac_f32_e32 v29, v24, v15
	s_wait_loadcnt 0x1
	v_mul_f32_e32 v31, v5, v2
	v_mul_f32_e32 v2, v6, v2
	;; [unrolled: 1-line block ×3, first 2 shown]
	s_wait_loadcnt 0x0
	v_dual_mul_f32 v4, v8, v4 :: v_dual_mul_f32 v33, v17, v10
	v_fmac_f32_e32 v31, v6, v1
	v_fma_f32 v2, v5, v1, -v2
	v_add_f32_e32 v1, v27, v28
	v_add_f32_e32 v5, v25, v26
	v_mul_f32_e32 v6, v18, v10
	v_fmac_f32_e32 v32, v8, v3
	v_fma_f32 v3, v7, v3, -v4
	v_add_f32_e32 v1, v1, v2
	v_add_f32_e32 v2, v5, v31
	v_mul_f32_e32 v34, v19, v12
	v_dual_mul_f32 v4, v20, v12 :: v_dual_fmac_f32 v33, v18, v9
	v_fma_f32 v5, v17, v9, -v6
	s_delay_alu instid0(VALU_DEP_4) | instskip(NEXT) | instid1(VALU_DEP_4)
	v_dual_add_f32 v1, v1, v3 :: v_dual_add_f32 v2, v2, v32
	v_dual_mul_f32 v3, v22, v14 :: v_dual_fmac_f32 v34, v20, v11
	s_delay_alu instid0(VALU_DEP_4) | instskip(NEXT) | instid1(VALU_DEP_3)
	v_fma_f32 v4, v19, v11, -v4
	v_add_f32_e32 v1, v1, v5
	s_delay_alu instid0(VALU_DEP_4) | instskip(NEXT) | instid1(VALU_DEP_4)
	v_dual_add_f32 v2, v2, v33 :: v_dual_mul_f32 v5, v24, v16
	v_fma_f32 v3, v21, v13, -v3
	s_delay_alu instid0(VALU_DEP_2) | instskip(NEXT) | instid1(VALU_DEP_3)
	v_dual_add_f32 v1, v1, v4 :: v_dual_add_f32 v2, v2, v34
	v_fma_f32 v4, v23, v15, -v5
	s_delay_alu instid0(VALU_DEP_2) | instskip(NEXT) | instid1(VALU_DEP_1)
	v_dual_add_f32 v1, v1, v3 :: v_dual_add_f32 v2, v2, v38
	v_dual_add_f32 v1, v1, v4 :: v_dual_add_f32 v2, v2, v29
	s_delay_alu instid0(VALU_DEP_1)
	v_dual_sub_f32 v1, v36, v1 :: v_dual_sub_f32 v2, v37, v2
	scratch_store_b64 off, v[1:2], off offset:176
	v_cmpx_lt_u32_e32 21, v0
	s_cbranch_execz .LBB62_349
; %bb.348:
	scratch_load_b64 v[1:2], off, off offset:168
	v_mov_b32_e32 v3, 0
	s_delay_alu instid0(VALU_DEP_1)
	v_mov_b32_e32 v4, v3
	scratch_store_b64 off, v[3:4], off offset:168
	s_wait_loadcnt 0x0
	ds_store_b64 v35, v[1:2]
.LBB62_349:
	s_wait_alu 0xfffe
	s_or_b32 exec_lo, exec_lo, s0
	s_wait_storecnt_dscnt 0x0
	s_barrier_signal -1
	s_barrier_wait -1
	global_inv scope:SCOPE_SE
	s_clause 0x4
	scratch_load_b128 v[5:8], off, off offset:176
	scratch_load_b128 v[1:4], off, off offset:192
	;; [unrolled: 1-line block ×5, first 2 shown]
	v_mov_b32_e32 v21, 0
	ds_load_b128 v[22:25], v21 offset:688
	ds_load_b128 v[26:29], v21 offset:704
	;; [unrolled: 1-line block ×3, first 2 shown]
	scratch_load_b64 v[36:37], off, off offset:168
	s_mov_b32 s0, exec_lo
	s_wait_loadcnt_dscnt 0x502
	v_mul_f32_e32 v34, v23, v6
	v_dual_mul_f32 v38, v22, v6 :: v_dual_mul_f32 v39, v24, v8
	v_mul_f32_e32 v6, v25, v8
	s_wait_loadcnt_dscnt 0x300
	v_mul_f32_e32 v40, v32, v12
	v_fma_f32 v22, v22, v5, -v34
	v_dual_fmac_f32 v38, v23, v5 :: v_dual_fmac_f32 v39, v25, v7
	v_fma_f32 v23, v24, v7, -v6
	v_dual_mul_f32 v24, v26, v2 :: v_dual_mul_f32 v25, v28, v4
	v_mul_f32_e32 v2, v27, v2
	v_mul_f32_e32 v4, v29, v4
	ds_load_b128 v[5:8], v21 offset:736
	v_mul_f32_e32 v34, v30, v10
	v_dual_fmac_f32 v24, v27, v1 :: v_dual_fmac_f32 v25, v29, v3
	v_fma_f32 v26, v26, v1, -v2
	v_fma_f32 v27, v28, v3, -v4
	v_mul_f32_e32 v12, v33, v12
	scratch_load_b128 v[1:4], off, off offset:256
	v_mul_f32_e32 v10, v31, v10
	v_fmac_f32_e32 v34, v31, v9
	v_fmac_f32_e32 v40, v33, v11
	v_fma_f32 v29, v32, v11, -v12
	s_delay_alu instid0(VALU_DEP_4)
	v_fma_f32 v28, v30, v9, -v10
	ds_load_b128 v[9:12], v21 offset:752
	s_wait_loadcnt_dscnt 0x301
	v_mul_f32_e32 v30, v5, v14
	v_dual_mul_f32 v14, v6, v14 :: v_dual_mul_f32 v31, v7, v16
	v_mul_f32_e32 v16, v8, v16
	s_delay_alu instid0(VALU_DEP_3) | instskip(NEXT) | instid1(VALU_DEP_3)
	v_fmac_f32_e32 v30, v6, v13
	v_fma_f32 v13, v5, v13, -v14
	s_delay_alu instid0(VALU_DEP_4) | instskip(NEXT) | instid1(VALU_DEP_4)
	v_fmac_f32_e32 v31, v8, v15
	v_fma_f32 v14, v7, v15, -v16
	ds_load_b128 v[5:8], v21 offset:768
	s_wait_loadcnt_dscnt 0x201
	v_mul_f32_e32 v15, v9, v18
	v_mul_f32_e32 v16, v10, v18
	;; [unrolled: 1-line block ×3, first 2 shown]
	s_delay_alu instid0(VALU_DEP_3) | instskip(NEXT) | instid1(VALU_DEP_3)
	v_dual_mul_f32 v20, v12, v20 :: v_dual_fmac_f32 v15, v10, v17
	v_fma_f32 v16, v9, v17, -v16
	s_delay_alu instid0(VALU_DEP_3) | instskip(NEXT) | instid1(VALU_DEP_3)
	v_fmac_f32_e32 v18, v12, v19
	v_fma_f32 v17, v11, v19, -v20
	scratch_load_b128 v[9:12], off, off offset:272
	s_wait_loadcnt_dscnt 0x100
	v_mul_f32_e32 v19, v5, v2
	v_mul_f32_e32 v2, v6, v2
	;; [unrolled: 1-line block ×3, first 2 shown]
	s_delay_alu instid0(VALU_DEP_3) | instskip(NEXT) | instid1(VALU_DEP_3)
	v_dual_mul_f32 v4, v8, v4 :: v_dual_fmac_f32 v19, v6, v1
	v_fma_f32 v32, v5, v1, -v2
	s_delay_alu instid0(VALU_DEP_3) | instskip(NEXT) | instid1(VALU_DEP_3)
	v_fmac_f32_e32 v20, v8, v3
	v_fma_f32 v33, v7, v3, -v4
	ds_load_b128 v[1:4], v21 offset:784
	ds_load_b128 v[5:8], v21 offset:800
	s_wait_loadcnt_dscnt 0x1
	v_mul_f32_e32 v41, v1, v10
	v_mul_f32_e32 v10, v2, v10
	s_delay_alu instid0(VALU_DEP_2) | instskip(NEXT) | instid1(VALU_DEP_2)
	v_dual_mul_f32 v42, v3, v12 :: v_dual_fmac_f32 v41, v2, v9
	v_fma_f32 v43, v1, v9, -v10
	v_mul_f32_e32 v1, v4, v12
	s_delay_alu instid0(VALU_DEP_3) | instskip(NEXT) | instid1(VALU_DEP_2)
	v_fmac_f32_e32 v42, v4, v11
	v_fma_f32 v44, v3, v11, -v1
	s_clause 0x1
	scratch_load_b128 v[1:4], off, off offset:288
	scratch_load_b128 v[9:12], off, off offset:304
	s_wait_loadcnt_dscnt 0x100
	v_mul_f32_e32 v171, v5, v2
	v_dual_mul_f32 v2, v6, v2 :: v_dual_mul_f32 v173, v7, v4
	s_delay_alu instid0(VALU_DEP_2) | instskip(NEXT) | instid1(VALU_DEP_2)
	v_fmac_f32_e32 v171, v6, v1
	v_fma_f32 v172, v5, v1, -v2
	v_mul_f32_e32 v1, v8, v4
	s_delay_alu instid0(VALU_DEP_4) | instskip(NEXT) | instid1(VALU_DEP_2)
	v_fmac_f32_e32 v173, v8, v3
	v_fma_f32 v174, v7, v3, -v1
	ds_load_b128 v[1:4], v21 offset:816
	ds_load_b128 v[5:8], v21 offset:832
	s_wait_loadcnt_dscnt 0x1
	v_mul_f32_e32 v175, v1, v10
	v_mul_f32_e32 v177, v3, v12
	s_delay_alu instid0(VALU_DEP_2) | instskip(NEXT) | instid1(VALU_DEP_2)
	v_fmac_f32_e32 v175, v2, v9
	v_dual_mul_f32 v2, v2, v10 :: v_dual_fmac_f32 v177, v4, v11
	s_delay_alu instid0(VALU_DEP_1) | instskip(SKIP_1) | instid1(VALU_DEP_1)
	v_fma_f32 v176, v1, v9, -v2
	v_mul_f32_e32 v1, v4, v12
	v_fma_f32 v178, v3, v11, -v1
	s_clause 0x1
	scratch_load_b128 v[1:4], off, off offset:320
	scratch_load_b128 v[9:12], off, off offset:336
	s_wait_loadcnt_dscnt 0x100
	v_mul_f32_e32 v179, v5, v2
	v_dual_mul_f32 v2, v6, v2 :: v_dual_mul_f32 v181, v7, v4
	s_delay_alu instid0(VALU_DEP_2) | instskip(NEXT) | instid1(VALU_DEP_2)
	v_fmac_f32_e32 v179, v6, v1
	v_fma_f32 v180, v5, v1, -v2
	v_mul_f32_e32 v1, v8, v4
	s_delay_alu instid0(VALU_DEP_4) | instskip(NEXT) | instid1(VALU_DEP_2)
	v_fmac_f32_e32 v181, v8, v3
	v_fma_f32 v182, v7, v3, -v1
	ds_load_b128 v[1:4], v21 offset:848
	ds_load_b128 v[5:8], v21 offset:864
	s_wait_loadcnt_dscnt 0x1
	v_mul_f32_e32 v183, v1, v10
	v_mul_f32_e32 v185, v3, v12
	s_delay_alu instid0(VALU_DEP_2) | instskip(NEXT) | instid1(VALU_DEP_2)
	v_fmac_f32_e32 v183, v2, v9
	v_dual_mul_f32 v2, v2, v10 :: v_dual_fmac_f32 v185, v4, v11
	s_delay_alu instid0(VALU_DEP_1) | instskip(SKIP_1) | instid1(VALU_DEP_1)
	v_fma_f32 v184, v1, v9, -v2
	v_mul_f32_e32 v1, v4, v12
	;; [unrolled: 25-line block ×4, first 2 shown]
	v_fma_f32 v202, v3, v11, -v1
	s_clause 0x1
	scratch_load_b128 v[1:4], off, off offset:416
	scratch_load_b128 v[9:12], off, off offset:432
	s_wait_loadcnt_dscnt 0x100
	v_mul_f32_e32 v203, v5, v2
	v_mul_f32_e32 v2, v6, v2
	s_delay_alu instid0(VALU_DEP_1) | instskip(SKIP_1) | instid1(VALU_DEP_1)
	v_fma_f32 v204, v5, v1, -v2
	v_add_f32_e32 v2, 0, v38
	v_add_f32_e32 v2, v2, v39
	s_delay_alu instid0(VALU_DEP_1) | instskip(NEXT) | instid1(VALU_DEP_1)
	v_add_f32_e32 v2, v2, v24
	v_add_f32_e32 v2, v2, v25
	s_delay_alu instid0(VALU_DEP_1) | instskip(NEXT) | instid1(VALU_DEP_1)
	;; [unrolled: 3-line block ×5, first 2 shown]
	v_add_f32_e32 v2, v2, v19
	v_add_f32_e32 v2, v2, v20
	s_delay_alu instid0(VALU_DEP_1) | instskip(SKIP_1) | instid1(VALU_DEP_2)
	v_add_f32_e32 v2, v2, v41
	v_fmac_f32_e32 v203, v6, v1
	v_dual_mul_f32 v205, v7, v4 :: v_dual_add_f32 v2, v2, v42
	s_delay_alu instid0(VALU_DEP_1) | instskip(NEXT) | instid1(VALU_DEP_1)
	v_dual_mul_f32 v1, v8, v4 :: v_dual_add_f32 v2, v2, v171
	v_fma_f32 v206, v7, v3, -v1
	v_add_f32_e32 v1, 0, v22
	s_delay_alu instid0(VALU_DEP_3) | instskip(NEXT) | instid1(VALU_DEP_2)
	v_dual_fmac_f32 v205, v8, v3 :: v_dual_add_f32 v2, v2, v173
	v_add_f32_e32 v1, v1, v23
	s_delay_alu instid0(VALU_DEP_2) | instskip(NEXT) | instid1(VALU_DEP_2)
	v_add_f32_e32 v5, v2, v175
	v_add_f32_e32 v1, v1, v26
	s_delay_alu instid0(VALU_DEP_2) | instskip(NEXT) | instid1(VALU_DEP_2)
	v_add_f32_e32 v5, v5, v177
	v_add_f32_e32 v1, v1, v27
	scratch_load_b64 v[26:27], off, off offset:496
	v_add_f32_e32 v1, v1, v28
	s_delay_alu instid0(VALU_DEP_1) | instskip(NEXT) | instid1(VALU_DEP_1)
	v_add_f32_e32 v1, v1, v29
	v_add_f32_e32 v1, v1, v13
	s_delay_alu instid0(VALU_DEP_1) | instskip(NEXT) | instid1(VALU_DEP_1)
	v_add_f32_e32 v1, v1, v14
	;; [unrolled: 3-line block ×6, first 2 shown]
	v_add_f32_e32 v1, v1, v176
	s_delay_alu instid0(VALU_DEP_1) | instskip(SKIP_2) | instid1(VALU_DEP_1)
	v_add_f32_e32 v6, v1, v178
	ds_load_b128 v[1:4], v21 offset:944
	v_add_f32_e32 v6, v6, v180
	v_add_f32_e32 v13, v6, v182
	s_delay_alu instid0(VALU_DEP_1) | instskip(NEXT) | instid1(VALU_DEP_1)
	v_add_f32_e32 v13, v13, v184
	v_add_f32_e32 v13, v13, v186
	s_delay_alu instid0(VALU_DEP_1) | instskip(NEXT) | instid1(VALU_DEP_1)
	v_add_f32_e32 v13, v13, v188
	v_add_f32_e32 v18, v13, v190
	s_delay_alu instid0(VALU_DEP_1) | instskip(NEXT) | instid1(VALU_DEP_1)
	v_add_f32_e32 v18, v18, v192
	v_add_f32_e32 v18, v18, v194
	s_delay_alu instid0(VALU_DEP_1) | instskip(NEXT) | instid1(VALU_DEP_1)
	v_add_f32_e32 v18, v18, v196
	v_add_f32_e32 v18, v18, v198
	s_delay_alu instid0(VALU_DEP_1) | instskip(NEXT) | instid1(VALU_DEP_1)
	v_add_f32_e32 v28, v18, v200
	v_add_f32_e32 v34, v28, v202
	s_delay_alu instid0(VALU_DEP_1) | instskip(NEXT) | instid1(VALU_DEP_1)
	v_add_f32_e32 v34, v34, v204
	v_dual_add_f32 v34, v34, v206 :: v_dual_add_f32 v5, v5, v179
	s_delay_alu instid0(VALU_DEP_1)
	v_add_f32_e32 v14, v5, v181
	ds_load_b128 v[5:8], v21 offset:960
	s_wait_loadcnt_dscnt 0x101
	v_mul_f32_e32 v30, v1, v10
	v_dual_mul_f32 v10, v2, v10 :: v_dual_mul_f32 v31, v3, v12
	v_add_f32_e32 v14, v14, v183
	v_mul_f32_e32 v12, v4, v12
	s_delay_alu instid0(VALU_DEP_4) | instskip(NEXT) | instid1(VALU_DEP_4)
	v_fmac_f32_e32 v30, v2, v9
	v_fma_f32 v32, v1, v9, -v10
	s_delay_alu instid0(VALU_DEP_4) | instskip(NEXT) | instid1(VALU_DEP_4)
	v_add_f32_e32 v14, v14, v185
	v_fma_f32 v33, v3, v11, -v12
	s_delay_alu instid0(VALU_DEP_3) | instskip(NEXT) | instid1(VALU_DEP_1)
	v_add_f32_e32 v32, v34, v32
	v_dual_add_f32 v32, v32, v33 :: v_dual_add_f32 v17, v14, v187
	scratch_load_b128 v[13:16], off, off offset:480
	v_add_f32_e32 v17, v17, v189
	s_delay_alu instid0(VALU_DEP_1) | instskip(NEXT) | instid1(VALU_DEP_1)
	v_add_f32_e32 v17, v17, v191
	v_add_f32_e32 v17, v17, v193
	s_delay_alu instid0(VALU_DEP_1) | instskip(NEXT) | instid1(VALU_DEP_1)
	v_add_f32_e32 v17, v17, v195
	v_add_f32_e32 v22, v17, v197
	ds_load_b128 v[17:20], v21 offset:976
	v_add_f32_e32 v29, v22, v199
	ds_load_b128 v[22:25], v21 offset:992
	v_dual_add_f32 v38, v29, v201 :: v_dual_fmac_f32 v31, v4, v11
	s_clause 0x1
	scratch_load_b128 v[1:4], off, off offset:448
	scratch_load_b128 v[9:12], off, off offset:464
	ds_load_b64 v[28:29], v21 offset:1008
	v_add_f32_e32 v38, v38, v203
	s_delay_alu instid0(VALU_DEP_1) | instskip(NEXT) | instid1(VALU_DEP_1)
	v_add_f32_e32 v38, v38, v205
	v_add_f32_e32 v30, v38, v30
	s_wait_loadcnt_dscnt 0x201
	v_mul_f32_e32 v41, v22, v14
	s_delay_alu instid0(VALU_DEP_1)
	v_fmac_f32_e32 v41, v23, v13
	s_wait_loadcnt 0x1
	v_mul_f32_e32 v40, v7, v4
	s_wait_loadcnt 0x0
	v_dual_mul_f32 v38, v19, v12 :: v_dual_mul_f32 v39, v5, v2
	v_mul_f32_e32 v2, v6, v2
	v_mul_f32_e32 v4, v8, v4
	;; [unrolled: 1-line block ×3, first 2 shown]
	v_add_f32_e32 v30, v30, v31
	v_fmac_f32_e32 v38, v20, v11
	v_fma_f32 v2, v5, v1, -v2
	v_dual_fmac_f32 v39, v6, v1 :: v_dual_fmac_f32 v40, v8, v3
	v_fma_f32 v1, v7, v3, -v4
	v_fmac_f32_e32 v34, v18, v9
	s_delay_alu instid0(VALU_DEP_4) | instskip(NEXT) | instid1(VALU_DEP_4)
	v_add_f32_e32 v2, v32, v2
	v_add_f32_e32 v4, v30, v39
	v_mul_f32_e32 v3, v18, v10
	s_delay_alu instid0(VALU_DEP_2) | instskip(SKIP_1) | instid1(VALU_DEP_3)
	v_dual_add_f32 v1, v2, v1 :: v_dual_add_f32 v2, v4, v40
	v_mul_f32_e32 v33, v24, v16
	v_fma_f32 v3, v17, v9, -v3
	v_mul_f32_e32 v4, v23, v14
	s_wait_dscnt 0x0
	v_dual_add_f32 v2, v2, v34 :: v_dual_mul_f32 v31, v28, v27
	v_fmac_f32_e32 v33, v25, v15
	s_delay_alu instid0(VALU_DEP_3) | instskip(NEXT) | instid1(VALU_DEP_3)
	v_fma_f32 v4, v22, v13, -v4
	v_dual_add_f32 v2, v2, v38 :: v_dual_mul_f32 v5, v20, v12
	s_delay_alu instid0(VALU_DEP_1) | instskip(NEXT) | instid1(VALU_DEP_2)
	v_dual_fmac_f32 v31, v29, v26 :: v_dual_add_f32 v2, v2, v41
	v_fma_f32 v5, v19, v11, -v5
	s_delay_alu instid0(VALU_DEP_2) | instskip(SKIP_1) | instid1(VALU_DEP_2)
	v_dual_add_f32 v1, v1, v3 :: v_dual_add_f32 v2, v2, v33
	v_mul_f32_e32 v3, v25, v16
	v_add_f32_e32 v1, v1, v5
	v_mul_f32_e32 v5, v29, v27
	s_delay_alu instid0(VALU_DEP_4) | instskip(NEXT) | instid1(VALU_DEP_4)
	v_add_f32_e32 v2, v2, v31
	v_fma_f32 v3, v24, v15, -v3
	s_delay_alu instid0(VALU_DEP_4) | instskip(NEXT) | instid1(VALU_DEP_4)
	v_add_f32_e32 v1, v1, v4
	v_fma_f32 v4, v28, v26, -v5
	s_delay_alu instid0(VALU_DEP_4) | instskip(NEXT) | instid1(VALU_DEP_3)
	v_sub_f32_e32 v2, v37, v2
	v_add_f32_e32 v1, v1, v3
	s_delay_alu instid0(VALU_DEP_1) | instskip(NEXT) | instid1(VALU_DEP_1)
	v_add_f32_e32 v1, v1, v4
	v_sub_f32_e32 v1, v36, v1
	scratch_store_b64 off, v[1:2], off offset:168
	v_cmpx_lt_u32_e32 20, v0
	s_cbranch_execz .LBB62_351
; %bb.350:
	scratch_load_b64 v[1:2], off, off offset:160
	v_mov_b32_e32 v22, v21
	scratch_store_b64 off, v[21:22], off offset:160
	s_wait_loadcnt 0x0
	ds_store_b64 v35, v[1:2]
.LBB62_351:
	s_wait_alu 0xfffe
	s_or_b32 exec_lo, exec_lo, s0
	s_wait_storecnt_dscnt 0x0
	s_barrier_signal -1
	s_barrier_wait -1
	global_inv scope:SCOPE_SE
	s_clause 0x4
	scratch_load_b128 v[5:8], off, off offset:168
	scratch_load_b128 v[1:4], off, off offset:184
	;; [unrolled: 1-line block ×5, first 2 shown]
	ds_load_2addr_b64 v[22:25], v21 offset0:85 offset1:86
	ds_load_2addr_b64 v[26:29], v21 offset0:87 offset1:88
	;; [unrolled: 1-line block ×3, first 2 shown]
	scratch_load_b64 v[36:37], off, off offset:160
	s_mov_b32 s0, exec_lo
	s_wait_loadcnt_dscnt 0x502
	v_dual_mul_f32 v34, v23, v6 :: v_dual_mul_f32 v39, v24, v8
	v_mul_f32_e32 v38, v22, v6
	v_mul_f32_e32 v6, v25, v8
	s_wait_loadcnt_dscnt 0x300
	v_mul_f32_e32 v40, v32, v12
	v_fma_f32 v22, v22, v5, -v34
	v_dual_fmac_f32 v39, v25, v7 :: v_dual_fmac_f32 v38, v23, v5
	v_mul_f32_e32 v25, v28, v4
	v_fma_f32 v23, v24, v7, -v6
	ds_load_2addr_b64 v[5:8], v21 offset0:91 offset1:92
	v_mul_f32_e32 v24, v26, v2
	v_mul_f32_e32 v4, v29, v4
	;; [unrolled: 1-line block ×5, first 2 shown]
	v_dual_mul_f32 v2, v27, v2 :: v_dual_fmac_f32 v25, v29, v3
	v_fmac_f32_e32 v24, v27, v1
	v_fma_f32 v27, v28, v3, -v4
	v_fmac_f32_e32 v34, v31, v9
	v_fma_f32 v28, v30, v9, -v10
	;; [unrolled: 2-line block ×3, first 2 shown]
	ds_load_2addr_b64 v[9:12], v21 offset0:93 offset1:94
	s_wait_loadcnt_dscnt 0x201
	v_mul_f32_e32 v30, v5, v14
	v_dual_mul_f32 v14, v6, v14 :: v_dual_mul_f32 v31, v7, v16
	v_mul_f32_e32 v16, v8, v16
	s_delay_alu instid0(VALU_DEP_3) | instskip(NEXT) | instid1(VALU_DEP_3)
	v_fmac_f32_e32 v30, v6, v13
	v_fma_f32 v13, v5, v13, -v14
	s_delay_alu instid0(VALU_DEP_4) | instskip(NEXT) | instid1(VALU_DEP_4)
	v_fmac_f32_e32 v31, v8, v15
	v_fma_f32 v14, v7, v15, -v16
	ds_load_2addr_b64 v[5:8], v21 offset0:95 offset1:96
	s_wait_loadcnt_dscnt 0x101
	v_mul_f32_e32 v15, v9, v18
	v_mul_f32_e32 v16, v10, v18
	v_mul_f32_e32 v18, v11, v20
	s_delay_alu instid0(VALU_DEP_3)
	v_dual_mul_f32 v20, v12, v20 :: v_dual_fmac_f32 v15, v10, v17
	v_fma_f32 v26, v26, v1, -v2
	scratch_load_b128 v[1:4], off, off offset:248
	v_fma_f32 v16, v9, v17, -v16
	v_fmac_f32_e32 v18, v12, v19
	v_fma_f32 v17, v11, v19, -v20
	scratch_load_b128 v[9:12], off, off offset:264
	s_wait_loadcnt_dscnt 0x100
	v_mul_f32_e32 v19, v5, v2
	v_mul_f32_e32 v2, v6, v2
	;; [unrolled: 1-line block ×3, first 2 shown]
	s_delay_alu instid0(VALU_DEP_3) | instskip(NEXT) | instid1(VALU_DEP_3)
	v_dual_mul_f32 v4, v8, v4 :: v_dual_fmac_f32 v19, v6, v1
	v_fma_f32 v32, v5, v1, -v2
	s_delay_alu instid0(VALU_DEP_3) | instskip(NEXT) | instid1(VALU_DEP_3)
	v_fmac_f32_e32 v20, v8, v3
	v_fma_f32 v33, v7, v3, -v4
	ds_load_2addr_b64 v[1:4], v21 offset0:97 offset1:98
	ds_load_2addr_b64 v[5:8], v21 offset0:99 offset1:100
	s_wait_loadcnt_dscnt 0x1
	v_mul_f32_e32 v41, v1, v10
	v_mul_f32_e32 v10, v2, v10
	s_delay_alu instid0(VALU_DEP_2) | instskip(NEXT) | instid1(VALU_DEP_2)
	v_dual_mul_f32 v42, v3, v12 :: v_dual_fmac_f32 v41, v2, v9
	v_fma_f32 v43, v1, v9, -v10
	v_mul_f32_e32 v1, v4, v12
	s_delay_alu instid0(VALU_DEP_3) | instskip(NEXT) | instid1(VALU_DEP_2)
	v_fmac_f32_e32 v42, v4, v11
	v_fma_f32 v44, v3, v11, -v1
	s_clause 0x1
	scratch_load_b128 v[1:4], off, off offset:280
	scratch_load_b128 v[9:12], off, off offset:296
	s_wait_loadcnt_dscnt 0x100
	v_mul_f32_e32 v171, v5, v2
	v_dual_mul_f32 v2, v6, v2 :: v_dual_mul_f32 v173, v7, v4
	s_delay_alu instid0(VALU_DEP_2) | instskip(NEXT) | instid1(VALU_DEP_2)
	v_fmac_f32_e32 v171, v6, v1
	v_fma_f32 v172, v5, v1, -v2
	v_mul_f32_e32 v1, v8, v4
	s_delay_alu instid0(VALU_DEP_4) | instskip(NEXT) | instid1(VALU_DEP_2)
	v_fmac_f32_e32 v173, v8, v3
	v_fma_f32 v174, v7, v3, -v1
	ds_load_2addr_b64 v[1:4], v21 offset0:101 offset1:102
	ds_load_2addr_b64 v[5:8], v21 offset0:103 offset1:104
	s_wait_loadcnt_dscnt 0x1
	v_mul_f32_e32 v175, v1, v10
	v_mul_f32_e32 v177, v3, v12
	s_delay_alu instid0(VALU_DEP_2) | instskip(NEXT) | instid1(VALU_DEP_2)
	v_fmac_f32_e32 v175, v2, v9
	v_dual_mul_f32 v2, v2, v10 :: v_dual_fmac_f32 v177, v4, v11
	s_delay_alu instid0(VALU_DEP_1) | instskip(SKIP_1) | instid1(VALU_DEP_1)
	v_fma_f32 v176, v1, v9, -v2
	v_mul_f32_e32 v1, v4, v12
	v_fma_f32 v178, v3, v11, -v1
	s_clause 0x1
	scratch_load_b128 v[1:4], off, off offset:312
	scratch_load_b128 v[9:12], off, off offset:328
	s_wait_loadcnt_dscnt 0x100
	v_mul_f32_e32 v179, v5, v2
	v_dual_mul_f32 v2, v6, v2 :: v_dual_mul_f32 v181, v7, v4
	s_delay_alu instid0(VALU_DEP_2) | instskip(NEXT) | instid1(VALU_DEP_2)
	v_fmac_f32_e32 v179, v6, v1
	v_fma_f32 v180, v5, v1, -v2
	v_mul_f32_e32 v1, v8, v4
	s_delay_alu instid0(VALU_DEP_4) | instskip(NEXT) | instid1(VALU_DEP_2)
	v_fmac_f32_e32 v181, v8, v3
	v_fma_f32 v182, v7, v3, -v1
	ds_load_2addr_b64 v[1:4], v21 offset0:105 offset1:106
	ds_load_2addr_b64 v[5:8], v21 offset0:107 offset1:108
	s_wait_loadcnt_dscnt 0x1
	v_mul_f32_e32 v183, v1, v10
	v_mul_f32_e32 v185, v3, v12
	s_delay_alu instid0(VALU_DEP_2) | instskip(NEXT) | instid1(VALU_DEP_2)
	v_fmac_f32_e32 v183, v2, v9
	v_dual_mul_f32 v2, v2, v10 :: v_dual_fmac_f32 v185, v4, v11
	s_delay_alu instid0(VALU_DEP_1) | instskip(SKIP_1) | instid1(VALU_DEP_1)
	v_fma_f32 v184, v1, v9, -v2
	v_mul_f32_e32 v1, v4, v12
	;; [unrolled: 25-line block ×4, first 2 shown]
	v_fma_f32 v202, v3, v11, -v1
	s_clause 0x1
	scratch_load_b128 v[1:4], off, off offset:408
	scratch_load_b128 v[9:12], off, off offset:424
	s_wait_loadcnt_dscnt 0x100
	v_mul_f32_e32 v203, v5, v2
	v_mul_f32_e32 v2, v6, v2
	s_delay_alu instid0(VALU_DEP_1) | instskip(SKIP_1) | instid1(VALU_DEP_1)
	v_fma_f32 v204, v5, v1, -v2
	v_add_f32_e32 v2, 0, v38
	v_add_f32_e32 v2, v2, v39
	s_delay_alu instid0(VALU_DEP_1) | instskip(NEXT) | instid1(VALU_DEP_1)
	v_add_f32_e32 v2, v2, v24
	v_add_f32_e32 v2, v2, v25
	s_delay_alu instid0(VALU_DEP_1) | instskip(NEXT) | instid1(VALU_DEP_1)
	;; [unrolled: 3-line block ×5, first 2 shown]
	v_add_f32_e32 v2, v2, v19
	v_add_f32_e32 v2, v2, v20
	s_delay_alu instid0(VALU_DEP_1) | instskip(SKIP_1) | instid1(VALU_DEP_2)
	v_dual_add_f32 v2, v2, v41 :: v_dual_mul_f32 v205, v7, v4
	v_fmac_f32_e32 v203, v6, v1
	v_dual_add_f32 v2, v2, v42 :: v_dual_mul_f32 v1, v8, v4
	s_delay_alu instid0(VALU_DEP_1) | instskip(NEXT) | instid1(VALU_DEP_4)
	v_add_f32_e32 v2, v2, v171
	v_fmac_f32_e32 v205, v8, v3
	s_delay_alu instid0(VALU_DEP_3) | instskip(NEXT) | instid1(VALU_DEP_3)
	v_fma_f32 v206, v7, v3, -v1
	v_dual_add_f32 v2, v2, v173 :: v_dual_add_f32 v1, 0, v22
	s_delay_alu instid0(VALU_DEP_1) | instskip(NEXT) | instid1(VALU_DEP_2)
	v_add_f32_e32 v2, v2, v175
	v_add_f32_e32 v1, v1, v23
	s_delay_alu instid0(VALU_DEP_2) | instskip(NEXT) | instid1(VALU_DEP_2)
	v_add_f32_e32 v5, v2, v177
	v_add_f32_e32 v1, v1, v26
	s_delay_alu instid0(VALU_DEP_1) | instskip(NEXT) | instid1(VALU_DEP_1)
	v_add_f32_e32 v1, v1, v27
	v_add_f32_e32 v1, v1, v28
	s_delay_alu instid0(VALU_DEP_1) | instskip(NEXT) | instid1(VALU_DEP_1)
	v_add_f32_e32 v1, v1, v29
	v_add_f32_e32 v1, v1, v13
	;; [unrolled: 1-line block ×3, first 2 shown]
	s_delay_alu instid0(VALU_DEP_1) | instskip(NEXT) | instid1(VALU_DEP_1)
	v_add_f32_e32 v13, v13, v181
	v_add_f32_e32 v13, v13, v183
	s_delay_alu instid0(VALU_DEP_1) | instskip(NEXT) | instid1(VALU_DEP_1)
	v_add_f32_e32 v18, v13, v185
	v_dual_add_f32 v18, v18, v187 :: v_dual_add_f32 v1, v1, v14
	s_delay_alu instid0(VALU_DEP_1) | instskip(NEXT) | instid1(VALU_DEP_1)
	v_dual_add_f32 v18, v18, v189 :: v_dual_add_f32 v1, v1, v16
	v_add_f32_e32 v1, v1, v17
	s_delay_alu instid0(VALU_DEP_1) | instskip(NEXT) | instid1(VALU_DEP_1)
	v_add_f32_e32 v1, v1, v32
	v_add_f32_e32 v1, v1, v33
	s_delay_alu instid0(VALU_DEP_1) | instskip(NEXT) | instid1(VALU_DEP_1)
	v_add_f32_e32 v1, v1, v43
	;; [unrolled: 3-line block ×4, first 2 shown]
	v_add_f32_e32 v1, v1, v178
	s_delay_alu instid0(VALU_DEP_1)
	v_add_f32_e32 v6, v1, v180
	ds_load_2addr_b64 v[1:4], v21 offset0:117 offset1:118
	v_add_f32_e32 v22, v18, v191
	v_add_f32_e32 v14, v6, v182
	scratch_load_b128 v[5:8], off, off offset:440
	v_add_f32_e32 v22, v22, v193
	v_add_f32_e32 v14, v14, v184
	s_delay_alu instid0(VALU_DEP_1)
	v_add_f32_e32 v17, v14, v186
	ds_load_2addr_b64 v[13:16], v21 offset0:119 offset1:120
	s_wait_loadcnt_dscnt 0x101
	v_mul_f32_e32 v25, v1, v10
	v_mul_f32_e32 v10, v2, v10
	;; [unrolled: 1-line block ×4, first 2 shown]
	v_add_f32_e32 v22, v22, v195
	v_fmac_f32_e32 v25, v2, v9
	v_fma_f32 v27, v1, v9, -v10
	v_fmac_f32_e32 v26, v4, v11
	v_fma_f32 v28, v3, v11, -v12
	scratch_load_b128 v[9:12], off, off offset:472
	v_add_f32_e32 v17, v17, v188
	scratch_load_b128 v[1:4], off, off offset:456
	v_add_f32_e32 v17, v17, v190
	s_delay_alu instid0(VALU_DEP_1) | instskip(NEXT) | instid1(VALU_DEP_1)
	v_add_f32_e32 v17, v17, v192
	v_add_f32_e32 v23, v17, v194
	scratch_load_b128 v[17:20], off, off offset:488
	v_add_f32_e32 v23, v23, v196
	s_delay_alu instid0(VALU_DEP_1) | instskip(SKIP_4) | instid1(VALU_DEP_3)
	v_add_f32_e32 v23, v23, v198
	s_wait_loadcnt_dscnt 0x300
	v_mul_f32_e32 v29, v13, v6
	v_mul_f32_e32 v6, v14, v6
	;; [unrolled: 1-line block ×3, first 2 shown]
	v_dual_mul_f32 v8, v16, v8 :: v_dual_fmac_f32 v29, v14, v5
	s_delay_alu instid0(VALU_DEP_3) | instskip(NEXT) | instid1(VALU_DEP_3)
	v_fma_f32 v31, v13, v5, -v6
	v_dual_add_f32 v13, v22, v197 :: v_dual_fmac_f32 v30, v16, v7
	s_delay_alu instid0(VALU_DEP_3)
	v_fma_f32 v32, v15, v7, -v8
	ds_load_2addr_b64 v[5:8], v21 offset0:121 offset1:122
	v_dual_add_f32 v22, v23, v200 :: v_dual_add_f32 v23, v13, v199
	ds_load_2addr_b64 v[13:16], v21 offset0:123 offset1:124
	v_dual_add_f32 v33, v22, v202 :: v_dual_add_f32 v34, v23, v201
	;; [unrolled: 2-line block ×3, first 2 shown]
	s_delay_alu instid0(VALU_DEP_1) | instskip(SKIP_2) | instid1(VALU_DEP_2)
	v_dual_add_f32 v33, v33, v206 :: v_dual_add_f32 v34, v34, v205
	s_wait_loadcnt_dscnt 0x102
	v_mul_f32_e32 v38, v5, v2
	v_add_f32_e32 v27, v33, v27
	s_delay_alu instid0(VALU_DEP_3) | instskip(SKIP_2) | instid1(VALU_DEP_4)
	v_add_f32_e32 v25, v34, v25
	v_dual_mul_f32 v2, v6, v2 :: v_dual_mul_f32 v33, v7, v4
	v_mul_f32_e32 v4, v8, v4
	v_add_f32_e32 v27, v27, v28
	s_delay_alu instid0(VALU_DEP_4) | instskip(NEXT) | instid1(VALU_DEP_4)
	v_add_f32_e32 v25, v25, v26
	v_fma_f32 v2, v5, v1, -v2
	v_fmac_f32_e32 v38, v6, v1
	s_wait_dscnt 0x1
	v_mul_f32_e32 v34, v13, v10
	s_wait_loadcnt_dscnt 0x0
	v_dual_mul_f32 v26, v21, v18 :: v_dual_add_f32 v27, v27, v31
	v_dual_add_f32 v25, v25, v29 :: v_dual_mul_f32 v6, v14, v10
	v_fmac_f32_e32 v33, v8, v3
	v_fma_f32 v3, v7, v3, -v4
	s_delay_alu instid0(VALU_DEP_4) | instskip(NEXT) | instid1(VALU_DEP_4)
	v_add_f32_e32 v1, v27, v32
	v_add_f32_e32 v5, v25, v30
	v_mul_f32_e32 v39, v15, v12
	v_mul_f32_e32 v4, v16, v12
	s_delay_alu instid0(VALU_DEP_4) | instskip(NEXT) | instid1(VALU_DEP_4)
	v_dual_fmac_f32 v34, v14, v9 :: v_dual_add_f32 v1, v1, v2
	v_add_f32_e32 v2, v5, v38
	v_fma_f32 v5, v13, v9, -v6
	v_fmac_f32_e32 v39, v16, v11
	v_fma_f32 v4, v15, v11, -v4
	s_delay_alu instid0(VALU_DEP_4) | instskip(SKIP_2) | instid1(VALU_DEP_3)
	v_dual_add_f32 v1, v1, v3 :: v_dual_add_f32 v2, v2, v33
	v_dual_mul_f32 v3, v22, v18 :: v_dual_mul_f32 v28, v23, v20
	v_fmac_f32_e32 v26, v22, v17
	v_dual_add_f32 v1, v1, v5 :: v_dual_add_f32 v2, v2, v34
	v_mul_f32_e32 v5, v24, v20
	s_delay_alu instid0(VALU_DEP_4) | instskip(NEXT) | instid1(VALU_DEP_3)
	v_fma_f32 v3, v21, v17, -v3
	v_dual_fmac_f32 v28, v24, v19 :: v_dual_add_f32 v1, v1, v4
	s_delay_alu instid0(VALU_DEP_4) | instskip(NEXT) | instid1(VALU_DEP_4)
	v_add_f32_e32 v2, v2, v39
	v_fma_f32 v4, v23, v19, -v5
	s_delay_alu instid0(VALU_DEP_2) | instskip(NEXT) | instid1(VALU_DEP_1)
	v_dual_add_f32 v1, v1, v3 :: v_dual_add_f32 v2, v2, v26
	v_add_f32_e32 v1, v1, v4
	s_delay_alu instid0(VALU_DEP_1) | instskip(NEXT) | instid1(VALU_DEP_1)
	v_dual_add_f32 v2, v2, v28 :: v_dual_sub_f32 v1, v36, v1
	v_sub_f32_e32 v2, v37, v2
	scratch_store_b64 off, v[1:2], off offset:160
	v_cmpx_lt_u32_e32 19, v0
	s_cbranch_execz .LBB62_353
; %bb.352:
	scratch_load_b64 v[1:2], off, off offset:152
	v_mov_b32_e32 v3, 0
	s_delay_alu instid0(VALU_DEP_1)
	v_mov_b32_e32 v4, v3
	scratch_store_b64 off, v[3:4], off offset:152
	s_wait_loadcnt 0x0
	ds_store_b64 v35, v[1:2]
.LBB62_353:
	s_wait_alu 0xfffe
	s_or_b32 exec_lo, exec_lo, s0
	s_wait_storecnt_dscnt 0x0
	s_barrier_signal -1
	s_barrier_wait -1
	global_inv scope:SCOPE_SE
	s_clause 0x4
	scratch_load_b128 v[5:8], off, off offset:160
	scratch_load_b128 v[1:4], off, off offset:176
	;; [unrolled: 1-line block ×5, first 2 shown]
	v_mov_b32_e32 v21, 0
	ds_load_b128 v[22:25], v21 offset:672
	ds_load_b128 v[26:29], v21 offset:688
	ds_load_b128 v[30:33], v21 offset:704
	scratch_load_b64 v[36:37], off, off offset:152
	s_mov_b32 s0, exec_lo
	s_wait_loadcnt_dscnt 0x502
	v_mul_f32_e32 v34, v23, v6
	v_dual_mul_f32 v38, v22, v6 :: v_dual_mul_f32 v39, v24, v8
	v_mul_f32_e32 v6, v25, v8
	s_wait_loadcnt_dscnt 0x300
	v_mul_f32_e32 v40, v32, v12
	v_fma_f32 v22, v22, v5, -v34
	v_dual_fmac_f32 v38, v23, v5 :: v_dual_fmac_f32 v39, v25, v7
	v_fma_f32 v23, v24, v7, -v6
	v_dual_mul_f32 v24, v26, v2 :: v_dual_mul_f32 v25, v28, v4
	v_mul_f32_e32 v2, v27, v2
	v_mul_f32_e32 v4, v29, v4
	ds_load_b128 v[5:8], v21 offset:720
	v_mul_f32_e32 v34, v30, v10
	v_dual_fmac_f32 v24, v27, v1 :: v_dual_fmac_f32 v25, v29, v3
	v_fma_f32 v26, v26, v1, -v2
	v_fma_f32 v27, v28, v3, -v4
	v_mul_f32_e32 v12, v33, v12
	scratch_load_b128 v[1:4], off, off offset:240
	v_mul_f32_e32 v10, v31, v10
	v_fmac_f32_e32 v34, v31, v9
	v_fmac_f32_e32 v40, v33, v11
	v_fma_f32 v29, v32, v11, -v12
	s_delay_alu instid0(VALU_DEP_4)
	v_fma_f32 v28, v30, v9, -v10
	ds_load_b128 v[9:12], v21 offset:736
	s_wait_loadcnt_dscnt 0x301
	v_mul_f32_e32 v30, v5, v14
	v_dual_mul_f32 v14, v6, v14 :: v_dual_mul_f32 v31, v7, v16
	v_mul_f32_e32 v16, v8, v16
	s_delay_alu instid0(VALU_DEP_3) | instskip(NEXT) | instid1(VALU_DEP_3)
	v_fmac_f32_e32 v30, v6, v13
	v_fma_f32 v13, v5, v13, -v14
	s_delay_alu instid0(VALU_DEP_4) | instskip(NEXT) | instid1(VALU_DEP_4)
	v_fmac_f32_e32 v31, v8, v15
	v_fma_f32 v14, v7, v15, -v16
	ds_load_b128 v[5:8], v21 offset:752
	s_wait_loadcnt_dscnt 0x201
	v_mul_f32_e32 v15, v9, v18
	v_mul_f32_e32 v16, v10, v18
	;; [unrolled: 1-line block ×3, first 2 shown]
	s_delay_alu instid0(VALU_DEP_3) | instskip(NEXT) | instid1(VALU_DEP_3)
	v_dual_mul_f32 v20, v12, v20 :: v_dual_fmac_f32 v15, v10, v17
	v_fma_f32 v16, v9, v17, -v16
	s_delay_alu instid0(VALU_DEP_3) | instskip(NEXT) | instid1(VALU_DEP_3)
	v_fmac_f32_e32 v18, v12, v19
	v_fma_f32 v17, v11, v19, -v20
	scratch_load_b128 v[9:12], off, off offset:256
	s_wait_loadcnt_dscnt 0x100
	v_mul_f32_e32 v19, v5, v2
	v_mul_f32_e32 v2, v6, v2
	;; [unrolled: 1-line block ×3, first 2 shown]
	s_delay_alu instid0(VALU_DEP_3) | instskip(NEXT) | instid1(VALU_DEP_3)
	v_dual_mul_f32 v4, v8, v4 :: v_dual_fmac_f32 v19, v6, v1
	v_fma_f32 v32, v5, v1, -v2
	s_delay_alu instid0(VALU_DEP_3) | instskip(NEXT) | instid1(VALU_DEP_3)
	v_fmac_f32_e32 v20, v8, v3
	v_fma_f32 v33, v7, v3, -v4
	ds_load_b128 v[1:4], v21 offset:768
	ds_load_b128 v[5:8], v21 offset:784
	s_wait_loadcnt_dscnt 0x1
	v_mul_f32_e32 v41, v1, v10
	v_mul_f32_e32 v10, v2, v10
	s_delay_alu instid0(VALU_DEP_2) | instskip(NEXT) | instid1(VALU_DEP_2)
	v_dual_mul_f32 v42, v3, v12 :: v_dual_fmac_f32 v41, v2, v9
	v_fma_f32 v43, v1, v9, -v10
	v_mul_f32_e32 v1, v4, v12
	s_delay_alu instid0(VALU_DEP_3) | instskip(NEXT) | instid1(VALU_DEP_2)
	v_fmac_f32_e32 v42, v4, v11
	v_fma_f32 v44, v3, v11, -v1
	s_clause 0x1
	scratch_load_b128 v[1:4], off, off offset:272
	scratch_load_b128 v[9:12], off, off offset:288
	s_wait_loadcnt_dscnt 0x100
	v_mul_f32_e32 v171, v5, v2
	v_dual_mul_f32 v2, v6, v2 :: v_dual_mul_f32 v173, v7, v4
	s_delay_alu instid0(VALU_DEP_2) | instskip(NEXT) | instid1(VALU_DEP_2)
	v_fmac_f32_e32 v171, v6, v1
	v_fma_f32 v172, v5, v1, -v2
	v_mul_f32_e32 v1, v8, v4
	s_delay_alu instid0(VALU_DEP_4) | instskip(NEXT) | instid1(VALU_DEP_2)
	v_fmac_f32_e32 v173, v8, v3
	v_fma_f32 v174, v7, v3, -v1
	ds_load_b128 v[1:4], v21 offset:800
	ds_load_b128 v[5:8], v21 offset:816
	s_wait_loadcnt_dscnt 0x1
	v_mul_f32_e32 v175, v1, v10
	v_mul_f32_e32 v177, v3, v12
	s_delay_alu instid0(VALU_DEP_2) | instskip(NEXT) | instid1(VALU_DEP_2)
	v_fmac_f32_e32 v175, v2, v9
	v_dual_mul_f32 v2, v2, v10 :: v_dual_fmac_f32 v177, v4, v11
	s_delay_alu instid0(VALU_DEP_1) | instskip(SKIP_1) | instid1(VALU_DEP_1)
	v_fma_f32 v176, v1, v9, -v2
	v_mul_f32_e32 v1, v4, v12
	v_fma_f32 v178, v3, v11, -v1
	s_clause 0x1
	scratch_load_b128 v[1:4], off, off offset:304
	scratch_load_b128 v[9:12], off, off offset:320
	s_wait_loadcnt_dscnt 0x100
	v_mul_f32_e32 v179, v5, v2
	v_dual_mul_f32 v2, v6, v2 :: v_dual_mul_f32 v181, v7, v4
	s_delay_alu instid0(VALU_DEP_2) | instskip(NEXT) | instid1(VALU_DEP_2)
	v_fmac_f32_e32 v179, v6, v1
	v_fma_f32 v180, v5, v1, -v2
	v_mul_f32_e32 v1, v8, v4
	s_delay_alu instid0(VALU_DEP_4) | instskip(NEXT) | instid1(VALU_DEP_2)
	v_fmac_f32_e32 v181, v8, v3
	v_fma_f32 v182, v7, v3, -v1
	ds_load_b128 v[1:4], v21 offset:832
	ds_load_b128 v[5:8], v21 offset:848
	s_wait_loadcnt_dscnt 0x1
	v_mul_f32_e32 v183, v1, v10
	v_mul_f32_e32 v185, v3, v12
	s_delay_alu instid0(VALU_DEP_2) | instskip(NEXT) | instid1(VALU_DEP_2)
	v_fmac_f32_e32 v183, v2, v9
	v_dual_mul_f32 v2, v2, v10 :: v_dual_fmac_f32 v185, v4, v11
	s_delay_alu instid0(VALU_DEP_1) | instskip(SKIP_1) | instid1(VALU_DEP_1)
	v_fma_f32 v184, v1, v9, -v2
	v_mul_f32_e32 v1, v4, v12
	;; [unrolled: 25-line block ×4, first 2 shown]
	v_fma_f32 v202, v3, v11, -v1
	s_clause 0x1
	scratch_load_b128 v[1:4], off, off offset:400
	scratch_load_b128 v[9:12], off, off offset:416
	s_wait_loadcnt_dscnt 0x100
	v_mul_f32_e32 v203, v5, v2
	v_mul_f32_e32 v2, v6, v2
	s_delay_alu instid0(VALU_DEP_1) | instskip(SKIP_1) | instid1(VALU_DEP_1)
	v_fma_f32 v204, v5, v1, -v2
	v_add_f32_e32 v2, 0, v38
	v_add_f32_e32 v2, v2, v39
	s_delay_alu instid0(VALU_DEP_1) | instskip(NEXT) | instid1(VALU_DEP_1)
	v_add_f32_e32 v2, v2, v24
	v_add_f32_e32 v2, v2, v25
	s_delay_alu instid0(VALU_DEP_1) | instskip(NEXT) | instid1(VALU_DEP_1)
	;; [unrolled: 3-line block ×5, first 2 shown]
	v_add_f32_e32 v2, v2, v19
	v_add_f32_e32 v2, v2, v20
	s_delay_alu instid0(VALU_DEP_1) | instskip(SKIP_1) | instid1(VALU_DEP_2)
	v_dual_add_f32 v2, v2, v41 :: v_dual_mul_f32 v205, v7, v4
	v_fmac_f32_e32 v203, v6, v1
	v_dual_add_f32 v2, v2, v42 :: v_dual_mul_f32 v1, v8, v4
	s_delay_alu instid0(VALU_DEP_1) | instskip(NEXT) | instid1(VALU_DEP_4)
	v_add_f32_e32 v2, v2, v171
	v_fmac_f32_e32 v205, v8, v3
	s_delay_alu instid0(VALU_DEP_3) | instskip(NEXT) | instid1(VALU_DEP_3)
	v_fma_f32 v206, v7, v3, -v1
	v_dual_add_f32 v2, v2, v173 :: v_dual_add_f32 v1, 0, v22
	s_delay_alu instid0(VALU_DEP_1) | instskip(NEXT) | instid1(VALU_DEP_2)
	v_add_f32_e32 v2, v2, v175
	v_add_f32_e32 v1, v1, v23
	s_delay_alu instid0(VALU_DEP_2) | instskip(NEXT) | instid1(VALU_DEP_2)
	v_add_f32_e32 v5, v2, v177
	v_add_f32_e32 v1, v1, v26
	s_delay_alu instid0(VALU_DEP_1) | instskip(SKIP_2) | instid1(VALU_DEP_1)
	v_add_f32_e32 v1, v1, v27
	scratch_load_b64 v[26:27], off, off offset:496
	v_add_f32_e32 v1, v1, v28
	v_add_f32_e32 v1, v1, v29
	s_delay_alu instid0(VALU_DEP_1) | instskip(NEXT) | instid1(VALU_DEP_1)
	v_add_f32_e32 v1, v1, v13
	v_add_f32_e32 v1, v1, v14
	s_delay_alu instid0(VALU_DEP_1) | instskip(NEXT) | instid1(VALU_DEP_1)
	;; [unrolled: 3-line block ×6, first 2 shown]
	v_add_f32_e32 v1, v1, v176
	v_add_f32_e32 v1, v1, v178
	s_delay_alu instid0(VALU_DEP_1) | instskip(SKIP_4) | instid1(VALU_DEP_1)
	v_add_f32_e32 v6, v1, v180
	scratch_load_b128 v[1:4], off, off offset:432
	v_dual_add_f32 v13, v5, v179 :: v_dual_add_f32 v14, v6, v182
	ds_load_b128 v[5:8], v21 offset:928
	v_dual_add_f32 v13, v13, v181 :: v_dual_add_f32 v14, v14, v184
	v_add_f32_e32 v13, v13, v183
	s_delay_alu instid0(VALU_DEP_1) | instskip(SKIP_4) | instid1(VALU_DEP_2)
	v_dual_add_f32 v17, v14, v186 :: v_dual_add_f32 v18, v13, v185
	ds_load_b128 v[13:16], v21 offset:944
	v_add_f32_e32 v18, v18, v187
	s_wait_loadcnt_dscnt 0x201
	v_mul_f32_e32 v30, v5, v10
	v_add_f32_e32 v18, v18, v189
	v_dual_mul_f32 v10, v6, v10 :: v_dual_mul_f32 v31, v7, v12
	v_mul_f32_e32 v12, v8, v12
	s_delay_alu instid0(VALU_DEP_4) | instskip(NEXT) | instid1(VALU_DEP_4)
	v_fmac_f32_e32 v30, v6, v9
	v_add_f32_e32 v22, v18, v191
	s_delay_alu instid0(VALU_DEP_4)
	v_fma_f32 v32, v5, v9, -v10
	v_fmac_f32_e32 v31, v8, v11
	v_fma_f32 v33, v7, v11, -v12
	scratch_load_b128 v[5:8], off, off offset:448
	v_add_f32_e32 v22, v22, v193
	scratch_load_b128 v[9:12], off, off offset:464
	v_add_f32_e32 v22, v22, v195
	s_delay_alu instid0(VALU_DEP_1)
	v_add_f32_e32 v22, v22, v197
	s_wait_loadcnt_dscnt 0x200
	v_mul_f32_e32 v34, v13, v2
	v_mul_f32_e32 v2, v14, v2
	v_mul_f32_e32 v38, v15, v4
	v_mul_f32_e32 v4, v16, v4
	s_delay_alu instid0(VALU_DEP_4) | instskip(NEXT) | instid1(VALU_DEP_4)
	v_fmac_f32_e32 v34, v14, v1
	v_fma_f32 v39, v13, v1, -v2
	v_add_f32_e32 v13, v22, v199
	v_fmac_f32_e32 v38, v16, v3
	v_fma_f32 v40, v15, v3, -v4
	ds_load_b128 v[1:4], v21 offset:960
	v_add_f32_e32 v22, v13, v201
	s_delay_alu instid0(VALU_DEP_1) | instskip(NEXT) | instid1(VALU_DEP_1)
	v_add_f32_e32 v29, v22, v203
	v_add_f32_e32 v42, v29, v205
	s_delay_alu instid0(VALU_DEP_1) | instskip(NEXT) | instid1(VALU_DEP_1)
	v_dual_add_f32 v30, v42, v30 :: v_dual_add_f32 v17, v17, v188
	v_dual_add_f32 v30, v30, v31 :: v_dual_add_f32 v17, v17, v190
	s_delay_alu instid0(VALU_DEP_1) | instskip(NEXT) | instid1(VALU_DEP_1)
	v_dual_add_f32 v30, v30, v34 :: v_dual_add_f32 v17, v17, v192
	v_add_f32_e32 v30, v30, v38
	s_delay_alu instid0(VALU_DEP_2) | instskip(SKIP_2) | instid1(VALU_DEP_1)
	v_add_f32_e32 v23, v17, v194
	scratch_load_b128 v[17:20], off, off offset:480
	v_add_f32_e32 v23, v23, v196
	v_add_f32_e32 v23, v23, v198
	s_delay_alu instid0(VALU_DEP_1) | instskip(NEXT) | instid1(VALU_DEP_1)
	v_add_f32_e32 v23, v23, v200
	v_add_f32_e32 v14, v23, v202
	ds_load_b128 v[22:25], v21 offset:992
	v_add_f32_e32 v28, v14, v204
	ds_load_b128 v[13:16], v21 offset:976
	s_wait_loadcnt_dscnt 0x202
	v_mul_f32_e32 v31, v3, v8
	v_mul_f32_e32 v8, v4, v8
	v_add_f32_e32 v41, v28, v206
	ds_load_b64 v[28:29], v21 offset:1008
	v_add_f32_e32 v32, v41, v32
	s_delay_alu instid0(VALU_DEP_1) | instskip(NEXT) | instid1(VALU_DEP_1)
	v_add_f32_e32 v32, v32, v33
	v_add_f32_e32 v32, v32, v39
	s_wait_loadcnt_dscnt 0x101
	v_dual_mul_f32 v34, v15, v12 :: v_dual_mul_f32 v33, v13, v10
	s_delay_alu instid0(VALU_DEP_2) | instskip(NEXT) | instid1(VALU_DEP_2)
	v_add_f32_e32 v32, v32, v40
	v_fmac_f32_e32 v34, v16, v11
	v_fmac_f32_e32 v31, v4, v7
	v_mul_f32_e32 v41, v1, v6
	v_mul_f32_e32 v6, v2, v6
	s_wait_dscnt 0x0
	v_dual_mul_f32 v38, v28, v27 :: v_dual_fmac_f32 v33, v14, v9
	s_delay_alu instid0(VALU_DEP_3) | instskip(NEXT) | instid1(VALU_DEP_3)
	v_fmac_f32_e32 v41, v2, v5
	v_fma_f32 v1, v1, v5, -v6
	v_fma_f32 v2, v3, v7, -v8
	s_delay_alu instid0(VALU_DEP_4) | instskip(SKIP_2) | instid1(VALU_DEP_2)
	v_fmac_f32_e32 v38, v29, v26
	v_mul_f32_e32 v3, v14, v10
	v_add_f32_e32 v4, v30, v41
	v_fma_f32 v3, v13, v9, -v3
	s_wait_loadcnt 0x0
	v_dual_mul_f32 v40, v24, v20 :: v_dual_mul_f32 v39, v22, v18
	s_delay_alu instid0(VALU_DEP_1) | instskip(SKIP_1) | instid1(VALU_DEP_1)
	v_dual_fmac_f32 v40, v25, v19 :: v_dual_fmac_f32 v39, v23, v17
	v_add_f32_e32 v1, v32, v1
	v_dual_add_f32 v1, v1, v2 :: v_dual_add_f32 v2, v4, v31
	v_mul_f32_e32 v4, v23, v18
	s_delay_alu instid0(VALU_DEP_2) | instskip(NEXT) | instid1(VALU_DEP_2)
	v_add_f32_e32 v2, v2, v33
	v_fma_f32 v4, v22, v17, -v4
	s_delay_alu instid0(VALU_DEP_2) | instskip(NEXT) | instid1(VALU_DEP_1)
	v_add_f32_e32 v2, v2, v34
	v_add_f32_e32 v2, v2, v39
	s_delay_alu instid0(VALU_DEP_1) | instskip(SKIP_2) | instid1(VALU_DEP_3)
	v_add_f32_e32 v2, v2, v40
	v_mul_f32_e32 v5, v16, v12
	v_add_f32_e32 v1, v1, v3
	v_dual_mul_f32 v3, v25, v20 :: v_dual_add_f32 v2, v2, v38
	s_delay_alu instid0(VALU_DEP_3) | instskip(NEXT) | instid1(VALU_DEP_2)
	v_fma_f32 v5, v15, v11, -v5
	v_fma_f32 v3, v24, v19, -v3
	s_delay_alu instid0(VALU_DEP_3) | instskip(NEXT) | instid1(VALU_DEP_3)
	v_sub_f32_e32 v2, v37, v2
	v_add_f32_e32 v1, v1, v5
	v_mul_f32_e32 v5, v29, v27
	s_delay_alu instid0(VALU_DEP_2) | instskip(NEXT) | instid1(VALU_DEP_2)
	v_add_f32_e32 v1, v1, v4
	v_fma_f32 v4, v28, v26, -v5
	s_delay_alu instid0(VALU_DEP_2) | instskip(NEXT) | instid1(VALU_DEP_1)
	v_add_f32_e32 v1, v1, v3
	v_add_f32_e32 v1, v1, v4
	s_delay_alu instid0(VALU_DEP_1)
	v_sub_f32_e32 v1, v36, v1
	scratch_store_b64 off, v[1:2], off offset:152
	v_cmpx_lt_u32_e32 18, v0
	s_cbranch_execz .LBB62_355
; %bb.354:
	scratch_load_b64 v[1:2], off, off offset:144
	v_mov_b32_e32 v22, v21
	scratch_store_b64 off, v[21:22], off offset:144
	s_wait_loadcnt 0x0
	ds_store_b64 v35, v[1:2]
.LBB62_355:
	s_wait_alu 0xfffe
	s_or_b32 exec_lo, exec_lo, s0
	s_wait_storecnt_dscnt 0x0
	s_barrier_signal -1
	s_barrier_wait -1
	global_inv scope:SCOPE_SE
	s_clause 0x4
	scratch_load_b128 v[5:8], off, off offset:152
	scratch_load_b128 v[1:4], off, off offset:168
	;; [unrolled: 1-line block ×5, first 2 shown]
	ds_load_2addr_b64 v[22:25], v21 offset0:83 offset1:84
	ds_load_2addr_b64 v[26:29], v21 offset0:85 offset1:86
	;; [unrolled: 1-line block ×3, first 2 shown]
	scratch_load_b64 v[36:37], off, off offset:144
	s_mov_b32 s0, exec_lo
	s_wait_loadcnt_dscnt 0x502
	v_dual_mul_f32 v34, v23, v6 :: v_dual_mul_f32 v39, v24, v8
	v_mul_f32_e32 v38, v22, v6
	v_mul_f32_e32 v6, v25, v8
	s_wait_loadcnt_dscnt 0x300
	v_mul_f32_e32 v40, v32, v12
	v_fma_f32 v22, v22, v5, -v34
	v_dual_fmac_f32 v39, v25, v7 :: v_dual_fmac_f32 v38, v23, v5
	v_mul_f32_e32 v25, v28, v4
	v_fma_f32 v23, v24, v7, -v6
	ds_load_2addr_b64 v[5:8], v21 offset0:89 offset1:90
	v_mul_f32_e32 v24, v26, v2
	v_mul_f32_e32 v4, v29, v4
	;; [unrolled: 1-line block ×5, first 2 shown]
	v_dual_mul_f32 v2, v27, v2 :: v_dual_fmac_f32 v25, v29, v3
	v_fmac_f32_e32 v24, v27, v1
	v_fma_f32 v27, v28, v3, -v4
	v_fmac_f32_e32 v34, v31, v9
	v_fma_f32 v28, v30, v9, -v10
	;; [unrolled: 2-line block ×3, first 2 shown]
	ds_load_2addr_b64 v[9:12], v21 offset0:91 offset1:92
	s_wait_loadcnt_dscnt 0x201
	v_mul_f32_e32 v30, v5, v14
	v_dual_mul_f32 v14, v6, v14 :: v_dual_mul_f32 v31, v7, v16
	v_mul_f32_e32 v16, v8, v16
	s_delay_alu instid0(VALU_DEP_3) | instskip(NEXT) | instid1(VALU_DEP_3)
	v_fmac_f32_e32 v30, v6, v13
	v_fma_f32 v13, v5, v13, -v14
	s_delay_alu instid0(VALU_DEP_4) | instskip(NEXT) | instid1(VALU_DEP_4)
	v_fmac_f32_e32 v31, v8, v15
	v_fma_f32 v14, v7, v15, -v16
	ds_load_2addr_b64 v[5:8], v21 offset0:93 offset1:94
	s_wait_loadcnt_dscnt 0x101
	v_mul_f32_e32 v15, v9, v18
	v_mul_f32_e32 v16, v10, v18
	;; [unrolled: 1-line block ×3, first 2 shown]
	s_delay_alu instid0(VALU_DEP_3)
	v_dual_mul_f32 v20, v12, v20 :: v_dual_fmac_f32 v15, v10, v17
	v_fma_f32 v26, v26, v1, -v2
	scratch_load_b128 v[1:4], off, off offset:232
	v_fma_f32 v16, v9, v17, -v16
	v_fmac_f32_e32 v18, v12, v19
	v_fma_f32 v17, v11, v19, -v20
	scratch_load_b128 v[9:12], off, off offset:248
	s_wait_loadcnt_dscnt 0x100
	v_mul_f32_e32 v19, v5, v2
	v_mul_f32_e32 v2, v6, v2
	;; [unrolled: 1-line block ×3, first 2 shown]
	s_delay_alu instid0(VALU_DEP_3) | instskip(NEXT) | instid1(VALU_DEP_3)
	v_dual_mul_f32 v4, v8, v4 :: v_dual_fmac_f32 v19, v6, v1
	v_fma_f32 v32, v5, v1, -v2
	s_delay_alu instid0(VALU_DEP_3) | instskip(NEXT) | instid1(VALU_DEP_3)
	v_fmac_f32_e32 v20, v8, v3
	v_fma_f32 v33, v7, v3, -v4
	ds_load_2addr_b64 v[1:4], v21 offset0:95 offset1:96
	ds_load_2addr_b64 v[5:8], v21 offset0:97 offset1:98
	s_wait_loadcnt_dscnt 0x1
	v_mul_f32_e32 v41, v1, v10
	v_mul_f32_e32 v10, v2, v10
	s_delay_alu instid0(VALU_DEP_2) | instskip(NEXT) | instid1(VALU_DEP_2)
	v_dual_mul_f32 v42, v3, v12 :: v_dual_fmac_f32 v41, v2, v9
	v_fma_f32 v43, v1, v9, -v10
	v_mul_f32_e32 v1, v4, v12
	s_delay_alu instid0(VALU_DEP_3) | instskip(NEXT) | instid1(VALU_DEP_2)
	v_fmac_f32_e32 v42, v4, v11
	v_fma_f32 v44, v3, v11, -v1
	s_clause 0x1
	scratch_load_b128 v[1:4], off, off offset:264
	scratch_load_b128 v[9:12], off, off offset:280
	s_wait_loadcnt_dscnt 0x100
	v_mul_f32_e32 v171, v5, v2
	v_dual_mul_f32 v2, v6, v2 :: v_dual_mul_f32 v173, v7, v4
	s_delay_alu instid0(VALU_DEP_2) | instskip(NEXT) | instid1(VALU_DEP_2)
	v_fmac_f32_e32 v171, v6, v1
	v_fma_f32 v172, v5, v1, -v2
	v_mul_f32_e32 v1, v8, v4
	s_delay_alu instid0(VALU_DEP_4) | instskip(NEXT) | instid1(VALU_DEP_2)
	v_fmac_f32_e32 v173, v8, v3
	v_fma_f32 v174, v7, v3, -v1
	ds_load_2addr_b64 v[1:4], v21 offset0:99 offset1:100
	ds_load_2addr_b64 v[5:8], v21 offset0:101 offset1:102
	s_wait_loadcnt_dscnt 0x1
	v_mul_f32_e32 v175, v1, v10
	v_mul_f32_e32 v177, v3, v12
	s_delay_alu instid0(VALU_DEP_2) | instskip(NEXT) | instid1(VALU_DEP_2)
	v_fmac_f32_e32 v175, v2, v9
	v_dual_mul_f32 v2, v2, v10 :: v_dual_fmac_f32 v177, v4, v11
	s_delay_alu instid0(VALU_DEP_1) | instskip(SKIP_1) | instid1(VALU_DEP_1)
	v_fma_f32 v176, v1, v9, -v2
	v_mul_f32_e32 v1, v4, v12
	v_fma_f32 v178, v3, v11, -v1
	s_clause 0x1
	scratch_load_b128 v[1:4], off, off offset:296
	scratch_load_b128 v[9:12], off, off offset:312
	s_wait_loadcnt_dscnt 0x100
	v_mul_f32_e32 v179, v5, v2
	v_dual_mul_f32 v2, v6, v2 :: v_dual_mul_f32 v181, v7, v4
	s_delay_alu instid0(VALU_DEP_2) | instskip(NEXT) | instid1(VALU_DEP_2)
	v_fmac_f32_e32 v179, v6, v1
	v_fma_f32 v180, v5, v1, -v2
	v_mul_f32_e32 v1, v8, v4
	s_delay_alu instid0(VALU_DEP_4) | instskip(NEXT) | instid1(VALU_DEP_2)
	v_fmac_f32_e32 v181, v8, v3
	v_fma_f32 v182, v7, v3, -v1
	ds_load_2addr_b64 v[1:4], v21 offset0:103 offset1:104
	ds_load_2addr_b64 v[5:8], v21 offset0:105 offset1:106
	s_wait_loadcnt_dscnt 0x1
	v_mul_f32_e32 v183, v1, v10
	v_mul_f32_e32 v185, v3, v12
	s_delay_alu instid0(VALU_DEP_2) | instskip(NEXT) | instid1(VALU_DEP_2)
	v_fmac_f32_e32 v183, v2, v9
	v_dual_mul_f32 v2, v2, v10 :: v_dual_fmac_f32 v185, v4, v11
	s_delay_alu instid0(VALU_DEP_1) | instskip(SKIP_1) | instid1(VALU_DEP_1)
	v_fma_f32 v184, v1, v9, -v2
	v_mul_f32_e32 v1, v4, v12
	;; [unrolled: 25-line block ×5, first 2 shown]
	v_fma_f32 v210, v3, v11, -v1
	s_clause 0x1
	scratch_load_b128 v[1:4], off, off offset:424
	scratch_load_b128 v[9:12], off, off offset:440
	s_wait_loadcnt_dscnt 0x100
	v_mul_f32_e32 v211, v5, v2
	v_mul_f32_e32 v2, v6, v2
	s_delay_alu instid0(VALU_DEP_1) | instskip(SKIP_1) | instid1(VALU_DEP_1)
	v_fma_f32 v212, v5, v1, -v2
	v_add_f32_e32 v2, 0, v38
	v_add_f32_e32 v2, v2, v39
	s_delay_alu instid0(VALU_DEP_1) | instskip(NEXT) | instid1(VALU_DEP_1)
	v_add_f32_e32 v2, v2, v24
	v_add_f32_e32 v2, v2, v25
	s_delay_alu instid0(VALU_DEP_1) | instskip(NEXT) | instid1(VALU_DEP_1)
	;; [unrolled: 3-line block ×8, first 2 shown]
	v_add_f32_e32 v2, v2, v175
	v_add_f32_e32 v2, v2, v177
	s_delay_alu instid0(VALU_DEP_1) | instskip(SKIP_1) | instid1(VALU_DEP_2)
	v_dual_add_f32 v2, v2, v179 :: v_dual_mul_f32 v213, v7, v4
	v_fmac_f32_e32 v211, v6, v1
	v_add_f32_e32 v2, v2, v181
	s_delay_alu instid0(VALU_DEP_1) | instskip(NEXT) | instid1(VALU_DEP_1)
	v_add_f32_e32 v5, v2, v183
	v_add_f32_e32 v5, v5, v185
	s_delay_alu instid0(VALU_DEP_1) | instskip(SKIP_1) | instid1(VALU_DEP_1)
	v_add_f32_e32 v5, v5, v187
	v_mul_f32_e32 v1, v8, v4
	v_fma_f32 v214, v7, v3, -v1
	v_add_f32_e32 v1, 0, v22
	s_delay_alu instid0(VALU_DEP_1) | instskip(NEXT) | instid1(VALU_DEP_1)
	v_add_f32_e32 v1, v1, v23
	v_add_f32_e32 v1, v1, v26
	s_delay_alu instid0(VALU_DEP_1) | instskip(NEXT) | instid1(VALU_DEP_1)
	v_add_f32_e32 v1, v1, v27
	;; [unrolled: 3-line block ×3, first 2 shown]
	v_add_f32_e32 v1, v1, v13
	s_delay_alu instid0(VALU_DEP_1) | instskip(SKIP_1) | instid1(VALU_DEP_2)
	v_add_f32_e32 v1, v1, v14
	v_add_f32_e32 v14, v5, v189
	;; [unrolled: 1-line block ×3, first 2 shown]
	s_delay_alu instid0(VALU_DEP_1) | instskip(NEXT) | instid1(VALU_DEP_1)
	v_add_f32_e32 v1, v1, v17
	v_add_f32_e32 v1, v1, v32
	s_delay_alu instid0(VALU_DEP_1) | instskip(NEXT) | instid1(VALU_DEP_1)
	v_add_f32_e32 v1, v1, v33
	v_add_f32_e32 v1, v1, v43
	;; [unrolled: 3-line block ×6, first 2 shown]
	s_delay_alu instid0(VALU_DEP_1) | instskip(SKIP_3) | instid1(VALU_DEP_2)
	v_dual_add_f32 v6, v1, v186 :: v_dual_fmac_f32 v213, v8, v3
	ds_load_2addr_b64 v[1:4], v21 offset0:119 offset1:120
	v_add_f32_e32 v14, v14, v191
	v_add_f32_e32 v6, v6, v188
	;; [unrolled: 1-line block ×3, first 2 shown]
	s_delay_alu instid0(VALU_DEP_2) | instskip(SKIP_2) | instid1(VALU_DEP_1)
	v_add_f32_e32 v13, v6, v190
	ds_load_2addr_b64 v[5:8], v21 offset0:121 offset1:122
	v_add_f32_e32 v13, v13, v192
	v_add_f32_e32 v13, v13, v194
	s_wait_loadcnt_dscnt 0x1
	v_dual_mul_f32 v25, v1, v10 :: v_dual_mul_f32 v26, v3, v12
	v_mul_f32_e32 v10, v2, v10
	v_mul_f32_e32 v12, v4, v12
	v_add_f32_e32 v13, v13, v196
	s_delay_alu instid0(VALU_DEP_4) | instskip(NEXT) | instid1(VALU_DEP_4)
	v_dual_fmac_f32 v25, v2, v9 :: v_dual_fmac_f32 v26, v4, v11
	v_fma_f32 v27, v1, v9, -v10
	s_delay_alu instid0(VALU_DEP_4)
	v_fma_f32 v28, v3, v11, -v12
	s_clause 0x1
	scratch_load_b128 v[1:4], off, off offset:456
	scratch_load_b128 v[9:12], off, off offset:472
	v_dual_add_f32 v17, v14, v195 :: v_dual_add_f32 v18, v13, v198
	scratch_load_b128 v[13:16], off, off offset:488
	v_dual_add_f32 v17, v17, v197 :: v_dual_add_f32 v18, v18, v200
	s_delay_alu instid0(VALU_DEP_1) | instskip(NEXT) | instid1(VALU_DEP_1)
	v_dual_add_f32 v17, v17, v199 :: v_dual_add_f32 v18, v18, v202
	v_dual_add_f32 v17, v17, v201 :: v_dual_add_f32 v22, v18, v204
	s_delay_alu instid0(VALU_DEP_1) | instskip(NEXT) | instid1(VALU_DEP_2)
	v_add_f32_e32 v23, v17, v203
	v_add_f32_e32 v29, v22, v206
	ds_load_2addr_b64 v[17:20], v21 offset0:123 offset1:124
	v_dual_add_f32 v30, v23, v205 :: v_dual_add_f32 v29, v29, v208
	ds_load_2addr_b64 v[21:24], v21 offset0:125 offset1:126
	v_dual_add_f32 v30, v30, v207 :: v_dual_add_f32 v29, v29, v210
	s_delay_alu instid0(VALU_DEP_1) | instskip(NEXT) | instid1(VALU_DEP_1)
	v_dual_add_f32 v30, v30, v209 :: v_dual_add_f32 v29, v29, v212
	v_add_f32_e32 v29, v29, v214
	s_wait_loadcnt_dscnt 0x202
	s_delay_alu instid0(VALU_DEP_1) | instskip(NEXT) | instid1(VALU_DEP_3)
	v_dual_add_f32 v27, v29, v27 :: v_dual_mul_f32 v32, v7, v4
	v_dual_add_f32 v30, v30, v211 :: v_dual_mul_f32 v31, v5, v2
	v_mul_f32_e32 v2, v6, v2
	s_wait_loadcnt_dscnt 0x101
	v_dual_mul_f32 v4, v8, v4 :: v_dual_mul_f32 v33, v17, v10
	s_delay_alu instid0(VALU_DEP_3) | instskip(SKIP_3) | instid1(VALU_DEP_4)
	v_add_f32_e32 v30, v30, v213
	v_fmac_f32_e32 v31, v6, v1
	v_fma_f32 v2, v5, v1, -v2
	v_dual_add_f32 v1, v27, v28 :: v_dual_mul_f32 v6, v18, v10
	v_dual_add_f32 v25, v30, v25 :: v_dual_fmac_f32 v32, v8, v3
	v_fma_f32 v3, v7, v3, -v4
	s_delay_alu instid0(VALU_DEP_3) | instskip(NEXT) | instid1(VALU_DEP_3)
	v_dual_add_f32 v1, v1, v2 :: v_dual_mul_f32 v34, v19, v12
	v_dual_add_f32 v5, v25, v26 :: v_dual_mul_f32 v4, v20, v12
	v_fmac_f32_e32 v33, v18, v9
	s_delay_alu instid0(VALU_DEP_3)
	v_add_f32_e32 v1, v1, v3
	s_wait_loadcnt_dscnt 0x0
	v_mul_f32_e32 v38, v21, v14
	v_add_f32_e32 v2, v5, v31
	v_fma_f32 v5, v17, v9, -v6
	v_dual_mul_f32 v3, v22, v14 :: v_dual_fmac_f32 v34, v20, v11
	v_fma_f32 v4, v19, v11, -v4
	s_delay_alu instid0(VALU_DEP_3) | instskip(SKIP_2) | instid1(VALU_DEP_3)
	v_dual_add_f32 v2, v2, v32 :: v_dual_add_f32 v1, v1, v5
	v_mul_f32_e32 v29, v23, v16
	v_dual_mul_f32 v5, v24, v16 :: v_dual_fmac_f32 v38, v22, v13
	v_add_f32_e32 v2, v2, v33
	v_fma_f32 v3, v21, v13, -v3
	v_add_f32_e32 v1, v1, v4
	v_fmac_f32_e32 v29, v24, v15
	v_fma_f32 v4, v23, v15, -v5
	s_delay_alu instid0(VALU_DEP_3) | instskip(NEXT) | instid1(VALU_DEP_1)
	v_dual_add_f32 v2, v2, v34 :: v_dual_add_f32 v1, v1, v3
	v_dual_add_f32 v2, v2, v38 :: v_dual_add_f32 v1, v1, v4
	s_delay_alu instid0(VALU_DEP_1) | instskip(NEXT) | instid1(VALU_DEP_1)
	v_add_f32_e32 v2, v2, v29
	v_dual_sub_f32 v1, v36, v1 :: v_dual_sub_f32 v2, v37, v2
	scratch_store_b64 off, v[1:2], off offset:144
	v_cmpx_lt_u32_e32 17, v0
	s_cbranch_execz .LBB62_357
; %bb.356:
	scratch_load_b64 v[1:2], off, off offset:136
	v_mov_b32_e32 v3, 0
	s_delay_alu instid0(VALU_DEP_1)
	v_mov_b32_e32 v4, v3
	scratch_store_b64 off, v[3:4], off offset:136
	s_wait_loadcnt 0x0
	ds_store_b64 v35, v[1:2]
.LBB62_357:
	s_wait_alu 0xfffe
	s_or_b32 exec_lo, exec_lo, s0
	s_wait_storecnt_dscnt 0x0
	s_barrier_signal -1
	s_barrier_wait -1
	global_inv scope:SCOPE_SE
	s_clause 0x4
	scratch_load_b128 v[5:8], off, off offset:144
	scratch_load_b128 v[1:4], off, off offset:160
	;; [unrolled: 1-line block ×5, first 2 shown]
	v_mov_b32_e32 v21, 0
	ds_load_b128 v[22:25], v21 offset:656
	ds_load_b128 v[26:29], v21 offset:672
	ds_load_b128 v[30:33], v21 offset:688
	scratch_load_b64 v[36:37], off, off offset:136
	s_mov_b32 s0, exec_lo
	s_wait_loadcnt_dscnt 0x502
	v_mul_f32_e32 v34, v23, v6
	v_dual_mul_f32 v38, v22, v6 :: v_dual_mul_f32 v39, v24, v8
	v_mul_f32_e32 v6, v25, v8
	s_wait_loadcnt_dscnt 0x300
	v_mul_f32_e32 v40, v32, v12
	v_fma_f32 v22, v22, v5, -v34
	v_dual_fmac_f32 v38, v23, v5 :: v_dual_fmac_f32 v39, v25, v7
	v_fma_f32 v23, v24, v7, -v6
	v_dual_mul_f32 v24, v26, v2 :: v_dual_mul_f32 v25, v28, v4
	v_mul_f32_e32 v2, v27, v2
	v_mul_f32_e32 v4, v29, v4
	ds_load_b128 v[5:8], v21 offset:704
	v_mul_f32_e32 v34, v30, v10
	v_dual_fmac_f32 v24, v27, v1 :: v_dual_fmac_f32 v25, v29, v3
	v_fma_f32 v26, v26, v1, -v2
	v_fma_f32 v27, v28, v3, -v4
	v_mul_f32_e32 v12, v33, v12
	scratch_load_b128 v[1:4], off, off offset:224
	v_mul_f32_e32 v10, v31, v10
	v_fmac_f32_e32 v34, v31, v9
	v_fmac_f32_e32 v40, v33, v11
	v_fma_f32 v29, v32, v11, -v12
	s_delay_alu instid0(VALU_DEP_4)
	v_fma_f32 v28, v30, v9, -v10
	ds_load_b128 v[9:12], v21 offset:720
	s_wait_loadcnt_dscnt 0x301
	v_mul_f32_e32 v30, v5, v14
	v_dual_mul_f32 v14, v6, v14 :: v_dual_mul_f32 v31, v7, v16
	v_mul_f32_e32 v16, v8, v16
	s_delay_alu instid0(VALU_DEP_3) | instskip(NEXT) | instid1(VALU_DEP_3)
	v_fmac_f32_e32 v30, v6, v13
	v_fma_f32 v13, v5, v13, -v14
	s_delay_alu instid0(VALU_DEP_4) | instskip(NEXT) | instid1(VALU_DEP_4)
	v_fmac_f32_e32 v31, v8, v15
	v_fma_f32 v14, v7, v15, -v16
	ds_load_b128 v[5:8], v21 offset:736
	s_wait_loadcnt_dscnt 0x201
	v_mul_f32_e32 v15, v9, v18
	v_mul_f32_e32 v16, v10, v18
	;; [unrolled: 1-line block ×3, first 2 shown]
	s_delay_alu instid0(VALU_DEP_3) | instskip(NEXT) | instid1(VALU_DEP_3)
	v_dual_mul_f32 v20, v12, v20 :: v_dual_fmac_f32 v15, v10, v17
	v_fma_f32 v16, v9, v17, -v16
	s_delay_alu instid0(VALU_DEP_3) | instskip(NEXT) | instid1(VALU_DEP_3)
	v_fmac_f32_e32 v18, v12, v19
	v_fma_f32 v17, v11, v19, -v20
	scratch_load_b128 v[9:12], off, off offset:240
	s_wait_loadcnt_dscnt 0x100
	v_mul_f32_e32 v19, v5, v2
	v_mul_f32_e32 v2, v6, v2
	;; [unrolled: 1-line block ×3, first 2 shown]
	s_delay_alu instid0(VALU_DEP_3) | instskip(NEXT) | instid1(VALU_DEP_3)
	v_dual_mul_f32 v4, v8, v4 :: v_dual_fmac_f32 v19, v6, v1
	v_fma_f32 v32, v5, v1, -v2
	s_delay_alu instid0(VALU_DEP_3) | instskip(NEXT) | instid1(VALU_DEP_3)
	v_fmac_f32_e32 v20, v8, v3
	v_fma_f32 v33, v7, v3, -v4
	ds_load_b128 v[1:4], v21 offset:752
	ds_load_b128 v[5:8], v21 offset:768
	s_wait_loadcnt_dscnt 0x1
	v_mul_f32_e32 v41, v1, v10
	v_mul_f32_e32 v10, v2, v10
	s_delay_alu instid0(VALU_DEP_2) | instskip(NEXT) | instid1(VALU_DEP_2)
	v_dual_mul_f32 v42, v3, v12 :: v_dual_fmac_f32 v41, v2, v9
	v_fma_f32 v43, v1, v9, -v10
	v_mul_f32_e32 v1, v4, v12
	s_delay_alu instid0(VALU_DEP_3) | instskip(NEXT) | instid1(VALU_DEP_2)
	v_fmac_f32_e32 v42, v4, v11
	v_fma_f32 v44, v3, v11, -v1
	s_clause 0x1
	scratch_load_b128 v[1:4], off, off offset:256
	scratch_load_b128 v[9:12], off, off offset:272
	s_wait_loadcnt_dscnt 0x100
	v_mul_f32_e32 v171, v5, v2
	v_dual_mul_f32 v2, v6, v2 :: v_dual_mul_f32 v173, v7, v4
	s_delay_alu instid0(VALU_DEP_2) | instskip(NEXT) | instid1(VALU_DEP_2)
	v_fmac_f32_e32 v171, v6, v1
	v_fma_f32 v172, v5, v1, -v2
	v_mul_f32_e32 v1, v8, v4
	s_delay_alu instid0(VALU_DEP_4) | instskip(NEXT) | instid1(VALU_DEP_2)
	v_fmac_f32_e32 v173, v8, v3
	v_fma_f32 v174, v7, v3, -v1
	ds_load_b128 v[1:4], v21 offset:784
	ds_load_b128 v[5:8], v21 offset:800
	s_wait_loadcnt_dscnt 0x1
	v_mul_f32_e32 v175, v1, v10
	v_mul_f32_e32 v177, v3, v12
	s_delay_alu instid0(VALU_DEP_2) | instskip(NEXT) | instid1(VALU_DEP_2)
	v_fmac_f32_e32 v175, v2, v9
	v_dual_mul_f32 v2, v2, v10 :: v_dual_fmac_f32 v177, v4, v11
	s_delay_alu instid0(VALU_DEP_1) | instskip(SKIP_1) | instid1(VALU_DEP_1)
	v_fma_f32 v176, v1, v9, -v2
	v_mul_f32_e32 v1, v4, v12
	v_fma_f32 v178, v3, v11, -v1
	s_clause 0x1
	scratch_load_b128 v[1:4], off, off offset:288
	scratch_load_b128 v[9:12], off, off offset:304
	s_wait_loadcnt_dscnt 0x100
	v_mul_f32_e32 v179, v5, v2
	v_dual_mul_f32 v2, v6, v2 :: v_dual_mul_f32 v181, v7, v4
	s_delay_alu instid0(VALU_DEP_2) | instskip(NEXT) | instid1(VALU_DEP_2)
	v_fmac_f32_e32 v179, v6, v1
	v_fma_f32 v180, v5, v1, -v2
	v_mul_f32_e32 v1, v8, v4
	s_delay_alu instid0(VALU_DEP_4) | instskip(NEXT) | instid1(VALU_DEP_2)
	v_fmac_f32_e32 v181, v8, v3
	v_fma_f32 v182, v7, v3, -v1
	ds_load_b128 v[1:4], v21 offset:816
	ds_load_b128 v[5:8], v21 offset:832
	s_wait_loadcnt_dscnt 0x1
	v_mul_f32_e32 v183, v1, v10
	v_mul_f32_e32 v185, v3, v12
	s_delay_alu instid0(VALU_DEP_2) | instskip(NEXT) | instid1(VALU_DEP_2)
	v_fmac_f32_e32 v183, v2, v9
	v_dual_mul_f32 v2, v2, v10 :: v_dual_fmac_f32 v185, v4, v11
	s_delay_alu instid0(VALU_DEP_1) | instskip(SKIP_1) | instid1(VALU_DEP_1)
	v_fma_f32 v184, v1, v9, -v2
	v_mul_f32_e32 v1, v4, v12
	;; [unrolled: 25-line block ×5, first 2 shown]
	v_fma_f32 v210, v3, v11, -v1
	s_clause 0x1
	scratch_load_b128 v[1:4], off, off offset:416
	scratch_load_b128 v[9:12], off, off offset:432
	s_wait_loadcnt_dscnt 0x100
	v_mul_f32_e32 v211, v5, v2
	v_mul_f32_e32 v2, v6, v2
	s_delay_alu instid0(VALU_DEP_1) | instskip(SKIP_1) | instid1(VALU_DEP_1)
	v_fma_f32 v212, v5, v1, -v2
	v_add_f32_e32 v2, 0, v38
	v_add_f32_e32 v2, v2, v39
	s_delay_alu instid0(VALU_DEP_1) | instskip(NEXT) | instid1(VALU_DEP_1)
	v_add_f32_e32 v2, v2, v24
	v_add_f32_e32 v2, v2, v25
	s_delay_alu instid0(VALU_DEP_1) | instskip(NEXT) | instid1(VALU_DEP_1)
	;; [unrolled: 3-line block ×8, first 2 shown]
	v_add_f32_e32 v2, v2, v175
	v_add_f32_e32 v2, v2, v177
	s_delay_alu instid0(VALU_DEP_1) | instskip(SKIP_2) | instid1(VALU_DEP_3)
	v_add_f32_e32 v2, v2, v179
	v_fmac_f32_e32 v211, v6, v1
	v_mul_f32_e32 v1, v8, v4
	v_dual_mul_f32 v213, v7, v4 :: v_dual_add_f32 v2, v2, v181
	s_delay_alu instid0(VALU_DEP_2) | instskip(SKIP_1) | instid1(VALU_DEP_3)
	v_fma_f32 v214, v7, v3, -v1
	v_add_f32_e32 v1, 0, v22
	v_add_f32_e32 v5, v2, v183
	s_delay_alu instid0(VALU_DEP_2) | instskip(NEXT) | instid1(VALU_DEP_2)
	v_add_f32_e32 v1, v1, v23
	v_add_f32_e32 v5, v5, v185
	s_delay_alu instid0(VALU_DEP_2) | instskip(NEXT) | instid1(VALU_DEP_1)
	v_add_f32_e32 v1, v1, v26
	v_add_f32_e32 v1, v1, v27
	scratch_load_b64 v[26:27], off, off offset:496
	v_add_f32_e32 v1, v1, v28
	s_delay_alu instid0(VALU_DEP_1) | instskip(NEXT) | instid1(VALU_DEP_1)
	v_add_f32_e32 v1, v1, v29
	v_add_f32_e32 v1, v1, v13
	s_delay_alu instid0(VALU_DEP_1) | instskip(NEXT) | instid1(VALU_DEP_1)
	v_add_f32_e32 v1, v1, v14
	;; [unrolled: 3-line block ×8, first 2 shown]
	v_add_f32_e32 v1, v1, v184
	s_delay_alu instid0(VALU_DEP_1) | instskip(SKIP_2) | instid1(VALU_DEP_1)
	v_dual_add_f32 v6, v1, v186 :: v_dual_fmac_f32 v213, v8, v3
	ds_load_b128 v[1:4], v21 offset:944
	v_dual_add_f32 v5, v5, v187 :: v_dual_add_f32 v6, v6, v188
	v_dual_add_f32 v14, v5, v189 :: v_dual_add_f32 v13, v6, v190
	ds_load_b128 v[5:8], v21 offset:960
	v_add_f32_e32 v13, v13, v192
	s_wait_loadcnt_dscnt 0x101
	v_mul_f32_e32 v30, v1, v10
	v_dual_mul_f32 v10, v2, v10 :: v_dual_mul_f32 v31, v3, v12
	v_mul_f32_e32 v12, v4, v12
	v_add_f32_e32 v14, v14, v191
	s_delay_alu instid0(VALU_DEP_4) | instskip(NEXT) | instid1(VALU_DEP_4)
	v_fmac_f32_e32 v30, v2, v9
	v_fma_f32 v32, v1, v9, -v10
	v_fmac_f32_e32 v31, v4, v11
	v_fma_f32 v33, v3, v11, -v12
	s_clause 0x1
	scratch_load_b128 v[1:4], off, off offset:448
	scratch_load_b128 v[9:12], off, off offset:464
	v_add_f32_e32 v14, v14, v193
	s_delay_alu instid0(VALU_DEP_1) | instskip(SKIP_1) | instid1(VALU_DEP_1)
	v_add_f32_e32 v17, v14, v195
	s_wait_loadcnt_dscnt 0x100
	v_dual_add_f32 v17, v17, v197 :: v_dual_mul_f32 v40, v7, v4
	v_dual_mul_f32 v4, v8, v4 :: v_dual_mul_f32 v39, v5, v2
	v_mul_f32_e32 v2, v6, v2
	s_delay_alu instid0(VALU_DEP_3) | instskip(NEXT) | instid1(VALU_DEP_3)
	v_dual_fmac_f32 v40, v8, v3 :: v_dual_add_f32 v13, v13, v194
	v_fmac_f32_e32 v39, v6, v1
	s_delay_alu instid0(VALU_DEP_3) | instskip(SKIP_1) | instid1(VALU_DEP_4)
	v_fma_f32 v2, v5, v1, -v2
	v_fma_f32 v1, v7, v3, -v4
	v_add_f32_e32 v13, v13, v196
	s_delay_alu instid0(VALU_DEP_1) | instskip(SKIP_2) | instid1(VALU_DEP_1)
	v_add_f32_e32 v18, v13, v198
	scratch_load_b128 v[13:16], off, off offset:480
	v_dual_add_f32 v17, v17, v199 :: v_dual_add_f32 v18, v18, v200
	v_dual_add_f32 v17, v17, v201 :: v_dual_add_f32 v18, v18, v202
	s_delay_alu instid0(VALU_DEP_1) | instskip(NEXT) | instid1(VALU_DEP_1)
	v_add_f32_e32 v18, v18, v204
	v_add_f32_e32 v18, v18, v206
	s_delay_alu instid0(VALU_DEP_1) | instskip(NEXT) | instid1(VALU_DEP_1)
	v_add_f32_e32 v28, v18, v208
	v_dual_add_f32 v34, v28, v210 :: v_dual_add_f32 v17, v17, v203
	s_delay_alu instid0(VALU_DEP_1) | instskip(NEXT) | instid1(VALU_DEP_2)
	v_add_f32_e32 v34, v34, v212
	v_add_f32_e32 v22, v17, v205
	ds_load_b128 v[17:20], v21 offset:976
	v_add_f32_e32 v34, v34, v214
	v_add_f32_e32 v29, v22, v207
	ds_load_b128 v[22:25], v21 offset:992
	v_add_f32_e32 v32, v34, v32
	v_add_f32_e32 v38, v29, v209
	ds_load_b64 v[28:29], v21 offset:1008
	v_add_f32_e32 v32, v32, v33
	v_add_f32_e32 v38, v38, v211
	s_delay_alu instid0(VALU_DEP_2) | instskip(NEXT) | instid1(VALU_DEP_2)
	v_add_f32_e32 v2, v32, v2
	v_add_f32_e32 v38, v38, v213
	s_wait_loadcnt_dscnt 0x102
	v_mul_f32_e32 v34, v17, v10
	v_mul_f32_e32 v3, v18, v10
	;; [unrolled: 1-line block ×3, first 2 shown]
	v_add_f32_e32 v1, v2, v1
	v_add_f32_e32 v30, v38, v30
	v_mul_f32_e32 v38, v19, v12
	v_fmac_f32_e32 v34, v18, v9
	v_fma_f32 v3, v17, v9, -v3
	v_fma_f32 v5, v19, v11, -v5
	v_add_f32_e32 v30, v30, v31
	v_fmac_f32_e32 v38, v20, v11
	s_wait_dscnt 0x0
	v_mul_f32_e32 v31, v28, v27
	v_add_f32_e32 v1, v1, v3
	s_delay_alu instid0(VALU_DEP_2) | instskip(NEXT) | instid1(VALU_DEP_2)
	v_dual_add_f32 v4, v30, v39 :: v_dual_fmac_f32 v31, v29, v26
	v_add_f32_e32 v1, v1, v5
	s_delay_alu instid0(VALU_DEP_2) | instskip(NEXT) | instid1(VALU_DEP_1)
	v_dual_mul_f32 v5, v29, v27 :: v_dual_add_f32 v2, v4, v40
	v_add_f32_e32 v2, v2, v34
	s_delay_alu instid0(VALU_DEP_1) | instskip(SKIP_4) | instid1(VALU_DEP_3)
	v_add_f32_e32 v2, v2, v38
	s_wait_loadcnt 0x0
	v_mul_f32_e32 v41, v22, v14
	v_dual_mul_f32 v4, v23, v14 :: v_dual_mul_f32 v33, v24, v16
	v_mul_f32_e32 v3, v25, v16
	v_fmac_f32_e32 v41, v23, v13
	s_delay_alu instid0(VALU_DEP_3) | instskip(NEXT) | instid1(VALU_DEP_4)
	v_fma_f32 v4, v22, v13, -v4
	v_fmac_f32_e32 v33, v25, v15
	s_delay_alu instid0(VALU_DEP_4) | instskip(NEXT) | instid1(VALU_DEP_3)
	v_fma_f32 v3, v24, v15, -v3
	v_dual_add_f32 v2, v2, v41 :: v_dual_add_f32 v1, v1, v4
	v_fma_f32 v4, v28, v26, -v5
	s_delay_alu instid0(VALU_DEP_2) | instskip(NEXT) | instid1(VALU_DEP_1)
	v_dual_add_f32 v2, v2, v33 :: v_dual_add_f32 v1, v1, v3
	v_dual_add_f32 v2, v2, v31 :: v_dual_add_f32 v1, v1, v4
	s_delay_alu instid0(VALU_DEP_1)
	v_dual_sub_f32 v2, v37, v2 :: v_dual_sub_f32 v1, v36, v1
	scratch_store_b64 off, v[1:2], off offset:136
	v_cmpx_lt_u32_e32 16, v0
	s_cbranch_execz .LBB62_359
; %bb.358:
	scratch_load_b64 v[1:2], off, off offset:128
	v_mov_b32_e32 v22, v21
	scratch_store_b64 off, v[21:22], off offset:128
	s_wait_loadcnt 0x0
	ds_store_b64 v35, v[1:2]
.LBB62_359:
	s_wait_alu 0xfffe
	s_or_b32 exec_lo, exec_lo, s0
	s_wait_storecnt_dscnt 0x0
	s_barrier_signal -1
	s_barrier_wait -1
	global_inv scope:SCOPE_SE
	s_clause 0x4
	scratch_load_b128 v[5:8], off, off offset:136
	scratch_load_b128 v[1:4], off, off offset:152
	;; [unrolled: 1-line block ×5, first 2 shown]
	ds_load_2addr_b64 v[22:25], v21 offset0:81 offset1:82
	ds_load_2addr_b64 v[26:29], v21 offset0:83 offset1:84
	;; [unrolled: 1-line block ×3, first 2 shown]
	scratch_load_b64 v[36:37], off, off offset:128
	s_mov_b32 s0, exec_lo
	s_wait_loadcnt_dscnt 0x502
	v_dual_mul_f32 v34, v23, v6 :: v_dual_mul_f32 v39, v24, v8
	v_mul_f32_e32 v38, v22, v6
	v_mul_f32_e32 v6, v25, v8
	s_wait_loadcnt_dscnt 0x300
	v_mul_f32_e32 v40, v32, v12
	v_fma_f32 v22, v22, v5, -v34
	v_dual_fmac_f32 v39, v25, v7 :: v_dual_fmac_f32 v38, v23, v5
	v_mul_f32_e32 v25, v28, v4
	v_fma_f32 v23, v24, v7, -v6
	ds_load_2addr_b64 v[5:8], v21 offset0:87 offset1:88
	v_mul_f32_e32 v24, v26, v2
	v_mul_f32_e32 v4, v29, v4
	;; [unrolled: 1-line block ×5, first 2 shown]
	v_dual_mul_f32 v2, v27, v2 :: v_dual_fmac_f32 v25, v29, v3
	v_fmac_f32_e32 v24, v27, v1
	v_fma_f32 v27, v28, v3, -v4
	v_fmac_f32_e32 v34, v31, v9
	v_fma_f32 v28, v30, v9, -v10
	;; [unrolled: 2-line block ×3, first 2 shown]
	ds_load_2addr_b64 v[9:12], v21 offset0:89 offset1:90
	s_wait_loadcnt_dscnt 0x201
	v_mul_f32_e32 v30, v5, v14
	v_dual_mul_f32 v14, v6, v14 :: v_dual_mul_f32 v31, v7, v16
	v_mul_f32_e32 v16, v8, v16
	s_delay_alu instid0(VALU_DEP_3) | instskip(NEXT) | instid1(VALU_DEP_3)
	v_fmac_f32_e32 v30, v6, v13
	v_fma_f32 v13, v5, v13, -v14
	s_delay_alu instid0(VALU_DEP_4) | instskip(NEXT) | instid1(VALU_DEP_4)
	v_fmac_f32_e32 v31, v8, v15
	v_fma_f32 v14, v7, v15, -v16
	ds_load_2addr_b64 v[5:8], v21 offset0:91 offset1:92
	s_wait_loadcnt_dscnt 0x101
	v_mul_f32_e32 v15, v9, v18
	v_mul_f32_e32 v16, v10, v18
	;; [unrolled: 1-line block ×3, first 2 shown]
	s_delay_alu instid0(VALU_DEP_3)
	v_dual_mul_f32 v20, v12, v20 :: v_dual_fmac_f32 v15, v10, v17
	v_fma_f32 v26, v26, v1, -v2
	scratch_load_b128 v[1:4], off, off offset:216
	v_fma_f32 v16, v9, v17, -v16
	v_fmac_f32_e32 v18, v12, v19
	v_fma_f32 v17, v11, v19, -v20
	scratch_load_b128 v[9:12], off, off offset:232
	s_wait_loadcnt_dscnt 0x100
	v_mul_f32_e32 v19, v5, v2
	v_mul_f32_e32 v2, v6, v2
	;; [unrolled: 1-line block ×3, first 2 shown]
	s_delay_alu instid0(VALU_DEP_3) | instskip(NEXT) | instid1(VALU_DEP_3)
	v_dual_mul_f32 v4, v8, v4 :: v_dual_fmac_f32 v19, v6, v1
	v_fma_f32 v32, v5, v1, -v2
	s_delay_alu instid0(VALU_DEP_3) | instskip(NEXT) | instid1(VALU_DEP_3)
	v_fmac_f32_e32 v20, v8, v3
	v_fma_f32 v33, v7, v3, -v4
	ds_load_2addr_b64 v[1:4], v21 offset0:93 offset1:94
	ds_load_2addr_b64 v[5:8], v21 offset0:95 offset1:96
	s_wait_loadcnt_dscnt 0x1
	v_mul_f32_e32 v41, v1, v10
	v_mul_f32_e32 v10, v2, v10
	s_delay_alu instid0(VALU_DEP_2) | instskip(NEXT) | instid1(VALU_DEP_2)
	v_dual_mul_f32 v42, v3, v12 :: v_dual_fmac_f32 v41, v2, v9
	v_fma_f32 v43, v1, v9, -v10
	v_mul_f32_e32 v1, v4, v12
	s_delay_alu instid0(VALU_DEP_3) | instskip(NEXT) | instid1(VALU_DEP_2)
	v_fmac_f32_e32 v42, v4, v11
	v_fma_f32 v44, v3, v11, -v1
	s_clause 0x1
	scratch_load_b128 v[1:4], off, off offset:248
	scratch_load_b128 v[9:12], off, off offset:264
	s_wait_loadcnt_dscnt 0x100
	v_mul_f32_e32 v171, v5, v2
	v_dual_mul_f32 v2, v6, v2 :: v_dual_mul_f32 v173, v7, v4
	s_delay_alu instid0(VALU_DEP_2) | instskip(NEXT) | instid1(VALU_DEP_2)
	v_fmac_f32_e32 v171, v6, v1
	v_fma_f32 v172, v5, v1, -v2
	v_mul_f32_e32 v1, v8, v4
	s_delay_alu instid0(VALU_DEP_4) | instskip(NEXT) | instid1(VALU_DEP_2)
	v_fmac_f32_e32 v173, v8, v3
	v_fma_f32 v174, v7, v3, -v1
	ds_load_2addr_b64 v[1:4], v21 offset0:97 offset1:98
	ds_load_2addr_b64 v[5:8], v21 offset0:99 offset1:100
	s_wait_loadcnt_dscnt 0x1
	v_mul_f32_e32 v175, v1, v10
	v_mul_f32_e32 v177, v3, v12
	s_delay_alu instid0(VALU_DEP_2) | instskip(NEXT) | instid1(VALU_DEP_2)
	v_fmac_f32_e32 v175, v2, v9
	v_dual_mul_f32 v2, v2, v10 :: v_dual_fmac_f32 v177, v4, v11
	s_delay_alu instid0(VALU_DEP_1) | instskip(SKIP_1) | instid1(VALU_DEP_1)
	v_fma_f32 v176, v1, v9, -v2
	v_mul_f32_e32 v1, v4, v12
	v_fma_f32 v178, v3, v11, -v1
	s_clause 0x1
	scratch_load_b128 v[1:4], off, off offset:280
	scratch_load_b128 v[9:12], off, off offset:296
	s_wait_loadcnt_dscnt 0x100
	v_mul_f32_e32 v179, v5, v2
	v_dual_mul_f32 v2, v6, v2 :: v_dual_mul_f32 v181, v7, v4
	s_delay_alu instid0(VALU_DEP_2) | instskip(NEXT) | instid1(VALU_DEP_2)
	v_fmac_f32_e32 v179, v6, v1
	v_fma_f32 v180, v5, v1, -v2
	v_mul_f32_e32 v1, v8, v4
	s_delay_alu instid0(VALU_DEP_4) | instskip(NEXT) | instid1(VALU_DEP_2)
	v_fmac_f32_e32 v181, v8, v3
	v_fma_f32 v182, v7, v3, -v1
	ds_load_2addr_b64 v[1:4], v21 offset0:101 offset1:102
	ds_load_2addr_b64 v[5:8], v21 offset0:103 offset1:104
	s_wait_loadcnt_dscnt 0x1
	v_mul_f32_e32 v183, v1, v10
	v_mul_f32_e32 v185, v3, v12
	s_delay_alu instid0(VALU_DEP_2) | instskip(NEXT) | instid1(VALU_DEP_2)
	v_fmac_f32_e32 v183, v2, v9
	v_dual_mul_f32 v2, v2, v10 :: v_dual_fmac_f32 v185, v4, v11
	s_delay_alu instid0(VALU_DEP_1) | instskip(SKIP_1) | instid1(VALU_DEP_1)
	v_fma_f32 v184, v1, v9, -v2
	v_mul_f32_e32 v1, v4, v12
	;; [unrolled: 25-line block ×5, first 2 shown]
	v_fma_f32 v210, v3, v11, -v1
	s_clause 0x1
	scratch_load_b128 v[1:4], off, off offset:408
	scratch_load_b128 v[9:12], off, off offset:424
	s_wait_loadcnt_dscnt 0x100
	v_mul_f32_e32 v211, v5, v2
	v_mul_f32_e32 v2, v6, v2
	s_delay_alu instid0(VALU_DEP_1) | instskip(SKIP_1) | instid1(VALU_DEP_1)
	v_fma_f32 v212, v5, v1, -v2
	v_add_f32_e32 v2, 0, v38
	v_add_f32_e32 v2, v2, v39
	s_delay_alu instid0(VALU_DEP_1) | instskip(NEXT) | instid1(VALU_DEP_1)
	v_add_f32_e32 v2, v2, v24
	v_add_f32_e32 v2, v2, v25
	s_delay_alu instid0(VALU_DEP_1) | instskip(NEXT) | instid1(VALU_DEP_1)
	;; [unrolled: 3-line block ×8, first 2 shown]
	v_add_f32_e32 v2, v2, v175
	v_add_f32_e32 v2, v2, v177
	s_delay_alu instid0(VALU_DEP_1) | instskip(SKIP_1) | instid1(VALU_DEP_2)
	v_add_f32_e32 v2, v2, v179
	v_fmac_f32_e32 v211, v6, v1
	v_dual_mul_f32 v213, v7, v4 :: v_dual_add_f32 v2, v2, v181
	s_delay_alu instid0(VALU_DEP_1) | instskip(NEXT) | instid1(VALU_DEP_1)
	v_dual_mul_f32 v1, v8, v4 :: v_dual_add_f32 v2, v2, v183
	v_fma_f32 v214, v7, v3, -v1
	v_add_f32_e32 v1, 0, v22
	s_delay_alu instid0(VALU_DEP_3) | instskip(NEXT) | instid1(VALU_DEP_2)
	v_add_f32_e32 v5, v2, v185
	v_add_f32_e32 v1, v1, v23
	s_delay_alu instid0(VALU_DEP_1) | instskip(NEXT) | instid1(VALU_DEP_1)
	v_add_f32_e32 v1, v1, v26
	v_add_f32_e32 v1, v1, v27
	s_delay_alu instid0(VALU_DEP_1) | instskip(NEXT) | instid1(VALU_DEP_1)
	v_add_f32_e32 v1, v1, v28
	v_add_f32_e32 v1, v1, v29
	s_delay_alu instid0(VALU_DEP_1) | instskip(SKIP_1) | instid1(VALU_DEP_2)
	v_add_f32_e32 v1, v1, v13
	v_add_f32_e32 v13, v5, v187
	;; [unrolled: 1-line block ×3, first 2 shown]
	s_delay_alu instid0(VALU_DEP_2) | instskip(NEXT) | instid1(VALU_DEP_2)
	v_add_f32_e32 v13, v13, v189
	v_add_f32_e32 v1, v1, v16
	s_delay_alu instid0(VALU_DEP_1) | instskip(NEXT) | instid1(VALU_DEP_1)
	v_add_f32_e32 v1, v1, v17
	v_add_f32_e32 v1, v1, v32
	s_delay_alu instid0(VALU_DEP_1) | instskip(NEXT) | instid1(VALU_DEP_1)
	;; [unrolled: 3-line block ×7, first 2 shown]
	v_add_f32_e32 v1, v1, v186
	v_dual_add_f32 v6, v1, v188 :: v_dual_fmac_f32 v213, v8, v3
	ds_load_2addr_b64 v[1:4], v21 offset0:117 offset1:118
	v_dual_add_f32 v13, v13, v191 :: v_dual_add_f32 v14, v6, v190
	scratch_load_b128 v[5:8], off, off offset:440
	v_add_f32_e32 v18, v13, v193
	v_add_f32_e32 v14, v14, v192
	s_delay_alu instid0(VALU_DEP_1)
	v_add_f32_e32 v17, v14, v194
	ds_load_2addr_b64 v[13:16], v21 offset0:119 offset1:120
	v_add_f32_e32 v17, v17, v196
	s_wait_loadcnt_dscnt 0x101
	v_mul_f32_e32 v25, v1, v10
	v_mul_f32_e32 v10, v2, v10
	;; [unrolled: 1-line block ×4, first 2 shown]
	v_add_f32_e32 v18, v18, v195
	v_fmac_f32_e32 v25, v2, v9
	v_fma_f32 v27, v1, v9, -v10
	v_fmac_f32_e32 v26, v4, v11
	v_fma_f32 v28, v3, v11, -v12
	scratch_load_b128 v[1:4], off, off offset:456
	v_add_f32_e32 v17, v17, v198
	scratch_load_b128 v[9:12], off, off offset:472
	v_dual_add_f32 v18, v18, v197 :: v_dual_add_f32 v17, v17, v200
	s_delay_alu instid0(VALU_DEP_1) | instskip(SKIP_2) | instid1(VALU_DEP_1)
	v_dual_add_f32 v22, v18, v199 :: v_dual_add_f32 v23, v17, v202
	scratch_load_b128 v[17:20], off, off offset:488
	v_dual_add_f32 v22, v22, v201 :: v_dual_add_f32 v23, v23, v204
	v_dual_add_f32 v22, v22, v203 :: v_dual_add_f32 v23, v23, v206
	s_wait_loadcnt_dscnt 0x300
	v_mul_f32_e32 v29, v13, v6
	v_mul_f32_e32 v6, v14, v6
	;; [unrolled: 1-line block ×3, first 2 shown]
	s_delay_alu instid0(VALU_DEP_3) | instskip(NEXT) | instid1(VALU_DEP_3)
	v_dual_mul_f32 v8, v16, v8 :: v_dual_fmac_f32 v29, v14, v5
	v_fma_f32 v31, v13, v5, -v6
	s_delay_alu instid0(VALU_DEP_3) | instskip(NEXT) | instid1(VALU_DEP_3)
	v_dual_add_f32 v13, v22, v205 :: v_dual_fmac_f32 v30, v16, v7
	v_fma_f32 v32, v15, v7, -v8
	ds_load_2addr_b64 v[5:8], v21 offset0:121 offset1:122
	v_dual_add_f32 v22, v23, v208 :: v_dual_add_f32 v23, v13, v207
	ds_load_2addr_b64 v[13:16], v21 offset0:123 offset1:124
	v_dual_add_f32 v33, v22, v210 :: v_dual_add_f32 v34, v23, v209
	;; [unrolled: 2-line block ×3, first 2 shown]
	s_delay_alu instid0(VALU_DEP_1) | instskip(SKIP_2) | instid1(VALU_DEP_2)
	v_dual_add_f32 v33, v33, v214 :: v_dual_add_f32 v34, v34, v213
	s_wait_loadcnt_dscnt 0x202
	v_mul_f32_e32 v38, v5, v2
	v_add_f32_e32 v27, v33, v27
	s_delay_alu instid0(VALU_DEP_3) | instskip(SKIP_2) | instid1(VALU_DEP_4)
	v_add_f32_e32 v25, v34, v25
	v_dual_mul_f32 v2, v6, v2 :: v_dual_mul_f32 v33, v7, v4
	v_mul_f32_e32 v4, v8, v4
	v_add_f32_e32 v27, v27, v28
	s_delay_alu instid0(VALU_DEP_4) | instskip(NEXT) | instid1(VALU_DEP_4)
	v_add_f32_e32 v25, v25, v26
	v_fma_f32 v2, v5, v1, -v2
	v_fmac_f32_e32 v38, v6, v1
	s_wait_loadcnt_dscnt 0x101
	v_dual_mul_f32 v34, v13, v10 :: v_dual_add_f32 v27, v27, v31
	v_dual_add_f32 v25, v25, v29 :: v_dual_mul_f32 v6, v14, v10
	v_fmac_f32_e32 v33, v8, v3
	v_fma_f32 v3, v7, v3, -v4
	s_delay_alu instid0(VALU_DEP_4) | instskip(NEXT) | instid1(VALU_DEP_4)
	v_add_f32_e32 v1, v27, v32
	v_add_f32_e32 v5, v25, v30
	v_mul_f32_e32 v39, v15, v12
	v_mul_f32_e32 v4, v16, v12
	s_delay_alu instid0(VALU_DEP_4) | instskip(NEXT) | instid1(VALU_DEP_4)
	v_dual_fmac_f32 v34, v14, v9 :: v_dual_add_f32 v1, v1, v2
	v_add_f32_e32 v2, v5, v38
	v_fma_f32 v5, v13, v9, -v6
	s_wait_loadcnt_dscnt 0x0
	v_dual_mul_f32 v26, v21, v18 :: v_dual_fmac_f32 v39, v16, v11
	s_delay_alu instid0(VALU_DEP_3) | instskip(SKIP_2) | instid1(VALU_DEP_3)
	v_dual_add_f32 v1, v1, v3 :: v_dual_add_f32 v2, v2, v33
	v_mul_f32_e32 v3, v22, v18
	v_fma_f32 v4, v15, v11, -v4
	v_dual_mul_f32 v28, v23, v20 :: v_dual_add_f32 v1, v1, v5
	s_delay_alu instid0(VALU_DEP_4) | instskip(SKIP_2) | instid1(VALU_DEP_3)
	v_dual_add_f32 v2, v2, v34 :: v_dual_mul_f32 v5, v24, v20
	v_fmac_f32_e32 v26, v22, v17
	v_fma_f32 v3, v21, v17, -v3
	v_dual_add_f32 v1, v1, v4 :: v_dual_add_f32 v2, v2, v39
	v_fmac_f32_e32 v28, v24, v19
	v_fma_f32 v4, v23, v19, -v5
	s_delay_alu instid0(VALU_DEP_3) | instskip(NEXT) | instid1(VALU_DEP_1)
	v_dual_add_f32 v1, v1, v3 :: v_dual_add_f32 v2, v2, v26
	v_add_f32_e32 v1, v1, v4
	s_delay_alu instid0(VALU_DEP_1) | instskip(NEXT) | instid1(VALU_DEP_1)
	v_dual_add_f32 v2, v2, v28 :: v_dual_sub_f32 v1, v36, v1
	v_sub_f32_e32 v2, v37, v2
	scratch_store_b64 off, v[1:2], off offset:128
	v_cmpx_lt_u32_e32 15, v0
	s_cbranch_execz .LBB62_361
; %bb.360:
	scratch_load_b64 v[1:2], off, off offset:120
	v_mov_b32_e32 v3, 0
	s_delay_alu instid0(VALU_DEP_1)
	v_mov_b32_e32 v4, v3
	scratch_store_b64 off, v[3:4], off offset:120
	s_wait_loadcnt 0x0
	ds_store_b64 v35, v[1:2]
.LBB62_361:
	s_wait_alu 0xfffe
	s_or_b32 exec_lo, exec_lo, s0
	s_wait_storecnt_dscnt 0x0
	s_barrier_signal -1
	s_barrier_wait -1
	global_inv scope:SCOPE_SE
	s_clause 0x4
	scratch_load_b128 v[5:8], off, off offset:128
	scratch_load_b128 v[1:4], off, off offset:144
	;; [unrolled: 1-line block ×5, first 2 shown]
	v_mov_b32_e32 v21, 0
	ds_load_b128 v[22:25], v21 offset:640
	ds_load_b128 v[26:29], v21 offset:656
	;; [unrolled: 1-line block ×3, first 2 shown]
	scratch_load_b64 v[36:37], off, off offset:120
	s_mov_b32 s0, exec_lo
	s_wait_loadcnt_dscnt 0x502
	v_mul_f32_e32 v34, v23, v6
	v_dual_mul_f32 v38, v22, v6 :: v_dual_mul_f32 v39, v24, v8
	v_mul_f32_e32 v6, v25, v8
	s_wait_loadcnt_dscnt 0x300
	v_mul_f32_e32 v40, v32, v12
	v_fma_f32 v22, v22, v5, -v34
	v_dual_fmac_f32 v38, v23, v5 :: v_dual_fmac_f32 v39, v25, v7
	v_fma_f32 v23, v24, v7, -v6
	v_dual_mul_f32 v24, v26, v2 :: v_dual_mul_f32 v25, v28, v4
	v_mul_f32_e32 v2, v27, v2
	v_mul_f32_e32 v4, v29, v4
	ds_load_b128 v[5:8], v21 offset:688
	v_mul_f32_e32 v34, v30, v10
	v_dual_fmac_f32 v24, v27, v1 :: v_dual_fmac_f32 v25, v29, v3
	v_fma_f32 v26, v26, v1, -v2
	v_fma_f32 v27, v28, v3, -v4
	v_mul_f32_e32 v12, v33, v12
	scratch_load_b128 v[1:4], off, off offset:208
	v_mul_f32_e32 v10, v31, v10
	v_fmac_f32_e32 v34, v31, v9
	v_fmac_f32_e32 v40, v33, v11
	v_fma_f32 v29, v32, v11, -v12
	s_delay_alu instid0(VALU_DEP_4)
	v_fma_f32 v28, v30, v9, -v10
	ds_load_b128 v[9:12], v21 offset:704
	s_wait_loadcnt_dscnt 0x301
	v_mul_f32_e32 v30, v5, v14
	v_dual_mul_f32 v14, v6, v14 :: v_dual_mul_f32 v31, v7, v16
	v_mul_f32_e32 v16, v8, v16
	s_delay_alu instid0(VALU_DEP_3) | instskip(NEXT) | instid1(VALU_DEP_3)
	v_fmac_f32_e32 v30, v6, v13
	v_fma_f32 v13, v5, v13, -v14
	s_delay_alu instid0(VALU_DEP_4) | instskip(NEXT) | instid1(VALU_DEP_4)
	v_fmac_f32_e32 v31, v8, v15
	v_fma_f32 v14, v7, v15, -v16
	ds_load_b128 v[5:8], v21 offset:720
	s_wait_loadcnt_dscnt 0x201
	v_mul_f32_e32 v15, v9, v18
	v_mul_f32_e32 v16, v10, v18
	;; [unrolled: 1-line block ×3, first 2 shown]
	s_delay_alu instid0(VALU_DEP_3) | instskip(NEXT) | instid1(VALU_DEP_3)
	v_dual_mul_f32 v20, v12, v20 :: v_dual_fmac_f32 v15, v10, v17
	v_fma_f32 v16, v9, v17, -v16
	s_delay_alu instid0(VALU_DEP_3) | instskip(NEXT) | instid1(VALU_DEP_3)
	v_fmac_f32_e32 v18, v12, v19
	v_fma_f32 v17, v11, v19, -v20
	scratch_load_b128 v[9:12], off, off offset:224
	s_wait_loadcnt_dscnt 0x100
	v_mul_f32_e32 v19, v5, v2
	v_mul_f32_e32 v2, v6, v2
	;; [unrolled: 1-line block ×3, first 2 shown]
	s_delay_alu instid0(VALU_DEP_3) | instskip(NEXT) | instid1(VALU_DEP_3)
	v_dual_mul_f32 v4, v8, v4 :: v_dual_fmac_f32 v19, v6, v1
	v_fma_f32 v32, v5, v1, -v2
	s_delay_alu instid0(VALU_DEP_3) | instskip(NEXT) | instid1(VALU_DEP_3)
	v_fmac_f32_e32 v20, v8, v3
	v_fma_f32 v33, v7, v3, -v4
	ds_load_b128 v[1:4], v21 offset:736
	ds_load_b128 v[5:8], v21 offset:752
	s_wait_loadcnt_dscnt 0x1
	v_mul_f32_e32 v41, v1, v10
	v_mul_f32_e32 v10, v2, v10
	s_delay_alu instid0(VALU_DEP_2) | instskip(NEXT) | instid1(VALU_DEP_2)
	v_dual_mul_f32 v42, v3, v12 :: v_dual_fmac_f32 v41, v2, v9
	v_fma_f32 v43, v1, v9, -v10
	v_mul_f32_e32 v1, v4, v12
	s_delay_alu instid0(VALU_DEP_3) | instskip(NEXT) | instid1(VALU_DEP_2)
	v_fmac_f32_e32 v42, v4, v11
	v_fma_f32 v44, v3, v11, -v1
	s_clause 0x1
	scratch_load_b128 v[1:4], off, off offset:240
	scratch_load_b128 v[9:12], off, off offset:256
	s_wait_loadcnt_dscnt 0x100
	v_mul_f32_e32 v171, v5, v2
	v_dual_mul_f32 v2, v6, v2 :: v_dual_mul_f32 v173, v7, v4
	s_delay_alu instid0(VALU_DEP_2) | instskip(NEXT) | instid1(VALU_DEP_2)
	v_fmac_f32_e32 v171, v6, v1
	v_fma_f32 v172, v5, v1, -v2
	v_mul_f32_e32 v1, v8, v4
	s_delay_alu instid0(VALU_DEP_4) | instskip(NEXT) | instid1(VALU_DEP_2)
	v_fmac_f32_e32 v173, v8, v3
	v_fma_f32 v174, v7, v3, -v1
	ds_load_b128 v[1:4], v21 offset:768
	ds_load_b128 v[5:8], v21 offset:784
	s_wait_loadcnt_dscnt 0x1
	v_mul_f32_e32 v175, v1, v10
	v_mul_f32_e32 v177, v3, v12
	s_delay_alu instid0(VALU_DEP_2) | instskip(NEXT) | instid1(VALU_DEP_2)
	v_fmac_f32_e32 v175, v2, v9
	v_dual_mul_f32 v2, v2, v10 :: v_dual_fmac_f32 v177, v4, v11
	s_delay_alu instid0(VALU_DEP_1) | instskip(SKIP_1) | instid1(VALU_DEP_1)
	v_fma_f32 v176, v1, v9, -v2
	v_mul_f32_e32 v1, v4, v12
	v_fma_f32 v178, v3, v11, -v1
	s_clause 0x1
	scratch_load_b128 v[1:4], off, off offset:272
	scratch_load_b128 v[9:12], off, off offset:288
	s_wait_loadcnt_dscnt 0x100
	v_mul_f32_e32 v179, v5, v2
	v_dual_mul_f32 v2, v6, v2 :: v_dual_mul_f32 v181, v7, v4
	s_delay_alu instid0(VALU_DEP_2) | instskip(NEXT) | instid1(VALU_DEP_2)
	v_fmac_f32_e32 v179, v6, v1
	v_fma_f32 v180, v5, v1, -v2
	v_mul_f32_e32 v1, v8, v4
	s_delay_alu instid0(VALU_DEP_4) | instskip(NEXT) | instid1(VALU_DEP_2)
	v_fmac_f32_e32 v181, v8, v3
	v_fma_f32 v182, v7, v3, -v1
	ds_load_b128 v[1:4], v21 offset:800
	ds_load_b128 v[5:8], v21 offset:816
	s_wait_loadcnt_dscnt 0x1
	v_mul_f32_e32 v183, v1, v10
	v_mul_f32_e32 v185, v3, v12
	s_delay_alu instid0(VALU_DEP_2) | instskip(NEXT) | instid1(VALU_DEP_2)
	v_fmac_f32_e32 v183, v2, v9
	v_dual_mul_f32 v2, v2, v10 :: v_dual_fmac_f32 v185, v4, v11
	s_delay_alu instid0(VALU_DEP_1) | instskip(SKIP_1) | instid1(VALU_DEP_1)
	v_fma_f32 v184, v1, v9, -v2
	v_mul_f32_e32 v1, v4, v12
	v_fma_f32 v186, v3, v11, -v1
	s_clause 0x1
	scratch_load_b128 v[1:4], off, off offset:304
	scratch_load_b128 v[9:12], off, off offset:320
	s_wait_loadcnt_dscnt 0x100
	v_mul_f32_e32 v187, v5, v2
	v_dual_mul_f32 v2, v6, v2 :: v_dual_mul_f32 v189, v7, v4
	s_delay_alu instid0(VALU_DEP_1) | instskip(NEXT) | instid1(VALU_DEP_3)
	v_fma_f32 v188, v5, v1, -v2
	v_fmac_f32_e32 v187, v6, v1
	v_mul_f32_e32 v1, v8, v4
	s_delay_alu instid0(VALU_DEP_4) | instskip(NEXT) | instid1(VALU_DEP_2)
	v_fmac_f32_e32 v189, v8, v3
	v_fma_f32 v190, v7, v3, -v1
	ds_load_b128 v[1:4], v21 offset:832
	ds_load_b128 v[5:8], v21 offset:848
	s_wait_loadcnt_dscnt 0x1
	v_mul_f32_e32 v191, v1, v10
	v_mul_f32_e32 v193, v3, v12
	s_delay_alu instid0(VALU_DEP_2) | instskip(NEXT) | instid1(VALU_DEP_2)
	v_fmac_f32_e32 v191, v2, v9
	v_dual_mul_f32 v2, v2, v10 :: v_dual_fmac_f32 v193, v4, v11
	s_delay_alu instid0(VALU_DEP_1) | instskip(SKIP_1) | instid1(VALU_DEP_1)
	v_fma_f32 v192, v1, v9, -v2
	v_mul_f32_e32 v1, v4, v12
	v_fma_f32 v194, v3, v11, -v1
	s_clause 0x1
	scratch_load_b128 v[1:4], off, off offset:336
	scratch_load_b128 v[9:12], off, off offset:352
	s_wait_loadcnt_dscnt 0x100
	v_mul_f32_e32 v195, v5, v2
	v_dual_mul_f32 v2, v6, v2 :: v_dual_mul_f32 v197, v7, v4
	s_delay_alu instid0(VALU_DEP_2) | instskip(NEXT) | instid1(VALU_DEP_2)
	v_fmac_f32_e32 v195, v6, v1
	v_fma_f32 v196, v5, v1, -v2
	v_mul_f32_e32 v1, v8, v4
	s_delay_alu instid0(VALU_DEP_4) | instskip(NEXT) | instid1(VALU_DEP_2)
	v_fmac_f32_e32 v197, v8, v3
	v_fma_f32 v198, v7, v3, -v1
	ds_load_b128 v[1:4], v21 offset:864
	ds_load_b128 v[5:8], v21 offset:880
	s_wait_loadcnt_dscnt 0x1
	v_mul_f32_e32 v199, v1, v10
	v_mul_f32_e32 v201, v3, v12
	s_delay_alu instid0(VALU_DEP_2) | instskip(NEXT) | instid1(VALU_DEP_2)
	v_fmac_f32_e32 v199, v2, v9
	v_dual_mul_f32 v2, v2, v10 :: v_dual_fmac_f32 v201, v4, v11
	s_delay_alu instid0(VALU_DEP_1) | instskip(SKIP_1) | instid1(VALU_DEP_1)
	v_fma_f32 v200, v1, v9, -v2
	v_mul_f32_e32 v1, v4, v12
	v_fma_f32 v202, v3, v11, -v1
	s_clause 0x1
	scratch_load_b128 v[1:4], off, off offset:368
	scratch_load_b128 v[9:12], off, off offset:384
	s_wait_loadcnt_dscnt 0x100
	v_mul_f32_e32 v203, v5, v2
	v_dual_mul_f32 v2, v6, v2 :: v_dual_mul_f32 v205, v7, v4
	s_delay_alu instid0(VALU_DEP_2) | instskip(NEXT) | instid1(VALU_DEP_2)
	v_fmac_f32_e32 v203, v6, v1
	v_fma_f32 v204, v5, v1, -v2
	v_mul_f32_e32 v1, v8, v4
	s_delay_alu instid0(VALU_DEP_4) | instskip(NEXT) | instid1(VALU_DEP_2)
	v_fmac_f32_e32 v205, v8, v3
	v_fma_f32 v206, v7, v3, -v1
	ds_load_b128 v[1:4], v21 offset:896
	ds_load_b128 v[5:8], v21 offset:912
	s_wait_loadcnt_dscnt 0x1
	v_mul_f32_e32 v207, v1, v10
	v_mul_f32_e32 v209, v3, v12
	s_delay_alu instid0(VALU_DEP_2) | instskip(NEXT) | instid1(VALU_DEP_2)
	v_fmac_f32_e32 v207, v2, v9
	v_dual_mul_f32 v2, v2, v10 :: v_dual_fmac_f32 v209, v4, v11
	s_delay_alu instid0(VALU_DEP_1) | instskip(SKIP_1) | instid1(VALU_DEP_1)
	v_fma_f32 v208, v1, v9, -v2
	v_mul_f32_e32 v1, v4, v12
	v_fma_f32 v210, v3, v11, -v1
	s_clause 0x1
	scratch_load_b128 v[1:4], off, off offset:400
	scratch_load_b128 v[9:12], off, off offset:416
	s_wait_loadcnt_dscnt 0x100
	v_mul_f32_e32 v211, v5, v2
	v_mul_f32_e32 v2, v6, v2
	s_delay_alu instid0(VALU_DEP_1) | instskip(SKIP_1) | instid1(VALU_DEP_1)
	v_fma_f32 v212, v5, v1, -v2
	v_add_f32_e32 v2, 0, v38
	v_add_f32_e32 v2, v2, v39
	s_delay_alu instid0(VALU_DEP_1) | instskip(NEXT) | instid1(VALU_DEP_1)
	v_add_f32_e32 v2, v2, v24
	v_add_f32_e32 v2, v2, v25
	s_delay_alu instid0(VALU_DEP_1) | instskip(NEXT) | instid1(VALU_DEP_1)
	;; [unrolled: 3-line block ×8, first 2 shown]
	v_add_f32_e32 v2, v2, v175
	v_add_f32_e32 v2, v2, v177
	s_delay_alu instid0(VALU_DEP_1) | instskip(SKIP_1) | instid1(VALU_DEP_2)
	v_add_f32_e32 v2, v2, v179
	v_fmac_f32_e32 v211, v6, v1
	v_dual_mul_f32 v213, v7, v4 :: v_dual_add_f32 v2, v2, v181
	s_delay_alu instid0(VALU_DEP_1) | instskip(NEXT) | instid1(VALU_DEP_1)
	v_dual_mul_f32 v1, v8, v4 :: v_dual_add_f32 v2, v2, v183
	v_fma_f32 v214, v7, v3, -v1
	v_add_f32_e32 v1, 0, v22
	s_delay_alu instid0(VALU_DEP_3) | instskip(NEXT) | instid1(VALU_DEP_2)
	v_add_f32_e32 v5, v2, v185
	v_add_f32_e32 v1, v1, v23
	s_delay_alu instid0(VALU_DEP_1) | instskip(NEXT) | instid1(VALU_DEP_1)
	v_add_f32_e32 v1, v1, v26
	v_add_f32_e32 v1, v1, v27
	scratch_load_b64 v[26:27], off, off offset:496
	v_add_f32_e32 v1, v1, v28
	s_delay_alu instid0(VALU_DEP_1) | instskip(NEXT) | instid1(VALU_DEP_1)
	v_add_f32_e32 v1, v1, v29
	v_add_f32_e32 v1, v1, v13
	s_delay_alu instid0(VALU_DEP_1) | instskip(NEXT) | instid1(VALU_DEP_1)
	v_add_f32_e32 v1, v1, v14
	v_add_f32_e32 v1, v1, v16
	s_delay_alu instid0(VALU_DEP_1) | instskip(NEXT) | instid1(VALU_DEP_1)
	v_add_f32_e32 v1, v1, v17
	v_add_f32_e32 v1, v1, v32
	s_delay_alu instid0(VALU_DEP_1) | instskip(NEXT) | instid1(VALU_DEP_1)
	v_add_f32_e32 v1, v1, v33
	v_add_f32_e32 v1, v1, v43
	s_delay_alu instid0(VALU_DEP_1) | instskip(NEXT) | instid1(VALU_DEP_1)
	v_add_f32_e32 v1, v1, v44
	v_add_f32_e32 v1, v1, v172
	s_delay_alu instid0(VALU_DEP_1) | instskip(NEXT) | instid1(VALU_DEP_1)
	v_add_f32_e32 v1, v1, v174
	v_add_f32_e32 v1, v1, v176
	s_delay_alu instid0(VALU_DEP_1) | instskip(NEXT) | instid1(VALU_DEP_1)
	v_add_f32_e32 v1, v1, v178
	v_add_f32_e32 v1, v1, v180
	s_delay_alu instid0(VALU_DEP_1) | instskip(NEXT) | instid1(VALU_DEP_1)
	v_add_f32_e32 v1, v1, v182
	v_add_f32_e32 v1, v1, v184
	s_delay_alu instid0(VALU_DEP_1) | instskip(NEXT) | instid1(VALU_DEP_1)
	v_add_f32_e32 v1, v1, v186
	v_dual_add_f32 v6, v1, v188 :: v_dual_fmac_f32 v213, v8, v3
	scratch_load_b128 v[1:4], off, off offset:432
	v_dual_add_f32 v13, v5, v187 :: v_dual_add_f32 v14, v6, v190
	ds_load_b128 v[5:8], v21 offset:928
	v_dual_add_f32 v13, v13, v189 :: v_dual_add_f32 v14, v14, v192
	s_delay_alu instid0(VALU_DEP_1) | instskip(NEXT) | instid1(VALU_DEP_1)
	v_add_f32_e32 v13, v13, v191
	v_dual_add_f32 v17, v14, v194 :: v_dual_add_f32 v18, v13, v193
	ds_load_b128 v[13:16], v21 offset:944
	v_add_f32_e32 v17, v17, v196
	s_delay_alu instid0(VALU_DEP_1)
	v_add_f32_e32 v17, v17, v198
	s_wait_loadcnt_dscnt 0x201
	v_mul_f32_e32 v31, v7, v12
	v_mul_f32_e32 v12, v8, v12
	v_add_f32_e32 v18, v18, v195
	v_mul_f32_e32 v30, v5, v10
	v_dual_mul_f32 v10, v6, v10 :: v_dual_add_f32 v17, v17, v200
	s_delay_alu instid0(VALU_DEP_3) | instskip(NEXT) | instid1(VALU_DEP_3)
	v_dual_fmac_f32 v31, v8, v11 :: v_dual_add_f32 v18, v18, v197
	v_fmac_f32_e32 v30, v6, v9
	s_delay_alu instid0(VALU_DEP_3)
	v_fma_f32 v32, v5, v9, -v10
	v_fma_f32 v33, v7, v11, -v12
	s_clause 0x1
	scratch_load_b128 v[5:8], off, off offset:448
	scratch_load_b128 v[9:12], off, off offset:464
	v_add_f32_e32 v23, v17, v202
	s_wait_loadcnt_dscnt 0x200
	s_delay_alu instid0(VALU_DEP_1)
	v_dual_add_f32 v23, v23, v204 :: v_dual_mul_f32 v34, v13, v2
	v_add_f32_e32 v22, v18, v199
	scratch_load_b128 v[17:20], off, off offset:480
	v_add_f32_e32 v23, v23, v206
	v_mul_f32_e32 v38, v15, v4
	v_mul_f32_e32 v2, v14, v2
	v_add_f32_e32 v22, v22, v201
	v_mul_f32_e32 v4, v16, v4
	v_dual_add_f32 v23, v23, v208 :: v_dual_fmac_f32 v34, v14, v1
	s_delay_alu instid0(VALU_DEP_4) | instskip(NEXT) | instid1(VALU_DEP_4)
	v_fma_f32 v39, v13, v1, -v2
	v_add_f32_e32 v22, v22, v203
	v_fmac_f32_e32 v38, v16, v3
	s_delay_alu instid0(VALU_DEP_4) | instskip(SKIP_4) | instid1(VALU_DEP_2)
	v_add_f32_e32 v14, v23, v210
	v_fma_f32 v40, v15, v3, -v4
	ds_load_b128 v[1:4], v21 offset:960
	v_add_f32_e32 v22, v22, v205
	v_add_f32_e32 v28, v14, v212
	;; [unrolled: 1-line block ×3, first 2 shown]
	s_delay_alu instid0(VALU_DEP_1)
	v_dual_add_f32 v41, v28, v214 :: v_dual_add_f32 v22, v13, v209
	ds_load_b128 v[13:16], v21 offset:976
	v_dual_add_f32 v32, v41, v32 :: v_dual_add_f32 v29, v22, v211
	ds_load_b128 v[22:25], v21 offset:992
	v_add_f32_e32 v32, v32, v33
	v_add_f32_e32 v42, v29, v213
	ds_load_b64 v[28:29], v21 offset:1008
	v_add_f32_e32 v32, v32, v39
	v_add_f32_e32 v30, v42, v30
	s_delay_alu instid0(VALU_DEP_2) | instskip(SKIP_1) | instid1(VALU_DEP_2)
	v_add_f32_e32 v32, v32, v40
	s_wait_loadcnt_dscnt 0x102
	v_dual_add_f32 v30, v30, v31 :: v_dual_mul_f32 v33, v13, v10
	s_delay_alu instid0(VALU_DEP_1) | instskip(NEXT) | instid1(VALU_DEP_2)
	v_add_f32_e32 v30, v30, v34
	v_dual_mul_f32 v34, v15, v12 :: v_dual_fmac_f32 v33, v14, v9
	s_delay_alu instid0(VALU_DEP_2) | instskip(SKIP_2) | instid1(VALU_DEP_3)
	v_add_f32_e32 v30, v30, v38
	s_wait_dscnt 0x0
	v_mul_f32_e32 v38, v28, v27
	v_fmac_f32_e32 v34, v16, v11
	s_delay_alu instid0(VALU_DEP_2) | instskip(SKIP_1) | instid1(VALU_DEP_2)
	v_dual_fmac_f32 v38, v29, v26 :: v_dual_mul_f32 v31, v3, v8
	v_mul_f32_e32 v8, v4, v8
	v_fmac_f32_e32 v31, v4, v7
	s_wait_loadcnt 0x0
	v_dual_mul_f32 v40, v24, v20 :: v_dual_mul_f32 v39, v22, v18
	s_delay_alu instid0(VALU_DEP_1) | instskip(SKIP_1) | instid1(VALU_DEP_3)
	v_fmac_f32_e32 v40, v25, v19
	v_mul_f32_e32 v41, v1, v6
	v_dual_mul_f32 v6, v2, v6 :: v_dual_fmac_f32 v39, v23, v17
	s_delay_alu instid0(VALU_DEP_2) | instskip(NEXT) | instid1(VALU_DEP_2)
	v_fmac_f32_e32 v41, v2, v5
	v_fma_f32 v1, v1, v5, -v6
	v_fma_f32 v2, v3, v7, -v8
	v_mul_f32_e32 v3, v14, v10
	s_delay_alu instid0(VALU_DEP_4) | instskip(NEXT) | instid1(VALU_DEP_4)
	v_dual_mul_f32 v5, v16, v12 :: v_dual_add_f32 v4, v30, v41
	v_add_f32_e32 v1, v32, v1
	s_delay_alu instid0(VALU_DEP_3) | instskip(NEXT) | instid1(VALU_DEP_3)
	v_fma_f32 v3, v13, v9, -v3
	v_fma_f32 v5, v15, v11, -v5
	s_delay_alu instid0(VALU_DEP_3) | instskip(NEXT) | instid1(VALU_DEP_1)
	v_dual_add_f32 v1, v1, v2 :: v_dual_add_f32 v2, v4, v31
	v_dual_mul_f32 v4, v23, v18 :: v_dual_add_f32 v1, v1, v3
	s_delay_alu instid0(VALU_DEP_2) | instskip(NEXT) | instid1(VALU_DEP_2)
	v_dual_add_f32 v2, v2, v33 :: v_dual_mul_f32 v3, v25, v20
	v_fma_f32 v4, v22, v17, -v4
	s_delay_alu instid0(VALU_DEP_2) | instskip(SKIP_1) | instid1(VALU_DEP_4)
	v_dual_add_f32 v1, v1, v5 :: v_dual_add_f32 v2, v2, v34
	v_mul_f32_e32 v5, v29, v27
	v_fma_f32 v3, v24, v19, -v3
	s_delay_alu instid0(VALU_DEP_3) | instskip(NEXT) | instid1(VALU_DEP_3)
	v_dual_add_f32 v1, v1, v4 :: v_dual_add_f32 v2, v2, v39
	v_fma_f32 v4, v28, v26, -v5
	s_delay_alu instid0(VALU_DEP_2) | instskip(NEXT) | instid1(VALU_DEP_1)
	v_dual_add_f32 v1, v1, v3 :: v_dual_add_f32 v2, v2, v40
	v_dual_add_f32 v1, v1, v4 :: v_dual_add_f32 v2, v2, v38
	s_delay_alu instid0(VALU_DEP_1)
	v_dual_sub_f32 v1, v36, v1 :: v_dual_sub_f32 v2, v37, v2
	scratch_store_b64 off, v[1:2], off offset:120
	v_cmpx_lt_u32_e32 14, v0
	s_cbranch_execz .LBB62_363
; %bb.362:
	scratch_load_b64 v[1:2], off, off offset:112
	v_mov_b32_e32 v22, v21
	scratch_store_b64 off, v[21:22], off offset:112
	s_wait_loadcnt 0x0
	ds_store_b64 v35, v[1:2]
.LBB62_363:
	s_wait_alu 0xfffe
	s_or_b32 exec_lo, exec_lo, s0
	s_wait_storecnt_dscnt 0x0
	s_barrier_signal -1
	s_barrier_wait -1
	global_inv scope:SCOPE_SE
	s_clause 0x4
	scratch_load_b128 v[5:8], off, off offset:120
	scratch_load_b128 v[1:4], off, off offset:136
	;; [unrolled: 1-line block ×5, first 2 shown]
	ds_load_2addr_b64 v[22:25], v21 offset0:79 offset1:80
	ds_load_2addr_b64 v[26:29], v21 offset0:81 offset1:82
	;; [unrolled: 1-line block ×3, first 2 shown]
	scratch_load_b64 v[36:37], off, off offset:112
	s_mov_b32 s0, exec_lo
	s_wait_loadcnt_dscnt 0x502
	v_dual_mul_f32 v34, v23, v6 :: v_dual_mul_f32 v39, v24, v8
	v_mul_f32_e32 v38, v22, v6
	v_mul_f32_e32 v6, v25, v8
	s_wait_loadcnt_dscnt 0x300
	v_mul_f32_e32 v40, v32, v12
	v_fma_f32 v22, v22, v5, -v34
	v_dual_fmac_f32 v39, v25, v7 :: v_dual_fmac_f32 v38, v23, v5
	v_mul_f32_e32 v25, v28, v4
	v_fma_f32 v23, v24, v7, -v6
	ds_load_2addr_b64 v[5:8], v21 offset0:85 offset1:86
	v_mul_f32_e32 v24, v26, v2
	v_mul_f32_e32 v4, v29, v4
	;; [unrolled: 1-line block ×5, first 2 shown]
	v_dual_mul_f32 v2, v27, v2 :: v_dual_fmac_f32 v25, v29, v3
	v_fmac_f32_e32 v24, v27, v1
	v_fma_f32 v27, v28, v3, -v4
	v_fmac_f32_e32 v34, v31, v9
	v_fma_f32 v28, v30, v9, -v10
	;; [unrolled: 2-line block ×3, first 2 shown]
	ds_load_2addr_b64 v[9:12], v21 offset0:87 offset1:88
	s_wait_loadcnt_dscnt 0x201
	v_mul_f32_e32 v30, v5, v14
	v_dual_mul_f32 v14, v6, v14 :: v_dual_mul_f32 v31, v7, v16
	v_mul_f32_e32 v16, v8, v16
	s_delay_alu instid0(VALU_DEP_3) | instskip(NEXT) | instid1(VALU_DEP_3)
	v_fmac_f32_e32 v30, v6, v13
	v_fma_f32 v13, v5, v13, -v14
	s_delay_alu instid0(VALU_DEP_4) | instskip(NEXT) | instid1(VALU_DEP_4)
	v_fmac_f32_e32 v31, v8, v15
	v_fma_f32 v14, v7, v15, -v16
	ds_load_2addr_b64 v[5:8], v21 offset0:89 offset1:90
	s_wait_loadcnt_dscnt 0x101
	v_mul_f32_e32 v15, v9, v18
	v_mul_f32_e32 v16, v10, v18
	;; [unrolled: 1-line block ×3, first 2 shown]
	s_delay_alu instid0(VALU_DEP_3)
	v_dual_mul_f32 v20, v12, v20 :: v_dual_fmac_f32 v15, v10, v17
	v_fma_f32 v26, v26, v1, -v2
	scratch_load_b128 v[1:4], off, off offset:200
	v_fma_f32 v16, v9, v17, -v16
	v_fmac_f32_e32 v18, v12, v19
	v_fma_f32 v17, v11, v19, -v20
	scratch_load_b128 v[9:12], off, off offset:216
	s_wait_loadcnt_dscnt 0x100
	v_mul_f32_e32 v19, v5, v2
	v_mul_f32_e32 v2, v6, v2
	;; [unrolled: 1-line block ×3, first 2 shown]
	s_delay_alu instid0(VALU_DEP_3) | instskip(NEXT) | instid1(VALU_DEP_3)
	v_dual_mul_f32 v4, v8, v4 :: v_dual_fmac_f32 v19, v6, v1
	v_fma_f32 v32, v5, v1, -v2
	s_delay_alu instid0(VALU_DEP_3) | instskip(NEXT) | instid1(VALU_DEP_3)
	v_fmac_f32_e32 v20, v8, v3
	v_fma_f32 v33, v7, v3, -v4
	ds_load_2addr_b64 v[1:4], v21 offset0:91 offset1:92
	ds_load_2addr_b64 v[5:8], v21 offset0:93 offset1:94
	s_wait_loadcnt_dscnt 0x1
	v_mul_f32_e32 v41, v1, v10
	v_mul_f32_e32 v10, v2, v10
	s_delay_alu instid0(VALU_DEP_2) | instskip(NEXT) | instid1(VALU_DEP_2)
	v_dual_mul_f32 v42, v3, v12 :: v_dual_fmac_f32 v41, v2, v9
	v_fma_f32 v43, v1, v9, -v10
	v_mul_f32_e32 v1, v4, v12
	s_delay_alu instid0(VALU_DEP_3) | instskip(NEXT) | instid1(VALU_DEP_2)
	v_fmac_f32_e32 v42, v4, v11
	v_fma_f32 v44, v3, v11, -v1
	s_clause 0x1
	scratch_load_b128 v[1:4], off, off offset:232
	scratch_load_b128 v[9:12], off, off offset:248
	s_wait_loadcnt_dscnt 0x100
	v_mul_f32_e32 v171, v5, v2
	v_dual_mul_f32 v2, v6, v2 :: v_dual_mul_f32 v173, v7, v4
	s_delay_alu instid0(VALU_DEP_2) | instskip(NEXT) | instid1(VALU_DEP_2)
	v_fmac_f32_e32 v171, v6, v1
	v_fma_f32 v172, v5, v1, -v2
	v_mul_f32_e32 v1, v8, v4
	s_delay_alu instid0(VALU_DEP_4) | instskip(NEXT) | instid1(VALU_DEP_2)
	v_fmac_f32_e32 v173, v8, v3
	v_fma_f32 v174, v7, v3, -v1
	ds_load_2addr_b64 v[1:4], v21 offset0:95 offset1:96
	ds_load_2addr_b64 v[5:8], v21 offset0:97 offset1:98
	s_wait_loadcnt_dscnt 0x1
	v_mul_f32_e32 v175, v1, v10
	v_mul_f32_e32 v177, v3, v12
	s_delay_alu instid0(VALU_DEP_2) | instskip(NEXT) | instid1(VALU_DEP_2)
	v_fmac_f32_e32 v175, v2, v9
	v_dual_mul_f32 v2, v2, v10 :: v_dual_fmac_f32 v177, v4, v11
	s_delay_alu instid0(VALU_DEP_1) | instskip(SKIP_1) | instid1(VALU_DEP_1)
	v_fma_f32 v176, v1, v9, -v2
	v_mul_f32_e32 v1, v4, v12
	v_fma_f32 v178, v3, v11, -v1
	s_clause 0x1
	scratch_load_b128 v[1:4], off, off offset:264
	scratch_load_b128 v[9:12], off, off offset:280
	s_wait_loadcnt_dscnt 0x100
	v_mul_f32_e32 v179, v5, v2
	v_dual_mul_f32 v2, v6, v2 :: v_dual_mul_f32 v181, v7, v4
	s_delay_alu instid0(VALU_DEP_2) | instskip(NEXT) | instid1(VALU_DEP_2)
	v_fmac_f32_e32 v179, v6, v1
	v_fma_f32 v180, v5, v1, -v2
	v_mul_f32_e32 v1, v8, v4
	s_delay_alu instid0(VALU_DEP_4) | instskip(NEXT) | instid1(VALU_DEP_2)
	v_fmac_f32_e32 v181, v8, v3
	v_fma_f32 v182, v7, v3, -v1
	ds_load_2addr_b64 v[1:4], v21 offset0:99 offset1:100
	ds_load_2addr_b64 v[5:8], v21 offset0:101 offset1:102
	s_wait_loadcnt_dscnt 0x1
	v_mul_f32_e32 v183, v1, v10
	v_mul_f32_e32 v185, v3, v12
	s_delay_alu instid0(VALU_DEP_2) | instskip(NEXT) | instid1(VALU_DEP_2)
	v_fmac_f32_e32 v183, v2, v9
	v_dual_mul_f32 v2, v2, v10 :: v_dual_fmac_f32 v185, v4, v11
	s_delay_alu instid0(VALU_DEP_1) | instskip(SKIP_1) | instid1(VALU_DEP_1)
	v_fma_f32 v184, v1, v9, -v2
	v_mul_f32_e32 v1, v4, v12
	;; [unrolled: 25-line block ×6, first 2 shown]
	v_fma_f32 v218, v3, v11, -v1
	s_clause 0x1
	scratch_load_b128 v[1:4], off, off offset:424
	scratch_load_b128 v[9:12], off, off offset:440
	s_wait_loadcnt_dscnt 0x100
	v_mul_f32_e32 v219, v5, v2
	v_mul_f32_e32 v2, v6, v2
	s_delay_alu instid0(VALU_DEP_2) | instskip(NEXT) | instid1(VALU_DEP_2)
	v_fmac_f32_e32 v219, v6, v1
	v_fma_f32 v220, v5, v1, -v2
	v_dual_add_f32 v2, 0, v38 :: v_dual_mul_f32 v1, v8, v4
	s_delay_alu instid0(VALU_DEP_1) | instskip(NEXT) | instid1(VALU_DEP_2)
	v_add_f32_e32 v2, v2, v39
	v_fma_f32 v222, v7, v3, -v1
	s_delay_alu instid0(VALU_DEP_2) | instskip(NEXT) | instid1(VALU_DEP_1)
	v_add_f32_e32 v2, v2, v24
	v_add_f32_e32 v2, v2, v25
	s_delay_alu instid0(VALU_DEP_1) | instskip(NEXT) | instid1(VALU_DEP_1)
	v_add_f32_e32 v2, v2, v34
	v_add_f32_e32 v2, v2, v40
	s_delay_alu instid0(VALU_DEP_1) | instskip(NEXT) | instid1(VALU_DEP_1)
	v_add_f32_e32 v2, v2, v30
	v_dual_add_f32 v1, 0, v22 :: v_dual_add_f32 v2, v2, v31
	s_delay_alu instid0(VALU_DEP_1) | instskip(NEXT) | instid1(VALU_DEP_1)
	v_add_f32_e32 v1, v1, v23
	v_dual_add_f32 v2, v2, v15 :: v_dual_add_f32 v1, v1, v26
	s_delay_alu instid0(VALU_DEP_1) | instskip(NEXT) | instid1(VALU_DEP_1)
	v_dual_add_f32 v2, v2, v18 :: v_dual_add_f32 v1, v1, v27
	v_add_f32_e32 v2, v2, v19
	s_delay_alu instid0(VALU_DEP_1) | instskip(NEXT) | instid1(VALU_DEP_1)
	v_add_f32_e32 v2, v2, v20
	v_add_f32_e32 v2, v2, v41
	s_delay_alu instid0(VALU_DEP_1) | instskip(NEXT) | instid1(VALU_DEP_1)
	v_add_f32_e32 v2, v2, v42
	;; [unrolled: 3-line block ×4, first 2 shown]
	v_add_f32_e32 v2, v2, v179
	s_delay_alu instid0(VALU_DEP_1) | instskip(NEXT) | instid1(VALU_DEP_1)
	v_dual_add_f32 v2, v2, v181 :: v_dual_add_f32 v1, v1, v28
	v_dual_add_f32 v2, v2, v183 :: v_dual_add_f32 v1, v1, v29
	s_delay_alu instid0(VALU_DEP_1) | instskip(NEXT) | instid1(VALU_DEP_1)
	v_add_f32_e32 v2, v2, v185
	v_dual_add_f32 v1, v1, v13 :: v_dual_add_f32 v2, v2, v187
	s_delay_alu instid0(VALU_DEP_1) | instskip(NEXT) | instid1(VALU_DEP_1)
	v_dual_add_f32 v2, v2, v189 :: v_dual_add_f32 v1, v1, v14
	v_add_f32_e32 v1, v1, v16
	s_delay_alu instid0(VALU_DEP_1) | instskip(NEXT) | instid1(VALU_DEP_1)
	v_add_f32_e32 v1, v1, v17
	v_add_f32_e32 v1, v1, v32
	s_delay_alu instid0(VALU_DEP_1) | instskip(NEXT) | instid1(VALU_DEP_1)
	v_add_f32_e32 v1, v1, v33
	v_add_f32_e32 v1, v1, v43
	s_delay_alu instid0(VALU_DEP_1) | instskip(NEXT) | instid1(VALU_DEP_1)
	v_add_f32_e32 v1, v1, v44
	v_add_f32_e32 v1, v1, v172
	s_delay_alu instid0(VALU_DEP_1) | instskip(NEXT) | instid1(VALU_DEP_1)
	v_add_f32_e32 v1, v1, v174
	v_add_f32_e32 v1, v1, v176
	s_delay_alu instid0(VALU_DEP_1) | instskip(NEXT) | instid1(VALU_DEP_1)
	v_add_f32_e32 v1, v1, v178
	v_add_f32_e32 v1, v1, v180
	s_delay_alu instid0(VALU_DEP_1) | instskip(NEXT) | instid1(VALU_DEP_1)
	v_add_f32_e32 v1, v1, v182
	v_add_f32_e32 v1, v1, v184
	s_delay_alu instid0(VALU_DEP_1) | instskip(NEXT) | instid1(VALU_DEP_1)
	v_add_f32_e32 v1, v1, v186
	v_add_f32_e32 v1, v1, v188
	s_delay_alu instid0(VALU_DEP_1) | instskip(NEXT) | instid1(VALU_DEP_1)
	v_add_f32_e32 v1, v1, v190
	v_add_f32_e32 v1, v1, v192
	s_delay_alu instid0(VALU_DEP_1) | instskip(NEXT) | instid1(VALU_DEP_1)
	v_dual_add_f32 v6, v1, v194 :: v_dual_add_f32 v5, v2, v191
	v_dual_add_f32 v6, v6, v196 :: v_dual_add_f32 v5, v5, v193
	s_delay_alu instid0(VALU_DEP_1) | instskip(NEXT) | instid1(VALU_DEP_2)
	v_add_f32_e32 v13, v6, v198
	v_add_f32_e32 v5, v5, v195
	v_mul_f32_e32 v221, v7, v4
	s_delay_alu instid0(VALU_DEP_3) | instskip(NEXT) | instid1(VALU_DEP_2)
	v_add_f32_e32 v13, v13, v200
	v_dual_add_f32 v14, v5, v197 :: v_dual_fmac_f32 v221, v8, v3
	ds_load_2addr_b64 v[1:4], v21 offset0:119 offset1:120
	ds_load_2addr_b64 v[5:8], v21 offset0:121 offset1:122
	v_add_f32_e32 v13, v13, v202
	s_delay_alu instid0(VALU_DEP_1) | instskip(NEXT) | instid1(VALU_DEP_1)
	v_add_f32_e32 v13, v13, v204
	v_add_f32_e32 v18, v13, v206
	s_wait_loadcnt_dscnt 0x1
	s_delay_alu instid0(VALU_DEP_1) | instskip(SKIP_4) | instid1(VALU_DEP_4)
	v_dual_add_f32 v18, v18, v208 :: v_dual_mul_f32 v25, v1, v10
	v_mul_f32_e32 v26, v3, v12
	v_mul_f32_e32 v10, v2, v10
	;; [unrolled: 1-line block ×3, first 2 shown]
	v_add_f32_e32 v14, v14, v199
	v_dual_fmac_f32 v25, v2, v9 :: v_dual_fmac_f32 v26, v4, v11
	s_delay_alu instid0(VALU_DEP_4) | instskip(NEXT) | instid1(VALU_DEP_4)
	v_fma_f32 v27, v1, v9, -v10
	v_fma_f32 v28, v3, v11, -v12
	s_clause 0x1
	scratch_load_b128 v[1:4], off, off offset:456
	scratch_load_b128 v[9:12], off, off offset:472
	v_add_f32_e32 v14, v14, v201
	v_add_f32_e32 v18, v18, v210
	s_delay_alu instid0(VALU_DEP_2) | instskip(SKIP_2) | instid1(VALU_DEP_1)
	v_add_f32_e32 v17, v14, v203
	scratch_load_b128 v[13:16], off, off offset:488
	v_dual_add_f32 v22, v18, v212 :: v_dual_add_f32 v17, v17, v205
	v_add_f32_e32 v29, v22, v214
	s_delay_alu instid0(VALU_DEP_2) | instskip(NEXT) | instid1(VALU_DEP_2)
	v_add_f32_e32 v17, v17, v207
	v_add_f32_e32 v29, v29, v216
	s_delay_alu instid0(VALU_DEP_2) | instskip(NEXT) | instid1(VALU_DEP_2)
	v_add_f32_e32 v17, v17, v209
	v_add_f32_e32 v29, v29, v218
	s_delay_alu instid0(VALU_DEP_1) | instskip(NEXT) | instid1(VALU_DEP_1)
	v_add_f32_e32 v29, v29, v220
	v_add_f32_e32 v29, v29, v222
	s_wait_loadcnt_dscnt 0x200
	s_delay_alu instid0(VALU_DEP_1)
	v_dual_add_f32 v27, v29, v27 :: v_dual_mul_f32 v32, v7, v4
	v_add_f32_e32 v23, v17, v211
	ds_load_2addr_b64 v[17:20], v21 offset0:123 offset1:124
	v_mul_f32_e32 v31, v5, v2
	v_mul_f32_e32 v2, v6, v2
	;; [unrolled: 1-line block ×3, first 2 shown]
	v_add_f32_e32 v30, v23, v213
	ds_load_2addr_b64 v[21:24], v21 offset0:125 offset1:126
	v_fmac_f32_e32 v31, v6, v1
	v_fma_f32 v2, v5, v1, -v2
	v_dual_add_f32 v1, v27, v28 :: v_dual_fmac_f32 v32, v8, v3
	v_fma_f32 v3, v7, v3, -v4
	s_delay_alu instid0(VALU_DEP_2) | instskip(SKIP_1) | instid1(VALU_DEP_1)
	v_add_f32_e32 v1, v1, v2
	s_wait_loadcnt_dscnt 0x101
	v_dual_add_f32 v1, v1, v3 :: v_dual_mul_f32 v34, v19, v12
	v_dual_add_f32 v30, v30, v215 :: v_dual_mul_f32 v33, v17, v10
	v_mul_f32_e32 v6, v18, v10
	v_mul_f32_e32 v4, v20, v12
	s_wait_loadcnt_dscnt 0x0
	v_mul_f32_e32 v38, v21, v14
	v_add_f32_e32 v30, v30, v217
	v_fmac_f32_e32 v33, v18, v9
	v_dual_mul_f32 v3, v22, v14 :: v_dual_fmac_f32 v34, v20, v11
	v_fma_f32 v4, v19, v11, -v4
	s_delay_alu instid0(VALU_DEP_4) | instskip(SKIP_1) | instid1(VALU_DEP_4)
	v_dual_add_f32 v30, v30, v219 :: v_dual_mul_f32 v29, v23, v16
	v_fmac_f32_e32 v38, v22, v13
	v_fma_f32 v3, v21, v13, -v3
	s_delay_alu instid0(VALU_DEP_3) | instskip(NEXT) | instid1(VALU_DEP_1)
	v_dual_add_f32 v30, v30, v221 :: v_dual_fmac_f32 v29, v24, v15
	v_add_f32_e32 v25, v30, v25
	s_delay_alu instid0(VALU_DEP_1) | instskip(NEXT) | instid1(VALU_DEP_1)
	v_add_f32_e32 v5, v25, v26
	v_add_f32_e32 v2, v5, v31
	v_fma_f32 v5, v17, v9, -v6
	s_delay_alu instid0(VALU_DEP_1) | instskip(NEXT) | instid1(VALU_DEP_1)
	v_dual_add_f32 v2, v2, v32 :: v_dual_add_f32 v1, v1, v5
	v_dual_mul_f32 v5, v24, v16 :: v_dual_add_f32 v2, v2, v33
	s_delay_alu instid0(VALU_DEP_2) | instskip(NEXT) | instid1(VALU_DEP_2)
	v_add_f32_e32 v1, v1, v4
	v_fma_f32 v4, v23, v15, -v5
	s_delay_alu instid0(VALU_DEP_2) | instskip(NEXT) | instid1(VALU_DEP_1)
	v_dual_add_f32 v2, v2, v34 :: v_dual_add_f32 v1, v1, v3
	v_dual_add_f32 v2, v2, v38 :: v_dual_add_f32 v1, v1, v4
	s_delay_alu instid0(VALU_DEP_1) | instskip(NEXT) | instid1(VALU_DEP_1)
	v_add_f32_e32 v2, v2, v29
	v_dual_sub_f32 v1, v36, v1 :: v_dual_sub_f32 v2, v37, v2
	scratch_store_b64 off, v[1:2], off offset:112
	v_cmpx_lt_u32_e32 13, v0
	s_cbranch_execz .LBB62_365
; %bb.364:
	scratch_load_b64 v[1:2], off, off offset:104
	v_mov_b32_e32 v3, 0
	s_delay_alu instid0(VALU_DEP_1)
	v_mov_b32_e32 v4, v3
	scratch_store_b64 off, v[3:4], off offset:104
	s_wait_loadcnt 0x0
	ds_store_b64 v35, v[1:2]
.LBB62_365:
	s_wait_alu 0xfffe
	s_or_b32 exec_lo, exec_lo, s0
	s_wait_storecnt_dscnt 0x0
	s_barrier_signal -1
	s_barrier_wait -1
	global_inv scope:SCOPE_SE
	s_clause 0x4
	scratch_load_b128 v[5:8], off, off offset:112
	scratch_load_b128 v[1:4], off, off offset:128
	;; [unrolled: 1-line block ×5, first 2 shown]
	v_mov_b32_e32 v25, 0
	ds_load_b128 v[21:24], v25 offset:624
	ds_load_b128 v[26:29], v25 offset:640
	;; [unrolled: 1-line block ×3, first 2 shown]
	scratch_load_b64 v[36:37], off, off offset:104
	s_mov_b32 s0, exec_lo
	s_wait_loadcnt_dscnt 0x502
	v_mul_f32_e32 v34, v22, v6
	v_dual_mul_f32 v38, v21, v6 :: v_dual_mul_f32 v39, v23, v8
	v_mul_f32_e32 v6, v24, v8
	s_wait_loadcnt_dscnt 0x300
	v_mul_f32_e32 v40, v32, v12
	v_fma_f32 v21, v21, v5, -v34
	v_dual_fmac_f32 v38, v22, v5 :: v_dual_fmac_f32 v39, v24, v7
	v_fma_f32 v22, v23, v7, -v6
	ds_load_b128 v[5:8], v25 offset:672
	v_dual_mul_f32 v23, v26, v2 :: v_dual_mul_f32 v24, v28, v4
	v_mul_f32_e32 v4, v29, v4
	v_mul_f32_e32 v34, v30, v10
	;; [unrolled: 1-line block ×5, first 2 shown]
	v_dual_fmac_f32 v23, v27, v1 :: v_dual_fmac_f32 v24, v29, v3
	v_fma_f32 v27, v28, v3, -v4
	v_fmac_f32_e32 v34, v31, v9
	v_fma_f32 v28, v30, v9, -v10
	v_fmac_f32_e32 v40, v33, v11
	v_fma_f32 v29, v32, v11, -v12
	ds_load_b128 v[9:12], v25 offset:688
	s_wait_loadcnt_dscnt 0x201
	v_dual_mul_f32 v31, v7, v16 :: v_dual_mul_f32 v30, v5, v14
	v_mul_f32_e32 v14, v6, v14
	v_mul_f32_e32 v16, v8, v16
	s_delay_alu instid0(VALU_DEP_3)
	v_fmac_f32_e32 v31, v8, v15
	v_fma_f32 v26, v26, v1, -v2
	scratch_load_b128 v[1:4], off, off offset:192
	v_fmac_f32_e32 v30, v6, v13
	v_fma_f32 v13, v5, v13, -v14
	v_fma_f32 v14, v7, v15, -v16
	ds_load_b128 v[5:8], v25 offset:704
	s_wait_loadcnt_dscnt 0x201
	v_mul_f32_e32 v15, v9, v18
	v_mul_f32_e32 v16, v10, v18
	;; [unrolled: 1-line block ×3, first 2 shown]
	s_delay_alu instid0(VALU_DEP_3) | instskip(NEXT) | instid1(VALU_DEP_3)
	v_dual_mul_f32 v20, v12, v20 :: v_dual_fmac_f32 v15, v10, v17
	v_fma_f32 v16, v9, v17, -v16
	s_delay_alu instid0(VALU_DEP_3) | instskip(NEXT) | instid1(VALU_DEP_3)
	v_fmac_f32_e32 v18, v12, v19
	v_fma_f32 v17, v11, v19, -v20
	scratch_load_b128 v[9:12], off, off offset:208
	s_wait_loadcnt_dscnt 0x100
	v_mul_f32_e32 v19, v5, v2
	v_mul_f32_e32 v2, v6, v2
	;; [unrolled: 1-line block ×3, first 2 shown]
	s_delay_alu instid0(VALU_DEP_3) | instskip(NEXT) | instid1(VALU_DEP_3)
	v_dual_mul_f32 v4, v8, v4 :: v_dual_fmac_f32 v19, v6, v1
	v_fma_f32 v32, v5, v1, -v2
	s_delay_alu instid0(VALU_DEP_3) | instskip(NEXT) | instid1(VALU_DEP_3)
	v_fmac_f32_e32 v20, v8, v3
	v_fma_f32 v33, v7, v3, -v4
	ds_load_b128 v[1:4], v25 offset:720
	ds_load_b128 v[5:8], v25 offset:736
	s_wait_loadcnt_dscnt 0x1
	v_mul_f32_e32 v41, v1, v10
	v_mul_f32_e32 v10, v2, v10
	s_delay_alu instid0(VALU_DEP_2) | instskip(NEXT) | instid1(VALU_DEP_2)
	v_dual_mul_f32 v42, v3, v12 :: v_dual_fmac_f32 v41, v2, v9
	v_fma_f32 v43, v1, v9, -v10
	v_mul_f32_e32 v1, v4, v12
	s_delay_alu instid0(VALU_DEP_3) | instskip(NEXT) | instid1(VALU_DEP_2)
	v_fmac_f32_e32 v42, v4, v11
	v_fma_f32 v44, v3, v11, -v1
	s_clause 0x1
	scratch_load_b128 v[1:4], off, off offset:224
	scratch_load_b128 v[9:12], off, off offset:240
	s_wait_loadcnt_dscnt 0x100
	v_mul_f32_e32 v171, v5, v2
	v_dual_mul_f32 v2, v6, v2 :: v_dual_mul_f32 v173, v7, v4
	s_delay_alu instid0(VALU_DEP_2) | instskip(NEXT) | instid1(VALU_DEP_2)
	v_fmac_f32_e32 v171, v6, v1
	v_fma_f32 v172, v5, v1, -v2
	v_mul_f32_e32 v1, v8, v4
	s_delay_alu instid0(VALU_DEP_4) | instskip(NEXT) | instid1(VALU_DEP_2)
	v_fmac_f32_e32 v173, v8, v3
	v_fma_f32 v174, v7, v3, -v1
	ds_load_b128 v[1:4], v25 offset:752
	ds_load_b128 v[5:8], v25 offset:768
	s_wait_loadcnt_dscnt 0x1
	v_mul_f32_e32 v175, v1, v10
	v_mul_f32_e32 v177, v3, v12
	s_delay_alu instid0(VALU_DEP_2) | instskip(NEXT) | instid1(VALU_DEP_2)
	v_fmac_f32_e32 v175, v2, v9
	v_dual_mul_f32 v2, v2, v10 :: v_dual_fmac_f32 v177, v4, v11
	s_delay_alu instid0(VALU_DEP_1) | instskip(SKIP_1) | instid1(VALU_DEP_1)
	v_fma_f32 v176, v1, v9, -v2
	v_mul_f32_e32 v1, v4, v12
	v_fma_f32 v178, v3, v11, -v1
	s_clause 0x1
	scratch_load_b128 v[1:4], off, off offset:256
	scratch_load_b128 v[9:12], off, off offset:272
	s_wait_loadcnt_dscnt 0x100
	v_mul_f32_e32 v179, v5, v2
	v_dual_mul_f32 v2, v6, v2 :: v_dual_mul_f32 v181, v7, v4
	s_delay_alu instid0(VALU_DEP_2) | instskip(NEXT) | instid1(VALU_DEP_2)
	v_fmac_f32_e32 v179, v6, v1
	v_fma_f32 v180, v5, v1, -v2
	v_mul_f32_e32 v1, v8, v4
	s_delay_alu instid0(VALU_DEP_4) | instskip(NEXT) | instid1(VALU_DEP_2)
	v_fmac_f32_e32 v181, v8, v3
	v_fma_f32 v182, v7, v3, -v1
	ds_load_b128 v[1:4], v25 offset:784
	ds_load_b128 v[5:8], v25 offset:800
	s_wait_loadcnt_dscnt 0x1
	v_mul_f32_e32 v183, v1, v10
	v_mul_f32_e32 v185, v3, v12
	s_delay_alu instid0(VALU_DEP_2) | instskip(NEXT) | instid1(VALU_DEP_2)
	v_fmac_f32_e32 v183, v2, v9
	v_dual_mul_f32 v2, v2, v10 :: v_dual_fmac_f32 v185, v4, v11
	s_delay_alu instid0(VALU_DEP_1) | instskip(SKIP_1) | instid1(VALU_DEP_1)
	v_fma_f32 v184, v1, v9, -v2
	v_mul_f32_e32 v1, v4, v12
	;; [unrolled: 25-line block ×6, first 2 shown]
	v_fma_f32 v218, v3, v11, -v1
	s_clause 0x1
	scratch_load_b128 v[1:4], off, off offset:416
	scratch_load_b128 v[9:12], off, off offset:432
	s_wait_loadcnt_dscnt 0x100
	v_mul_f32_e32 v219, v5, v2
	v_mul_f32_e32 v2, v6, v2
	s_delay_alu instid0(VALU_DEP_2) | instskip(NEXT) | instid1(VALU_DEP_2)
	v_fmac_f32_e32 v219, v6, v1
	v_fma_f32 v220, v5, v1, -v2
	v_dual_add_f32 v2, 0, v38 :: v_dual_mul_f32 v1, v8, v4
	s_delay_alu instid0(VALU_DEP_1) | instskip(NEXT) | instid1(VALU_DEP_2)
	v_add_f32_e32 v2, v2, v39
	v_fma_f32 v222, v7, v3, -v1
	s_delay_alu instid0(VALU_DEP_2) | instskip(NEXT) | instid1(VALU_DEP_1)
	v_dual_add_f32 v1, 0, v21 :: v_dual_add_f32 v2, v2, v23
	v_dual_add_f32 v1, v1, v22 :: v_dual_add_f32 v2, v2, v24
	s_delay_alu instid0(VALU_DEP_1) | instskip(NEXT) | instid1(VALU_DEP_1)
	v_add_f32_e32 v2, v2, v34
	v_add_f32_e32 v2, v2, v40
	s_delay_alu instid0(VALU_DEP_1) | instskip(NEXT) | instid1(VALU_DEP_1)
	v_add_f32_e32 v2, v2, v30
	v_dual_add_f32 v1, v1, v26 :: v_dual_add_f32 v2, v2, v31
	s_delay_alu instid0(VALU_DEP_1) | instskip(SKIP_2) | instid1(VALU_DEP_1)
	v_add_f32_e32 v1, v1, v27
	scratch_load_b64 v[26:27], off, off offset:496
	v_dual_add_f32 v2, v2, v15 :: v_dual_add_f32 v1, v1, v28
	v_dual_add_f32 v2, v2, v18 :: v_dual_add_f32 v1, v1, v29
	s_delay_alu instid0(VALU_DEP_1) | instskip(NEXT) | instid1(VALU_DEP_1)
	v_dual_add_f32 v2, v2, v19 :: v_dual_add_f32 v1, v1, v13
	v_dual_add_f32 v2, v2, v20 :: v_dual_add_f32 v1, v1, v14
	s_delay_alu instid0(VALU_DEP_1) | instskip(NEXT) | instid1(VALU_DEP_1)
	;; [unrolled: 3-line block ×3, first 2 shown]
	v_dual_add_f32 v2, v2, v171 :: v_dual_add_f32 v1, v1, v32
	v_add_f32_e32 v2, v2, v173
	s_delay_alu instid0(VALU_DEP_1) | instskip(NEXT) | instid1(VALU_DEP_1)
	v_dual_add_f32 v1, v1, v33 :: v_dual_add_f32 v2, v2, v175
	v_dual_add_f32 v1, v1, v43 :: v_dual_add_f32 v2, v2, v177
	s_delay_alu instid0(VALU_DEP_1) | instskip(NEXT) | instid1(VALU_DEP_1)
	v_dual_add_f32 v1, v1, v44 :: v_dual_add_f32 v2, v2, v179
	v_dual_add_f32 v1, v1, v172 :: v_dual_add_f32 v2, v2, v181
	;; [unrolled: 3-line block ×3, first 2 shown]
	s_delay_alu instid0(VALU_DEP_1) | instskip(NEXT) | instid1(VALU_DEP_1)
	v_add_f32_e32 v1, v1, v178
	v_add_f32_e32 v1, v1, v180
	s_delay_alu instid0(VALU_DEP_1) | instskip(NEXT) | instid1(VALU_DEP_1)
	v_add_f32_e32 v1, v1, v182
	v_add_f32_e32 v1, v1, v184
	;; [unrolled: 3-line block ×4, first 2 shown]
	s_delay_alu instid0(VALU_DEP_1) | instskip(SKIP_1) | instid1(VALU_DEP_2)
	v_add_f32_e32 v6, v1, v194
	v_add_f32_e32 v2, v2, v187
	;; [unrolled: 1-line block ×3, first 2 shown]
	s_delay_alu instid0(VALU_DEP_2) | instskip(NEXT) | instid1(VALU_DEP_2)
	v_add_f32_e32 v2, v2, v189
	v_add_f32_e32 v13, v6, v198
	s_delay_alu instid0(VALU_DEP_2) | instskip(NEXT) | instid1(VALU_DEP_2)
	v_add_f32_e32 v5, v2, v191
	v_add_f32_e32 v13, v13, v200
	s_delay_alu instid0(VALU_DEP_2) | instskip(NEXT) | instid1(VALU_DEP_2)
	v_add_f32_e32 v5, v5, v193
	v_add_f32_e32 v13, v13, v202
	s_delay_alu instid0(VALU_DEP_2) | instskip(SKIP_1) | instid1(VALU_DEP_3)
	v_add_f32_e32 v5, v5, v195
	v_mul_f32_e32 v221, v7, v4
	v_add_f32_e32 v13, v13, v204
	s_delay_alu instid0(VALU_DEP_2) | instskip(SKIP_4) | instid1(VALU_DEP_2)
	v_dual_add_f32 v14, v5, v197 :: v_dual_fmac_f32 v221, v8, v3
	ds_load_b128 v[1:4], v25 offset:944
	ds_load_b128 v[5:8], v25 offset:960
	v_add_f32_e32 v18, v13, v206
	v_add_f32_e32 v14, v14, v199
	;; [unrolled: 1-line block ×3, first 2 shown]
	s_delay_alu instid0(VALU_DEP_2) | instskip(NEXT) | instid1(VALU_DEP_2)
	v_add_f32_e32 v14, v14, v201
	v_add_f32_e32 v18, v18, v210
	s_delay_alu instid0(VALU_DEP_1)
	v_add_f32_e32 v18, v18, v212
	s_wait_loadcnt_dscnt 0x101
	v_mul_f32_e32 v30, v1, v10
	v_dual_mul_f32 v10, v2, v10 :: v_dual_mul_f32 v31, v3, v12
	v_mul_f32_e32 v12, v4, v12
	v_add_f32_e32 v18, v18, v214
	s_delay_alu instid0(VALU_DEP_4) | instskip(NEXT) | instid1(VALU_DEP_4)
	v_fmac_f32_e32 v30, v2, v9
	v_fma_f32 v32, v1, v9, -v10
	v_fmac_f32_e32 v31, v4, v11
	v_fma_f32 v33, v3, v11, -v12
	s_clause 0x1
	scratch_load_b128 v[1:4], off, off offset:448
	scratch_load_b128 v[9:12], off, off offset:464
	v_add_f32_e32 v28, v18, v216
	s_delay_alu instid0(VALU_DEP_1) | instskip(SKIP_2) | instid1(VALU_DEP_1)
	v_dual_add_f32 v34, v28, v218 :: v_dual_add_f32 v17, v14, v203
	scratch_load_b128 v[13:16], off, off offset:480
	v_dual_add_f32 v34, v34, v220 :: v_dual_add_f32 v17, v17, v205
	v_add_f32_e32 v34, v34, v222
	s_delay_alu instid0(VALU_DEP_1) | instskip(NEXT) | instid1(VALU_DEP_1)
	v_add_f32_e32 v32, v34, v32
	v_add_f32_e32 v32, v32, v33
	s_wait_loadcnt_dscnt 0x200
	v_dual_mul_f32 v40, v7, v4 :: v_dual_add_f32 v17, v17, v207
	v_dual_mul_f32 v4, v8, v4 :: v_dual_mul_f32 v39, v5, v2
	v_mul_f32_e32 v2, v6, v2
	s_delay_alu instid0(VALU_DEP_3) | instskip(NEXT) | instid1(VALU_DEP_3)
	v_dual_fmac_f32 v40, v8, v3 :: v_dual_add_f32 v17, v17, v209
	v_fmac_f32_e32 v39, v6, v1
	s_delay_alu instid0(VALU_DEP_3) | instskip(SKIP_1) | instid1(VALU_DEP_2)
	v_fma_f32 v2, v5, v1, -v2
	v_fma_f32 v1, v7, v3, -v4
	v_dual_add_f32 v17, v17, v211 :: v_dual_add_f32 v2, v32, v2
	s_delay_alu instid0(VALU_DEP_1)
	v_add_f32_e32 v21, v17, v213
	ds_load_b128 v[17:20], v25 offset:976
	v_add_f32_e32 v1, v2, v1
	v_add_f32_e32 v29, v21, v215
	ds_load_b128 v[21:24], v25 offset:992
	v_add_f32_e32 v38, v29, v217
	ds_load_b64 v[28:29], v25 offset:1008
	v_add_f32_e32 v38, v38, v219
	s_delay_alu instid0(VALU_DEP_1) | instskip(SKIP_3) | instid1(VALU_DEP_3)
	v_add_f32_e32 v38, v38, v221
	s_wait_loadcnt_dscnt 0x102
	v_mul_f32_e32 v34, v17, v10
	v_mul_f32_e32 v3, v18, v10
	v_dual_mul_f32 v5, v20, v12 :: v_dual_add_f32 v30, v38, v30
	v_mul_f32_e32 v38, v19, v12
	s_delay_alu instid0(VALU_DEP_4) | instskip(NEXT) | instid1(VALU_DEP_4)
	v_fmac_f32_e32 v34, v18, v9
	v_fma_f32 v3, v17, v9, -v3
	s_wait_loadcnt_dscnt 0x1
	v_dual_mul_f32 v41, v21, v14 :: v_dual_add_f32 v30, v30, v31
	v_fmac_f32_e32 v38, v20, v11
	v_fma_f32 v5, v19, v11, -v5
	v_add_f32_e32 v1, v1, v3
	s_delay_alu instid0(VALU_DEP_4) | instskip(SKIP_2) | instid1(VALU_DEP_4)
	v_dual_mul_f32 v33, v23, v16 :: v_dual_add_f32 v4, v30, v39
	v_mul_f32_e32 v3, v24, v16
	v_fmac_f32_e32 v41, v22, v13
	v_add_f32_e32 v1, v1, v5
	s_wait_dscnt 0x0
	v_mul_f32_e32 v31, v28, v27
	v_add_f32_e32 v2, v4, v40
	v_dual_mul_f32 v4, v22, v14 :: v_dual_mul_f32 v5, v29, v27
	v_fmac_f32_e32 v33, v24, v15
	v_fma_f32 v3, v23, v15, -v3
	s_delay_alu instid0(VALU_DEP_4) | instskip(NEXT) | instid1(VALU_DEP_4)
	v_add_f32_e32 v2, v2, v34
	v_fma_f32 v4, v21, v13, -v4
	v_fmac_f32_e32 v31, v29, v26
	s_delay_alu instid0(VALU_DEP_2) | instskip(SKIP_1) | instid1(VALU_DEP_2)
	v_dual_add_f32 v2, v2, v38 :: v_dual_add_f32 v1, v1, v4
	v_fma_f32 v4, v28, v26, -v5
	v_dual_add_f32 v2, v2, v41 :: v_dual_add_f32 v1, v1, v3
	s_delay_alu instid0(VALU_DEP_1) | instskip(NEXT) | instid1(VALU_DEP_1)
	v_dual_add_f32 v2, v2, v33 :: v_dual_add_f32 v1, v1, v4
	v_dual_add_f32 v2, v2, v31 :: v_dual_sub_f32 v1, v36, v1
	s_delay_alu instid0(VALU_DEP_1)
	v_sub_f32_e32 v2, v37, v2
	scratch_store_b64 off, v[1:2], off offset:104
	v_cmpx_lt_u32_e32 12, v0
	s_cbranch_execz .LBB62_367
; %bb.366:
	scratch_load_b64 v[1:2], off, off offset:96
	v_mov_b32_e32 v26, v25
	scratch_store_b64 off, v[25:26], off offset:96
	s_wait_loadcnt 0x0
	ds_store_b64 v35, v[1:2]
.LBB62_367:
	s_wait_alu 0xfffe
	s_or_b32 exec_lo, exec_lo, s0
	s_wait_storecnt_dscnt 0x0
	s_barrier_signal -1
	s_barrier_wait -1
	global_inv scope:SCOPE_SE
	s_clause 0x4
	scratch_load_b128 v[5:8], off, off offset:104
	scratch_load_b128 v[1:4], off, off offset:120
	;; [unrolled: 1-line block ×5, first 2 shown]
	ds_load_2addr_b64 v[21:24], v25 offset0:77 offset1:78
	ds_load_2addr_b64 v[26:29], v25 offset0:79 offset1:80
	;; [unrolled: 1-line block ×3, first 2 shown]
	scratch_load_b64 v[36:37], off, off offset:96
	s_mov_b32 s0, exec_lo
	s_wait_loadcnt_dscnt 0x502
	v_mul_f32_e32 v34, v21, v6
	v_mul_f32_e32 v38, v23, v8
	s_wait_loadcnt_dscnt 0x300
	v_dual_mul_f32 v8, v24, v8 :: v_dual_mul_f32 v39, v30, v10
	v_mul_f32_e32 v6, v22, v6
	v_fmac_f32_e32 v34, v22, v5
	v_mul_f32_e32 v10, v31, v10
	s_delay_alu instid0(VALU_DEP_4)
	v_fma_f32 v22, v23, v7, -v8
	v_dual_mul_f32 v23, v26, v2 :: v_dual_fmac_f32 v38, v24, v7
	v_fmac_f32_e32 v39, v31, v9
	v_fma_f32 v21, v21, v5, -v6
	ds_load_2addr_b64 v[5:8], v25 offset0:83 offset1:84
	v_mul_f32_e32 v24, v28, v4
	v_mul_f32_e32 v4, v29, v4
	;; [unrolled: 1-line block ×5, first 2 shown]
	v_dual_fmac_f32 v23, v27, v1 :: v_dual_fmac_f32 v24, v29, v3
	v_fma_f32 v27, v28, v3, -v4
	v_fma_f32 v28, v30, v9, -v10
	v_fmac_f32_e32 v40, v33, v11
	v_fma_f32 v29, v32, v11, -v12
	ds_load_2addr_b64 v[9:12], v25 offset0:85 offset1:86
	s_wait_loadcnt_dscnt 0x201
	v_dual_mul_f32 v31, v7, v16 :: v_dual_mul_f32 v30, v5, v14
	v_mul_f32_e32 v14, v6, v14
	v_mul_f32_e32 v16, v8, v16
	s_delay_alu instid0(VALU_DEP_3)
	v_fmac_f32_e32 v31, v8, v15
	v_fma_f32 v26, v26, v1, -v2
	scratch_load_b128 v[1:4], off, off offset:184
	v_fmac_f32_e32 v30, v6, v13
	v_fma_f32 v13, v5, v13, -v14
	v_fma_f32 v14, v7, v15, -v16
	ds_load_2addr_b64 v[5:8], v25 offset0:87 offset1:88
	s_wait_loadcnt_dscnt 0x201
	v_mul_f32_e32 v15, v9, v18
	v_mul_f32_e32 v16, v10, v18
	;; [unrolled: 1-line block ×3, first 2 shown]
	s_delay_alu instid0(VALU_DEP_3) | instskip(NEXT) | instid1(VALU_DEP_3)
	v_dual_mul_f32 v20, v12, v20 :: v_dual_fmac_f32 v15, v10, v17
	v_fma_f32 v16, v9, v17, -v16
	s_delay_alu instid0(VALU_DEP_3) | instskip(NEXT) | instid1(VALU_DEP_3)
	v_fmac_f32_e32 v18, v12, v19
	v_fma_f32 v17, v11, v19, -v20
	scratch_load_b128 v[9:12], off, off offset:200
	s_wait_loadcnt_dscnt 0x100
	v_mul_f32_e32 v19, v5, v2
	v_mul_f32_e32 v2, v6, v2
	;; [unrolled: 1-line block ×3, first 2 shown]
	s_delay_alu instid0(VALU_DEP_3) | instskip(NEXT) | instid1(VALU_DEP_3)
	v_dual_mul_f32 v4, v8, v4 :: v_dual_fmac_f32 v19, v6, v1
	v_fma_f32 v32, v5, v1, -v2
	s_delay_alu instid0(VALU_DEP_3) | instskip(NEXT) | instid1(VALU_DEP_3)
	v_fmac_f32_e32 v20, v8, v3
	v_fma_f32 v33, v7, v3, -v4
	ds_load_2addr_b64 v[1:4], v25 offset0:89 offset1:90
	ds_load_2addr_b64 v[5:8], v25 offset0:91 offset1:92
	s_wait_loadcnt_dscnt 0x1
	v_mul_f32_e32 v41, v1, v10
	v_mul_f32_e32 v10, v2, v10
	s_delay_alu instid0(VALU_DEP_2) | instskip(NEXT) | instid1(VALU_DEP_2)
	v_dual_mul_f32 v42, v3, v12 :: v_dual_fmac_f32 v41, v2, v9
	v_fma_f32 v43, v1, v9, -v10
	v_mul_f32_e32 v1, v4, v12
	s_delay_alu instid0(VALU_DEP_3) | instskip(NEXT) | instid1(VALU_DEP_2)
	v_fmac_f32_e32 v42, v4, v11
	v_fma_f32 v44, v3, v11, -v1
	s_clause 0x1
	scratch_load_b128 v[1:4], off, off offset:216
	scratch_load_b128 v[9:12], off, off offset:232
	s_wait_loadcnt_dscnt 0x100
	v_mul_f32_e32 v171, v5, v2
	v_dual_mul_f32 v2, v6, v2 :: v_dual_mul_f32 v173, v7, v4
	s_delay_alu instid0(VALU_DEP_2) | instskip(NEXT) | instid1(VALU_DEP_2)
	v_fmac_f32_e32 v171, v6, v1
	v_fma_f32 v172, v5, v1, -v2
	v_mul_f32_e32 v1, v8, v4
	s_delay_alu instid0(VALU_DEP_4) | instskip(NEXT) | instid1(VALU_DEP_2)
	v_fmac_f32_e32 v173, v8, v3
	v_fma_f32 v174, v7, v3, -v1
	ds_load_2addr_b64 v[1:4], v25 offset0:93 offset1:94
	ds_load_2addr_b64 v[5:8], v25 offset0:95 offset1:96
	s_wait_loadcnt_dscnt 0x1
	v_mul_f32_e32 v175, v1, v10
	v_mul_f32_e32 v177, v3, v12
	s_delay_alu instid0(VALU_DEP_2) | instskip(NEXT) | instid1(VALU_DEP_2)
	v_fmac_f32_e32 v175, v2, v9
	v_dual_mul_f32 v2, v2, v10 :: v_dual_fmac_f32 v177, v4, v11
	s_delay_alu instid0(VALU_DEP_1) | instskip(SKIP_1) | instid1(VALU_DEP_1)
	v_fma_f32 v176, v1, v9, -v2
	v_mul_f32_e32 v1, v4, v12
	v_fma_f32 v178, v3, v11, -v1
	s_clause 0x1
	scratch_load_b128 v[1:4], off, off offset:248
	scratch_load_b128 v[9:12], off, off offset:264
	s_wait_loadcnt_dscnt 0x100
	v_mul_f32_e32 v179, v5, v2
	v_dual_mul_f32 v2, v6, v2 :: v_dual_mul_f32 v181, v7, v4
	s_delay_alu instid0(VALU_DEP_2) | instskip(NEXT) | instid1(VALU_DEP_2)
	v_fmac_f32_e32 v179, v6, v1
	v_fma_f32 v180, v5, v1, -v2
	v_mul_f32_e32 v1, v8, v4
	s_delay_alu instid0(VALU_DEP_4) | instskip(NEXT) | instid1(VALU_DEP_2)
	v_fmac_f32_e32 v181, v8, v3
	v_fma_f32 v182, v7, v3, -v1
	ds_load_2addr_b64 v[1:4], v25 offset0:97 offset1:98
	ds_load_2addr_b64 v[5:8], v25 offset0:99 offset1:100
	s_wait_loadcnt_dscnt 0x1
	v_mul_f32_e32 v183, v1, v10
	v_mul_f32_e32 v185, v3, v12
	s_delay_alu instid0(VALU_DEP_2) | instskip(NEXT) | instid1(VALU_DEP_2)
	v_fmac_f32_e32 v183, v2, v9
	v_dual_mul_f32 v2, v2, v10 :: v_dual_fmac_f32 v185, v4, v11
	s_delay_alu instid0(VALU_DEP_1) | instskip(SKIP_1) | instid1(VALU_DEP_1)
	v_fma_f32 v184, v1, v9, -v2
	v_mul_f32_e32 v1, v4, v12
	;; [unrolled: 25-line block ×6, first 2 shown]
	v_fma_f32 v218, v3, v11, -v1
	s_clause 0x1
	scratch_load_b128 v[1:4], off, off offset:408
	scratch_load_b128 v[9:12], off, off offset:424
	s_wait_loadcnt_dscnt 0x100
	v_mul_f32_e32 v219, v5, v2
	v_mul_f32_e32 v2, v6, v2
	s_delay_alu instid0(VALU_DEP_2) | instskip(NEXT) | instid1(VALU_DEP_2)
	v_fmac_f32_e32 v219, v6, v1
	v_fma_f32 v220, v5, v1, -v2
	v_add_f32_e32 v2, 0, v34
	s_delay_alu instid0(VALU_DEP_1) | instskip(NEXT) | instid1(VALU_DEP_1)
	v_add_f32_e32 v2, v2, v38
	v_add_f32_e32 v2, v2, v23
	s_delay_alu instid0(VALU_DEP_1) | instskip(NEXT) | instid1(VALU_DEP_1)
	v_add_f32_e32 v2, v2, v24
	;; [unrolled: 3-line block ×3, first 2 shown]
	v_dual_add_f32 v2, v2, v30 :: v_dual_mul_f32 v1, v8, v4
	s_delay_alu instid0(VALU_DEP_1) | instskip(NEXT) | instid1(VALU_DEP_2)
	v_add_f32_e32 v2, v2, v31
	v_fma_f32 v222, v7, v3, -v1
	s_delay_alu instid0(VALU_DEP_2) | instskip(NEXT) | instid1(VALU_DEP_1)
	v_dual_add_f32 v1, 0, v21 :: v_dual_add_f32 v2, v2, v15
	v_add_f32_e32 v1, v1, v22
	s_delay_alu instid0(VALU_DEP_2) | instskip(NEXT) | instid1(VALU_DEP_1)
	v_add_f32_e32 v2, v2, v18
	v_dual_add_f32 v1, v1, v26 :: v_dual_add_f32 v2, v2, v19
	s_delay_alu instid0(VALU_DEP_1) | instskip(NEXT) | instid1(VALU_DEP_1)
	v_dual_add_f32 v2, v2, v20 :: v_dual_add_f32 v1, v1, v27
	v_dual_add_f32 v2, v2, v41 :: v_dual_add_f32 v1, v1, v28
	s_delay_alu instid0(VALU_DEP_1) | instskip(NEXT) | instid1(VALU_DEP_1)
	v_dual_add_f32 v2, v2, v42 :: v_dual_add_f32 v1, v1, v29
	;; [unrolled: 3-line block ×3, first 2 shown]
	v_add_f32_e32 v2, v2, v175
	s_delay_alu instid0(VALU_DEP_1) | instskip(NEXT) | instid1(VALU_DEP_1)
	v_add_f32_e32 v2, v2, v177
	v_add_f32_e32 v2, v2, v179
	s_delay_alu instid0(VALU_DEP_1) | instskip(NEXT) | instid1(VALU_DEP_1)
	v_add_f32_e32 v2, v2, v181
	;; [unrolled: 3-line block ×3, first 2 shown]
	v_add_f32_e32 v2, v2, v187
	s_delay_alu instid0(VALU_DEP_1) | instskip(NEXT) | instid1(VALU_DEP_1)
	v_dual_add_f32 v2, v2, v189 :: v_dual_add_f32 v1, v1, v16
	v_add_f32_e32 v1, v1, v17
	s_delay_alu instid0(VALU_DEP_1) | instskip(NEXT) | instid1(VALU_DEP_1)
	v_add_f32_e32 v1, v1, v32
	v_add_f32_e32 v1, v1, v33
	s_delay_alu instid0(VALU_DEP_1) | instskip(NEXT) | instid1(VALU_DEP_1)
	v_add_f32_e32 v1, v1, v43
	;; [unrolled: 3-line block ×8, first 2 shown]
	v_add_f32_e32 v1, v1, v194
	s_delay_alu instid0(VALU_DEP_1) | instskip(SKIP_1) | instid1(VALU_DEP_2)
	v_add_f32_e32 v6, v1, v196
	v_dual_add_f32 v2, v2, v191 :: v_dual_mul_f32 v221, v7, v4
	v_add_f32_e32 v14, v6, v198
	s_delay_alu instid0(VALU_DEP_2) | instskip(NEXT) | instid1(VALU_DEP_3)
	v_add_f32_e32 v5, v2, v193
	v_fmac_f32_e32 v221, v8, v3
	ds_load_2addr_b64 v[1:4], v25 offset0:117 offset1:118
	v_dual_add_f32 v14, v14, v200 :: v_dual_add_f32 v13, v5, v195
	scratch_load_b128 v[5:8], off, off offset:440
	v_add_f32_e32 v17, v14, v202
	v_add_f32_e32 v13, v13, v197
	s_delay_alu instid0(VALU_DEP_2) | instskip(NEXT) | instid1(VALU_DEP_2)
	v_add_f32_e32 v17, v17, v204
	v_add_f32_e32 v13, v13, v199
	s_delay_alu instid0(VALU_DEP_2) | instskip(NEXT) | instid1(VALU_DEP_2)
	v_add_f32_e32 v17, v17, v206
	v_add_f32_e32 v18, v13, v201
	ds_load_2addr_b64 v[13:16], v25 offset0:119 offset1:120
	s_wait_loadcnt_dscnt 0x101
	v_mul_f32_e32 v26, v1, v10
	v_dual_mul_f32 v10, v2, v10 :: v_dual_mul_f32 v27, v3, v12
	v_mul_f32_e32 v12, v4, v12
	s_delay_alu instid0(VALU_DEP_3) | instskip(NEXT) | instid1(VALU_DEP_3)
	v_dual_add_f32 v17, v17, v208 :: v_dual_fmac_f32 v26, v2, v9
	v_fma_f32 v28, v1, v9, -v10
	s_delay_alu instid0(VALU_DEP_4) | instskip(NEXT) | instid1(VALU_DEP_4)
	v_fmac_f32_e32 v27, v4, v11
	v_fma_f32 v29, v3, v11, -v12
	s_clause 0x1
	scratch_load_b128 v[1:4], off, off offset:456
	scratch_load_b128 v[9:12], off, off offset:472
	v_add_f32_e32 v22, v17, v210
	v_add_f32_e32 v18, v18, v203
	s_delay_alu instid0(VALU_DEP_2) | instskip(NEXT) | instid1(VALU_DEP_2)
	v_add_f32_e32 v22, v22, v212
	v_add_f32_e32 v18, v18, v205
	s_delay_alu instid0(VALU_DEP_2) | instskip(SKIP_1) | instid1(VALU_DEP_2)
	v_add_f32_e32 v22, v22, v214
	s_wait_loadcnt_dscnt 0x200
	v_dual_mul_f32 v30, v13, v6 :: v_dual_add_f32 v21, v18, v207
	scratch_load_b128 v[17:20], off, off offset:488
	v_dual_mul_f32 v6, v14, v6 :: v_dual_mul_f32 v31, v15, v8
	v_dual_mul_f32 v8, v16, v8 :: v_dual_add_f32 v21, v21, v209
	v_fmac_f32_e32 v30, v14, v5
	s_delay_alu instid0(VALU_DEP_3) | instskip(NEXT) | instid1(VALU_DEP_4)
	v_fma_f32 v32, v13, v5, -v6
	v_fmac_f32_e32 v31, v16, v7
	s_delay_alu instid0(VALU_DEP_4) | instskip(SKIP_4) | instid1(VALU_DEP_1)
	v_fma_f32 v33, v15, v7, -v8
	v_add_f32_e32 v21, v21, v211
	ds_load_2addr_b64 v[5:8], v25 offset0:121 offset1:122
	v_add_f32_e32 v13, v21, v213
	v_add_f32_e32 v21, v22, v216
	;; [unrolled: 1-line block ×3, first 2 shown]
	s_delay_alu instid0(VALU_DEP_3)
	v_add_f32_e32 v22, v13, v215
	ds_load_2addr_b64 v[13:16], v25 offset0:123 offset1:124
	v_add_f32_e32 v38, v22, v217
	ds_load_2addr_b64 v[21:24], v25 offset0:125 offset1:126
	v_add_f32_e32 v25, v34, v220
	v_add_f32_e32 v34, v38, v219
	s_wait_loadcnt_dscnt 0x202
	v_mul_f32_e32 v38, v5, v2
	s_delay_alu instid0(VALU_DEP_3) | instskip(SKIP_2) | instid1(VALU_DEP_3)
	v_add_f32_e32 v25, v25, v222
	v_mul_f32_e32 v2, v6, v2
	v_add_f32_e32 v34, v34, v221
	v_dual_fmac_f32 v38, v6, v1 :: v_dual_add_f32 v25, v25, v28
	v_mul_f32_e32 v28, v7, v4
	v_mul_f32_e32 v4, v8, v4
	s_delay_alu instid0(VALU_DEP_4)
	v_add_f32_e32 v26, v34, v26
	v_fma_f32 v2, v5, v1, -v2
	v_add_f32_e32 v25, v25, v29
	s_wait_loadcnt_dscnt 0x101
	v_mul_f32_e32 v34, v13, v10
	v_mul_f32_e32 v6, v14, v10
	v_add_f32_e32 v26, v26, v27
	v_dual_fmac_f32 v28, v8, v3 :: v_dual_add_f32 v25, v25, v32
	v_fma_f32 v3, v7, v3, -v4
	s_delay_alu instid0(VALU_DEP_3) | instskip(NEXT) | instid1(VALU_DEP_3)
	v_dual_mul_f32 v39, v15, v12 :: v_dual_add_f32 v26, v26, v30
	v_dual_mul_f32 v4, v16, v12 :: v_dual_add_f32 v1, v25, v33
	s_delay_alu instid0(VALU_DEP_2) | instskip(NEXT) | instid1(VALU_DEP_3)
	v_dual_fmac_f32 v34, v14, v9 :: v_dual_fmac_f32 v39, v16, v11
	v_add_f32_e32 v5, v26, v31
	s_delay_alu instid0(VALU_DEP_3) | instskip(NEXT) | instid1(VALU_DEP_4)
	v_fma_f32 v4, v15, v11, -v4
	v_add_f32_e32 v1, v1, v2
	s_delay_alu instid0(VALU_DEP_3) | instskip(SKIP_1) | instid1(VALU_DEP_2)
	v_add_f32_e32 v2, v5, v38
	v_fma_f32 v5, v13, v9, -v6
	v_dual_add_f32 v1, v1, v3 :: v_dual_add_f32 v2, v2, v28
	s_delay_alu instid0(VALU_DEP_1) | instskip(NEXT) | instid1(VALU_DEP_1)
	v_dual_add_f32 v1, v1, v5 :: v_dual_add_f32 v2, v2, v34
	v_dual_add_f32 v1, v1, v4 :: v_dual_add_f32 v2, v2, v39
	s_wait_loadcnt_dscnt 0x0
	v_mul_f32_e32 v27, v21, v18
	v_mul_f32_e32 v3, v22, v18
	;; [unrolled: 1-line block ×4, first 2 shown]
	s_delay_alu instid0(VALU_DEP_4) | instskip(NEXT) | instid1(VALU_DEP_4)
	v_fmac_f32_e32 v27, v22, v17
	v_fma_f32 v3, v21, v17, -v3
	s_delay_alu instid0(VALU_DEP_4) | instskip(NEXT) | instid1(VALU_DEP_4)
	v_fmac_f32_e32 v29, v24, v19
	v_fma_f32 v4, v23, v19, -v5
	s_delay_alu instid0(VALU_DEP_4) | instskip(NEXT) | instid1(VALU_DEP_1)
	v_add_f32_e32 v2, v2, v27
	v_dual_add_f32 v1, v1, v3 :: v_dual_add_f32 v2, v2, v29
	s_delay_alu instid0(VALU_DEP_1) | instskip(NEXT) | instid1(VALU_DEP_1)
	v_add_f32_e32 v1, v1, v4
	v_dual_sub_f32 v2, v37, v2 :: v_dual_sub_f32 v1, v36, v1
	scratch_store_b64 off, v[1:2], off offset:96
	v_cmpx_lt_u32_e32 11, v0
	s_cbranch_execz .LBB62_369
; %bb.368:
	scratch_load_b64 v[1:2], off, off offset:88
	v_mov_b32_e32 v3, 0
	s_delay_alu instid0(VALU_DEP_1)
	v_mov_b32_e32 v4, v3
	scratch_store_b64 off, v[3:4], off offset:88
	s_wait_loadcnt 0x0
	ds_store_b64 v35, v[1:2]
.LBB62_369:
	s_wait_alu 0xfffe
	s_or_b32 exec_lo, exec_lo, s0
	s_wait_storecnt_dscnt 0x0
	s_barrier_signal -1
	s_barrier_wait -1
	global_inv scope:SCOPE_SE
	s_clause 0x4
	scratch_load_b128 v[5:8], off, off offset:96
	scratch_load_b128 v[1:4], off, off offset:112
	;; [unrolled: 1-line block ×5, first 2 shown]
	v_mov_b32_e32 v25, 0
	ds_load_b128 v[21:24], v25 offset:608
	ds_load_b128 v[26:29], v25 offset:624
	;; [unrolled: 1-line block ×3, first 2 shown]
	scratch_load_b64 v[36:37], off, off offset:88
	s_mov_b32 s0, exec_lo
	s_wait_loadcnt_dscnt 0x502
	v_mul_f32_e32 v34, v21, v6
	v_mul_f32_e32 v38, v23, v8
	s_wait_loadcnt_dscnt 0x300
	v_dual_mul_f32 v8, v24, v8 :: v_dual_mul_f32 v39, v30, v10
	v_mul_f32_e32 v6, v22, v6
	v_fmac_f32_e32 v34, v22, v5
	v_mul_f32_e32 v10, v31, v10
	s_delay_alu instid0(VALU_DEP_4) | instskip(SKIP_2) | instid1(VALU_DEP_2)
	v_fma_f32 v22, v23, v7, -v8
	v_dual_mul_f32 v23, v26, v2 :: v_dual_fmac_f32 v38, v24, v7
	v_dual_fmac_f32 v39, v31, v9 :: v_dual_mul_f32 v24, v28, v4
	v_dual_mul_f32 v4, v29, v4 :: v_dual_fmac_f32 v23, v27, v1
	v_fma_f32 v21, v21, v5, -v6
	ds_load_b128 v[5:8], v25 offset:656
	v_mul_f32_e32 v40, v32, v12
	v_mul_f32_e32 v12, v33, v12
	;; [unrolled: 1-line block ×3, first 2 shown]
	v_fmac_f32_e32 v24, v29, v3
	v_fma_f32 v27, v28, v3, -v4
	v_fma_f32 v28, v30, v9, -v10
	v_fmac_f32_e32 v40, v33, v11
	v_fma_f32 v29, v32, v11, -v12
	ds_load_b128 v[9:12], v25 offset:672
	s_wait_loadcnt_dscnt 0x201
	v_dual_mul_f32 v31, v7, v16 :: v_dual_mul_f32 v30, v5, v14
	v_mul_f32_e32 v14, v6, v14
	v_mul_f32_e32 v16, v8, v16
	s_delay_alu instid0(VALU_DEP_3)
	v_fmac_f32_e32 v31, v8, v15
	v_fma_f32 v26, v26, v1, -v2
	scratch_load_b128 v[1:4], off, off offset:176
	v_fmac_f32_e32 v30, v6, v13
	v_fma_f32 v13, v5, v13, -v14
	v_fma_f32 v14, v7, v15, -v16
	s_wait_loadcnt_dscnt 0x200
	v_mul_f32_e32 v15, v9, v18
	v_mul_f32_e32 v16, v10, v18
	;; [unrolled: 1-line block ×4, first 2 shown]
	ds_load_b128 v[5:8], v25 offset:688
	v_fmac_f32_e32 v15, v10, v17
	v_fma_f32 v16, v9, v17, -v16
	v_fmac_f32_e32 v18, v12, v19
	v_fma_f32 v17, v11, v19, -v20
	scratch_load_b128 v[9:12], off, off offset:192
	s_wait_loadcnt_dscnt 0x100
	v_mul_f32_e32 v19, v5, v2
	v_mul_f32_e32 v2, v6, v2
	;; [unrolled: 1-line block ×3, first 2 shown]
	s_delay_alu instid0(VALU_DEP_3) | instskip(NEXT) | instid1(VALU_DEP_3)
	v_dual_mul_f32 v4, v8, v4 :: v_dual_fmac_f32 v19, v6, v1
	v_fma_f32 v32, v5, v1, -v2
	s_delay_alu instid0(VALU_DEP_3) | instskip(NEXT) | instid1(VALU_DEP_3)
	v_fmac_f32_e32 v20, v8, v3
	v_fma_f32 v33, v7, v3, -v4
	ds_load_b128 v[1:4], v25 offset:704
	ds_load_b128 v[5:8], v25 offset:720
	s_wait_loadcnt_dscnt 0x1
	v_mul_f32_e32 v41, v1, v10
	v_mul_f32_e32 v10, v2, v10
	s_delay_alu instid0(VALU_DEP_2) | instskip(NEXT) | instid1(VALU_DEP_2)
	v_dual_mul_f32 v42, v3, v12 :: v_dual_fmac_f32 v41, v2, v9
	v_fma_f32 v43, v1, v9, -v10
	v_mul_f32_e32 v1, v4, v12
	s_delay_alu instid0(VALU_DEP_3) | instskip(NEXT) | instid1(VALU_DEP_2)
	v_fmac_f32_e32 v42, v4, v11
	v_fma_f32 v44, v3, v11, -v1
	s_clause 0x1
	scratch_load_b128 v[1:4], off, off offset:208
	scratch_load_b128 v[9:12], off, off offset:224
	s_wait_loadcnt_dscnt 0x100
	v_mul_f32_e32 v171, v5, v2
	v_dual_mul_f32 v2, v6, v2 :: v_dual_mul_f32 v173, v7, v4
	s_delay_alu instid0(VALU_DEP_2) | instskip(NEXT) | instid1(VALU_DEP_2)
	v_fmac_f32_e32 v171, v6, v1
	v_fma_f32 v172, v5, v1, -v2
	v_mul_f32_e32 v1, v8, v4
	s_delay_alu instid0(VALU_DEP_4) | instskip(NEXT) | instid1(VALU_DEP_2)
	v_fmac_f32_e32 v173, v8, v3
	v_fma_f32 v174, v7, v3, -v1
	ds_load_b128 v[1:4], v25 offset:736
	ds_load_b128 v[5:8], v25 offset:752
	s_wait_loadcnt_dscnt 0x1
	v_mul_f32_e32 v175, v1, v10
	v_mul_f32_e32 v177, v3, v12
	s_delay_alu instid0(VALU_DEP_2) | instskip(NEXT) | instid1(VALU_DEP_2)
	v_fmac_f32_e32 v175, v2, v9
	v_dual_mul_f32 v2, v2, v10 :: v_dual_fmac_f32 v177, v4, v11
	s_delay_alu instid0(VALU_DEP_1) | instskip(SKIP_1) | instid1(VALU_DEP_1)
	v_fma_f32 v176, v1, v9, -v2
	v_mul_f32_e32 v1, v4, v12
	v_fma_f32 v178, v3, v11, -v1
	s_clause 0x1
	scratch_load_b128 v[1:4], off, off offset:240
	scratch_load_b128 v[9:12], off, off offset:256
	s_wait_loadcnt_dscnt 0x100
	v_mul_f32_e32 v179, v5, v2
	v_dual_mul_f32 v2, v6, v2 :: v_dual_mul_f32 v181, v7, v4
	s_delay_alu instid0(VALU_DEP_2) | instskip(NEXT) | instid1(VALU_DEP_2)
	v_fmac_f32_e32 v179, v6, v1
	v_fma_f32 v180, v5, v1, -v2
	v_mul_f32_e32 v1, v8, v4
	s_delay_alu instid0(VALU_DEP_4) | instskip(NEXT) | instid1(VALU_DEP_2)
	v_fmac_f32_e32 v181, v8, v3
	v_fma_f32 v182, v7, v3, -v1
	ds_load_b128 v[1:4], v25 offset:768
	ds_load_b128 v[5:8], v25 offset:784
	s_wait_loadcnt_dscnt 0x1
	v_mul_f32_e32 v183, v1, v10
	v_mul_f32_e32 v185, v3, v12
	s_delay_alu instid0(VALU_DEP_2) | instskip(NEXT) | instid1(VALU_DEP_2)
	v_fmac_f32_e32 v183, v2, v9
	v_dual_mul_f32 v2, v2, v10 :: v_dual_fmac_f32 v185, v4, v11
	s_delay_alu instid0(VALU_DEP_1) | instskip(SKIP_1) | instid1(VALU_DEP_1)
	v_fma_f32 v184, v1, v9, -v2
	v_mul_f32_e32 v1, v4, v12
	;; [unrolled: 25-line block ×6, first 2 shown]
	v_fma_f32 v218, v3, v11, -v1
	s_clause 0x1
	scratch_load_b128 v[1:4], off, off offset:400
	scratch_load_b128 v[9:12], off, off offset:416
	s_wait_loadcnt_dscnt 0x100
	v_mul_f32_e32 v219, v5, v2
	v_mul_f32_e32 v2, v6, v2
	s_delay_alu instid0(VALU_DEP_2) | instskip(NEXT) | instid1(VALU_DEP_2)
	v_fmac_f32_e32 v219, v6, v1
	v_fma_f32 v220, v5, v1, -v2
	v_add_f32_e32 v2, 0, v34
	s_delay_alu instid0(VALU_DEP_1) | instskip(NEXT) | instid1(VALU_DEP_1)
	v_add_f32_e32 v2, v2, v38
	v_add_f32_e32 v2, v2, v23
	s_delay_alu instid0(VALU_DEP_1) | instskip(NEXT) | instid1(VALU_DEP_1)
	v_add_f32_e32 v2, v2, v24
	;; [unrolled: 3-line block ×3, first 2 shown]
	v_dual_add_f32 v2, v2, v30 :: v_dual_mul_f32 v1, v8, v4
	s_delay_alu instid0(VALU_DEP_1) | instskip(NEXT) | instid1(VALU_DEP_2)
	v_add_f32_e32 v2, v2, v31
	v_fma_f32 v222, v7, v3, -v1
	s_delay_alu instid0(VALU_DEP_2) | instskip(NEXT) | instid1(VALU_DEP_1)
	v_dual_add_f32 v1, 0, v21 :: v_dual_add_f32 v2, v2, v15
	v_add_f32_e32 v1, v1, v22
	s_delay_alu instid0(VALU_DEP_2) | instskip(NEXT) | instid1(VALU_DEP_1)
	v_add_f32_e32 v2, v2, v18
	v_dual_add_f32 v1, v1, v26 :: v_dual_add_f32 v2, v2, v19
	s_delay_alu instid0(VALU_DEP_1) | instskip(SKIP_2) | instid1(VALU_DEP_1)
	v_dual_add_f32 v2, v2, v20 :: v_dual_add_f32 v1, v1, v27
	scratch_load_b64 v[26:27], off, off offset:496
	v_dual_add_f32 v2, v2, v41 :: v_dual_add_f32 v1, v1, v28
	v_dual_add_f32 v2, v2, v42 :: v_dual_add_f32 v1, v1, v29
	s_delay_alu instid0(VALU_DEP_1) | instskip(NEXT) | instid1(VALU_DEP_1)
	v_dual_add_f32 v2, v2, v171 :: v_dual_add_f32 v1, v1, v13
	v_dual_add_f32 v2, v2, v173 :: v_dual_add_f32 v1, v1, v14
	s_delay_alu instid0(VALU_DEP_1) | instskip(NEXT) | instid1(VALU_DEP_1)
	v_dual_add_f32 v2, v2, v175 :: v_dual_add_f32 v1, v1, v16
	v_add_f32_e32 v2, v2, v177
	s_delay_alu instid0(VALU_DEP_1) | instskip(NEXT) | instid1(VALU_DEP_1)
	v_dual_add_f32 v1, v1, v17 :: v_dual_add_f32 v2, v2, v179
	v_dual_add_f32 v1, v1, v32 :: v_dual_add_f32 v2, v2, v181
	s_delay_alu instid0(VALU_DEP_1) | instskip(NEXT) | instid1(VALU_DEP_1)
	v_dual_add_f32 v1, v1, v33 :: v_dual_add_f32 v2, v2, v183
	v_dual_add_f32 v1, v1, v43 :: v_dual_add_f32 v2, v2, v185
	s_delay_alu instid0(VALU_DEP_1) | instskip(NEXT) | instid1(VALU_DEP_1)
	v_add_f32_e32 v1, v1, v44
	v_add_f32_e32 v1, v1, v172
	s_delay_alu instid0(VALU_DEP_1) | instskip(NEXT) | instid1(VALU_DEP_1)
	v_add_f32_e32 v1, v1, v174
	v_add_f32_e32 v1, v1, v176
	;; [unrolled: 3-line block ×7, first 2 shown]
	v_dual_add_f32 v2, v2, v187 :: v_dual_mul_f32 v221, v7, v4
	s_delay_alu instid0(VALU_DEP_2) | instskip(NEXT) | instid1(VALU_DEP_2)
	v_add_f32_e32 v14, v6, v198
	v_dual_add_f32 v2, v2, v189 :: v_dual_fmac_f32 v221, v8, v3
	s_delay_alu instid0(VALU_DEP_2) | instskip(NEXT) | instid1(VALU_DEP_2)
	v_add_f32_e32 v14, v14, v200
	v_add_f32_e32 v2, v2, v191
	s_delay_alu instid0(VALU_DEP_2) | instskip(NEXT) | instid1(VALU_DEP_2)
	v_add_f32_e32 v17, v14, v202
	v_add_f32_e32 v5, v2, v193
	scratch_load_b128 v[1:4], off, off offset:432
	v_add_f32_e32 v17, v17, v204
	v_add_f32_e32 v13, v5, v195
	ds_load_b128 v[5:8], v25 offset:928
	v_add_f32_e32 v17, v17, v206
	v_add_f32_e32 v13, v13, v197
	s_delay_alu instid0(VALU_DEP_2) | instskip(NEXT) | instid1(VALU_DEP_1)
	v_add_f32_e32 v17, v17, v208
	v_add_f32_e32 v22, v17, v210
	s_delay_alu instid0(VALU_DEP_1) | instskip(NEXT) | instid1(VALU_DEP_1)
	v_dual_add_f32 v13, v13, v199 :: v_dual_add_f32 v22, v22, v212
	v_add_f32_e32 v18, v13, v201
	ds_load_b128 v[13:16], v25 offset:944
	s_wait_loadcnt_dscnt 0x201
	v_mul_f32_e32 v30, v5, v10
	v_dual_mul_f32 v10, v6, v10 :: v_dual_mul_f32 v31, v7, v12
	v_mul_f32_e32 v12, v8, v12
	v_add_f32_e32 v22, v22, v214
	s_delay_alu instid0(VALU_DEP_4) | instskip(NEXT) | instid1(VALU_DEP_4)
	v_fmac_f32_e32 v30, v6, v9
	v_fma_f32 v32, v5, v9, -v10
	v_fmac_f32_e32 v31, v8, v11
	v_fma_f32 v33, v7, v11, -v12
	s_clause 0x1
	scratch_load_b128 v[5:8], off, off offset:448
	scratch_load_b128 v[9:12], off, off offset:464
	v_add_f32_e32 v22, v22, v216
	s_wait_loadcnt_dscnt 0x200
	v_mul_f32_e32 v34, v13, v2
	v_add_f32_e32 v18, v18, v203
	v_mul_f32_e32 v38, v15, v4
	v_mul_f32_e32 v4, v16, v4
	;; [unrolled: 1-line block ×3, first 2 shown]
	v_fmac_f32_e32 v34, v14, v1
	v_add_f32_e32 v18, v18, v205
	v_add_f32_e32 v14, v22, v218
	v_fmac_f32_e32 v38, v16, v3
	v_fma_f32 v39, v13, v1, -v2
	v_fma_f32 v40, v15, v3, -v4
	v_add_f32_e32 v21, v18, v207
	scratch_load_b128 v[17:20], off, off offset:480
	v_add_f32_e32 v28, v14, v220
	ds_load_b128 v[1:4], v25 offset:960
	v_add_f32_e32 v21, v21, v209
	v_add_f32_e32 v41, v28, v222
	s_delay_alu instid0(VALU_DEP_2) | instskip(NEXT) | instid1(VALU_DEP_2)
	v_add_f32_e32 v21, v21, v211
	v_add_f32_e32 v32, v41, v32
	s_delay_alu instid0(VALU_DEP_2) | instskip(NEXT) | instid1(VALU_DEP_1)
	v_add_f32_e32 v21, v21, v213
	v_dual_add_f32 v32, v32, v33 :: v_dual_add_f32 v13, v21, v215
	s_delay_alu instid0(VALU_DEP_1)
	v_dual_add_f32 v32, v32, v39 :: v_dual_add_f32 v21, v13, v217
	ds_load_b128 v[13:16], v25 offset:976
	s_wait_loadcnt_dscnt 0x201
	v_mul_f32_e32 v41, v1, v6
	v_mul_f32_e32 v6, v2, v6
	v_dual_add_f32 v32, v32, v40 :: v_dual_add_f32 v29, v21, v219
	ds_load_b128 v[21:24], v25 offset:992
	v_fmac_f32_e32 v41, v2, v5
	v_fma_f32 v1, v1, v5, -v6
	v_add_f32_e32 v42, v29, v221
	ds_load_b64 v[28:29], v25 offset:1008
	v_dual_add_f32 v1, v32, v1 :: v_dual_add_f32 v30, v42, v30
	s_delay_alu instid0(VALU_DEP_1) | instskip(SKIP_2) | instid1(VALU_DEP_2)
	v_dual_add_f32 v30, v30, v31 :: v_dual_mul_f32 v31, v3, v8
	s_wait_loadcnt_dscnt 0x102
	v_dual_mul_f32 v8, v4, v8 :: v_dual_mul_f32 v33, v13, v10
	v_dual_mul_f32 v5, v16, v12 :: v_dual_add_f32 v30, v30, v34
	s_delay_alu instid0(VALU_DEP_3) | instskip(NEXT) | instid1(VALU_DEP_3)
	v_fmac_f32_e32 v31, v4, v7
	v_fma_f32 v2, v3, v7, -v8
	v_dual_mul_f32 v3, v14, v10 :: v_dual_mul_f32 v34, v15, v12
	s_delay_alu instid0(VALU_DEP_4) | instskip(SKIP_1) | instid1(VALU_DEP_4)
	v_add_f32_e32 v30, v30, v38
	v_fmac_f32_e32 v33, v14, v9
	v_add_f32_e32 v1, v1, v2
	s_delay_alu instid0(VALU_DEP_4)
	v_fma_f32 v3, v13, v9, -v3
	v_fmac_f32_e32 v34, v16, v11
	v_add_f32_e32 v4, v30, v41
	v_fma_f32 v5, v15, v11, -v5
	s_wait_dscnt 0x0
	v_mul_f32_e32 v38, v28, v27
	v_add_f32_e32 v1, v1, v3
	v_add_f32_e32 v2, v4, v31
	s_delay_alu instid0(VALU_DEP_3) | instskip(NEXT) | instid1(VALU_DEP_3)
	v_fmac_f32_e32 v38, v29, v26
	v_add_f32_e32 v1, v1, v5
	s_delay_alu instid0(VALU_DEP_3) | instskip(NEXT) | instid1(VALU_DEP_1)
	v_dual_mul_f32 v5, v29, v27 :: v_dual_add_f32 v2, v2, v33
	v_add_f32_e32 v2, v2, v34
	s_wait_loadcnt 0x0
	v_mul_f32_e32 v39, v21, v18
	v_mul_f32_e32 v4, v22, v18
	v_mul_f32_e32 v40, v23, v20
	v_mul_f32_e32 v3, v24, v20
	s_delay_alu instid0(VALU_DEP_4) | instskip(NEXT) | instid1(VALU_DEP_4)
	v_fmac_f32_e32 v39, v22, v17
	v_fma_f32 v4, v21, v17, -v4
	s_delay_alu instid0(VALU_DEP_4) | instskip(NEXT) | instid1(VALU_DEP_4)
	v_fmac_f32_e32 v40, v24, v19
	v_fma_f32 v3, v23, v19, -v3
	s_delay_alu instid0(VALU_DEP_3) | instskip(SKIP_1) | instid1(VALU_DEP_2)
	v_dual_add_f32 v2, v2, v39 :: v_dual_add_f32 v1, v1, v4
	v_fma_f32 v4, v28, v26, -v5
	v_dual_add_f32 v2, v2, v40 :: v_dual_add_f32 v1, v1, v3
	s_delay_alu instid0(VALU_DEP_1) | instskip(NEXT) | instid1(VALU_DEP_1)
	v_dual_add_f32 v2, v2, v38 :: v_dual_add_f32 v1, v1, v4
	v_dual_sub_f32 v2, v37, v2 :: v_dual_sub_f32 v1, v36, v1
	scratch_store_b64 off, v[1:2], off offset:88
	v_cmpx_lt_u32_e32 10, v0
	s_cbranch_execz .LBB62_371
; %bb.370:
	scratch_load_b64 v[1:2], off, off offset:80
	v_mov_b32_e32 v26, v25
	scratch_store_b64 off, v[25:26], off offset:80
	s_wait_loadcnt 0x0
	ds_store_b64 v35, v[1:2]
.LBB62_371:
	s_wait_alu 0xfffe
	s_or_b32 exec_lo, exec_lo, s0
	s_wait_storecnt_dscnt 0x0
	s_barrier_signal -1
	s_barrier_wait -1
	global_inv scope:SCOPE_SE
	s_clause 0x4
	scratch_load_b128 v[5:8], off, off offset:88
	scratch_load_b128 v[1:4], off, off offset:104
	scratch_load_b128 v[9:12], off, off offset:120
	scratch_load_b128 v[13:16], off, off offset:136
	scratch_load_b128 v[17:20], off, off offset:152
	ds_load_2addr_b64 v[21:24], v25 offset0:75 offset1:76
	ds_load_2addr_b64 v[26:29], v25 offset0:77 offset1:78
	;; [unrolled: 1-line block ×3, first 2 shown]
	scratch_load_b64 v[36:37], off, off offset:80
	s_mov_b32 s0, exec_lo
	s_wait_loadcnt_dscnt 0x502
	v_mul_f32_e32 v34, v21, v6
	v_mul_f32_e32 v38, v23, v8
	s_wait_loadcnt_dscnt 0x300
	v_dual_mul_f32 v8, v24, v8 :: v_dual_mul_f32 v39, v30, v10
	v_mul_f32_e32 v6, v22, v6
	v_fmac_f32_e32 v34, v22, v5
	v_mul_f32_e32 v10, v31, v10
	s_delay_alu instid0(VALU_DEP_4)
	v_fma_f32 v22, v23, v7, -v8
	v_dual_mul_f32 v23, v26, v2 :: v_dual_fmac_f32 v38, v24, v7
	v_fmac_f32_e32 v39, v31, v9
	v_fma_f32 v21, v21, v5, -v6
	ds_load_2addr_b64 v[5:8], v25 offset0:81 offset1:82
	v_mul_f32_e32 v24, v28, v4
	v_mul_f32_e32 v4, v29, v4
	;; [unrolled: 1-line block ×5, first 2 shown]
	v_dual_fmac_f32 v23, v27, v1 :: v_dual_fmac_f32 v24, v29, v3
	v_fma_f32 v27, v28, v3, -v4
	v_fma_f32 v28, v30, v9, -v10
	v_fmac_f32_e32 v40, v33, v11
	v_fma_f32 v29, v32, v11, -v12
	ds_load_2addr_b64 v[9:12], v25 offset0:83 offset1:84
	s_wait_loadcnt_dscnt 0x201
	v_dual_mul_f32 v31, v7, v16 :: v_dual_mul_f32 v30, v5, v14
	v_mul_f32_e32 v14, v6, v14
	v_mul_f32_e32 v16, v8, v16
	s_delay_alu instid0(VALU_DEP_3)
	v_fmac_f32_e32 v31, v8, v15
	v_fma_f32 v26, v26, v1, -v2
	scratch_load_b128 v[1:4], off, off offset:168
	v_fmac_f32_e32 v30, v6, v13
	v_fma_f32 v13, v5, v13, -v14
	v_fma_f32 v14, v7, v15, -v16
	ds_load_2addr_b64 v[5:8], v25 offset0:85 offset1:86
	s_wait_loadcnt_dscnt 0x201
	v_mul_f32_e32 v15, v9, v18
	v_mul_f32_e32 v16, v10, v18
	;; [unrolled: 1-line block ×3, first 2 shown]
	s_delay_alu instid0(VALU_DEP_3) | instskip(NEXT) | instid1(VALU_DEP_3)
	v_dual_mul_f32 v20, v12, v20 :: v_dual_fmac_f32 v15, v10, v17
	v_fma_f32 v16, v9, v17, -v16
	s_delay_alu instid0(VALU_DEP_3) | instskip(NEXT) | instid1(VALU_DEP_3)
	v_fmac_f32_e32 v18, v12, v19
	v_fma_f32 v17, v11, v19, -v20
	scratch_load_b128 v[9:12], off, off offset:184
	s_wait_loadcnt_dscnt 0x100
	v_mul_f32_e32 v19, v5, v2
	v_mul_f32_e32 v2, v6, v2
	;; [unrolled: 1-line block ×3, first 2 shown]
	s_delay_alu instid0(VALU_DEP_3) | instskip(NEXT) | instid1(VALU_DEP_3)
	v_dual_mul_f32 v4, v8, v4 :: v_dual_fmac_f32 v19, v6, v1
	v_fma_f32 v32, v5, v1, -v2
	s_delay_alu instid0(VALU_DEP_3) | instskip(NEXT) | instid1(VALU_DEP_3)
	v_fmac_f32_e32 v20, v8, v3
	v_fma_f32 v33, v7, v3, -v4
	ds_load_2addr_b64 v[1:4], v25 offset0:87 offset1:88
	ds_load_2addr_b64 v[5:8], v25 offset0:89 offset1:90
	s_wait_loadcnt_dscnt 0x1
	v_mul_f32_e32 v41, v1, v10
	v_mul_f32_e32 v10, v2, v10
	s_delay_alu instid0(VALU_DEP_2) | instskip(NEXT) | instid1(VALU_DEP_2)
	v_dual_mul_f32 v42, v3, v12 :: v_dual_fmac_f32 v41, v2, v9
	v_fma_f32 v43, v1, v9, -v10
	v_mul_f32_e32 v1, v4, v12
	s_delay_alu instid0(VALU_DEP_3) | instskip(NEXT) | instid1(VALU_DEP_2)
	v_fmac_f32_e32 v42, v4, v11
	v_fma_f32 v44, v3, v11, -v1
	s_clause 0x1
	scratch_load_b128 v[1:4], off, off offset:200
	scratch_load_b128 v[9:12], off, off offset:216
	s_wait_loadcnt_dscnt 0x100
	v_mul_f32_e32 v171, v5, v2
	v_dual_mul_f32 v2, v6, v2 :: v_dual_mul_f32 v173, v7, v4
	s_delay_alu instid0(VALU_DEP_2) | instskip(NEXT) | instid1(VALU_DEP_2)
	v_fmac_f32_e32 v171, v6, v1
	v_fma_f32 v172, v5, v1, -v2
	v_mul_f32_e32 v1, v8, v4
	s_delay_alu instid0(VALU_DEP_4) | instskip(NEXT) | instid1(VALU_DEP_2)
	v_fmac_f32_e32 v173, v8, v3
	v_fma_f32 v174, v7, v3, -v1
	ds_load_2addr_b64 v[1:4], v25 offset0:91 offset1:92
	ds_load_2addr_b64 v[5:8], v25 offset0:93 offset1:94
	s_wait_loadcnt_dscnt 0x1
	v_mul_f32_e32 v175, v1, v10
	v_mul_f32_e32 v177, v3, v12
	s_delay_alu instid0(VALU_DEP_2) | instskip(NEXT) | instid1(VALU_DEP_2)
	v_fmac_f32_e32 v175, v2, v9
	v_dual_mul_f32 v2, v2, v10 :: v_dual_fmac_f32 v177, v4, v11
	s_delay_alu instid0(VALU_DEP_1) | instskip(SKIP_1) | instid1(VALU_DEP_1)
	v_fma_f32 v176, v1, v9, -v2
	v_mul_f32_e32 v1, v4, v12
	v_fma_f32 v178, v3, v11, -v1
	s_clause 0x1
	scratch_load_b128 v[1:4], off, off offset:232
	scratch_load_b128 v[9:12], off, off offset:248
	s_wait_loadcnt_dscnt 0x100
	v_mul_f32_e32 v179, v5, v2
	v_dual_mul_f32 v2, v6, v2 :: v_dual_mul_f32 v181, v7, v4
	s_delay_alu instid0(VALU_DEP_2) | instskip(NEXT) | instid1(VALU_DEP_2)
	v_fmac_f32_e32 v179, v6, v1
	v_fma_f32 v180, v5, v1, -v2
	v_mul_f32_e32 v1, v8, v4
	s_delay_alu instid0(VALU_DEP_4) | instskip(NEXT) | instid1(VALU_DEP_2)
	v_fmac_f32_e32 v181, v8, v3
	v_fma_f32 v182, v7, v3, -v1
	ds_load_2addr_b64 v[1:4], v25 offset0:95 offset1:96
	ds_load_2addr_b64 v[5:8], v25 offset0:97 offset1:98
	s_wait_loadcnt_dscnt 0x1
	v_mul_f32_e32 v183, v1, v10
	v_mul_f32_e32 v185, v3, v12
	s_delay_alu instid0(VALU_DEP_2) | instskip(NEXT) | instid1(VALU_DEP_2)
	v_fmac_f32_e32 v183, v2, v9
	v_dual_mul_f32 v2, v2, v10 :: v_dual_fmac_f32 v185, v4, v11
	s_delay_alu instid0(VALU_DEP_1) | instskip(SKIP_1) | instid1(VALU_DEP_1)
	v_fma_f32 v184, v1, v9, -v2
	v_mul_f32_e32 v1, v4, v12
	;; [unrolled: 25-line block ×7, first 2 shown]
	v_fma_f32 v226, v3, v11, -v1
	s_clause 0x1
	scratch_load_b128 v[1:4], off, off offset:424
	scratch_load_b128 v[9:12], off, off offset:440
	s_wait_loadcnt_dscnt 0x100
	v_mul_f32_e32 v227, v5, v2
	v_dual_mul_f32 v2, v6, v2 :: v_dual_mul_f32 v229, v7, v4
	s_delay_alu instid0(VALU_DEP_2) | instskip(NEXT) | instid1(VALU_DEP_2)
	v_fmac_f32_e32 v227, v6, v1
	v_fma_f32 v228, v5, v1, -v2
	s_delay_alu instid0(VALU_DEP_3) | instskip(NEXT) | instid1(VALU_DEP_1)
	v_dual_add_f32 v2, 0, v34 :: v_dual_fmac_f32 v229, v8, v3
	v_add_f32_e32 v2, v2, v38
	s_delay_alu instid0(VALU_DEP_1) | instskip(NEXT) | instid1(VALU_DEP_1)
	v_add_f32_e32 v2, v2, v23
	v_add_f32_e32 v2, v2, v24
	s_delay_alu instid0(VALU_DEP_1) | instskip(NEXT) | instid1(VALU_DEP_1)
	v_add_f32_e32 v2, v2, v39
	v_add_f32_e32 v2, v2, v40
	s_delay_alu instid0(VALU_DEP_1) | instskip(NEXT) | instid1(VALU_DEP_1)
	v_add_f32_e32 v2, v2, v30
	v_add_f32_e32 v2, v2, v31
	s_delay_alu instid0(VALU_DEP_1) | instskip(NEXT) | instid1(VALU_DEP_1)
	v_add_f32_e32 v2, v2, v15
	v_add_f32_e32 v2, v2, v18
	s_delay_alu instid0(VALU_DEP_1) | instskip(NEXT) | instid1(VALU_DEP_1)
	v_add_f32_e32 v2, v2, v19
	v_add_f32_e32 v2, v2, v20
	s_delay_alu instid0(VALU_DEP_1) | instskip(NEXT) | instid1(VALU_DEP_1)
	v_dual_mul_f32 v1, v8, v4 :: v_dual_add_f32 v2, v2, v41
	v_fma_f32 v230, v7, v3, -v1
	s_delay_alu instid0(VALU_DEP_2) | instskip(NEXT) | instid1(VALU_DEP_1)
	v_dual_add_f32 v1, 0, v21 :: v_dual_add_f32 v2, v2, v42
	v_dual_add_f32 v1, v1, v22 :: v_dual_add_f32 v2, v2, v171
	s_delay_alu instid0(VALU_DEP_1) | instskip(NEXT) | instid1(VALU_DEP_1)
	v_dual_add_f32 v1, v1, v26 :: v_dual_add_f32 v2, v2, v173
	v_add_f32_e32 v1, v1, v27
	s_delay_alu instid0(VALU_DEP_1) | instskip(NEXT) | instid1(VALU_DEP_1)
	v_dual_add_f32 v2, v2, v175 :: v_dual_add_f32 v1, v1, v28
	v_add_f32_e32 v2, v2, v177
	s_delay_alu instid0(VALU_DEP_1) | instskip(NEXT) | instid1(VALU_DEP_1)
	v_dual_add_f32 v1, v1, v29 :: v_dual_add_f32 v2, v2, v179
	v_add_f32_e32 v1, v1, v13
	s_delay_alu instid0(VALU_DEP_1) | instskip(NEXT) | instid1(VALU_DEP_1)
	v_dual_add_f32 v2, v2, v181 :: v_dual_add_f32 v1, v1, v14
	v_dual_add_f32 v2, v2, v183 :: v_dual_add_f32 v1, v1, v16
	s_delay_alu instid0(VALU_DEP_1) | instskip(NEXT) | instid1(VALU_DEP_1)
	v_add_f32_e32 v2, v2, v185
	v_dual_add_f32 v1, v1, v17 :: v_dual_add_f32 v2, v2, v187
	s_delay_alu instid0(VALU_DEP_1) | instskip(NEXT) | instid1(VALU_DEP_1)
	v_dual_add_f32 v1, v1, v32 :: v_dual_add_f32 v2, v2, v189
	v_add_f32_e32 v1, v1, v33
	s_delay_alu instid0(VALU_DEP_1) | instskip(NEXT) | instid1(VALU_DEP_1)
	v_add_f32_e32 v1, v1, v43
	v_add_f32_e32 v1, v1, v44
	s_delay_alu instid0(VALU_DEP_1) | instskip(NEXT) | instid1(VALU_DEP_1)
	v_add_f32_e32 v1, v1, v172
	;; [unrolled: 3-line block ×9, first 2 shown]
	v_add_f32_e32 v6, v1, v202
	v_add_f32_e32 v2, v2, v191
	s_delay_alu instid0(VALU_DEP_2) | instskip(NEXT) | instid1(VALU_DEP_2)
	v_add_f32_e32 v6, v6, v204
	v_add_f32_e32 v2, v2, v193
	s_delay_alu instid0(VALU_DEP_2) | instskip(NEXT) | instid1(VALU_DEP_1)
	v_add_f32_e32 v13, v6, v206
	v_dual_add_f32 v2, v2, v195 :: v_dual_add_f32 v13, v13, v208
	s_delay_alu instid0(VALU_DEP_1) | instskip(NEXT) | instid1(VALU_DEP_1)
	v_dual_add_f32 v2, v2, v197 :: v_dual_add_f32 v13, v13, v210
	v_add_f32_e32 v5, v2, v199
	ds_load_2addr_b64 v[1:4], v25 offset0:119 offset1:120
	v_add_f32_e32 v13, v13, v212
	v_add_f32_e32 v5, v5, v201
	s_delay_alu instid0(VALU_DEP_2) | instskip(NEXT) | instid1(VALU_DEP_1)
	v_add_f32_e32 v18, v13, v214
	v_dual_add_f32 v5, v5, v203 :: v_dual_add_f32 v18, v18, v216
	s_delay_alu instid0(VALU_DEP_1)
	v_add_f32_e32 v14, v5, v205
	ds_load_2addr_b64 v[5:8], v25 offset0:121 offset1:122
	v_add_f32_e32 v18, v18, v218
	v_add_f32_e32 v14, v14, v207
	s_wait_loadcnt_dscnt 0x1
	v_dual_mul_f32 v26, v1, v10 :: v_dual_mul_f32 v27, v3, v12
	v_mul_f32_e32 v10, v2, v10
	v_mul_f32_e32 v12, v4, v12
	v_add_f32_e32 v14, v14, v209
	s_delay_alu instid0(VALU_DEP_4) | instskip(NEXT) | instid1(VALU_DEP_4)
	v_dual_fmac_f32 v26, v2, v9 :: v_dual_fmac_f32 v27, v4, v11
	v_fma_f32 v28, v1, v9, -v10
	s_delay_alu instid0(VALU_DEP_4) | instskip(SKIP_4) | instid1(VALU_DEP_1)
	v_fma_f32 v29, v3, v11, -v12
	s_clause 0x1
	scratch_load_b128 v[1:4], off, off offset:456
	scratch_load_b128 v[9:12], off, off offset:472
	v_add_f32_e32 v21, v18, v220
	v_dual_add_f32 v30, v21, v222 :: v_dual_add_f32 v17, v14, v211
	scratch_load_b128 v[13:16], off, off offset:488
	v_add_f32_e32 v17, v17, v213
	s_delay_alu instid0(VALU_DEP_1) | instskip(SKIP_1) | instid1(VALU_DEP_1)
	v_add_f32_e32 v17, v17, v215
	s_wait_loadcnt_dscnt 0x200
	v_dual_add_f32 v17, v17, v217 :: v_dual_mul_f32 v32, v7, v4
	s_delay_alu instid0(VALU_DEP_1)
	v_add_f32_e32 v22, v17, v219
	ds_load_2addr_b64 v[17:20], v25 offset0:123 offset1:124
	v_mul_f32_e32 v4, v8, v4
	v_dual_fmac_f32 v32, v8, v3 :: v_dual_add_f32 v31, v22, v221
	ds_load_2addr_b64 v[21:24], v25 offset0:125 offset1:126
	v_add_f32_e32 v25, v30, v224
	v_fma_f32 v3, v7, v3, -v4
	s_delay_alu instid0(VALU_DEP_2) | instskip(NEXT) | instid1(VALU_DEP_1)
	v_add_f32_e32 v25, v25, v226
	v_add_f32_e32 v25, v25, v228
	s_wait_loadcnt_dscnt 0x101
	v_mul_f32_e32 v34, v19, v12
	s_delay_alu instid0(VALU_DEP_2)
	v_dual_add_f32 v30, v31, v223 :: v_dual_add_f32 v25, v25, v230
	v_mul_f32_e32 v31, v5, v2
	v_mul_f32_e32 v2, v6, v2
	s_wait_loadcnt_dscnt 0x0
	v_mul_f32_e32 v38, v21, v14
	v_dual_add_f32 v30, v30, v225 :: v_dual_add_f32 v25, v25, v28
	v_fmac_f32_e32 v31, v6, v1
	v_fma_f32 v2, v5, v1, -v2
	s_delay_alu instid0(VALU_DEP_3) | instskip(NEXT) | instid1(VALU_DEP_4)
	v_dual_mul_f32 v33, v17, v10 :: v_dual_add_f32 v30, v30, v227
	v_dual_add_f32 v1, v25, v29 :: v_dual_mul_f32 v6, v18, v10
	s_delay_alu instid0(VALU_DEP_2) | instskip(NEXT) | instid1(VALU_DEP_2)
	v_dual_mul_f32 v4, v20, v12 :: v_dual_fmac_f32 v33, v18, v9
	v_dual_add_f32 v30, v30, v229 :: v_dual_add_f32 v1, v1, v2
	v_fmac_f32_e32 v34, v20, v11
	s_delay_alu instid0(VALU_DEP_3) | instskip(SKIP_1) | instid1(VALU_DEP_4)
	v_fma_f32 v4, v19, v11, -v4
	v_mul_f32_e32 v28, v23, v16
	v_dual_add_f32 v26, v30, v26 :: v_dual_add_f32 v1, v1, v3
	v_mul_f32_e32 v3, v22, v14
	v_fmac_f32_e32 v38, v22, v13
	s_delay_alu instid0(VALU_DEP_4) | instskip(NEXT) | instid1(VALU_DEP_4)
	v_fmac_f32_e32 v28, v24, v15
	v_add_f32_e32 v5, v26, v27
	s_delay_alu instid0(VALU_DEP_4) | instskip(NEXT) | instid1(VALU_DEP_2)
	v_fma_f32 v3, v21, v13, -v3
	v_add_f32_e32 v2, v5, v31
	v_fma_f32 v5, v17, v9, -v6
	s_delay_alu instid0(VALU_DEP_1) | instskip(NEXT) | instid1(VALU_DEP_1)
	v_dual_add_f32 v2, v2, v32 :: v_dual_add_f32 v1, v1, v5
	v_dual_mul_f32 v5, v24, v16 :: v_dual_add_f32 v2, v2, v33
	s_delay_alu instid0(VALU_DEP_2) | instskip(NEXT) | instid1(VALU_DEP_2)
	v_add_f32_e32 v1, v1, v4
	v_fma_f32 v4, v23, v15, -v5
	s_delay_alu instid0(VALU_DEP_2) | instskip(NEXT) | instid1(VALU_DEP_1)
	v_dual_add_f32 v2, v2, v34 :: v_dual_add_f32 v1, v1, v3
	v_dual_add_f32 v2, v2, v38 :: v_dual_add_f32 v1, v1, v4
	s_delay_alu instid0(VALU_DEP_1) | instskip(NEXT) | instid1(VALU_DEP_1)
	v_dual_add_f32 v2, v2, v28 :: v_dual_sub_f32 v1, v36, v1
	v_sub_f32_e32 v2, v37, v2
	scratch_store_b64 off, v[1:2], off offset:80
	v_cmpx_lt_u32_e32 9, v0
	s_cbranch_execz .LBB62_373
; %bb.372:
	scratch_load_b64 v[1:2], off, off offset:72
	v_mov_b32_e32 v3, 0
	s_delay_alu instid0(VALU_DEP_1)
	v_mov_b32_e32 v4, v3
	scratch_store_b64 off, v[3:4], off offset:72
	s_wait_loadcnt 0x0
	ds_store_b64 v35, v[1:2]
.LBB62_373:
	s_wait_alu 0xfffe
	s_or_b32 exec_lo, exec_lo, s0
	s_wait_storecnt_dscnt 0x0
	s_barrier_signal -1
	s_barrier_wait -1
	global_inv scope:SCOPE_SE
	s_clause 0x4
	scratch_load_b128 v[5:8], off, off offset:80
	scratch_load_b128 v[1:4], off, off offset:96
	;; [unrolled: 1-line block ×5, first 2 shown]
	v_mov_b32_e32 v25, 0
	ds_load_b128 v[21:24], v25 offset:592
	ds_load_b128 v[26:29], v25 offset:608
	;; [unrolled: 1-line block ×3, first 2 shown]
	scratch_load_b64 v[36:37], off, off offset:72
	s_mov_b32 s0, exec_lo
	s_wait_loadcnt_dscnt 0x502
	v_mul_f32_e32 v34, v21, v6
	v_mul_f32_e32 v38, v23, v8
	s_wait_loadcnt_dscnt 0x300
	v_dual_mul_f32 v8, v24, v8 :: v_dual_mul_f32 v39, v30, v10
	v_mul_f32_e32 v6, v22, v6
	v_fmac_f32_e32 v34, v22, v5
	v_mul_f32_e32 v40, v32, v12
	s_delay_alu instid0(VALU_DEP_4) | instskip(SKIP_2) | instid1(VALU_DEP_2)
	v_fma_f32 v22, v23, v7, -v8
	v_dual_mul_f32 v23, v26, v2 :: v_dual_fmac_f32 v38, v24, v7
	v_dual_fmac_f32 v39, v31, v9 :: v_dual_mul_f32 v24, v28, v4
	v_dual_mul_f32 v4, v29, v4 :: v_dual_fmac_f32 v23, v27, v1
	v_fma_f32 v21, v21, v5, -v6
	ds_load_b128 v[5:8], v25 offset:640
	v_mul_f32_e32 v10, v31, v10
	v_mul_f32_e32 v12, v33, v12
	;; [unrolled: 1-line block ×3, first 2 shown]
	v_fmac_f32_e32 v24, v29, v3
	v_fma_f32 v27, v28, v3, -v4
	v_fmac_f32_e32 v40, v33, v11
	v_fma_f32 v28, v30, v9, -v10
	v_fma_f32 v29, v32, v11, -v12
	ds_load_b128 v[9:12], v25 offset:656
	s_wait_loadcnt_dscnt 0x201
	v_dual_mul_f32 v31, v7, v16 :: v_dual_mul_f32 v30, v5, v14
	v_mul_f32_e32 v14, v6, v14
	v_mul_f32_e32 v16, v8, v16
	s_delay_alu instid0(VALU_DEP_3)
	v_fmac_f32_e32 v31, v8, v15
	v_fma_f32 v26, v26, v1, -v2
	scratch_load_b128 v[1:4], off, off offset:160
	v_fmac_f32_e32 v30, v6, v13
	v_fma_f32 v13, v5, v13, -v14
	v_fma_f32 v14, v7, v15, -v16
	s_wait_loadcnt_dscnt 0x200
	v_mul_f32_e32 v15, v9, v18
	v_mul_f32_e32 v16, v10, v18
	v_mul_f32_e32 v18, v11, v20
	v_mul_f32_e32 v20, v12, v20
	ds_load_b128 v[5:8], v25 offset:672
	v_fmac_f32_e32 v15, v10, v17
	v_fma_f32 v16, v9, v17, -v16
	v_fmac_f32_e32 v18, v12, v19
	v_fma_f32 v17, v11, v19, -v20
	scratch_load_b128 v[9:12], off, off offset:176
	s_wait_loadcnt_dscnt 0x100
	v_mul_f32_e32 v19, v5, v2
	v_mul_f32_e32 v2, v6, v2
	v_mul_f32_e32 v20, v7, v4
	s_delay_alu instid0(VALU_DEP_3) | instskip(NEXT) | instid1(VALU_DEP_3)
	v_dual_mul_f32 v4, v8, v4 :: v_dual_fmac_f32 v19, v6, v1
	v_fma_f32 v32, v5, v1, -v2
	s_delay_alu instid0(VALU_DEP_3) | instskip(NEXT) | instid1(VALU_DEP_3)
	v_fmac_f32_e32 v20, v8, v3
	v_fma_f32 v33, v7, v3, -v4
	ds_load_b128 v[1:4], v25 offset:688
	ds_load_b128 v[5:8], v25 offset:704
	s_wait_loadcnt_dscnt 0x1
	v_mul_f32_e32 v41, v1, v10
	v_mul_f32_e32 v10, v2, v10
	s_delay_alu instid0(VALU_DEP_2) | instskip(NEXT) | instid1(VALU_DEP_2)
	v_dual_mul_f32 v42, v3, v12 :: v_dual_fmac_f32 v41, v2, v9
	v_fma_f32 v43, v1, v9, -v10
	v_mul_f32_e32 v1, v4, v12
	s_delay_alu instid0(VALU_DEP_3) | instskip(NEXT) | instid1(VALU_DEP_2)
	v_fmac_f32_e32 v42, v4, v11
	v_fma_f32 v44, v3, v11, -v1
	s_clause 0x1
	scratch_load_b128 v[1:4], off, off offset:192
	scratch_load_b128 v[9:12], off, off offset:208
	s_wait_loadcnt_dscnt 0x100
	v_mul_f32_e32 v171, v5, v2
	v_dual_mul_f32 v2, v6, v2 :: v_dual_mul_f32 v173, v7, v4
	s_delay_alu instid0(VALU_DEP_2) | instskip(NEXT) | instid1(VALU_DEP_2)
	v_fmac_f32_e32 v171, v6, v1
	v_fma_f32 v172, v5, v1, -v2
	v_mul_f32_e32 v1, v8, v4
	s_delay_alu instid0(VALU_DEP_4) | instskip(NEXT) | instid1(VALU_DEP_2)
	v_fmac_f32_e32 v173, v8, v3
	v_fma_f32 v174, v7, v3, -v1
	ds_load_b128 v[1:4], v25 offset:720
	ds_load_b128 v[5:8], v25 offset:736
	s_wait_loadcnt_dscnt 0x1
	v_mul_f32_e32 v175, v1, v10
	v_mul_f32_e32 v177, v3, v12
	s_delay_alu instid0(VALU_DEP_2) | instskip(NEXT) | instid1(VALU_DEP_2)
	v_fmac_f32_e32 v175, v2, v9
	v_dual_mul_f32 v2, v2, v10 :: v_dual_fmac_f32 v177, v4, v11
	s_delay_alu instid0(VALU_DEP_1) | instskip(SKIP_1) | instid1(VALU_DEP_1)
	v_fma_f32 v176, v1, v9, -v2
	v_mul_f32_e32 v1, v4, v12
	v_fma_f32 v178, v3, v11, -v1
	s_clause 0x1
	scratch_load_b128 v[1:4], off, off offset:224
	scratch_load_b128 v[9:12], off, off offset:240
	s_wait_loadcnt_dscnt 0x100
	v_mul_f32_e32 v179, v5, v2
	v_dual_mul_f32 v2, v6, v2 :: v_dual_mul_f32 v181, v7, v4
	s_delay_alu instid0(VALU_DEP_2) | instskip(NEXT) | instid1(VALU_DEP_2)
	v_fmac_f32_e32 v179, v6, v1
	v_fma_f32 v180, v5, v1, -v2
	v_mul_f32_e32 v1, v8, v4
	s_delay_alu instid0(VALU_DEP_4) | instskip(NEXT) | instid1(VALU_DEP_2)
	v_fmac_f32_e32 v181, v8, v3
	v_fma_f32 v182, v7, v3, -v1
	ds_load_b128 v[1:4], v25 offset:752
	ds_load_b128 v[5:8], v25 offset:768
	s_wait_loadcnt_dscnt 0x1
	v_mul_f32_e32 v183, v1, v10
	v_mul_f32_e32 v185, v3, v12
	s_delay_alu instid0(VALU_DEP_2) | instskip(NEXT) | instid1(VALU_DEP_2)
	v_fmac_f32_e32 v183, v2, v9
	v_dual_mul_f32 v2, v2, v10 :: v_dual_fmac_f32 v185, v4, v11
	s_delay_alu instid0(VALU_DEP_1) | instskip(SKIP_1) | instid1(VALU_DEP_1)
	v_fma_f32 v184, v1, v9, -v2
	v_mul_f32_e32 v1, v4, v12
	;; [unrolled: 25-line block ×7, first 2 shown]
	v_fma_f32 v226, v3, v11, -v1
	s_clause 0x1
	scratch_load_b128 v[1:4], off, off offset:416
	scratch_load_b128 v[9:12], off, off offset:432
	s_wait_loadcnt_dscnt 0x100
	v_mul_f32_e32 v227, v5, v2
	v_dual_mul_f32 v2, v6, v2 :: v_dual_mul_f32 v229, v7, v4
	s_delay_alu instid0(VALU_DEP_2) | instskip(NEXT) | instid1(VALU_DEP_2)
	v_fmac_f32_e32 v227, v6, v1
	v_fma_f32 v228, v5, v1, -v2
	s_delay_alu instid0(VALU_DEP_3) | instskip(NEXT) | instid1(VALU_DEP_1)
	v_dual_add_f32 v2, 0, v34 :: v_dual_fmac_f32 v229, v8, v3
	v_add_f32_e32 v2, v2, v38
	s_delay_alu instid0(VALU_DEP_1) | instskip(NEXT) | instid1(VALU_DEP_1)
	v_add_f32_e32 v2, v2, v23
	v_add_f32_e32 v2, v2, v24
	s_delay_alu instid0(VALU_DEP_1) | instskip(NEXT) | instid1(VALU_DEP_1)
	v_add_f32_e32 v2, v2, v39
	;; [unrolled: 3-line block ×5, first 2 shown]
	v_add_f32_e32 v2, v2, v20
	s_delay_alu instid0(VALU_DEP_1) | instskip(NEXT) | instid1(VALU_DEP_1)
	v_dual_mul_f32 v1, v8, v4 :: v_dual_add_f32 v2, v2, v41
	v_fma_f32 v230, v7, v3, -v1
	s_delay_alu instid0(VALU_DEP_2) | instskip(NEXT) | instid1(VALU_DEP_1)
	v_dual_add_f32 v1, 0, v21 :: v_dual_add_f32 v2, v2, v42
	v_dual_add_f32 v1, v1, v22 :: v_dual_add_f32 v2, v2, v171
	s_delay_alu instid0(VALU_DEP_1) | instskip(NEXT) | instid1(VALU_DEP_1)
	v_dual_add_f32 v1, v1, v26 :: v_dual_add_f32 v2, v2, v173
	v_add_f32_e32 v1, v1, v27
	scratch_load_b64 v[26:27], off, off offset:496
	v_dual_add_f32 v2, v2, v175 :: v_dual_add_f32 v1, v1, v28
	s_delay_alu instid0(VALU_DEP_1) | instskip(NEXT) | instid1(VALU_DEP_1)
	v_add_f32_e32 v2, v2, v177
	v_dual_add_f32 v1, v1, v29 :: v_dual_add_f32 v2, v2, v179
	s_delay_alu instid0(VALU_DEP_1) | instskip(NEXT) | instid1(VALU_DEP_1)
	v_add_f32_e32 v1, v1, v13
	v_dual_add_f32 v2, v2, v181 :: v_dual_add_f32 v1, v1, v14
	s_delay_alu instid0(VALU_DEP_1) | instskip(NEXT) | instid1(VALU_DEP_1)
	v_dual_add_f32 v2, v2, v183 :: v_dual_add_f32 v1, v1, v16
	v_add_f32_e32 v2, v2, v185
	s_delay_alu instid0(VALU_DEP_2) | instskip(NEXT) | instid1(VALU_DEP_1)
	v_add_f32_e32 v1, v1, v17
	v_add_f32_e32 v1, v1, v32
	s_delay_alu instid0(VALU_DEP_1) | instskip(NEXT) | instid1(VALU_DEP_1)
	v_add_f32_e32 v1, v1, v33
	v_add_f32_e32 v1, v1, v43
	s_delay_alu instid0(VALU_DEP_1) | instskip(NEXT) | instid1(VALU_DEP_1)
	;; [unrolled: 3-line block ×9, first 2 shown]
	v_add_f32_e32 v1, v1, v198
	v_add_f32_e32 v1, v1, v200
	s_delay_alu instid0(VALU_DEP_1) | instskip(SKIP_1) | instid1(VALU_DEP_2)
	v_add_f32_e32 v6, v1, v202
	v_add_f32_e32 v2, v2, v187
	;; [unrolled: 1-line block ×3, first 2 shown]
	s_delay_alu instid0(VALU_DEP_2) | instskip(NEXT) | instid1(VALU_DEP_2)
	v_add_f32_e32 v2, v2, v189
	v_add_f32_e32 v13, v6, v206
	s_delay_alu instid0(VALU_DEP_1) | instskip(NEXT) | instid1(VALU_DEP_1)
	v_dual_add_f32 v2, v2, v191 :: v_dual_add_f32 v13, v13, v208
	v_dual_add_f32 v2, v2, v193 :: v_dual_add_f32 v13, v13, v210
	s_delay_alu instid0(VALU_DEP_1) | instskip(NEXT) | instid1(VALU_DEP_1)
	v_dual_add_f32 v2, v2, v195 :: v_dual_add_f32 v13, v13, v212
	v_add_f32_e32 v2, v2, v197
	s_delay_alu instid0(VALU_DEP_1) | instskip(SKIP_2) | instid1(VALU_DEP_1)
	v_dual_add_f32 v18, v13, v214 :: v_dual_add_f32 v5, v2, v199
	ds_load_b128 v[1:4], v25 offset:944
	v_dual_add_f32 v18, v18, v216 :: v_dual_add_f32 v5, v5, v201
	v_add_f32_e32 v18, v18, v218
	s_delay_alu instid0(VALU_DEP_1) | instskip(NEXT) | instid1(VALU_DEP_1)
	v_add_f32_e32 v18, v18, v220
	v_add_f32_e32 v18, v18, v222
	s_delay_alu instid0(VALU_DEP_1) | instskip(NEXT) | instid1(VALU_DEP_1)
	v_add_f32_e32 v28, v18, v224
	v_dual_add_f32 v34, v28, v226 :: v_dual_add_f32 v5, v5, v203
	s_delay_alu instid0(VALU_DEP_1) | instskip(NEXT) | instid1(VALU_DEP_2)
	v_add_f32_e32 v34, v34, v228
	v_add_f32_e32 v14, v5, v205
	ds_load_b128 v[5:8], v25 offset:960
	s_wait_loadcnt_dscnt 0x101
	v_mul_f32_e32 v30, v1, v10
	v_dual_mul_f32 v10, v2, v10 :: v_dual_mul_f32 v31, v3, v12
	v_mul_f32_e32 v12, v4, v12
	v_add_f32_e32 v34, v34, v230
	s_delay_alu instid0(VALU_DEP_4) | instskip(NEXT) | instid1(VALU_DEP_4)
	v_fmac_f32_e32 v30, v2, v9
	v_fma_f32 v32, v1, v9, -v10
	v_fmac_f32_e32 v31, v4, v11
	v_fma_f32 v33, v3, v11, -v12
	s_clause 0x1
	scratch_load_b128 v[1:4], off, off offset:448
	scratch_load_b128 v[9:12], off, off offset:464
	v_add_f32_e32 v32, v34, v32
	s_delay_alu instid0(VALU_DEP_1)
	v_add_f32_e32 v32, v32, v33
	s_wait_loadcnt_dscnt 0x100
	v_mul_f32_e32 v40, v7, v4
	v_add_f32_e32 v14, v14, v207
	v_dual_mul_f32 v4, v8, v4 :: v_dual_mul_f32 v39, v5, v2
	v_mul_f32_e32 v2, v6, v2
	s_delay_alu instid0(VALU_DEP_4) | instskip(NEXT) | instid1(VALU_DEP_4)
	v_fmac_f32_e32 v40, v8, v3
	v_add_f32_e32 v14, v14, v209
	s_delay_alu instid0(VALU_DEP_4) | instskip(NEXT) | instid1(VALU_DEP_4)
	v_fmac_f32_e32 v39, v6, v1
	v_fma_f32 v2, v5, v1, -v2
	v_fma_f32 v1, v7, v3, -v4
	s_delay_alu instid0(VALU_DEP_4) | instskip(SKIP_2) | instid1(VALU_DEP_1)
	v_add_f32_e32 v17, v14, v211
	scratch_load_b128 v[13:16], off, off offset:480
	v_dual_add_f32 v2, v32, v2 :: v_dual_add_f32 v17, v17, v213
	v_add_f32_e32 v1, v2, v1
	s_delay_alu instid0(VALU_DEP_2) | instskip(NEXT) | instid1(VALU_DEP_1)
	v_add_f32_e32 v17, v17, v215
	v_add_f32_e32 v17, v17, v217
	s_delay_alu instid0(VALU_DEP_1) | instskip(NEXT) | instid1(VALU_DEP_1)
	v_add_f32_e32 v17, v17, v219
	v_add_f32_e32 v21, v17, v221
	ds_load_b128 v[17:20], v25 offset:976
	v_add_f32_e32 v29, v21, v223
	ds_load_b128 v[21:24], v25 offset:992
	v_add_f32_e32 v38, v29, v225
	ds_load_b64 v[28:29], v25 offset:1008
	v_add_f32_e32 v38, v38, v227
	s_delay_alu instid0(VALU_DEP_1) | instskip(SKIP_3) | instid1(VALU_DEP_3)
	v_add_f32_e32 v38, v38, v229
	s_wait_loadcnt_dscnt 0x102
	v_mul_f32_e32 v34, v17, v10
	v_mul_f32_e32 v3, v18, v10
	v_dual_mul_f32 v5, v20, v12 :: v_dual_add_f32 v30, v38, v30
	v_mul_f32_e32 v38, v19, v12
	s_delay_alu instid0(VALU_DEP_4) | instskip(NEXT) | instid1(VALU_DEP_4)
	v_fmac_f32_e32 v34, v18, v9
	v_fma_f32 v3, v17, v9, -v3
	s_delay_alu instid0(VALU_DEP_4)
	v_fma_f32 v5, v19, v11, -v5
	v_add_f32_e32 v30, v30, v31
	v_fmac_f32_e32 v38, v20, v11
	s_wait_dscnt 0x0
	v_mul_f32_e32 v31, v28, v27
	v_add_f32_e32 v1, v1, v3
	s_delay_alu instid0(VALU_DEP_2) | instskip(NEXT) | instid1(VALU_DEP_2)
	v_dual_add_f32 v4, v30, v39 :: v_dual_fmac_f32 v31, v29, v26
	v_add_f32_e32 v1, v1, v5
	s_delay_alu instid0(VALU_DEP_2) | instskip(NEXT) | instid1(VALU_DEP_1)
	v_dual_mul_f32 v5, v29, v27 :: v_dual_add_f32 v2, v4, v40
	v_add_f32_e32 v2, v2, v34
	s_delay_alu instid0(VALU_DEP_1) | instskip(SKIP_4) | instid1(VALU_DEP_3)
	v_add_f32_e32 v2, v2, v38
	s_wait_loadcnt 0x0
	v_mul_f32_e32 v41, v21, v14
	v_dual_mul_f32 v4, v22, v14 :: v_dual_mul_f32 v33, v23, v16
	v_mul_f32_e32 v3, v24, v16
	v_fmac_f32_e32 v41, v22, v13
	s_delay_alu instid0(VALU_DEP_3) | instskip(NEXT) | instid1(VALU_DEP_4)
	v_fma_f32 v4, v21, v13, -v4
	v_fmac_f32_e32 v33, v24, v15
	s_delay_alu instid0(VALU_DEP_4) | instskip(NEXT) | instid1(VALU_DEP_3)
	v_fma_f32 v3, v23, v15, -v3
	v_dual_add_f32 v2, v2, v41 :: v_dual_add_f32 v1, v1, v4
	v_fma_f32 v4, v28, v26, -v5
	s_delay_alu instid0(VALU_DEP_2) | instskip(NEXT) | instid1(VALU_DEP_1)
	v_dual_add_f32 v2, v2, v33 :: v_dual_add_f32 v1, v1, v3
	v_dual_add_f32 v2, v2, v31 :: v_dual_add_f32 v1, v1, v4
	s_delay_alu instid0(VALU_DEP_1)
	v_dual_sub_f32 v2, v37, v2 :: v_dual_sub_f32 v1, v36, v1
	scratch_store_b64 off, v[1:2], off offset:72
	v_cmpx_lt_u32_e32 8, v0
	s_cbranch_execz .LBB62_375
; %bb.374:
	scratch_load_b64 v[1:2], off, off offset:64
	v_mov_b32_e32 v26, v25
	scratch_store_b64 off, v[25:26], off offset:64
	s_wait_loadcnt 0x0
	ds_store_b64 v35, v[1:2]
.LBB62_375:
	s_wait_alu 0xfffe
	s_or_b32 exec_lo, exec_lo, s0
	s_wait_storecnt_dscnt 0x0
	s_barrier_signal -1
	s_barrier_wait -1
	global_inv scope:SCOPE_SE
	s_clause 0x4
	scratch_load_b128 v[5:8], off, off offset:72
	scratch_load_b128 v[1:4], off, off offset:88
	;; [unrolled: 1-line block ×5, first 2 shown]
	ds_load_2addr_b64 v[21:24], v25 offset0:73 offset1:74
	ds_load_2addr_b64 v[26:29], v25 offset0:75 offset1:76
	;; [unrolled: 1-line block ×3, first 2 shown]
	scratch_load_b64 v[36:37], off, off offset:64
	s_mov_b32 s0, exec_lo
	s_wait_loadcnt_dscnt 0x502
	v_mul_f32_e32 v34, v21, v6
	v_mul_f32_e32 v38, v23, v8
	s_wait_loadcnt_dscnt 0x300
	v_dual_mul_f32 v8, v24, v8 :: v_dual_mul_f32 v39, v30, v10
	v_mul_f32_e32 v6, v22, v6
	v_fmac_f32_e32 v34, v22, v5
	v_mul_f32_e32 v40, v32, v12
	s_delay_alu instid0(VALU_DEP_4)
	v_fma_f32 v22, v23, v7, -v8
	v_dual_mul_f32 v23, v26, v2 :: v_dual_fmac_f32 v38, v24, v7
	v_fmac_f32_e32 v39, v31, v9
	v_fma_f32 v21, v21, v5, -v6
	ds_load_2addr_b64 v[5:8], v25 offset0:79 offset1:80
	v_mul_f32_e32 v24, v28, v4
	v_mul_f32_e32 v4, v29, v4
	;; [unrolled: 1-line block ×5, first 2 shown]
	v_dual_fmac_f32 v23, v27, v1 :: v_dual_fmac_f32 v24, v29, v3
	v_fma_f32 v27, v28, v3, -v4
	v_fmac_f32_e32 v40, v33, v11
	v_fma_f32 v28, v30, v9, -v10
	v_fma_f32 v29, v32, v11, -v12
	ds_load_2addr_b64 v[9:12], v25 offset0:81 offset1:82
	s_wait_loadcnt_dscnt 0x201
	v_dual_mul_f32 v31, v7, v16 :: v_dual_mul_f32 v30, v5, v14
	v_mul_f32_e32 v14, v6, v14
	v_mul_f32_e32 v16, v8, v16
	s_delay_alu instid0(VALU_DEP_3)
	v_fmac_f32_e32 v31, v8, v15
	v_fma_f32 v26, v26, v1, -v2
	scratch_load_b128 v[1:4], off, off offset:152
	v_fmac_f32_e32 v30, v6, v13
	v_fma_f32 v13, v5, v13, -v14
	v_fma_f32 v14, v7, v15, -v16
	ds_load_2addr_b64 v[5:8], v25 offset0:83 offset1:84
	s_wait_loadcnt_dscnt 0x201
	v_mul_f32_e32 v15, v9, v18
	v_mul_f32_e32 v16, v10, v18
	;; [unrolled: 1-line block ×3, first 2 shown]
	s_delay_alu instid0(VALU_DEP_3) | instskip(NEXT) | instid1(VALU_DEP_3)
	v_dual_mul_f32 v20, v12, v20 :: v_dual_fmac_f32 v15, v10, v17
	v_fma_f32 v16, v9, v17, -v16
	s_delay_alu instid0(VALU_DEP_3) | instskip(NEXT) | instid1(VALU_DEP_3)
	v_fmac_f32_e32 v18, v12, v19
	v_fma_f32 v17, v11, v19, -v20
	scratch_load_b128 v[9:12], off, off offset:168
	s_wait_loadcnt_dscnt 0x100
	v_mul_f32_e32 v19, v5, v2
	v_mul_f32_e32 v2, v6, v2
	;; [unrolled: 1-line block ×3, first 2 shown]
	s_delay_alu instid0(VALU_DEP_3) | instskip(NEXT) | instid1(VALU_DEP_3)
	v_dual_mul_f32 v4, v8, v4 :: v_dual_fmac_f32 v19, v6, v1
	v_fma_f32 v32, v5, v1, -v2
	s_delay_alu instid0(VALU_DEP_3) | instskip(NEXT) | instid1(VALU_DEP_3)
	v_fmac_f32_e32 v20, v8, v3
	v_fma_f32 v33, v7, v3, -v4
	ds_load_2addr_b64 v[1:4], v25 offset0:85 offset1:86
	ds_load_2addr_b64 v[5:8], v25 offset0:87 offset1:88
	s_wait_loadcnt_dscnt 0x1
	v_mul_f32_e32 v41, v1, v10
	v_mul_f32_e32 v10, v2, v10
	s_delay_alu instid0(VALU_DEP_2) | instskip(NEXT) | instid1(VALU_DEP_2)
	v_dual_mul_f32 v42, v3, v12 :: v_dual_fmac_f32 v41, v2, v9
	v_fma_f32 v43, v1, v9, -v10
	v_mul_f32_e32 v1, v4, v12
	s_delay_alu instid0(VALU_DEP_3) | instskip(NEXT) | instid1(VALU_DEP_2)
	v_fmac_f32_e32 v42, v4, v11
	v_fma_f32 v44, v3, v11, -v1
	s_clause 0x1
	scratch_load_b128 v[1:4], off, off offset:184
	scratch_load_b128 v[9:12], off, off offset:200
	s_wait_loadcnt_dscnt 0x100
	v_mul_f32_e32 v171, v5, v2
	v_dual_mul_f32 v2, v6, v2 :: v_dual_mul_f32 v173, v7, v4
	s_delay_alu instid0(VALU_DEP_2) | instskip(NEXT) | instid1(VALU_DEP_2)
	v_fmac_f32_e32 v171, v6, v1
	v_fma_f32 v172, v5, v1, -v2
	v_mul_f32_e32 v1, v8, v4
	s_delay_alu instid0(VALU_DEP_4) | instskip(NEXT) | instid1(VALU_DEP_2)
	v_fmac_f32_e32 v173, v8, v3
	v_fma_f32 v174, v7, v3, -v1
	ds_load_2addr_b64 v[1:4], v25 offset0:89 offset1:90
	ds_load_2addr_b64 v[5:8], v25 offset0:91 offset1:92
	s_wait_loadcnt_dscnt 0x1
	v_mul_f32_e32 v175, v1, v10
	v_mul_f32_e32 v177, v3, v12
	s_delay_alu instid0(VALU_DEP_2) | instskip(NEXT) | instid1(VALU_DEP_2)
	v_fmac_f32_e32 v175, v2, v9
	v_dual_mul_f32 v2, v2, v10 :: v_dual_fmac_f32 v177, v4, v11
	s_delay_alu instid0(VALU_DEP_1) | instskip(SKIP_1) | instid1(VALU_DEP_1)
	v_fma_f32 v176, v1, v9, -v2
	v_mul_f32_e32 v1, v4, v12
	v_fma_f32 v178, v3, v11, -v1
	s_clause 0x1
	scratch_load_b128 v[1:4], off, off offset:216
	scratch_load_b128 v[9:12], off, off offset:232
	s_wait_loadcnt_dscnt 0x100
	v_mul_f32_e32 v179, v5, v2
	v_dual_mul_f32 v2, v6, v2 :: v_dual_mul_f32 v181, v7, v4
	s_delay_alu instid0(VALU_DEP_2) | instskip(NEXT) | instid1(VALU_DEP_2)
	v_fmac_f32_e32 v179, v6, v1
	v_fma_f32 v180, v5, v1, -v2
	v_mul_f32_e32 v1, v8, v4
	s_delay_alu instid0(VALU_DEP_4) | instskip(NEXT) | instid1(VALU_DEP_2)
	v_fmac_f32_e32 v181, v8, v3
	v_fma_f32 v182, v7, v3, -v1
	ds_load_2addr_b64 v[1:4], v25 offset0:93 offset1:94
	ds_load_2addr_b64 v[5:8], v25 offset0:95 offset1:96
	s_wait_loadcnt_dscnt 0x1
	v_mul_f32_e32 v183, v1, v10
	v_mul_f32_e32 v185, v3, v12
	s_delay_alu instid0(VALU_DEP_2) | instskip(NEXT) | instid1(VALU_DEP_2)
	v_fmac_f32_e32 v183, v2, v9
	v_dual_mul_f32 v2, v2, v10 :: v_dual_fmac_f32 v185, v4, v11
	s_delay_alu instid0(VALU_DEP_1) | instskip(SKIP_1) | instid1(VALU_DEP_1)
	v_fma_f32 v184, v1, v9, -v2
	v_mul_f32_e32 v1, v4, v12
	;; [unrolled: 25-line block ×7, first 2 shown]
	v_fma_f32 v226, v3, v11, -v1
	s_clause 0x1
	scratch_load_b128 v[1:4], off, off offset:408
	scratch_load_b128 v[9:12], off, off offset:424
	s_wait_loadcnt_dscnt 0x100
	v_mul_f32_e32 v227, v5, v2
	v_mul_f32_e32 v2, v6, v2
	s_delay_alu instid0(VALU_DEP_2) | instskip(NEXT) | instid1(VALU_DEP_2)
	v_fmac_f32_e32 v227, v6, v1
	v_fma_f32 v228, v5, v1, -v2
	v_dual_add_f32 v2, 0, v34 :: v_dual_mul_f32 v1, v8, v4
	s_delay_alu instid0(VALU_DEP_1) | instskip(NEXT) | instid1(VALU_DEP_2)
	v_add_f32_e32 v2, v2, v38
	v_fma_f32 v230, v7, v3, -v1
	s_delay_alu instid0(VALU_DEP_2) | instskip(NEXT) | instid1(VALU_DEP_1)
	v_dual_add_f32 v1, 0, v21 :: v_dual_add_f32 v2, v2, v23
	v_dual_add_f32 v1, v1, v22 :: v_dual_add_f32 v2, v2, v24
	s_delay_alu instid0(VALU_DEP_1) | instskip(NEXT) | instid1(VALU_DEP_1)
	v_add_f32_e32 v2, v2, v39
	v_add_f32_e32 v2, v2, v40
	s_delay_alu instid0(VALU_DEP_1) | instskip(NEXT) | instid1(VALU_DEP_1)
	v_add_f32_e32 v2, v2, v30
	v_add_f32_e32 v2, v2, v31
	;; [unrolled: 3-line block ×6, first 2 shown]
	s_delay_alu instid0(VALU_DEP_1) | instskip(NEXT) | instid1(VALU_DEP_1)
	v_add_f32_e32 v2, v2, v175
	v_dual_add_f32 v2, v2, v177 :: v_dual_add_f32 v1, v1, v26
	s_delay_alu instid0(VALU_DEP_1) | instskip(NEXT) | instid1(VALU_DEP_1)
	v_add_f32_e32 v2, v2, v179
	v_dual_add_f32 v1, v1, v27 :: v_dual_add_f32 v2, v2, v181
	s_delay_alu instid0(VALU_DEP_1) | instskip(NEXT) | instid1(VALU_DEP_1)
	v_dual_add_f32 v1, v1, v28 :: v_dual_add_f32 v2, v2, v183
	v_add_f32_e32 v1, v1, v29
	s_delay_alu instid0(VALU_DEP_2) | instskip(NEXT) | instid1(VALU_DEP_1)
	v_add_f32_e32 v2, v2, v185
	v_dual_add_f32 v1, v1, v13 :: v_dual_add_f32 v2, v2, v187
	s_delay_alu instid0(VALU_DEP_1) | instskip(NEXT) | instid1(VALU_DEP_1)
	v_dual_add_f32 v1, v1, v14 :: v_dual_add_f32 v2, v2, v189
	v_add_f32_e32 v1, v1, v16
	s_delay_alu instid0(VALU_DEP_1) | instskip(NEXT) | instid1(VALU_DEP_1)
	v_add_f32_e32 v1, v1, v17
	v_add_f32_e32 v1, v1, v32
	s_delay_alu instid0(VALU_DEP_1) | instskip(NEXT) | instid1(VALU_DEP_1)
	v_add_f32_e32 v1, v1, v33
	;; [unrolled: 3-line block ×11, first 2 shown]
	v_add_f32_e32 v6, v1, v204
	v_add_f32_e32 v2, v2, v191
	s_delay_alu instid0(VALU_DEP_2) | instskip(NEXT) | instid1(VALU_DEP_2)
	v_add_f32_e32 v14, v6, v206
	v_add_f32_e32 v2, v2, v193
	s_delay_alu instid0(VALU_DEP_2) | instskip(NEXT) | instid1(VALU_DEP_2)
	v_add_f32_e32 v14, v14, v208
	v_add_f32_e32 v2, v2, v195
	s_delay_alu instid0(VALU_DEP_2) | instskip(NEXT) | instid1(VALU_DEP_1)
	v_add_f32_e32 v17, v14, v210
	v_dual_add_f32 v2, v2, v197 :: v_dual_add_f32 v17, v17, v212
	s_delay_alu instid0(VALU_DEP_1) | instskip(NEXT) | instid1(VALU_DEP_1)
	v_dual_add_f32 v2, v2, v199 :: v_dual_add_f32 v17, v17, v214
	v_add_f32_e32 v5, v2, v201
	s_delay_alu instid0(VALU_DEP_2) | instskip(NEXT) | instid1(VALU_DEP_1)
	v_add_f32_e32 v17, v17, v216
	v_add_f32_e32 v22, v17, v218
	s_delay_alu instid0(VALU_DEP_1) | instskip(NEXT) | instid1(VALU_DEP_1)
	v_dual_add_f32 v13, v5, v203 :: v_dual_add_f32 v22, v22, v220
	v_dual_add_f32 v13, v13, v205 :: v_dual_add_f32 v22, v22, v222
	s_delay_alu instid0(VALU_DEP_1) | instskip(NEXT) | instid1(VALU_DEP_1)
	v_add_f32_e32 v13, v13, v207
	v_dual_mul_f32 v229, v7, v4 :: v_dual_add_f32 v18, v13, v209
	s_delay_alu instid0(VALU_DEP_1)
	v_fmac_f32_e32 v229, v8, v3
	scratch_load_b128 v[5:8], off, off offset:440
	ds_load_2addr_b64 v[1:4], v25 offset0:117 offset1:118
	ds_load_2addr_b64 v[13:16], v25 offset0:119 offset1:120
	s_wait_loadcnt_dscnt 0x101
	v_mul_f32_e32 v26, v1, v10
	v_dual_mul_f32 v10, v2, v10 :: v_dual_mul_f32 v27, v3, v12
	v_mul_f32_e32 v12, v4, v12
	s_delay_alu instid0(VALU_DEP_3) | instskip(NEXT) | instid1(VALU_DEP_3)
	v_fmac_f32_e32 v26, v2, v9
	v_fma_f32 v28, v1, v9, -v10
	s_delay_alu instid0(VALU_DEP_4) | instskip(NEXT) | instid1(VALU_DEP_4)
	v_fmac_f32_e32 v27, v4, v11
	v_fma_f32 v29, v3, v11, -v12
	s_clause 0x1
	scratch_load_b128 v[1:4], off, off offset:456
	scratch_load_b128 v[9:12], off, off offset:472
	s_wait_loadcnt_dscnt 0x200
	v_mul_f32_e32 v31, v15, v8
	v_mul_f32_e32 v8, v16, v8
	v_add_f32_e32 v18, v18, v211
	v_mul_f32_e32 v30, v13, v6
	s_delay_alu instid0(VALU_DEP_4) | instskip(NEXT) | instid1(VALU_DEP_4)
	v_dual_mul_f32 v6, v14, v6 :: v_dual_fmac_f32 v31, v16, v7
	v_fma_f32 v33, v15, v7, -v8
	s_delay_alu instid0(VALU_DEP_4) | instskip(NEXT) | instid1(VALU_DEP_4)
	v_add_f32_e32 v18, v18, v213
	v_fmac_f32_e32 v30, v14, v5
	s_delay_alu instid0(VALU_DEP_4) | instskip(SKIP_4) | instid1(VALU_DEP_1)
	v_fma_f32 v32, v13, v5, -v6
	ds_load_2addr_b64 v[5:8], v25 offset0:121 offset1:122
	v_add_f32_e32 v21, v18, v215
	scratch_load_b128 v[17:20], off, off offset:488
	v_add_f32_e32 v21, v21, v217
	v_add_f32_e32 v21, v21, v219
	s_delay_alu instid0(VALU_DEP_1) | instskip(NEXT) | instid1(VALU_DEP_1)
	v_add_f32_e32 v13, v21, v221
	v_dual_add_f32 v21, v22, v224 :: v_dual_add_f32 v22, v13, v223
	s_delay_alu instid0(VALU_DEP_1) | instskip(SKIP_4) | instid1(VALU_DEP_1)
	v_add_f32_e32 v34, v21, v226
	ds_load_2addr_b64 v[13:16], v25 offset0:123 offset1:124
	v_add_f32_e32 v38, v22, v225
	ds_load_2addr_b64 v[21:24], v25 offset0:125 offset1:126
	v_add_f32_e32 v25, v34, v228
	v_add_f32_e32 v25, v25, v230
	s_delay_alu instid0(VALU_DEP_1)
	v_add_f32_e32 v25, v25, v28
	s_wait_loadcnt_dscnt 0x202
	v_mul_f32_e32 v28, v7, v4
	v_add_f32_e32 v34, v38, v227
	v_mul_f32_e32 v38, v5, v2
	v_dual_mul_f32 v2, v6, v2 :: v_dual_add_f32 v25, v25, v29
	v_mul_f32_e32 v4, v8, v4
	s_delay_alu instid0(VALU_DEP_4) | instskip(NEXT) | instid1(VALU_DEP_4)
	v_add_f32_e32 v34, v34, v229
	v_fmac_f32_e32 v38, v6, v1
	s_delay_alu instid0(VALU_DEP_4) | instskip(SKIP_4) | instid1(VALU_DEP_3)
	v_fma_f32 v2, v5, v1, -v2
	s_wait_loadcnt_dscnt 0x101
	v_dual_add_f32 v25, v25, v32 :: v_dual_mul_f32 v6, v14, v10
	v_add_f32_e32 v26, v34, v26
	v_mul_f32_e32 v34, v13, v10
	v_dual_fmac_f32 v28, v8, v3 :: v_dual_add_f32 v1, v25, v33
	v_fma_f32 v3, v7, v3, -v4
	s_delay_alu instid0(VALU_DEP_4) | instskip(NEXT) | instid1(VALU_DEP_3)
	v_dual_add_f32 v26, v26, v27 :: v_dual_mul_f32 v39, v15, v12
	v_dual_mul_f32 v4, v16, v12 :: v_dual_add_f32 v1, v1, v2
	v_fmac_f32_e32 v34, v14, v9
	s_delay_alu instid0(VALU_DEP_3) | instskip(NEXT) | instid1(VALU_DEP_3)
	v_dual_add_f32 v26, v26, v30 :: v_dual_fmac_f32 v39, v16, v11
	v_fma_f32 v4, v15, v11, -v4
	s_delay_alu instid0(VALU_DEP_4) | instskip(NEXT) | instid1(VALU_DEP_3)
	v_add_f32_e32 v1, v1, v3
	v_add_f32_e32 v5, v26, v31
	s_delay_alu instid0(VALU_DEP_1) | instskip(SKIP_1) | instid1(VALU_DEP_1)
	v_add_f32_e32 v2, v5, v38
	v_fma_f32 v5, v13, v9, -v6
	v_dual_add_f32 v2, v2, v28 :: v_dual_add_f32 v1, v1, v5
	s_delay_alu instid0(VALU_DEP_1) | instskip(SKIP_1) | instid1(VALU_DEP_1)
	v_dual_add_f32 v2, v2, v34 :: v_dual_add_f32 v1, v1, v4
	s_wait_loadcnt_dscnt 0x0
	v_dual_add_f32 v2, v2, v39 :: v_dual_mul_f32 v27, v21, v18
	v_mul_f32_e32 v3, v22, v18
	v_mul_f32_e32 v29, v23, v20
	;; [unrolled: 1-line block ×3, first 2 shown]
	s_delay_alu instid0(VALU_DEP_4) | instskip(NEXT) | instid1(VALU_DEP_4)
	v_fmac_f32_e32 v27, v22, v17
	v_fma_f32 v3, v21, v17, -v3
	s_delay_alu instid0(VALU_DEP_4) | instskip(NEXT) | instid1(VALU_DEP_4)
	v_fmac_f32_e32 v29, v24, v19
	v_fma_f32 v4, v23, v19, -v5
	s_delay_alu instid0(VALU_DEP_4) | instskip(NEXT) | instid1(VALU_DEP_1)
	v_add_f32_e32 v2, v2, v27
	v_dual_add_f32 v1, v1, v3 :: v_dual_add_f32 v2, v2, v29
	s_delay_alu instid0(VALU_DEP_1) | instskip(NEXT) | instid1(VALU_DEP_1)
	v_add_f32_e32 v1, v1, v4
	v_dual_sub_f32 v2, v37, v2 :: v_dual_sub_f32 v1, v36, v1
	scratch_store_b64 off, v[1:2], off offset:64
	v_cmpx_lt_u32_e32 7, v0
	s_cbranch_execz .LBB62_377
; %bb.376:
	scratch_load_b64 v[1:2], off, off offset:56
	v_mov_b32_e32 v3, 0
	s_delay_alu instid0(VALU_DEP_1)
	v_mov_b32_e32 v4, v3
	scratch_store_b64 off, v[3:4], off offset:56
	s_wait_loadcnt 0x0
	ds_store_b64 v35, v[1:2]
.LBB62_377:
	s_wait_alu 0xfffe
	s_or_b32 exec_lo, exec_lo, s0
	s_wait_storecnt_dscnt 0x0
	s_barrier_signal -1
	s_barrier_wait -1
	global_inv scope:SCOPE_SE
	s_clause 0x4
	scratch_load_b128 v[5:8], off, off offset:64
	scratch_load_b128 v[1:4], off, off offset:80
	;; [unrolled: 1-line block ×5, first 2 shown]
	v_mov_b32_e32 v29, 0
	ds_load_b128 v[21:24], v29 offset:576
	ds_load_b128 v[25:28], v29 offset:592
	;; [unrolled: 1-line block ×3, first 2 shown]
	scratch_load_b64 v[36:37], off, off offset:56
	s_mov_b32 s0, exec_lo
	s_wait_loadcnt_dscnt 0x502
	v_mul_f32_e32 v34, v21, v6
	v_mul_f32_e32 v38, v23, v8
	s_wait_loadcnt_dscnt 0x300
	v_dual_mul_f32 v8, v24, v8 :: v_dual_mul_f32 v39, v30, v10
	v_mul_f32_e32 v6, v22, v6
	v_fmac_f32_e32 v34, v22, v5
	v_mul_f32_e32 v40, v32, v12
	s_delay_alu instid0(VALU_DEP_4)
	v_fma_f32 v22, v23, v7, -v8
	v_dual_mul_f32 v23, v25, v2 :: v_dual_fmac_f32 v38, v24, v7
	v_dual_mul_f32 v2, v26, v2 :: v_dual_fmac_f32 v39, v31, v9
	v_fma_f32 v21, v21, v5, -v6
	ds_load_b128 v[5:8], v29 offset:624
	v_mul_f32_e32 v24, v27, v4
	v_dual_mul_f32 v4, v28, v4 :: v_dual_fmac_f32 v23, v26, v1
	v_fma_f32 v25, v25, v1, -v2
	v_mul_f32_e32 v12, v33, v12
	s_delay_alu instid0(VALU_DEP_4) | instskip(NEXT) | instid1(VALU_DEP_4)
	v_fmac_f32_e32 v24, v28, v3
	v_fma_f32 v26, v27, v3, -v4
	scratch_load_b128 v[1:4], off, off offset:144
	v_mul_f32_e32 v10, v31, v10
	v_fmac_f32_e32 v40, v33, v11
	v_fma_f32 v28, v32, v11, -v12
	s_delay_alu instid0(VALU_DEP_3)
	v_fma_f32 v27, v30, v9, -v10
	ds_load_b128 v[9:12], v29 offset:640
	s_wait_loadcnt_dscnt 0x301
	v_dual_mul_f32 v30, v5, v14 :: v_dual_mul_f32 v31, v7, v16
	v_mul_f32_e32 v14, v6, v14
	v_mul_f32_e32 v16, v8, v16
	s_delay_alu instid0(VALU_DEP_3) | instskip(NEXT) | instid1(VALU_DEP_3)
	v_dual_fmac_f32 v30, v6, v13 :: v_dual_fmac_f32 v31, v8, v15
	v_fma_f32 v13, v5, v13, -v14
	s_delay_alu instid0(VALU_DEP_3)
	v_fma_f32 v14, v7, v15, -v16
	ds_load_b128 v[5:8], v29 offset:656
	s_wait_loadcnt_dscnt 0x201
	v_mul_f32_e32 v15, v9, v18
	v_mul_f32_e32 v16, v10, v18
	v_mul_f32_e32 v18, v11, v20
	s_delay_alu instid0(VALU_DEP_3) | instskip(NEXT) | instid1(VALU_DEP_3)
	v_dual_mul_f32 v20, v12, v20 :: v_dual_fmac_f32 v15, v10, v17
	v_fma_f32 v16, v9, v17, -v16
	s_delay_alu instid0(VALU_DEP_3) | instskip(NEXT) | instid1(VALU_DEP_3)
	v_fmac_f32_e32 v18, v12, v19
	v_fma_f32 v17, v11, v19, -v20
	scratch_load_b128 v[9:12], off, off offset:160
	s_wait_loadcnt_dscnt 0x100
	v_mul_f32_e32 v19, v5, v2
	v_mul_f32_e32 v2, v6, v2
	v_mul_f32_e32 v20, v7, v4
	s_delay_alu instid0(VALU_DEP_3) | instskip(NEXT) | instid1(VALU_DEP_3)
	v_dual_mul_f32 v4, v8, v4 :: v_dual_fmac_f32 v19, v6, v1
	v_fma_f32 v32, v5, v1, -v2
	s_delay_alu instid0(VALU_DEP_3) | instskip(NEXT) | instid1(VALU_DEP_3)
	v_fmac_f32_e32 v20, v8, v3
	v_fma_f32 v33, v7, v3, -v4
	ds_load_b128 v[1:4], v29 offset:672
	ds_load_b128 v[5:8], v29 offset:688
	s_wait_loadcnt_dscnt 0x1
	v_mul_f32_e32 v41, v1, v10
	v_mul_f32_e32 v10, v2, v10
	s_delay_alu instid0(VALU_DEP_2) | instskip(NEXT) | instid1(VALU_DEP_2)
	v_dual_mul_f32 v42, v3, v12 :: v_dual_fmac_f32 v41, v2, v9
	v_fma_f32 v43, v1, v9, -v10
	v_mul_f32_e32 v1, v4, v12
	s_delay_alu instid0(VALU_DEP_3) | instskip(NEXT) | instid1(VALU_DEP_2)
	v_fmac_f32_e32 v42, v4, v11
	v_fma_f32 v44, v3, v11, -v1
	s_clause 0x1
	scratch_load_b128 v[1:4], off, off offset:176
	scratch_load_b128 v[9:12], off, off offset:192
	s_wait_loadcnt_dscnt 0x100
	v_mul_f32_e32 v171, v5, v2
	v_dual_mul_f32 v2, v6, v2 :: v_dual_mul_f32 v173, v7, v4
	s_delay_alu instid0(VALU_DEP_2) | instskip(NEXT) | instid1(VALU_DEP_2)
	v_fmac_f32_e32 v171, v6, v1
	v_fma_f32 v172, v5, v1, -v2
	v_mul_f32_e32 v1, v8, v4
	s_delay_alu instid0(VALU_DEP_4) | instskip(NEXT) | instid1(VALU_DEP_2)
	v_fmac_f32_e32 v173, v8, v3
	v_fma_f32 v174, v7, v3, -v1
	ds_load_b128 v[1:4], v29 offset:704
	ds_load_b128 v[5:8], v29 offset:720
	s_wait_loadcnt_dscnt 0x1
	v_mul_f32_e32 v175, v1, v10
	v_mul_f32_e32 v177, v3, v12
	s_delay_alu instid0(VALU_DEP_2) | instskip(NEXT) | instid1(VALU_DEP_2)
	v_fmac_f32_e32 v175, v2, v9
	v_dual_mul_f32 v2, v2, v10 :: v_dual_fmac_f32 v177, v4, v11
	s_delay_alu instid0(VALU_DEP_1) | instskip(SKIP_1) | instid1(VALU_DEP_1)
	v_fma_f32 v176, v1, v9, -v2
	v_mul_f32_e32 v1, v4, v12
	v_fma_f32 v178, v3, v11, -v1
	s_clause 0x1
	scratch_load_b128 v[1:4], off, off offset:208
	scratch_load_b128 v[9:12], off, off offset:224
	s_wait_loadcnt_dscnt 0x100
	v_mul_f32_e32 v179, v5, v2
	v_dual_mul_f32 v2, v6, v2 :: v_dual_mul_f32 v181, v7, v4
	s_delay_alu instid0(VALU_DEP_2) | instskip(NEXT) | instid1(VALU_DEP_2)
	v_fmac_f32_e32 v179, v6, v1
	v_fma_f32 v180, v5, v1, -v2
	v_mul_f32_e32 v1, v8, v4
	s_delay_alu instid0(VALU_DEP_4) | instskip(NEXT) | instid1(VALU_DEP_2)
	v_fmac_f32_e32 v181, v8, v3
	v_fma_f32 v182, v7, v3, -v1
	ds_load_b128 v[1:4], v29 offset:736
	ds_load_b128 v[5:8], v29 offset:752
	s_wait_loadcnt_dscnt 0x1
	v_mul_f32_e32 v183, v1, v10
	v_mul_f32_e32 v185, v3, v12
	s_delay_alu instid0(VALU_DEP_2) | instskip(NEXT) | instid1(VALU_DEP_2)
	v_fmac_f32_e32 v183, v2, v9
	v_dual_mul_f32 v2, v2, v10 :: v_dual_fmac_f32 v185, v4, v11
	s_delay_alu instid0(VALU_DEP_1) | instskip(SKIP_1) | instid1(VALU_DEP_1)
	v_fma_f32 v184, v1, v9, -v2
	v_mul_f32_e32 v1, v4, v12
	;; [unrolled: 25-line block ×7, first 2 shown]
	v_fma_f32 v226, v3, v11, -v1
	s_clause 0x1
	scratch_load_b128 v[1:4], off, off offset:400
	scratch_load_b128 v[9:12], off, off offset:416
	s_wait_loadcnt_dscnt 0x100
	v_mul_f32_e32 v227, v5, v2
	v_mul_f32_e32 v2, v6, v2
	s_delay_alu instid0(VALU_DEP_2) | instskip(NEXT) | instid1(VALU_DEP_2)
	v_fmac_f32_e32 v227, v6, v1
	v_fma_f32 v228, v5, v1, -v2
	v_dual_add_f32 v2, 0, v34 :: v_dual_mul_f32 v1, v8, v4
	s_delay_alu instid0(VALU_DEP_1) | instskip(NEXT) | instid1(VALU_DEP_2)
	v_add_f32_e32 v2, v2, v38
	v_fma_f32 v230, v7, v3, -v1
	s_delay_alu instid0(VALU_DEP_2) | instskip(NEXT) | instid1(VALU_DEP_1)
	v_dual_add_f32 v1, 0, v21 :: v_dual_add_f32 v2, v2, v23
	v_dual_add_f32 v1, v1, v22 :: v_dual_add_f32 v2, v2, v24
	s_delay_alu instid0(VALU_DEP_1) | instskip(NEXT) | instid1(VALU_DEP_1)
	v_dual_add_f32 v1, v1, v25 :: v_dual_add_f32 v2, v2, v39
	v_add_f32_e32 v2, v2, v40
	s_delay_alu instid0(VALU_DEP_1) | instskip(NEXT) | instid1(VALU_DEP_1)
	v_add_f32_e32 v2, v2, v30
	v_add_f32_e32 v2, v2, v31
	s_delay_alu instid0(VALU_DEP_1) | instskip(NEXT) | instid1(VALU_DEP_1)
	v_add_f32_e32 v2, v2, v15
	;; [unrolled: 3-line block ×6, first 2 shown]
	v_dual_add_f32 v2, v2, v177 :: v_dual_add_f32 v1, v1, v26
	scratch_load_b64 v[25:26], off, off offset:496
	v_add_f32_e32 v2, v2, v179
	s_delay_alu instid0(VALU_DEP_1) | instskip(NEXT) | instid1(VALU_DEP_1)
	v_dual_add_f32 v1, v1, v27 :: v_dual_add_f32 v2, v2, v181
	v_dual_add_f32 v1, v1, v28 :: v_dual_add_f32 v2, v2, v183
	s_delay_alu instid0(VALU_DEP_1) | instskip(NEXT) | instid1(VALU_DEP_1)
	v_add_f32_e32 v1, v1, v13
	v_dual_add_f32 v2, v2, v185 :: v_dual_add_f32 v1, v1, v14
	s_delay_alu instid0(VALU_DEP_1) | instskip(NEXT) | instid1(VALU_DEP_1)
	v_add_f32_e32 v1, v1, v16
	v_add_f32_e32 v1, v1, v17
	s_delay_alu instid0(VALU_DEP_1) | instskip(NEXT) | instid1(VALU_DEP_1)
	v_add_f32_e32 v1, v1, v32
	v_add_f32_e32 v1, v1, v33
	;; [unrolled: 3-line block ×11, first 2 shown]
	s_delay_alu instid0(VALU_DEP_1) | instskip(SKIP_1) | instid1(VALU_DEP_2)
	v_add_f32_e32 v6, v1, v204
	v_add_f32_e32 v2, v2, v187
	;; [unrolled: 1-line block ×3, first 2 shown]
	s_delay_alu instid0(VALU_DEP_2) | instskip(NEXT) | instid1(VALU_DEP_2)
	v_add_f32_e32 v2, v2, v189
	v_add_f32_e32 v14, v14, v208
	s_delay_alu instid0(VALU_DEP_2) | instskip(NEXT) | instid1(VALU_DEP_2)
	v_add_f32_e32 v2, v2, v191
	v_add_f32_e32 v17, v14, v210
	s_delay_alu instid0(VALU_DEP_1) | instskip(NEXT) | instid1(VALU_DEP_1)
	v_dual_add_f32 v2, v2, v193 :: v_dual_add_f32 v17, v17, v212
	v_dual_add_f32 v2, v2, v195 :: v_dual_add_f32 v17, v17, v214
	s_delay_alu instid0(VALU_DEP_1) | instskip(NEXT) | instid1(VALU_DEP_1)
	v_dual_add_f32 v2, v2, v197 :: v_dual_add_f32 v17, v17, v216
	v_add_f32_e32 v22, v17, v218
	s_delay_alu instid0(VALU_DEP_2) | instskip(NEXT) | instid1(VALU_DEP_2)
	v_add_f32_e32 v2, v2, v199
	v_add_f32_e32 v22, v22, v220
	s_delay_alu instid0(VALU_DEP_2) | instskip(NEXT) | instid1(VALU_DEP_1)
	v_add_f32_e32 v5, v2, v201
	v_dual_add_f32 v22, v22, v222 :: v_dual_add_f32 v13, v5, v203
	s_delay_alu instid0(VALU_DEP_1) | instskip(NEXT) | instid1(VALU_DEP_1)
	v_dual_add_f32 v22, v22, v224 :: v_dual_add_f32 v13, v13, v205
	v_add_f32_e32 v13, v13, v207
	s_delay_alu instid0(VALU_DEP_1) | instskip(NEXT) | instid1(VALU_DEP_1)
	v_dual_mul_f32 v229, v7, v4 :: v_dual_add_f32 v18, v13, v209
	v_fmac_f32_e32 v229, v8, v3
	scratch_load_b128 v[1:4], off, off offset:432
	ds_load_b128 v[5:8], v29 offset:928
	ds_load_b128 v[13:16], v29 offset:944
	s_wait_loadcnt_dscnt 0x201
	v_mul_f32_e32 v30, v5, v10
	v_dual_mul_f32 v10, v6, v10 :: v_dual_mul_f32 v31, v7, v12
	v_mul_f32_e32 v12, v8, v12
	s_delay_alu instid0(VALU_DEP_3) | instskip(NEXT) | instid1(VALU_DEP_3)
	v_fmac_f32_e32 v30, v6, v9
	v_fma_f32 v32, v5, v9, -v10
	s_delay_alu instid0(VALU_DEP_4) | instskip(NEXT) | instid1(VALU_DEP_4)
	v_fmac_f32_e32 v31, v8, v11
	v_fma_f32 v33, v7, v11, -v12
	s_clause 0x1
	scratch_load_b128 v[5:8], off, off offset:448
	scratch_load_b128 v[9:12], off, off offset:464
	s_wait_loadcnt_dscnt 0x200
	v_mul_f32_e32 v38, v15, v4
	v_mul_f32_e32 v4, v16, v4
	v_add_f32_e32 v18, v18, v211
	v_mul_f32_e32 v34, v13, v2
	v_mul_f32_e32 v2, v14, v2
	v_fmac_f32_e32 v38, v16, v3
	v_fma_f32 v40, v15, v3, -v4
	v_add_f32_e32 v18, v18, v213
	v_fmac_f32_e32 v34, v14, v1
	v_add_f32_e32 v14, v22, v226
	v_fma_f32 v39, v13, v1, -v2
	ds_load_b128 v[1:4], v29 offset:960
	v_add_f32_e32 v21, v18, v215
	scratch_load_b128 v[17:20], off, off offset:480
	v_add_f32_e32 v27, v14, v228
	v_add_f32_e32 v21, v21, v217
	s_delay_alu instid0(VALU_DEP_2) | instskip(NEXT) | instid1(VALU_DEP_2)
	v_add_f32_e32 v41, v27, v230
	v_add_f32_e32 v21, v21, v219
	s_delay_alu instid0(VALU_DEP_2) | instskip(NEXT) | instid1(VALU_DEP_2)
	v_add_f32_e32 v32, v41, v32
	v_add_f32_e32 v21, v21, v221
	s_delay_alu instid0(VALU_DEP_1) | instskip(NEXT) | instid1(VALU_DEP_1)
	v_dual_add_f32 v32, v32, v33 :: v_dual_add_f32 v13, v21, v223
	v_dual_add_f32 v32, v32, v39 :: v_dual_add_f32 v21, v13, v225
	ds_load_b128 v[13:16], v29 offset:976
	s_wait_loadcnt_dscnt 0x201
	v_mul_f32_e32 v41, v1, v6
	v_mul_f32_e32 v6, v2, v6
	v_add_f32_e32 v32, v32, v40
	v_add_f32_e32 v28, v21, v227
	ds_load_b128 v[21:24], v29 offset:992
	v_fmac_f32_e32 v41, v2, v5
	v_fma_f32 v1, v1, v5, -v6
	v_add_f32_e32 v42, v28, v229
	ds_load_b64 v[27:28], v29 offset:1008
	v_dual_add_f32 v1, v32, v1 :: v_dual_add_f32 v30, v42, v30
	s_delay_alu instid0(VALU_DEP_1) | instskip(SKIP_2) | instid1(VALU_DEP_2)
	v_dual_add_f32 v30, v30, v31 :: v_dual_mul_f32 v31, v3, v8
	s_wait_loadcnt_dscnt 0x102
	v_dual_mul_f32 v8, v4, v8 :: v_dual_mul_f32 v33, v13, v10
	v_dual_mul_f32 v5, v16, v12 :: v_dual_add_f32 v30, v30, v34
	s_delay_alu instid0(VALU_DEP_3) | instskip(NEXT) | instid1(VALU_DEP_3)
	v_fmac_f32_e32 v31, v4, v7
	v_fma_f32 v2, v3, v7, -v8
	v_dual_mul_f32 v3, v14, v10 :: v_dual_mul_f32 v34, v15, v12
	s_delay_alu instid0(VALU_DEP_4) | instskip(SKIP_1) | instid1(VALU_DEP_4)
	v_add_f32_e32 v30, v30, v38
	v_fmac_f32_e32 v33, v14, v9
	v_add_f32_e32 v1, v1, v2
	s_delay_alu instid0(VALU_DEP_4)
	v_fma_f32 v3, v13, v9, -v3
	v_fmac_f32_e32 v34, v16, v11
	v_add_f32_e32 v4, v30, v41
	v_fma_f32 v5, v15, v11, -v5
	s_wait_dscnt 0x0
	v_dual_mul_f32 v38, v27, v26 :: v_dual_add_f32 v1, v1, v3
	s_delay_alu instid0(VALU_DEP_3) | instskip(NEXT) | instid1(VALU_DEP_2)
	v_add_f32_e32 v2, v4, v31
	v_fmac_f32_e32 v38, v28, v25
	s_delay_alu instid0(VALU_DEP_3) | instskip(NEXT) | instid1(VALU_DEP_3)
	v_add_f32_e32 v1, v1, v5
	v_dual_mul_f32 v5, v28, v26 :: v_dual_add_f32 v2, v2, v33
	s_delay_alu instid0(VALU_DEP_1)
	v_add_f32_e32 v2, v2, v34
	s_wait_loadcnt 0x0
	v_mul_f32_e32 v39, v21, v18
	v_mul_f32_e32 v4, v22, v18
	;; [unrolled: 1-line block ×4, first 2 shown]
	s_delay_alu instid0(VALU_DEP_4) | instskip(NEXT) | instid1(VALU_DEP_4)
	v_fmac_f32_e32 v39, v22, v17
	v_fma_f32 v4, v21, v17, -v4
	s_delay_alu instid0(VALU_DEP_4) | instskip(NEXT) | instid1(VALU_DEP_4)
	v_fmac_f32_e32 v40, v24, v19
	v_fma_f32 v3, v23, v19, -v3
	s_delay_alu instid0(VALU_DEP_3) | instskip(SKIP_1) | instid1(VALU_DEP_2)
	v_dual_add_f32 v2, v2, v39 :: v_dual_add_f32 v1, v1, v4
	v_fma_f32 v4, v27, v25, -v5
	v_dual_add_f32 v2, v2, v40 :: v_dual_add_f32 v1, v1, v3
	s_delay_alu instid0(VALU_DEP_1) | instskip(NEXT) | instid1(VALU_DEP_1)
	v_dual_add_f32 v2, v2, v38 :: v_dual_add_f32 v1, v1, v4
	v_dual_sub_f32 v2, v37, v2 :: v_dual_sub_f32 v1, v36, v1
	scratch_store_b64 off, v[1:2], off offset:56
	v_cmpx_lt_u32_e32 6, v0
	s_cbranch_execz .LBB62_379
; %bb.378:
	scratch_load_b64 v[1:2], off, off offset:48
	v_mov_b32_e32 v30, v29
	scratch_store_b64 off, v[29:30], off offset:48
	s_wait_loadcnt 0x0
	ds_store_b64 v35, v[1:2]
.LBB62_379:
	s_wait_alu 0xfffe
	s_or_b32 exec_lo, exec_lo, s0
	s_wait_storecnt_dscnt 0x0
	s_barrier_signal -1
	s_barrier_wait -1
	global_inv scope:SCOPE_SE
	s_clause 0x4
	scratch_load_b128 v[5:8], off, off offset:56
	scratch_load_b128 v[1:4], off, off offset:72
	;; [unrolled: 1-line block ×5, first 2 shown]
	ds_load_2addr_b64 v[21:24], v29 offset0:71 offset1:72
	ds_load_2addr_b64 v[25:28], v29 offset0:73 offset1:74
	;; [unrolled: 1-line block ×3, first 2 shown]
	scratch_load_b64 v[36:37], off, off offset:48
	s_mov_b32 s0, exec_lo
	s_wait_loadcnt_dscnt 0x502
	v_mul_f32_e32 v34, v21, v6
	v_mul_f32_e32 v38, v23, v8
	s_wait_loadcnt_dscnt 0x300
	v_dual_mul_f32 v8, v24, v8 :: v_dual_mul_f32 v39, v30, v10
	v_mul_f32_e32 v6, v22, v6
	v_fmac_f32_e32 v34, v22, v5
	s_delay_alu instid0(VALU_DEP_3)
	v_fma_f32 v22, v23, v7, -v8
	v_dual_mul_f32 v23, v25, v2 :: v_dual_fmac_f32 v38, v24, v7
	v_dual_mul_f32 v2, v26, v2 :: v_dual_fmac_f32 v39, v31, v9
	v_fma_f32 v21, v21, v5, -v6
	ds_load_2addr_b64 v[5:8], v29 offset0:77 offset1:78
	v_mul_f32_e32 v24, v27, v4
	v_dual_mul_f32 v4, v28, v4 :: v_dual_fmac_f32 v23, v26, v1
	v_fma_f32 v25, v25, v1, -v2
	s_delay_alu instid0(VALU_DEP_3) | instskip(NEXT) | instid1(VALU_DEP_3)
	v_fmac_f32_e32 v24, v28, v3
	v_fma_f32 v26, v27, v3, -v4
	scratch_load_b128 v[1:4], off, off offset:136
	v_mul_f32_e32 v40, v32, v12
	v_mul_f32_e32 v10, v31, v10
	;; [unrolled: 1-line block ×3, first 2 shown]
	s_delay_alu instid0(VALU_DEP_3) | instskip(NEXT) | instid1(VALU_DEP_3)
	v_fmac_f32_e32 v40, v33, v11
	v_fma_f32 v27, v30, v9, -v10
	s_delay_alu instid0(VALU_DEP_3)
	v_fma_f32 v28, v32, v11, -v12
	ds_load_2addr_b64 v[9:12], v29 offset0:79 offset1:80
	s_wait_loadcnt_dscnt 0x301
	v_dual_mul_f32 v30, v5, v14 :: v_dual_mul_f32 v31, v7, v16
	v_mul_f32_e32 v14, v6, v14
	v_mul_f32_e32 v16, v8, v16
	s_delay_alu instid0(VALU_DEP_3) | instskip(NEXT) | instid1(VALU_DEP_3)
	v_dual_fmac_f32 v30, v6, v13 :: v_dual_fmac_f32 v31, v8, v15
	v_fma_f32 v13, v5, v13, -v14
	s_delay_alu instid0(VALU_DEP_3)
	v_fma_f32 v14, v7, v15, -v16
	ds_load_2addr_b64 v[5:8], v29 offset0:81 offset1:82
	s_wait_loadcnt_dscnt 0x201
	v_mul_f32_e32 v15, v9, v18
	v_mul_f32_e32 v16, v10, v18
	;; [unrolled: 1-line block ×3, first 2 shown]
	s_delay_alu instid0(VALU_DEP_3) | instskip(NEXT) | instid1(VALU_DEP_3)
	v_dual_mul_f32 v20, v12, v20 :: v_dual_fmac_f32 v15, v10, v17
	v_fma_f32 v16, v9, v17, -v16
	s_delay_alu instid0(VALU_DEP_3) | instskip(NEXT) | instid1(VALU_DEP_3)
	v_fmac_f32_e32 v18, v12, v19
	v_fma_f32 v17, v11, v19, -v20
	scratch_load_b128 v[9:12], off, off offset:152
	s_wait_loadcnt_dscnt 0x100
	v_mul_f32_e32 v19, v5, v2
	v_mul_f32_e32 v2, v6, v2
	;; [unrolled: 1-line block ×3, first 2 shown]
	s_delay_alu instid0(VALU_DEP_3) | instskip(NEXT) | instid1(VALU_DEP_3)
	v_dual_mul_f32 v4, v8, v4 :: v_dual_fmac_f32 v19, v6, v1
	v_fma_f32 v32, v5, v1, -v2
	s_delay_alu instid0(VALU_DEP_3) | instskip(NEXT) | instid1(VALU_DEP_3)
	v_fmac_f32_e32 v20, v8, v3
	v_fma_f32 v33, v7, v3, -v4
	ds_load_2addr_b64 v[1:4], v29 offset0:83 offset1:84
	ds_load_2addr_b64 v[5:8], v29 offset0:85 offset1:86
	s_wait_loadcnt_dscnt 0x1
	v_mul_f32_e32 v41, v1, v10
	v_mul_f32_e32 v10, v2, v10
	s_delay_alu instid0(VALU_DEP_2) | instskip(NEXT) | instid1(VALU_DEP_2)
	v_dual_mul_f32 v42, v3, v12 :: v_dual_fmac_f32 v41, v2, v9
	v_fma_f32 v43, v1, v9, -v10
	v_mul_f32_e32 v1, v4, v12
	s_delay_alu instid0(VALU_DEP_3) | instskip(NEXT) | instid1(VALU_DEP_2)
	v_fmac_f32_e32 v42, v4, v11
	v_fma_f32 v44, v3, v11, -v1
	s_clause 0x1
	scratch_load_b128 v[1:4], off, off offset:168
	scratch_load_b128 v[9:12], off, off offset:184
	s_wait_loadcnt_dscnt 0x100
	v_mul_f32_e32 v171, v5, v2
	v_dual_mul_f32 v2, v6, v2 :: v_dual_mul_f32 v173, v7, v4
	s_delay_alu instid0(VALU_DEP_2) | instskip(NEXT) | instid1(VALU_DEP_2)
	v_fmac_f32_e32 v171, v6, v1
	v_fma_f32 v172, v5, v1, -v2
	v_mul_f32_e32 v1, v8, v4
	s_delay_alu instid0(VALU_DEP_4) | instskip(NEXT) | instid1(VALU_DEP_2)
	v_fmac_f32_e32 v173, v8, v3
	v_fma_f32 v174, v7, v3, -v1
	ds_load_2addr_b64 v[1:4], v29 offset0:87 offset1:88
	ds_load_2addr_b64 v[5:8], v29 offset0:89 offset1:90
	s_wait_loadcnt_dscnt 0x1
	v_mul_f32_e32 v175, v1, v10
	v_mul_f32_e32 v177, v3, v12
	s_delay_alu instid0(VALU_DEP_2) | instskip(NEXT) | instid1(VALU_DEP_2)
	v_fmac_f32_e32 v175, v2, v9
	v_dual_mul_f32 v2, v2, v10 :: v_dual_fmac_f32 v177, v4, v11
	s_delay_alu instid0(VALU_DEP_1) | instskip(SKIP_1) | instid1(VALU_DEP_1)
	v_fma_f32 v176, v1, v9, -v2
	v_mul_f32_e32 v1, v4, v12
	v_fma_f32 v178, v3, v11, -v1
	s_clause 0x1
	scratch_load_b128 v[1:4], off, off offset:200
	scratch_load_b128 v[9:12], off, off offset:216
	s_wait_loadcnt_dscnt 0x100
	v_mul_f32_e32 v179, v5, v2
	v_dual_mul_f32 v2, v6, v2 :: v_dual_mul_f32 v181, v7, v4
	s_delay_alu instid0(VALU_DEP_2) | instskip(NEXT) | instid1(VALU_DEP_2)
	v_fmac_f32_e32 v179, v6, v1
	v_fma_f32 v180, v5, v1, -v2
	v_mul_f32_e32 v1, v8, v4
	s_delay_alu instid0(VALU_DEP_4) | instskip(NEXT) | instid1(VALU_DEP_2)
	v_fmac_f32_e32 v181, v8, v3
	v_fma_f32 v182, v7, v3, -v1
	ds_load_2addr_b64 v[1:4], v29 offset0:91 offset1:92
	ds_load_2addr_b64 v[5:8], v29 offset0:93 offset1:94
	s_wait_loadcnt_dscnt 0x1
	v_mul_f32_e32 v183, v1, v10
	v_mul_f32_e32 v185, v3, v12
	s_delay_alu instid0(VALU_DEP_2) | instskip(NEXT) | instid1(VALU_DEP_2)
	v_fmac_f32_e32 v183, v2, v9
	v_dual_mul_f32 v2, v2, v10 :: v_dual_fmac_f32 v185, v4, v11
	s_delay_alu instid0(VALU_DEP_1) | instskip(SKIP_1) | instid1(VALU_DEP_1)
	v_fma_f32 v184, v1, v9, -v2
	v_mul_f32_e32 v1, v4, v12
	;; [unrolled: 25-line block ×8, first 2 shown]
	v_fma_f32 v234, v3, v11, -v1
	s_clause 0x1
	scratch_load_b128 v[1:4], off, off offset:424
	scratch_load_b128 v[9:12], off, off offset:440
	s_wait_loadcnt_dscnt 0x100
	v_mul_f32_e32 v235, v5, v2
	v_mul_f32_e32 v2, v6, v2
	s_delay_alu instid0(VALU_DEP_2) | instskip(NEXT) | instid1(VALU_DEP_2)
	v_fmac_f32_e32 v235, v6, v1
	v_fma_f32 v236, v5, v1, -v2
	v_dual_mul_f32 v1, v8, v4 :: v_dual_add_f32 v2, 0, v34
	s_delay_alu instid0(VALU_DEP_1) | instskip(NEXT) | instid1(VALU_DEP_2)
	v_fma_f32 v238, v7, v3, -v1
	v_dual_add_f32 v1, 0, v21 :: v_dual_add_f32 v2, v2, v38
	s_delay_alu instid0(VALU_DEP_1) | instskip(NEXT) | instid1(VALU_DEP_1)
	v_dual_add_f32 v1, v1, v22 :: v_dual_add_f32 v2, v2, v23
	v_dual_add_f32 v1, v1, v25 :: v_dual_add_f32 v2, v2, v24
	s_delay_alu instid0(VALU_DEP_1) | instskip(NEXT) | instid1(VALU_DEP_1)
	v_dual_add_f32 v1, v1, v26 :: v_dual_add_f32 v2, v2, v39
	;; [unrolled: 3-line block ×5, first 2 shown]
	v_add_f32_e32 v1, v1, v32
	s_delay_alu instid0(VALU_DEP_1) | instskip(NEXT) | instid1(VALU_DEP_1)
	v_dual_add_f32 v2, v2, v20 :: v_dual_add_f32 v1, v1, v33
	v_dual_add_f32 v2, v2, v41 :: v_dual_add_f32 v1, v1, v43
	s_delay_alu instid0(VALU_DEP_1) | instskip(NEXT) | instid1(VALU_DEP_1)
	v_dual_add_f32 v2, v2, v42 :: v_dual_add_f32 v1, v1, v44
	v_dual_add_f32 v2, v2, v171 :: v_dual_add_f32 v1, v1, v172
	;; [unrolled: 3-line block ×6, first 2 shown]
	s_delay_alu instid0(VALU_DEP_1) | instskip(NEXT) | instid1(VALU_DEP_1)
	v_dual_add_f32 v2, v2, v189 :: v_dual_add_f32 v1, v1, v190
	v_add_f32_e32 v1, v1, v192
	s_delay_alu instid0(VALU_DEP_1) | instskip(NEXT) | instid1(VALU_DEP_1)
	v_add_f32_e32 v1, v1, v194
	v_add_f32_e32 v1, v1, v196
	s_delay_alu instid0(VALU_DEP_1) | instskip(NEXT) | instid1(VALU_DEP_1)
	v_add_f32_e32 v1, v1, v198
	;; [unrolled: 3-line block ×4, first 2 shown]
	v_add_f32_e32 v1, v1, v208
	s_delay_alu instid0(VALU_DEP_1) | instskip(SKIP_1) | instid1(VALU_DEP_2)
	v_add_f32_e32 v6, v1, v210
	v_add_f32_e32 v2, v2, v191
	v_add_f32_e32 v6, v6, v212
	s_delay_alu instid0(VALU_DEP_2) | instskip(NEXT) | instid1(VALU_DEP_2)
	v_add_f32_e32 v2, v2, v193
	v_add_f32_e32 v13, v6, v214
	s_delay_alu instid0(VALU_DEP_1) | instskip(NEXT) | instid1(VALU_DEP_1)
	v_dual_add_f32 v2, v2, v195 :: v_dual_add_f32 v13, v13, v216
	v_dual_add_f32 v2, v2, v197 :: v_dual_add_f32 v13, v13, v218
	s_delay_alu instid0(VALU_DEP_1) | instskip(NEXT) | instid1(VALU_DEP_1)
	v_dual_add_f32 v2, v2, v199 :: v_dual_add_f32 v13, v13, v220
	v_add_f32_e32 v2, v2, v201
	s_delay_alu instid0(VALU_DEP_2) | instskip(NEXT) | instid1(VALU_DEP_2)
	v_add_f32_e32 v18, v13, v222
	v_add_f32_e32 v2, v2, v203
	s_delay_alu instid0(VALU_DEP_2) | instskip(NEXT) | instid1(VALU_DEP_2)
	v_add_f32_e32 v18, v18, v224
	v_dual_mul_f32 v237, v7, v4 :: v_dual_add_f32 v2, v2, v205
	s_delay_alu instid0(VALU_DEP_1) | instskip(NEXT) | instid1(VALU_DEP_2)
	v_dual_add_f32 v18, v18, v226 :: v_dual_fmac_f32 v237, v8, v3
	v_add_f32_e32 v5, v2, v207
	ds_load_2addr_b64 v[1:4], v29 offset0:119 offset1:120
	v_add_f32_e32 v21, v18, v228
	v_add_f32_e32 v5, v5, v209
	s_delay_alu instid0(VALU_DEP_2) | instskip(NEXT) | instid1(VALU_DEP_2)
	v_add_f32_e32 v30, v21, v230
	v_add_f32_e32 v5, v5, v211
	s_delay_alu instid0(VALU_DEP_1)
	v_add_f32_e32 v14, v5, v213
	ds_load_2addr_b64 v[5:8], v29 offset0:121 offset1:122
	s_wait_loadcnt_dscnt 0x1
	v_dual_add_f32 v14, v14, v215 :: v_dual_mul_f32 v25, v1, v10
	v_mul_f32_e32 v26, v3, v12
	v_mul_f32_e32 v10, v2, v10
	;; [unrolled: 1-line block ×3, first 2 shown]
	s_delay_alu instid0(VALU_DEP_4) | instskip(NEXT) | instid1(VALU_DEP_4)
	v_add_f32_e32 v14, v14, v217
	v_dual_fmac_f32 v25, v2, v9 :: v_dual_fmac_f32 v26, v4, v11
	s_delay_alu instid0(VALU_DEP_4) | instskip(NEXT) | instid1(VALU_DEP_4)
	v_fma_f32 v27, v1, v9, -v10
	v_fma_f32 v28, v3, v11, -v12
	s_clause 0x1
	scratch_load_b128 v[1:4], off, off offset:456
	scratch_load_b128 v[9:12], off, off offset:472
	v_add_f32_e32 v17, v14, v219
	scratch_load_b128 v[13:16], off, off offset:488
	s_wait_loadcnt_dscnt 0x200
	v_dual_add_f32 v17, v17, v221 :: v_dual_mul_f32 v32, v7, v4
	s_delay_alu instid0(VALU_DEP_1) | instskip(NEXT) | instid1(VALU_DEP_1)
	v_dual_add_f32 v17, v17, v223 :: v_dual_mul_f32 v4, v8, v4
	v_dual_fmac_f32 v32, v8, v3 :: v_dual_add_f32 v17, v17, v225
	s_delay_alu instid0(VALU_DEP_2) | instskip(NEXT) | instid1(VALU_DEP_2)
	v_fma_f32 v3, v7, v3, -v4
	v_add_f32_e32 v22, v17, v227
	ds_load_2addr_b64 v[17:20], v29 offset0:123 offset1:124
	v_add_f32_e32 v31, v22, v229
	ds_load_2addr_b64 v[21:24], v29 offset0:125 offset1:126
	v_add_f32_e32 v29, v30, v232
	s_delay_alu instid0(VALU_DEP_1) | instskip(NEXT) | instid1(VALU_DEP_1)
	v_add_f32_e32 v29, v29, v234
	v_add_f32_e32 v29, v29, v236
	s_wait_loadcnt_dscnt 0x101
	v_mul_f32_e32 v33, v17, v10
	s_delay_alu instid0(VALU_DEP_2)
	v_dual_add_f32 v29, v29, v238 :: v_dual_mul_f32 v34, v19, v12
	v_mul_f32_e32 v4, v20, v12
	s_wait_loadcnt_dscnt 0x0
	v_mul_f32_e32 v38, v21, v14
	v_dual_add_f32 v30, v31, v231 :: v_dual_mul_f32 v31, v5, v2
	v_dual_mul_f32 v2, v6, v2 :: v_dual_add_f32 v27, v29, v27
	v_fmac_f32_e32 v33, v18, v9
	s_delay_alu instid0(VALU_DEP_3) | instskip(NEXT) | instid1(VALU_DEP_4)
	v_add_f32_e32 v30, v30, v233
	v_fmac_f32_e32 v31, v6, v1
	s_delay_alu instid0(VALU_DEP_4) | instskip(SKIP_1) | instid1(VALU_DEP_4)
	v_fma_f32 v2, v5, v1, -v2
	v_dual_add_f32 v1, v27, v28 :: v_dual_mul_f32 v6, v18, v10
	v_add_f32_e32 v30, v30, v235
	v_fmac_f32_e32 v34, v20, v11
	v_fma_f32 v4, v19, v11, -v4
	s_delay_alu instid0(VALU_DEP_4) | instskip(NEXT) | instid1(VALU_DEP_4)
	v_add_f32_e32 v1, v1, v2
	v_dual_mul_f32 v29, v23, v16 :: v_dual_add_f32 v30, v30, v237
	s_delay_alu instid0(VALU_DEP_2) | instskip(SKIP_1) | instid1(VALU_DEP_3)
	v_dual_fmac_f32 v38, v22, v13 :: v_dual_add_f32 v1, v1, v3
	v_mul_f32_e32 v3, v22, v14
	v_add_f32_e32 v25, v30, v25
	s_delay_alu instid0(VALU_DEP_4) | instskip(NEXT) | instid1(VALU_DEP_3)
	v_fmac_f32_e32 v29, v24, v15
	v_fma_f32 v3, v21, v13, -v3
	s_delay_alu instid0(VALU_DEP_3) | instskip(NEXT) | instid1(VALU_DEP_1)
	v_add_f32_e32 v5, v25, v26
	v_add_f32_e32 v2, v5, v31
	v_fma_f32 v5, v17, v9, -v6
	s_delay_alu instid0(VALU_DEP_1) | instskip(NEXT) | instid1(VALU_DEP_1)
	v_dual_add_f32 v2, v2, v32 :: v_dual_add_f32 v1, v1, v5
	v_dual_mul_f32 v5, v24, v16 :: v_dual_add_f32 v2, v2, v33
	s_delay_alu instid0(VALU_DEP_2) | instskip(NEXT) | instid1(VALU_DEP_2)
	v_add_f32_e32 v1, v1, v4
	v_fma_f32 v4, v23, v15, -v5
	s_delay_alu instid0(VALU_DEP_2) | instskip(NEXT) | instid1(VALU_DEP_1)
	v_dual_add_f32 v2, v2, v34 :: v_dual_add_f32 v1, v1, v3
	v_dual_add_f32 v2, v2, v38 :: v_dual_add_f32 v1, v1, v4
	s_delay_alu instid0(VALU_DEP_1) | instskip(NEXT) | instid1(VALU_DEP_1)
	v_add_f32_e32 v2, v2, v29
	v_dual_sub_f32 v1, v36, v1 :: v_dual_sub_f32 v2, v37, v2
	scratch_store_b64 off, v[1:2], off offset:48
	v_cmpx_lt_u32_e32 5, v0
	s_cbranch_execz .LBB62_381
; %bb.380:
	scratch_load_b64 v[1:2], off, off offset:40
	v_mov_b32_e32 v3, 0
	s_delay_alu instid0(VALU_DEP_1)
	v_mov_b32_e32 v4, v3
	scratch_store_b64 off, v[3:4], off offset:40
	s_wait_loadcnt 0x0
	ds_store_b64 v35, v[1:2]
.LBB62_381:
	s_wait_alu 0xfffe
	s_or_b32 exec_lo, exec_lo, s0
	s_wait_storecnt_dscnt 0x0
	s_barrier_signal -1
	s_barrier_wait -1
	global_inv scope:SCOPE_SE
	s_clause 0x4
	scratch_load_b128 v[5:8], off, off offset:48
	scratch_load_b128 v[1:4], off, off offset:64
	;; [unrolled: 1-line block ×5, first 2 shown]
	v_mov_b32_e32 v33, 0
	ds_load_b128 v[21:24], v33 offset:560
	ds_load_b128 v[25:28], v33 offset:576
	;; [unrolled: 1-line block ×3, first 2 shown]
	scratch_load_b64 v[36:37], off, off offset:40
	s_mov_b32 s0, exec_lo
	s_wait_loadcnt_dscnt 0x502
	v_mul_f32_e32 v34, v21, v6
	v_mul_f32_e32 v38, v23, v8
	v_mul_f32_e32 v6, v22, v6
	s_wait_loadcnt_dscnt 0x300
	v_dual_mul_f32 v8, v24, v8 :: v_dual_mul_f32 v39, v29, v10
	v_fmac_f32_e32 v34, v22, v5
	v_mul_f32_e32 v40, v31, v12
	v_fma_f32 v21, v21, v5, -v6
	s_delay_alu instid0(VALU_DEP_4)
	v_fma_f32 v22, v23, v7, -v8
	v_dual_mul_f32 v23, v25, v2 :: v_dual_fmac_f32 v38, v24, v7
	ds_load_b128 v[5:8], v33 offset:608
	v_dual_mul_f32 v24, v27, v4 :: v_dual_fmac_f32 v39, v30, v9
	v_mul_f32_e32 v2, v26, v2
	v_mul_f32_e32 v4, v28, v4
	;; [unrolled: 1-line block ×3, first 2 shown]
	s_delay_alu instid0(VALU_DEP_4) | instskip(NEXT) | instid1(VALU_DEP_4)
	v_dual_fmac_f32 v23, v26, v1 :: v_dual_fmac_f32 v24, v28, v3
	v_fma_f32 v25, v25, v1, -v2
	s_delay_alu instid0(VALU_DEP_4) | instskip(SKIP_4) | instid1(VALU_DEP_3)
	v_fma_f32 v26, v27, v3, -v4
	scratch_load_b128 v[1:4], off, off offset:128
	v_mul_f32_e32 v12, v32, v12
	v_fmac_f32_e32 v40, v32, v11
	v_fma_f32 v27, v29, v9, -v10
	v_fma_f32 v28, v31, v11, -v12
	ds_load_b128 v[9:12], v33 offset:624
	s_wait_loadcnt_dscnt 0x301
	v_dual_mul_f32 v29, v5, v14 :: v_dual_mul_f32 v30, v7, v16
	v_mul_f32_e32 v14, v6, v14
	s_delay_alu instid0(VALU_DEP_2) | instskip(NEXT) | instid1(VALU_DEP_3)
	v_dual_mul_f32 v16, v8, v16 :: v_dual_fmac_f32 v29, v6, v13
	v_fmac_f32_e32 v30, v8, v15
	s_delay_alu instid0(VALU_DEP_3) | instskip(NEXT) | instid1(VALU_DEP_3)
	v_fma_f32 v13, v5, v13, -v14
	v_fma_f32 v14, v7, v15, -v16
	ds_load_b128 v[5:8], v33 offset:640
	s_wait_loadcnt_dscnt 0x201
	v_dual_mul_f32 v15, v9, v18 :: v_dual_mul_f32 v16, v11, v20
	v_mul_f32_e32 v18, v10, v18
	s_delay_alu instid0(VALU_DEP_2) | instskip(NEXT) | instid1(VALU_DEP_3)
	v_dual_mul_f32 v20, v12, v20 :: v_dual_fmac_f32 v15, v10, v17
	v_fmac_f32_e32 v16, v12, v19
	s_delay_alu instid0(VALU_DEP_3) | instskip(NEXT) | instid1(VALU_DEP_3)
	v_fma_f32 v17, v9, v17, -v18
	v_fma_f32 v18, v11, v19, -v20
	scratch_load_b128 v[9:12], off, off offset:144
	s_wait_loadcnt_dscnt 0x100
	v_mul_f32_e32 v19, v5, v2
	v_mul_f32_e32 v2, v6, v2
	;; [unrolled: 1-line block ×3, first 2 shown]
	s_delay_alu instid0(VALU_DEP_3) | instskip(NEXT) | instid1(VALU_DEP_3)
	v_dual_mul_f32 v4, v8, v4 :: v_dual_fmac_f32 v19, v6, v1
	v_fma_f32 v31, v5, v1, -v2
	s_delay_alu instid0(VALU_DEP_3) | instskip(NEXT) | instid1(VALU_DEP_3)
	v_fmac_f32_e32 v20, v8, v3
	v_fma_f32 v32, v7, v3, -v4
	ds_load_b128 v[1:4], v33 offset:656
	ds_load_b128 v[5:8], v33 offset:672
	s_wait_loadcnt_dscnt 0x1
	v_mul_f32_e32 v41, v1, v10
	v_mul_f32_e32 v10, v2, v10
	s_delay_alu instid0(VALU_DEP_2) | instskip(NEXT) | instid1(VALU_DEP_2)
	v_dual_mul_f32 v42, v3, v12 :: v_dual_fmac_f32 v41, v2, v9
	v_fma_f32 v43, v1, v9, -v10
	v_mul_f32_e32 v1, v4, v12
	s_delay_alu instid0(VALU_DEP_3) | instskip(NEXT) | instid1(VALU_DEP_2)
	v_fmac_f32_e32 v42, v4, v11
	v_fma_f32 v44, v3, v11, -v1
	s_clause 0x1
	scratch_load_b128 v[1:4], off, off offset:160
	scratch_load_b128 v[9:12], off, off offset:176
	s_wait_loadcnt_dscnt 0x100
	v_mul_f32_e32 v171, v5, v2
	v_dual_mul_f32 v2, v6, v2 :: v_dual_mul_f32 v173, v7, v4
	s_delay_alu instid0(VALU_DEP_2) | instskip(NEXT) | instid1(VALU_DEP_2)
	v_fmac_f32_e32 v171, v6, v1
	v_fma_f32 v172, v5, v1, -v2
	v_mul_f32_e32 v1, v8, v4
	s_delay_alu instid0(VALU_DEP_4) | instskip(NEXT) | instid1(VALU_DEP_2)
	v_fmac_f32_e32 v173, v8, v3
	v_fma_f32 v174, v7, v3, -v1
	ds_load_b128 v[1:4], v33 offset:688
	ds_load_b128 v[5:8], v33 offset:704
	s_wait_loadcnt_dscnt 0x1
	v_mul_f32_e32 v175, v1, v10
	v_mul_f32_e32 v177, v3, v12
	s_delay_alu instid0(VALU_DEP_2) | instskip(NEXT) | instid1(VALU_DEP_2)
	v_fmac_f32_e32 v175, v2, v9
	v_dual_mul_f32 v2, v2, v10 :: v_dual_fmac_f32 v177, v4, v11
	s_delay_alu instid0(VALU_DEP_1) | instskip(SKIP_1) | instid1(VALU_DEP_1)
	v_fma_f32 v176, v1, v9, -v2
	v_mul_f32_e32 v1, v4, v12
	v_fma_f32 v178, v3, v11, -v1
	s_clause 0x1
	scratch_load_b128 v[1:4], off, off offset:192
	scratch_load_b128 v[9:12], off, off offset:208
	s_wait_loadcnt_dscnt 0x100
	v_mul_f32_e32 v179, v5, v2
	v_dual_mul_f32 v2, v6, v2 :: v_dual_mul_f32 v181, v7, v4
	s_delay_alu instid0(VALU_DEP_2) | instskip(NEXT) | instid1(VALU_DEP_2)
	v_fmac_f32_e32 v179, v6, v1
	v_fma_f32 v180, v5, v1, -v2
	v_mul_f32_e32 v1, v8, v4
	s_delay_alu instid0(VALU_DEP_4) | instskip(NEXT) | instid1(VALU_DEP_2)
	v_fmac_f32_e32 v181, v8, v3
	v_fma_f32 v182, v7, v3, -v1
	ds_load_b128 v[1:4], v33 offset:720
	ds_load_b128 v[5:8], v33 offset:736
	s_wait_loadcnt_dscnt 0x1
	v_mul_f32_e32 v183, v1, v10
	v_mul_f32_e32 v185, v3, v12
	s_delay_alu instid0(VALU_DEP_2) | instskip(NEXT) | instid1(VALU_DEP_2)
	v_fmac_f32_e32 v183, v2, v9
	v_dual_mul_f32 v2, v2, v10 :: v_dual_fmac_f32 v185, v4, v11
	s_delay_alu instid0(VALU_DEP_1) | instskip(SKIP_1) | instid1(VALU_DEP_1)
	v_fma_f32 v184, v1, v9, -v2
	v_mul_f32_e32 v1, v4, v12
	;; [unrolled: 25-line block ×8, first 2 shown]
	v_fma_f32 v234, v3, v11, -v1
	s_clause 0x1
	scratch_load_b128 v[1:4], off, off offset:416
	scratch_load_b128 v[9:12], off, off offset:432
	s_wait_loadcnt_dscnt 0x100
	v_mul_f32_e32 v235, v5, v2
	v_mul_f32_e32 v2, v6, v2
	s_delay_alu instid0(VALU_DEP_2) | instskip(NEXT) | instid1(VALU_DEP_2)
	v_fmac_f32_e32 v235, v6, v1
	v_fma_f32 v236, v5, v1, -v2
	v_dual_mul_f32 v1, v8, v4 :: v_dual_add_f32 v2, 0, v34
	s_delay_alu instid0(VALU_DEP_1) | instskip(NEXT) | instid1(VALU_DEP_2)
	v_fma_f32 v238, v7, v3, -v1
	v_dual_add_f32 v1, 0, v21 :: v_dual_add_f32 v2, v2, v38
	s_delay_alu instid0(VALU_DEP_1) | instskip(NEXT) | instid1(VALU_DEP_1)
	v_dual_add_f32 v1, v1, v22 :: v_dual_add_f32 v2, v2, v23
	v_dual_add_f32 v1, v1, v25 :: v_dual_add_f32 v2, v2, v24
	s_delay_alu instid0(VALU_DEP_1) | instskip(SKIP_2) | instid1(VALU_DEP_1)
	v_dual_add_f32 v1, v1, v26 :: v_dual_add_f32 v2, v2, v39
	scratch_load_b64 v[25:26], off, off offset:496
	v_dual_add_f32 v1, v1, v27 :: v_dual_add_f32 v2, v2, v40
	v_dual_add_f32 v1, v1, v28 :: v_dual_add_f32 v2, v2, v29
	s_delay_alu instid0(VALU_DEP_1) | instskip(NEXT) | instid1(VALU_DEP_1)
	v_dual_add_f32 v1, v1, v13 :: v_dual_add_f32 v2, v2, v30
	v_dual_add_f32 v1, v1, v14 :: v_dual_add_f32 v2, v2, v15
	s_delay_alu instid0(VALU_DEP_1) | instskip(NEXT) | instid1(VALU_DEP_1)
	;; [unrolled: 3-line block ×8, first 2 shown]
	v_dual_add_f32 v1, v1, v184 :: v_dual_add_f32 v2, v2, v185
	v_add_f32_e32 v1, v1, v186
	s_delay_alu instid0(VALU_DEP_1) | instskip(NEXT) | instid1(VALU_DEP_1)
	v_add_f32_e32 v1, v1, v188
	v_add_f32_e32 v1, v1, v190
	s_delay_alu instid0(VALU_DEP_1) | instskip(NEXT) | instid1(VALU_DEP_1)
	v_add_f32_e32 v1, v1, v192
	;; [unrolled: 3-line block ×6, first 2 shown]
	v_add_f32_e32 v6, v1, v210
	v_add_f32_e32 v2, v2, v187
	s_delay_alu instid0(VALU_DEP_2) | instskip(NEXT) | instid1(VALU_DEP_2)
	v_add_f32_e32 v6, v6, v212
	v_add_f32_e32 v2, v2, v189
	s_delay_alu instid0(VALU_DEP_2) | instskip(NEXT) | instid1(VALU_DEP_1)
	v_add_f32_e32 v13, v6, v214
	v_dual_add_f32 v2, v2, v191 :: v_dual_add_f32 v13, v13, v216
	s_delay_alu instid0(VALU_DEP_1) | instskip(NEXT) | instid1(VALU_DEP_1)
	v_dual_add_f32 v2, v2, v193 :: v_dual_add_f32 v13, v13, v218
	v_dual_add_f32 v2, v2, v195 :: v_dual_add_f32 v13, v13, v220
	s_delay_alu instid0(VALU_DEP_1) | instskip(NEXT) | instid1(VALU_DEP_2)
	v_add_f32_e32 v2, v2, v197
	v_add_f32_e32 v18, v13, v222
	s_delay_alu instid0(VALU_DEP_2) | instskip(NEXT) | instid1(VALU_DEP_2)
	v_add_f32_e32 v2, v2, v199
	v_add_f32_e32 v18, v18, v224
	s_delay_alu instid0(VALU_DEP_2) | instskip(NEXT) | instid1(VALU_DEP_2)
	v_dual_add_f32 v2, v2, v201 :: v_dual_mul_f32 v237, v7, v4
	v_add_f32_e32 v18, v18, v226
	s_delay_alu instid0(VALU_DEP_2) | instskip(NEXT) | instid1(VALU_DEP_2)
	v_add_f32_e32 v2, v2, v203
	v_dual_fmac_f32 v237, v8, v3 :: v_dual_add_f32 v18, v18, v228
	s_delay_alu instid0(VALU_DEP_2) | instskip(NEXT) | instid1(VALU_DEP_2)
	v_add_f32_e32 v2, v2, v205
	v_add_f32_e32 v18, v18, v230
	s_delay_alu instid0(VALU_DEP_2) | instskip(SKIP_2) | instid1(VALU_DEP_1)
	v_add_f32_e32 v5, v2, v207
	ds_load_b128 v[1:4], v33 offset:944
	v_add_f32_e32 v27, v18, v232
	v_dual_add_f32 v5, v5, v209 :: v_dual_add_f32 v34, v27, v234
	s_delay_alu instid0(VALU_DEP_1) | instskip(NEXT) | instid1(VALU_DEP_1)
	v_dual_add_f32 v5, v5, v211 :: v_dual_add_f32 v34, v34, v236
	v_add_f32_e32 v14, v5, v213
	ds_load_b128 v[5:8], v33 offset:960
	v_add_f32_e32 v34, v34, v238
	s_wait_loadcnt_dscnt 0x101
	v_mul_f32_e32 v29, v1, v10
	v_mul_f32_e32 v10, v2, v10
	;; [unrolled: 1-line block ×3, first 2 shown]
	s_delay_alu instid0(VALU_DEP_3) | instskip(NEXT) | instid1(VALU_DEP_3)
	v_dual_mul_f32 v12, v4, v12 :: v_dual_fmac_f32 v29, v2, v9
	v_fma_f32 v31, v1, v9, -v10
	s_delay_alu instid0(VALU_DEP_3) | instskip(NEXT) | instid1(VALU_DEP_3)
	v_fmac_f32_e32 v30, v4, v11
	v_fma_f32 v32, v3, v11, -v12
	s_clause 0x1
	scratch_load_b128 v[1:4], off, off offset:448
	scratch_load_b128 v[9:12], off, off offset:464
	v_add_f32_e32 v31, v34, v31
	s_delay_alu instid0(VALU_DEP_1)
	v_add_f32_e32 v31, v31, v32
	s_wait_loadcnt_dscnt 0x100
	v_mul_f32_e32 v40, v7, v4
	v_add_f32_e32 v14, v14, v215
	v_dual_mul_f32 v4, v8, v4 :: v_dual_mul_f32 v39, v5, v2
	v_mul_f32_e32 v2, v6, v2
	s_delay_alu instid0(VALU_DEP_4) | instskip(NEXT) | instid1(VALU_DEP_4)
	v_fmac_f32_e32 v40, v8, v3
	v_add_f32_e32 v14, v14, v217
	s_delay_alu instid0(VALU_DEP_4) | instskip(NEXT) | instid1(VALU_DEP_4)
	v_fmac_f32_e32 v39, v6, v1
	v_fma_f32 v2, v5, v1, -v2
	v_fma_f32 v1, v7, v3, -v4
	s_delay_alu instid0(VALU_DEP_4) | instskip(SKIP_2) | instid1(VALU_DEP_1)
	v_add_f32_e32 v17, v14, v219
	scratch_load_b128 v[13:16], off, off offset:480
	v_dual_add_f32 v2, v31, v2 :: v_dual_add_f32 v17, v17, v221
	v_add_f32_e32 v1, v2, v1
	s_delay_alu instid0(VALU_DEP_2) | instskip(NEXT) | instid1(VALU_DEP_1)
	v_add_f32_e32 v17, v17, v223
	v_add_f32_e32 v17, v17, v225
	s_delay_alu instid0(VALU_DEP_1) | instskip(NEXT) | instid1(VALU_DEP_1)
	v_add_f32_e32 v17, v17, v227
	v_add_f32_e32 v21, v17, v229
	ds_load_b128 v[17:20], v33 offset:976
	v_add_f32_e32 v28, v21, v231
	ds_load_b128 v[21:24], v33 offset:992
	v_add_f32_e32 v38, v28, v233
	ds_load_b64 v[27:28], v33 offset:1008
	v_add_f32_e32 v38, v38, v235
	s_delay_alu instid0(VALU_DEP_1)
	v_add_f32_e32 v38, v38, v237
	s_wait_loadcnt_dscnt 0x102
	v_mul_f32_e32 v34, v17, v10
	v_mul_f32_e32 v3, v18, v10
	;; [unrolled: 1-line block ×3, first 2 shown]
	v_dual_add_f32 v29, v38, v29 :: v_dual_mul_f32 v38, v19, v12
	s_delay_alu instid0(VALU_DEP_4) | instskip(NEXT) | instid1(VALU_DEP_4)
	v_fmac_f32_e32 v34, v18, v9
	v_fma_f32 v3, v17, v9, -v3
	s_delay_alu instid0(VALU_DEP_4) | instskip(NEXT) | instid1(VALU_DEP_4)
	v_fma_f32 v5, v19, v11, -v5
	v_dual_add_f32 v29, v29, v30 :: v_dual_fmac_f32 v38, v20, v11
	s_wait_dscnt 0x0
	s_delay_alu instid0(VALU_DEP_3) | instskip(NEXT) | instid1(VALU_DEP_2)
	v_dual_mul_f32 v30, v27, v26 :: v_dual_add_f32 v1, v1, v3
	v_add_f32_e32 v4, v29, v39
	s_delay_alu instid0(VALU_DEP_2) | instskip(NEXT) | instid1(VALU_DEP_3)
	v_fmac_f32_e32 v30, v28, v25
	v_add_f32_e32 v1, v1, v5
	v_mul_f32_e32 v5, v28, v26
	s_delay_alu instid0(VALU_DEP_4) | instskip(NEXT) | instid1(VALU_DEP_1)
	v_add_f32_e32 v2, v4, v40
	v_add_f32_e32 v2, v2, v34
	s_delay_alu instid0(VALU_DEP_1)
	v_add_f32_e32 v2, v2, v38
	s_wait_loadcnt 0x0
	v_mul_f32_e32 v41, v21, v14
	v_mul_f32_e32 v4, v22, v14
	;; [unrolled: 1-line block ×4, first 2 shown]
	s_delay_alu instid0(VALU_DEP_4) | instskip(NEXT) | instid1(VALU_DEP_4)
	v_fmac_f32_e32 v41, v22, v13
	v_fma_f32 v4, v21, v13, -v4
	s_delay_alu instid0(VALU_DEP_4) | instskip(NEXT) | instid1(VALU_DEP_4)
	v_fmac_f32_e32 v32, v24, v15
	v_fma_f32 v3, v23, v15, -v3
	s_delay_alu instid0(VALU_DEP_3) | instskip(SKIP_1) | instid1(VALU_DEP_2)
	v_dual_add_f32 v2, v2, v41 :: v_dual_add_f32 v1, v1, v4
	v_fma_f32 v4, v27, v25, -v5
	v_dual_add_f32 v2, v2, v32 :: v_dual_add_f32 v1, v1, v3
	s_delay_alu instid0(VALU_DEP_1) | instskip(NEXT) | instid1(VALU_DEP_1)
	v_dual_add_f32 v2, v2, v30 :: v_dual_add_f32 v1, v1, v4
	v_dual_sub_f32 v2, v37, v2 :: v_dual_sub_f32 v1, v36, v1
	scratch_store_b64 off, v[1:2], off offset:40
	v_cmpx_lt_u32_e32 4, v0
	s_cbranch_execz .LBB62_383
; %bb.382:
	scratch_load_b64 v[1:2], off, off offset:32
	v_mov_b32_e32 v34, v33
	scratch_store_b64 off, v[33:34], off offset:32
	s_wait_loadcnt 0x0
	ds_store_b64 v35, v[1:2]
.LBB62_383:
	s_wait_alu 0xfffe
	s_or_b32 exec_lo, exec_lo, s0
	s_wait_storecnt_dscnt 0x0
	s_barrier_signal -1
	s_barrier_wait -1
	global_inv scope:SCOPE_SE
	s_clause 0x4
	scratch_load_b128 v[5:8], off, off offset:40
	scratch_load_b128 v[1:4], off, off offset:56
	;; [unrolled: 1-line block ×5, first 2 shown]
	ds_load_2addr_b64 v[21:24], v33 offset0:69 offset1:70
	ds_load_2addr_b64 v[25:28], v33 offset0:71 offset1:72
	;; [unrolled: 1-line block ×3, first 2 shown]
	scratch_load_b64 v[36:37], off, off offset:32
	s_mov_b32 s0, exec_lo
	s_wait_loadcnt_dscnt 0x502
	v_mul_f32_e32 v34, v21, v6
	v_mul_f32_e32 v38, v23, v8
	;; [unrolled: 1-line block ×3, first 2 shown]
	s_wait_loadcnt_dscnt 0x300
	v_dual_mul_f32 v8, v24, v8 :: v_dual_mul_f32 v39, v29, v10
	v_fmac_f32_e32 v34, v22, v5
	v_mul_f32_e32 v40, v31, v12
	v_fma_f32 v21, v21, v5, -v6
	s_delay_alu instid0(VALU_DEP_4)
	v_fma_f32 v22, v23, v7, -v8
	v_dual_mul_f32 v23, v25, v2 :: v_dual_fmac_f32 v38, v24, v7
	v_fmac_f32_e32 v39, v30, v9
	ds_load_2addr_b64 v[5:8], v33 offset0:75 offset1:76
	v_mul_f32_e32 v24, v27, v4
	v_mul_f32_e32 v2, v26, v2
	;; [unrolled: 1-line block ×4, first 2 shown]
	s_delay_alu instid0(VALU_DEP_4) | instskip(NEXT) | instid1(VALU_DEP_4)
	v_dual_fmac_f32 v23, v26, v1 :: v_dual_fmac_f32 v24, v28, v3
	v_fma_f32 v25, v25, v1, -v2
	s_delay_alu instid0(VALU_DEP_4) | instskip(SKIP_4) | instid1(VALU_DEP_3)
	v_fma_f32 v26, v27, v3, -v4
	scratch_load_b128 v[1:4], off, off offset:120
	v_mul_f32_e32 v12, v32, v12
	v_fmac_f32_e32 v40, v32, v11
	v_fma_f32 v27, v29, v9, -v10
	v_fma_f32 v28, v31, v11, -v12
	ds_load_2addr_b64 v[9:12], v33 offset0:77 offset1:78
	s_wait_loadcnt_dscnt 0x301
	v_dual_mul_f32 v29, v5, v14 :: v_dual_mul_f32 v30, v7, v16
	v_mul_f32_e32 v14, v6, v14
	s_delay_alu instid0(VALU_DEP_2) | instskip(NEXT) | instid1(VALU_DEP_3)
	v_dual_mul_f32 v16, v8, v16 :: v_dual_fmac_f32 v29, v6, v13
	v_fmac_f32_e32 v30, v8, v15
	s_delay_alu instid0(VALU_DEP_3) | instskip(NEXT) | instid1(VALU_DEP_3)
	v_fma_f32 v13, v5, v13, -v14
	v_fma_f32 v14, v7, v15, -v16
	ds_load_2addr_b64 v[5:8], v33 offset0:79 offset1:80
	s_wait_loadcnt_dscnt 0x201
	v_dual_mul_f32 v15, v9, v18 :: v_dual_mul_f32 v16, v11, v20
	v_mul_f32_e32 v18, v10, v18
	s_delay_alu instid0(VALU_DEP_2) | instskip(NEXT) | instid1(VALU_DEP_3)
	v_dual_mul_f32 v20, v12, v20 :: v_dual_fmac_f32 v15, v10, v17
	v_fmac_f32_e32 v16, v12, v19
	s_delay_alu instid0(VALU_DEP_3) | instskip(NEXT) | instid1(VALU_DEP_3)
	v_fma_f32 v17, v9, v17, -v18
	v_fma_f32 v18, v11, v19, -v20
	scratch_load_b128 v[9:12], off, off offset:136
	s_wait_loadcnt_dscnt 0x100
	v_mul_f32_e32 v19, v5, v2
	v_mul_f32_e32 v2, v6, v2
	;; [unrolled: 1-line block ×3, first 2 shown]
	s_delay_alu instid0(VALU_DEP_3) | instskip(NEXT) | instid1(VALU_DEP_3)
	v_dual_mul_f32 v4, v8, v4 :: v_dual_fmac_f32 v19, v6, v1
	v_fma_f32 v31, v5, v1, -v2
	s_delay_alu instid0(VALU_DEP_3) | instskip(NEXT) | instid1(VALU_DEP_3)
	v_fmac_f32_e32 v20, v8, v3
	v_fma_f32 v32, v7, v3, -v4
	ds_load_2addr_b64 v[1:4], v33 offset0:81 offset1:82
	ds_load_2addr_b64 v[5:8], v33 offset0:83 offset1:84
	s_wait_loadcnt_dscnt 0x1
	v_mul_f32_e32 v41, v1, v10
	v_mul_f32_e32 v10, v2, v10
	s_delay_alu instid0(VALU_DEP_2) | instskip(NEXT) | instid1(VALU_DEP_2)
	v_dual_mul_f32 v42, v3, v12 :: v_dual_fmac_f32 v41, v2, v9
	v_fma_f32 v43, v1, v9, -v10
	v_mul_f32_e32 v1, v4, v12
	s_delay_alu instid0(VALU_DEP_3) | instskip(NEXT) | instid1(VALU_DEP_2)
	v_fmac_f32_e32 v42, v4, v11
	v_fma_f32 v44, v3, v11, -v1
	s_clause 0x1
	scratch_load_b128 v[1:4], off, off offset:152
	scratch_load_b128 v[9:12], off, off offset:168
	s_wait_loadcnt_dscnt 0x100
	v_mul_f32_e32 v171, v5, v2
	v_dual_mul_f32 v2, v6, v2 :: v_dual_mul_f32 v173, v7, v4
	s_delay_alu instid0(VALU_DEP_2) | instskip(NEXT) | instid1(VALU_DEP_2)
	v_fmac_f32_e32 v171, v6, v1
	v_fma_f32 v172, v5, v1, -v2
	v_mul_f32_e32 v1, v8, v4
	s_delay_alu instid0(VALU_DEP_4) | instskip(NEXT) | instid1(VALU_DEP_2)
	v_fmac_f32_e32 v173, v8, v3
	v_fma_f32 v174, v7, v3, -v1
	ds_load_2addr_b64 v[1:4], v33 offset0:85 offset1:86
	ds_load_2addr_b64 v[5:8], v33 offset0:87 offset1:88
	s_wait_loadcnt_dscnt 0x1
	v_mul_f32_e32 v175, v1, v10
	v_mul_f32_e32 v177, v3, v12
	s_delay_alu instid0(VALU_DEP_2) | instskip(NEXT) | instid1(VALU_DEP_2)
	v_fmac_f32_e32 v175, v2, v9
	v_dual_mul_f32 v2, v2, v10 :: v_dual_fmac_f32 v177, v4, v11
	s_delay_alu instid0(VALU_DEP_1) | instskip(SKIP_1) | instid1(VALU_DEP_1)
	v_fma_f32 v176, v1, v9, -v2
	v_mul_f32_e32 v1, v4, v12
	v_fma_f32 v178, v3, v11, -v1
	s_clause 0x1
	scratch_load_b128 v[1:4], off, off offset:184
	scratch_load_b128 v[9:12], off, off offset:200
	s_wait_loadcnt_dscnt 0x100
	v_mul_f32_e32 v179, v5, v2
	v_dual_mul_f32 v2, v6, v2 :: v_dual_mul_f32 v181, v7, v4
	s_delay_alu instid0(VALU_DEP_2) | instskip(NEXT) | instid1(VALU_DEP_2)
	v_fmac_f32_e32 v179, v6, v1
	v_fma_f32 v180, v5, v1, -v2
	v_mul_f32_e32 v1, v8, v4
	s_delay_alu instid0(VALU_DEP_4) | instskip(NEXT) | instid1(VALU_DEP_2)
	v_fmac_f32_e32 v181, v8, v3
	v_fma_f32 v182, v7, v3, -v1
	ds_load_2addr_b64 v[1:4], v33 offset0:89 offset1:90
	ds_load_2addr_b64 v[5:8], v33 offset0:91 offset1:92
	s_wait_loadcnt_dscnt 0x1
	v_mul_f32_e32 v183, v1, v10
	v_mul_f32_e32 v185, v3, v12
	s_delay_alu instid0(VALU_DEP_2) | instskip(NEXT) | instid1(VALU_DEP_2)
	v_fmac_f32_e32 v183, v2, v9
	v_dual_mul_f32 v2, v2, v10 :: v_dual_fmac_f32 v185, v4, v11
	s_delay_alu instid0(VALU_DEP_1) | instskip(SKIP_1) | instid1(VALU_DEP_1)
	v_fma_f32 v184, v1, v9, -v2
	v_mul_f32_e32 v1, v4, v12
	;; [unrolled: 25-line block ×8, first 2 shown]
	v_fma_f32 v234, v3, v11, -v1
	s_clause 0x1
	scratch_load_b128 v[1:4], off, off offset:408
	scratch_load_b128 v[9:12], off, off offset:424
	s_wait_loadcnt_dscnt 0x100
	v_mul_f32_e32 v235, v5, v2
	v_dual_mul_f32 v2, v6, v2 :: v_dual_mul_f32 v237, v7, v4
	s_delay_alu instid0(VALU_DEP_2) | instskip(NEXT) | instid1(VALU_DEP_2)
	v_fmac_f32_e32 v235, v6, v1
	v_fma_f32 v236, v5, v1, -v2
	v_dual_add_f32 v2, 0, v34 :: v_dual_mul_f32 v1, v8, v4
	s_delay_alu instid0(VALU_DEP_1) | instskip(NEXT) | instid1(VALU_DEP_2)
	v_add_f32_e32 v2, v2, v38
	v_fma_f32 v238, v7, v3, -v1
	s_delay_alu instid0(VALU_DEP_2) | instskip(NEXT) | instid1(VALU_DEP_1)
	v_dual_add_f32 v1, 0, v21 :: v_dual_add_f32 v2, v2, v23
	v_dual_add_f32 v1, v1, v22 :: v_dual_add_f32 v2, v2, v24
	s_delay_alu instid0(VALU_DEP_1) | instskip(NEXT) | instid1(VALU_DEP_1)
	v_dual_add_f32 v1, v1, v25 :: v_dual_add_f32 v2, v2, v39
	v_dual_add_f32 v1, v1, v26 :: v_dual_add_f32 v2, v2, v40
	s_delay_alu instid0(VALU_DEP_1) | instskip(NEXT) | instid1(VALU_DEP_1)
	v_add_f32_e32 v2, v2, v29
	v_add_f32_e32 v2, v2, v30
	s_delay_alu instid0(VALU_DEP_1) | instskip(NEXT) | instid1(VALU_DEP_1)
	v_add_f32_e32 v2, v2, v15
	v_add_f32_e32 v2, v2, v16
	;; [unrolled: 3-line block ×8, first 2 shown]
	s_delay_alu instid0(VALU_DEP_1) | instskip(NEXT) | instid1(VALU_DEP_1)
	v_add_f32_e32 v2, v2, v187
	v_dual_add_f32 v2, v2, v189 :: v_dual_fmac_f32 v237, v8, v3
	v_add_f32_e32 v1, v1, v27
	s_delay_alu instid0(VALU_DEP_1) | instskip(NEXT) | instid1(VALU_DEP_1)
	v_add_f32_e32 v1, v1, v28
	v_add_f32_e32 v1, v1, v13
	s_delay_alu instid0(VALU_DEP_1) | instskip(NEXT) | instid1(VALU_DEP_1)
	v_add_f32_e32 v1, v1, v14
	;; [unrolled: 3-line block ×15, first 2 shown]
	v_add_f32_e32 v6, v1, v212
	v_add_f32_e32 v2, v2, v191
	s_delay_alu instid0(VALU_DEP_2) | instskip(NEXT) | instid1(VALU_DEP_2)
	v_add_f32_e32 v14, v6, v214
	v_add_f32_e32 v2, v2, v193
	s_delay_alu instid0(VALU_DEP_2) | instskip(NEXT) | instid1(VALU_DEP_2)
	v_add_f32_e32 v14, v14, v216
	v_add_f32_e32 v2, v2, v195
	s_delay_alu instid0(VALU_DEP_2) | instskip(NEXT) | instid1(VALU_DEP_1)
	v_add_f32_e32 v17, v14, v218
	v_dual_add_f32 v2, v2, v197 :: v_dual_add_f32 v17, v17, v220
	s_delay_alu instid0(VALU_DEP_1) | instskip(NEXT) | instid1(VALU_DEP_1)
	v_dual_add_f32 v2, v2, v199 :: v_dual_add_f32 v17, v17, v222
	v_dual_add_f32 v2, v2, v201 :: v_dual_add_f32 v17, v17, v224
	s_delay_alu instid0(VALU_DEP_1) | instskip(NEXT) | instid1(VALU_DEP_2)
	v_add_f32_e32 v2, v2, v203
	v_add_f32_e32 v22, v17, v226
	s_delay_alu instid0(VALU_DEP_2) | instskip(NEXT) | instid1(VALU_DEP_2)
	v_add_f32_e32 v2, v2, v205
	v_add_f32_e32 v22, v22, v228
	s_delay_alu instid0(VALU_DEP_2) | instskip(NEXT) | instid1(VALU_DEP_2)
	v_add_f32_e32 v2, v2, v207
	v_add_f32_e32 v22, v22, v230
	s_delay_alu instid0(VALU_DEP_2) | instskip(SKIP_4) | instid1(VALU_DEP_1)
	v_add_f32_e32 v5, v2, v209
	ds_load_2addr_b64 v[1:4], v33 offset0:117 offset1:118
	v_add_f32_e32 v13, v5, v211
	scratch_load_b128 v[5:8], off, off offset:440
	v_add_f32_e32 v13, v13, v213
	v_add_f32_e32 v13, v13, v215
	s_delay_alu instid0(VALU_DEP_1)
	v_add_f32_e32 v18, v13, v217
	ds_load_2addr_b64 v[13:16], v33 offset0:119 offset1:120
	s_wait_loadcnt_dscnt 0x101
	v_mul_f32_e32 v25, v1, v10
	v_mul_f32_e32 v10, v2, v10
	;; [unrolled: 1-line block ×3, first 2 shown]
	s_delay_alu instid0(VALU_DEP_3) | instskip(NEXT) | instid1(VALU_DEP_3)
	v_dual_mul_f32 v12, v4, v12 :: v_dual_fmac_f32 v25, v2, v9
	v_fma_f32 v27, v1, v9, -v10
	s_delay_alu instid0(VALU_DEP_3) | instskip(NEXT) | instid1(VALU_DEP_3)
	v_fmac_f32_e32 v26, v4, v11
	v_fma_f32 v28, v3, v11, -v12
	s_clause 0x1
	scratch_load_b128 v[1:4], off, off offset:456
	scratch_load_b128 v[9:12], off, off offset:472
	s_wait_loadcnt_dscnt 0x200
	v_dual_mul_f32 v30, v15, v8 :: v_dual_mul_f32 v29, v13, v6
	v_mul_f32_e32 v6, v14, v6
	v_mul_f32_e32 v8, v16, v8
	s_delay_alu instid0(VALU_DEP_3) | instskip(SKIP_1) | instid1(VALU_DEP_4)
	v_fmac_f32_e32 v30, v16, v7
	v_add_f32_e32 v18, v18, v219
	v_fma_f32 v31, v13, v5, -v6
	v_fmac_f32_e32 v29, v14, v5
	v_fma_f32 v32, v15, v7, -v8
	ds_load_2addr_b64 v[5:8], v33 offset0:121 offset1:122
	v_add_f32_e32 v18, v18, v221
	s_delay_alu instid0(VALU_DEP_1) | instskip(SKIP_2) | instid1(VALU_DEP_1)
	v_add_f32_e32 v21, v18, v223
	scratch_load_b128 v[17:20], off, off offset:488
	v_add_f32_e32 v21, v21, v225
	v_add_f32_e32 v21, v21, v227
	s_delay_alu instid0(VALU_DEP_1) | instskip(NEXT) | instid1(VALU_DEP_1)
	v_add_f32_e32 v13, v21, v229
	v_dual_add_f32 v21, v22, v232 :: v_dual_add_f32 v22, v13, v231
	s_delay_alu instid0(VALU_DEP_1)
	v_add_f32_e32 v34, v21, v234
	ds_load_2addr_b64 v[13:16], v33 offset0:123 offset1:124
	v_add_f32_e32 v38, v22, v233
	ds_load_2addr_b64 v[21:24], v33 offset0:125 offset1:126
	v_add_f32_e32 v33, v34, v236
	v_add_f32_e32 v34, v38, v235
	s_wait_loadcnt_dscnt 0x202
	v_mul_f32_e32 v38, v5, v2
	s_delay_alu instid0(VALU_DEP_3) | instskip(SKIP_2) | instid1(VALU_DEP_3)
	v_add_f32_e32 v33, v33, v238
	v_mul_f32_e32 v2, v6, v2
	v_add_f32_e32 v34, v34, v237
	v_dual_fmac_f32 v38, v6, v1 :: v_dual_add_f32 v27, v33, v27
	v_mul_f32_e32 v33, v7, v4
	s_delay_alu instid0(VALU_DEP_3)
	v_dual_mul_f32 v4, v8, v4 :: v_dual_add_f32 v25, v34, v25
	v_fma_f32 v2, v5, v1, -v2
	s_wait_loadcnt_dscnt 0x101
	v_dual_add_f32 v27, v27, v28 :: v_dual_mul_f32 v34, v13, v10
	v_mul_f32_e32 v6, v14, v10
	v_add_f32_e32 v25, v25, v26
	v_fmac_f32_e32 v33, v8, v3
	s_delay_alu instid0(VALU_DEP_4) | instskip(SKIP_3) | instid1(VALU_DEP_4)
	v_add_f32_e32 v27, v27, v31
	v_fma_f32 v3, v7, v3, -v4
	v_mul_f32_e32 v39, v15, v12
	v_dual_add_f32 v25, v25, v29 :: v_dual_mul_f32 v4, v16, v12
	v_dual_add_f32 v1, v27, v32 :: v_dual_fmac_f32 v34, v14, v9
	s_delay_alu instid0(VALU_DEP_3) | instskip(NEXT) | instid1(VALU_DEP_3)
	v_fmac_f32_e32 v39, v16, v11
	v_add_f32_e32 v5, v25, v30
	s_delay_alu instid0(VALU_DEP_4) | instskip(NEXT) | instid1(VALU_DEP_4)
	v_fma_f32 v4, v15, v11, -v4
	v_add_f32_e32 v1, v1, v2
	s_delay_alu instid0(VALU_DEP_3) | instskip(SKIP_1) | instid1(VALU_DEP_2)
	v_add_f32_e32 v2, v5, v38
	v_fma_f32 v5, v13, v9, -v6
	v_dual_add_f32 v1, v1, v3 :: v_dual_add_f32 v2, v2, v33
	s_delay_alu instid0(VALU_DEP_1) | instskip(NEXT) | instid1(VALU_DEP_1)
	v_dual_add_f32 v1, v1, v5 :: v_dual_add_f32 v2, v2, v34
	v_dual_add_f32 v1, v1, v4 :: v_dual_add_f32 v2, v2, v39
	s_wait_loadcnt_dscnt 0x0
	v_mul_f32_e32 v26, v21, v18
	v_dual_mul_f32 v3, v22, v18 :: v_dual_mul_f32 v28, v23, v20
	s_delay_alu instid0(VALU_DEP_2) | instskip(NEXT) | instid1(VALU_DEP_2)
	v_dual_mul_f32 v5, v24, v20 :: v_dual_fmac_f32 v26, v22, v17
	v_fma_f32 v3, v21, v17, -v3
	s_delay_alu instid0(VALU_DEP_3) | instskip(NEXT) | instid1(VALU_DEP_3)
	v_fmac_f32_e32 v28, v24, v19
	v_fma_f32 v4, v23, v19, -v5
	s_delay_alu instid0(VALU_DEP_3) | instskip(NEXT) | instid1(VALU_DEP_1)
	v_dual_add_f32 v2, v2, v26 :: v_dual_add_f32 v1, v1, v3
	v_add_f32_e32 v2, v2, v28
	s_delay_alu instid0(VALU_DEP_2) | instskip(NEXT) | instid1(VALU_DEP_1)
	v_add_f32_e32 v1, v1, v4
	v_dual_sub_f32 v2, v37, v2 :: v_dual_sub_f32 v1, v36, v1
	scratch_store_b64 off, v[1:2], off offset:32
	v_cmpx_lt_u32_e32 3, v0
	s_cbranch_execz .LBB62_385
; %bb.384:
	scratch_load_b64 v[1:2], off, off offset:24
	v_mov_b32_e32 v3, 0
	s_delay_alu instid0(VALU_DEP_1)
	v_mov_b32_e32 v4, v3
	scratch_store_b64 off, v[3:4], off offset:24
	s_wait_loadcnt 0x0
	ds_store_b64 v35, v[1:2]
.LBB62_385:
	s_wait_alu 0xfffe
	s_or_b32 exec_lo, exec_lo, s0
	s_wait_storecnt_dscnt 0x0
	s_barrier_signal -1
	s_barrier_wait -1
	global_inv scope:SCOPE_SE
	s_clause 0x4
	scratch_load_b128 v[5:8], off, off offset:32
	scratch_load_b128 v[1:4], off, off offset:48
	;; [unrolled: 1-line block ×5, first 2 shown]
	v_mov_b32_e32 v33, 0
	ds_load_b128 v[21:24], v33 offset:544
	ds_load_b128 v[25:28], v33 offset:560
	;; [unrolled: 1-line block ×3, first 2 shown]
	scratch_load_b64 v[36:37], off, off offset:24
	s_mov_b32 s0, exec_lo
	s_wait_loadcnt_dscnt 0x502
	v_mul_f32_e32 v34, v21, v6
	v_mul_f32_e32 v38, v23, v8
	;; [unrolled: 1-line block ×3, first 2 shown]
	s_wait_loadcnt_dscnt 0x300
	v_dual_mul_f32 v8, v24, v8 :: v_dual_mul_f32 v39, v29, v10
	v_fmac_f32_e32 v34, v22, v5
	v_mul_f32_e32 v40, v31, v12
	v_fma_f32 v21, v21, v5, -v6
	s_delay_alu instid0(VALU_DEP_4)
	v_fma_f32 v22, v23, v7, -v8
	v_dual_mul_f32 v23, v25, v2 :: v_dual_fmac_f32 v38, v24, v7
	ds_load_b128 v[5:8], v33 offset:592
	v_dual_mul_f32 v24, v27, v4 :: v_dual_fmac_f32 v39, v30, v9
	v_mul_f32_e32 v2, v26, v2
	v_mul_f32_e32 v4, v28, v4
	;; [unrolled: 1-line block ×3, first 2 shown]
	s_delay_alu instid0(VALU_DEP_4) | instskip(NEXT) | instid1(VALU_DEP_4)
	v_dual_fmac_f32 v23, v26, v1 :: v_dual_fmac_f32 v24, v28, v3
	v_fma_f32 v25, v25, v1, -v2
	s_delay_alu instid0(VALU_DEP_4) | instskip(SKIP_4) | instid1(VALU_DEP_3)
	v_fma_f32 v26, v27, v3, -v4
	scratch_load_b128 v[1:4], off, off offset:112
	v_mul_f32_e32 v12, v32, v12
	v_fmac_f32_e32 v40, v32, v11
	v_fma_f32 v27, v29, v9, -v10
	v_fma_f32 v28, v31, v11, -v12
	ds_load_b128 v[9:12], v33 offset:608
	s_wait_loadcnt_dscnt 0x301
	v_dual_mul_f32 v29, v5, v14 :: v_dual_mul_f32 v30, v7, v16
	v_mul_f32_e32 v14, v6, v14
	s_delay_alu instid0(VALU_DEP_2) | instskip(NEXT) | instid1(VALU_DEP_3)
	v_dual_mul_f32 v16, v8, v16 :: v_dual_fmac_f32 v29, v6, v13
	v_fmac_f32_e32 v30, v8, v15
	s_delay_alu instid0(VALU_DEP_3) | instskip(NEXT) | instid1(VALU_DEP_3)
	v_fma_f32 v13, v5, v13, -v14
	v_fma_f32 v14, v7, v15, -v16
	ds_load_b128 v[5:8], v33 offset:624
	s_wait_loadcnt_dscnt 0x201
	v_dual_mul_f32 v15, v9, v18 :: v_dual_mul_f32 v16, v11, v20
	v_mul_f32_e32 v18, v10, v18
	s_delay_alu instid0(VALU_DEP_2) | instskip(NEXT) | instid1(VALU_DEP_3)
	v_dual_mul_f32 v20, v12, v20 :: v_dual_fmac_f32 v15, v10, v17
	v_fmac_f32_e32 v16, v12, v19
	s_delay_alu instid0(VALU_DEP_3) | instskip(NEXT) | instid1(VALU_DEP_3)
	v_fma_f32 v17, v9, v17, -v18
	v_fma_f32 v18, v11, v19, -v20
	scratch_load_b128 v[9:12], off, off offset:128
	s_wait_loadcnt_dscnt 0x100
	v_dual_mul_f32 v19, v5, v2 :: v_dual_mul_f32 v20, v7, v4
	v_mul_f32_e32 v2, v6, v2
	s_delay_alu instid0(VALU_DEP_2) | instskip(NEXT) | instid1(VALU_DEP_3)
	v_dual_mul_f32 v4, v8, v4 :: v_dual_fmac_f32 v19, v6, v1
	v_fmac_f32_e32 v20, v8, v3
	s_delay_alu instid0(VALU_DEP_3) | instskip(NEXT) | instid1(VALU_DEP_3)
	v_fma_f32 v31, v5, v1, -v2
	v_fma_f32 v32, v7, v3, -v4
	ds_load_b128 v[1:4], v33 offset:640
	ds_load_b128 v[5:8], v33 offset:656
	s_wait_loadcnt_dscnt 0x1
	v_mul_f32_e32 v41, v1, v10
	v_mul_f32_e32 v10, v2, v10
	s_delay_alu instid0(VALU_DEP_2) | instskip(NEXT) | instid1(VALU_DEP_2)
	v_dual_mul_f32 v42, v3, v12 :: v_dual_fmac_f32 v41, v2, v9
	v_fma_f32 v43, v1, v9, -v10
	v_mul_f32_e32 v1, v4, v12
	s_delay_alu instid0(VALU_DEP_3) | instskip(NEXT) | instid1(VALU_DEP_2)
	v_fmac_f32_e32 v42, v4, v11
	v_fma_f32 v44, v3, v11, -v1
	s_clause 0x1
	scratch_load_b128 v[1:4], off, off offset:144
	scratch_load_b128 v[9:12], off, off offset:160
	s_wait_loadcnt_dscnt 0x100
	v_mul_f32_e32 v171, v5, v2
	v_dual_mul_f32 v2, v6, v2 :: v_dual_mul_f32 v173, v7, v4
	s_delay_alu instid0(VALU_DEP_2) | instskip(NEXT) | instid1(VALU_DEP_2)
	v_fmac_f32_e32 v171, v6, v1
	v_fma_f32 v172, v5, v1, -v2
	v_mul_f32_e32 v1, v8, v4
	s_delay_alu instid0(VALU_DEP_4) | instskip(NEXT) | instid1(VALU_DEP_2)
	v_fmac_f32_e32 v173, v8, v3
	v_fma_f32 v174, v7, v3, -v1
	ds_load_b128 v[1:4], v33 offset:672
	ds_load_b128 v[5:8], v33 offset:688
	s_wait_loadcnt_dscnt 0x1
	v_mul_f32_e32 v175, v1, v10
	v_mul_f32_e32 v177, v3, v12
	s_delay_alu instid0(VALU_DEP_2) | instskip(NEXT) | instid1(VALU_DEP_2)
	v_fmac_f32_e32 v175, v2, v9
	v_dual_mul_f32 v2, v2, v10 :: v_dual_fmac_f32 v177, v4, v11
	s_delay_alu instid0(VALU_DEP_1) | instskip(SKIP_1) | instid1(VALU_DEP_1)
	v_fma_f32 v176, v1, v9, -v2
	v_mul_f32_e32 v1, v4, v12
	v_fma_f32 v178, v3, v11, -v1
	s_clause 0x1
	scratch_load_b128 v[1:4], off, off offset:176
	scratch_load_b128 v[9:12], off, off offset:192
	s_wait_loadcnt_dscnt 0x100
	v_mul_f32_e32 v179, v5, v2
	v_dual_mul_f32 v2, v6, v2 :: v_dual_mul_f32 v181, v7, v4
	s_delay_alu instid0(VALU_DEP_2) | instskip(NEXT) | instid1(VALU_DEP_2)
	v_fmac_f32_e32 v179, v6, v1
	v_fma_f32 v180, v5, v1, -v2
	v_mul_f32_e32 v1, v8, v4
	s_delay_alu instid0(VALU_DEP_4) | instskip(NEXT) | instid1(VALU_DEP_2)
	v_fmac_f32_e32 v181, v8, v3
	v_fma_f32 v182, v7, v3, -v1
	ds_load_b128 v[1:4], v33 offset:704
	ds_load_b128 v[5:8], v33 offset:720
	s_wait_loadcnt_dscnt 0x1
	v_mul_f32_e32 v183, v1, v10
	v_mul_f32_e32 v185, v3, v12
	s_delay_alu instid0(VALU_DEP_2) | instskip(NEXT) | instid1(VALU_DEP_2)
	v_fmac_f32_e32 v183, v2, v9
	v_dual_mul_f32 v2, v2, v10 :: v_dual_fmac_f32 v185, v4, v11
	s_delay_alu instid0(VALU_DEP_1) | instskip(SKIP_1) | instid1(VALU_DEP_1)
	v_fma_f32 v184, v1, v9, -v2
	v_mul_f32_e32 v1, v4, v12
	;; [unrolled: 25-line block ×8, first 2 shown]
	v_fma_f32 v234, v3, v11, -v1
	s_clause 0x1
	scratch_load_b128 v[1:4], off, off offset:400
	scratch_load_b128 v[9:12], off, off offset:416
	s_wait_loadcnt_dscnt 0x100
	v_mul_f32_e32 v235, v5, v2
	v_dual_mul_f32 v2, v6, v2 :: v_dual_mul_f32 v237, v7, v4
	s_delay_alu instid0(VALU_DEP_2) | instskip(NEXT) | instid1(VALU_DEP_2)
	v_fmac_f32_e32 v235, v6, v1
	v_fma_f32 v236, v5, v1, -v2
	v_dual_mul_f32 v1, v8, v4 :: v_dual_add_f32 v2, 0, v34
	s_delay_alu instid0(VALU_DEP_1) | instskip(NEXT) | instid1(VALU_DEP_2)
	v_fma_f32 v238, v7, v3, -v1
	v_dual_add_f32 v1, 0, v21 :: v_dual_add_f32 v2, v2, v38
	s_delay_alu instid0(VALU_DEP_1) | instskip(NEXT) | instid1(VALU_DEP_1)
	v_dual_add_f32 v1, v1, v22 :: v_dual_add_f32 v2, v2, v23
	v_dual_add_f32 v1, v1, v25 :: v_dual_add_f32 v2, v2, v24
	s_delay_alu instid0(VALU_DEP_1) | instskip(SKIP_2) | instid1(VALU_DEP_1)
	v_add_f32_e32 v1, v1, v26
	scratch_load_b64 v[25:26], off, off offset:496
	v_add_f32_e32 v2, v2, v39
	v_dual_add_f32 v1, v1, v27 :: v_dual_add_f32 v2, v2, v40
	s_delay_alu instid0(VALU_DEP_1) | instskip(NEXT) | instid1(VALU_DEP_1)
	v_dual_add_f32 v1, v1, v28 :: v_dual_add_f32 v2, v2, v29
	v_dual_add_f32 v1, v1, v13 :: v_dual_add_f32 v2, v2, v30
	s_delay_alu instid0(VALU_DEP_1) | instskip(NEXT) | instid1(VALU_DEP_1)
	v_dual_add_f32 v1, v1, v14 :: v_dual_add_f32 v2, v2, v15
	;; [unrolled: 3-line block ×8, first 2 shown]
	v_dual_add_f32 v1, v1, v184 :: v_dual_add_f32 v2, v2, v185
	s_delay_alu instid0(VALU_DEP_1) | instskip(NEXT) | instid1(VALU_DEP_1)
	v_add_f32_e32 v1, v1, v186
	v_add_f32_e32 v1, v1, v188
	s_delay_alu instid0(VALU_DEP_1) | instskip(NEXT) | instid1(VALU_DEP_1)
	v_add_f32_e32 v1, v1, v190
	v_add_f32_e32 v1, v1, v192
	;; [unrolled: 3-line block ×7, first 2 shown]
	v_add_f32_e32 v2, v2, v187
	s_delay_alu instid0(VALU_DEP_2) | instskip(NEXT) | instid1(VALU_DEP_2)
	v_add_f32_e32 v14, v6, v214
	v_dual_add_f32 v2, v2, v189 :: v_dual_fmac_f32 v237, v8, v3
	s_delay_alu instid0(VALU_DEP_2) | instskip(NEXT) | instid1(VALU_DEP_2)
	v_add_f32_e32 v14, v14, v216
	v_add_f32_e32 v2, v2, v191
	s_delay_alu instid0(VALU_DEP_2) | instskip(NEXT) | instid1(VALU_DEP_1)
	v_add_f32_e32 v17, v14, v218
	v_dual_add_f32 v2, v2, v193 :: v_dual_add_f32 v17, v17, v220
	s_delay_alu instid0(VALU_DEP_1) | instskip(NEXT) | instid1(VALU_DEP_1)
	v_dual_add_f32 v2, v2, v195 :: v_dual_add_f32 v17, v17, v222
	v_dual_add_f32 v2, v2, v197 :: v_dual_add_f32 v17, v17, v224
	s_delay_alu instid0(VALU_DEP_1) | instskip(NEXT) | instid1(VALU_DEP_2)
	v_add_f32_e32 v2, v2, v199
	v_add_f32_e32 v22, v17, v226
	s_delay_alu instid0(VALU_DEP_2) | instskip(NEXT) | instid1(VALU_DEP_2)
	v_add_f32_e32 v2, v2, v201
	v_add_f32_e32 v22, v22, v228
	s_delay_alu instid0(VALU_DEP_2) | instskip(NEXT) | instid1(VALU_DEP_2)
	v_add_f32_e32 v2, v2, v203
	v_add_f32_e32 v22, v22, v230
	s_delay_alu instid0(VALU_DEP_2) | instskip(NEXT) | instid1(VALU_DEP_2)
	v_add_f32_e32 v2, v2, v205
	v_add_f32_e32 v22, v22, v232
	s_delay_alu instid0(VALU_DEP_2) | instskip(NEXT) | instid1(VALU_DEP_1)
	v_add_f32_e32 v2, v2, v207
	v_add_f32_e32 v5, v2, v209
	scratch_load_b128 v[1:4], off, off offset:432
	v_add_f32_e32 v13, v5, v211
	ds_load_b128 v[5:8], v33 offset:928
	v_add_f32_e32 v13, v13, v213
	s_delay_alu instid0(VALU_DEP_1) | instskip(NEXT) | instid1(VALU_DEP_1)
	v_add_f32_e32 v13, v13, v215
	v_add_f32_e32 v18, v13, v217
	ds_load_b128 v[13:16], v33 offset:944
	s_wait_loadcnt_dscnt 0x201
	v_mul_f32_e32 v29, v5, v10
	v_mul_f32_e32 v10, v6, v10
	;; [unrolled: 1-line block ×3, first 2 shown]
	s_delay_alu instid0(VALU_DEP_3) | instskip(NEXT) | instid1(VALU_DEP_3)
	v_dual_mul_f32 v12, v8, v12 :: v_dual_fmac_f32 v29, v6, v9
	v_fma_f32 v31, v5, v9, -v10
	s_delay_alu instid0(VALU_DEP_3) | instskip(NEXT) | instid1(VALU_DEP_3)
	v_fmac_f32_e32 v30, v8, v11
	v_fma_f32 v32, v7, v11, -v12
	s_clause 0x1
	scratch_load_b128 v[9:12], off, off offset:464
	scratch_load_b128 v[5:8], off, off offset:448
	s_wait_loadcnt_dscnt 0x200
	v_mul_f32_e32 v38, v15, v4
	v_mul_f32_e32 v34, v13, v2
	;; [unrolled: 1-line block ×4, first 2 shown]
	s_delay_alu instid0(VALU_DEP_4)
	v_fmac_f32_e32 v38, v16, v3
	v_add_f32_e32 v18, v18, v219
	v_fmac_f32_e32 v34, v14, v1
	v_fma_f32 v39, v13, v1, -v2
	v_add_f32_e32 v14, v22, v234
	v_fma_f32 v40, v15, v3, -v4
	v_add_f32_e32 v18, v18, v221
	ds_load_b128 v[1:4], v33 offset:960
	v_add_f32_e32 v27, v14, v236
	v_add_f32_e32 v21, v18, v223
	scratch_load_b128 v[17:20], off, off offset:480
	v_add_f32_e32 v41, v27, v238
	v_add_f32_e32 v21, v21, v225
	s_delay_alu instid0(VALU_DEP_2) | instskip(NEXT) | instid1(VALU_DEP_2)
	v_add_f32_e32 v31, v41, v31
	v_add_f32_e32 v21, v21, v227
	s_delay_alu instid0(VALU_DEP_2) | instskip(NEXT) | instid1(VALU_DEP_2)
	;; [unrolled: 3-line block ×4, first 2 shown]
	v_add_f32_e32 v31, v31, v40
	v_add_f32_e32 v21, v13, v233
	ds_load_b128 v[13:16], v33 offset:976
	s_wait_loadcnt_dscnt 0x101
	v_mul_f32_e32 v41, v1, v6
	v_mul_f32_e32 v6, v2, v6
	s_delay_alu instid0(VALU_DEP_2) | instskip(NEXT) | instid1(VALU_DEP_2)
	v_fmac_f32_e32 v41, v2, v5
	v_fma_f32 v1, v1, v5, -v6
	s_wait_dscnt 0x0
	s_delay_alu instid0(VALU_DEP_1)
	v_dual_add_f32 v1, v31, v1 :: v_dual_mul_f32 v32, v13, v10
	v_add_f32_e32 v28, v21, v235
	ds_load_b128 v[21:24], v33 offset:992
	v_dual_mul_f32 v5, v16, v12 :: v_dual_fmac_f32 v32, v14, v9
	v_add_f32_e32 v42, v28, v237
	ds_load_b64 v[27:28], v33 offset:1008
	v_fma_f32 v5, v15, v11, -v5
	v_add_f32_e32 v29, v42, v29
	s_delay_alu instid0(VALU_DEP_1) | instskip(NEXT) | instid1(VALU_DEP_1)
	v_dual_add_f32 v29, v29, v30 :: v_dual_mul_f32 v30, v3, v8
	v_dual_mul_f32 v8, v4, v8 :: v_dual_add_f32 v29, v29, v34
	s_delay_alu instid0(VALU_DEP_2) | instskip(NEXT) | instid1(VALU_DEP_2)
	v_fmac_f32_e32 v30, v4, v7
	v_fma_f32 v2, v3, v7, -v8
	v_dual_mul_f32 v3, v14, v10 :: v_dual_mul_f32 v34, v15, v12
	s_delay_alu instid0(VALU_DEP_4)
	v_add_f32_e32 v29, v29, v38
	s_wait_dscnt 0x0
	v_mul_f32_e32 v38, v27, v26
	v_add_f32_e32 v1, v1, v2
	v_fma_f32 v3, v13, v9, -v3
	v_fmac_f32_e32 v34, v16, v11
	v_add_f32_e32 v4, v29, v41
	s_delay_alu instid0(VALU_DEP_3) | instskip(NEXT) | instid1(VALU_DEP_1)
	v_dual_fmac_f32 v38, v28, v25 :: v_dual_add_f32 v1, v1, v3
	v_dual_add_f32 v2, v4, v30 :: v_dual_add_f32 v1, v1, v5
	s_delay_alu instid0(VALU_DEP_1) | instskip(NEXT) | instid1(VALU_DEP_1)
	v_dual_mul_f32 v5, v28, v26 :: v_dual_add_f32 v2, v2, v32
	v_add_f32_e32 v2, v2, v34
	s_wait_loadcnt 0x0
	v_mul_f32_e32 v39, v21, v18
	v_mul_f32_e32 v4, v22, v18
	;; [unrolled: 1-line block ×4, first 2 shown]
	s_delay_alu instid0(VALU_DEP_4) | instskip(NEXT) | instid1(VALU_DEP_4)
	v_fmac_f32_e32 v39, v22, v17
	v_fma_f32 v4, v21, v17, -v4
	s_delay_alu instid0(VALU_DEP_4) | instskip(NEXT) | instid1(VALU_DEP_4)
	v_fmac_f32_e32 v40, v24, v19
	v_fma_f32 v3, v23, v19, -v3
	s_delay_alu instid0(VALU_DEP_3) | instskip(SKIP_1) | instid1(VALU_DEP_2)
	v_dual_add_f32 v2, v2, v39 :: v_dual_add_f32 v1, v1, v4
	v_fma_f32 v4, v27, v25, -v5
	v_dual_add_f32 v2, v2, v40 :: v_dual_add_f32 v1, v1, v3
	s_delay_alu instid0(VALU_DEP_1) | instskip(NEXT) | instid1(VALU_DEP_1)
	v_dual_add_f32 v2, v2, v38 :: v_dual_add_f32 v1, v1, v4
	v_dual_sub_f32 v2, v37, v2 :: v_dual_sub_f32 v1, v36, v1
	scratch_store_b64 off, v[1:2], off offset:24
	v_cmpx_lt_u32_e32 2, v0
	s_cbranch_execz .LBB62_387
; %bb.386:
	scratch_load_b64 v[1:2], off, off offset:16
	v_mov_b32_e32 v34, v33
	scratch_store_b64 off, v[33:34], off offset:16
	s_wait_loadcnt 0x0
	ds_store_b64 v35, v[1:2]
.LBB62_387:
	s_wait_alu 0xfffe
	s_or_b32 exec_lo, exec_lo, s0
	s_wait_storecnt_dscnt 0x0
	s_barrier_signal -1
	s_barrier_wait -1
	global_inv scope:SCOPE_SE
	s_clause 0x4
	scratch_load_b128 v[5:8], off, off offset:24
	scratch_load_b128 v[1:4], off, off offset:40
	;; [unrolled: 1-line block ×5, first 2 shown]
	ds_load_2addr_b64 v[21:24], v33 offset0:67 offset1:68
	ds_load_2addr_b64 v[25:28], v33 offset0:69 offset1:70
	;; [unrolled: 1-line block ×3, first 2 shown]
	scratch_load_b64 v[36:37], off, off offset:16
	s_mov_b32 s0, exec_lo
	s_wait_loadcnt_dscnt 0x502
	v_mul_f32_e32 v34, v21, v6
	v_mul_f32_e32 v38, v23, v8
	;; [unrolled: 1-line block ×3, first 2 shown]
	s_wait_loadcnt_dscnt 0x300
	v_dual_mul_f32 v8, v24, v8 :: v_dual_mul_f32 v39, v29, v10
	v_fmac_f32_e32 v34, v22, v5
	v_mul_f32_e32 v40, v31, v12
	v_fma_f32 v21, v21, v5, -v6
	s_delay_alu instid0(VALU_DEP_4)
	v_fma_f32 v22, v23, v7, -v8
	v_dual_mul_f32 v23, v25, v2 :: v_dual_fmac_f32 v38, v24, v7
	v_fmac_f32_e32 v39, v30, v9
	ds_load_2addr_b64 v[5:8], v33 offset0:73 offset1:74
	v_mul_f32_e32 v24, v27, v4
	v_mul_f32_e32 v2, v26, v2
	;; [unrolled: 1-line block ×4, first 2 shown]
	s_delay_alu instid0(VALU_DEP_4) | instskip(NEXT) | instid1(VALU_DEP_4)
	v_dual_fmac_f32 v23, v26, v1 :: v_dual_fmac_f32 v24, v28, v3
	v_fma_f32 v25, v25, v1, -v2
	s_delay_alu instid0(VALU_DEP_4) | instskip(SKIP_4) | instid1(VALU_DEP_3)
	v_fma_f32 v26, v27, v3, -v4
	scratch_load_b128 v[1:4], off, off offset:104
	v_mul_f32_e32 v12, v32, v12
	v_fmac_f32_e32 v40, v32, v11
	v_fma_f32 v27, v29, v9, -v10
	v_fma_f32 v28, v31, v11, -v12
	ds_load_2addr_b64 v[9:12], v33 offset0:75 offset1:76
	s_wait_loadcnt_dscnt 0x301
	v_dual_mul_f32 v29, v5, v14 :: v_dual_mul_f32 v30, v7, v16
	v_mul_f32_e32 v14, v6, v14
	s_delay_alu instid0(VALU_DEP_2) | instskip(NEXT) | instid1(VALU_DEP_3)
	v_dual_mul_f32 v16, v8, v16 :: v_dual_fmac_f32 v29, v6, v13
	v_fmac_f32_e32 v30, v8, v15
	s_delay_alu instid0(VALU_DEP_3) | instskip(NEXT) | instid1(VALU_DEP_3)
	v_fma_f32 v13, v5, v13, -v14
	v_fma_f32 v14, v7, v15, -v16
	ds_load_2addr_b64 v[5:8], v33 offset0:77 offset1:78
	s_wait_loadcnt_dscnt 0x201
	v_dual_mul_f32 v15, v9, v18 :: v_dual_mul_f32 v16, v11, v20
	v_mul_f32_e32 v18, v10, v18
	s_delay_alu instid0(VALU_DEP_2) | instskip(NEXT) | instid1(VALU_DEP_3)
	v_dual_mul_f32 v20, v12, v20 :: v_dual_fmac_f32 v15, v10, v17
	v_fmac_f32_e32 v16, v12, v19
	s_delay_alu instid0(VALU_DEP_3) | instskip(NEXT) | instid1(VALU_DEP_3)
	v_fma_f32 v17, v9, v17, -v18
	v_fma_f32 v18, v11, v19, -v20
	scratch_load_b128 v[9:12], off, off offset:120
	s_wait_loadcnt_dscnt 0x100
	v_dual_mul_f32 v19, v5, v2 :: v_dual_mul_f32 v20, v7, v4
	v_mul_f32_e32 v2, v6, v2
	s_delay_alu instid0(VALU_DEP_2) | instskip(NEXT) | instid1(VALU_DEP_3)
	v_dual_mul_f32 v4, v8, v4 :: v_dual_fmac_f32 v19, v6, v1
	v_fmac_f32_e32 v20, v8, v3
	s_delay_alu instid0(VALU_DEP_3) | instskip(NEXT) | instid1(VALU_DEP_3)
	v_fma_f32 v31, v5, v1, -v2
	v_fma_f32 v32, v7, v3, -v4
	ds_load_2addr_b64 v[1:4], v33 offset0:79 offset1:80
	ds_load_2addr_b64 v[5:8], v33 offset0:81 offset1:82
	s_wait_loadcnt_dscnt 0x1
	v_mul_f32_e32 v41, v1, v10
	v_mul_f32_e32 v10, v2, v10
	s_delay_alu instid0(VALU_DEP_2) | instskip(NEXT) | instid1(VALU_DEP_2)
	v_dual_mul_f32 v42, v3, v12 :: v_dual_fmac_f32 v41, v2, v9
	v_fma_f32 v43, v1, v9, -v10
	v_mul_f32_e32 v1, v4, v12
	s_delay_alu instid0(VALU_DEP_3) | instskip(NEXT) | instid1(VALU_DEP_2)
	v_fmac_f32_e32 v42, v4, v11
	v_fma_f32 v44, v3, v11, -v1
	s_clause 0x1
	scratch_load_b128 v[1:4], off, off offset:136
	scratch_load_b128 v[9:12], off, off offset:152
	s_wait_loadcnt_dscnt 0x100
	v_mul_f32_e32 v171, v5, v2
	v_dual_mul_f32 v2, v6, v2 :: v_dual_mul_f32 v173, v7, v4
	s_delay_alu instid0(VALU_DEP_2) | instskip(NEXT) | instid1(VALU_DEP_2)
	v_fmac_f32_e32 v171, v6, v1
	v_fma_f32 v172, v5, v1, -v2
	v_mul_f32_e32 v1, v8, v4
	s_delay_alu instid0(VALU_DEP_4) | instskip(NEXT) | instid1(VALU_DEP_2)
	v_fmac_f32_e32 v173, v8, v3
	v_fma_f32 v174, v7, v3, -v1
	ds_load_2addr_b64 v[1:4], v33 offset0:83 offset1:84
	ds_load_2addr_b64 v[5:8], v33 offset0:85 offset1:86
	s_wait_loadcnt_dscnt 0x1
	v_mul_f32_e32 v175, v1, v10
	v_mul_f32_e32 v177, v3, v12
	s_delay_alu instid0(VALU_DEP_2) | instskip(NEXT) | instid1(VALU_DEP_2)
	v_fmac_f32_e32 v175, v2, v9
	v_dual_mul_f32 v2, v2, v10 :: v_dual_fmac_f32 v177, v4, v11
	s_delay_alu instid0(VALU_DEP_1) | instskip(SKIP_1) | instid1(VALU_DEP_1)
	v_fma_f32 v176, v1, v9, -v2
	v_mul_f32_e32 v1, v4, v12
	v_fma_f32 v178, v3, v11, -v1
	s_clause 0x1
	scratch_load_b128 v[1:4], off, off offset:168
	scratch_load_b128 v[9:12], off, off offset:184
	s_wait_loadcnt_dscnt 0x100
	v_mul_f32_e32 v179, v5, v2
	v_dual_mul_f32 v2, v6, v2 :: v_dual_mul_f32 v181, v7, v4
	s_delay_alu instid0(VALU_DEP_2) | instskip(NEXT) | instid1(VALU_DEP_2)
	v_fmac_f32_e32 v179, v6, v1
	v_fma_f32 v180, v5, v1, -v2
	v_mul_f32_e32 v1, v8, v4
	s_delay_alu instid0(VALU_DEP_4) | instskip(NEXT) | instid1(VALU_DEP_2)
	v_fmac_f32_e32 v181, v8, v3
	v_fma_f32 v182, v7, v3, -v1
	ds_load_2addr_b64 v[1:4], v33 offset0:87 offset1:88
	ds_load_2addr_b64 v[5:8], v33 offset0:89 offset1:90
	s_wait_loadcnt_dscnt 0x1
	v_mul_f32_e32 v183, v1, v10
	v_mul_f32_e32 v185, v3, v12
	s_delay_alu instid0(VALU_DEP_2) | instskip(NEXT) | instid1(VALU_DEP_2)
	v_fmac_f32_e32 v183, v2, v9
	v_dual_mul_f32 v2, v2, v10 :: v_dual_fmac_f32 v185, v4, v11
	s_delay_alu instid0(VALU_DEP_1) | instskip(SKIP_1) | instid1(VALU_DEP_1)
	v_fma_f32 v184, v1, v9, -v2
	v_mul_f32_e32 v1, v4, v12
	;; [unrolled: 25-line block ×9, first 2 shown]
	v_fma_f32 v242, v3, v11, -v1
	s_clause 0x1
	scratch_load_b128 v[1:4], off, off offset:424
	scratch_load_b128 v[9:12], off, off offset:440
	s_wait_loadcnt_dscnt 0x100
	v_mul_f32_e32 v243, v5, v2
	v_mul_f32_e32 v2, v6, v2
	s_delay_alu instid0(VALU_DEP_2) | instskip(NEXT) | instid1(VALU_DEP_2)
	v_fmac_f32_e32 v243, v6, v1
	v_fma_f32 v244, v5, v1, -v2
	v_dual_mul_f32 v1, v8, v4 :: v_dual_add_f32 v2, 0, v34
	s_delay_alu instid0(VALU_DEP_1) | instskip(NEXT) | instid1(VALU_DEP_2)
	v_fma_f32 v246, v7, v3, -v1
	v_dual_add_f32 v1, 0, v21 :: v_dual_add_f32 v2, v2, v38
	s_delay_alu instid0(VALU_DEP_1) | instskip(NEXT) | instid1(VALU_DEP_1)
	v_dual_add_f32 v1, v1, v22 :: v_dual_add_f32 v2, v2, v23
	v_dual_add_f32 v1, v1, v25 :: v_dual_add_f32 v2, v2, v24
	s_delay_alu instid0(VALU_DEP_1) | instskip(NEXT) | instid1(VALU_DEP_1)
	v_dual_add_f32 v1, v1, v26 :: v_dual_add_f32 v2, v2, v39
	;; [unrolled: 3-line block ×11, first 2 shown]
	v_dual_add_f32 v1, v1, v188 :: v_dual_add_f32 v2, v2, v189
	s_delay_alu instid0(VALU_DEP_1) | instskip(NEXT) | instid1(VALU_DEP_1)
	v_add_f32_e32 v1, v1, v190
	v_add_f32_e32 v1, v1, v192
	s_delay_alu instid0(VALU_DEP_1) | instskip(NEXT) | instid1(VALU_DEP_1)
	v_add_f32_e32 v1, v1, v194
	v_add_f32_e32 v1, v1, v196
	s_delay_alu instid0(VALU_DEP_1) | instskip(NEXT) | instid1(VALU_DEP_1)
	v_add_f32_e32 v1, v1, v198
	v_add_f32_e32 v1, v1, v200
	s_delay_alu instid0(VALU_DEP_1) | instskip(NEXT) | instid1(VALU_DEP_1)
	v_add_f32_e32 v1, v1, v202
	v_add_f32_e32 v1, v1, v204
	s_delay_alu instid0(VALU_DEP_1) | instskip(NEXT) | instid1(VALU_DEP_1)
	v_add_f32_e32 v1, v1, v206
	v_add_f32_e32 v1, v1, v208
	s_delay_alu instid0(VALU_DEP_1) | instskip(NEXT) | instid1(VALU_DEP_1)
	v_add_f32_e32 v1, v1, v210
	v_add_f32_e32 v1, v1, v212
	s_delay_alu instid0(VALU_DEP_1) | instskip(NEXT) | instid1(VALU_DEP_1)
	v_add_f32_e32 v1, v1, v214
	v_add_f32_e32 v1, v1, v216
	s_delay_alu instid0(VALU_DEP_1) | instskip(SKIP_1) | instid1(VALU_DEP_2)
	v_add_f32_e32 v6, v1, v218
	v_add_f32_e32 v2, v2, v191
	;; [unrolled: 1-line block ×3, first 2 shown]
	s_delay_alu instid0(VALU_DEP_2) | instskip(NEXT) | instid1(VALU_DEP_2)
	v_dual_add_f32 v2, v2, v193 :: v_dual_mul_f32 v245, v7, v4
	v_add_f32_e32 v13, v6, v222
	s_delay_alu instid0(VALU_DEP_1) | instskip(NEXT) | instid1(VALU_DEP_1)
	v_dual_add_f32 v2, v2, v195 :: v_dual_add_f32 v13, v13, v224
	v_dual_add_f32 v2, v2, v197 :: v_dual_add_f32 v13, v13, v226
	s_delay_alu instid0(VALU_DEP_1) | instskip(NEXT) | instid1(VALU_DEP_1)
	v_dual_add_f32 v2, v2, v199 :: v_dual_add_f32 v13, v13, v228
	v_add_f32_e32 v2, v2, v201
	s_delay_alu instid0(VALU_DEP_2) | instskip(NEXT) | instid1(VALU_DEP_2)
	v_add_f32_e32 v18, v13, v230
	v_add_f32_e32 v2, v2, v203
	s_delay_alu instid0(VALU_DEP_2) | instskip(NEXT) | instid1(VALU_DEP_2)
	v_add_f32_e32 v18, v18, v232
	;; [unrolled: 3-line block ×3, first 2 shown]
	v_add_f32_e32 v2, v2, v207
	s_delay_alu instid0(VALU_DEP_2) | instskip(NEXT) | instid1(VALU_DEP_1)
	v_add_f32_e32 v21, v18, v236
	v_dual_add_f32 v2, v2, v209 :: v_dual_add_f32 v29, v21, v238
	s_delay_alu instid0(VALU_DEP_1) | instskip(NEXT) | instid1(VALU_DEP_1)
	v_dual_add_f32 v2, v2, v211 :: v_dual_add_f32 v29, v29, v240
	v_dual_add_f32 v2, v2, v213 :: v_dual_add_f32 v29, v29, v242
	s_delay_alu instid0(VALU_DEP_1) | instskip(NEXT) | instid1(VALU_DEP_2)
	v_add_f32_e32 v5, v2, v215
	v_add_f32_e32 v29, v29, v244
	s_delay_alu instid0(VALU_DEP_2) | instskip(NEXT) | instid1(VALU_DEP_2)
	v_add_f32_e32 v5, v5, v217
	v_add_f32_e32 v29, v29, v246
	s_delay_alu instid0(VALU_DEP_2) | instskip(NEXT) | instid1(VALU_DEP_1)
	v_add_f32_e32 v5, v5, v219
	v_add_f32_e32 v14, v5, v221
	s_delay_alu instid0(VALU_DEP_1) | instskip(NEXT) | instid1(VALU_DEP_1)
	v_add_f32_e32 v14, v14, v223
	v_dual_add_f32 v14, v14, v225 :: v_dual_fmac_f32 v245, v8, v3
	ds_load_2addr_b64 v[1:4], v33 offset0:119 offset1:120
	ds_load_2addr_b64 v[5:8], v33 offset0:121 offset1:122
	s_wait_loadcnt_dscnt 0x1
	v_dual_mul_f32 v25, v1, v10 :: v_dual_mul_f32 v26, v3, v12
	v_mul_f32_e32 v10, v2, v10
	s_delay_alu instid0(VALU_DEP_2) | instskip(NEXT) | instid1(VALU_DEP_3)
	v_dual_mul_f32 v12, v4, v12 :: v_dual_fmac_f32 v25, v2, v9
	v_fmac_f32_e32 v26, v4, v11
	s_delay_alu instid0(VALU_DEP_3) | instskip(NEXT) | instid1(VALU_DEP_3)
	v_fma_f32 v27, v1, v9, -v10
	v_fma_f32 v28, v3, v11, -v12
	s_clause 0x1
	scratch_load_b128 v[1:4], off, off offset:456
	scratch_load_b128 v[9:12], off, off offset:472
	s_wait_loadcnt_dscnt 0x100
	v_dual_add_f32 v27, v29, v27 :: v_dual_mul_f32 v32, v7, v4
	v_dual_mul_f32 v4, v8, v4 :: v_dual_add_f32 v17, v14, v227
	scratch_load_b128 v[13:16], off, off offset:488
	v_dual_mul_f32 v31, v5, v2 :: v_dual_fmac_f32 v32, v8, v3
	v_fma_f32 v3, v7, v3, -v4
	v_dual_add_f32 v17, v17, v229 :: v_dual_mul_f32 v2, v6, v2
	s_delay_alu instid0(VALU_DEP_3) | instskip(NEXT) | instid1(VALU_DEP_2)
	v_fmac_f32_e32 v31, v6, v1
	v_add_f32_e32 v17, v17, v231
	s_delay_alu instid0(VALU_DEP_3) | instskip(SKIP_1) | instid1(VALU_DEP_3)
	v_fma_f32 v2, v5, v1, -v2
	v_add_f32_e32 v1, v27, v28
	v_add_f32_e32 v17, v17, v233
	s_delay_alu instid0(VALU_DEP_2) | instskip(NEXT) | instid1(VALU_DEP_2)
	v_add_f32_e32 v1, v1, v2
	v_add_f32_e32 v22, v17, v235
	ds_load_2addr_b64 v[17:20], v33 offset0:123 offset1:124
	v_dual_add_f32 v1, v1, v3 :: v_dual_add_f32 v30, v22, v237
	ds_load_2addr_b64 v[21:24], v33 offset0:125 offset1:126
	s_wait_loadcnt_dscnt 0x101
	v_mul_f32_e32 v4, v20, v12
	v_add_f32_e32 v30, v30, v239
	v_dual_mul_f32 v34, v19, v12 :: v_dual_mul_f32 v33, v17, v10
	v_mul_f32_e32 v6, v18, v10
	s_delay_alu instid0(VALU_DEP_4) | instskip(NEXT) | instid1(VALU_DEP_4)
	v_fma_f32 v4, v19, v11, -v4
	v_add_f32_e32 v30, v30, v241
	s_delay_alu instid0(VALU_DEP_4) | instskip(NEXT) | instid1(VALU_DEP_2)
	v_dual_fmac_f32 v34, v20, v11 :: v_dual_fmac_f32 v33, v18, v9
	v_add_f32_e32 v30, v30, v243
	s_delay_alu instid0(VALU_DEP_1) | instskip(NEXT) | instid1(VALU_DEP_1)
	v_add_f32_e32 v30, v30, v245
	v_add_f32_e32 v25, v30, v25
	s_delay_alu instid0(VALU_DEP_1) | instskip(NEXT) | instid1(VALU_DEP_1)
	v_add_f32_e32 v5, v25, v26
	v_add_f32_e32 v2, v5, v31
	v_fma_f32 v5, v17, v9, -v6
	s_delay_alu instid0(VALU_DEP_1) | instskip(NEXT) | instid1(VALU_DEP_1)
	v_dual_add_f32 v2, v2, v32 :: v_dual_add_f32 v1, v1, v5
	v_dual_add_f32 v2, v2, v33 :: v_dual_add_f32 v1, v1, v4
	s_delay_alu instid0(VALU_DEP_1) | instskip(SKIP_4) | instid1(VALU_DEP_3)
	v_add_f32_e32 v2, v2, v34
	s_wait_loadcnt_dscnt 0x0
	v_mul_f32_e32 v38, v21, v14
	v_mul_f32_e32 v3, v22, v14
	;; [unrolled: 1-line block ×3, first 2 shown]
	v_dual_mul_f32 v5, v24, v16 :: v_dual_fmac_f32 v38, v22, v13
	s_delay_alu instid0(VALU_DEP_3) | instskip(NEXT) | instid1(VALU_DEP_3)
	v_fma_f32 v3, v21, v13, -v3
	v_fmac_f32_e32 v29, v24, v15
	s_delay_alu instid0(VALU_DEP_3) | instskip(NEXT) | instid1(VALU_DEP_3)
	v_fma_f32 v4, v23, v15, -v5
	v_dual_add_f32 v2, v2, v38 :: v_dual_add_f32 v1, v1, v3
	s_delay_alu instid0(VALU_DEP_1) | instskip(NEXT) | instid1(VALU_DEP_1)
	v_dual_add_f32 v2, v2, v29 :: v_dual_add_f32 v1, v1, v4
	v_dual_sub_f32 v2, v37, v2 :: v_dual_sub_f32 v1, v36, v1
	scratch_store_b64 off, v[1:2], off offset:16
	v_cmpx_lt_u32_e32 1, v0
	s_cbranch_execz .LBB62_389
; %bb.388:
	scratch_load_b64 v[1:2], off, off offset:8
	v_mov_b32_e32 v3, 0
	s_delay_alu instid0(VALU_DEP_1)
	v_mov_b32_e32 v4, v3
	scratch_store_b64 off, v[3:4], off offset:8
	s_wait_loadcnt 0x0
	ds_store_b64 v35, v[1:2]
.LBB62_389:
	s_wait_alu 0xfffe
	s_or_b32 exec_lo, exec_lo, s0
	s_wait_storecnt_dscnt 0x0
	s_barrier_signal -1
	s_barrier_wait -1
	global_inv scope:SCOPE_SE
	s_clause 0x4
	scratch_load_b128 v[5:8], off, off offset:16
	scratch_load_b128 v[1:4], off, off offset:32
	;; [unrolled: 1-line block ×5, first 2 shown]
	v_mov_b32_e32 v33, 0
	ds_load_b128 v[21:24], v33 offset:528
	ds_load_b128 v[25:28], v33 offset:544
	;; [unrolled: 1-line block ×3, first 2 shown]
	scratch_load_b64 v[36:37], off, off offset:8
	s_mov_b32 s0, exec_lo
	s_wait_loadcnt_dscnt 0x502
	v_mul_f32_e32 v34, v21, v6
	v_mul_f32_e32 v38, v23, v8
	;; [unrolled: 1-line block ×3, first 2 shown]
	s_wait_loadcnt_dscnt 0x300
	v_dual_mul_f32 v8, v24, v8 :: v_dual_mul_f32 v39, v29, v10
	v_fmac_f32_e32 v34, v22, v5
	v_mul_f32_e32 v40, v31, v12
	v_fma_f32 v21, v21, v5, -v6
	s_delay_alu instid0(VALU_DEP_4)
	v_fma_f32 v22, v23, v7, -v8
	v_dual_mul_f32 v23, v25, v2 :: v_dual_fmac_f32 v38, v24, v7
	ds_load_b128 v[5:8], v33 offset:576
	v_dual_mul_f32 v24, v27, v4 :: v_dual_fmac_f32 v39, v30, v9
	v_mul_f32_e32 v2, v26, v2
	v_mul_f32_e32 v4, v28, v4
	;; [unrolled: 1-line block ×3, first 2 shown]
	s_delay_alu instid0(VALU_DEP_4) | instskip(NEXT) | instid1(VALU_DEP_4)
	v_dual_fmac_f32 v23, v26, v1 :: v_dual_fmac_f32 v24, v28, v3
	v_fma_f32 v25, v25, v1, -v2
	s_delay_alu instid0(VALU_DEP_4) | instskip(SKIP_4) | instid1(VALU_DEP_3)
	v_fma_f32 v26, v27, v3, -v4
	scratch_load_b128 v[1:4], off, off offset:96
	v_mul_f32_e32 v12, v32, v12
	v_fmac_f32_e32 v40, v32, v11
	v_fma_f32 v27, v29, v9, -v10
	v_fma_f32 v28, v31, v11, -v12
	ds_load_b128 v[9:12], v33 offset:592
	s_wait_loadcnt_dscnt 0x301
	v_dual_mul_f32 v29, v5, v14 :: v_dual_mul_f32 v30, v7, v16
	v_mul_f32_e32 v14, v6, v14
	s_delay_alu instid0(VALU_DEP_2) | instskip(NEXT) | instid1(VALU_DEP_3)
	v_dual_mul_f32 v16, v8, v16 :: v_dual_fmac_f32 v29, v6, v13
	v_fmac_f32_e32 v30, v8, v15
	s_delay_alu instid0(VALU_DEP_3) | instskip(NEXT) | instid1(VALU_DEP_3)
	v_fma_f32 v13, v5, v13, -v14
	v_fma_f32 v14, v7, v15, -v16
	ds_load_b128 v[5:8], v33 offset:608
	s_wait_loadcnt_dscnt 0x201
	v_dual_mul_f32 v15, v9, v18 :: v_dual_mul_f32 v16, v11, v20
	v_mul_f32_e32 v18, v10, v18
	s_delay_alu instid0(VALU_DEP_2) | instskip(NEXT) | instid1(VALU_DEP_3)
	v_dual_mul_f32 v20, v12, v20 :: v_dual_fmac_f32 v15, v10, v17
	v_fmac_f32_e32 v16, v12, v19
	s_delay_alu instid0(VALU_DEP_3) | instskip(NEXT) | instid1(VALU_DEP_3)
	v_fma_f32 v17, v9, v17, -v18
	v_fma_f32 v18, v11, v19, -v20
	scratch_load_b128 v[9:12], off, off offset:112
	s_wait_loadcnt_dscnt 0x100
	v_dual_mul_f32 v19, v5, v2 :: v_dual_mul_f32 v20, v7, v4
	v_mul_f32_e32 v2, v6, v2
	s_delay_alu instid0(VALU_DEP_2) | instskip(NEXT) | instid1(VALU_DEP_3)
	v_dual_mul_f32 v4, v8, v4 :: v_dual_fmac_f32 v19, v6, v1
	v_fmac_f32_e32 v20, v8, v3
	s_delay_alu instid0(VALU_DEP_3) | instskip(NEXT) | instid1(VALU_DEP_3)
	v_fma_f32 v31, v5, v1, -v2
	v_fma_f32 v32, v7, v3, -v4
	ds_load_b128 v[1:4], v33 offset:624
	ds_load_b128 v[5:8], v33 offset:640
	s_wait_loadcnt_dscnt 0x1
	v_mul_f32_e32 v41, v1, v10
	v_mul_f32_e32 v10, v2, v10
	s_delay_alu instid0(VALU_DEP_2) | instskip(NEXT) | instid1(VALU_DEP_2)
	v_dual_mul_f32 v42, v3, v12 :: v_dual_fmac_f32 v41, v2, v9
	v_fma_f32 v43, v1, v9, -v10
	v_mul_f32_e32 v1, v4, v12
	s_delay_alu instid0(VALU_DEP_3) | instskip(NEXT) | instid1(VALU_DEP_2)
	v_fmac_f32_e32 v42, v4, v11
	v_fma_f32 v44, v3, v11, -v1
	s_clause 0x1
	scratch_load_b128 v[1:4], off, off offset:128
	scratch_load_b128 v[9:12], off, off offset:144
	s_wait_loadcnt_dscnt 0x100
	v_mul_f32_e32 v171, v5, v2
	v_dual_mul_f32 v2, v6, v2 :: v_dual_mul_f32 v173, v7, v4
	s_delay_alu instid0(VALU_DEP_2) | instskip(NEXT) | instid1(VALU_DEP_2)
	v_fmac_f32_e32 v171, v6, v1
	v_fma_f32 v172, v5, v1, -v2
	v_mul_f32_e32 v1, v8, v4
	s_delay_alu instid0(VALU_DEP_4) | instskip(NEXT) | instid1(VALU_DEP_2)
	v_fmac_f32_e32 v173, v8, v3
	v_fma_f32 v174, v7, v3, -v1
	ds_load_b128 v[1:4], v33 offset:656
	ds_load_b128 v[5:8], v33 offset:672
	s_wait_loadcnt_dscnt 0x1
	v_mul_f32_e32 v175, v1, v10
	v_mul_f32_e32 v177, v3, v12
	s_delay_alu instid0(VALU_DEP_2) | instskip(NEXT) | instid1(VALU_DEP_2)
	v_fmac_f32_e32 v175, v2, v9
	v_dual_mul_f32 v2, v2, v10 :: v_dual_fmac_f32 v177, v4, v11
	s_delay_alu instid0(VALU_DEP_1) | instskip(SKIP_1) | instid1(VALU_DEP_1)
	v_fma_f32 v176, v1, v9, -v2
	v_mul_f32_e32 v1, v4, v12
	v_fma_f32 v178, v3, v11, -v1
	s_clause 0x1
	scratch_load_b128 v[1:4], off, off offset:160
	scratch_load_b128 v[9:12], off, off offset:176
	s_wait_loadcnt_dscnt 0x100
	v_mul_f32_e32 v179, v5, v2
	v_dual_mul_f32 v2, v6, v2 :: v_dual_mul_f32 v181, v7, v4
	s_delay_alu instid0(VALU_DEP_2) | instskip(NEXT) | instid1(VALU_DEP_2)
	v_fmac_f32_e32 v179, v6, v1
	v_fma_f32 v180, v5, v1, -v2
	v_mul_f32_e32 v1, v8, v4
	s_delay_alu instid0(VALU_DEP_4) | instskip(NEXT) | instid1(VALU_DEP_2)
	v_fmac_f32_e32 v181, v8, v3
	v_fma_f32 v182, v7, v3, -v1
	ds_load_b128 v[1:4], v33 offset:688
	ds_load_b128 v[5:8], v33 offset:704
	s_wait_loadcnt_dscnt 0x1
	v_mul_f32_e32 v183, v1, v10
	v_mul_f32_e32 v185, v3, v12
	s_delay_alu instid0(VALU_DEP_2) | instskip(NEXT) | instid1(VALU_DEP_2)
	v_fmac_f32_e32 v183, v2, v9
	v_dual_mul_f32 v2, v2, v10 :: v_dual_fmac_f32 v185, v4, v11
	s_delay_alu instid0(VALU_DEP_1) | instskip(SKIP_1) | instid1(VALU_DEP_1)
	v_fma_f32 v184, v1, v9, -v2
	v_mul_f32_e32 v1, v4, v12
	;; [unrolled: 25-line block ×9, first 2 shown]
	v_fma_f32 v242, v3, v11, -v1
	s_clause 0x1
	scratch_load_b128 v[1:4], off, off offset:416
	scratch_load_b128 v[9:12], off, off offset:432
	s_wait_loadcnt_dscnt 0x100
	v_mul_f32_e32 v243, v5, v2
	v_mul_f32_e32 v2, v6, v2
	s_delay_alu instid0(VALU_DEP_2) | instskip(NEXT) | instid1(VALU_DEP_2)
	v_fmac_f32_e32 v243, v6, v1
	v_fma_f32 v244, v5, v1, -v2
	v_dual_mul_f32 v1, v8, v4 :: v_dual_add_f32 v2, 0, v34
	s_delay_alu instid0(VALU_DEP_1) | instskip(NEXT) | instid1(VALU_DEP_2)
	v_fma_f32 v246, v7, v3, -v1
	v_dual_add_f32 v1, 0, v21 :: v_dual_add_f32 v2, v2, v38
	s_delay_alu instid0(VALU_DEP_1) | instskip(NEXT) | instid1(VALU_DEP_1)
	v_dual_add_f32 v1, v1, v22 :: v_dual_add_f32 v2, v2, v23
	v_dual_add_f32 v1, v1, v25 :: v_dual_add_f32 v2, v2, v24
	s_delay_alu instid0(VALU_DEP_1) | instskip(SKIP_2) | instid1(VALU_DEP_1)
	v_dual_add_f32 v1, v1, v26 :: v_dual_add_f32 v2, v2, v39
	scratch_load_b64 v[25:26], off, off offset:496
	v_dual_add_f32 v1, v1, v27 :: v_dual_add_f32 v2, v2, v40
	v_dual_add_f32 v1, v1, v28 :: v_dual_add_f32 v2, v2, v29
	s_delay_alu instid0(VALU_DEP_1) | instskip(NEXT) | instid1(VALU_DEP_1)
	v_dual_add_f32 v1, v1, v13 :: v_dual_add_f32 v2, v2, v30
	v_dual_add_f32 v1, v1, v14 :: v_dual_add_f32 v2, v2, v15
	s_delay_alu instid0(VALU_DEP_1) | instskip(NEXT) | instid1(VALU_DEP_1)
	;; [unrolled: 3-line block ×8, first 2 shown]
	v_dual_add_f32 v1, v1, v184 :: v_dual_add_f32 v2, v2, v185
	v_add_f32_e32 v1, v1, v186
	s_delay_alu instid0(VALU_DEP_1) | instskip(NEXT) | instid1(VALU_DEP_1)
	v_add_f32_e32 v1, v1, v188
	v_add_f32_e32 v1, v1, v190
	s_delay_alu instid0(VALU_DEP_1) | instskip(NEXT) | instid1(VALU_DEP_1)
	v_add_f32_e32 v1, v1, v192
	;; [unrolled: 3-line block ×8, first 2 shown]
	v_add_f32_e32 v6, v1, v218
	v_add_f32_e32 v2, v2, v187
	s_delay_alu instid0(VALU_DEP_2) | instskip(NEXT) | instid1(VALU_DEP_2)
	v_add_f32_e32 v6, v6, v220
	v_add_f32_e32 v2, v2, v189
	s_delay_alu instid0(VALU_DEP_2) | instskip(NEXT) | instid1(VALU_DEP_1)
	v_add_f32_e32 v13, v6, v222
	v_dual_add_f32 v2, v2, v191 :: v_dual_add_f32 v13, v13, v224
	s_delay_alu instid0(VALU_DEP_1) | instskip(NEXT) | instid1(VALU_DEP_1)
	v_dual_add_f32 v2, v2, v193 :: v_dual_add_f32 v13, v13, v226
	v_dual_add_f32 v2, v2, v195 :: v_dual_add_f32 v13, v13, v228
	s_delay_alu instid0(VALU_DEP_1) | instskip(NEXT) | instid1(VALU_DEP_2)
	v_add_f32_e32 v2, v2, v197
	v_add_f32_e32 v18, v13, v230
	s_delay_alu instid0(VALU_DEP_2) | instskip(NEXT) | instid1(VALU_DEP_2)
	v_add_f32_e32 v2, v2, v199
	v_add_f32_e32 v18, v18, v232
	s_delay_alu instid0(VALU_DEP_2) | instskip(NEXT) | instid1(VALU_DEP_2)
	;; [unrolled: 3-line block ×4, first 2 shown]
	v_dual_add_f32 v2, v2, v205 :: v_dual_mul_f32 v245, v7, v4
	v_add_f32_e32 v18, v18, v238
	s_delay_alu instid0(VALU_DEP_2) | instskip(NEXT) | instid1(VALU_DEP_2)
	v_add_f32_e32 v2, v2, v207
	v_add_f32_e32 v27, v18, v240
	s_delay_alu instid0(VALU_DEP_2) | instskip(NEXT) | instid1(VALU_DEP_2)
	v_add_f32_e32 v2, v2, v209
	;; [unrolled: 3-line block ×3, first 2 shown]
	v_dual_fmac_f32 v245, v8, v3 :: v_dual_add_f32 v34, v34, v244
	s_delay_alu instid0(VALU_DEP_2) | instskip(NEXT) | instid1(VALU_DEP_2)
	v_add_f32_e32 v2, v2, v213
	v_add_f32_e32 v34, v34, v246
	s_delay_alu instid0(VALU_DEP_2) | instskip(SKIP_2) | instid1(VALU_DEP_1)
	v_add_f32_e32 v5, v2, v215
	ds_load_b128 v[1:4], v33 offset:944
	v_add_f32_e32 v5, v5, v217
	v_add_f32_e32 v5, v5, v219
	s_delay_alu instid0(VALU_DEP_1)
	v_add_f32_e32 v14, v5, v221
	ds_load_b128 v[5:8], v33 offset:960
	s_wait_loadcnt_dscnt 0x101
	v_dual_add_f32 v14, v14, v223 :: v_dual_mul_f32 v29, v1, v10
	v_mul_f32_e32 v10, v2, v10
	v_mul_f32_e32 v30, v3, v12
	;; [unrolled: 1-line block ×3, first 2 shown]
	s_delay_alu instid0(VALU_DEP_4)
	v_add_f32_e32 v14, v14, v225
	v_fmac_f32_e32 v29, v2, v9
	v_fma_f32 v31, v1, v9, -v10
	v_fmac_f32_e32 v30, v4, v11
	v_fma_f32 v32, v3, v11, -v12
	s_clause 0x1
	scratch_load_b128 v[1:4], off, off offset:448
	scratch_load_b128 v[9:12], off, off offset:464
	v_add_f32_e32 v17, v14, v227
	scratch_load_b128 v[13:16], off, off offset:480
	v_add_f32_e32 v31, v34, v31
	v_add_f32_e32 v17, v17, v229
	s_delay_alu instid0(VALU_DEP_2) | instskip(NEXT) | instid1(VALU_DEP_2)
	v_add_f32_e32 v31, v31, v32
	v_add_f32_e32 v17, v17, v231
	s_delay_alu instid0(VALU_DEP_1) | instskip(NEXT) | instid1(VALU_DEP_1)
	v_add_f32_e32 v17, v17, v233
	v_add_f32_e32 v17, v17, v235
	s_delay_alu instid0(VALU_DEP_1)
	v_add_f32_e32 v21, v17, v237
	ds_load_b128 v[17:20], v33 offset:976
	s_wait_loadcnt_dscnt 0x201
	v_dual_mul_f32 v40, v7, v4 :: v_dual_mul_f32 v39, v5, v2
	v_mul_f32_e32 v2, v6, v2
	v_mul_f32_e32 v4, v8, v4
	s_delay_alu instid0(VALU_DEP_3) | instskip(SKIP_1) | instid1(VALU_DEP_4)
	v_fmac_f32_e32 v40, v8, v3
	v_add_f32_e32 v28, v21, v239
	v_fma_f32 v2, v5, v1, -v2
	ds_load_b128 v[21:24], v33 offset:992
	s_wait_loadcnt_dscnt 0x101
	v_dual_fmac_f32 v39, v6, v1 :: v_dual_mul_f32 v34, v17, v10
	v_add_f32_e32 v38, v28, v241
	v_add_f32_e32 v2, v31, v2
	ds_load_b64 v[27:28], v33 offset:1008
	v_fma_f32 v1, v7, v3, -v4
	v_mul_f32_e32 v3, v18, v10
	v_dual_add_f32 v38, v38, v243 :: v_dual_mul_f32 v5, v20, v12
	v_fmac_f32_e32 v34, v18, v9
	s_delay_alu instid0(VALU_DEP_4) | instskip(NEXT) | instid1(VALU_DEP_4)
	v_add_f32_e32 v1, v2, v1
	v_fma_f32 v3, v17, v9, -v3
	s_delay_alu instid0(VALU_DEP_4) | instskip(SKIP_1) | instid1(VALU_DEP_3)
	v_add_f32_e32 v38, v38, v245
	v_fma_f32 v5, v19, v11, -v5
	v_add_f32_e32 v1, v1, v3
	s_delay_alu instid0(VALU_DEP_3) | instskip(SKIP_3) | instid1(VALU_DEP_3)
	v_dual_add_f32 v29, v38, v29 :: v_dual_mul_f32 v38, v19, v12
	s_wait_loadcnt_dscnt 0x1
	v_dual_mul_f32 v41, v21, v14 :: v_dual_mul_f32 v32, v23, v16
	v_mul_f32_e32 v3, v24, v16
	v_dual_add_f32 v29, v29, v30 :: v_dual_fmac_f32 v38, v20, v11
	s_delay_alu instid0(VALU_DEP_3) | instskip(SKIP_2) | instid1(VALU_DEP_3)
	v_fmac_f32_e32 v41, v22, v13
	s_wait_dscnt 0x0
	v_dual_add_f32 v1, v1, v5 :: v_dual_mul_f32 v30, v27, v26
	v_dual_add_f32 v4, v29, v39 :: v_dual_mul_f32 v5, v28, v26
	v_fmac_f32_e32 v32, v24, v15
	v_fma_f32 v3, v23, v15, -v3
	s_delay_alu instid0(VALU_DEP_4) | instskip(NEXT) | instid1(VALU_DEP_4)
	v_fmac_f32_e32 v30, v28, v25
	v_add_f32_e32 v2, v4, v40
	v_mul_f32_e32 v4, v22, v14
	s_delay_alu instid0(VALU_DEP_2) | instskip(NEXT) | instid1(VALU_DEP_2)
	v_add_f32_e32 v2, v2, v34
	v_fma_f32 v4, v21, v13, -v4
	s_delay_alu instid0(VALU_DEP_1) | instskip(SKIP_1) | instid1(VALU_DEP_2)
	v_dual_add_f32 v2, v2, v38 :: v_dual_add_f32 v1, v1, v4
	v_fma_f32 v4, v27, v25, -v5
	v_dual_add_f32 v2, v2, v41 :: v_dual_add_f32 v1, v1, v3
	s_delay_alu instid0(VALU_DEP_1) | instskip(NEXT) | instid1(VALU_DEP_1)
	v_add_f32_e32 v2, v2, v32
	v_dual_add_f32 v1, v1, v4 :: v_dual_add_f32 v2, v2, v30
	s_delay_alu instid0(VALU_DEP_1)
	v_dual_sub_f32 v1, v36, v1 :: v_dual_sub_f32 v2, v37, v2
	scratch_store_b64 off, v[1:2], off offset:8
	v_cmpx_ne_u32_e32 0, v0
	s_cbranch_execz .LBB62_391
; %bb.390:
	scratch_load_b64 v[0:1], off, off
	v_mov_b32_e32 v34, v33
	scratch_store_b64 off, v[33:34], off
	s_wait_loadcnt 0x0
	ds_store_b64 v35, v[0:1]
.LBB62_391:
	s_wait_alu 0xfffe
	s_or_b32 exec_lo, exec_lo, s0
	s_wait_storecnt_dscnt 0x0
	s_barrier_signal -1
	s_barrier_wait -1
	global_inv scope:SCOPE_SE
	s_clause 0x6
	scratch_load_b128 v[0:3], off, off offset:8
	scratch_load_b128 v[4:7], off, off offset:24
	;; [unrolled: 1-line block ×7, first 2 shown]
	ds_load_2addr_b64 v[34:37], v33 offset0:65 offset1:66
	ds_load_2addr_b64 v[28:31], v33 offset0:67 offset1:68
	scratch_load_b64 v[38:39], off, off
	s_and_b32 vcc_lo, exec_lo, s18
	s_wait_loadcnt_dscnt 0x701
	v_mul_f32_e32 v32, v34, v1
	v_dual_mul_f32 v40, v36, v3 :: v_dual_mul_f32 v1, v35, v1
	s_delay_alu instid0(VALU_DEP_2) | instskip(SKIP_1) | instid1(VALU_DEP_2)
	v_dual_mul_f32 v3, v37, v3 :: v_dual_fmac_f32 v32, v35, v0
	s_wait_loadcnt_dscnt 0x600
	v_dual_fmac_f32 v40, v37, v2 :: v_dual_mul_f32 v37, v30, v7
	s_delay_alu instid0(VALU_DEP_2)
	v_fma_f32 v35, v36, v2, -v3
	v_mul_f32_e32 v36, v28, v5
	v_mul_f32_e32 v5, v29, v5
	;; [unrolled: 1-line block ×3, first 2 shown]
	v_fma_f32 v34, v34, v0, -v1
	ds_load_2addr_b64 v[0:3], v33 offset0:69 offset1:70
	v_dual_fmac_f32 v37, v31, v6 :: v_dual_fmac_f32 v36, v29, v4
	v_fma_f32 v28, v28, v4, -v5
	v_fma_f32 v29, v30, v6, -v7
	ds_load_2addr_b64 v[4:7], v33 offset0:71 offset1:72
	s_wait_loadcnt_dscnt 0x501
	v_dual_mul_f32 v30, v0, v9 :: v_dual_mul_f32 v31, v2, v11
	v_mul_f32_e32 v11, v3, v11
	s_wait_loadcnt_dscnt 0x400
	v_dual_mul_f32 v44, v6, v15 :: v_dual_mul_f32 v9, v1, v9
	s_delay_alu instid0(VALU_DEP_3) | instskip(NEXT) | instid1(VALU_DEP_3)
	v_dual_fmac_f32 v30, v1, v8 :: v_dual_fmac_f32 v31, v3, v10
	v_fma_f32 v42, v2, v10, -v11
	s_delay_alu instid0(VALU_DEP_3) | instskip(NEXT) | instid1(VALU_DEP_4)
	v_fmac_f32_e32 v44, v7, v14
	v_fma_f32 v41, v0, v8, -v9
	ds_load_2addr_b64 v[0:3], v33 offset0:73 offset1:74
	v_mul_f32_e32 v43, v4, v13
	v_dual_mul_f32 v8, v5, v13 :: v_dual_mul_f32 v9, v7, v15
	s_delay_alu instid0(VALU_DEP_2) | instskip(NEXT) | instid1(VALU_DEP_2)
	v_fmac_f32_e32 v43, v5, v12
	v_fma_f32 v12, v4, v12, -v8
	s_delay_alu instid0(VALU_DEP_3) | instskip(SKIP_4) | instid1(VALU_DEP_2)
	v_fma_f32 v13, v6, v14, -v9
	ds_load_2addr_b64 v[4:7], v33 offset0:75 offset1:76
	s_wait_loadcnt_dscnt 0x301
	v_dual_mul_f32 v14, v0, v17 :: v_dual_mul_f32 v15, v2, v19
	v_dual_mul_f32 v8, v1, v17 :: v_dual_mul_f32 v9, v3, v19
	v_dual_fmac_f32 v14, v1, v16 :: v_dual_fmac_f32 v15, v3, v18
	s_delay_alu instid0(VALU_DEP_2) | instskip(NEXT) | instid1(VALU_DEP_3)
	v_fma_f32 v16, v0, v16, -v8
	v_fma_f32 v17, v2, v18, -v9
	ds_load_2addr_b64 v[0:3], v33 offset0:77 offset1:78
	s_wait_loadcnt_dscnt 0x201
	v_dual_mul_f32 v18, v4, v21 :: v_dual_mul_f32 v19, v6, v23
	v_dual_mul_f32 v8, v5, v21 :: v_dual_mul_f32 v9, v7, v23
	s_delay_alu instid0(VALU_DEP_2) | instskip(NEXT) | instid1(VALU_DEP_2)
	v_dual_fmac_f32 v18, v5, v20 :: v_dual_fmac_f32 v19, v7, v22
	v_fma_f32 v20, v4, v20, -v8
	s_delay_alu instid0(VALU_DEP_3) | instskip(SKIP_4) | instid1(VALU_DEP_2)
	v_fma_f32 v21, v6, v22, -v9
	ds_load_2addr_b64 v[4:7], v33 offset0:79 offset1:80
	s_wait_loadcnt_dscnt 0x101
	v_dual_mul_f32 v22, v0, v25 :: v_dual_mul_f32 v23, v2, v27
	v_dual_mul_f32 v8, v1, v25 :: v_dual_mul_f32 v9, v3, v27
	v_dual_fmac_f32 v22, v1, v24 :: v_dual_fmac_f32 v23, v3, v26
	s_delay_alu instid0(VALU_DEP_2) | instskip(NEXT) | instid1(VALU_DEP_3)
	v_fma_f32 v24, v0, v24, -v8
	v_fma_f32 v25, v2, v26, -v9
	s_clause 0x1
	scratch_load_b128 v[0:3], off, off offset:120
	scratch_load_b128 v[8:11], off, off offset:136
	s_wait_loadcnt_dscnt 0x100
	v_mul_f32_e32 v26, v4, v1
	v_mul_f32_e32 v1, v5, v1
	s_delay_alu instid0(VALU_DEP_2) | instskip(NEXT) | instid1(VALU_DEP_2)
	v_dual_mul_f32 v171, v6, v3 :: v_dual_fmac_f32 v26, v5, v0
	v_fma_f32 v27, v4, v0, -v1
	v_mul_f32_e32 v0, v7, v3
	s_delay_alu instid0(VALU_DEP_3) | instskip(NEXT) | instid1(VALU_DEP_2)
	v_fmac_f32_e32 v171, v7, v2
	v_fma_f32 v172, v6, v2, -v0
	ds_load_2addr_b64 v[0:3], v33 offset0:81 offset1:82
	ds_load_2addr_b64 v[4:7], v33 offset0:83 offset1:84
	s_wait_loadcnt_dscnt 0x1
	v_mul_f32_e32 v173, v0, v9
	v_mul_f32_e32 v175, v2, v11
	s_delay_alu instid0(VALU_DEP_2) | instskip(SKIP_1) | instid1(VALU_DEP_3)
	v_fmac_f32_e32 v173, v1, v8
	v_mul_f32_e32 v1, v1, v9
	v_fmac_f32_e32 v175, v3, v10
	s_delay_alu instid0(VALU_DEP_2) | instskip(SKIP_1) | instid1(VALU_DEP_1)
	v_fma_f32 v174, v0, v8, -v1
	v_mul_f32_e32 v0, v3, v11
	v_fma_f32 v176, v2, v10, -v0
	s_clause 0x1
	scratch_load_b128 v[0:3], off, off offset:152
	scratch_load_b128 v[8:11], off, off offset:168
	s_wait_loadcnt_dscnt 0x100
	v_mul_f32_e32 v177, v4, v1
	v_mul_f32_e32 v1, v5, v1
	v_mul_f32_e32 v179, v6, v3
	s_delay_alu instid0(VALU_DEP_3) | instskip(NEXT) | instid1(VALU_DEP_3)
	v_fmac_f32_e32 v177, v5, v0
	v_fma_f32 v178, v4, v0, -v1
	v_mul_f32_e32 v0, v7, v3
	s_delay_alu instid0(VALU_DEP_4) | instskip(NEXT) | instid1(VALU_DEP_2)
	v_fmac_f32_e32 v179, v7, v2
	v_fma_f32 v180, v6, v2, -v0
	ds_load_2addr_b64 v[0:3], v33 offset0:85 offset1:86
	ds_load_2addr_b64 v[4:7], v33 offset0:87 offset1:88
	s_wait_loadcnt_dscnt 0x1
	v_mul_f32_e32 v181, v0, v9
	v_mul_f32_e32 v183, v2, v11
	s_delay_alu instid0(VALU_DEP_2) | instskip(SKIP_1) | instid1(VALU_DEP_3)
	v_fmac_f32_e32 v181, v1, v8
	v_mul_f32_e32 v1, v1, v9
	v_fmac_f32_e32 v183, v3, v10
	s_delay_alu instid0(VALU_DEP_2) | instskip(SKIP_1) | instid1(VALU_DEP_1)
	v_fma_f32 v182, v0, v8, -v1
	v_mul_f32_e32 v0, v3, v11
	v_fma_f32 v184, v2, v10, -v0
	s_clause 0x1
	scratch_load_b128 v[0:3], off, off offset:184
	scratch_load_b128 v[8:11], off, off offset:200
	s_wait_loadcnt_dscnt 0x100
	v_mul_f32_e32 v185, v4, v1
	v_mul_f32_e32 v1, v5, v1
	v_mul_f32_e32 v187, v6, v3
	s_delay_alu instid0(VALU_DEP_3) | instskip(NEXT) | instid1(VALU_DEP_3)
	v_fmac_f32_e32 v185, v5, v0
	v_fma_f32 v186, v4, v0, -v1
	v_mul_f32_e32 v0, v7, v3
	s_delay_alu instid0(VALU_DEP_4) | instskip(NEXT) | instid1(VALU_DEP_2)
	;; [unrolled: 27-line block ×6, first 2 shown]
	v_fmac_f32_e32 v219, v7, v2
	v_fma_f32 v220, v6, v2, -v0
	ds_load_2addr_b64 v[0:3], v33 offset0:105 offset1:106
	ds_load_2addr_b64 v[4:7], v33 offset0:107 offset1:108
	s_wait_loadcnt_dscnt 0x1
	v_mul_f32_e32 v221, v0, v9
	v_mul_f32_e32 v223, v2, v11
	s_delay_alu instid0(VALU_DEP_2) | instskip(SKIP_1) | instid1(VALU_DEP_3)
	v_fmac_f32_e32 v221, v1, v8
	v_mul_f32_e32 v1, v1, v9
	v_fmac_f32_e32 v223, v3, v10
	s_delay_alu instid0(VALU_DEP_2) | instskip(SKIP_1) | instid1(VALU_DEP_1)
	v_fma_f32 v222, v0, v8, -v1
	v_mul_f32_e32 v0, v3, v11
	v_fma_f32 v224, v2, v10, -v0
	s_clause 0x1
	scratch_load_b128 v[0:3], off, off offset:344
	scratch_load_b128 v[8:11], off, off offset:360
	s_wait_loadcnt_dscnt 0x100
	v_mul_f32_e32 v225, v4, v1
	v_mul_f32_e32 v1, v5, v1
	s_delay_alu instid0(VALU_DEP_2) | instskip(NEXT) | instid1(VALU_DEP_2)
	v_fmac_f32_e32 v225, v5, v0
	v_fma_f32 v226, v4, v0, -v1
	v_mul_f32_e32 v227, v6, v3
	v_mul_f32_e32 v0, v7, v3
	s_delay_alu instid0(VALU_DEP_2) | instskip(NEXT) | instid1(VALU_DEP_2)
	v_fmac_f32_e32 v227, v7, v2
	v_fma_f32 v228, v6, v2, -v0
	ds_load_2addr_b64 v[0:3], v33 offset0:109 offset1:110
	ds_load_2addr_b64 v[4:7], v33 offset0:111 offset1:112
	s_wait_loadcnt_dscnt 0x1
	v_mul_f32_e32 v229, v0, v9
	v_mul_f32_e32 v231, v2, v11
	s_delay_alu instid0(VALU_DEP_2) | instskip(SKIP_1) | instid1(VALU_DEP_3)
	v_fmac_f32_e32 v229, v1, v8
	v_mul_f32_e32 v1, v1, v9
	v_fmac_f32_e32 v231, v3, v10
	s_delay_alu instid0(VALU_DEP_2) | instskip(SKIP_1) | instid1(VALU_DEP_1)
	v_fma_f32 v230, v0, v8, -v1
	v_mul_f32_e32 v0, v3, v11
	v_fma_f32 v232, v2, v10, -v0
	s_clause 0x1
	scratch_load_b128 v[0:3], off, off offset:376
	scratch_load_b128 v[8:11], off, off offset:392
	s_wait_loadcnt_dscnt 0x100
	v_mul_f32_e32 v233, v4, v1
	v_mul_f32_e32 v1, v5, v1
	;; [unrolled: 1-line block ×3, first 2 shown]
	s_delay_alu instid0(VALU_DEP_3) | instskip(NEXT) | instid1(VALU_DEP_3)
	v_fmac_f32_e32 v233, v5, v0
	v_fma_f32 v234, v4, v0, -v1
	v_mul_f32_e32 v0, v7, v3
	s_delay_alu instid0(VALU_DEP_4) | instskip(NEXT) | instid1(VALU_DEP_2)
	v_fmac_f32_e32 v235, v7, v2
	v_fma_f32 v236, v6, v2, -v0
	ds_load_2addr_b64 v[0:3], v33 offset0:113 offset1:114
	ds_load_2addr_b64 v[4:7], v33 offset0:115 offset1:116
	s_wait_loadcnt_dscnt 0x1
	v_mul_f32_e32 v237, v0, v9
	v_mul_f32_e32 v239, v2, v11
	s_delay_alu instid0(VALU_DEP_2) | instskip(SKIP_1) | instid1(VALU_DEP_3)
	v_fmac_f32_e32 v237, v1, v8
	v_mul_f32_e32 v1, v1, v9
	v_fmac_f32_e32 v239, v3, v10
	s_delay_alu instid0(VALU_DEP_2) | instskip(SKIP_1) | instid1(VALU_DEP_1)
	v_fma_f32 v238, v0, v8, -v1
	v_mul_f32_e32 v0, v3, v11
	v_fma_f32 v240, v2, v10, -v0
	s_clause 0x1
	scratch_load_b128 v[0:3], off, off offset:408
	scratch_load_b128 v[8:11], off, off offset:424
	s_wait_loadcnt_dscnt 0x100
	v_mul_f32_e32 v241, v4, v1
	v_mul_f32_e32 v1, v5, v1
	;; [unrolled: 1-line block ×3, first 2 shown]
	s_delay_alu instid0(VALU_DEP_3) | instskip(NEXT) | instid1(VALU_DEP_3)
	v_fmac_f32_e32 v241, v5, v0
	v_fma_f32 v242, v4, v0, -v1
	v_dual_mul_f32 v0, v7, v3 :: v_dual_add_f32 v1, 0, v32
	s_delay_alu instid0(VALU_DEP_4) | instskip(NEXT) | instid1(VALU_DEP_2)
	v_fmac_f32_e32 v243, v7, v2
	v_fma_f32 v244, v6, v2, -v0
	s_delay_alu instid0(VALU_DEP_3) | instskip(NEXT) | instid1(VALU_DEP_1)
	v_dual_add_f32 v0, 0, v34 :: v_dual_add_f32 v1, v1, v40
	v_dual_add_f32 v0, v0, v35 :: v_dual_add_f32 v1, v1, v36
	s_delay_alu instid0(VALU_DEP_1) | instskip(NEXT) | instid1(VALU_DEP_1)
	v_dual_add_f32 v0, v0, v28 :: v_dual_add_f32 v1, v1, v37
	v_dual_add_f32 v0, v0, v29 :: v_dual_add_f32 v1, v1, v30
	s_delay_alu instid0(VALU_DEP_1) | instskip(NEXT) | instid1(VALU_DEP_1)
	;; [unrolled: 3-line block ×3, first 2 shown]
	v_add_f32_e32 v0, v0, v12
	v_dual_add_f32 v1, v1, v44 :: v_dual_add_f32 v0, v0, v13
	s_delay_alu instid0(VALU_DEP_1) | instskip(NEXT) | instid1(VALU_DEP_1)
	v_dual_add_f32 v1, v1, v14 :: v_dual_add_f32 v0, v0, v16
	v_dual_add_f32 v1, v1, v15 :: v_dual_add_f32 v0, v0, v17
	s_delay_alu instid0(VALU_DEP_1) | instskip(NEXT) | instid1(VALU_DEP_1)
	v_dual_add_f32 v1, v1, v18 :: v_dual_add_f32 v0, v0, v20
	v_dual_add_f32 v1, v1, v19 :: v_dual_add_f32 v0, v0, v21
	s_delay_alu instid0(VALU_DEP_1) | instskip(NEXT) | instid1(VALU_DEP_1)
	v_dual_add_f32 v1, v1, v22 :: v_dual_add_f32 v0, v0, v24
	v_dual_add_f32 v1, v1, v23 :: v_dual_add_f32 v0, v0, v25
	s_delay_alu instid0(VALU_DEP_1) | instskip(NEXT) | instid1(VALU_DEP_1)
	v_dual_add_f32 v1, v1, v26 :: v_dual_add_f32 v0, v0, v27
	v_dual_add_f32 v1, v1, v171 :: v_dual_add_f32 v0, v0, v172
	s_delay_alu instid0(VALU_DEP_1) | instskip(NEXT) | instid1(VALU_DEP_1)
	v_dual_add_f32 v1, v1, v173 :: v_dual_add_f32 v0, v0, v174
	v_dual_add_f32 v1, v1, v175 :: v_dual_add_f32 v0, v0, v176
	s_delay_alu instid0(VALU_DEP_1) | instskip(NEXT) | instid1(VALU_DEP_1)
	v_dual_add_f32 v1, v1, v177 :: v_dual_add_f32 v0, v0, v178
	v_dual_add_f32 v1, v1, v179 :: v_dual_add_f32 v0, v0, v180
	s_delay_alu instid0(VALU_DEP_1) | instskip(NEXT) | instid1(VALU_DEP_1)
	v_dual_add_f32 v1, v1, v181 :: v_dual_add_f32 v0, v0, v182
	v_dual_add_f32 v1, v1, v183 :: v_dual_add_f32 v0, v0, v184
	s_delay_alu instid0(VALU_DEP_1) | instskip(NEXT) | instid1(VALU_DEP_1)
	v_dual_add_f32 v1, v1, v185 :: v_dual_add_f32 v0, v0, v186
	v_dual_add_f32 v1, v1, v187 :: v_dual_add_f32 v0, v0, v188
	s_delay_alu instid0(VALU_DEP_1) | instskip(NEXT) | instid1(VALU_DEP_1)
	v_dual_add_f32 v1, v1, v189 :: v_dual_add_f32 v0, v0, v190
	v_dual_add_f32 v1, v1, v191 :: v_dual_add_f32 v0, v0, v192
	s_delay_alu instid0(VALU_DEP_1) | instskip(NEXT) | instid1(VALU_DEP_1)
	v_dual_add_f32 v1, v1, v193 :: v_dual_add_f32 v0, v0, v194
	v_dual_add_f32 v1, v1, v195 :: v_dual_add_f32 v0, v0, v196
	s_delay_alu instid0(VALU_DEP_1) | instskip(NEXT) | instid1(VALU_DEP_1)
	v_dual_add_f32 v1, v1, v197 :: v_dual_add_f32 v0, v0, v198
	v_dual_add_f32 v1, v1, v199 :: v_dual_add_f32 v0, v0, v200
	s_delay_alu instid0(VALU_DEP_1) | instskip(NEXT) | instid1(VALU_DEP_1)
	v_dual_add_f32 v1, v1, v201 :: v_dual_add_f32 v0, v0, v202
	v_dual_add_f32 v1, v1, v203 :: v_dual_add_f32 v0, v0, v204
	s_delay_alu instid0(VALU_DEP_1) | instskip(NEXT) | instid1(VALU_DEP_1)
	v_dual_add_f32 v1, v1, v205 :: v_dual_add_f32 v0, v0, v206
	v_dual_add_f32 v1, v1, v207 :: v_dual_add_f32 v0, v0, v208
	s_delay_alu instid0(VALU_DEP_1) | instskip(NEXT) | instid1(VALU_DEP_1)
	v_dual_add_f32 v1, v1, v209 :: v_dual_add_f32 v0, v0, v210
	v_dual_add_f32 v1, v1, v211 :: v_dual_add_f32 v0, v0, v212
	s_delay_alu instid0(VALU_DEP_1) | instskip(SKIP_2) | instid1(VALU_DEP_1)
	v_dual_add_f32 v5, v1, v213 :: v_dual_add_f32 v4, v0, v214
	ds_load_2addr_b64 v[0:3], v33 offset0:117 offset1:118
	v_dual_add_f32 v5, v5, v215 :: v_dual_add_f32 v4, v4, v216
	v_add_f32_e32 v12, v5, v217
	s_delay_alu instid0(VALU_DEP_2) | instskip(NEXT) | instid1(VALU_DEP_2)
	v_add_f32_e32 v4, v4, v218
	v_add_f32_e32 v12, v12, v219
	s_delay_alu instid0(VALU_DEP_2)
	v_add_f32_e32 v13, v4, v220
	ds_load_2addr_b64 v[4:7], v33 offset0:119 offset1:120
	v_dual_add_f32 v12, v12, v221 :: v_dual_add_f32 v13, v13, v222
	s_wait_loadcnt_dscnt 0x1
	v_mul_f32_e32 v32, v0, v9
	v_dual_mul_f32 v9, v1, v9 :: v_dual_mul_f32 v34, v2, v11
	v_mul_f32_e32 v11, v3, v11
	v_add_f32_e32 v13, v13, v224
	s_delay_alu instid0(VALU_DEP_4) | instskip(NEXT) | instid1(VALU_DEP_4)
	v_fmac_f32_e32 v32, v1, v8
	v_fma_f32 v35, v0, v8, -v9
	v_fmac_f32_e32 v34, v3, v10
	v_fma_f32 v36, v2, v10, -v11
	s_clause 0x1
	scratch_load_b128 v[0:3], off, off offset:440
	scratch_load_b128 v[8:11], off, off offset:456
	v_dual_add_f32 v13, v13, v226 :: v_dual_add_f32 v12, v12, v223
	s_delay_alu instid0(VALU_DEP_1) | instskip(NEXT) | instid1(VALU_DEP_2)
	v_add_f32_e32 v16, v13, v228
	v_add_f32_e32 v12, v12, v225
	s_delay_alu instid0(VALU_DEP_2) | instskip(NEXT) | instid1(VALU_DEP_1)
	v_add_f32_e32 v20, v16, v230
	v_add_f32_e32 v20, v20, v232
	s_delay_alu instid0(VALU_DEP_3) | instskip(SKIP_4) | instid1(VALU_DEP_1)
	v_add_f32_e32 v17, v12, v227
	scratch_load_b128 v[12:15], off, off offset:472
	v_dual_add_f32 v20, v20, v234 :: v_dual_add_f32 v21, v17, v229
	scratch_load_b128 v[16:19], off, off offset:488
	v_dual_add_f32 v20, v20, v236 :: v_dual_add_f32 v21, v21, v231
	v_add_f32_e32 v25, v20, v238
	s_delay_alu instid0(VALU_DEP_1) | instskip(NEXT) | instid1(VALU_DEP_1)
	v_add_f32_e32 v28, v25, v240
	v_dual_add_f32 v40, v28, v242 :: v_dual_add_f32 v21, v21, v233
	ds_load_2addr_b64 v[28:31], v33 offset0:125 offset1:126
	v_add_f32_e32 v40, v40, v244
	v_add_f32_e32 v24, v21, v235
	ds_load_2addr_b64 v[20:23], v33 offset0:121 offset1:122
	v_add_f32_e32 v35, v40, v35
	v_add_f32_e32 v24, v24, v237
	s_delay_alu instid0(VALU_DEP_1) | instskip(SKIP_2) | instid1(VALU_DEP_1)
	v_add_f32_e32 v37, v24, v239
	ds_load_2addr_b64 v[24:27], v33 offset0:123 offset1:124
	v_add_f32_e32 v33, v37, v241
	v_add_f32_e32 v33, v33, v243
	s_wait_loadcnt_dscnt 0x303
	s_delay_alu instid0(VALU_DEP_1)
	v_dual_add_f32 v32, v33, v32 :: v_dual_mul_f32 v37, v4, v1
	v_mul_f32_e32 v1, v5, v1
	v_mul_f32_e32 v41, v6, v3
	s_wait_loadcnt_dscnt 0x201
	v_dual_mul_f32 v3, v7, v3 :: v_dual_mul_f32 v40, v20, v9
	v_fmac_f32_e32 v37, v5, v0
	v_fma_f32 v0, v4, v0, -v1
	v_dual_add_f32 v4, v35, v36 :: v_dual_add_f32 v5, v32, v34
	v_fmac_f32_e32 v41, v7, v2
	v_fma_f32 v1, v6, v2, -v3
	s_delay_alu instid0(VALU_DEP_3) | instskip(NEXT) | instid1(VALU_DEP_4)
	v_dual_mul_f32 v7, v21, v9 :: v_dual_add_f32 v0, v4, v0
	v_dual_add_f32 v4, v5, v37 :: v_dual_mul_f32 v33, v22, v11
	v_dual_mul_f32 v5, v23, v11 :: v_dual_fmac_f32 v40, v21, v8
	s_delay_alu instid0(VALU_DEP_3) | instskip(NEXT) | instid1(VALU_DEP_4)
	v_fma_f32 v7, v20, v8, -v7
	v_add_f32_e32 v0, v0, v1
	s_delay_alu instid0(VALU_DEP_4)
	v_add_f32_e32 v1, v4, v41
	s_wait_loadcnt_dscnt 0x100
	v_mul_f32_e32 v2, v24, v13
	v_dual_mul_f32 v4, v25, v13 :: v_dual_fmac_f32 v33, v23, v10
	v_fma_f32 v5, v22, v10, -v5
	v_dual_add_f32 v0, v0, v7 :: v_dual_add_f32 v1, v1, v40
	v_mul_f32_e32 v3, v26, v15
	v_dual_mul_f32 v7, v27, v15 :: v_dual_fmac_f32 v2, v25, v12
	v_fma_f32 v4, v24, v12, -v4
	s_delay_alu instid0(VALU_DEP_4)
	v_add_f32_e32 v0, v0, v5
	v_add_f32_e32 v1, v1, v33
	s_wait_loadcnt 0x0
	v_mul_f32_e32 v6, v28, v17
	v_mul_f32_e32 v5, v29, v17
	v_fmac_f32_e32 v3, v27, v14
	v_fma_f32 v7, v26, v14, -v7
	v_dual_add_f32 v0, v0, v4 :: v_dual_add_f32 v1, v1, v2
	v_mul_f32_e32 v9, v30, v19
	v_mul_f32_e32 v2, v31, v19
	v_fmac_f32_e32 v6, v29, v16
	v_fma_f32 v4, v28, v16, -v5
	v_add_f32_e32 v0, v0, v7
	v_add_f32_e32 v1, v1, v3
	v_fmac_f32_e32 v9, v31, v18
	v_fma_f32 v2, v30, v18, -v2
	s_delay_alu instid0(VALU_DEP_3) | instskip(NEXT) | instid1(VALU_DEP_1)
	v_dual_add_f32 v0, v0, v4 :: v_dual_add_f32 v1, v1, v6
	v_dual_add_f32 v0, v0, v2 :: v_dual_add_f32 v1, v1, v9
	s_delay_alu instid0(VALU_DEP_1)
	v_dual_sub_f32 v0, v38, v0 :: v_dual_sub_f32 v1, v39, v1
	scratch_store_b64 off, v[0:1], off
	s_wait_alu 0xfffe
	s_cbranch_vccz .LBB62_516
; %bb.392:
	v_mov_b32_e32 v0, 0
	global_load_b32 v1, v0, s[2:3] offset:244
	s_wait_loadcnt 0x0
	v_cmp_ne_u32_e32 vcc_lo, 62, v1
	s_cbranch_vccz .LBB62_394
; %bb.393:
	v_lshlrev_b32_e32 v1, 3, v1
	s_delay_alu instid0(VALU_DEP_1)
	v_mov_b32_e32 v5, v1
	scratch_load_b64 v[1:2], v5, off offset:-8
	scratch_load_b64 v[3:4], off, off offset:488
	s_wait_loadcnt 0x1
	scratch_store_b64 off, v[1:2], off offset:488
	s_wait_loadcnt 0x0
	scratch_store_b64 v5, v[3:4], off offset:-8
.LBB62_394:
	global_load_b32 v0, v0, s[2:3] offset:240
	s_wait_loadcnt 0x0
	v_cmp_eq_u32_e32 vcc_lo, 61, v0
	s_cbranch_vccnz .LBB62_396
; %bb.395:
	v_lshlrev_b32_e32 v0, 3, v0
	s_delay_alu instid0(VALU_DEP_1)
	v_mov_b32_e32 v4, v0
	scratch_load_b64 v[0:1], v4, off offset:-8
	scratch_load_b64 v[2:3], off, off offset:480
	s_wait_loadcnt 0x1
	scratch_store_b64 off, v[0:1], off offset:480
	s_wait_loadcnt 0x0
	scratch_store_b64 v4, v[2:3], off offset:-8
.LBB62_396:
	v_mov_b32_e32 v0, 0
	global_load_b32 v1, v0, s[2:3] offset:236
	s_wait_loadcnt 0x0
	v_cmp_eq_u32_e32 vcc_lo, 60, v1
	s_cbranch_vccnz .LBB62_398
; %bb.397:
	v_lshlrev_b32_e32 v1, 3, v1
	s_delay_alu instid0(VALU_DEP_1)
	v_mov_b32_e32 v5, v1
	scratch_load_b64 v[1:2], v5, off offset:-8
	scratch_load_b64 v[3:4], off, off offset:472
	s_wait_loadcnt 0x1
	scratch_store_b64 off, v[1:2], off offset:472
	s_wait_loadcnt 0x0
	scratch_store_b64 v5, v[3:4], off offset:-8
.LBB62_398:
	global_load_b32 v0, v0, s[2:3] offset:232
	s_wait_loadcnt 0x0
	v_cmp_eq_u32_e32 vcc_lo, 59, v0
	s_cbranch_vccnz .LBB62_400
; %bb.399:
	v_lshlrev_b32_e32 v0, 3, v0
	s_delay_alu instid0(VALU_DEP_1)
	v_mov_b32_e32 v4, v0
	scratch_load_b64 v[0:1], v4, off offset:-8
	scratch_load_b64 v[2:3], off, off offset:464
	s_wait_loadcnt 0x1
	scratch_store_b64 off, v[0:1], off offset:464
	s_wait_loadcnt 0x0
	scratch_store_b64 v4, v[2:3], off offset:-8
.LBB62_400:
	v_mov_b32_e32 v0, 0
	global_load_b32 v1, v0, s[2:3] offset:228
	s_wait_loadcnt 0x0
	v_cmp_eq_u32_e32 vcc_lo, 58, v1
	s_cbranch_vccnz .LBB62_402
; %bb.401:
	v_lshlrev_b32_e32 v1, 3, v1
	s_delay_alu instid0(VALU_DEP_1)
	v_mov_b32_e32 v5, v1
	scratch_load_b64 v[1:2], v5, off offset:-8
	scratch_load_b64 v[3:4], off, off offset:456
	s_wait_loadcnt 0x1
	scratch_store_b64 off, v[1:2], off offset:456
	s_wait_loadcnt 0x0
	scratch_store_b64 v5, v[3:4], off offset:-8
.LBB62_402:
	;; [unrolled: 31-line block ×30, first 2 shown]
	global_load_b32 v0, v0, s[2:3]
	s_wait_loadcnt 0x0
	v_cmp_eq_u32_e32 vcc_lo, 1, v0
	s_cbranch_vccnz .LBB62_516
; %bb.515:
	v_lshlrev_b32_e32 v0, 3, v0
	s_delay_alu instid0(VALU_DEP_1)
	v_mov_b32_e32 v4, v0
	scratch_load_b64 v[0:1], v4, off offset:-8
	scratch_load_b64 v[2:3], off, off
	s_wait_loadcnt 0x1
	scratch_store_b64 off, v[0:1], off
	s_wait_loadcnt 0x0
	scratch_store_b64 v4, v[2:3], off offset:-8
.LBB62_516:
	s_clause 0x1f
	scratch_load_b128 v[0:3], off, off
	scratch_load_b128 v[4:7], off, off offset:16
	scratch_load_b128 v[8:11], off, off offset:32
	;; [unrolled: 1-line block ×30, first 2 shown]
	scratch_load_b64 v[251:252], off, off offset:496
	s_wait_loadcnt 0x1f
	s_clause 0x1
	global_store_b64 v[45:46], v[0:1], off
	global_store_b64 v[47:48], v[2:3], off
	s_wait_loadcnt 0x1e
	s_clause 0x1
	global_store_b64 v[49:50], v[4:5], off
	global_store_b64 v[51:52], v[6:7], off
	;; [unrolled: 4-line block ×31, first 2 shown]
	s_wait_loadcnt 0x0
	global_store_b64 v[169:170], v[251:252], off
	s_nop 0
	s_sendmsg sendmsg(MSG_DEALLOC_VGPRS)
	s_endpgm
	.section	.rodata,"a",@progbits
	.p2align	6, 0x0
	.amdhsa_kernel _ZN9rocsolver6v33100L18getri_kernel_smallILi63E19rocblas_complex_numIfEPS3_EEvT1_iilPiilS6_bb
		.amdhsa_group_segment_fixed_size 1016
		.amdhsa_private_segment_fixed_size 512
		.amdhsa_kernarg_size 60
		.amdhsa_user_sgpr_count 2
		.amdhsa_user_sgpr_dispatch_ptr 0
		.amdhsa_user_sgpr_queue_ptr 0
		.amdhsa_user_sgpr_kernarg_segment_ptr 1
		.amdhsa_user_sgpr_dispatch_id 0
		.amdhsa_user_sgpr_private_segment_size 0
		.amdhsa_wavefront_size32 1
		.amdhsa_uses_dynamic_stack 0
		.amdhsa_enable_private_segment 1
		.amdhsa_system_sgpr_workgroup_id_x 1
		.amdhsa_system_sgpr_workgroup_id_y 0
		.amdhsa_system_sgpr_workgroup_id_z 0
		.amdhsa_system_sgpr_workgroup_info 0
		.amdhsa_system_vgpr_workitem_id 0
		.amdhsa_next_free_vgpr 253
		.amdhsa_next_free_sgpr 19
		.amdhsa_reserve_vcc 1
		.amdhsa_float_round_mode_32 0
		.amdhsa_float_round_mode_16_64 0
		.amdhsa_float_denorm_mode_32 3
		.amdhsa_float_denorm_mode_16_64 3
		.amdhsa_fp16_overflow 0
		.amdhsa_workgroup_processor_mode 1
		.amdhsa_memory_ordered 1
		.amdhsa_forward_progress 1
		.amdhsa_inst_pref_size 255
		.amdhsa_round_robin_scheduling 0
		.amdhsa_exception_fp_ieee_invalid_op 0
		.amdhsa_exception_fp_denorm_src 0
		.amdhsa_exception_fp_ieee_div_zero 0
		.amdhsa_exception_fp_ieee_overflow 0
		.amdhsa_exception_fp_ieee_underflow 0
		.amdhsa_exception_fp_ieee_inexact 0
		.amdhsa_exception_int_div_zero 0
	.end_amdhsa_kernel
	.section	.text._ZN9rocsolver6v33100L18getri_kernel_smallILi63E19rocblas_complex_numIfEPS3_EEvT1_iilPiilS6_bb,"axG",@progbits,_ZN9rocsolver6v33100L18getri_kernel_smallILi63E19rocblas_complex_numIfEPS3_EEvT1_iilPiilS6_bb,comdat
.Lfunc_end62:
	.size	_ZN9rocsolver6v33100L18getri_kernel_smallILi63E19rocblas_complex_numIfEPS3_EEvT1_iilPiilS6_bb, .Lfunc_end62-_ZN9rocsolver6v33100L18getri_kernel_smallILi63E19rocblas_complex_numIfEPS3_EEvT1_iilPiilS6_bb
                                        ; -- End function
	.set _ZN9rocsolver6v33100L18getri_kernel_smallILi63E19rocblas_complex_numIfEPS3_EEvT1_iilPiilS6_bb.num_vgpr, 253
	.set _ZN9rocsolver6v33100L18getri_kernel_smallILi63E19rocblas_complex_numIfEPS3_EEvT1_iilPiilS6_bb.num_agpr, 0
	.set _ZN9rocsolver6v33100L18getri_kernel_smallILi63E19rocblas_complex_numIfEPS3_EEvT1_iilPiilS6_bb.numbered_sgpr, 19
	.set _ZN9rocsolver6v33100L18getri_kernel_smallILi63E19rocblas_complex_numIfEPS3_EEvT1_iilPiilS6_bb.num_named_barrier, 0
	.set _ZN9rocsolver6v33100L18getri_kernel_smallILi63E19rocblas_complex_numIfEPS3_EEvT1_iilPiilS6_bb.private_seg_size, 512
	.set _ZN9rocsolver6v33100L18getri_kernel_smallILi63E19rocblas_complex_numIfEPS3_EEvT1_iilPiilS6_bb.uses_vcc, 1
	.set _ZN9rocsolver6v33100L18getri_kernel_smallILi63E19rocblas_complex_numIfEPS3_EEvT1_iilPiilS6_bb.uses_flat_scratch, 1
	.set _ZN9rocsolver6v33100L18getri_kernel_smallILi63E19rocblas_complex_numIfEPS3_EEvT1_iilPiilS6_bb.has_dyn_sized_stack, 0
	.set _ZN9rocsolver6v33100L18getri_kernel_smallILi63E19rocblas_complex_numIfEPS3_EEvT1_iilPiilS6_bb.has_recursion, 0
	.set _ZN9rocsolver6v33100L18getri_kernel_smallILi63E19rocblas_complex_numIfEPS3_EEvT1_iilPiilS6_bb.has_indirect_call, 0
	.section	.AMDGPU.csdata,"",@progbits
; Kernel info:
; codeLenInByte = 127032
; TotalNumSgprs: 21
; NumVgprs: 253
; ScratchSize: 512
; MemoryBound: 0
; FloatMode: 240
; IeeeMode: 1
; LDSByteSize: 1016 bytes/workgroup (compile time only)
; SGPRBlocks: 0
; VGPRBlocks: 31
; NumSGPRsForWavesPerEU: 21
; NumVGPRsForWavesPerEU: 253
; Occupancy: 5
; WaveLimiterHint : 1
; COMPUTE_PGM_RSRC2:SCRATCH_EN: 1
; COMPUTE_PGM_RSRC2:USER_SGPR: 2
; COMPUTE_PGM_RSRC2:TRAP_HANDLER: 0
; COMPUTE_PGM_RSRC2:TGID_X_EN: 1
; COMPUTE_PGM_RSRC2:TGID_Y_EN: 0
; COMPUTE_PGM_RSRC2:TGID_Z_EN: 0
; COMPUTE_PGM_RSRC2:TIDIG_COMP_CNT: 0
	.section	.text._ZN9rocsolver6v33100L18getri_kernel_smallILi64E19rocblas_complex_numIfEPS3_EEvT1_iilPiilS6_bb,"axG",@progbits,_ZN9rocsolver6v33100L18getri_kernel_smallILi64E19rocblas_complex_numIfEPS3_EEvT1_iilPiilS6_bb,comdat
	.globl	_ZN9rocsolver6v33100L18getri_kernel_smallILi64E19rocblas_complex_numIfEPS3_EEvT1_iilPiilS6_bb ; -- Begin function _ZN9rocsolver6v33100L18getri_kernel_smallILi64E19rocblas_complex_numIfEPS3_EEvT1_iilPiilS6_bb
	.p2align	8
	.type	_ZN9rocsolver6v33100L18getri_kernel_smallILi64E19rocblas_complex_numIfEPS3_EEvT1_iilPiilS6_bb,@function
_ZN9rocsolver6v33100L18getri_kernel_smallILi64E19rocblas_complex_numIfEPS3_EEvT1_iilPiilS6_bb: ; @_ZN9rocsolver6v33100L18getri_kernel_smallILi64E19rocblas_complex_numIfEPS3_EEvT1_iilPiilS6_bb
; %bb.0:
	s_mov_b32 s2, exec_lo
	v_cmpx_gt_u32_e32 64, v0
	s_cbranch_execz .LBB63_270
; %bb.1:
	s_clause 0x2
	s_load_b32 s2, s[0:1], 0x38
	s_load_b128 s[12:15], s[0:1], 0x10
	s_load_b128 s[4:7], s[0:1], 0x28
	s_mov_b32 s16, ttmp9
	s_wait_kmcnt 0x0
	s_bitcmp1_b32 s2, 8
	s_cselect_b32 s18, -1, 0
	s_bfe_u32 s2, s2, 0x10008
	s_ashr_i32 s17, ttmp9, 31
	s_cmp_eq_u32 s2, 0
                                        ; implicit-def: $sgpr2_sgpr3
	s_cbranch_scc1 .LBB63_3
; %bb.2:
	s_load_b32 s2, s[0:1], 0x20
	s_mul_u64 s[4:5], s[4:5], s[16:17]
	s_delay_alu instid0(SALU_CYCLE_1) | instskip(NEXT) | instid1(SALU_CYCLE_1)
	s_lshl_b64 s[4:5], s[4:5], 2
	s_add_nc_u64 s[4:5], s[14:15], s[4:5]
	s_wait_kmcnt 0x0
	s_ashr_i32 s3, s2, 31
	s_delay_alu instid0(SALU_CYCLE_1) | instskip(NEXT) | instid1(SALU_CYCLE_1)
	s_lshl_b64 s[2:3], s[2:3], 2
	s_add_nc_u64 s[2:3], s[4:5], s[2:3]
.LBB63_3:
	s_clause 0x1
	s_load_b128 s[8:11], s[0:1], 0x0
	s_load_b32 s4, s[0:1], 0x38
	s_mul_u64 s[0:1], s[12:13], s[16:17]
	v_lshlrev_b32_e32 v197, 3, v0
	s_lshl_b64 s[0:1], s[0:1], 3
	s_wait_kmcnt 0x0
	v_add3_u32 v1, s11, s11, v0
	s_ashr_i32 s13, s10, 31
	s_mov_b32 s12, s10
	s_add_nc_u64 s[0:1], s[8:9], s[0:1]
	s_lshl_b64 s[12:13], s[12:13], 3
	v_add_nc_u32_e32 v3, s11, v1
	v_ashrrev_i32_e32 v2, 31, v1
	s_add_nc_u64 s[0:1], s[0:1], s[12:13]
	s_ashr_i32 s9, s11, 31
	v_add_co_u32 v69, s5, s0, v197
	v_ashrrev_i32_e32 v4, 31, v3
	s_mov_b32 s8, s11
	v_lshlrev_b64_e32 v[1:2], 3, v[1:2]
	v_add_co_ci_u32_e64 v70, null, s1, 0, s5
	s_lshl_b64 s[8:9], s[8:9], 3
	v_add_nc_u32_e32 v7, s11, v3
	v_lshlrev_b64_e32 v[3:4], 3, v[3:4]
	v_add_co_u32 v71, vcc_lo, v69, s8
	s_delay_alu instid0(VALU_DEP_1)
	v_add_co_ci_u32_e64 v72, null, s9, v70, vcc_lo
	v_add_co_u32 v73, vcc_lo, s0, v1
	v_ashrrev_i32_e32 v8, 31, v7
	s_wait_alu 0xfffd
	v_add_co_ci_u32_e64 v74, null, s1, v2, vcc_lo
	v_add_co_u32 v75, vcc_lo, s0, v3
	s_wait_alu 0xfffd
	v_add_co_ci_u32_e64 v76, null, s1, v4, vcc_lo
	global_load_b64 v[5:6], v197, s[0:1]
	v_add_nc_u32_e32 v13, s11, v7
	v_lshlrev_b64_e32 v[3:4], 3, v[7:8]
	s_clause 0x2
	global_load_b64 v[7:8], v[71:72], off
	global_load_b64 v[9:10], v[73:74], off
	global_load_b64 v[11:12], v[75:76], off
	s_bitcmp0_b32 s4, 0
	v_add_nc_u32_e32 v1, s11, v13
	v_ashrrev_i32_e32 v14, 31, v13
	v_add_co_u32 v77, vcc_lo, s0, v3
	s_wait_alu 0xfffd
	v_add_co_ci_u32_e64 v78, null, s1, v4, vcc_lo
	v_add_nc_u32_e32 v15, s11, v1
	v_lshlrev_b64_e32 v[13:14], 3, v[13:14]
	v_ashrrev_i32_e32 v2, 31, v1
	s_delay_alu instid0(VALU_DEP_3) | instskip(SKIP_1) | instid1(VALU_DEP_3)
	v_ashrrev_i32_e32 v16, 31, v15
	v_add_nc_u32_e32 v17, s11, v15
	v_lshlrev_b64_e32 v[3:4], 3, v[1:2]
	v_add_co_u32 v79, vcc_lo, s0, v13
	s_wait_alu 0xfffd
	v_add_co_ci_u32_e64 v80, null, s1, v14, vcc_lo
	v_lshlrev_b64_e32 v[13:14], 3, v[15:16]
	v_ashrrev_i32_e32 v18, 31, v17
	v_add_nc_u32_e32 v15, s11, v17
	v_add_co_u32 v81, vcc_lo, s0, v3
	s_wait_alu 0xfffd
	v_add_co_ci_u32_e64 v82, null, s1, v4, vcc_lo
	v_lshlrev_b64_e32 v[3:4], 3, v[17:18]
	v_add_nc_u32_e32 v17, s11, v15
	v_ashrrev_i32_e32 v16, 31, v15
	v_add_co_u32 v83, vcc_lo, s0, v13
	s_wait_alu 0xfffd
	v_add_co_ci_u32_e64 v84, null, s1, v14, vcc_lo
	v_add_nc_u32_e32 v19, s11, v17
	v_ashrrev_i32_e32 v18, 31, v17
	v_lshlrev_b64_e32 v[13:14], 3, v[15:16]
	v_add_co_u32 v85, vcc_lo, s0, v3
	s_delay_alu instid0(VALU_DEP_4) | instskip(NEXT) | instid1(VALU_DEP_4)
	v_add_nc_u32_e32 v23, s11, v19
	v_lshlrev_b64_e32 v[21:22], 3, v[17:18]
	s_wait_alu 0xfffd
	v_add_co_ci_u32_e64 v86, null, s1, v4, vcc_lo
	v_add_co_u32 v87, vcc_lo, s0, v13
	v_ashrrev_i32_e32 v24, 31, v23
	v_add_nc_u32_e32 v25, s11, v23
	v_ashrrev_i32_e32 v20, 31, v19
	s_wait_alu 0xfffd
	v_add_co_ci_u32_e64 v88, null, s1, v14, vcc_lo
	v_add_co_u32 v89, vcc_lo, s0, v21
	s_wait_alu 0xfffd
	v_add_co_ci_u32_e64 v90, null, s1, v22, vcc_lo
	v_lshlrev_b64_e32 v[21:22], 3, v[23:24]
	v_add_nc_u32_e32 v23, s11, v25
	v_lshlrev_b64_e32 v[19:20], 3, v[19:20]
	v_ashrrev_i32_e32 v26, 31, v25
	s_clause 0x4
	global_load_b64 v[1:2], v[77:78], off
	global_load_b64 v[3:4], v[79:80], off
	;; [unrolled: 1-line block ×5, first 2 shown]
	v_add_nc_u32_e32 v27, s11, v23
	v_ashrrev_i32_e32 v24, 31, v23
	v_add_co_u32 v91, vcc_lo, s0, v19
	s_wait_alu 0xfffd
	v_add_co_ci_u32_e64 v92, null, s1, v20, vcc_lo
	v_lshlrev_b64_e32 v[19:20], 3, v[25:26]
	v_add_nc_u32_e32 v31, s11, v27
	v_lshlrev_b64_e32 v[29:30], 3, v[23:24]
	v_add_co_u32 v93, vcc_lo, s0, v21
	s_wait_alu 0xfffd
	v_add_co_ci_u32_e64 v94, null, s1, v22, vcc_lo
	v_ashrrev_i32_e32 v32, 31, v31
	v_add_nc_u32_e32 v33, s11, v31
	v_add_co_u32 v95, vcc_lo, s0, v19
	v_ashrrev_i32_e32 v28, 31, v27
	s_wait_alu 0xfffd
	v_add_co_ci_u32_e64 v96, null, s1, v20, vcc_lo
	v_add_co_u32 v97, vcc_lo, s0, v29
	s_wait_alu 0xfffd
	v_add_co_ci_u32_e64 v98, null, s1, v30, vcc_lo
	v_lshlrev_b64_e32 v[29:30], 3, v[31:32]
	v_add_nc_u32_e32 v31, s11, v33
	v_lshlrev_b64_e32 v[27:28], 3, v[27:28]
	v_ashrrev_i32_e32 v34, 31, v33
	s_clause 0x3
	global_load_b64 v[19:20], v[87:88], off
	global_load_b64 v[21:22], v[89:90], off
	global_load_b64 v[23:24], v[91:92], off
	global_load_b64 v[25:26], v[93:94], off
	v_add_nc_u32_e32 v35, s11, v31
	v_ashrrev_i32_e32 v32, 31, v31
	v_add_co_u32 v99, vcc_lo, s0, v27
	s_wait_alu 0xfffd
	v_add_co_ci_u32_e64 v100, null, s1, v28, vcc_lo
	v_lshlrev_b64_e32 v[27:28], 3, v[33:34]
	v_add_nc_u32_e32 v39, s11, v35
	v_lshlrev_b64_e32 v[37:38], 3, v[31:32]
	v_add_co_u32 v101, vcc_lo, s0, v29
	s_wait_alu 0xfffd
	v_add_co_ci_u32_e64 v102, null, s1, v30, vcc_lo
	v_ashrrev_i32_e32 v40, 31, v39
	v_add_nc_u32_e32 v41, s11, v39
	v_add_co_u32 v103, vcc_lo, s0, v27
	v_ashrrev_i32_e32 v36, 31, v35
	s_wait_alu 0xfffd
	v_add_co_ci_u32_e64 v104, null, s1, v28, vcc_lo
	v_add_co_u32 v105, vcc_lo, s0, v37
	s_wait_alu 0xfffd
	v_add_co_ci_u32_e64 v106, null, s1, v38, vcc_lo
	v_lshlrev_b64_e32 v[37:38], 3, v[39:40]
	v_add_nc_u32_e32 v39, s11, v41
	v_lshlrev_b64_e32 v[35:36], 3, v[35:36]
	v_ashrrev_i32_e32 v42, 31, v41
	s_clause 0x3
	global_load_b64 v[27:28], v[95:96], off
	global_load_b64 v[29:30], v[97:98], off
	global_load_b64 v[31:32], v[99:100], off
	global_load_b64 v[33:34], v[101:102], off
	;; [unrolled: 29-line block ×4, first 2 shown]
	v_add_nc_u32_e32 v59, s11, v55
	v_ashrrev_i32_e32 v56, 31, v55
	v_add_co_u32 v123, vcc_lo, s0, v51
	s_wait_alu 0xfffd
	v_add_co_ci_u32_e64 v124, null, s1, v52, vcc_lo
	v_lshlrev_b64_e32 v[51:52], 3, v[57:58]
	v_add_nc_u32_e32 v63, s11, v59
	v_lshlrev_b64_e32 v[61:62], 3, v[55:56]
	v_add_co_u32 v125, vcc_lo, s0, v53
	s_wait_alu 0xfffd
	v_add_co_ci_u32_e64 v126, null, s1, v54, vcc_lo
	v_ashrrev_i32_e32 v64, 31, v63
	v_add_nc_u32_e32 v65, s11, v63
	v_add_co_u32 v127, vcc_lo, s0, v51
	s_wait_alu 0xfffd
	v_add_co_ci_u32_e64 v128, null, s1, v52, vcc_lo
	v_add_co_u32 v129, vcc_lo, s0, v61
	s_wait_alu 0xfffd
	v_add_co_ci_u32_e64 v130, null, s1, v62, vcc_lo
	v_lshlrev_b64_e32 v[61:62], 3, v[63:64]
	v_add_nc_u32_e32 v63, s11, v65
	v_ashrrev_i32_e32 v60, 31, v59
	v_ashrrev_i32_e32 v66, 31, v65
	s_clause 0x3
	global_load_b64 v[51:52], v[119:120], off
	global_load_b64 v[53:54], v[121:122], off
	;; [unrolled: 1-line block ×4, first 2 shown]
	v_add_nc_u32_e32 v67, s11, v63
	v_lshlrev_b64_e32 v[59:60], 3, v[59:60]
	v_ashrrev_i32_e32 v64, 31, v63
	s_delay_alu instid0(VALU_DEP_3) | instskip(SKIP_1) | instid1(VALU_DEP_4)
	v_add_nc_u32_e32 v139, s11, v67
	v_ashrrev_i32_e32 v68, 31, v67
	v_add_co_u32 v131, vcc_lo, s0, v59
	s_wait_alu 0xfffd
	v_add_co_ci_u32_e64 v132, null, s1, v60, vcc_lo
	v_add_nc_u32_e32 v141, s11, v139
	v_lshlrev_b64_e32 v[59:60], 3, v[65:66]
	v_ashrrev_i32_e32 v140, 31, v139
	v_lshlrev_b64_e32 v[137:138], 3, v[63:64]
	v_add_co_u32 v133, vcc_lo, s0, v61
	v_add_nc_u32_e32 v145, s11, v141
	v_ashrrev_i32_e32 v142, 31, v141
	v_lshlrev_b64_e32 v[67:68], 3, v[67:68]
	s_wait_alu 0xfffd
	v_add_co_ci_u32_e64 v134, null, s1, v62, vcc_lo
	v_add_co_u32 v135, vcc_lo, s0, v59
	v_lshlrev_b64_e32 v[143:144], 3, v[139:140]
	v_add_nc_u32_e32 v149, s11, v145
	s_wait_alu 0xfffd
	v_add_co_ci_u32_e64 v136, null, s1, v60, vcc_lo
	v_add_co_u32 v137, vcc_lo, s0, v137
	v_lshlrev_b64_e32 v[147:148], 3, v[141:142]
	s_wait_alu 0xfffd
	v_add_co_ci_u32_e64 v138, null, s1, v138, vcc_lo
	v_add_co_u32 v139, vcc_lo, s0, v67
	v_add_nc_u32_e32 v151, s11, v149
	v_ashrrev_i32_e32 v150, 31, v149
	s_wait_alu 0xfffd
	v_add_co_ci_u32_e64 v140, null, s1, v68, vcc_lo
	v_add_co_u32 v141, vcc_lo, s0, v143
	s_wait_alu 0xfffd
	v_add_co_ci_u32_e64 v142, null, s1, v144, vcc_lo
	v_add_co_u32 v143, vcc_lo, s0, v147
	s_wait_alu 0xfffd
	v_add_co_ci_u32_e64 v144, null, s1, v148, vcc_lo
	v_lshlrev_b64_e32 v[147:148], 3, v[149:150]
	v_add_nc_u32_e32 v149, s11, v151
	v_ashrrev_i32_e32 v146, 31, v145
	v_ashrrev_i32_e32 v152, 31, v151
	s_clause 0x7
	global_load_b64 v[59:60], v[127:128], off
	global_load_b64 v[61:62], v[129:130], off
	global_load_b64 v[63:64], v[131:132], off
	global_load_b64 v[65:66], v[133:134], off
	global_load_b64 v[67:68], v[135:136], off
	global_load_b64 v[198:199], v[137:138], off
	global_load_b64 v[200:201], v[139:140], off
	global_load_b64 v[202:203], v[141:142], off
	v_add_nc_u32_e32 v153, s11, v149
	v_lshlrev_b64_e32 v[145:146], 3, v[145:146]
	v_ashrrev_i32_e32 v150, 31, v149
	v_lshlrev_b64_e32 v[151:152], 3, v[151:152]
	s_delay_alu instid0(VALU_DEP_4) | instskip(SKIP_3) | instid1(VALU_DEP_4)
	v_add_nc_u32_e32 v157, s11, v153
	v_ashrrev_i32_e32 v154, 31, v153
	v_add_co_u32 v145, vcc_lo, s0, v145
	v_lshlrev_b64_e32 v[155:156], 3, v[149:150]
	v_add_nc_u32_e32 v159, s11, v157
	s_wait_alu 0xfffd
	v_add_co_ci_u32_e64 v146, null, s1, v146, vcc_lo
	v_add_co_u32 v147, vcc_lo, s0, v147
	v_ashrrev_i32_e32 v158, 31, v157
	v_ashrrev_i32_e32 v160, 31, v159
	v_add_nc_u32_e32 v161, s11, v159
	s_wait_alu 0xfffd
	v_add_co_ci_u32_e64 v148, null, s1, v148, vcc_lo
	v_add_co_u32 v149, vcc_lo, s0, v151
	s_wait_alu 0xfffd
	v_add_co_ci_u32_e64 v150, null, s1, v152, vcc_lo
	v_add_co_u32 v151, vcc_lo, s0, v155
	s_wait_alu 0xfffd
	v_add_co_ci_u32_e64 v152, null, s1, v156, vcc_lo
	v_lshlrev_b64_e32 v[155:156], 3, v[157:158]
	v_lshlrev_b64_e32 v[157:158], 3, v[159:160]
	v_ashrrev_i32_e32 v162, 31, v161
	v_add_nc_u32_e32 v159, s11, v161
	v_lshlrev_b64_e32 v[153:154], 3, v[153:154]
	s_clause 0x3
	global_load_b64 v[204:205], v[143:144], off
	global_load_b64 v[206:207], v[145:146], off
	;; [unrolled: 1-line block ×4, first 2 shown]
	s_wait_loadcnt 0x27
	scratch_store_b128 off, v[5:8], off
	s_wait_loadcnt 0x25
	scratch_store_b128 off, v[9:12], off offset:16
	v_lshlrev_b64_e32 v[11:12], 3, v[161:162]
	v_add_nc_u32_e32 v161, s11, v159
	v_add_co_u32 v153, vcc_lo, s0, v153
	v_ashrrev_i32_e32 v160, 31, v159
	s_wait_alu 0xfffd
	v_add_co_ci_u32_e64 v154, null, s1, v154, vcc_lo
	v_add_nc_u32_e32 v165, s11, v161
	v_add_co_u32 v155, vcc_lo, s0, v155
	v_ashrrev_i32_e32 v162, 31, v161
	s_wait_alu 0xfffd
	v_add_co_ci_u32_e64 v156, null, s1, v156, vcc_lo
	v_add_co_u32 v157, vcc_lo, s0, v157
	v_ashrrev_i32_e32 v166, 31, v165
	s_wait_alu 0xfffd
	v_add_co_ci_u32_e64 v158, null, s1, v158, vcc_lo
	v_lshlrev_b64_e32 v[163:164], 3, v[159:160]
	v_add_co_u32 v159, vcc_lo, s0, v11
	s_wait_alu 0xfffd
	v_add_co_ci_u32_e64 v160, null, s1, v12, vcc_lo
	v_lshlrev_b64_e32 v[11:12], 3, v[161:162]
	v_add_nc_u32_e32 v168, s11, v165
	v_lshlrev_b64_e32 v[166:167], 3, v[165:166]
	v_add_co_u32 v161, vcc_lo, s0, v163
	s_wait_alu 0xfffd
	v_add_co_ci_u32_e64 v162, null, s1, v164, vcc_lo
	v_ashrrev_i32_e32 v169, 31, v168
	v_add_nc_u32_e32 v170, s11, v168
	v_add_co_u32 v163, vcc_lo, s0, v11
	s_wait_alu 0xfffd
	v_add_co_ci_u32_e64 v164, null, s1, v12, vcc_lo
	v_add_co_u32 v165, vcc_lo, s0, v166
	s_wait_alu 0xfffd
	v_add_co_ci_u32_e64 v166, null, s1, v167, vcc_lo
	v_lshlrev_b64_e32 v[167:168], 3, v[168:169]
	v_add_nc_u32_e32 v169, s11, v170
	v_ashrrev_i32_e32 v171, 31, v170
	s_clause 0x7
	global_load_b64 v[212:213], v[151:152], off
	global_load_b64 v[5:6], v[153:154], off
	;; [unrolled: 1-line block ×8, first 2 shown]
	v_add_nc_u32_e32 v173, s11, v169
	v_lshlrev_b64_e32 v[171:172], 3, v[170:171]
	v_ashrrev_i32_e32 v170, 31, v169
	v_add_co_u32 v167, vcc_lo, s0, v167
	s_delay_alu instid0(VALU_DEP_4) | instskip(SKIP_1) | instid1(VALU_DEP_4)
	v_ashrrev_i32_e32 v174, 31, v173
	v_add_nc_u32_e32 v179, s11, v173
	v_lshlrev_b64_e32 v[175:176], 3, v[169:170]
	s_wait_alu 0xfffd
	v_add_co_ci_u32_e64 v168, null, s1, v168, vcc_lo
	v_lshlrev_b64_e32 v[177:178], 3, v[173:174]
	v_add_co_u32 v169, vcc_lo, s0, v171
	s_wait_alu 0xfffd
	v_add_co_ci_u32_e64 v170, null, s1, v172, vcc_lo
	v_add_co_u32 v171, vcc_lo, s0, v175
	v_ashrrev_i32_e32 v180, 31, v179
	v_add_nc_u32_e32 v175, s11, v179
	s_wait_alu 0xfffd
	v_add_co_ci_u32_e64 v172, null, s1, v176, vcc_lo
	v_add_co_u32 v173, vcc_lo, s0, v177
	s_wait_alu 0xfffd
	v_add_co_ci_u32_e64 v174, null, s1, v178, vcc_lo
	v_lshlrev_b64_e32 v[177:178], 3, v[179:180]
	v_add_nc_u32_e32 v179, s11, v175
	v_ashrrev_i32_e32 v176, 31, v175
	s_clause 0x3
	global_load_b64 v[220:221], v[167:168], off
	global_load_b64 v[222:223], v[169:170], off
	;; [unrolled: 1-line block ×4, first 2 shown]
	v_add_nc_u32_e32 v183, s11, v179
	v_lshlrev_b64_e32 v[181:182], 3, v[175:176]
	v_add_co_u32 v175, vcc_lo, s0, v177
	s_wait_alu 0xfffd
	v_add_co_ci_u32_e64 v176, null, s1, v178, vcc_lo
	v_ashrrev_i32_e32 v184, 31, v183
	s_delay_alu instid0(VALU_DEP_4) | instskip(SKIP_2) | instid1(VALU_DEP_3)
	v_add_co_u32 v177, vcc_lo, s0, v181
	s_wait_alu 0xfffd
	v_add_co_ci_u32_e64 v178, null, s1, v182, vcc_lo
	v_lshlrev_b64_e32 v[181:182], 3, v[183:184]
	v_add_nc_u32_e32 v183, s11, v183
	v_ashrrev_i32_e32 v180, 31, v179
	s_delay_alu instid0(VALU_DEP_2) | instskip(SKIP_1) | instid1(VALU_DEP_3)
	v_add_nc_u32_e32 v185, s11, v183
	v_ashrrev_i32_e32 v184, 31, v183
	v_lshlrev_b64_e32 v[179:180], 3, v[179:180]
	s_delay_alu instid0(VALU_DEP_3) | instskip(SKIP_1) | instid1(VALU_DEP_4)
	v_add_nc_u32_e32 v187, s11, v185
	v_ashrrev_i32_e32 v186, 31, v185
	v_lshlrev_b64_e32 v[183:184], 3, v[183:184]
	s_delay_alu instid0(VALU_DEP_4) | instskip(NEXT) | instid1(VALU_DEP_4)
	v_add_co_u32 v179, vcc_lo, s0, v179
	v_add_nc_u32_e32 v189, s11, v187
	v_ashrrev_i32_e32 v188, 31, v187
	v_lshlrev_b64_e32 v[185:186], 3, v[185:186]
	s_wait_alu 0xfffd
	v_add_co_ci_u32_e64 v180, null, s1, v180, vcc_lo
	v_add_nc_u32_e32 v191, s11, v189
	v_ashrrev_i32_e32 v190, 31, v189
	v_add_co_u32 v181, vcc_lo, s0, v181
	v_lshlrev_b64_e32 v[187:188], 3, v[187:188]
	s_delay_alu instid0(VALU_DEP_4)
	v_add_nc_u32_e32 v193, s11, v191
	v_ashrrev_i32_e32 v192, 31, v191
	s_wait_alu 0xfffd
	v_add_co_ci_u32_e64 v182, null, s1, v182, vcc_lo
	v_add_co_u32 v183, vcc_lo, s0, v183
	v_add_nc_u32_e32 v195, s11, v193
	v_ashrrev_i32_e32 v194, 31, v193
	v_lshlrev_b64_e32 v[189:190], 3, v[189:190]
	s_wait_alu 0xfffd
	v_add_co_ci_u32_e64 v184, null, s1, v184, vcc_lo
	v_ashrrev_i32_e32 v196, 31, v195
	v_add_co_u32 v185, vcc_lo, s0, v185
	v_lshlrev_b64_e32 v[191:192], 3, v[191:192]
	s_wait_alu 0xfffd
	v_add_co_ci_u32_e64 v186, null, s1, v186, vcc_lo
	v_add_co_u32 v187, vcc_lo, s0, v187
	v_lshlrev_b64_e32 v[193:194], 3, v[193:194]
	s_wait_alu 0xfffd
	v_add_co_ci_u32_e64 v188, null, s1, v188, vcc_lo
	;; [unrolled: 4-line block ×3, first 2 shown]
	v_add_co_u32 v191, vcc_lo, s0, v191
	s_wait_alu 0xfffd
	v_add_co_ci_u32_e64 v192, null, s1, v192, vcc_lo
	v_add_co_u32 v193, vcc_lo, s0, v193
	s_wait_alu 0xfffd
	v_add_co_ci_u32_e64 v194, null, s1, v194, vcc_lo
	v_add_co_u32 v195, vcc_lo, s0, v195
	s_clause 0x3
	global_load_b64 v[228:229], v[175:176], off
	global_load_b64 v[230:231], v[177:178], off
	;; [unrolled: 1-line block ×4, first 2 shown]
	s_wait_alu 0xfffd
	v_add_co_ci_u32_e64 v196, null, s1, v196, vcc_lo
	s_clause 0x6
	global_load_b64 v[236:237], v[183:184], off
	global_load_b64 v[238:239], v[185:186], off
	;; [unrolled: 1-line block ×7, first 2 shown]
	s_mov_b32 s1, -1
	s_wait_loadcnt 0x3a
	scratch_store_b128 off, v[1:4], off offset:32
	s_wait_loadcnt 0x38
	scratch_store_b128 off, v[13:16], off offset:48
	;; [unrolled: 2-line block ×30, first 2 shown]
	s_cbranch_scc1 .LBB63_268
; %bb.4:
	v_cmp_eq_u32_e64 s0, 0, v0
	s_and_saveexec_b32 s1, s0
; %bb.5:
	v_mov_b32_e32 v1, 0
	ds_store_b32 v1, v1 offset:1024
; %bb.6:
	s_wait_alu 0xfffe
	s_or_b32 exec_lo, exec_lo, s1
	s_wait_storecnt_dscnt 0x0
	s_barrier_signal -1
	s_barrier_wait -1
	global_inv scope:SCOPE_SE
	scratch_load_b64 v[1:2], v197, off
	s_wait_loadcnt 0x0
	v_cmp_eq_f32_e32 vcc_lo, 0, v1
	v_cmp_eq_f32_e64 s1, 0, v2
	s_and_b32 s1, vcc_lo, s1
	s_wait_alu 0xfffe
	s_and_saveexec_b32 s4, s1
	s_cbranch_execz .LBB63_10
; %bb.7:
	v_mov_b32_e32 v1, 0
	s_mov_b32 s5, 0
	ds_load_b32 v2, v1 offset:1024
	s_wait_dscnt 0x0
	v_readfirstlane_b32 s1, v2
	v_add_nc_u32_e32 v2, 1, v0
	s_cmp_eq_u32 s1, 0
	s_delay_alu instid0(VALU_DEP_1)
	v_cmp_gt_i32_e32 vcc_lo, s1, v2
	s_cselect_b32 s8, -1, 0
	s_wait_alu 0xfffe
	s_or_b32 s8, s8, vcc_lo
	s_wait_alu 0xfffe
	s_and_b32 exec_lo, exec_lo, s8
	s_cbranch_execz .LBB63_10
; %bb.8:
	v_mov_b32_e32 v3, s1
.LBB63_9:                               ; =>This Inner Loop Header: Depth=1
	ds_cmpstore_rtn_b32 v3, v1, v2, v3 offset:1024
	s_wait_dscnt 0x0
	v_cmp_ne_u32_e32 vcc_lo, 0, v3
	v_cmp_le_i32_e64 s1, v3, v2
	s_and_b32 s1, vcc_lo, s1
	s_wait_alu 0xfffe
	s_and_b32 s1, exec_lo, s1
	s_wait_alu 0xfffe
	s_or_b32 s5, s1, s5
	s_wait_alu 0xfffe
	s_and_not1_b32 exec_lo, exec_lo, s5
	s_cbranch_execnz .LBB63_9
.LBB63_10:
	s_wait_alu 0xfffe
	s_or_b32 exec_lo, exec_lo, s4
	v_mov_b32_e32 v1, 0
	s_barrier_signal -1
	s_barrier_wait -1
	global_inv scope:SCOPE_SE
	ds_load_b32 v2, v1 offset:1024
	s_and_saveexec_b32 s1, s0
	s_cbranch_execz .LBB63_12
; %bb.11:
	s_lshl_b64 s[4:5], s[16:17], 2
	s_wait_alu 0xfffe
	s_add_nc_u64 s[4:5], s[6:7], s[4:5]
	s_wait_dscnt 0x0
	global_store_b32 v1, v2, s[4:5]
.LBB63_12:
	s_wait_alu 0xfffe
	s_or_b32 exec_lo, exec_lo, s1
	s_wait_dscnt 0x0
	v_cmp_ne_u32_e32 vcc_lo, 0, v2
	s_mov_b32 s1, 0
	s_cbranch_vccnz .LBB63_268
; %bb.13:
	v_mov_b32_e32 v7, v197
                                        ; implicit-def: $vgpr3
                                        ; implicit-def: $vgpr5
	scratch_load_b64 v[1:2], v7, off
	s_wait_loadcnt 0x0
	v_cmp_ngt_f32_e64 s1, |v1|, |v2|
	s_wait_alu 0xfffe
	s_and_saveexec_b32 s4, s1
	s_wait_alu 0xfffe
	s_xor_b32 s1, exec_lo, s4
	s_cbranch_execz .LBB63_15
; %bb.14:
	v_div_scale_f32 v3, null, v2, v2, v1
	v_div_scale_f32 v6, vcc_lo, v1, v2, v1
	s_delay_alu instid0(VALU_DEP_2) | instskip(NEXT) | instid1(TRANS32_DEP_1)
	v_rcp_f32_e32 v4, v3
	v_fma_f32 v5, -v3, v4, 1.0
	s_delay_alu instid0(VALU_DEP_1) | instskip(NEXT) | instid1(VALU_DEP_1)
	v_fmac_f32_e32 v4, v5, v4
	v_mul_f32_e32 v5, v6, v4
	s_delay_alu instid0(VALU_DEP_1) | instskip(NEXT) | instid1(VALU_DEP_1)
	v_fma_f32 v8, -v3, v5, v6
	v_fmac_f32_e32 v5, v8, v4
	s_delay_alu instid0(VALU_DEP_1) | instskip(SKIP_1) | instid1(VALU_DEP_1)
	v_fma_f32 v3, -v3, v5, v6
	s_wait_alu 0xfffd
	v_div_fmas_f32 v3, v3, v4, v5
	s_delay_alu instid0(VALU_DEP_1) | instskip(NEXT) | instid1(VALU_DEP_1)
	v_div_fixup_f32 v3, v3, v2, v1
	v_fmac_f32_e32 v2, v1, v3
	s_delay_alu instid0(VALU_DEP_1) | instskip(NEXT) | instid1(VALU_DEP_1)
	v_div_scale_f32 v1, null, v2, v2, 1.0
	v_rcp_f32_e32 v4, v1
	s_delay_alu instid0(TRANS32_DEP_1) | instskip(NEXT) | instid1(VALU_DEP_1)
	v_fma_f32 v5, -v1, v4, 1.0
	v_fmac_f32_e32 v4, v5, v4
	v_div_scale_f32 v5, vcc_lo, 1.0, v2, 1.0
	s_delay_alu instid0(VALU_DEP_1) | instskip(NEXT) | instid1(VALU_DEP_1)
	v_mul_f32_e32 v6, v5, v4
	v_fma_f32 v8, -v1, v6, v5
	s_delay_alu instid0(VALU_DEP_1) | instskip(NEXT) | instid1(VALU_DEP_1)
	v_fmac_f32_e32 v6, v8, v4
	v_fma_f32 v1, -v1, v6, v5
	s_wait_alu 0xfffd
	s_delay_alu instid0(VALU_DEP_1) | instskip(NEXT) | instid1(VALU_DEP_1)
	v_div_fmas_f32 v1, v1, v4, v6
	v_div_fixup_f32 v1, v1, v2, 1.0
	s_delay_alu instid0(VALU_DEP_1) | instskip(SKIP_1) | instid1(VALU_DEP_2)
	v_mul_f32_e32 v3, v3, v1
	v_xor_b32_e32 v4, 0x80000000, v1
                                        ; implicit-def: $vgpr1_vgpr2
	v_xor_b32_e32 v5, 0x80000000, v3
.LBB63_15:
	s_wait_alu 0xfffe
	s_and_not1_saveexec_b32 s1, s1
	s_cbranch_execz .LBB63_17
; %bb.16:
	v_div_scale_f32 v3, null, v1, v1, v2
	v_div_scale_f32 v6, vcc_lo, v2, v1, v2
	s_delay_alu instid0(VALU_DEP_2) | instskip(NEXT) | instid1(TRANS32_DEP_1)
	v_rcp_f32_e32 v4, v3
	v_fma_f32 v5, -v3, v4, 1.0
	s_delay_alu instid0(VALU_DEP_1) | instskip(NEXT) | instid1(VALU_DEP_1)
	v_fmac_f32_e32 v4, v5, v4
	v_mul_f32_e32 v5, v6, v4
	s_delay_alu instid0(VALU_DEP_1) | instskip(NEXT) | instid1(VALU_DEP_1)
	v_fma_f32 v8, -v3, v5, v6
	v_fmac_f32_e32 v5, v8, v4
	s_delay_alu instid0(VALU_DEP_1) | instskip(SKIP_1) | instid1(VALU_DEP_1)
	v_fma_f32 v3, -v3, v5, v6
	s_wait_alu 0xfffd
	v_div_fmas_f32 v3, v3, v4, v5
	s_delay_alu instid0(VALU_DEP_1) | instskip(NEXT) | instid1(VALU_DEP_1)
	v_div_fixup_f32 v4, v3, v1, v2
	v_fmac_f32_e32 v1, v2, v4
	s_delay_alu instid0(VALU_DEP_1) | instskip(SKIP_1) | instid1(VALU_DEP_2)
	v_div_scale_f32 v2, null, v1, v1, 1.0
	v_div_scale_f32 v6, vcc_lo, 1.0, v1, 1.0
	v_rcp_f32_e32 v3, v2
	s_delay_alu instid0(TRANS32_DEP_1) | instskip(NEXT) | instid1(VALU_DEP_1)
	v_fma_f32 v5, -v2, v3, 1.0
	v_fmac_f32_e32 v3, v5, v3
	s_delay_alu instid0(VALU_DEP_1) | instskip(NEXT) | instid1(VALU_DEP_1)
	v_mul_f32_e32 v5, v6, v3
	v_fma_f32 v8, -v2, v5, v6
	s_delay_alu instid0(VALU_DEP_1) | instskip(NEXT) | instid1(VALU_DEP_1)
	v_fmac_f32_e32 v5, v8, v3
	v_fma_f32 v2, -v2, v5, v6
	s_wait_alu 0xfffd
	s_delay_alu instid0(VALU_DEP_1) | instskip(NEXT) | instid1(VALU_DEP_1)
	v_div_fmas_f32 v2, v2, v3, v5
	v_div_fixup_f32 v3, v2, v1, 1.0
	s_delay_alu instid0(VALU_DEP_1)
	v_xor_b32_e32 v5, 0x80000000, v3
	v_mul_f32_e64 v4, v4, -v3
.LBB63_17:
	s_wait_alu 0xfffe
	s_or_b32 exec_lo, exec_lo, s1
	scratch_store_b64 v7, v[3:4], off
	scratch_load_b64 v[2:3], off, off offset:8
	v_xor_b32_e32 v6, 0x80000000, v4
	v_or_b32_e32 v1, 0x200, v197
	s_wait_loadcnt 0x0
	ds_store_2addr_stride64_b64 v197, v[5:6], v[2:3] offset1:1
	s_wait_storecnt_dscnt 0x0
	s_barrier_signal -1
	s_barrier_wait -1
	global_inv scope:SCOPE_SE
	s_and_saveexec_b32 s1, s0
	s_cbranch_execz .LBB63_19
; %bb.18:
	scratch_load_b64 v[2:3], v7, off
	ds_load_b64 v[4:5], v1
	v_mov_b32_e32 v6, 0
	ds_load_b64 v[8:9], v6 offset:8
	s_wait_loadcnt_dscnt 0x1
	v_mul_f32_e32 v6, v4, v3
	v_mul_f32_e32 v3, v5, v3
	s_delay_alu instid0(VALU_DEP_2) | instskip(NEXT) | instid1(VALU_DEP_2)
	v_fmac_f32_e32 v6, v5, v2
	v_fma_f32 v2, v4, v2, -v3
	s_delay_alu instid0(VALU_DEP_2) | instskip(SKIP_1) | instid1(VALU_DEP_1)
	v_add_f32_e32 v4, 0, v6
	s_wait_dscnt 0x0
	v_dual_add_f32 v2, 0, v2 :: v_dual_mul_f32 v5, v4, v9
	s_delay_alu instid0(VALU_DEP_1) | instskip(NEXT) | instid1(VALU_DEP_1)
	v_mul_f32_e32 v3, v2, v9
	v_fmac_f32_e32 v3, v4, v8
	s_delay_alu instid0(VALU_DEP_3)
	v_fma_f32 v2, v2, v8, -v5
	scratch_store_b64 off, v[2:3], off offset:8
.LBB63_19:
	s_wait_alu 0xfffe
	s_or_b32 exec_lo, exec_lo, s1
	s_wait_loadcnt 0x0
	s_wait_storecnt 0x0
	s_barrier_signal -1
	s_barrier_wait -1
	global_inv scope:SCOPE_SE
	scratch_load_b64 v[2:3], off, off offset:16
	s_mov_b32 s1, exec_lo
	s_wait_loadcnt 0x0
	ds_store_b64 v1, v[2:3]
	s_wait_dscnt 0x0
	s_barrier_signal -1
	s_barrier_wait -1
	global_inv scope:SCOPE_SE
	v_cmpx_gt_u32_e32 2, v0
	s_cbranch_execz .LBB63_23
; %bb.20:
	scratch_load_b64 v[2:3], v7, off
	ds_load_b64 v[4:5], v1
	s_wait_loadcnt_dscnt 0x0
	v_mul_f32_e32 v6, v5, v3
	v_mul_f32_e32 v8, v4, v3
	s_delay_alu instid0(VALU_DEP_2) | instskip(NEXT) | instid1(VALU_DEP_1)
	v_fma_f32 v3, v4, v2, -v6
	v_dual_fmac_f32 v8, v5, v2 :: v_dual_add_f32 v3, 0, v3
	s_delay_alu instid0(VALU_DEP_1)
	v_add_f32_e32 v2, 0, v8
	s_and_saveexec_b32 s4, s0
	s_cbranch_execz .LBB63_22
; %bb.21:
	scratch_load_b64 v[4:5], off, off offset:8
	v_mov_b32_e32 v6, 0
	ds_load_b64 v[8:9], v6 offset:520
	s_wait_loadcnt_dscnt 0x0
	v_mul_f32_e32 v6, v8, v5
	v_mul_f32_e32 v5, v9, v5
	s_delay_alu instid0(VALU_DEP_2) | instskip(NEXT) | instid1(VALU_DEP_2)
	v_fmac_f32_e32 v6, v9, v4
	v_fma_f32 v4, v8, v4, -v5
	s_delay_alu instid0(VALU_DEP_1)
	v_dual_add_f32 v2, v2, v6 :: v_dual_add_f32 v3, v3, v4
.LBB63_22:
	s_wait_alu 0xfffe
	s_or_b32 exec_lo, exec_lo, s4
	v_mov_b32_e32 v4, 0
	ds_load_b64 v[4:5], v4 offset:16
	s_wait_dscnt 0x0
	v_mul_f32_e32 v8, v2, v5
	v_mul_f32_e32 v6, v3, v5
	s_delay_alu instid0(VALU_DEP_2) | instskip(NEXT) | instid1(VALU_DEP_2)
	v_fma_f32 v5, v3, v4, -v8
	v_fmac_f32_e32 v6, v2, v4
	scratch_store_b64 off, v[5:6], off offset:16
.LBB63_23:
	s_wait_alu 0xfffe
	s_or_b32 exec_lo, exec_lo, s1
	s_wait_loadcnt 0x0
	s_wait_storecnt 0x0
	s_barrier_signal -1
	s_barrier_wait -1
	global_inv scope:SCOPE_SE
	scratch_load_b64 v[3:4], off, off offset:24
	v_add_nc_u32_e32 v2, -1, v0
	s_mov_b32 s0, exec_lo
	s_wait_loadcnt 0x0
	ds_store_b64 v1, v[3:4]
	s_wait_dscnt 0x0
	s_barrier_signal -1
	s_barrier_wait -1
	global_inv scope:SCOPE_SE
	v_cmpx_gt_u32_e32 3, v0
	s_cbranch_execz .LBB63_27
; %bb.24:
	v_dual_mov_b32 v3, 0 :: v_dual_add_nc_u32 v4, -1, v0
	v_or_b32_e32 v5, 0x200, v197
	v_mov_b32_e32 v6, v197
	v_mov_b32_e32 v8, 0
	s_mov_b32 s1, 0
.LBB63_25:                              ; =>This Inner Loop Header: Depth=1
	scratch_load_b64 v[9:10], v6, off
	ds_load_b64 v[11:12], v5
	v_add_nc_u32_e32 v6, 8, v6
	v_add_nc_u32_e32 v4, 1, v4
	v_add_nc_u32_e32 v5, 8, v5
	s_delay_alu instid0(VALU_DEP_2)
	v_cmp_lt_u32_e32 vcc_lo, 1, v4
	s_wait_alu 0xfffe
	s_or_b32 s1, vcc_lo, s1
	s_wait_loadcnt_dscnt 0x0
	v_mul_f32_e32 v13, v12, v10
	v_mul_f32_e32 v10, v11, v10
	s_delay_alu instid0(VALU_DEP_2) | instskip(NEXT) | instid1(VALU_DEP_2)
	v_fma_f32 v11, v11, v9, -v13
	v_fmac_f32_e32 v10, v12, v9
	s_delay_alu instid0(VALU_DEP_1)
	v_dual_add_f32 v8, v8, v11 :: v_dual_add_f32 v3, v3, v10
	s_wait_alu 0xfffe
	s_and_not1_b32 exec_lo, exec_lo, s1
	s_cbranch_execnz .LBB63_25
; %bb.26:
	s_or_b32 exec_lo, exec_lo, s1
	v_mov_b32_e32 v4, 0
	ds_load_b64 v[4:5], v4 offset:24
	s_wait_dscnt 0x0
	v_mul_f32_e32 v9, v3, v5
	v_mul_f32_e32 v6, v8, v5
	s_delay_alu instid0(VALU_DEP_2) | instskip(NEXT) | instid1(VALU_DEP_2)
	v_fma_f32 v5, v8, v4, -v9
	v_fmac_f32_e32 v6, v3, v4
	scratch_store_b64 off, v[5:6], off offset:24
.LBB63_27:
	s_wait_alu 0xfffe
	s_or_b32 exec_lo, exec_lo, s0
	s_wait_loadcnt 0x0
	s_wait_storecnt 0x0
	s_barrier_signal -1
	s_barrier_wait -1
	global_inv scope:SCOPE_SE
	scratch_load_b64 v[3:4], off, off offset:32
	s_mov_b32 s0, exec_lo
	s_wait_loadcnt 0x0
	ds_store_b64 v1, v[3:4]
	s_wait_dscnt 0x0
	s_barrier_signal -1
	s_barrier_wait -1
	global_inv scope:SCOPE_SE
	v_cmpx_gt_u32_e32 4, v0
	s_cbranch_execz .LBB63_31
; %bb.28:
	v_dual_mov_b32 v3, 0 :: v_dual_add_nc_u32 v4, -1, v0
	v_or_b32_e32 v5, 0x200, v197
	v_mov_b32_e32 v6, v197
	v_mov_b32_e32 v8, 0
	s_mov_b32 s1, 0
.LBB63_29:                              ; =>This Inner Loop Header: Depth=1
	scratch_load_b64 v[9:10], v6, off
	ds_load_b64 v[11:12], v5
	v_add_nc_u32_e32 v6, 8, v6
	v_add_nc_u32_e32 v4, 1, v4
	v_add_nc_u32_e32 v5, 8, v5
	s_delay_alu instid0(VALU_DEP_2)
	v_cmp_lt_u32_e32 vcc_lo, 2, v4
	s_wait_alu 0xfffe
	s_or_b32 s1, vcc_lo, s1
	s_wait_loadcnt_dscnt 0x0
	v_mul_f32_e32 v13, v12, v10
	v_mul_f32_e32 v10, v11, v10
	s_delay_alu instid0(VALU_DEP_2) | instskip(NEXT) | instid1(VALU_DEP_2)
	v_fma_f32 v11, v11, v9, -v13
	v_fmac_f32_e32 v10, v12, v9
	s_delay_alu instid0(VALU_DEP_1)
	v_dual_add_f32 v8, v8, v11 :: v_dual_add_f32 v3, v3, v10
	s_wait_alu 0xfffe
	s_and_not1_b32 exec_lo, exec_lo, s1
	s_cbranch_execnz .LBB63_29
; %bb.30:
	s_or_b32 exec_lo, exec_lo, s1
	v_mov_b32_e32 v4, 0
	ds_load_b64 v[4:5], v4 offset:32
	s_wait_dscnt 0x0
	v_mul_f32_e32 v9, v3, v5
	v_mul_f32_e32 v6, v8, v5
	s_delay_alu instid0(VALU_DEP_2) | instskip(NEXT) | instid1(VALU_DEP_2)
	v_fma_f32 v5, v8, v4, -v9
	v_fmac_f32_e32 v6, v3, v4
	scratch_store_b64 off, v[5:6], off offset:32
.LBB63_31:
	s_wait_alu 0xfffe
	s_or_b32 exec_lo, exec_lo, s0
	s_wait_loadcnt 0x0
	s_wait_storecnt 0x0
	s_barrier_signal -1
	s_barrier_wait -1
	global_inv scope:SCOPE_SE
	scratch_load_b64 v[3:4], off, off offset:40
	;; [unrolled: 56-line block ×19, first 2 shown]
	s_mov_b32 s0, exec_lo
	s_wait_loadcnt 0x0
	ds_store_b64 v1, v[3:4]
	s_wait_dscnt 0x0
	s_barrier_signal -1
	s_barrier_wait -1
	global_inv scope:SCOPE_SE
	v_cmpx_gt_u32_e32 22, v0
	s_cbranch_execz .LBB63_103
; %bb.100:
	v_dual_mov_b32 v3, 0 :: v_dual_add_nc_u32 v4, -1, v0
	v_or_b32_e32 v5, 0x200, v197
	v_mov_b32_e32 v6, v197
	v_mov_b32_e32 v8, 0
	s_mov_b32 s1, 0
.LBB63_101:                             ; =>This Inner Loop Header: Depth=1
	scratch_load_b64 v[9:10], v6, off
	ds_load_b64 v[11:12], v5
	v_add_nc_u32_e32 v6, 8, v6
	v_add_nc_u32_e32 v4, 1, v4
	v_add_nc_u32_e32 v5, 8, v5
	s_delay_alu instid0(VALU_DEP_2)
	v_cmp_lt_u32_e32 vcc_lo, 20, v4
	s_wait_alu 0xfffe
	s_or_b32 s1, vcc_lo, s1
	s_wait_loadcnt_dscnt 0x0
	v_mul_f32_e32 v13, v12, v10
	v_mul_f32_e32 v10, v11, v10
	s_delay_alu instid0(VALU_DEP_2) | instskip(NEXT) | instid1(VALU_DEP_2)
	v_fma_f32 v11, v11, v9, -v13
	v_fmac_f32_e32 v10, v12, v9
	s_delay_alu instid0(VALU_DEP_1)
	v_dual_add_f32 v8, v8, v11 :: v_dual_add_f32 v3, v3, v10
	s_wait_alu 0xfffe
	s_and_not1_b32 exec_lo, exec_lo, s1
	s_cbranch_execnz .LBB63_101
; %bb.102:
	s_or_b32 exec_lo, exec_lo, s1
	v_mov_b32_e32 v4, 0
	ds_load_b64 v[4:5], v4 offset:176
	s_wait_dscnt 0x0
	v_mul_f32_e32 v9, v3, v5
	v_mul_f32_e32 v6, v8, v5
	s_delay_alu instid0(VALU_DEP_2) | instskip(NEXT) | instid1(VALU_DEP_2)
	v_fma_f32 v5, v8, v4, -v9
	v_fmac_f32_e32 v6, v3, v4
	scratch_store_b64 off, v[5:6], off offset:176
.LBB63_103:
	s_wait_alu 0xfffe
	s_or_b32 exec_lo, exec_lo, s0
	s_wait_loadcnt 0x0
	s_wait_storecnt 0x0
	s_barrier_signal -1
	s_barrier_wait -1
	global_inv scope:SCOPE_SE
	scratch_load_b64 v[3:4], off, off offset:184
	s_mov_b32 s0, exec_lo
	s_wait_loadcnt 0x0
	ds_store_b64 v1, v[3:4]
	s_wait_dscnt 0x0
	s_barrier_signal -1
	s_barrier_wait -1
	global_inv scope:SCOPE_SE
	v_cmpx_gt_u32_e32 23, v0
	s_cbranch_execz .LBB63_107
; %bb.104:
	v_dual_mov_b32 v3, 0 :: v_dual_add_nc_u32 v4, -1, v0
	v_or_b32_e32 v5, 0x200, v197
	v_mov_b32_e32 v6, v197
	v_mov_b32_e32 v8, 0
	s_mov_b32 s1, 0
.LBB63_105:                             ; =>This Inner Loop Header: Depth=1
	scratch_load_b64 v[9:10], v6, off
	ds_load_b64 v[11:12], v5
	v_add_nc_u32_e32 v6, 8, v6
	v_add_nc_u32_e32 v4, 1, v4
	v_add_nc_u32_e32 v5, 8, v5
	s_delay_alu instid0(VALU_DEP_2)
	v_cmp_lt_u32_e32 vcc_lo, 21, v4
	s_wait_alu 0xfffe
	s_or_b32 s1, vcc_lo, s1
	s_wait_loadcnt_dscnt 0x0
	v_mul_f32_e32 v13, v12, v10
	v_mul_f32_e32 v10, v11, v10
	s_delay_alu instid0(VALU_DEP_2) | instskip(NEXT) | instid1(VALU_DEP_2)
	v_fma_f32 v11, v11, v9, -v13
	v_fmac_f32_e32 v10, v12, v9
	s_delay_alu instid0(VALU_DEP_1)
	v_dual_add_f32 v8, v8, v11 :: v_dual_add_f32 v3, v3, v10
	s_wait_alu 0xfffe
	s_and_not1_b32 exec_lo, exec_lo, s1
	s_cbranch_execnz .LBB63_105
; %bb.106:
	s_or_b32 exec_lo, exec_lo, s1
	v_mov_b32_e32 v4, 0
	ds_load_b64 v[4:5], v4 offset:184
	s_wait_dscnt 0x0
	v_mul_f32_e32 v9, v3, v5
	v_mul_f32_e32 v6, v8, v5
	s_delay_alu instid0(VALU_DEP_2) | instskip(NEXT) | instid1(VALU_DEP_2)
	v_fma_f32 v5, v8, v4, -v9
	v_fmac_f32_e32 v6, v3, v4
	scratch_store_b64 off, v[5:6], off offset:184
.LBB63_107:
	s_wait_alu 0xfffe
	s_or_b32 exec_lo, exec_lo, s0
	s_wait_loadcnt 0x0
	s_wait_storecnt 0x0
	s_barrier_signal -1
	s_barrier_wait -1
	global_inv scope:SCOPE_SE
	scratch_load_b64 v[3:4], off, off offset:192
	s_mov_b32 s0, exec_lo
	s_wait_loadcnt 0x0
	ds_store_b64 v1, v[3:4]
	s_wait_dscnt 0x0
	s_barrier_signal -1
	s_barrier_wait -1
	global_inv scope:SCOPE_SE
	v_cmpx_gt_u32_e32 24, v0
	s_cbranch_execz .LBB63_111
; %bb.108:
	v_dual_mov_b32 v3, 0 :: v_dual_add_nc_u32 v4, -1, v0
	v_or_b32_e32 v5, 0x200, v197
	v_mov_b32_e32 v6, v197
	v_mov_b32_e32 v8, 0
	s_mov_b32 s1, 0
.LBB63_109:                             ; =>This Inner Loop Header: Depth=1
	scratch_load_b64 v[9:10], v6, off
	ds_load_b64 v[11:12], v5
	v_add_nc_u32_e32 v6, 8, v6
	v_add_nc_u32_e32 v4, 1, v4
	v_add_nc_u32_e32 v5, 8, v5
	s_delay_alu instid0(VALU_DEP_2)
	v_cmp_lt_u32_e32 vcc_lo, 22, v4
	s_wait_alu 0xfffe
	s_or_b32 s1, vcc_lo, s1
	s_wait_loadcnt_dscnt 0x0
	v_mul_f32_e32 v13, v12, v10
	v_mul_f32_e32 v10, v11, v10
	s_delay_alu instid0(VALU_DEP_2) | instskip(NEXT) | instid1(VALU_DEP_2)
	v_fma_f32 v11, v11, v9, -v13
	v_fmac_f32_e32 v10, v12, v9
	s_delay_alu instid0(VALU_DEP_1)
	v_dual_add_f32 v8, v8, v11 :: v_dual_add_f32 v3, v3, v10
	s_wait_alu 0xfffe
	s_and_not1_b32 exec_lo, exec_lo, s1
	s_cbranch_execnz .LBB63_109
; %bb.110:
	s_or_b32 exec_lo, exec_lo, s1
	v_mov_b32_e32 v4, 0
	ds_load_b64 v[4:5], v4 offset:192
	s_wait_dscnt 0x0
	v_mul_f32_e32 v9, v3, v5
	v_mul_f32_e32 v6, v8, v5
	s_delay_alu instid0(VALU_DEP_2) | instskip(NEXT) | instid1(VALU_DEP_2)
	v_fma_f32 v5, v8, v4, -v9
	v_fmac_f32_e32 v6, v3, v4
	scratch_store_b64 off, v[5:6], off offset:192
.LBB63_111:
	s_wait_alu 0xfffe
	s_or_b32 exec_lo, exec_lo, s0
	s_wait_loadcnt 0x0
	s_wait_storecnt 0x0
	s_barrier_signal -1
	s_barrier_wait -1
	global_inv scope:SCOPE_SE
	scratch_load_b64 v[3:4], off, off offset:200
	s_mov_b32 s0, exec_lo
	s_wait_loadcnt 0x0
	ds_store_b64 v1, v[3:4]
	s_wait_dscnt 0x0
	s_barrier_signal -1
	s_barrier_wait -1
	global_inv scope:SCOPE_SE
	v_cmpx_gt_u32_e32 25, v0
	s_cbranch_execz .LBB63_115
; %bb.112:
	v_dual_mov_b32 v3, 0 :: v_dual_add_nc_u32 v4, -1, v0
	v_or_b32_e32 v5, 0x200, v197
	v_mov_b32_e32 v6, v197
	v_mov_b32_e32 v8, 0
	s_mov_b32 s1, 0
.LBB63_113:                             ; =>This Inner Loop Header: Depth=1
	scratch_load_b64 v[9:10], v6, off
	ds_load_b64 v[11:12], v5
	v_add_nc_u32_e32 v6, 8, v6
	v_add_nc_u32_e32 v4, 1, v4
	v_add_nc_u32_e32 v5, 8, v5
	s_delay_alu instid0(VALU_DEP_2)
	v_cmp_lt_u32_e32 vcc_lo, 23, v4
	s_wait_alu 0xfffe
	s_or_b32 s1, vcc_lo, s1
	s_wait_loadcnt_dscnt 0x0
	v_mul_f32_e32 v13, v12, v10
	v_mul_f32_e32 v10, v11, v10
	s_delay_alu instid0(VALU_DEP_2) | instskip(NEXT) | instid1(VALU_DEP_2)
	v_fma_f32 v11, v11, v9, -v13
	v_fmac_f32_e32 v10, v12, v9
	s_delay_alu instid0(VALU_DEP_1)
	v_dual_add_f32 v8, v8, v11 :: v_dual_add_f32 v3, v3, v10
	s_wait_alu 0xfffe
	s_and_not1_b32 exec_lo, exec_lo, s1
	s_cbranch_execnz .LBB63_113
; %bb.114:
	s_or_b32 exec_lo, exec_lo, s1
	v_mov_b32_e32 v4, 0
	ds_load_b64 v[4:5], v4 offset:200
	s_wait_dscnt 0x0
	v_mul_f32_e32 v9, v3, v5
	v_mul_f32_e32 v6, v8, v5
	s_delay_alu instid0(VALU_DEP_2) | instskip(NEXT) | instid1(VALU_DEP_2)
	v_fma_f32 v5, v8, v4, -v9
	v_fmac_f32_e32 v6, v3, v4
	scratch_store_b64 off, v[5:6], off offset:200
.LBB63_115:
	s_wait_alu 0xfffe
	s_or_b32 exec_lo, exec_lo, s0
	s_wait_loadcnt 0x0
	s_wait_storecnt 0x0
	s_barrier_signal -1
	s_barrier_wait -1
	global_inv scope:SCOPE_SE
	scratch_load_b64 v[3:4], off, off offset:208
	s_mov_b32 s0, exec_lo
	s_wait_loadcnt 0x0
	ds_store_b64 v1, v[3:4]
	s_wait_dscnt 0x0
	s_barrier_signal -1
	s_barrier_wait -1
	global_inv scope:SCOPE_SE
	v_cmpx_gt_u32_e32 26, v0
	s_cbranch_execz .LBB63_119
; %bb.116:
	v_dual_mov_b32 v3, 0 :: v_dual_add_nc_u32 v4, -1, v0
	v_or_b32_e32 v5, 0x200, v197
	v_mov_b32_e32 v6, v197
	v_mov_b32_e32 v8, 0
	s_mov_b32 s1, 0
.LBB63_117:                             ; =>This Inner Loop Header: Depth=1
	scratch_load_b64 v[9:10], v6, off
	ds_load_b64 v[11:12], v5
	v_add_nc_u32_e32 v6, 8, v6
	v_add_nc_u32_e32 v4, 1, v4
	v_add_nc_u32_e32 v5, 8, v5
	s_delay_alu instid0(VALU_DEP_2)
	v_cmp_lt_u32_e32 vcc_lo, 24, v4
	s_wait_alu 0xfffe
	s_or_b32 s1, vcc_lo, s1
	s_wait_loadcnt_dscnt 0x0
	v_mul_f32_e32 v13, v12, v10
	v_mul_f32_e32 v10, v11, v10
	s_delay_alu instid0(VALU_DEP_2) | instskip(NEXT) | instid1(VALU_DEP_2)
	v_fma_f32 v11, v11, v9, -v13
	v_fmac_f32_e32 v10, v12, v9
	s_delay_alu instid0(VALU_DEP_1)
	v_dual_add_f32 v8, v8, v11 :: v_dual_add_f32 v3, v3, v10
	s_wait_alu 0xfffe
	s_and_not1_b32 exec_lo, exec_lo, s1
	s_cbranch_execnz .LBB63_117
; %bb.118:
	s_or_b32 exec_lo, exec_lo, s1
	v_mov_b32_e32 v4, 0
	ds_load_b64 v[4:5], v4 offset:208
	s_wait_dscnt 0x0
	v_mul_f32_e32 v9, v3, v5
	v_mul_f32_e32 v6, v8, v5
	s_delay_alu instid0(VALU_DEP_2) | instskip(NEXT) | instid1(VALU_DEP_2)
	v_fma_f32 v5, v8, v4, -v9
	v_fmac_f32_e32 v6, v3, v4
	scratch_store_b64 off, v[5:6], off offset:208
.LBB63_119:
	s_wait_alu 0xfffe
	s_or_b32 exec_lo, exec_lo, s0
	s_wait_loadcnt 0x0
	s_wait_storecnt 0x0
	s_barrier_signal -1
	s_barrier_wait -1
	global_inv scope:SCOPE_SE
	scratch_load_b64 v[3:4], off, off offset:216
	s_mov_b32 s0, exec_lo
	s_wait_loadcnt 0x0
	ds_store_b64 v1, v[3:4]
	s_wait_dscnt 0x0
	s_barrier_signal -1
	s_barrier_wait -1
	global_inv scope:SCOPE_SE
	v_cmpx_gt_u32_e32 27, v0
	s_cbranch_execz .LBB63_123
; %bb.120:
	v_dual_mov_b32 v3, 0 :: v_dual_add_nc_u32 v4, -1, v0
	v_or_b32_e32 v5, 0x200, v197
	v_mov_b32_e32 v6, v197
	v_mov_b32_e32 v8, 0
	s_mov_b32 s1, 0
.LBB63_121:                             ; =>This Inner Loop Header: Depth=1
	scratch_load_b64 v[9:10], v6, off
	ds_load_b64 v[11:12], v5
	v_add_nc_u32_e32 v6, 8, v6
	v_add_nc_u32_e32 v4, 1, v4
	v_add_nc_u32_e32 v5, 8, v5
	s_delay_alu instid0(VALU_DEP_2)
	v_cmp_lt_u32_e32 vcc_lo, 25, v4
	s_wait_alu 0xfffe
	s_or_b32 s1, vcc_lo, s1
	s_wait_loadcnt_dscnt 0x0
	v_mul_f32_e32 v13, v12, v10
	v_mul_f32_e32 v10, v11, v10
	s_delay_alu instid0(VALU_DEP_2) | instskip(NEXT) | instid1(VALU_DEP_2)
	v_fma_f32 v11, v11, v9, -v13
	v_fmac_f32_e32 v10, v12, v9
	s_delay_alu instid0(VALU_DEP_1)
	v_dual_add_f32 v8, v8, v11 :: v_dual_add_f32 v3, v3, v10
	s_wait_alu 0xfffe
	s_and_not1_b32 exec_lo, exec_lo, s1
	s_cbranch_execnz .LBB63_121
; %bb.122:
	s_or_b32 exec_lo, exec_lo, s1
	v_mov_b32_e32 v4, 0
	ds_load_b64 v[4:5], v4 offset:216
	s_wait_dscnt 0x0
	v_mul_f32_e32 v9, v3, v5
	v_mul_f32_e32 v6, v8, v5
	s_delay_alu instid0(VALU_DEP_2) | instskip(NEXT) | instid1(VALU_DEP_2)
	v_fma_f32 v5, v8, v4, -v9
	v_fmac_f32_e32 v6, v3, v4
	scratch_store_b64 off, v[5:6], off offset:216
.LBB63_123:
	s_wait_alu 0xfffe
	s_or_b32 exec_lo, exec_lo, s0
	s_wait_loadcnt 0x0
	s_wait_storecnt 0x0
	s_barrier_signal -1
	s_barrier_wait -1
	global_inv scope:SCOPE_SE
	scratch_load_b64 v[3:4], off, off offset:224
	s_mov_b32 s0, exec_lo
	s_wait_loadcnt 0x0
	ds_store_b64 v1, v[3:4]
	s_wait_dscnt 0x0
	s_barrier_signal -1
	s_barrier_wait -1
	global_inv scope:SCOPE_SE
	v_cmpx_gt_u32_e32 28, v0
	s_cbranch_execz .LBB63_127
; %bb.124:
	v_dual_mov_b32 v3, 0 :: v_dual_add_nc_u32 v4, -1, v0
	v_or_b32_e32 v5, 0x200, v197
	v_mov_b32_e32 v6, v197
	v_mov_b32_e32 v8, 0
	s_mov_b32 s1, 0
.LBB63_125:                             ; =>This Inner Loop Header: Depth=1
	scratch_load_b64 v[9:10], v6, off
	ds_load_b64 v[11:12], v5
	v_add_nc_u32_e32 v6, 8, v6
	v_add_nc_u32_e32 v4, 1, v4
	v_add_nc_u32_e32 v5, 8, v5
	s_delay_alu instid0(VALU_DEP_2)
	v_cmp_lt_u32_e32 vcc_lo, 26, v4
	s_wait_alu 0xfffe
	s_or_b32 s1, vcc_lo, s1
	s_wait_loadcnt_dscnt 0x0
	v_mul_f32_e32 v13, v12, v10
	v_mul_f32_e32 v10, v11, v10
	s_delay_alu instid0(VALU_DEP_2) | instskip(NEXT) | instid1(VALU_DEP_2)
	v_fma_f32 v11, v11, v9, -v13
	v_fmac_f32_e32 v10, v12, v9
	s_delay_alu instid0(VALU_DEP_1)
	v_dual_add_f32 v8, v8, v11 :: v_dual_add_f32 v3, v3, v10
	s_wait_alu 0xfffe
	s_and_not1_b32 exec_lo, exec_lo, s1
	s_cbranch_execnz .LBB63_125
; %bb.126:
	s_or_b32 exec_lo, exec_lo, s1
	v_mov_b32_e32 v4, 0
	ds_load_b64 v[4:5], v4 offset:224
	s_wait_dscnt 0x0
	v_mul_f32_e32 v9, v3, v5
	v_mul_f32_e32 v6, v8, v5
	s_delay_alu instid0(VALU_DEP_2) | instskip(NEXT) | instid1(VALU_DEP_2)
	v_fma_f32 v5, v8, v4, -v9
	v_fmac_f32_e32 v6, v3, v4
	scratch_store_b64 off, v[5:6], off offset:224
.LBB63_127:
	s_wait_alu 0xfffe
	s_or_b32 exec_lo, exec_lo, s0
	s_wait_loadcnt 0x0
	s_wait_storecnt 0x0
	s_barrier_signal -1
	s_barrier_wait -1
	global_inv scope:SCOPE_SE
	scratch_load_b64 v[3:4], off, off offset:232
	s_mov_b32 s0, exec_lo
	s_wait_loadcnt 0x0
	ds_store_b64 v1, v[3:4]
	s_wait_dscnt 0x0
	s_barrier_signal -1
	s_barrier_wait -1
	global_inv scope:SCOPE_SE
	v_cmpx_gt_u32_e32 29, v0
	s_cbranch_execz .LBB63_131
; %bb.128:
	v_dual_mov_b32 v3, 0 :: v_dual_add_nc_u32 v4, -1, v0
	v_or_b32_e32 v5, 0x200, v197
	v_mov_b32_e32 v6, v197
	v_mov_b32_e32 v8, 0
	s_mov_b32 s1, 0
.LBB63_129:                             ; =>This Inner Loop Header: Depth=1
	scratch_load_b64 v[9:10], v6, off
	ds_load_b64 v[11:12], v5
	v_add_nc_u32_e32 v6, 8, v6
	v_add_nc_u32_e32 v4, 1, v4
	v_add_nc_u32_e32 v5, 8, v5
	s_delay_alu instid0(VALU_DEP_2)
	v_cmp_lt_u32_e32 vcc_lo, 27, v4
	s_wait_alu 0xfffe
	s_or_b32 s1, vcc_lo, s1
	s_wait_loadcnt_dscnt 0x0
	v_mul_f32_e32 v13, v12, v10
	v_mul_f32_e32 v10, v11, v10
	s_delay_alu instid0(VALU_DEP_2) | instskip(NEXT) | instid1(VALU_DEP_2)
	v_fma_f32 v11, v11, v9, -v13
	v_fmac_f32_e32 v10, v12, v9
	s_delay_alu instid0(VALU_DEP_1)
	v_dual_add_f32 v8, v8, v11 :: v_dual_add_f32 v3, v3, v10
	s_wait_alu 0xfffe
	s_and_not1_b32 exec_lo, exec_lo, s1
	s_cbranch_execnz .LBB63_129
; %bb.130:
	s_or_b32 exec_lo, exec_lo, s1
	v_mov_b32_e32 v4, 0
	ds_load_b64 v[4:5], v4 offset:232
	s_wait_dscnt 0x0
	v_mul_f32_e32 v9, v3, v5
	v_mul_f32_e32 v6, v8, v5
	s_delay_alu instid0(VALU_DEP_2) | instskip(NEXT) | instid1(VALU_DEP_2)
	v_fma_f32 v5, v8, v4, -v9
	v_fmac_f32_e32 v6, v3, v4
	scratch_store_b64 off, v[5:6], off offset:232
.LBB63_131:
	s_wait_alu 0xfffe
	s_or_b32 exec_lo, exec_lo, s0
	s_wait_loadcnt 0x0
	s_wait_storecnt 0x0
	s_barrier_signal -1
	s_barrier_wait -1
	global_inv scope:SCOPE_SE
	scratch_load_b64 v[3:4], off, off offset:240
	s_mov_b32 s0, exec_lo
	s_wait_loadcnt 0x0
	ds_store_b64 v1, v[3:4]
	s_wait_dscnt 0x0
	s_barrier_signal -1
	s_barrier_wait -1
	global_inv scope:SCOPE_SE
	v_cmpx_gt_u32_e32 30, v0
	s_cbranch_execz .LBB63_135
; %bb.132:
	v_dual_mov_b32 v3, 0 :: v_dual_add_nc_u32 v4, -1, v0
	v_or_b32_e32 v5, 0x200, v197
	v_mov_b32_e32 v6, v197
	v_mov_b32_e32 v8, 0
	s_mov_b32 s1, 0
.LBB63_133:                             ; =>This Inner Loop Header: Depth=1
	scratch_load_b64 v[9:10], v6, off
	ds_load_b64 v[11:12], v5
	v_add_nc_u32_e32 v6, 8, v6
	v_add_nc_u32_e32 v4, 1, v4
	v_add_nc_u32_e32 v5, 8, v5
	s_delay_alu instid0(VALU_DEP_2)
	v_cmp_lt_u32_e32 vcc_lo, 28, v4
	s_wait_alu 0xfffe
	s_or_b32 s1, vcc_lo, s1
	s_wait_loadcnt_dscnt 0x0
	v_mul_f32_e32 v13, v12, v10
	v_mul_f32_e32 v10, v11, v10
	s_delay_alu instid0(VALU_DEP_2) | instskip(NEXT) | instid1(VALU_DEP_2)
	v_fma_f32 v11, v11, v9, -v13
	v_fmac_f32_e32 v10, v12, v9
	s_delay_alu instid0(VALU_DEP_1)
	v_dual_add_f32 v8, v8, v11 :: v_dual_add_f32 v3, v3, v10
	s_wait_alu 0xfffe
	s_and_not1_b32 exec_lo, exec_lo, s1
	s_cbranch_execnz .LBB63_133
; %bb.134:
	s_or_b32 exec_lo, exec_lo, s1
	v_mov_b32_e32 v4, 0
	ds_load_b64 v[4:5], v4 offset:240
	s_wait_dscnt 0x0
	v_mul_f32_e32 v9, v3, v5
	v_mul_f32_e32 v6, v8, v5
	s_delay_alu instid0(VALU_DEP_2) | instskip(NEXT) | instid1(VALU_DEP_2)
	v_fma_f32 v5, v8, v4, -v9
	v_fmac_f32_e32 v6, v3, v4
	scratch_store_b64 off, v[5:6], off offset:240
.LBB63_135:
	s_wait_alu 0xfffe
	s_or_b32 exec_lo, exec_lo, s0
	s_wait_loadcnt 0x0
	s_wait_storecnt 0x0
	s_barrier_signal -1
	s_barrier_wait -1
	global_inv scope:SCOPE_SE
	scratch_load_b64 v[3:4], off, off offset:248
	s_mov_b32 s0, exec_lo
	s_wait_loadcnt 0x0
	ds_store_b64 v1, v[3:4]
	s_wait_dscnt 0x0
	s_barrier_signal -1
	s_barrier_wait -1
	global_inv scope:SCOPE_SE
	v_cmpx_gt_u32_e32 31, v0
	s_cbranch_execz .LBB63_139
; %bb.136:
	v_dual_mov_b32 v3, 0 :: v_dual_add_nc_u32 v4, -1, v0
	v_or_b32_e32 v5, 0x200, v197
	v_mov_b32_e32 v6, v197
	v_mov_b32_e32 v8, 0
	s_mov_b32 s1, 0
.LBB63_137:                             ; =>This Inner Loop Header: Depth=1
	scratch_load_b64 v[9:10], v6, off
	ds_load_b64 v[11:12], v5
	v_add_nc_u32_e32 v6, 8, v6
	v_add_nc_u32_e32 v4, 1, v4
	v_add_nc_u32_e32 v5, 8, v5
	s_delay_alu instid0(VALU_DEP_2)
	v_cmp_lt_u32_e32 vcc_lo, 29, v4
	s_wait_alu 0xfffe
	s_or_b32 s1, vcc_lo, s1
	s_wait_loadcnt_dscnt 0x0
	v_mul_f32_e32 v13, v12, v10
	v_mul_f32_e32 v10, v11, v10
	s_delay_alu instid0(VALU_DEP_2) | instskip(NEXT) | instid1(VALU_DEP_2)
	v_fma_f32 v11, v11, v9, -v13
	v_fmac_f32_e32 v10, v12, v9
	s_delay_alu instid0(VALU_DEP_1)
	v_dual_add_f32 v8, v8, v11 :: v_dual_add_f32 v3, v3, v10
	s_wait_alu 0xfffe
	s_and_not1_b32 exec_lo, exec_lo, s1
	s_cbranch_execnz .LBB63_137
; %bb.138:
	s_or_b32 exec_lo, exec_lo, s1
	v_mov_b32_e32 v4, 0
	ds_load_b64 v[4:5], v4 offset:248
	s_wait_dscnt 0x0
	v_mul_f32_e32 v9, v3, v5
	v_mul_f32_e32 v6, v8, v5
	s_delay_alu instid0(VALU_DEP_2) | instskip(NEXT) | instid1(VALU_DEP_2)
	v_fma_f32 v5, v8, v4, -v9
	v_fmac_f32_e32 v6, v3, v4
	scratch_store_b64 off, v[5:6], off offset:248
.LBB63_139:
	s_wait_alu 0xfffe
	s_or_b32 exec_lo, exec_lo, s0
	s_wait_loadcnt 0x0
	s_wait_storecnt 0x0
	s_barrier_signal -1
	s_barrier_wait -1
	global_inv scope:SCOPE_SE
	scratch_load_b64 v[3:4], off, off offset:256
	s_mov_b32 s0, exec_lo
	s_wait_loadcnt 0x0
	ds_store_b64 v1, v[3:4]
	s_wait_dscnt 0x0
	s_barrier_signal -1
	s_barrier_wait -1
	global_inv scope:SCOPE_SE
	v_cmpx_gt_u32_e32 32, v0
	s_cbranch_execz .LBB63_143
; %bb.140:
	v_dual_mov_b32 v3, 0 :: v_dual_add_nc_u32 v4, -1, v0
	v_or_b32_e32 v5, 0x200, v197
	v_mov_b32_e32 v6, v197
	v_mov_b32_e32 v8, 0
	s_mov_b32 s1, 0
.LBB63_141:                             ; =>This Inner Loop Header: Depth=1
	scratch_load_b64 v[9:10], v6, off
	ds_load_b64 v[11:12], v5
	v_add_nc_u32_e32 v6, 8, v6
	v_add_nc_u32_e32 v4, 1, v4
	v_add_nc_u32_e32 v5, 8, v5
	s_delay_alu instid0(VALU_DEP_2)
	v_cmp_lt_u32_e32 vcc_lo, 30, v4
	s_wait_alu 0xfffe
	s_or_b32 s1, vcc_lo, s1
	s_wait_loadcnt_dscnt 0x0
	v_mul_f32_e32 v13, v12, v10
	v_mul_f32_e32 v10, v11, v10
	s_delay_alu instid0(VALU_DEP_2) | instskip(NEXT) | instid1(VALU_DEP_2)
	v_fma_f32 v11, v11, v9, -v13
	v_fmac_f32_e32 v10, v12, v9
	s_delay_alu instid0(VALU_DEP_1)
	v_dual_add_f32 v8, v8, v11 :: v_dual_add_f32 v3, v3, v10
	s_wait_alu 0xfffe
	s_and_not1_b32 exec_lo, exec_lo, s1
	s_cbranch_execnz .LBB63_141
; %bb.142:
	s_or_b32 exec_lo, exec_lo, s1
	v_mov_b32_e32 v4, 0
	ds_load_b64 v[4:5], v4 offset:256
	s_wait_dscnt 0x0
	v_mul_f32_e32 v9, v3, v5
	v_mul_f32_e32 v6, v8, v5
	s_delay_alu instid0(VALU_DEP_2) | instskip(NEXT) | instid1(VALU_DEP_2)
	v_fma_f32 v5, v8, v4, -v9
	v_fmac_f32_e32 v6, v3, v4
	scratch_store_b64 off, v[5:6], off offset:256
.LBB63_143:
	s_wait_alu 0xfffe
	s_or_b32 exec_lo, exec_lo, s0
	s_wait_loadcnt 0x0
	s_wait_storecnt 0x0
	s_barrier_signal -1
	s_barrier_wait -1
	global_inv scope:SCOPE_SE
	scratch_load_b64 v[3:4], off, off offset:264
	s_mov_b32 s0, exec_lo
	s_wait_loadcnt 0x0
	ds_store_b64 v1, v[3:4]
	s_wait_dscnt 0x0
	s_barrier_signal -1
	s_barrier_wait -1
	global_inv scope:SCOPE_SE
	v_cmpx_gt_u32_e32 33, v0
	s_cbranch_execz .LBB63_147
; %bb.144:
	v_dual_mov_b32 v3, 0 :: v_dual_add_nc_u32 v4, -1, v0
	v_or_b32_e32 v5, 0x200, v197
	v_mov_b32_e32 v6, v197
	v_mov_b32_e32 v8, 0
	s_mov_b32 s1, 0
.LBB63_145:                             ; =>This Inner Loop Header: Depth=1
	scratch_load_b64 v[9:10], v6, off
	ds_load_b64 v[11:12], v5
	v_add_nc_u32_e32 v6, 8, v6
	v_add_nc_u32_e32 v4, 1, v4
	v_add_nc_u32_e32 v5, 8, v5
	s_delay_alu instid0(VALU_DEP_2)
	v_cmp_lt_u32_e32 vcc_lo, 31, v4
	s_wait_alu 0xfffe
	s_or_b32 s1, vcc_lo, s1
	s_wait_loadcnt_dscnt 0x0
	v_mul_f32_e32 v13, v12, v10
	v_mul_f32_e32 v10, v11, v10
	s_delay_alu instid0(VALU_DEP_2) | instskip(NEXT) | instid1(VALU_DEP_2)
	v_fma_f32 v11, v11, v9, -v13
	v_fmac_f32_e32 v10, v12, v9
	s_delay_alu instid0(VALU_DEP_1)
	v_dual_add_f32 v8, v8, v11 :: v_dual_add_f32 v3, v3, v10
	s_wait_alu 0xfffe
	s_and_not1_b32 exec_lo, exec_lo, s1
	s_cbranch_execnz .LBB63_145
; %bb.146:
	s_or_b32 exec_lo, exec_lo, s1
	v_mov_b32_e32 v4, 0
	ds_load_b64 v[4:5], v4 offset:264
	s_wait_dscnt 0x0
	v_mul_f32_e32 v9, v3, v5
	v_mul_f32_e32 v6, v8, v5
	s_delay_alu instid0(VALU_DEP_2) | instskip(NEXT) | instid1(VALU_DEP_2)
	v_fma_f32 v5, v8, v4, -v9
	v_fmac_f32_e32 v6, v3, v4
	scratch_store_b64 off, v[5:6], off offset:264
.LBB63_147:
	s_wait_alu 0xfffe
	s_or_b32 exec_lo, exec_lo, s0
	s_wait_loadcnt 0x0
	s_wait_storecnt 0x0
	s_barrier_signal -1
	s_barrier_wait -1
	global_inv scope:SCOPE_SE
	scratch_load_b64 v[3:4], off, off offset:272
	s_mov_b32 s0, exec_lo
	s_wait_loadcnt 0x0
	ds_store_b64 v1, v[3:4]
	s_wait_dscnt 0x0
	s_barrier_signal -1
	s_barrier_wait -1
	global_inv scope:SCOPE_SE
	v_cmpx_gt_u32_e32 34, v0
	s_cbranch_execz .LBB63_151
; %bb.148:
	v_dual_mov_b32 v3, 0 :: v_dual_add_nc_u32 v4, -1, v0
	v_or_b32_e32 v5, 0x200, v197
	v_mov_b32_e32 v6, v197
	v_mov_b32_e32 v8, 0
	s_mov_b32 s1, 0
.LBB63_149:                             ; =>This Inner Loop Header: Depth=1
	scratch_load_b64 v[9:10], v6, off
	ds_load_b64 v[11:12], v5
	v_add_nc_u32_e32 v6, 8, v6
	v_add_nc_u32_e32 v4, 1, v4
	v_add_nc_u32_e32 v5, 8, v5
	s_delay_alu instid0(VALU_DEP_2)
	v_cmp_lt_u32_e32 vcc_lo, 32, v4
	s_wait_alu 0xfffe
	s_or_b32 s1, vcc_lo, s1
	s_wait_loadcnt_dscnt 0x0
	v_mul_f32_e32 v13, v12, v10
	v_mul_f32_e32 v10, v11, v10
	s_delay_alu instid0(VALU_DEP_2) | instskip(NEXT) | instid1(VALU_DEP_2)
	v_fma_f32 v11, v11, v9, -v13
	v_fmac_f32_e32 v10, v12, v9
	s_delay_alu instid0(VALU_DEP_1)
	v_dual_add_f32 v8, v8, v11 :: v_dual_add_f32 v3, v3, v10
	s_wait_alu 0xfffe
	s_and_not1_b32 exec_lo, exec_lo, s1
	s_cbranch_execnz .LBB63_149
; %bb.150:
	s_or_b32 exec_lo, exec_lo, s1
	v_mov_b32_e32 v4, 0
	ds_load_b64 v[4:5], v4 offset:272
	s_wait_dscnt 0x0
	v_mul_f32_e32 v9, v3, v5
	v_mul_f32_e32 v6, v8, v5
	s_delay_alu instid0(VALU_DEP_2) | instskip(NEXT) | instid1(VALU_DEP_2)
	v_fma_f32 v5, v8, v4, -v9
	v_fmac_f32_e32 v6, v3, v4
	scratch_store_b64 off, v[5:6], off offset:272
.LBB63_151:
	s_wait_alu 0xfffe
	s_or_b32 exec_lo, exec_lo, s0
	s_wait_loadcnt 0x0
	s_wait_storecnt 0x0
	s_barrier_signal -1
	s_barrier_wait -1
	global_inv scope:SCOPE_SE
	scratch_load_b64 v[3:4], off, off offset:280
	s_mov_b32 s0, exec_lo
	s_wait_loadcnt 0x0
	ds_store_b64 v1, v[3:4]
	s_wait_dscnt 0x0
	s_barrier_signal -1
	s_barrier_wait -1
	global_inv scope:SCOPE_SE
	v_cmpx_gt_u32_e32 35, v0
	s_cbranch_execz .LBB63_155
; %bb.152:
	v_dual_mov_b32 v3, 0 :: v_dual_add_nc_u32 v4, -1, v0
	v_or_b32_e32 v5, 0x200, v197
	v_mov_b32_e32 v6, v197
	v_mov_b32_e32 v8, 0
	s_mov_b32 s1, 0
.LBB63_153:                             ; =>This Inner Loop Header: Depth=1
	scratch_load_b64 v[9:10], v6, off
	ds_load_b64 v[11:12], v5
	v_add_nc_u32_e32 v6, 8, v6
	v_add_nc_u32_e32 v4, 1, v4
	v_add_nc_u32_e32 v5, 8, v5
	s_delay_alu instid0(VALU_DEP_2)
	v_cmp_lt_u32_e32 vcc_lo, 33, v4
	s_wait_alu 0xfffe
	s_or_b32 s1, vcc_lo, s1
	s_wait_loadcnt_dscnt 0x0
	v_mul_f32_e32 v13, v12, v10
	v_mul_f32_e32 v10, v11, v10
	s_delay_alu instid0(VALU_DEP_2) | instskip(NEXT) | instid1(VALU_DEP_2)
	v_fma_f32 v11, v11, v9, -v13
	v_fmac_f32_e32 v10, v12, v9
	s_delay_alu instid0(VALU_DEP_1)
	v_dual_add_f32 v8, v8, v11 :: v_dual_add_f32 v3, v3, v10
	s_wait_alu 0xfffe
	s_and_not1_b32 exec_lo, exec_lo, s1
	s_cbranch_execnz .LBB63_153
; %bb.154:
	s_or_b32 exec_lo, exec_lo, s1
	v_mov_b32_e32 v4, 0
	ds_load_b64 v[4:5], v4 offset:280
	s_wait_dscnt 0x0
	v_mul_f32_e32 v9, v3, v5
	v_mul_f32_e32 v6, v8, v5
	s_delay_alu instid0(VALU_DEP_2) | instskip(NEXT) | instid1(VALU_DEP_2)
	v_fma_f32 v5, v8, v4, -v9
	v_fmac_f32_e32 v6, v3, v4
	scratch_store_b64 off, v[5:6], off offset:280
.LBB63_155:
	s_wait_alu 0xfffe
	s_or_b32 exec_lo, exec_lo, s0
	s_wait_loadcnt 0x0
	s_wait_storecnt 0x0
	s_barrier_signal -1
	s_barrier_wait -1
	global_inv scope:SCOPE_SE
	scratch_load_b64 v[3:4], off, off offset:288
	s_mov_b32 s0, exec_lo
	s_wait_loadcnt 0x0
	ds_store_b64 v1, v[3:4]
	s_wait_dscnt 0x0
	s_barrier_signal -1
	s_barrier_wait -1
	global_inv scope:SCOPE_SE
	v_cmpx_gt_u32_e32 36, v0
	s_cbranch_execz .LBB63_159
; %bb.156:
	v_dual_mov_b32 v3, 0 :: v_dual_add_nc_u32 v4, -1, v0
	v_or_b32_e32 v5, 0x200, v197
	v_mov_b32_e32 v6, v197
	v_mov_b32_e32 v8, 0
	s_mov_b32 s1, 0
.LBB63_157:                             ; =>This Inner Loop Header: Depth=1
	scratch_load_b64 v[9:10], v6, off
	ds_load_b64 v[11:12], v5
	v_add_nc_u32_e32 v6, 8, v6
	v_add_nc_u32_e32 v4, 1, v4
	v_add_nc_u32_e32 v5, 8, v5
	s_delay_alu instid0(VALU_DEP_2)
	v_cmp_lt_u32_e32 vcc_lo, 34, v4
	s_wait_alu 0xfffe
	s_or_b32 s1, vcc_lo, s1
	s_wait_loadcnt_dscnt 0x0
	v_mul_f32_e32 v13, v12, v10
	v_mul_f32_e32 v10, v11, v10
	s_delay_alu instid0(VALU_DEP_2) | instskip(NEXT) | instid1(VALU_DEP_2)
	v_fma_f32 v11, v11, v9, -v13
	v_fmac_f32_e32 v10, v12, v9
	s_delay_alu instid0(VALU_DEP_1)
	v_dual_add_f32 v8, v8, v11 :: v_dual_add_f32 v3, v3, v10
	s_wait_alu 0xfffe
	s_and_not1_b32 exec_lo, exec_lo, s1
	s_cbranch_execnz .LBB63_157
; %bb.158:
	s_or_b32 exec_lo, exec_lo, s1
	v_mov_b32_e32 v4, 0
	ds_load_b64 v[4:5], v4 offset:288
	s_wait_dscnt 0x0
	v_mul_f32_e32 v9, v3, v5
	v_mul_f32_e32 v6, v8, v5
	s_delay_alu instid0(VALU_DEP_2) | instskip(NEXT) | instid1(VALU_DEP_2)
	v_fma_f32 v5, v8, v4, -v9
	v_fmac_f32_e32 v6, v3, v4
	scratch_store_b64 off, v[5:6], off offset:288
.LBB63_159:
	s_wait_alu 0xfffe
	s_or_b32 exec_lo, exec_lo, s0
	s_wait_loadcnt 0x0
	s_wait_storecnt 0x0
	s_barrier_signal -1
	s_barrier_wait -1
	global_inv scope:SCOPE_SE
	scratch_load_b64 v[3:4], off, off offset:296
	s_mov_b32 s0, exec_lo
	s_wait_loadcnt 0x0
	ds_store_b64 v1, v[3:4]
	s_wait_dscnt 0x0
	s_barrier_signal -1
	s_barrier_wait -1
	global_inv scope:SCOPE_SE
	v_cmpx_gt_u32_e32 37, v0
	s_cbranch_execz .LBB63_163
; %bb.160:
	v_dual_mov_b32 v3, 0 :: v_dual_add_nc_u32 v4, -1, v0
	v_or_b32_e32 v5, 0x200, v197
	v_mov_b32_e32 v6, v197
	v_mov_b32_e32 v8, 0
	s_mov_b32 s1, 0
.LBB63_161:                             ; =>This Inner Loop Header: Depth=1
	scratch_load_b64 v[9:10], v6, off
	ds_load_b64 v[11:12], v5
	v_add_nc_u32_e32 v6, 8, v6
	v_add_nc_u32_e32 v4, 1, v4
	v_add_nc_u32_e32 v5, 8, v5
	s_delay_alu instid0(VALU_DEP_2)
	v_cmp_lt_u32_e32 vcc_lo, 35, v4
	s_wait_alu 0xfffe
	s_or_b32 s1, vcc_lo, s1
	s_wait_loadcnt_dscnt 0x0
	v_mul_f32_e32 v13, v12, v10
	v_mul_f32_e32 v10, v11, v10
	s_delay_alu instid0(VALU_DEP_2) | instskip(NEXT) | instid1(VALU_DEP_2)
	v_fma_f32 v11, v11, v9, -v13
	v_fmac_f32_e32 v10, v12, v9
	s_delay_alu instid0(VALU_DEP_1)
	v_dual_add_f32 v8, v8, v11 :: v_dual_add_f32 v3, v3, v10
	s_wait_alu 0xfffe
	s_and_not1_b32 exec_lo, exec_lo, s1
	s_cbranch_execnz .LBB63_161
; %bb.162:
	s_or_b32 exec_lo, exec_lo, s1
	v_mov_b32_e32 v4, 0
	ds_load_b64 v[4:5], v4 offset:296
	s_wait_dscnt 0x0
	v_mul_f32_e32 v9, v3, v5
	v_mul_f32_e32 v6, v8, v5
	s_delay_alu instid0(VALU_DEP_2) | instskip(NEXT) | instid1(VALU_DEP_2)
	v_fma_f32 v5, v8, v4, -v9
	v_fmac_f32_e32 v6, v3, v4
	scratch_store_b64 off, v[5:6], off offset:296
.LBB63_163:
	s_wait_alu 0xfffe
	s_or_b32 exec_lo, exec_lo, s0
	s_wait_loadcnt 0x0
	s_wait_storecnt 0x0
	s_barrier_signal -1
	s_barrier_wait -1
	global_inv scope:SCOPE_SE
	scratch_load_b64 v[3:4], off, off offset:304
	s_mov_b32 s0, exec_lo
	s_wait_loadcnt 0x0
	ds_store_b64 v1, v[3:4]
	s_wait_dscnt 0x0
	s_barrier_signal -1
	s_barrier_wait -1
	global_inv scope:SCOPE_SE
	v_cmpx_gt_u32_e32 38, v0
	s_cbranch_execz .LBB63_167
; %bb.164:
	v_dual_mov_b32 v3, 0 :: v_dual_add_nc_u32 v4, -1, v0
	v_or_b32_e32 v5, 0x200, v197
	v_mov_b32_e32 v6, v197
	v_mov_b32_e32 v8, 0
	s_mov_b32 s1, 0
.LBB63_165:                             ; =>This Inner Loop Header: Depth=1
	scratch_load_b64 v[9:10], v6, off
	ds_load_b64 v[11:12], v5
	v_add_nc_u32_e32 v6, 8, v6
	v_add_nc_u32_e32 v4, 1, v4
	v_add_nc_u32_e32 v5, 8, v5
	s_delay_alu instid0(VALU_DEP_2)
	v_cmp_lt_u32_e32 vcc_lo, 36, v4
	s_wait_alu 0xfffe
	s_or_b32 s1, vcc_lo, s1
	s_wait_loadcnt_dscnt 0x0
	v_mul_f32_e32 v13, v12, v10
	v_mul_f32_e32 v10, v11, v10
	s_delay_alu instid0(VALU_DEP_2) | instskip(NEXT) | instid1(VALU_DEP_2)
	v_fma_f32 v11, v11, v9, -v13
	v_fmac_f32_e32 v10, v12, v9
	s_delay_alu instid0(VALU_DEP_1)
	v_dual_add_f32 v8, v8, v11 :: v_dual_add_f32 v3, v3, v10
	s_wait_alu 0xfffe
	s_and_not1_b32 exec_lo, exec_lo, s1
	s_cbranch_execnz .LBB63_165
; %bb.166:
	s_or_b32 exec_lo, exec_lo, s1
	v_mov_b32_e32 v4, 0
	ds_load_b64 v[4:5], v4 offset:304
	s_wait_dscnt 0x0
	v_mul_f32_e32 v9, v3, v5
	v_mul_f32_e32 v6, v8, v5
	s_delay_alu instid0(VALU_DEP_2) | instskip(NEXT) | instid1(VALU_DEP_2)
	v_fma_f32 v5, v8, v4, -v9
	v_fmac_f32_e32 v6, v3, v4
	scratch_store_b64 off, v[5:6], off offset:304
.LBB63_167:
	s_wait_alu 0xfffe
	s_or_b32 exec_lo, exec_lo, s0
	s_wait_loadcnt 0x0
	s_wait_storecnt 0x0
	s_barrier_signal -1
	s_barrier_wait -1
	global_inv scope:SCOPE_SE
	scratch_load_b64 v[3:4], off, off offset:312
	s_mov_b32 s0, exec_lo
	s_wait_loadcnt 0x0
	ds_store_b64 v1, v[3:4]
	s_wait_dscnt 0x0
	s_barrier_signal -1
	s_barrier_wait -1
	global_inv scope:SCOPE_SE
	v_cmpx_gt_u32_e32 39, v0
	s_cbranch_execz .LBB63_171
; %bb.168:
	v_dual_mov_b32 v3, 0 :: v_dual_add_nc_u32 v4, -1, v0
	v_or_b32_e32 v5, 0x200, v197
	v_mov_b32_e32 v6, v197
	v_mov_b32_e32 v8, 0
	s_mov_b32 s1, 0
.LBB63_169:                             ; =>This Inner Loop Header: Depth=1
	scratch_load_b64 v[9:10], v6, off
	ds_load_b64 v[11:12], v5
	v_add_nc_u32_e32 v6, 8, v6
	v_add_nc_u32_e32 v4, 1, v4
	v_add_nc_u32_e32 v5, 8, v5
	s_delay_alu instid0(VALU_DEP_2)
	v_cmp_lt_u32_e32 vcc_lo, 37, v4
	s_wait_alu 0xfffe
	s_or_b32 s1, vcc_lo, s1
	s_wait_loadcnt_dscnt 0x0
	v_mul_f32_e32 v13, v12, v10
	v_mul_f32_e32 v10, v11, v10
	s_delay_alu instid0(VALU_DEP_2) | instskip(NEXT) | instid1(VALU_DEP_2)
	v_fma_f32 v11, v11, v9, -v13
	v_fmac_f32_e32 v10, v12, v9
	s_delay_alu instid0(VALU_DEP_1)
	v_dual_add_f32 v8, v8, v11 :: v_dual_add_f32 v3, v3, v10
	s_wait_alu 0xfffe
	s_and_not1_b32 exec_lo, exec_lo, s1
	s_cbranch_execnz .LBB63_169
; %bb.170:
	s_or_b32 exec_lo, exec_lo, s1
	v_mov_b32_e32 v4, 0
	ds_load_b64 v[4:5], v4 offset:312
	s_wait_dscnt 0x0
	v_mul_f32_e32 v9, v3, v5
	v_mul_f32_e32 v6, v8, v5
	s_delay_alu instid0(VALU_DEP_2) | instskip(NEXT) | instid1(VALU_DEP_2)
	v_fma_f32 v5, v8, v4, -v9
	v_fmac_f32_e32 v6, v3, v4
	scratch_store_b64 off, v[5:6], off offset:312
.LBB63_171:
	s_wait_alu 0xfffe
	s_or_b32 exec_lo, exec_lo, s0
	s_wait_loadcnt 0x0
	s_wait_storecnt 0x0
	s_barrier_signal -1
	s_barrier_wait -1
	global_inv scope:SCOPE_SE
	scratch_load_b64 v[3:4], off, off offset:320
	s_mov_b32 s0, exec_lo
	s_wait_loadcnt 0x0
	ds_store_b64 v1, v[3:4]
	s_wait_dscnt 0x0
	s_barrier_signal -1
	s_barrier_wait -1
	global_inv scope:SCOPE_SE
	v_cmpx_gt_u32_e32 40, v0
	s_cbranch_execz .LBB63_175
; %bb.172:
	v_dual_mov_b32 v3, 0 :: v_dual_add_nc_u32 v4, -1, v0
	v_or_b32_e32 v5, 0x200, v197
	v_mov_b32_e32 v6, v197
	v_mov_b32_e32 v8, 0
	s_mov_b32 s1, 0
.LBB63_173:                             ; =>This Inner Loop Header: Depth=1
	scratch_load_b64 v[9:10], v6, off
	ds_load_b64 v[11:12], v5
	v_add_nc_u32_e32 v6, 8, v6
	v_add_nc_u32_e32 v4, 1, v4
	v_add_nc_u32_e32 v5, 8, v5
	s_delay_alu instid0(VALU_DEP_2)
	v_cmp_lt_u32_e32 vcc_lo, 38, v4
	s_wait_alu 0xfffe
	s_or_b32 s1, vcc_lo, s1
	s_wait_loadcnt_dscnt 0x0
	v_mul_f32_e32 v13, v12, v10
	v_mul_f32_e32 v10, v11, v10
	s_delay_alu instid0(VALU_DEP_2) | instskip(NEXT) | instid1(VALU_DEP_2)
	v_fma_f32 v11, v11, v9, -v13
	v_fmac_f32_e32 v10, v12, v9
	s_delay_alu instid0(VALU_DEP_1)
	v_dual_add_f32 v8, v8, v11 :: v_dual_add_f32 v3, v3, v10
	s_wait_alu 0xfffe
	s_and_not1_b32 exec_lo, exec_lo, s1
	s_cbranch_execnz .LBB63_173
; %bb.174:
	s_or_b32 exec_lo, exec_lo, s1
	v_mov_b32_e32 v4, 0
	ds_load_b64 v[4:5], v4 offset:320
	s_wait_dscnt 0x0
	v_mul_f32_e32 v9, v3, v5
	v_mul_f32_e32 v6, v8, v5
	s_delay_alu instid0(VALU_DEP_2) | instskip(NEXT) | instid1(VALU_DEP_2)
	v_fma_f32 v5, v8, v4, -v9
	v_fmac_f32_e32 v6, v3, v4
	scratch_store_b64 off, v[5:6], off offset:320
.LBB63_175:
	s_wait_alu 0xfffe
	s_or_b32 exec_lo, exec_lo, s0
	s_wait_loadcnt 0x0
	s_wait_storecnt 0x0
	s_barrier_signal -1
	s_barrier_wait -1
	global_inv scope:SCOPE_SE
	scratch_load_b64 v[3:4], off, off offset:328
	s_mov_b32 s0, exec_lo
	s_wait_loadcnt 0x0
	ds_store_b64 v1, v[3:4]
	s_wait_dscnt 0x0
	s_barrier_signal -1
	s_barrier_wait -1
	global_inv scope:SCOPE_SE
	v_cmpx_gt_u32_e32 41, v0
	s_cbranch_execz .LBB63_179
; %bb.176:
	v_dual_mov_b32 v3, 0 :: v_dual_add_nc_u32 v4, -1, v0
	v_or_b32_e32 v5, 0x200, v197
	v_mov_b32_e32 v6, v197
	v_mov_b32_e32 v8, 0
	s_mov_b32 s1, 0
.LBB63_177:                             ; =>This Inner Loop Header: Depth=1
	scratch_load_b64 v[9:10], v6, off
	ds_load_b64 v[11:12], v5
	v_add_nc_u32_e32 v6, 8, v6
	v_add_nc_u32_e32 v4, 1, v4
	v_add_nc_u32_e32 v5, 8, v5
	s_delay_alu instid0(VALU_DEP_2)
	v_cmp_lt_u32_e32 vcc_lo, 39, v4
	s_wait_alu 0xfffe
	s_or_b32 s1, vcc_lo, s1
	s_wait_loadcnt_dscnt 0x0
	v_mul_f32_e32 v13, v12, v10
	v_mul_f32_e32 v10, v11, v10
	s_delay_alu instid0(VALU_DEP_2) | instskip(NEXT) | instid1(VALU_DEP_2)
	v_fma_f32 v11, v11, v9, -v13
	v_fmac_f32_e32 v10, v12, v9
	s_delay_alu instid0(VALU_DEP_1)
	v_dual_add_f32 v8, v8, v11 :: v_dual_add_f32 v3, v3, v10
	s_wait_alu 0xfffe
	s_and_not1_b32 exec_lo, exec_lo, s1
	s_cbranch_execnz .LBB63_177
; %bb.178:
	s_or_b32 exec_lo, exec_lo, s1
	v_mov_b32_e32 v4, 0
	ds_load_b64 v[4:5], v4 offset:328
	s_wait_dscnt 0x0
	v_mul_f32_e32 v9, v3, v5
	v_mul_f32_e32 v6, v8, v5
	s_delay_alu instid0(VALU_DEP_2) | instskip(NEXT) | instid1(VALU_DEP_2)
	v_fma_f32 v5, v8, v4, -v9
	v_fmac_f32_e32 v6, v3, v4
	scratch_store_b64 off, v[5:6], off offset:328
.LBB63_179:
	s_wait_alu 0xfffe
	s_or_b32 exec_lo, exec_lo, s0
	s_wait_loadcnt 0x0
	s_wait_storecnt 0x0
	s_barrier_signal -1
	s_barrier_wait -1
	global_inv scope:SCOPE_SE
	scratch_load_b64 v[3:4], off, off offset:336
	s_mov_b32 s0, exec_lo
	s_wait_loadcnt 0x0
	ds_store_b64 v1, v[3:4]
	s_wait_dscnt 0x0
	s_barrier_signal -1
	s_barrier_wait -1
	global_inv scope:SCOPE_SE
	v_cmpx_gt_u32_e32 42, v0
	s_cbranch_execz .LBB63_183
; %bb.180:
	v_dual_mov_b32 v3, 0 :: v_dual_add_nc_u32 v4, -1, v0
	v_or_b32_e32 v5, 0x200, v197
	v_mov_b32_e32 v6, v197
	v_mov_b32_e32 v8, 0
	s_mov_b32 s1, 0
.LBB63_181:                             ; =>This Inner Loop Header: Depth=1
	scratch_load_b64 v[9:10], v6, off
	ds_load_b64 v[11:12], v5
	v_add_nc_u32_e32 v6, 8, v6
	v_add_nc_u32_e32 v4, 1, v4
	v_add_nc_u32_e32 v5, 8, v5
	s_delay_alu instid0(VALU_DEP_2)
	v_cmp_lt_u32_e32 vcc_lo, 40, v4
	s_wait_alu 0xfffe
	s_or_b32 s1, vcc_lo, s1
	s_wait_loadcnt_dscnt 0x0
	v_mul_f32_e32 v13, v12, v10
	v_mul_f32_e32 v10, v11, v10
	s_delay_alu instid0(VALU_DEP_2) | instskip(NEXT) | instid1(VALU_DEP_2)
	v_fma_f32 v11, v11, v9, -v13
	v_fmac_f32_e32 v10, v12, v9
	s_delay_alu instid0(VALU_DEP_1)
	v_dual_add_f32 v8, v8, v11 :: v_dual_add_f32 v3, v3, v10
	s_wait_alu 0xfffe
	s_and_not1_b32 exec_lo, exec_lo, s1
	s_cbranch_execnz .LBB63_181
; %bb.182:
	s_or_b32 exec_lo, exec_lo, s1
	v_mov_b32_e32 v4, 0
	ds_load_b64 v[4:5], v4 offset:336
	s_wait_dscnt 0x0
	v_mul_f32_e32 v9, v3, v5
	v_mul_f32_e32 v6, v8, v5
	s_delay_alu instid0(VALU_DEP_2) | instskip(NEXT) | instid1(VALU_DEP_2)
	v_fma_f32 v5, v8, v4, -v9
	v_fmac_f32_e32 v6, v3, v4
	scratch_store_b64 off, v[5:6], off offset:336
.LBB63_183:
	s_wait_alu 0xfffe
	s_or_b32 exec_lo, exec_lo, s0
	s_wait_loadcnt 0x0
	s_wait_storecnt 0x0
	s_barrier_signal -1
	s_barrier_wait -1
	global_inv scope:SCOPE_SE
	scratch_load_b64 v[3:4], off, off offset:344
	s_mov_b32 s0, exec_lo
	s_wait_loadcnt 0x0
	ds_store_b64 v1, v[3:4]
	s_wait_dscnt 0x0
	s_barrier_signal -1
	s_barrier_wait -1
	global_inv scope:SCOPE_SE
	v_cmpx_gt_u32_e32 43, v0
	s_cbranch_execz .LBB63_187
; %bb.184:
	v_dual_mov_b32 v3, 0 :: v_dual_add_nc_u32 v4, -1, v0
	v_or_b32_e32 v5, 0x200, v197
	v_mov_b32_e32 v6, v197
	v_mov_b32_e32 v8, 0
	s_mov_b32 s1, 0
.LBB63_185:                             ; =>This Inner Loop Header: Depth=1
	scratch_load_b64 v[9:10], v6, off
	ds_load_b64 v[11:12], v5
	v_add_nc_u32_e32 v6, 8, v6
	v_add_nc_u32_e32 v4, 1, v4
	v_add_nc_u32_e32 v5, 8, v5
	s_delay_alu instid0(VALU_DEP_2)
	v_cmp_lt_u32_e32 vcc_lo, 41, v4
	s_wait_alu 0xfffe
	s_or_b32 s1, vcc_lo, s1
	s_wait_loadcnt_dscnt 0x0
	v_mul_f32_e32 v13, v12, v10
	v_mul_f32_e32 v10, v11, v10
	s_delay_alu instid0(VALU_DEP_2) | instskip(NEXT) | instid1(VALU_DEP_2)
	v_fma_f32 v11, v11, v9, -v13
	v_fmac_f32_e32 v10, v12, v9
	s_delay_alu instid0(VALU_DEP_1)
	v_dual_add_f32 v8, v8, v11 :: v_dual_add_f32 v3, v3, v10
	s_wait_alu 0xfffe
	s_and_not1_b32 exec_lo, exec_lo, s1
	s_cbranch_execnz .LBB63_185
; %bb.186:
	s_or_b32 exec_lo, exec_lo, s1
	v_mov_b32_e32 v4, 0
	ds_load_b64 v[4:5], v4 offset:344
	s_wait_dscnt 0x0
	v_mul_f32_e32 v9, v3, v5
	v_mul_f32_e32 v6, v8, v5
	s_delay_alu instid0(VALU_DEP_2) | instskip(NEXT) | instid1(VALU_DEP_2)
	v_fma_f32 v5, v8, v4, -v9
	v_fmac_f32_e32 v6, v3, v4
	scratch_store_b64 off, v[5:6], off offset:344
.LBB63_187:
	s_wait_alu 0xfffe
	s_or_b32 exec_lo, exec_lo, s0
	s_wait_loadcnt 0x0
	s_wait_storecnt 0x0
	s_barrier_signal -1
	s_barrier_wait -1
	global_inv scope:SCOPE_SE
	scratch_load_b64 v[3:4], off, off offset:352
	s_mov_b32 s0, exec_lo
	s_wait_loadcnt 0x0
	ds_store_b64 v1, v[3:4]
	s_wait_dscnt 0x0
	s_barrier_signal -1
	s_barrier_wait -1
	global_inv scope:SCOPE_SE
	v_cmpx_gt_u32_e32 44, v0
	s_cbranch_execz .LBB63_191
; %bb.188:
	v_dual_mov_b32 v3, 0 :: v_dual_add_nc_u32 v4, -1, v0
	v_or_b32_e32 v5, 0x200, v197
	v_mov_b32_e32 v6, v197
	v_mov_b32_e32 v8, 0
	s_mov_b32 s1, 0
.LBB63_189:                             ; =>This Inner Loop Header: Depth=1
	scratch_load_b64 v[9:10], v6, off
	ds_load_b64 v[11:12], v5
	v_add_nc_u32_e32 v6, 8, v6
	v_add_nc_u32_e32 v4, 1, v4
	v_add_nc_u32_e32 v5, 8, v5
	s_delay_alu instid0(VALU_DEP_2)
	v_cmp_lt_u32_e32 vcc_lo, 42, v4
	s_wait_alu 0xfffe
	s_or_b32 s1, vcc_lo, s1
	s_wait_loadcnt_dscnt 0x0
	v_mul_f32_e32 v13, v12, v10
	v_mul_f32_e32 v10, v11, v10
	s_delay_alu instid0(VALU_DEP_2) | instskip(NEXT) | instid1(VALU_DEP_2)
	v_fma_f32 v11, v11, v9, -v13
	v_fmac_f32_e32 v10, v12, v9
	s_delay_alu instid0(VALU_DEP_1)
	v_dual_add_f32 v8, v8, v11 :: v_dual_add_f32 v3, v3, v10
	s_wait_alu 0xfffe
	s_and_not1_b32 exec_lo, exec_lo, s1
	s_cbranch_execnz .LBB63_189
; %bb.190:
	s_or_b32 exec_lo, exec_lo, s1
	v_mov_b32_e32 v4, 0
	ds_load_b64 v[4:5], v4 offset:352
	s_wait_dscnt 0x0
	v_mul_f32_e32 v9, v3, v5
	v_mul_f32_e32 v6, v8, v5
	s_delay_alu instid0(VALU_DEP_2) | instskip(NEXT) | instid1(VALU_DEP_2)
	v_fma_f32 v5, v8, v4, -v9
	v_fmac_f32_e32 v6, v3, v4
	scratch_store_b64 off, v[5:6], off offset:352
.LBB63_191:
	s_wait_alu 0xfffe
	s_or_b32 exec_lo, exec_lo, s0
	s_wait_loadcnt 0x0
	s_wait_storecnt 0x0
	s_barrier_signal -1
	s_barrier_wait -1
	global_inv scope:SCOPE_SE
	scratch_load_b64 v[3:4], off, off offset:360
	s_mov_b32 s0, exec_lo
	s_wait_loadcnt 0x0
	ds_store_b64 v1, v[3:4]
	s_wait_dscnt 0x0
	s_barrier_signal -1
	s_barrier_wait -1
	global_inv scope:SCOPE_SE
	v_cmpx_gt_u32_e32 45, v0
	s_cbranch_execz .LBB63_195
; %bb.192:
	v_dual_mov_b32 v3, 0 :: v_dual_add_nc_u32 v4, -1, v0
	v_or_b32_e32 v5, 0x200, v197
	v_mov_b32_e32 v6, v197
	v_mov_b32_e32 v8, 0
	s_mov_b32 s1, 0
.LBB63_193:                             ; =>This Inner Loop Header: Depth=1
	scratch_load_b64 v[9:10], v6, off
	ds_load_b64 v[11:12], v5
	v_add_nc_u32_e32 v6, 8, v6
	v_add_nc_u32_e32 v4, 1, v4
	v_add_nc_u32_e32 v5, 8, v5
	s_delay_alu instid0(VALU_DEP_2)
	v_cmp_lt_u32_e32 vcc_lo, 43, v4
	s_wait_alu 0xfffe
	s_or_b32 s1, vcc_lo, s1
	s_wait_loadcnt_dscnt 0x0
	v_mul_f32_e32 v13, v12, v10
	v_mul_f32_e32 v10, v11, v10
	s_delay_alu instid0(VALU_DEP_2) | instskip(NEXT) | instid1(VALU_DEP_2)
	v_fma_f32 v11, v11, v9, -v13
	v_fmac_f32_e32 v10, v12, v9
	s_delay_alu instid0(VALU_DEP_1)
	v_dual_add_f32 v8, v8, v11 :: v_dual_add_f32 v3, v3, v10
	s_wait_alu 0xfffe
	s_and_not1_b32 exec_lo, exec_lo, s1
	s_cbranch_execnz .LBB63_193
; %bb.194:
	s_or_b32 exec_lo, exec_lo, s1
	v_mov_b32_e32 v4, 0
	ds_load_b64 v[4:5], v4 offset:360
	s_wait_dscnt 0x0
	v_mul_f32_e32 v9, v3, v5
	v_mul_f32_e32 v6, v8, v5
	s_delay_alu instid0(VALU_DEP_2) | instskip(NEXT) | instid1(VALU_DEP_2)
	v_fma_f32 v5, v8, v4, -v9
	v_fmac_f32_e32 v6, v3, v4
	scratch_store_b64 off, v[5:6], off offset:360
.LBB63_195:
	s_wait_alu 0xfffe
	s_or_b32 exec_lo, exec_lo, s0
	s_wait_loadcnt 0x0
	s_wait_storecnt 0x0
	s_barrier_signal -1
	s_barrier_wait -1
	global_inv scope:SCOPE_SE
	scratch_load_b64 v[3:4], off, off offset:368
	s_mov_b32 s0, exec_lo
	s_wait_loadcnt 0x0
	ds_store_b64 v1, v[3:4]
	s_wait_dscnt 0x0
	s_barrier_signal -1
	s_barrier_wait -1
	global_inv scope:SCOPE_SE
	v_cmpx_gt_u32_e32 46, v0
	s_cbranch_execz .LBB63_199
; %bb.196:
	v_dual_mov_b32 v3, 0 :: v_dual_add_nc_u32 v4, -1, v0
	v_or_b32_e32 v5, 0x200, v197
	v_mov_b32_e32 v6, v197
	v_mov_b32_e32 v8, 0
	s_mov_b32 s1, 0
.LBB63_197:                             ; =>This Inner Loop Header: Depth=1
	scratch_load_b64 v[9:10], v6, off
	ds_load_b64 v[11:12], v5
	v_add_nc_u32_e32 v6, 8, v6
	v_add_nc_u32_e32 v4, 1, v4
	v_add_nc_u32_e32 v5, 8, v5
	s_delay_alu instid0(VALU_DEP_2)
	v_cmp_lt_u32_e32 vcc_lo, 44, v4
	s_wait_alu 0xfffe
	s_or_b32 s1, vcc_lo, s1
	s_wait_loadcnt_dscnt 0x0
	v_mul_f32_e32 v13, v12, v10
	v_mul_f32_e32 v10, v11, v10
	s_delay_alu instid0(VALU_DEP_2) | instskip(NEXT) | instid1(VALU_DEP_2)
	v_fma_f32 v11, v11, v9, -v13
	v_fmac_f32_e32 v10, v12, v9
	s_delay_alu instid0(VALU_DEP_1)
	v_dual_add_f32 v8, v8, v11 :: v_dual_add_f32 v3, v3, v10
	s_wait_alu 0xfffe
	s_and_not1_b32 exec_lo, exec_lo, s1
	s_cbranch_execnz .LBB63_197
; %bb.198:
	s_or_b32 exec_lo, exec_lo, s1
	v_mov_b32_e32 v4, 0
	ds_load_b64 v[4:5], v4 offset:368
	s_wait_dscnt 0x0
	v_mul_f32_e32 v9, v3, v5
	v_mul_f32_e32 v6, v8, v5
	s_delay_alu instid0(VALU_DEP_2) | instskip(NEXT) | instid1(VALU_DEP_2)
	v_fma_f32 v5, v8, v4, -v9
	v_fmac_f32_e32 v6, v3, v4
	scratch_store_b64 off, v[5:6], off offset:368
.LBB63_199:
	s_wait_alu 0xfffe
	s_or_b32 exec_lo, exec_lo, s0
	s_wait_loadcnt 0x0
	s_wait_storecnt 0x0
	s_barrier_signal -1
	s_barrier_wait -1
	global_inv scope:SCOPE_SE
	scratch_load_b64 v[3:4], off, off offset:376
	s_mov_b32 s0, exec_lo
	s_wait_loadcnt 0x0
	ds_store_b64 v1, v[3:4]
	s_wait_dscnt 0x0
	s_barrier_signal -1
	s_barrier_wait -1
	global_inv scope:SCOPE_SE
	v_cmpx_gt_u32_e32 47, v0
	s_cbranch_execz .LBB63_203
; %bb.200:
	v_dual_mov_b32 v3, 0 :: v_dual_add_nc_u32 v4, -1, v0
	v_or_b32_e32 v5, 0x200, v197
	v_mov_b32_e32 v6, v197
	v_mov_b32_e32 v8, 0
	s_mov_b32 s1, 0
.LBB63_201:                             ; =>This Inner Loop Header: Depth=1
	scratch_load_b64 v[9:10], v6, off
	ds_load_b64 v[11:12], v5
	v_add_nc_u32_e32 v6, 8, v6
	v_add_nc_u32_e32 v4, 1, v4
	v_add_nc_u32_e32 v5, 8, v5
	s_delay_alu instid0(VALU_DEP_2)
	v_cmp_lt_u32_e32 vcc_lo, 45, v4
	s_wait_alu 0xfffe
	s_or_b32 s1, vcc_lo, s1
	s_wait_loadcnt_dscnt 0x0
	v_mul_f32_e32 v13, v12, v10
	v_mul_f32_e32 v10, v11, v10
	s_delay_alu instid0(VALU_DEP_2) | instskip(NEXT) | instid1(VALU_DEP_2)
	v_fma_f32 v11, v11, v9, -v13
	v_fmac_f32_e32 v10, v12, v9
	s_delay_alu instid0(VALU_DEP_1)
	v_dual_add_f32 v8, v8, v11 :: v_dual_add_f32 v3, v3, v10
	s_wait_alu 0xfffe
	s_and_not1_b32 exec_lo, exec_lo, s1
	s_cbranch_execnz .LBB63_201
; %bb.202:
	s_or_b32 exec_lo, exec_lo, s1
	v_mov_b32_e32 v4, 0
	ds_load_b64 v[4:5], v4 offset:376
	s_wait_dscnt 0x0
	v_mul_f32_e32 v9, v3, v5
	v_mul_f32_e32 v6, v8, v5
	s_delay_alu instid0(VALU_DEP_2) | instskip(NEXT) | instid1(VALU_DEP_2)
	v_fma_f32 v5, v8, v4, -v9
	v_fmac_f32_e32 v6, v3, v4
	scratch_store_b64 off, v[5:6], off offset:376
.LBB63_203:
	s_wait_alu 0xfffe
	s_or_b32 exec_lo, exec_lo, s0
	s_wait_loadcnt 0x0
	s_wait_storecnt 0x0
	s_barrier_signal -1
	s_barrier_wait -1
	global_inv scope:SCOPE_SE
	scratch_load_b64 v[3:4], off, off offset:384
	s_mov_b32 s0, exec_lo
	s_wait_loadcnt 0x0
	ds_store_b64 v1, v[3:4]
	s_wait_dscnt 0x0
	s_barrier_signal -1
	s_barrier_wait -1
	global_inv scope:SCOPE_SE
	v_cmpx_gt_u32_e32 48, v0
	s_cbranch_execz .LBB63_207
; %bb.204:
	v_dual_mov_b32 v3, 0 :: v_dual_add_nc_u32 v4, -1, v0
	v_or_b32_e32 v5, 0x200, v197
	v_mov_b32_e32 v6, v197
	v_mov_b32_e32 v8, 0
	s_mov_b32 s1, 0
.LBB63_205:                             ; =>This Inner Loop Header: Depth=1
	scratch_load_b64 v[9:10], v6, off
	ds_load_b64 v[11:12], v5
	v_add_nc_u32_e32 v6, 8, v6
	v_add_nc_u32_e32 v4, 1, v4
	v_add_nc_u32_e32 v5, 8, v5
	s_delay_alu instid0(VALU_DEP_2)
	v_cmp_lt_u32_e32 vcc_lo, 46, v4
	s_wait_alu 0xfffe
	s_or_b32 s1, vcc_lo, s1
	s_wait_loadcnt_dscnt 0x0
	v_mul_f32_e32 v13, v12, v10
	v_mul_f32_e32 v10, v11, v10
	s_delay_alu instid0(VALU_DEP_2) | instskip(NEXT) | instid1(VALU_DEP_2)
	v_fma_f32 v11, v11, v9, -v13
	v_fmac_f32_e32 v10, v12, v9
	s_delay_alu instid0(VALU_DEP_1)
	v_dual_add_f32 v8, v8, v11 :: v_dual_add_f32 v3, v3, v10
	s_wait_alu 0xfffe
	s_and_not1_b32 exec_lo, exec_lo, s1
	s_cbranch_execnz .LBB63_205
; %bb.206:
	s_or_b32 exec_lo, exec_lo, s1
	v_mov_b32_e32 v4, 0
	ds_load_b64 v[4:5], v4 offset:384
	s_wait_dscnt 0x0
	v_mul_f32_e32 v9, v3, v5
	v_mul_f32_e32 v6, v8, v5
	s_delay_alu instid0(VALU_DEP_2) | instskip(NEXT) | instid1(VALU_DEP_2)
	v_fma_f32 v5, v8, v4, -v9
	v_fmac_f32_e32 v6, v3, v4
	scratch_store_b64 off, v[5:6], off offset:384
.LBB63_207:
	s_wait_alu 0xfffe
	s_or_b32 exec_lo, exec_lo, s0
	s_wait_loadcnt 0x0
	s_wait_storecnt 0x0
	s_barrier_signal -1
	s_barrier_wait -1
	global_inv scope:SCOPE_SE
	scratch_load_b64 v[3:4], off, off offset:392
	s_mov_b32 s0, exec_lo
	s_wait_loadcnt 0x0
	ds_store_b64 v1, v[3:4]
	s_wait_dscnt 0x0
	s_barrier_signal -1
	s_barrier_wait -1
	global_inv scope:SCOPE_SE
	v_cmpx_gt_u32_e32 49, v0
	s_cbranch_execz .LBB63_211
; %bb.208:
	v_dual_mov_b32 v3, 0 :: v_dual_add_nc_u32 v4, -1, v0
	v_or_b32_e32 v5, 0x200, v197
	v_mov_b32_e32 v6, v197
	v_mov_b32_e32 v8, 0
	s_mov_b32 s1, 0
.LBB63_209:                             ; =>This Inner Loop Header: Depth=1
	scratch_load_b64 v[9:10], v6, off
	ds_load_b64 v[11:12], v5
	v_add_nc_u32_e32 v6, 8, v6
	v_add_nc_u32_e32 v4, 1, v4
	v_add_nc_u32_e32 v5, 8, v5
	s_delay_alu instid0(VALU_DEP_2)
	v_cmp_lt_u32_e32 vcc_lo, 47, v4
	s_wait_alu 0xfffe
	s_or_b32 s1, vcc_lo, s1
	s_wait_loadcnt_dscnt 0x0
	v_mul_f32_e32 v13, v12, v10
	v_mul_f32_e32 v10, v11, v10
	s_delay_alu instid0(VALU_DEP_2) | instskip(NEXT) | instid1(VALU_DEP_2)
	v_fma_f32 v11, v11, v9, -v13
	v_fmac_f32_e32 v10, v12, v9
	s_delay_alu instid0(VALU_DEP_1)
	v_dual_add_f32 v8, v8, v11 :: v_dual_add_f32 v3, v3, v10
	s_wait_alu 0xfffe
	s_and_not1_b32 exec_lo, exec_lo, s1
	s_cbranch_execnz .LBB63_209
; %bb.210:
	s_or_b32 exec_lo, exec_lo, s1
	v_mov_b32_e32 v4, 0
	ds_load_b64 v[4:5], v4 offset:392
	s_wait_dscnt 0x0
	v_mul_f32_e32 v9, v3, v5
	v_mul_f32_e32 v6, v8, v5
	s_delay_alu instid0(VALU_DEP_2) | instskip(NEXT) | instid1(VALU_DEP_2)
	v_fma_f32 v5, v8, v4, -v9
	v_fmac_f32_e32 v6, v3, v4
	scratch_store_b64 off, v[5:6], off offset:392
.LBB63_211:
	s_wait_alu 0xfffe
	s_or_b32 exec_lo, exec_lo, s0
	s_wait_loadcnt 0x0
	s_wait_storecnt 0x0
	s_barrier_signal -1
	s_barrier_wait -1
	global_inv scope:SCOPE_SE
	scratch_load_b64 v[3:4], off, off offset:400
	s_mov_b32 s0, exec_lo
	s_wait_loadcnt 0x0
	ds_store_b64 v1, v[3:4]
	s_wait_dscnt 0x0
	s_barrier_signal -1
	s_barrier_wait -1
	global_inv scope:SCOPE_SE
	v_cmpx_gt_u32_e32 50, v0
	s_cbranch_execz .LBB63_215
; %bb.212:
	v_dual_mov_b32 v3, 0 :: v_dual_add_nc_u32 v4, -1, v0
	v_or_b32_e32 v5, 0x200, v197
	v_mov_b32_e32 v6, v197
	v_mov_b32_e32 v8, 0
	s_mov_b32 s1, 0
.LBB63_213:                             ; =>This Inner Loop Header: Depth=1
	scratch_load_b64 v[9:10], v6, off
	ds_load_b64 v[11:12], v5
	v_add_nc_u32_e32 v6, 8, v6
	v_add_nc_u32_e32 v4, 1, v4
	v_add_nc_u32_e32 v5, 8, v5
	s_delay_alu instid0(VALU_DEP_2)
	v_cmp_lt_u32_e32 vcc_lo, 48, v4
	s_wait_alu 0xfffe
	s_or_b32 s1, vcc_lo, s1
	s_wait_loadcnt_dscnt 0x0
	v_mul_f32_e32 v13, v12, v10
	v_mul_f32_e32 v10, v11, v10
	s_delay_alu instid0(VALU_DEP_2) | instskip(NEXT) | instid1(VALU_DEP_2)
	v_fma_f32 v11, v11, v9, -v13
	v_fmac_f32_e32 v10, v12, v9
	s_delay_alu instid0(VALU_DEP_1)
	v_dual_add_f32 v8, v8, v11 :: v_dual_add_f32 v3, v3, v10
	s_wait_alu 0xfffe
	s_and_not1_b32 exec_lo, exec_lo, s1
	s_cbranch_execnz .LBB63_213
; %bb.214:
	s_or_b32 exec_lo, exec_lo, s1
	v_mov_b32_e32 v4, 0
	ds_load_b64 v[4:5], v4 offset:400
	s_wait_dscnt 0x0
	v_mul_f32_e32 v9, v3, v5
	v_mul_f32_e32 v6, v8, v5
	s_delay_alu instid0(VALU_DEP_2) | instskip(NEXT) | instid1(VALU_DEP_2)
	v_fma_f32 v5, v8, v4, -v9
	v_fmac_f32_e32 v6, v3, v4
	scratch_store_b64 off, v[5:6], off offset:400
.LBB63_215:
	s_wait_alu 0xfffe
	s_or_b32 exec_lo, exec_lo, s0
	s_wait_loadcnt 0x0
	s_wait_storecnt 0x0
	s_barrier_signal -1
	s_barrier_wait -1
	global_inv scope:SCOPE_SE
	scratch_load_b64 v[3:4], off, off offset:408
	s_mov_b32 s0, exec_lo
	s_wait_loadcnt 0x0
	ds_store_b64 v1, v[3:4]
	s_wait_dscnt 0x0
	s_barrier_signal -1
	s_barrier_wait -1
	global_inv scope:SCOPE_SE
	v_cmpx_gt_u32_e32 51, v0
	s_cbranch_execz .LBB63_219
; %bb.216:
	v_dual_mov_b32 v3, 0 :: v_dual_add_nc_u32 v4, -1, v0
	v_or_b32_e32 v5, 0x200, v197
	v_mov_b32_e32 v6, v197
	v_mov_b32_e32 v8, 0
	s_mov_b32 s1, 0
.LBB63_217:                             ; =>This Inner Loop Header: Depth=1
	scratch_load_b64 v[9:10], v6, off
	ds_load_b64 v[11:12], v5
	v_add_nc_u32_e32 v6, 8, v6
	v_add_nc_u32_e32 v4, 1, v4
	v_add_nc_u32_e32 v5, 8, v5
	s_delay_alu instid0(VALU_DEP_2)
	v_cmp_lt_u32_e32 vcc_lo, 49, v4
	s_wait_alu 0xfffe
	s_or_b32 s1, vcc_lo, s1
	s_wait_loadcnt_dscnt 0x0
	v_mul_f32_e32 v13, v12, v10
	v_mul_f32_e32 v10, v11, v10
	s_delay_alu instid0(VALU_DEP_2) | instskip(NEXT) | instid1(VALU_DEP_2)
	v_fma_f32 v11, v11, v9, -v13
	v_fmac_f32_e32 v10, v12, v9
	s_delay_alu instid0(VALU_DEP_1)
	v_dual_add_f32 v8, v8, v11 :: v_dual_add_f32 v3, v3, v10
	s_wait_alu 0xfffe
	s_and_not1_b32 exec_lo, exec_lo, s1
	s_cbranch_execnz .LBB63_217
; %bb.218:
	s_or_b32 exec_lo, exec_lo, s1
	v_mov_b32_e32 v4, 0
	ds_load_b64 v[4:5], v4 offset:408
	s_wait_dscnt 0x0
	v_mul_f32_e32 v9, v3, v5
	v_mul_f32_e32 v6, v8, v5
	s_delay_alu instid0(VALU_DEP_2) | instskip(NEXT) | instid1(VALU_DEP_2)
	v_fma_f32 v5, v8, v4, -v9
	v_fmac_f32_e32 v6, v3, v4
	scratch_store_b64 off, v[5:6], off offset:408
.LBB63_219:
	s_wait_alu 0xfffe
	s_or_b32 exec_lo, exec_lo, s0
	s_wait_loadcnt 0x0
	s_wait_storecnt 0x0
	s_barrier_signal -1
	s_barrier_wait -1
	global_inv scope:SCOPE_SE
	scratch_load_b64 v[3:4], off, off offset:416
	s_mov_b32 s0, exec_lo
	s_wait_loadcnt 0x0
	ds_store_b64 v1, v[3:4]
	s_wait_dscnt 0x0
	s_barrier_signal -1
	s_barrier_wait -1
	global_inv scope:SCOPE_SE
	v_cmpx_gt_u32_e32 52, v0
	s_cbranch_execz .LBB63_223
; %bb.220:
	v_dual_mov_b32 v3, 0 :: v_dual_add_nc_u32 v4, -1, v0
	v_or_b32_e32 v5, 0x200, v197
	v_mov_b32_e32 v6, v197
	v_mov_b32_e32 v8, 0
	s_mov_b32 s1, 0
.LBB63_221:                             ; =>This Inner Loop Header: Depth=1
	scratch_load_b64 v[9:10], v6, off
	ds_load_b64 v[11:12], v5
	v_add_nc_u32_e32 v6, 8, v6
	v_add_nc_u32_e32 v4, 1, v4
	v_add_nc_u32_e32 v5, 8, v5
	s_delay_alu instid0(VALU_DEP_2)
	v_cmp_lt_u32_e32 vcc_lo, 50, v4
	s_wait_alu 0xfffe
	s_or_b32 s1, vcc_lo, s1
	s_wait_loadcnt_dscnt 0x0
	v_mul_f32_e32 v13, v12, v10
	v_mul_f32_e32 v10, v11, v10
	s_delay_alu instid0(VALU_DEP_2) | instskip(NEXT) | instid1(VALU_DEP_2)
	v_fma_f32 v11, v11, v9, -v13
	v_fmac_f32_e32 v10, v12, v9
	s_delay_alu instid0(VALU_DEP_1)
	v_dual_add_f32 v8, v8, v11 :: v_dual_add_f32 v3, v3, v10
	s_wait_alu 0xfffe
	s_and_not1_b32 exec_lo, exec_lo, s1
	s_cbranch_execnz .LBB63_221
; %bb.222:
	s_or_b32 exec_lo, exec_lo, s1
	v_mov_b32_e32 v4, 0
	ds_load_b64 v[4:5], v4 offset:416
	s_wait_dscnt 0x0
	v_mul_f32_e32 v9, v3, v5
	v_mul_f32_e32 v6, v8, v5
	s_delay_alu instid0(VALU_DEP_2) | instskip(NEXT) | instid1(VALU_DEP_2)
	v_fma_f32 v5, v8, v4, -v9
	v_fmac_f32_e32 v6, v3, v4
	scratch_store_b64 off, v[5:6], off offset:416
.LBB63_223:
	s_wait_alu 0xfffe
	s_or_b32 exec_lo, exec_lo, s0
	s_wait_loadcnt 0x0
	s_wait_storecnt 0x0
	s_barrier_signal -1
	s_barrier_wait -1
	global_inv scope:SCOPE_SE
	scratch_load_b64 v[3:4], off, off offset:424
	s_mov_b32 s0, exec_lo
	s_wait_loadcnt 0x0
	ds_store_b64 v1, v[3:4]
	s_wait_dscnt 0x0
	s_barrier_signal -1
	s_barrier_wait -1
	global_inv scope:SCOPE_SE
	v_cmpx_gt_u32_e32 53, v0
	s_cbranch_execz .LBB63_227
; %bb.224:
	v_dual_mov_b32 v3, 0 :: v_dual_add_nc_u32 v4, -1, v0
	v_or_b32_e32 v5, 0x200, v197
	v_mov_b32_e32 v6, v197
	v_mov_b32_e32 v8, 0
	s_mov_b32 s1, 0
.LBB63_225:                             ; =>This Inner Loop Header: Depth=1
	scratch_load_b64 v[9:10], v6, off
	ds_load_b64 v[11:12], v5
	v_add_nc_u32_e32 v6, 8, v6
	v_add_nc_u32_e32 v4, 1, v4
	v_add_nc_u32_e32 v5, 8, v5
	s_delay_alu instid0(VALU_DEP_2)
	v_cmp_lt_u32_e32 vcc_lo, 51, v4
	s_wait_alu 0xfffe
	s_or_b32 s1, vcc_lo, s1
	s_wait_loadcnt_dscnt 0x0
	v_mul_f32_e32 v13, v12, v10
	v_mul_f32_e32 v10, v11, v10
	s_delay_alu instid0(VALU_DEP_2) | instskip(NEXT) | instid1(VALU_DEP_2)
	v_fma_f32 v11, v11, v9, -v13
	v_fmac_f32_e32 v10, v12, v9
	s_delay_alu instid0(VALU_DEP_1)
	v_dual_add_f32 v8, v8, v11 :: v_dual_add_f32 v3, v3, v10
	s_wait_alu 0xfffe
	s_and_not1_b32 exec_lo, exec_lo, s1
	s_cbranch_execnz .LBB63_225
; %bb.226:
	s_or_b32 exec_lo, exec_lo, s1
	v_mov_b32_e32 v4, 0
	ds_load_b64 v[4:5], v4 offset:424
	s_wait_dscnt 0x0
	v_mul_f32_e32 v9, v3, v5
	v_mul_f32_e32 v6, v8, v5
	s_delay_alu instid0(VALU_DEP_2) | instskip(NEXT) | instid1(VALU_DEP_2)
	v_fma_f32 v5, v8, v4, -v9
	v_fmac_f32_e32 v6, v3, v4
	scratch_store_b64 off, v[5:6], off offset:424
.LBB63_227:
	s_wait_alu 0xfffe
	s_or_b32 exec_lo, exec_lo, s0
	s_wait_loadcnt 0x0
	s_wait_storecnt 0x0
	s_barrier_signal -1
	s_barrier_wait -1
	global_inv scope:SCOPE_SE
	scratch_load_b64 v[3:4], off, off offset:432
	s_mov_b32 s0, exec_lo
	s_wait_loadcnt 0x0
	ds_store_b64 v1, v[3:4]
	s_wait_dscnt 0x0
	s_barrier_signal -1
	s_barrier_wait -1
	global_inv scope:SCOPE_SE
	v_cmpx_gt_u32_e32 54, v0
	s_cbranch_execz .LBB63_231
; %bb.228:
	v_dual_mov_b32 v3, 0 :: v_dual_add_nc_u32 v4, -1, v0
	v_or_b32_e32 v5, 0x200, v197
	v_mov_b32_e32 v6, v197
	v_mov_b32_e32 v8, 0
	s_mov_b32 s1, 0
.LBB63_229:                             ; =>This Inner Loop Header: Depth=1
	scratch_load_b64 v[9:10], v6, off
	ds_load_b64 v[11:12], v5
	v_add_nc_u32_e32 v6, 8, v6
	v_add_nc_u32_e32 v4, 1, v4
	v_add_nc_u32_e32 v5, 8, v5
	s_delay_alu instid0(VALU_DEP_2)
	v_cmp_lt_u32_e32 vcc_lo, 52, v4
	s_wait_alu 0xfffe
	s_or_b32 s1, vcc_lo, s1
	s_wait_loadcnt_dscnt 0x0
	v_mul_f32_e32 v13, v12, v10
	v_mul_f32_e32 v10, v11, v10
	s_delay_alu instid0(VALU_DEP_2) | instskip(NEXT) | instid1(VALU_DEP_2)
	v_fma_f32 v11, v11, v9, -v13
	v_fmac_f32_e32 v10, v12, v9
	s_delay_alu instid0(VALU_DEP_1)
	v_dual_add_f32 v8, v8, v11 :: v_dual_add_f32 v3, v3, v10
	s_wait_alu 0xfffe
	s_and_not1_b32 exec_lo, exec_lo, s1
	s_cbranch_execnz .LBB63_229
; %bb.230:
	s_or_b32 exec_lo, exec_lo, s1
	v_mov_b32_e32 v4, 0
	ds_load_b64 v[4:5], v4 offset:432
	s_wait_dscnt 0x0
	v_mul_f32_e32 v9, v3, v5
	v_mul_f32_e32 v6, v8, v5
	s_delay_alu instid0(VALU_DEP_2) | instskip(NEXT) | instid1(VALU_DEP_2)
	v_fma_f32 v5, v8, v4, -v9
	v_fmac_f32_e32 v6, v3, v4
	scratch_store_b64 off, v[5:6], off offset:432
.LBB63_231:
	s_wait_alu 0xfffe
	s_or_b32 exec_lo, exec_lo, s0
	s_wait_loadcnt 0x0
	s_wait_storecnt 0x0
	s_barrier_signal -1
	s_barrier_wait -1
	global_inv scope:SCOPE_SE
	scratch_load_b64 v[3:4], off, off offset:440
	s_mov_b32 s0, exec_lo
	s_wait_loadcnt 0x0
	ds_store_b64 v1, v[3:4]
	s_wait_dscnt 0x0
	s_barrier_signal -1
	s_barrier_wait -1
	global_inv scope:SCOPE_SE
	v_cmpx_gt_u32_e32 55, v0
	s_cbranch_execz .LBB63_235
; %bb.232:
	v_dual_mov_b32 v3, 0 :: v_dual_add_nc_u32 v4, -1, v0
	v_or_b32_e32 v5, 0x200, v197
	v_mov_b32_e32 v6, v197
	v_mov_b32_e32 v8, 0
	s_mov_b32 s1, 0
.LBB63_233:                             ; =>This Inner Loop Header: Depth=1
	scratch_load_b64 v[9:10], v6, off
	ds_load_b64 v[11:12], v5
	v_add_nc_u32_e32 v6, 8, v6
	v_add_nc_u32_e32 v4, 1, v4
	v_add_nc_u32_e32 v5, 8, v5
	s_delay_alu instid0(VALU_DEP_2)
	v_cmp_lt_u32_e32 vcc_lo, 53, v4
	s_wait_alu 0xfffe
	s_or_b32 s1, vcc_lo, s1
	s_wait_loadcnt_dscnt 0x0
	v_mul_f32_e32 v13, v12, v10
	v_mul_f32_e32 v10, v11, v10
	s_delay_alu instid0(VALU_DEP_2) | instskip(NEXT) | instid1(VALU_DEP_2)
	v_fma_f32 v11, v11, v9, -v13
	v_fmac_f32_e32 v10, v12, v9
	s_delay_alu instid0(VALU_DEP_1)
	v_dual_add_f32 v8, v8, v11 :: v_dual_add_f32 v3, v3, v10
	s_wait_alu 0xfffe
	s_and_not1_b32 exec_lo, exec_lo, s1
	s_cbranch_execnz .LBB63_233
; %bb.234:
	s_or_b32 exec_lo, exec_lo, s1
	v_mov_b32_e32 v4, 0
	ds_load_b64 v[4:5], v4 offset:440
	s_wait_dscnt 0x0
	v_mul_f32_e32 v9, v3, v5
	v_mul_f32_e32 v6, v8, v5
	s_delay_alu instid0(VALU_DEP_2) | instskip(NEXT) | instid1(VALU_DEP_2)
	v_fma_f32 v5, v8, v4, -v9
	v_fmac_f32_e32 v6, v3, v4
	scratch_store_b64 off, v[5:6], off offset:440
.LBB63_235:
	s_wait_alu 0xfffe
	s_or_b32 exec_lo, exec_lo, s0
	s_wait_loadcnt 0x0
	s_wait_storecnt 0x0
	s_barrier_signal -1
	s_barrier_wait -1
	global_inv scope:SCOPE_SE
	scratch_load_b64 v[3:4], off, off offset:448
	s_mov_b32 s0, exec_lo
	s_wait_loadcnt 0x0
	ds_store_b64 v1, v[3:4]
	s_wait_dscnt 0x0
	s_barrier_signal -1
	s_barrier_wait -1
	global_inv scope:SCOPE_SE
	v_cmpx_gt_u32_e32 56, v0
	s_cbranch_execz .LBB63_239
; %bb.236:
	v_dual_mov_b32 v3, 0 :: v_dual_add_nc_u32 v4, -1, v0
	v_or_b32_e32 v5, 0x200, v197
	v_mov_b32_e32 v6, v197
	v_mov_b32_e32 v8, 0
	s_mov_b32 s1, 0
.LBB63_237:                             ; =>This Inner Loop Header: Depth=1
	scratch_load_b64 v[9:10], v6, off
	ds_load_b64 v[11:12], v5
	v_add_nc_u32_e32 v6, 8, v6
	v_add_nc_u32_e32 v4, 1, v4
	v_add_nc_u32_e32 v5, 8, v5
	s_delay_alu instid0(VALU_DEP_2)
	v_cmp_lt_u32_e32 vcc_lo, 54, v4
	s_wait_alu 0xfffe
	s_or_b32 s1, vcc_lo, s1
	s_wait_loadcnt_dscnt 0x0
	v_mul_f32_e32 v13, v12, v10
	v_mul_f32_e32 v10, v11, v10
	s_delay_alu instid0(VALU_DEP_2) | instskip(NEXT) | instid1(VALU_DEP_2)
	v_fma_f32 v11, v11, v9, -v13
	v_fmac_f32_e32 v10, v12, v9
	s_delay_alu instid0(VALU_DEP_1)
	v_dual_add_f32 v8, v8, v11 :: v_dual_add_f32 v3, v3, v10
	s_wait_alu 0xfffe
	s_and_not1_b32 exec_lo, exec_lo, s1
	s_cbranch_execnz .LBB63_237
; %bb.238:
	s_or_b32 exec_lo, exec_lo, s1
	v_mov_b32_e32 v4, 0
	ds_load_b64 v[4:5], v4 offset:448
	s_wait_dscnt 0x0
	v_mul_f32_e32 v9, v3, v5
	v_mul_f32_e32 v6, v8, v5
	s_delay_alu instid0(VALU_DEP_2) | instskip(NEXT) | instid1(VALU_DEP_2)
	v_fma_f32 v5, v8, v4, -v9
	v_fmac_f32_e32 v6, v3, v4
	scratch_store_b64 off, v[5:6], off offset:448
.LBB63_239:
	s_wait_alu 0xfffe
	s_or_b32 exec_lo, exec_lo, s0
	s_wait_loadcnt 0x0
	s_wait_storecnt 0x0
	s_barrier_signal -1
	s_barrier_wait -1
	global_inv scope:SCOPE_SE
	scratch_load_b64 v[3:4], off, off offset:456
	s_mov_b32 s0, exec_lo
	s_wait_loadcnt 0x0
	ds_store_b64 v1, v[3:4]
	s_wait_dscnt 0x0
	s_barrier_signal -1
	s_barrier_wait -1
	global_inv scope:SCOPE_SE
	v_cmpx_gt_u32_e32 57, v0
	s_cbranch_execz .LBB63_243
; %bb.240:
	v_dual_mov_b32 v3, 0 :: v_dual_add_nc_u32 v4, -1, v0
	v_or_b32_e32 v5, 0x200, v197
	v_mov_b32_e32 v6, v197
	v_mov_b32_e32 v8, 0
	s_mov_b32 s1, 0
.LBB63_241:                             ; =>This Inner Loop Header: Depth=1
	scratch_load_b64 v[9:10], v6, off
	ds_load_b64 v[11:12], v5
	v_add_nc_u32_e32 v6, 8, v6
	v_add_nc_u32_e32 v4, 1, v4
	v_add_nc_u32_e32 v5, 8, v5
	s_delay_alu instid0(VALU_DEP_2)
	v_cmp_lt_u32_e32 vcc_lo, 55, v4
	s_wait_alu 0xfffe
	s_or_b32 s1, vcc_lo, s1
	s_wait_loadcnt_dscnt 0x0
	v_mul_f32_e32 v13, v12, v10
	v_mul_f32_e32 v10, v11, v10
	s_delay_alu instid0(VALU_DEP_2) | instskip(NEXT) | instid1(VALU_DEP_2)
	v_fma_f32 v11, v11, v9, -v13
	v_fmac_f32_e32 v10, v12, v9
	s_delay_alu instid0(VALU_DEP_1)
	v_dual_add_f32 v8, v8, v11 :: v_dual_add_f32 v3, v3, v10
	s_wait_alu 0xfffe
	s_and_not1_b32 exec_lo, exec_lo, s1
	s_cbranch_execnz .LBB63_241
; %bb.242:
	s_or_b32 exec_lo, exec_lo, s1
	v_mov_b32_e32 v4, 0
	ds_load_b64 v[4:5], v4 offset:456
	s_wait_dscnt 0x0
	v_mul_f32_e32 v9, v3, v5
	v_mul_f32_e32 v6, v8, v5
	s_delay_alu instid0(VALU_DEP_2) | instskip(NEXT) | instid1(VALU_DEP_2)
	v_fma_f32 v5, v8, v4, -v9
	v_fmac_f32_e32 v6, v3, v4
	scratch_store_b64 off, v[5:6], off offset:456
.LBB63_243:
	s_wait_alu 0xfffe
	s_or_b32 exec_lo, exec_lo, s0
	s_wait_loadcnt 0x0
	s_wait_storecnt 0x0
	s_barrier_signal -1
	s_barrier_wait -1
	global_inv scope:SCOPE_SE
	scratch_load_b64 v[3:4], off, off offset:464
	s_mov_b32 s0, exec_lo
	s_wait_loadcnt 0x0
	ds_store_b64 v1, v[3:4]
	s_wait_dscnt 0x0
	s_barrier_signal -1
	s_barrier_wait -1
	global_inv scope:SCOPE_SE
	v_cmpx_gt_u32_e32 58, v0
	s_cbranch_execz .LBB63_247
; %bb.244:
	v_dual_mov_b32 v3, 0 :: v_dual_add_nc_u32 v4, -1, v0
	v_or_b32_e32 v5, 0x200, v197
	v_mov_b32_e32 v6, v197
	v_mov_b32_e32 v8, 0
	s_mov_b32 s1, 0
.LBB63_245:                             ; =>This Inner Loop Header: Depth=1
	scratch_load_b64 v[9:10], v6, off
	ds_load_b64 v[11:12], v5
	v_add_nc_u32_e32 v6, 8, v6
	v_add_nc_u32_e32 v4, 1, v4
	v_add_nc_u32_e32 v5, 8, v5
	s_delay_alu instid0(VALU_DEP_2)
	v_cmp_lt_u32_e32 vcc_lo, 56, v4
	s_wait_alu 0xfffe
	s_or_b32 s1, vcc_lo, s1
	s_wait_loadcnt_dscnt 0x0
	v_mul_f32_e32 v13, v12, v10
	v_mul_f32_e32 v10, v11, v10
	s_delay_alu instid0(VALU_DEP_2) | instskip(NEXT) | instid1(VALU_DEP_2)
	v_fma_f32 v11, v11, v9, -v13
	v_fmac_f32_e32 v10, v12, v9
	s_delay_alu instid0(VALU_DEP_1)
	v_dual_add_f32 v8, v8, v11 :: v_dual_add_f32 v3, v3, v10
	s_wait_alu 0xfffe
	s_and_not1_b32 exec_lo, exec_lo, s1
	s_cbranch_execnz .LBB63_245
; %bb.246:
	s_or_b32 exec_lo, exec_lo, s1
	v_mov_b32_e32 v4, 0
	ds_load_b64 v[4:5], v4 offset:464
	s_wait_dscnt 0x0
	v_mul_f32_e32 v9, v3, v5
	v_mul_f32_e32 v6, v8, v5
	s_delay_alu instid0(VALU_DEP_2) | instskip(NEXT) | instid1(VALU_DEP_2)
	v_fma_f32 v5, v8, v4, -v9
	v_fmac_f32_e32 v6, v3, v4
	scratch_store_b64 off, v[5:6], off offset:464
.LBB63_247:
	s_wait_alu 0xfffe
	s_or_b32 exec_lo, exec_lo, s0
	s_wait_loadcnt 0x0
	s_wait_storecnt 0x0
	s_barrier_signal -1
	s_barrier_wait -1
	global_inv scope:SCOPE_SE
	scratch_load_b64 v[3:4], off, off offset:472
	s_mov_b32 s0, exec_lo
	s_wait_loadcnt 0x0
	ds_store_b64 v1, v[3:4]
	s_wait_dscnt 0x0
	s_barrier_signal -1
	s_barrier_wait -1
	global_inv scope:SCOPE_SE
	v_cmpx_gt_u32_e32 59, v0
	s_cbranch_execz .LBB63_251
; %bb.248:
	v_dual_mov_b32 v3, 0 :: v_dual_add_nc_u32 v4, -1, v0
	v_or_b32_e32 v5, 0x200, v197
	v_mov_b32_e32 v6, v197
	v_mov_b32_e32 v8, 0
	s_mov_b32 s1, 0
.LBB63_249:                             ; =>This Inner Loop Header: Depth=1
	scratch_load_b64 v[9:10], v6, off
	ds_load_b64 v[11:12], v5
	v_add_nc_u32_e32 v6, 8, v6
	v_add_nc_u32_e32 v4, 1, v4
	v_add_nc_u32_e32 v5, 8, v5
	s_delay_alu instid0(VALU_DEP_2)
	v_cmp_lt_u32_e32 vcc_lo, 57, v4
	s_wait_alu 0xfffe
	s_or_b32 s1, vcc_lo, s1
	s_wait_loadcnt_dscnt 0x0
	v_mul_f32_e32 v13, v12, v10
	v_mul_f32_e32 v10, v11, v10
	s_delay_alu instid0(VALU_DEP_2) | instskip(NEXT) | instid1(VALU_DEP_2)
	v_fma_f32 v11, v11, v9, -v13
	v_fmac_f32_e32 v10, v12, v9
	s_delay_alu instid0(VALU_DEP_1)
	v_dual_add_f32 v8, v8, v11 :: v_dual_add_f32 v3, v3, v10
	s_wait_alu 0xfffe
	s_and_not1_b32 exec_lo, exec_lo, s1
	s_cbranch_execnz .LBB63_249
; %bb.250:
	s_or_b32 exec_lo, exec_lo, s1
	v_mov_b32_e32 v4, 0
	ds_load_b64 v[4:5], v4 offset:472
	s_wait_dscnt 0x0
	v_mul_f32_e32 v9, v3, v5
	v_mul_f32_e32 v6, v8, v5
	s_delay_alu instid0(VALU_DEP_2) | instskip(NEXT) | instid1(VALU_DEP_2)
	v_fma_f32 v5, v8, v4, -v9
	v_fmac_f32_e32 v6, v3, v4
	scratch_store_b64 off, v[5:6], off offset:472
.LBB63_251:
	s_wait_alu 0xfffe
	s_or_b32 exec_lo, exec_lo, s0
	s_wait_loadcnt 0x0
	s_wait_storecnt 0x0
	s_barrier_signal -1
	s_barrier_wait -1
	global_inv scope:SCOPE_SE
	scratch_load_b64 v[3:4], off, off offset:480
	s_mov_b32 s0, exec_lo
	s_wait_loadcnt 0x0
	ds_store_b64 v1, v[3:4]
	s_wait_dscnt 0x0
	s_barrier_signal -1
	s_barrier_wait -1
	global_inv scope:SCOPE_SE
	v_cmpx_gt_u32_e32 60, v0
	s_cbranch_execz .LBB63_255
; %bb.252:
	v_dual_mov_b32 v3, 0 :: v_dual_add_nc_u32 v4, -1, v0
	v_or_b32_e32 v5, 0x200, v197
	v_mov_b32_e32 v6, v197
	v_mov_b32_e32 v8, 0
	s_mov_b32 s1, 0
.LBB63_253:                             ; =>This Inner Loop Header: Depth=1
	scratch_load_b64 v[9:10], v6, off
	ds_load_b64 v[11:12], v5
	v_add_nc_u32_e32 v6, 8, v6
	v_add_nc_u32_e32 v4, 1, v4
	v_add_nc_u32_e32 v5, 8, v5
	s_delay_alu instid0(VALU_DEP_2)
	v_cmp_lt_u32_e32 vcc_lo, 58, v4
	s_wait_alu 0xfffe
	s_or_b32 s1, vcc_lo, s1
	s_wait_loadcnt_dscnt 0x0
	v_mul_f32_e32 v13, v12, v10
	v_mul_f32_e32 v10, v11, v10
	s_delay_alu instid0(VALU_DEP_2) | instskip(NEXT) | instid1(VALU_DEP_2)
	v_fma_f32 v11, v11, v9, -v13
	v_fmac_f32_e32 v10, v12, v9
	s_delay_alu instid0(VALU_DEP_1)
	v_dual_add_f32 v8, v8, v11 :: v_dual_add_f32 v3, v3, v10
	s_wait_alu 0xfffe
	s_and_not1_b32 exec_lo, exec_lo, s1
	s_cbranch_execnz .LBB63_253
; %bb.254:
	s_or_b32 exec_lo, exec_lo, s1
	v_mov_b32_e32 v4, 0
	ds_load_b64 v[4:5], v4 offset:480
	s_wait_dscnt 0x0
	v_mul_f32_e32 v9, v3, v5
	v_mul_f32_e32 v6, v8, v5
	s_delay_alu instid0(VALU_DEP_2) | instskip(NEXT) | instid1(VALU_DEP_2)
	v_fma_f32 v5, v8, v4, -v9
	v_fmac_f32_e32 v6, v3, v4
	scratch_store_b64 off, v[5:6], off offset:480
.LBB63_255:
	s_wait_alu 0xfffe
	s_or_b32 exec_lo, exec_lo, s0
	s_wait_loadcnt 0x0
	s_wait_storecnt 0x0
	s_barrier_signal -1
	s_barrier_wait -1
	global_inv scope:SCOPE_SE
	scratch_load_b64 v[3:4], off, off offset:488
	s_mov_b32 s0, exec_lo
	s_wait_loadcnt 0x0
	ds_store_b64 v1, v[3:4]
	s_wait_dscnt 0x0
	s_barrier_signal -1
	s_barrier_wait -1
	global_inv scope:SCOPE_SE
	v_cmpx_gt_u32_e32 61, v0
	s_cbranch_execz .LBB63_259
; %bb.256:
	v_dual_mov_b32 v3, 0 :: v_dual_add_nc_u32 v4, -1, v0
	v_or_b32_e32 v5, 0x200, v197
	v_mov_b32_e32 v6, v197
	v_mov_b32_e32 v8, 0
	s_mov_b32 s1, 0
.LBB63_257:                             ; =>This Inner Loop Header: Depth=1
	scratch_load_b64 v[9:10], v6, off
	ds_load_b64 v[11:12], v5
	v_add_nc_u32_e32 v6, 8, v6
	v_add_nc_u32_e32 v4, 1, v4
	v_add_nc_u32_e32 v5, 8, v5
	s_delay_alu instid0(VALU_DEP_2)
	v_cmp_lt_u32_e32 vcc_lo, 59, v4
	s_wait_alu 0xfffe
	s_or_b32 s1, vcc_lo, s1
	s_wait_loadcnt_dscnt 0x0
	v_mul_f32_e32 v13, v12, v10
	v_mul_f32_e32 v10, v11, v10
	s_delay_alu instid0(VALU_DEP_2) | instskip(NEXT) | instid1(VALU_DEP_2)
	v_fma_f32 v11, v11, v9, -v13
	v_fmac_f32_e32 v10, v12, v9
	s_delay_alu instid0(VALU_DEP_1)
	v_dual_add_f32 v8, v8, v11 :: v_dual_add_f32 v3, v3, v10
	s_wait_alu 0xfffe
	s_and_not1_b32 exec_lo, exec_lo, s1
	s_cbranch_execnz .LBB63_257
; %bb.258:
	s_or_b32 exec_lo, exec_lo, s1
	v_mov_b32_e32 v4, 0
	ds_load_b64 v[4:5], v4 offset:488
	s_wait_dscnt 0x0
	v_mul_f32_e32 v9, v3, v5
	v_mul_f32_e32 v6, v8, v5
	s_delay_alu instid0(VALU_DEP_2) | instskip(NEXT) | instid1(VALU_DEP_2)
	v_fma_f32 v5, v8, v4, -v9
	v_fmac_f32_e32 v6, v3, v4
	scratch_store_b64 off, v[5:6], off offset:488
.LBB63_259:
	s_wait_alu 0xfffe
	s_or_b32 exec_lo, exec_lo, s0
	s_wait_loadcnt 0x0
	s_wait_storecnt 0x0
	s_barrier_signal -1
	s_barrier_wait -1
	global_inv scope:SCOPE_SE
	scratch_load_b64 v[3:4], off, off offset:496
	s_mov_b32 s0, exec_lo
	s_wait_loadcnt 0x0
	ds_store_b64 v1, v[3:4]
	s_wait_dscnt 0x0
	s_barrier_signal -1
	s_barrier_wait -1
	global_inv scope:SCOPE_SE
	v_cmpx_gt_u32_e32 62, v0
	s_cbranch_execz .LBB63_263
; %bb.260:
	v_dual_mov_b32 v3, 0 :: v_dual_add_nc_u32 v4, -1, v0
	v_or_b32_e32 v5, 0x200, v197
	v_mov_b32_e32 v6, v197
	v_mov_b32_e32 v8, 0
	s_mov_b32 s1, 0
.LBB63_261:                             ; =>This Inner Loop Header: Depth=1
	scratch_load_b64 v[9:10], v6, off
	ds_load_b64 v[11:12], v5
	v_add_nc_u32_e32 v6, 8, v6
	v_add_nc_u32_e32 v4, 1, v4
	v_add_nc_u32_e32 v5, 8, v5
	s_delay_alu instid0(VALU_DEP_2)
	v_cmp_lt_u32_e32 vcc_lo, 60, v4
	s_wait_alu 0xfffe
	s_or_b32 s1, vcc_lo, s1
	s_wait_loadcnt_dscnt 0x0
	v_mul_f32_e32 v13, v12, v10
	v_mul_f32_e32 v10, v11, v10
	s_delay_alu instid0(VALU_DEP_2) | instskip(NEXT) | instid1(VALU_DEP_2)
	v_fma_f32 v11, v11, v9, -v13
	v_fmac_f32_e32 v10, v12, v9
	s_delay_alu instid0(VALU_DEP_1)
	v_dual_add_f32 v8, v8, v11 :: v_dual_add_f32 v3, v3, v10
	s_wait_alu 0xfffe
	s_and_not1_b32 exec_lo, exec_lo, s1
	s_cbranch_execnz .LBB63_261
; %bb.262:
	s_or_b32 exec_lo, exec_lo, s1
	v_mov_b32_e32 v4, 0
	ds_load_b64 v[4:5], v4 offset:496
	s_wait_dscnt 0x0
	v_mul_f32_e32 v9, v3, v5
	v_mul_f32_e32 v6, v8, v5
	s_delay_alu instid0(VALU_DEP_2) | instskip(NEXT) | instid1(VALU_DEP_2)
	v_fma_f32 v5, v8, v4, -v9
	v_fmac_f32_e32 v6, v3, v4
	scratch_store_b64 off, v[5:6], off offset:496
.LBB63_263:
	s_wait_alu 0xfffe
	s_or_b32 exec_lo, exec_lo, s0
	s_wait_loadcnt 0x0
	s_wait_storecnt 0x0
	s_barrier_signal -1
	s_barrier_wait -1
	global_inv scope:SCOPE_SE
	scratch_load_b64 v[3:4], off, off offset:504
	s_mov_b32 s0, exec_lo
	s_wait_loadcnt 0x0
	ds_store_b64 v1, v[3:4]
	s_wait_dscnt 0x0
	s_barrier_signal -1
	s_barrier_wait -1
	global_inv scope:SCOPE_SE
	v_cmpx_ne_u32_e32 63, v0
	s_cbranch_execz .LBB63_267
; %bb.264:
	v_dual_mov_b32 v3, 0 :: v_dual_mov_b32 v4, 0
	s_mov_b32 s1, 0
.LBB63_265:                             ; =>This Inner Loop Header: Depth=1
	scratch_load_b64 v[5:6], v7, off
	ds_load_b64 v[8:9], v1
	v_add_nc_u32_e32 v2, 1, v2
	v_add_nc_u32_e32 v1, 8, v1
	;; [unrolled: 1-line block ×3, first 2 shown]
	s_delay_alu instid0(VALU_DEP_3)
	v_cmp_lt_u32_e32 vcc_lo, 61, v2
	s_wait_alu 0xfffe
	s_or_b32 s1, vcc_lo, s1
	s_wait_loadcnt_dscnt 0x0
	v_mul_f32_e32 v10, v9, v6
	v_mul_f32_e32 v6, v8, v6
	s_delay_alu instid0(VALU_DEP_2) | instskip(NEXT) | instid1(VALU_DEP_2)
	v_fma_f32 v8, v8, v5, -v10
	v_fmac_f32_e32 v6, v9, v5
	s_delay_alu instid0(VALU_DEP_1)
	v_dual_add_f32 v4, v4, v8 :: v_dual_add_f32 v3, v3, v6
	s_wait_alu 0xfffe
	s_and_not1_b32 exec_lo, exec_lo, s1
	s_cbranch_execnz .LBB63_265
; %bb.266:
	s_or_b32 exec_lo, exec_lo, s1
	v_mov_b32_e32 v1, 0
	ds_load_b64 v[1:2], v1 offset:504
	s_wait_dscnt 0x0
	v_mul_f32_e32 v6, v3, v2
	v_mul_f32_e32 v5, v4, v2
	s_delay_alu instid0(VALU_DEP_2) | instskip(NEXT) | instid1(VALU_DEP_2)
	v_fma_f32 v4, v4, v1, -v6
	v_fmac_f32_e32 v5, v3, v1
	scratch_store_b64 off, v[4:5], off offset:504
.LBB63_267:
	s_wait_alu 0xfffe
	s_or_b32 exec_lo, exec_lo, s0
	s_mov_b32 s1, -1
	s_wait_loadcnt 0x0
	s_wait_storecnt 0x0
	s_barrier_signal -1
	s_barrier_wait -1
	global_inv scope:SCOPE_SE
.LBB63_268:
	s_wait_alu 0xfffe
	s_and_b32 vcc_lo, exec_lo, s1
	s_wait_alu 0xfffe
	s_cbranch_vccz .LBB63_270
; %bb.269:
	v_mov_b32_e32 v1, 0
	s_lshl_b64 s[0:1], s[16:17], 2
	s_wait_alu 0xfffe
	s_add_nc_u64 s[0:1], s[6:7], s[0:1]
	global_load_b32 v1, v1, s[0:1]
	s_wait_loadcnt 0x0
	v_cmp_ne_u32_e32 vcc_lo, 0, v1
	s_cbranch_vccz .LBB63_271
.LBB63_270:
	s_nop 0
	s_sendmsg sendmsg(MSG_DEALLOC_VGPRS)
	s_endpgm
.LBB63_271:
	v_lshl_or_b32 v35, v0, 3, 0x200
	s_mov_b32 s0, exec_lo
	v_cmpx_eq_u32_e32 63, v0
	s_cbranch_execz .LBB63_273
; %bb.272:
	scratch_load_b64 v[1:2], off, off offset:496
	v_mov_b32_e32 v3, 0
	s_delay_alu instid0(VALU_DEP_1)
	v_mov_b32_e32 v4, v3
	scratch_store_b64 off, v[3:4], off offset:496
	s_wait_loadcnt 0x0
	ds_store_b64 v35, v[1:2]
.LBB63_273:
	s_wait_alu 0xfffe
	s_or_b32 exec_lo, exec_lo, s0
	s_wait_storecnt_dscnt 0x0
	s_barrier_signal -1
	s_barrier_wait -1
	global_inv scope:SCOPE_SE
	s_clause 0x1
	scratch_load_b64 v[2:3], off, off offset:504
	scratch_load_b64 v[4:5], off, off offset:496
	v_mov_b32_e32 v1, 0
	s_mov_b32 s0, exec_lo
	ds_load_b64 v[6:7], v1 offset:1016
	s_wait_loadcnt_dscnt 0x100
	v_mul_f32_e32 v8, v7, v3
	v_mul_f32_e32 v3, v6, v3
	s_delay_alu instid0(VALU_DEP_2) | instskip(NEXT) | instid1(VALU_DEP_2)
	v_fma_f32 v6, v6, v2, -v8
	v_fmac_f32_e32 v3, v7, v2
	s_delay_alu instid0(VALU_DEP_1) | instskip(SKIP_1) | instid1(VALU_DEP_1)
	v_dual_add_f32 v2, 0, v6 :: v_dual_add_f32 v3, 0, v3
	s_wait_loadcnt 0x0
	v_dual_sub_f32 v2, v4, v2 :: v_dual_sub_f32 v3, v5, v3
	scratch_store_b64 off, v[2:3], off offset:496
	v_cmpx_lt_u32_e32 61, v0
	s_cbranch_execz .LBB63_275
; %bb.274:
	scratch_load_b64 v[3:4], off, off offset:488
	v_mov_b32_e32 v2, v1
	scratch_store_b64 off, v[1:2], off offset:488
	s_wait_loadcnt 0x0
	ds_store_b64 v35, v[3:4]
.LBB63_275:
	s_wait_alu 0xfffe
	s_or_b32 exec_lo, exec_lo, s0
	s_wait_storecnt_dscnt 0x0
	s_barrier_signal -1
	s_barrier_wait -1
	global_inv scope:SCOPE_SE
	s_clause 0x1
	scratch_load_b128 v[2:5], off, off offset:496
	scratch_load_b64 v[10:11], off, off offset:488
	ds_load_b128 v[6:9], v1 offset:1008
	s_mov_b32 s0, exec_lo
	s_wait_loadcnt_dscnt 0x100
	v_dual_mul_f32 v1, v7, v3 :: v_dual_mul_f32 v12, v8, v5
	v_mul_f32_e32 v3, v6, v3
	s_delay_alu instid0(VALU_DEP_2) | instskip(NEXT) | instid1(VALU_DEP_2)
	v_fma_f32 v1, v6, v2, -v1
	v_dual_fmac_f32 v12, v9, v4 :: v_dual_fmac_f32 v3, v7, v2
	s_delay_alu instid0(VALU_DEP_2) | instskip(NEXT) | instid1(VALU_DEP_2)
	v_add_f32_e32 v1, 0, v1
	v_add_f32_e32 v3, 0, v3
	v_mul_f32_e32 v5, v9, v5
	s_delay_alu instid0(VALU_DEP_1) | instskip(NEXT) | instid1(VALU_DEP_1)
	v_fma_f32 v2, v8, v4, -v5
	v_dual_add_f32 v1, v1, v2 :: v_dual_add_f32 v2, v3, v12
	s_wait_loadcnt 0x0
	s_delay_alu instid0(VALU_DEP_1)
	v_dual_sub_f32 v1, v10, v1 :: v_dual_sub_f32 v2, v11, v2
	scratch_store_b64 off, v[1:2], off offset:488
	v_cmpx_lt_u32_e32 60, v0
	s_cbranch_execz .LBB63_277
; %bb.276:
	scratch_load_b64 v[1:2], off, off offset:480
	v_mov_b32_e32 v3, 0
	s_delay_alu instid0(VALU_DEP_1)
	v_mov_b32_e32 v4, v3
	scratch_store_b64 off, v[3:4], off offset:480
	s_wait_loadcnt 0x0
	ds_store_b64 v35, v[1:2]
.LBB63_277:
	s_wait_alu 0xfffe
	s_or_b32 exec_lo, exec_lo, s0
	s_wait_storecnt_dscnt 0x0
	s_barrier_signal -1
	s_barrier_wait -1
	global_inv scope:SCOPE_SE
	s_clause 0x2
	scratch_load_b128 v[2:5], off, off offset:488
	scratch_load_b64 v[10:11], off, off offset:504
	scratch_load_b64 v[12:13], off, off offset:480
	v_mov_b32_e32 v1, 0
	ds_load_2addr_b64 v[6:9], v1 offset0:125 offset1:126
	ds_load_b64 v[14:15], v1 offset:1016
	s_mov_b32 s0, exec_lo
	s_wait_loadcnt_dscnt 0x201
	v_dual_mul_f32 v16, v7, v3 :: v_dual_mul_f32 v17, v8, v5
	s_wait_loadcnt_dscnt 0x100
	v_mul_f32_e32 v18, v14, v11
	v_mul_f32_e32 v3, v6, v3
	;; [unrolled: 1-line block ×3, first 2 shown]
	v_fma_f32 v6, v6, v2, -v16
	s_delay_alu instid0(VALU_DEP_4) | instskip(NEXT) | instid1(VALU_DEP_4)
	v_fmac_f32_e32 v18, v15, v10
	v_fmac_f32_e32 v3, v7, v2
	v_mul_f32_e32 v2, v15, v11
	s_delay_alu instid0(VALU_DEP_1) | instskip(SKIP_3) | instid1(VALU_DEP_1)
	v_fma_f32 v2, v14, v10, -v2
	v_fmac_f32_e32 v17, v9, v4
	v_fma_f32 v4, v8, v4, -v5
	v_add_f32_e32 v5, 0, v6
	v_add_f32_e32 v4, v5, v4
	s_delay_alu instid0(VALU_DEP_1) | instskip(SKIP_1) | instid1(VALU_DEP_1)
	v_dual_add_f32 v2, v4, v2 :: v_dual_add_f32 v3, 0, v3
	s_wait_loadcnt 0x0
	v_dual_sub_f32 v2, v12, v2 :: v_dual_add_f32 v3, v3, v17
	s_delay_alu instid0(VALU_DEP_1) | instskip(NEXT) | instid1(VALU_DEP_1)
	v_add_f32_e32 v3, v3, v18
	v_sub_f32_e32 v3, v13, v3
	scratch_store_b64 off, v[2:3], off offset:480
	v_cmpx_lt_u32_e32 59, v0
	s_cbranch_execz .LBB63_279
; %bb.278:
	scratch_load_b64 v[3:4], off, off offset:472
	v_mov_b32_e32 v2, v1
	scratch_store_b64 off, v[1:2], off offset:472
	s_wait_loadcnt 0x0
	ds_store_b64 v35, v[3:4]
.LBB63_279:
	s_wait_alu 0xfffe
	s_or_b32 exec_lo, exec_lo, s0
	s_wait_storecnt_dscnt 0x0
	s_barrier_signal -1
	s_barrier_wait -1
	global_inv scope:SCOPE_SE
	s_clause 0x2
	scratch_load_b128 v[2:5], off, off offset:480
	scratch_load_b128 v[6:9], off, off offset:496
	scratch_load_b64 v[18:19], off, off offset:472
	ds_load_b128 v[10:13], v1 offset:992
	ds_load_b128 v[14:17], v1 offset:1008
	s_mov_b32 s0, exec_lo
	s_wait_loadcnt_dscnt 0x201
	v_dual_mul_f32 v1, v10, v3 :: v_dual_mul_f32 v20, v12, v5
	s_wait_loadcnt_dscnt 0x100
	v_dual_mul_f32 v3, v11, v3 :: v_dual_mul_f32 v22, v16, v9
	v_mul_f32_e32 v5, v13, v5
	s_delay_alu instid0(VALU_DEP_3) | instskip(NEXT) | instid1(VALU_DEP_3)
	v_dual_mul_f32 v21, v14, v7 :: v_dual_fmac_f32 v20, v13, v4
	v_fma_f32 v3, v10, v2, -v3
	s_delay_alu instid0(VALU_DEP_4) | instskip(SKIP_2) | instid1(VALU_DEP_4)
	v_dual_fmac_f32 v1, v11, v2 :: v_dual_fmac_f32 v22, v17, v8
	v_mul_f32_e32 v2, v15, v7
	v_fma_f32 v4, v12, v4, -v5
	v_add_f32_e32 v3, 0, v3
	v_fmac_f32_e32 v21, v15, v6
	s_delay_alu instid0(VALU_DEP_4) | instskip(NEXT) | instid1(VALU_DEP_3)
	v_fma_f32 v2, v14, v6, -v2
	v_add_f32_e32 v3, v3, v4
	s_delay_alu instid0(VALU_DEP_1) | instskip(NEXT) | instid1(VALU_DEP_1)
	v_dual_add_f32 v1, 0, v1 :: v_dual_add_f32 v2, v3, v2
	v_add_f32_e32 v1, v1, v20
	s_delay_alu instid0(VALU_DEP_1) | instskip(NEXT) | instid1(VALU_DEP_1)
	v_add_f32_e32 v1, v1, v21
	v_add_f32_e32 v3, v1, v22
	v_mul_f32_e32 v5, v17, v9
	s_delay_alu instid0(VALU_DEP_1) | instskip(NEXT) | instid1(VALU_DEP_1)
	v_fma_f32 v4, v16, v8, -v5
	v_add_f32_e32 v2, v2, v4
	s_wait_loadcnt 0x0
	s_delay_alu instid0(VALU_DEP_1)
	v_dual_sub_f32 v1, v18, v2 :: v_dual_sub_f32 v2, v19, v3
	scratch_store_b64 off, v[1:2], off offset:472
	v_cmpx_lt_u32_e32 58, v0
	s_cbranch_execz .LBB63_281
; %bb.280:
	scratch_load_b64 v[1:2], off, off offset:464
	v_mov_b32_e32 v3, 0
	s_delay_alu instid0(VALU_DEP_1)
	v_mov_b32_e32 v4, v3
	scratch_store_b64 off, v[3:4], off offset:464
	s_wait_loadcnt 0x0
	ds_store_b64 v35, v[1:2]
.LBB63_281:
	s_wait_alu 0xfffe
	s_or_b32 exec_lo, exec_lo, s0
	s_wait_storecnt_dscnt 0x0
	s_barrier_signal -1
	s_barrier_wait -1
	global_inv scope:SCOPE_SE
	s_clause 0x3
	scratch_load_b128 v[2:5], off, off offset:472
	scratch_load_b128 v[6:9], off, off offset:488
	scratch_load_b64 v[18:19], off, off offset:504
	scratch_load_b64 v[20:21], off, off offset:464
	v_mov_b32_e32 v1, 0
	ds_load_2addr_b64 v[10:13], v1 offset0:123 offset1:124
	ds_load_2addr_b64 v[14:17], v1 offset0:125 offset1:126
	ds_load_b64 v[22:23], v1 offset:1016
	s_mov_b32 s0, exec_lo
	s_wait_loadcnt_dscnt 0x302
	v_dual_mul_f32 v24, v10, v3 :: v_dual_mul_f32 v25, v12, v5
	s_wait_loadcnt_dscnt 0x201
	v_dual_mul_f32 v26, v14, v7 :: v_dual_mul_f32 v5, v13, v5
	;; [unrolled: 2-line block ×3, first 2 shown]
	v_dual_fmac_f32 v24, v11, v2 :: v_dual_fmac_f32 v25, v13, v4
	s_delay_alu instid0(VALU_DEP_3) | instskip(SKIP_1) | instid1(VALU_DEP_3)
	v_fmac_f32_e32 v26, v15, v6
	v_fma_f32 v4, v12, v4, -v5
	v_dual_fmac_f32 v28, v23, v18 :: v_dual_add_f32 v5, 0, v24
	v_mul_f32_e32 v3, v11, v3
	s_delay_alu instid0(VALU_DEP_1) | instskip(SKIP_1) | instid1(VALU_DEP_2)
	v_fma_f32 v3, v10, v2, -v3
	v_dual_mul_f32 v2, v15, v7 :: v_dual_mul_f32 v7, v17, v9
	v_add_f32_e32 v3, 0, v3
	s_delay_alu instid0(VALU_DEP_2) | instskip(NEXT) | instid1(VALU_DEP_3)
	v_fma_f32 v2, v14, v6, -v2
	v_fma_f32 v6, v16, v8, -v7
	s_delay_alu instid0(VALU_DEP_3) | instskip(NEXT) | instid1(VALU_DEP_1)
	v_add_f32_e32 v3, v3, v4
	v_add_f32_e32 v2, v3, v2
	;; [unrolled: 1-line block ×3, first 2 shown]
	s_delay_alu instid0(VALU_DEP_2) | instskip(NEXT) | instid1(VALU_DEP_2)
	v_dual_add_f32 v2, v2, v6 :: v_dual_mul_f32 v5, v23, v19
	v_add_f32_e32 v3, v4, v26
	s_delay_alu instid0(VALU_DEP_2) | instskip(NEXT) | instid1(VALU_DEP_1)
	v_fma_f32 v4, v22, v18, -v5
	v_add_f32_e32 v2, v2, v4
	s_wait_loadcnt 0x0
	s_delay_alu instid0(VALU_DEP_1) | instskip(NEXT) | instid1(VALU_DEP_1)
	v_dual_fmac_f32 v27, v17, v8 :: v_dual_sub_f32 v2, v20, v2
	v_add_f32_e32 v3, v3, v27
	s_delay_alu instid0(VALU_DEP_1) | instskip(NEXT) | instid1(VALU_DEP_1)
	v_add_f32_e32 v3, v3, v28
	v_sub_f32_e32 v3, v21, v3
	scratch_store_b64 off, v[2:3], off offset:464
	v_cmpx_lt_u32_e32 57, v0
	s_cbranch_execz .LBB63_283
; %bb.282:
	scratch_load_b64 v[3:4], off, off offset:456
	v_mov_b32_e32 v2, v1
	scratch_store_b64 off, v[1:2], off offset:456
	s_wait_loadcnt 0x0
	ds_store_b64 v35, v[3:4]
.LBB63_283:
	s_wait_alu 0xfffe
	s_or_b32 exec_lo, exec_lo, s0
	s_wait_storecnt_dscnt 0x0
	s_barrier_signal -1
	s_barrier_wait -1
	global_inv scope:SCOPE_SE
	s_clause 0x3
	scratch_load_b128 v[2:5], off, off offset:464
	scratch_load_b128 v[6:9], off, off offset:480
	;; [unrolled: 1-line block ×3, first 2 shown]
	scratch_load_b64 v[26:27], off, off offset:456
	ds_load_b128 v[14:17], v1 offset:976
	ds_load_b128 v[18:21], v1 offset:992
	ds_load_b128 v[22:25], v1 offset:1008
	s_mov_b32 s0, exec_lo
	s_wait_loadcnt_dscnt 0x302
	v_dual_mul_f32 v1, v14, v3 :: v_dual_mul_f32 v28, v16, v5
	s_wait_loadcnt_dscnt 0x100
	v_dual_mul_f32 v3, v15, v3 :: v_dual_mul_f32 v32, v24, v13
	v_dual_mul_f32 v29, v18, v7 :: v_dual_mul_f32 v30, v20, v9
	v_mul_f32_e32 v5, v17, v5
	s_delay_alu instid0(VALU_DEP_3)
	v_fma_f32 v3, v14, v2, -v3
	v_fmac_f32_e32 v1, v15, v2
	v_mul_f32_e32 v2, v19, v7
	v_dual_mul_f32 v31, v22, v11 :: v_dual_fmac_f32 v28, v17, v4
	v_fma_f32 v4, v16, v4, -v5
	v_fmac_f32_e32 v30, v21, v8
	s_delay_alu instid0(VALU_DEP_4) | instskip(SKIP_4) | instid1(VALU_DEP_4)
	v_fma_f32 v2, v18, v6, -v2
	v_mul_f32_e32 v5, v21, v9
	v_add_f32_e32 v1, 0, v1
	v_dual_fmac_f32 v29, v19, v6 :: v_dual_fmac_f32 v32, v25, v12
	v_fmac_f32_e32 v31, v23, v10
	v_fma_f32 v5, v20, v8, -v5
	v_add_f32_e32 v3, 0, v3
	s_delay_alu instid0(VALU_DEP_1) | instskip(SKIP_1) | instid1(VALU_DEP_2)
	v_add_f32_e32 v3, v3, v4
	v_mul_f32_e32 v4, v23, v11
	v_add_f32_e32 v2, v3, v2
	s_delay_alu instid0(VALU_DEP_2) | instskip(NEXT) | instid1(VALU_DEP_2)
	v_fma_f32 v4, v22, v10, -v4
	v_add_f32_e32 v2, v2, v5
	s_delay_alu instid0(VALU_DEP_1) | instskip(NEXT) | instid1(VALU_DEP_1)
	v_dual_mul_f32 v3, v25, v13 :: v_dual_add_f32 v2, v2, v4
	v_fma_f32 v3, v24, v12, -v3
	s_delay_alu instid0(VALU_DEP_1) | instskip(NEXT) | instid1(VALU_DEP_1)
	v_dual_add_f32 v1, v1, v28 :: v_dual_add_f32 v2, v2, v3
	v_add_f32_e32 v1, v1, v29
	s_delay_alu instid0(VALU_DEP_1) | instskip(NEXT) | instid1(VALU_DEP_1)
	v_add_f32_e32 v1, v1, v30
	v_add_f32_e32 v1, v1, v31
	s_delay_alu instid0(VALU_DEP_1) | instskip(SKIP_1) | instid1(VALU_DEP_1)
	v_add_f32_e32 v3, v1, v32
	s_wait_loadcnt 0x0
	v_dual_sub_f32 v1, v26, v2 :: v_dual_sub_f32 v2, v27, v3
	scratch_store_b64 off, v[1:2], off offset:456
	v_cmpx_lt_u32_e32 56, v0
	s_cbranch_execz .LBB63_285
; %bb.284:
	scratch_load_b64 v[1:2], off, off offset:448
	v_mov_b32_e32 v3, 0
	s_delay_alu instid0(VALU_DEP_1)
	v_mov_b32_e32 v4, v3
	scratch_store_b64 off, v[3:4], off offset:448
	s_wait_loadcnt 0x0
	ds_store_b64 v35, v[1:2]
.LBB63_285:
	s_wait_alu 0xfffe
	s_or_b32 exec_lo, exec_lo, s0
	s_wait_storecnt_dscnt 0x0
	s_barrier_signal -1
	s_barrier_wait -1
	global_inv scope:SCOPE_SE
	s_clause 0x4
	scratch_load_b128 v[2:5], off, off offset:456
	scratch_load_b128 v[6:9], off, off offset:472
	;; [unrolled: 1-line block ×3, first 2 shown]
	scratch_load_b64 v[26:27], off, off offset:504
	scratch_load_b64 v[28:29], off, off offset:448
	v_mov_b32_e32 v1, 0
	ds_load_2addr_b64 v[14:17], v1 offset0:121 offset1:122
	ds_load_2addr_b64 v[18:21], v1 offset0:123 offset1:124
	;; [unrolled: 1-line block ×3, first 2 shown]
	ds_load_b64 v[30:31], v1 offset:1016
	s_mov_b32 s0, exec_lo
	s_wait_loadcnt_dscnt 0x403
	v_mul_f32_e32 v32, v14, v3
	s_wait_loadcnt_dscnt 0x302
	v_dual_mul_f32 v36, v20, v9 :: v_dual_mul_f32 v3, v15, v3
	v_dual_mul_f32 v33, v16, v5 :: v_dual_mul_f32 v34, v18, v7
	s_wait_loadcnt_dscnt 0x100
	v_dual_mul_f32 v39, v30, v27 :: v_dual_fmac_f32 v32, v15, v2
	v_mul_f32_e32 v5, v17, v5
	v_fma_f32 v3, v14, v2, -v3
	v_dual_mul_f32 v2, v19, v7 :: v_dual_fmac_f32 v33, v17, v4
	v_fmac_f32_e32 v34, v19, v6
	s_delay_alu instid0(VALU_DEP_4) | instskip(SKIP_1) | instid1(VALU_DEP_4)
	v_fma_f32 v4, v16, v4, -v5
	v_dual_mul_f32 v37, v22, v11 :: v_dual_mul_f32 v38, v24, v13
	v_fma_f32 v2, v18, v6, -v2
	v_add_f32_e32 v5, 0, v32
	v_dual_add_f32 v3, 0, v3 :: v_dual_fmac_f32 v36, v21, v8
	s_delay_alu instid0(VALU_DEP_4) | instskip(NEXT) | instid1(VALU_DEP_2)
	v_dual_fmac_f32 v37, v23, v10 :: v_dual_fmac_f32 v38, v25, v12
	v_add_f32_e32 v3, v3, v4
	s_delay_alu instid0(VALU_DEP_1) | instskip(SKIP_1) | instid1(VALU_DEP_2)
	v_dual_add_f32 v2, v3, v2 :: v_dual_mul_f32 v7, v21, v9
	v_dual_add_f32 v4, v5, v33 :: v_dual_mul_f32 v5, v23, v11
	v_fma_f32 v6, v20, v8, -v7
	s_delay_alu instid0(VALU_DEP_2) | instskip(NEXT) | instid1(VALU_DEP_3)
	v_dual_add_f32 v3, v4, v34 :: v_dual_mul_f32 v4, v25, v13
	v_fma_f32 v5, v22, v10, -v5
	s_delay_alu instid0(VALU_DEP_3) | instskip(SKIP_1) | instid1(VALU_DEP_4)
	v_add_f32_e32 v2, v2, v6
	v_mul_f32_e32 v6, v31, v27
	v_add_f32_e32 v3, v3, v36
	v_fma_f32 v4, v24, v12, -v4
	s_delay_alu instid0(VALU_DEP_4) | instskip(NEXT) | instid1(VALU_DEP_4)
	v_add_f32_e32 v2, v2, v5
	v_fma_f32 v5, v30, v26, -v6
	s_delay_alu instid0(VALU_DEP_2) | instskip(SKIP_1) | instid1(VALU_DEP_2)
	v_dual_add_f32 v3, v3, v37 :: v_dual_add_f32 v2, v2, v4
	v_fmac_f32_e32 v39, v31, v26
	v_dual_add_f32 v3, v3, v38 :: v_dual_add_f32 v2, v2, v5
	s_wait_loadcnt 0x0
	s_delay_alu instid0(VALU_DEP_1) | instskip(NEXT) | instid1(VALU_DEP_1)
	v_dual_add_f32 v3, v3, v39 :: v_dual_sub_f32 v2, v28, v2
	v_sub_f32_e32 v3, v29, v3
	scratch_store_b64 off, v[2:3], off offset:448
	v_cmpx_lt_u32_e32 55, v0
	s_cbranch_execz .LBB63_287
; %bb.286:
	scratch_load_b64 v[3:4], off, off offset:440
	v_mov_b32_e32 v2, v1
	scratch_store_b64 off, v[1:2], off offset:440
	s_wait_loadcnt 0x0
	ds_store_b64 v35, v[3:4]
.LBB63_287:
	s_wait_alu 0xfffe
	s_or_b32 exec_lo, exec_lo, s0
	s_wait_storecnt_dscnt 0x0
	s_barrier_signal -1
	s_barrier_wait -1
	global_inv scope:SCOPE_SE
	s_clause 0x4
	scratch_load_b128 v[2:5], off, off offset:448
	scratch_load_b128 v[6:9], off, off offset:464
	;; [unrolled: 1-line block ×4, first 2 shown]
	scratch_load_b64 v[36:37], off, off offset:440
	ds_load_b128 v[18:21], v1 offset:960
	ds_load_b128 v[22:25], v1 offset:976
	;; [unrolled: 1-line block ×4, first 2 shown]
	s_mov_b32 s0, exec_lo
	s_wait_loadcnt_dscnt 0x403
	v_dual_mul_f32 v1, v18, v3 :: v_dual_mul_f32 v34, v20, v5
	v_mul_f32_e32 v3, v19, v3
	s_wait_loadcnt_dscnt 0x302
	v_dual_mul_f32 v5, v21, v5 :: v_dual_mul_f32 v38, v22, v7
	s_delay_alu instid0(VALU_DEP_3) | instskip(NEXT) | instid1(VALU_DEP_3)
	v_dual_mul_f32 v39, v24, v9 :: v_dual_fmac_f32 v34, v21, v4
	v_fma_f32 v3, v18, v2, -v3
	v_fmac_f32_e32 v1, v19, v2
	v_mul_f32_e32 v2, v23, v7
	v_fma_f32 v4, v20, v4, -v5
	s_delay_alu instid0(VALU_DEP_4)
	v_dual_fmac_f32 v38, v23, v6 :: v_dual_add_f32 v3, 0, v3
	s_wait_loadcnt_dscnt 0x100
	v_dual_mul_f32 v42, v30, v15 :: v_dual_mul_f32 v43, v32, v17
	v_fma_f32 v2, v22, v6, -v2
	v_dual_mul_f32 v40, v26, v11 :: v_dual_mul_f32 v41, v28, v13
	v_add_f32_e32 v3, v3, v4
	v_mul_f32_e32 v5, v25, v9
	s_delay_alu instid0(VALU_DEP_3) | instskip(SKIP_1) | instid1(VALU_DEP_4)
	v_dual_fmac_f32 v39, v25, v8 :: v_dual_fmac_f32 v40, v27, v10
	v_mul_f32_e32 v4, v27, v11
	v_add_f32_e32 v2, v3, v2
	s_delay_alu instid0(VALU_DEP_4) | instskip(SKIP_1) | instid1(VALU_DEP_4)
	v_fma_f32 v5, v24, v8, -v5
	v_dual_mul_f32 v3, v29, v13 :: v_dual_fmac_f32 v42, v31, v14
	v_fma_f32 v4, v26, v10, -v4
	s_delay_alu instid0(VALU_DEP_3) | instskip(SKIP_3) | instid1(VALU_DEP_3)
	v_dual_fmac_f32 v43, v33, v16 :: v_dual_add_f32 v2, v2, v5
	v_add_f32_e32 v1, 0, v1
	v_mul_f32_e32 v5, v31, v15
	v_fma_f32 v3, v28, v12, -v3
	v_dual_add_f32 v2, v2, v4 :: v_dual_add_f32 v1, v1, v34
	v_mul_f32_e32 v4, v33, v17
	s_delay_alu instid0(VALU_DEP_4) | instskip(NEXT) | instid1(VALU_DEP_3)
	v_fma_f32 v5, v30, v14, -v5
	v_dual_add_f32 v2, v2, v3 :: v_dual_add_f32 v1, v1, v38
	s_delay_alu instid0(VALU_DEP_3) | instskip(NEXT) | instid1(VALU_DEP_2)
	v_fma_f32 v3, v32, v16, -v4
	v_dual_add_f32 v2, v2, v5 :: v_dual_add_f32 v1, v1, v39
	s_delay_alu instid0(VALU_DEP_1) | instskip(NEXT) | instid1(VALU_DEP_2)
	v_dual_fmac_f32 v41, v29, v12 :: v_dual_add_f32 v2, v2, v3
	v_add_f32_e32 v1, v1, v40
	s_delay_alu instid0(VALU_DEP_1) | instskip(NEXT) | instid1(VALU_DEP_1)
	v_add_f32_e32 v1, v1, v41
	v_add_f32_e32 v1, v1, v42
	s_delay_alu instid0(VALU_DEP_1) | instskip(SKIP_1) | instid1(VALU_DEP_1)
	v_add_f32_e32 v3, v1, v43
	s_wait_loadcnt 0x0
	v_dual_sub_f32 v1, v36, v2 :: v_dual_sub_f32 v2, v37, v3
	scratch_store_b64 off, v[1:2], off offset:440
	v_cmpx_lt_u32_e32 54, v0
	s_cbranch_execz .LBB63_289
; %bb.288:
	scratch_load_b64 v[1:2], off, off offset:432
	v_mov_b32_e32 v3, 0
	s_delay_alu instid0(VALU_DEP_1)
	v_mov_b32_e32 v4, v3
	scratch_store_b64 off, v[3:4], off offset:432
	s_wait_loadcnt 0x0
	ds_store_b64 v35, v[1:2]
.LBB63_289:
	s_wait_alu 0xfffe
	s_or_b32 exec_lo, exec_lo, s0
	s_wait_storecnt_dscnt 0x0
	s_barrier_signal -1
	s_barrier_wait -1
	global_inv scope:SCOPE_SE
	s_clause 0x5
	scratch_load_b128 v[2:5], off, off offset:440
	scratch_load_b128 v[6:9], off, off offset:456
	;; [unrolled: 1-line block ×4, first 2 shown]
	scratch_load_b64 v[36:37], off, off offset:504
	scratch_load_b64 v[38:39], off, off offset:432
	v_mov_b32_e32 v1, 0
	ds_load_2addr_b64 v[18:21], v1 offset0:119 offset1:120
	ds_load_2addr_b64 v[22:25], v1 offset0:121 offset1:122
	;; [unrolled: 1-line block ×4, first 2 shown]
	ds_load_b64 v[40:41], v1 offset:1016
	s_mov_b32 s0, exec_lo
	s_wait_loadcnt_dscnt 0x504
	v_mul_f32_e32 v34, v18, v3
	s_wait_loadcnt_dscnt 0x302
	v_dual_mul_f32 v3, v19, v3 :: v_dual_mul_f32 v46, v28, v13
	v_dual_mul_f32 v42, v20, v5 :: v_dual_mul_f32 v43, v22, v7
	s_wait_loadcnt_dscnt 0x100
	v_dual_mul_f32 v49, v40, v37 :: v_dual_fmac_f32 v34, v19, v2
	v_mul_f32_e32 v5, v21, v5
	v_fma_f32 v3, v18, v2, -v3
	v_dual_mul_f32 v44, v24, v9 :: v_dual_mul_f32 v45, v26, v11
	v_mul_f32_e32 v2, v23, v7
	s_delay_alu instid0(VALU_DEP_3) | instskip(SKIP_1) | instid1(VALU_DEP_4)
	v_dual_fmac_f32 v42, v21, v4 :: v_dual_add_f32 v3, 0, v3
	v_fma_f32 v4, v20, v4, -v5
	v_dual_add_f32 v5, 0, v34 :: v_dual_fmac_f32 v44, v25, v8
	s_delay_alu instid0(VALU_DEP_4) | instskip(SKIP_1) | instid1(VALU_DEP_3)
	v_fma_f32 v2, v22, v6, -v2
	v_fmac_f32_e32 v43, v23, v6
	v_dual_add_f32 v3, v3, v4 :: v_dual_add_f32 v4, v5, v42
	v_mul_f32_e32 v7, v25, v9
	v_dual_mul_f32 v47, v30, v15 :: v_dual_mul_f32 v48, v32, v17
	s_delay_alu instid0(VALU_DEP_3) | instskip(SKIP_1) | instid1(VALU_DEP_4)
	v_dual_add_f32 v2, v3, v2 :: v_dual_add_f32 v3, v4, v43
	v_fmac_f32_e32 v46, v29, v12
	v_fma_f32 v6, v24, v8, -v7
	v_dual_mul_f32 v5, v27, v11 :: v_dual_mul_f32 v4, v29, v13
	s_delay_alu instid0(VALU_DEP_4) | instskip(SKIP_1) | instid1(VALU_DEP_4)
	v_add_f32_e32 v3, v3, v44
	v_fmac_f32_e32 v48, v33, v16
	v_add_f32_e32 v2, v2, v6
	s_delay_alu instid0(VALU_DEP_4) | instskip(SKIP_3) | instid1(VALU_DEP_4)
	v_fma_f32 v5, v26, v10, -v5
	v_fmac_f32_e32 v45, v27, v10
	v_mul_f32_e32 v6, v31, v15
	v_fma_f32 v4, v28, v12, -v4
	v_add_f32_e32 v2, v2, v5
	v_mul_f32_e32 v5, v33, v17
	v_fmac_f32_e32 v47, v31, v14
	v_fma_f32 v6, v30, v14, -v6
	s_delay_alu instid0(VALU_DEP_4) | instskip(SKIP_3) | instid1(VALU_DEP_4)
	v_add_f32_e32 v2, v2, v4
	v_mul_f32_e32 v4, v41, v37
	v_add_f32_e32 v3, v3, v45
	v_fma_f32 v5, v32, v16, -v5
	v_add_f32_e32 v2, v2, v6
	s_delay_alu instid0(VALU_DEP_4) | instskip(NEXT) | instid1(VALU_DEP_2)
	v_fma_f32 v4, v40, v36, -v4
	v_dual_add_f32 v3, v3, v46 :: v_dual_add_f32 v2, v2, v5
	s_delay_alu instid0(VALU_DEP_1) | instskip(NEXT) | instid1(VALU_DEP_1)
	v_add_f32_e32 v3, v3, v47
	v_add_f32_e32 v3, v3, v48
	s_delay_alu instid0(VALU_DEP_3) | instskip(SKIP_1) | instid1(VALU_DEP_1)
	v_add_f32_e32 v2, v2, v4
	s_wait_loadcnt 0x0
	v_dual_fmac_f32 v49, v41, v36 :: v_dual_sub_f32 v2, v38, v2
	s_delay_alu instid0(VALU_DEP_1) | instskip(NEXT) | instid1(VALU_DEP_1)
	v_add_f32_e32 v3, v3, v49
	v_sub_f32_e32 v3, v39, v3
	scratch_store_b64 off, v[2:3], off offset:432
	v_cmpx_lt_u32_e32 53, v0
	s_cbranch_execz .LBB63_291
; %bb.290:
	scratch_load_b64 v[3:4], off, off offset:424
	v_mov_b32_e32 v2, v1
	scratch_store_b64 off, v[1:2], off offset:424
	s_wait_loadcnt 0x0
	ds_store_b64 v35, v[3:4]
.LBB63_291:
	s_wait_alu 0xfffe
	s_or_b32 exec_lo, exec_lo, s0
	s_wait_storecnt_dscnt 0x0
	s_barrier_signal -1
	s_barrier_wait -1
	global_inv scope:SCOPE_SE
	s_clause 0x5
	scratch_load_b128 v[2:5], off, off offset:432
	scratch_load_b128 v[6:9], off, off offset:448
	scratch_load_b128 v[10:13], off, off offset:464
	scratch_load_b128 v[14:17], off, off offset:480
	scratch_load_b128 v[18:21], off, off offset:496
	scratch_load_b64 v[44:45], off, off offset:424
	ds_load_b128 v[22:25], v1 offset:944
	ds_load_b128 v[26:29], v1 offset:960
	;; [unrolled: 1-line block ×5, first 2 shown]
	s_mov_b32 s0, exec_lo
	s_wait_loadcnt_dscnt 0x504
	v_dual_mul_f32 v1, v22, v3 :: v_dual_mul_f32 v34, v24, v5
	v_mul_f32_e32 v3, v23, v3
	s_wait_loadcnt_dscnt 0x403
	v_dual_mul_f32 v5, v25, v5 :: v_dual_mul_f32 v46, v26, v7
	s_delay_alu instid0(VALU_DEP_3) | instskip(NEXT) | instid1(VALU_DEP_3)
	v_dual_mul_f32 v47, v28, v9 :: v_dual_fmac_f32 v34, v25, v4
	v_fma_f32 v3, v22, v2, -v3
	s_wait_loadcnt_dscnt 0x201
	v_dual_mul_f32 v50, v36, v15 :: v_dual_mul_f32 v51, v38, v17
	v_fmac_f32_e32 v1, v23, v2
	v_mul_f32_e32 v2, v27, v7
	v_fma_f32 v4, v24, v4, -v5
	v_dual_add_f32 v3, 0, v3 :: v_dual_fmac_f32 v46, v27, v6
	v_fmac_f32_e32 v50, v37, v14
	s_delay_alu instid0(VALU_DEP_4) | instskip(SKIP_1) | instid1(VALU_DEP_4)
	v_fma_f32 v2, v26, v6, -v2
	v_dual_mul_f32 v48, v30, v11 :: v_dual_mul_f32 v49, v32, v13
	v_add_f32_e32 v3, v3, v4
	v_dual_mul_f32 v5, v29, v9 :: v_dual_mul_f32 v4, v31, v11
	s_delay_alu instid0(VALU_DEP_3) | instskip(NEXT) | instid1(VALU_DEP_3)
	v_dual_fmac_f32 v47, v29, v8 :: v_dual_fmac_f32 v48, v31, v10
	v_add_f32_e32 v2, v3, v2
	s_delay_alu instid0(VALU_DEP_3) | instskip(NEXT) | instid1(VALU_DEP_4)
	v_fma_f32 v5, v28, v8, -v5
	v_fma_f32 v4, v30, v10, -v4
	s_wait_loadcnt_dscnt 0x100
	v_dual_mul_f32 v52, v40, v19 :: v_dual_mul_f32 v53, v42, v21
	s_delay_alu instid0(VALU_DEP_3) | instskip(SKIP_2) | instid1(VALU_DEP_4)
	v_dual_fmac_f32 v51, v39, v16 :: v_dual_add_f32 v2, v2, v5
	v_add_f32_e32 v1, 0, v1
	v_mul_f32_e32 v5, v37, v15
	v_dual_fmac_f32 v52, v41, v18 :: v_dual_fmac_f32 v53, v43, v20
	s_delay_alu instid0(VALU_DEP_3) | instskip(SKIP_1) | instid1(VALU_DEP_4)
	v_dual_add_f32 v2, v2, v4 :: v_dual_add_f32 v1, v1, v34
	v_mul_f32_e32 v4, v39, v17
	v_fma_f32 v5, v36, v14, -v5
	s_delay_alu instid0(VALU_DEP_3) | instskip(NEXT) | instid1(VALU_DEP_3)
	v_add_f32_e32 v1, v1, v46
	v_fma_f32 v4, v38, v16, -v4
	v_mul_f32_e32 v3, v33, v13
	s_delay_alu instid0(VALU_DEP_1) | instskip(NEXT) | instid1(VALU_DEP_1)
	v_fma_f32 v3, v32, v12, -v3
	v_dual_fmac_f32 v49, v33, v12 :: v_dual_add_f32 v2, v2, v3
	v_add_f32_e32 v1, v1, v47
	s_delay_alu instid0(VALU_DEP_2) | instskip(NEXT) | instid1(VALU_DEP_1)
	v_dual_mul_f32 v3, v41, v19 :: v_dual_add_f32 v2, v2, v5
	v_fma_f32 v3, v40, v18, -v3
	s_delay_alu instid0(VALU_DEP_2) | instskip(NEXT) | instid1(VALU_DEP_1)
	v_add_f32_e32 v2, v2, v4
	v_dual_add_f32 v1, v1, v48 :: v_dual_add_f32 v2, v2, v3
	s_delay_alu instid0(VALU_DEP_1) | instskip(NEXT) | instid1(VALU_DEP_1)
	v_add_f32_e32 v1, v1, v49
	v_add_f32_e32 v1, v1, v50
	s_delay_alu instid0(VALU_DEP_1) | instskip(NEXT) | instid1(VALU_DEP_1)
	v_add_f32_e32 v1, v1, v51
	v_add_f32_e32 v1, v1, v52
	s_delay_alu instid0(VALU_DEP_1) | instskip(SKIP_1) | instid1(VALU_DEP_1)
	v_add_f32_e32 v3, v1, v53
	v_mul_f32_e32 v5, v43, v21
	v_fma_f32 v4, v42, v20, -v5
	s_delay_alu instid0(VALU_DEP_1) | instskip(SKIP_1) | instid1(VALU_DEP_1)
	v_add_f32_e32 v2, v2, v4
	s_wait_loadcnt 0x0
	v_dual_sub_f32 v1, v44, v2 :: v_dual_sub_f32 v2, v45, v3
	scratch_store_b64 off, v[1:2], off offset:424
	v_cmpx_lt_u32_e32 52, v0
	s_cbranch_execz .LBB63_293
; %bb.292:
	scratch_load_b64 v[1:2], off, off offset:416
	v_mov_b32_e32 v3, 0
	s_delay_alu instid0(VALU_DEP_1)
	v_mov_b32_e32 v4, v3
	scratch_store_b64 off, v[3:4], off offset:416
	s_wait_loadcnt 0x0
	ds_store_b64 v35, v[1:2]
.LBB63_293:
	s_wait_alu 0xfffe
	s_or_b32 exec_lo, exec_lo, s0
	s_wait_storecnt_dscnt 0x0
	s_barrier_signal -1
	s_barrier_wait -1
	global_inv scope:SCOPE_SE
	s_clause 0x6
	scratch_load_b128 v[2:5], off, off offset:424
	scratch_load_b128 v[6:9], off, off offset:440
	;; [unrolled: 1-line block ×5, first 2 shown]
	scratch_load_b64 v[44:45], off, off offset:504
	scratch_load_b64 v[46:47], off, off offset:416
	v_mov_b32_e32 v1, 0
	ds_load_2addr_b64 v[22:25], v1 offset0:117 offset1:118
	ds_load_2addr_b64 v[26:29], v1 offset0:119 offset1:120
	;; [unrolled: 1-line block ×5, first 2 shown]
	ds_load_b64 v[48:49], v1 offset:1016
	s_mov_b32 s0, exec_lo
	s_wait_loadcnt_dscnt 0x605
	v_mul_f32_e32 v34, v22, v3
	s_wait_loadcnt_dscnt 0x403
	v_dual_mul_f32 v3, v23, v3 :: v_dual_mul_f32 v54, v32, v13
	v_dual_mul_f32 v50, v24, v5 :: v_dual_mul_f32 v51, v26, v7
	s_wait_loadcnt_dscnt 0x100
	v_dual_mul_f32 v59, v48, v45 :: v_dual_fmac_f32 v34, v23, v2
	v_mul_f32_e32 v5, v25, v5
	v_fma_f32 v3, v22, v2, -v3
	v_dual_mul_f32 v52, v28, v9 :: v_dual_mul_f32 v53, v30, v11
	v_mul_f32_e32 v2, v27, v7
	s_delay_alu instid0(VALU_DEP_3) | instskip(SKIP_1) | instid1(VALU_DEP_4)
	v_dual_fmac_f32 v50, v25, v4 :: v_dual_add_f32 v3, 0, v3
	v_fma_f32 v4, v24, v4, -v5
	v_dual_add_f32 v5, 0, v34 :: v_dual_fmac_f32 v52, v29, v8
	s_delay_alu instid0(VALU_DEP_4) | instskip(SKIP_1) | instid1(VALU_DEP_3)
	v_fma_f32 v2, v26, v6, -v2
	v_fmac_f32_e32 v51, v27, v6
	v_dual_add_f32 v3, v3, v4 :: v_dual_add_f32 v4, v5, v50
	v_mul_f32_e32 v7, v29, v9
	v_dual_fmac_f32 v53, v31, v10 :: v_dual_fmac_f32 v54, v33, v12
	s_delay_alu instid0(VALU_DEP_3) | instskip(NEXT) | instid1(VALU_DEP_3)
	v_dual_add_f32 v2, v3, v2 :: v_dual_add_f32 v3, v4, v51
	v_fma_f32 v6, v28, v8, -v7
	v_dual_mul_f32 v5, v31, v11 :: v_dual_mul_f32 v4, v33, v13
	v_dual_mul_f32 v55, v36, v15 :: v_dual_mul_f32 v56, v38, v17
	s_delay_alu instid0(VALU_DEP_3) | instskip(NEXT) | instid1(VALU_DEP_3)
	v_add_f32_e32 v2, v2, v6
	v_fma_f32 v5, v30, v10, -v5
	v_dual_add_f32 v3, v3, v52 :: v_dual_mul_f32 v6, v37, v15
	v_fma_f32 v4, v32, v12, -v4
	v_dual_fmac_f32 v55, v37, v14 :: v_dual_fmac_f32 v56, v39, v16
	s_delay_alu instid0(VALU_DEP_4) | instskip(NEXT) | instid1(VALU_DEP_4)
	v_add_f32_e32 v2, v2, v5
	v_add_f32_e32 v3, v3, v53
	v_mul_f32_e32 v5, v39, v17
	v_fma_f32 v6, v36, v14, -v6
	v_dual_mul_f32 v57, v40, v19 :: v_dual_mul_f32 v58, v42, v21
	v_add_f32_e32 v2, v2, v4
	v_mul_f32_e32 v4, v41, v19
	v_fma_f32 v5, v38, v16, -v5
	s_delay_alu instid0(VALU_DEP_4) | instskip(NEXT) | instid1(VALU_DEP_4)
	v_dual_fmac_f32 v57, v41, v18 :: v_dual_fmac_f32 v58, v43, v20
	v_add_f32_e32 v2, v2, v6
	v_add_f32_e32 v3, v3, v54
	v_mul_f32_e32 v6, v43, v21
	v_fma_f32 v4, v40, v18, -v4
	s_delay_alu instid0(VALU_DEP_3) | instskip(SKIP_1) | instid1(VALU_DEP_4)
	v_dual_add_f32 v2, v2, v5 :: v_dual_add_f32 v3, v3, v55
	v_mul_f32_e32 v5, v49, v45
	v_fma_f32 v6, v42, v20, -v6
	s_delay_alu instid0(VALU_DEP_3) | instskip(NEXT) | instid1(VALU_DEP_4)
	v_add_f32_e32 v2, v2, v4
	v_add_f32_e32 v3, v3, v56
	s_delay_alu instid0(VALU_DEP_4) | instskip(NEXT) | instid1(VALU_DEP_2)
	v_fma_f32 v4, v48, v44, -v5
	v_dual_add_f32 v2, v2, v6 :: v_dual_add_f32 v3, v3, v57
	s_delay_alu instid0(VALU_DEP_1) | instskip(SKIP_1) | instid1(VALU_DEP_1)
	v_dual_add_f32 v2, v2, v4 :: v_dual_add_f32 v3, v3, v58
	s_wait_loadcnt 0x0
	v_dual_fmac_f32 v59, v49, v44 :: v_dual_sub_f32 v2, v46, v2
	s_delay_alu instid0(VALU_DEP_1) | instskip(NEXT) | instid1(VALU_DEP_1)
	v_add_f32_e32 v3, v3, v59
	v_sub_f32_e32 v3, v47, v3
	scratch_store_b64 off, v[2:3], off offset:416
	v_cmpx_lt_u32_e32 51, v0
	s_cbranch_execz .LBB63_295
; %bb.294:
	scratch_load_b64 v[3:4], off, off offset:408
	v_mov_b32_e32 v2, v1
	scratch_store_b64 off, v[1:2], off offset:408
	s_wait_loadcnt 0x0
	ds_store_b64 v35, v[3:4]
.LBB63_295:
	s_wait_alu 0xfffe
	s_or_b32 exec_lo, exec_lo, s0
	s_wait_storecnt_dscnt 0x0
	s_barrier_signal -1
	s_barrier_wait -1
	global_inv scope:SCOPE_SE
	s_clause 0x6
	scratch_load_b128 v[2:5], off, off offset:416
	scratch_load_b128 v[6:9], off, off offset:432
	scratch_load_b128 v[10:13], off, off offset:448
	scratch_load_b128 v[14:17], off, off offset:464
	scratch_load_b128 v[18:21], off, off offset:480
	scratch_load_b128 v[22:25], off, off offset:496
	scratch_load_b64 v[52:53], off, off offset:408
	ds_load_b128 v[26:29], v1 offset:928
	ds_load_b128 v[30:33], v1 offset:944
	;; [unrolled: 1-line block ×6, first 2 shown]
	s_mov_b32 s0, exec_lo
	s_wait_loadcnt_dscnt 0x605
	v_dual_mul_f32 v1, v26, v3 :: v_dual_mul_f32 v34, v28, v5
	v_mul_f32_e32 v3, v27, v3
	s_wait_loadcnt_dscnt 0x504
	v_dual_mul_f32 v5, v29, v5 :: v_dual_mul_f32 v54, v30, v7
	s_delay_alu instid0(VALU_DEP_3) | instskip(NEXT) | instid1(VALU_DEP_3)
	v_dual_mul_f32 v55, v32, v9 :: v_dual_fmac_f32 v34, v29, v4
	v_fma_f32 v3, v26, v2, -v3
	v_fmac_f32_e32 v1, v27, v2
	v_mul_f32_e32 v2, v31, v7
	v_fma_f32 v4, v28, v4, -v5
	s_wait_loadcnt_dscnt 0x403
	v_dual_mul_f32 v56, v36, v11 :: v_dual_mul_f32 v57, v38, v13
	v_dual_add_f32 v3, 0, v3 :: v_dual_fmac_f32 v54, v31, v6
	v_fma_f32 v2, v30, v6, -v2
	s_delay_alu instid0(VALU_DEP_3)
	v_fmac_f32_e32 v56, v37, v10
	s_wait_loadcnt_dscnt 0x302
	v_dual_mul_f32 v58, v40, v15 :: v_dual_mul_f32 v59, v42, v17
	v_dual_add_f32 v3, v3, v4 :: v_dual_mul_f32 v4, v37, v11
	v_add_f32_e32 v1, 0, v1
	v_fmac_f32_e32 v55, v33, v8
	s_delay_alu instid0(VALU_DEP_4) | instskip(NEXT) | instid1(VALU_DEP_4)
	v_fmac_f32_e32 v58, v41, v14
	v_add_f32_e32 v2, v3, v2
	v_fma_f32 v4, v36, v10, -v4
	v_mul_f32_e32 v5, v33, v9
	s_wait_loadcnt_dscnt 0x100
	v_dual_mul_f32 v3, v39, v13 :: v_dual_mul_f32 v62, v48, v23
	v_dual_mul_f32 v63, v50, v25 :: v_dual_mul_f32 v60, v44, v19
	v_mul_f32_e32 v61, v46, v21
	v_fma_f32 v5, v32, v8, -v5
	v_add_f32_e32 v1, v1, v34
	v_fma_f32 v3, v38, v12, -v3
	v_dual_fmac_f32 v57, v39, v12 :: v_dual_fmac_f32 v60, v45, v18
	s_delay_alu instid0(VALU_DEP_4) | instskip(SKIP_2) | instid1(VALU_DEP_3)
	v_dual_add_f32 v2, v2, v5 :: v_dual_fmac_f32 v59, v43, v16
	v_fmac_f32_e32 v61, v47, v20
	v_dual_fmac_f32 v63, v51, v24 :: v_dual_fmac_f32 v62, v49, v22
	v_add_f32_e32 v2, v2, v4
	v_dual_mul_f32 v4, v43, v17 :: v_dual_add_f32 v1, v1, v54
	s_delay_alu instid0(VALU_DEP_2) | instskip(NEXT) | instid1(VALU_DEP_2)
	v_add_f32_e32 v2, v2, v3
	v_fma_f32 v4, v42, v16, -v4
	v_mul_f32_e32 v5, v41, v15
	s_delay_alu instid0(VALU_DEP_1) | instskip(NEXT) | instid1(VALU_DEP_1)
	v_fma_f32 v5, v40, v14, -v5
	v_dual_add_f32 v1, v1, v55 :: v_dual_add_f32 v2, v2, v5
	s_delay_alu instid0(VALU_DEP_1) | instskip(NEXT) | instid1(VALU_DEP_1)
	v_dual_mul_f32 v5, v47, v21 :: v_dual_add_f32 v2, v2, v4
	v_fma_f32 v5, v46, v20, -v5
	v_mul_f32_e32 v3, v45, v19
	v_mul_f32_e32 v4, v49, v23
	s_delay_alu instid0(VALU_DEP_2) | instskip(SKIP_1) | instid1(VALU_DEP_3)
	v_fma_f32 v3, v44, v18, -v3
	v_add_f32_e32 v1, v1, v56
	v_fma_f32 v4, v48, v22, -v4
	s_delay_alu instid0(VALU_DEP_3) | instskip(NEXT) | instid1(VALU_DEP_1)
	v_dual_add_f32 v2, v2, v3 :: v_dual_mul_f32 v3, v51, v25
	v_add_f32_e32 v2, v2, v5
	s_delay_alu instid0(VALU_DEP_4) | instskip(NEXT) | instid1(VALU_DEP_3)
	v_add_f32_e32 v1, v1, v57
	v_fma_f32 v3, v50, v24, -v3
	s_delay_alu instid0(VALU_DEP_2) | instskip(NEXT) | instid1(VALU_DEP_1)
	v_dual_add_f32 v2, v2, v4 :: v_dual_add_f32 v1, v1, v58
	v_add_f32_e32 v2, v2, v3
	s_delay_alu instid0(VALU_DEP_2) | instskip(NEXT) | instid1(VALU_DEP_1)
	v_add_f32_e32 v1, v1, v59
	v_add_f32_e32 v1, v1, v60
	s_delay_alu instid0(VALU_DEP_1) | instskip(NEXT) | instid1(VALU_DEP_1)
	v_add_f32_e32 v1, v1, v61
	v_add_f32_e32 v1, v1, v62
	s_delay_alu instid0(VALU_DEP_1) | instskip(SKIP_1) | instid1(VALU_DEP_1)
	v_add_f32_e32 v3, v1, v63
	s_wait_loadcnt 0x0
	v_dual_sub_f32 v1, v52, v2 :: v_dual_sub_f32 v2, v53, v3
	scratch_store_b64 off, v[1:2], off offset:408
	v_cmpx_lt_u32_e32 50, v0
	s_cbranch_execz .LBB63_297
; %bb.296:
	scratch_load_b64 v[1:2], off, off offset:400
	v_mov_b32_e32 v3, 0
	s_delay_alu instid0(VALU_DEP_1)
	v_mov_b32_e32 v4, v3
	scratch_store_b64 off, v[3:4], off offset:400
	s_wait_loadcnt 0x0
	ds_store_b64 v35, v[1:2]
.LBB63_297:
	s_wait_alu 0xfffe
	s_or_b32 exec_lo, exec_lo, s0
	s_wait_storecnt_dscnt 0x0
	s_barrier_signal -1
	s_barrier_wait -1
	global_inv scope:SCOPE_SE
	s_clause 0x7
	scratch_load_b128 v[2:5], off, off offset:408
	scratch_load_b128 v[6:9], off, off offset:424
	;; [unrolled: 1-line block ×6, first 2 shown]
	scratch_load_b64 v[52:53], off, off offset:504
	scratch_load_b64 v[54:55], off, off offset:400
	v_mov_b32_e32 v1, 0
	ds_load_2addr_b64 v[26:29], v1 offset0:115 offset1:116
	ds_load_2addr_b64 v[30:33], v1 offset0:117 offset1:118
	;; [unrolled: 1-line block ×6, first 2 shown]
	ds_load_b64 v[56:57], v1 offset:1016
	s_mov_b32 s0, exec_lo
	s_wait_loadcnt_dscnt 0x706
	v_mul_f32_e32 v34, v26, v3
	s_wait_loadcnt_dscnt 0x605
	v_dual_mul_f32 v60, v32, v9 :: v_dual_mul_f32 v3, v27, v3
	v_dual_mul_f32 v58, v28, v5 :: v_dual_mul_f32 v59, v30, v7
	v_mul_f32_e32 v5, v29, v5
	s_wait_loadcnt_dscnt 0x100
	v_dual_mul_f32 v197, v56, v53 :: v_dual_fmac_f32 v34, v27, v2
	v_fma_f32 v3, v26, v2, -v3
	v_mul_f32_e32 v2, v31, v7
	v_fmac_f32_e32 v58, v29, v4
	v_fma_f32 v4, v28, v4, -v5
	v_dual_add_f32 v5, 0, v34 :: v_dual_fmac_f32 v60, v33, v8
	v_add_f32_e32 v3, 0, v3
	v_fma_f32 v2, v30, v6, -v2
	v_fmac_f32_e32 v59, v31, v6
	v_dual_mul_f32 v61, v36, v11 :: v_dual_mul_f32 v62, v38, v13
	s_delay_alu instid0(VALU_DEP_4) | instskip(SKIP_1) | instid1(VALU_DEP_3)
	v_dual_add_f32 v3, v3, v4 :: v_dual_add_f32 v4, v5, v58
	v_mul_f32_e32 v7, v33, v9
	v_dual_mul_f32 v5, v37, v11 :: v_dual_fmac_f32 v62, v39, v12
	s_delay_alu instid0(VALU_DEP_3) | instskip(SKIP_1) | instid1(VALU_DEP_4)
	v_dual_add_f32 v2, v3, v2 :: v_dual_mul_f32 v63, v40, v15
	v_mul_f32_e32 v64, v42, v17
	v_fma_f32 v6, v32, v8, -v7
	v_dual_mul_f32 v65, v44, v19 :: v_dual_mul_f32 v66, v46, v21
	s_delay_alu instid0(VALU_DEP_3) | instskip(NEXT) | instid1(VALU_DEP_3)
	v_dual_fmac_f32 v63, v41, v14 :: v_dual_fmac_f32 v64, v43, v16
	v_add_f32_e32 v2, v2, v6
	v_mul_f32_e32 v6, v41, v15
	v_dual_add_f32 v3, v4, v59 :: v_dual_mul_f32 v4, v39, v13
	v_fma_f32 v5, v36, v10, -v5
	v_fmac_f32_e32 v65, v45, v18
	s_delay_alu instid0(VALU_DEP_4) | instskip(NEXT) | instid1(VALU_DEP_4)
	v_fma_f32 v6, v40, v14, -v6
	v_add_f32_e32 v3, v3, v60
	s_delay_alu instid0(VALU_DEP_4) | instskip(SKIP_3) | instid1(VALU_DEP_3)
	v_dual_fmac_f32 v61, v37, v10 :: v_dual_add_f32 v2, v2, v5
	v_fma_f32 v4, v38, v12, -v4
	v_mul_f32_e32 v5, v43, v17
	v_dual_mul_f32 v67, v48, v23 :: v_dual_mul_f32 v68, v50, v25
	v_dual_add_f32 v3, v3, v61 :: v_dual_add_f32 v2, v2, v4
	v_mul_f32_e32 v4, v45, v19
	s_delay_alu instid0(VALU_DEP_4) | instskip(NEXT) | instid1(VALU_DEP_4)
	v_fma_f32 v5, v42, v16, -v5
	v_dual_fmac_f32 v66, v47, v20 :: v_dual_fmac_f32 v67, v49, v22
	s_delay_alu instid0(VALU_DEP_4) | instskip(SKIP_4) | instid1(VALU_DEP_4)
	v_add_f32_e32 v2, v2, v6
	v_add_f32_e32 v3, v3, v62
	v_mul_f32_e32 v6, v47, v21
	v_fma_f32 v4, v44, v18, -v4
	v_fmac_f32_e32 v68, v51, v24
	v_dual_add_f32 v2, v2, v5 :: v_dual_add_f32 v3, v3, v63
	s_delay_alu instid0(VALU_DEP_4) | instskip(NEXT) | instid1(VALU_DEP_2)
	v_fma_f32 v6, v46, v20, -v6
	v_dual_mul_f32 v5, v49, v23 :: v_dual_add_f32 v2, v2, v4
	s_delay_alu instid0(VALU_DEP_3) | instskip(SKIP_1) | instid1(VALU_DEP_3)
	v_add_f32_e32 v3, v3, v64
	v_mul_f32_e32 v4, v51, v25
	v_fma_f32 v5, v48, v22, -v5
	s_delay_alu instid0(VALU_DEP_3) | instskip(SKIP_1) | instid1(VALU_DEP_4)
	v_dual_add_f32 v2, v2, v6 :: v_dual_add_f32 v3, v3, v65
	v_mul_f32_e32 v6, v57, v53
	v_fma_f32 v4, v50, v24, -v4
	s_delay_alu instid0(VALU_DEP_3) | instskip(NEXT) | instid1(VALU_DEP_3)
	v_dual_add_f32 v3, v3, v66 :: v_dual_add_f32 v2, v2, v5
	v_fma_f32 v5, v56, v52, -v6
	s_delay_alu instid0(VALU_DEP_2) | instskip(NEXT) | instid1(VALU_DEP_1)
	v_add_f32_e32 v3, v3, v67
	v_add_f32_e32 v3, v3, v68
	s_delay_alu instid0(VALU_DEP_4) | instskip(NEXT) | instid1(VALU_DEP_1)
	v_add_f32_e32 v2, v2, v4
	v_dual_fmac_f32 v197, v57, v52 :: v_dual_add_f32 v2, v2, v5
	s_wait_loadcnt 0x0
	s_delay_alu instid0(VALU_DEP_1) | instskip(NEXT) | instid1(VALU_DEP_1)
	v_dual_sub_f32 v2, v54, v2 :: v_dual_add_f32 v3, v3, v197
	v_sub_f32_e32 v3, v55, v3
	scratch_store_b64 off, v[2:3], off offset:400
	v_cmpx_lt_u32_e32 49, v0
	s_cbranch_execz .LBB63_299
; %bb.298:
	scratch_load_b64 v[3:4], off, off offset:392
	v_mov_b32_e32 v2, v1
	scratch_store_b64 off, v[1:2], off offset:392
	s_wait_loadcnt 0x0
	ds_store_b64 v35, v[3:4]
.LBB63_299:
	s_wait_alu 0xfffe
	s_or_b32 exec_lo, exec_lo, s0
	s_wait_storecnt_dscnt 0x0
	s_barrier_signal -1
	s_barrier_wait -1
	global_inv scope:SCOPE_SE
	s_clause 0x7
	scratch_load_b128 v[2:5], off, off offset:400
	scratch_load_b128 v[6:9], off, off offset:416
	scratch_load_b128 v[10:13], off, off offset:432
	scratch_load_b128 v[14:17], off, off offset:448
	scratch_load_b128 v[18:21], off, off offset:464
	scratch_load_b128 v[22:25], off, off offset:480
	scratch_load_b128 v[26:29], off, off offset:496
	scratch_load_b64 v[60:61], off, off offset:392
	ds_load_b128 v[30:33], v1 offset:912
	ds_load_b128 v[36:39], v1 offset:928
	;; [unrolled: 1-line block ×7, first 2 shown]
	s_mov_b32 s0, exec_lo
	s_wait_loadcnt_dscnt 0x706
	v_dual_mul_f32 v1, v30, v3 :: v_dual_mul_f32 v34, v32, v5
	v_mul_f32_e32 v3, v31, v3
	s_wait_loadcnt_dscnt 0x605
	v_dual_mul_f32 v62, v36, v7 :: v_dual_mul_f32 v63, v38, v9
	s_delay_alu instid0(VALU_DEP_3) | instskip(NEXT) | instid1(VALU_DEP_3)
	v_dual_fmac_f32 v1, v31, v2 :: v_dual_fmac_f32 v34, v33, v4
	v_fma_f32 v3, v30, v2, -v3
	v_mul_f32_e32 v2, v37, v7
	s_wait_loadcnt_dscnt 0x504
	v_dual_mul_f32 v64, v40, v11 :: v_dual_mul_f32 v65, v42, v13
	s_delay_alu instid0(VALU_DEP_3) | instskip(NEXT) | instid1(VALU_DEP_3)
	v_dual_fmac_f32 v62, v37, v6 :: v_dual_add_f32 v3, 0, v3
	v_fma_f32 v2, v36, v6, -v2
	v_mul_f32_e32 v5, v33, v5
	s_delay_alu instid0(VALU_DEP_4) | instskip(SKIP_2) | instid1(VALU_DEP_3)
	v_dual_fmac_f32 v64, v41, v10 :: v_dual_add_f32 v1, 0, v1
	s_wait_loadcnt_dscnt 0x302
	v_dual_mul_f32 v68, v48, v19 :: v_dual_mul_f32 v197, v50, v21
	v_fma_f32 v4, v32, v4, -v5
	v_dual_mul_f32 v5, v39, v9 :: v_dual_mul_f32 v66, v44, v15
	s_delay_alu instid0(VALU_DEP_3) | instskip(SKIP_1) | instid1(VALU_DEP_3)
	v_dual_mul_f32 v67, v46, v17 :: v_dual_fmac_f32 v68, v49, v18
	v_fmac_f32_e32 v63, v39, v8
	v_fma_f32 v5, v38, v8, -v5
	v_dual_add_f32 v3, v3, v4 :: v_dual_mul_f32 v4, v41, v11
	s_wait_loadcnt_dscnt 0x201
	v_dual_mul_f32 v198, v52, v23 :: v_dual_mul_f32 v199, v54, v25
	v_fmac_f32_e32 v66, v45, v14
	s_delay_alu instid0(VALU_DEP_3)
	v_add_f32_e32 v2, v3, v2
	v_fma_f32 v4, v40, v10, -v4
	v_mul_f32_e32 v3, v43, v13
	s_wait_loadcnt_dscnt 0x100
	v_dual_fmac_f32 v67, v47, v16 :: v_dual_mul_f32 v200, v56, v27
	v_mul_f32_e32 v201, v58, v29
	v_dual_add_f32 v2, v2, v5 :: v_dual_add_f32 v1, v1, v34
	v_fma_f32 v3, v42, v12, -v3
	s_delay_alu instid0(VALU_DEP_4) | instskip(NEXT) | instid1(VALU_DEP_3)
	v_dual_fmac_f32 v197, v51, v20 :: v_dual_fmac_f32 v200, v57, v26
	v_dual_add_f32 v2, v2, v4 :: v_dual_add_f32 v1, v1, v62
	v_mul_f32_e32 v4, v47, v17
	v_dual_fmac_f32 v65, v43, v12 :: v_dual_fmac_f32 v198, v53, v22
	s_delay_alu instid0(VALU_DEP_3) | instskip(NEXT) | instid1(VALU_DEP_3)
	v_dual_add_f32 v2, v2, v3 :: v_dual_fmac_f32 v201, v59, v28
	v_fma_f32 v4, v46, v16, -v4
	v_mul_f32_e32 v5, v45, v15
	s_delay_alu instid0(VALU_DEP_1) | instskip(NEXT) | instid1(VALU_DEP_1)
	v_fma_f32 v5, v44, v14, -v5
	v_dual_add_f32 v1, v1, v63 :: v_dual_add_f32 v2, v2, v5
	s_delay_alu instid0(VALU_DEP_1) | instskip(NEXT) | instid1(VALU_DEP_1)
	v_dual_mul_f32 v5, v51, v21 :: v_dual_add_f32 v2, v2, v4
	v_fma_f32 v5, v50, v20, -v5
	v_mul_f32_e32 v3, v49, v19
	v_mul_f32_e32 v4, v53, v23
	s_delay_alu instid0(VALU_DEP_2) | instskip(SKIP_1) | instid1(VALU_DEP_3)
	v_fma_f32 v3, v48, v18, -v3
	v_add_f32_e32 v1, v1, v64
	v_fma_f32 v4, v52, v22, -v4
	s_delay_alu instid0(VALU_DEP_3) | instskip(NEXT) | instid1(VALU_DEP_1)
	v_dual_add_f32 v2, v2, v3 :: v_dual_mul_f32 v3, v55, v25
	v_add_f32_e32 v2, v2, v5
	s_delay_alu instid0(VALU_DEP_4) | instskip(SKIP_1) | instid1(VALU_DEP_4)
	v_add_f32_e32 v1, v1, v65
	v_mul_f32_e32 v5, v57, v27
	v_fma_f32 v3, v54, v24, -v3
	s_delay_alu instid0(VALU_DEP_3) | instskip(SKIP_3) | instid1(VALU_DEP_4)
	v_dual_add_f32 v2, v2, v4 :: v_dual_add_f32 v1, v1, v66
	v_mul_f32_e32 v4, v59, v29
	v_fmac_f32_e32 v199, v55, v24
	v_fma_f32 v5, v56, v26, -v5
	v_add_f32_e32 v2, v2, v3
	v_add_f32_e32 v1, v1, v67
	v_fma_f32 v3, v58, v28, -v4
	s_delay_alu instid0(VALU_DEP_2) | instskip(NEXT) | instid1(VALU_DEP_1)
	v_dual_add_f32 v2, v2, v5 :: v_dual_add_f32 v1, v1, v68
	v_dual_add_f32 v2, v2, v3 :: v_dual_add_f32 v1, v1, v197
	s_delay_alu instid0(VALU_DEP_1) | instskip(NEXT) | instid1(VALU_DEP_1)
	v_add_f32_e32 v1, v1, v198
	v_add_f32_e32 v1, v1, v199
	s_delay_alu instid0(VALU_DEP_1) | instskip(NEXT) | instid1(VALU_DEP_1)
	v_add_f32_e32 v1, v1, v200
	v_add_f32_e32 v3, v1, v201
	s_wait_loadcnt 0x0
	s_delay_alu instid0(VALU_DEP_1)
	v_dual_sub_f32 v1, v60, v2 :: v_dual_sub_f32 v2, v61, v3
	scratch_store_b64 off, v[1:2], off offset:392
	v_cmpx_lt_u32_e32 48, v0
	s_cbranch_execz .LBB63_301
; %bb.300:
	scratch_load_b64 v[1:2], off, off offset:384
	v_mov_b32_e32 v3, 0
	s_delay_alu instid0(VALU_DEP_1)
	v_mov_b32_e32 v4, v3
	scratch_store_b64 off, v[3:4], off offset:384
	s_wait_loadcnt 0x0
	ds_store_b64 v35, v[1:2]
.LBB63_301:
	s_wait_alu 0xfffe
	s_or_b32 exec_lo, exec_lo, s0
	s_wait_storecnt_dscnt 0x0
	s_barrier_signal -1
	s_barrier_wait -1
	global_inv scope:SCOPE_SE
	s_clause 0x8
	scratch_load_b128 v[2:5], off, off offset:392
	scratch_load_b128 v[6:9], off, off offset:408
	;; [unrolled: 1-line block ×7, first 2 shown]
	scratch_load_b64 v[60:61], off, off offset:504
	scratch_load_b64 v[62:63], off, off offset:384
	v_mov_b32_e32 v1, 0
	ds_load_2addr_b64 v[30:33], v1 offset0:113 offset1:114
	ds_load_2addr_b64 v[36:39], v1 offset0:115 offset1:116
	;; [unrolled: 1-line block ×7, first 2 shown]
	ds_load_b64 v[64:65], v1 offset:1016
	s_mov_b32 s0, exec_lo
	s_wait_loadcnt_dscnt 0x807
	v_mul_f32_e32 v34, v30, v3
	v_dual_mul_f32 v66, v32, v5 :: v_dual_mul_f32 v3, v31, v3
	s_wait_loadcnt_dscnt 0x706
	v_dual_mul_f32 v67, v36, v7 :: v_dual_mul_f32 v68, v38, v9
	s_delay_alu instid0(VALU_DEP_3)
	v_dual_mul_f32 v5, v33, v5 :: v_dual_fmac_f32 v34, v31, v2
	s_wait_loadcnt_dscnt 0x100
	v_mul_f32_e32 v207, v64, v61
	v_fma_f32 v3, v30, v2, -v3
	v_mul_f32_e32 v2, v37, v7
	v_fmac_f32_e32 v66, v33, v4
	v_fmac_f32_e32 v68, v39, v8
	v_fma_f32 v4, v32, v4, -v5
	v_add_f32_e32 v3, 0, v3
	v_add_f32_e32 v5, 0, v34
	v_mul_f32_e32 v7, v39, v9
	v_fma_f32 v2, v36, v6, -v2
	v_fmac_f32_e32 v67, v37, v6
	s_delay_alu instid0(VALU_DEP_4) | instskip(SKIP_3) | instid1(VALU_DEP_4)
	v_dual_add_f32 v3, v3, v4 :: v_dual_add_f32 v4, v5, v66
	v_mul_f32_e32 v5, v41, v11
	v_fma_f32 v6, v38, v8, -v7
	v_dual_mul_f32 v197, v40, v11 :: v_dual_mul_f32 v198, v42, v13
	v_dual_add_f32 v2, v3, v2 :: v_dual_add_f32 v3, v4, v67
	v_mul_f32_e32 v4, v43, v13
	v_fma_f32 v5, v40, v10, -v5
	s_delay_alu instid0(VALU_DEP_4) | instskip(NEXT) | instid1(VALU_DEP_4)
	v_fmac_f32_e32 v198, v43, v12
	v_add_f32_e32 v2, v2, v6
	v_fmac_f32_e32 v197, v41, v10
	v_dual_add_f32 v3, v3, v68 :: v_dual_mul_f32 v6, v45, v15
	v_fma_f32 v4, v42, v12, -v4
	s_delay_alu instid0(VALU_DEP_4) | instskip(SKIP_1) | instid1(VALU_DEP_4)
	v_dual_add_f32 v2, v2, v5 :: v_dual_mul_f32 v199, v44, v15
	v_mul_f32_e32 v200, v46, v17
	v_add_f32_e32 v3, v3, v197
	v_mul_f32_e32 v5, v47, v17
	v_fma_f32 v6, v44, v14, -v6
	v_dual_add_f32 v2, v2, v4 :: v_dual_fmac_f32 v199, v45, v14
	v_fmac_f32_e32 v200, v47, v16
	v_mul_f32_e32 v4, v49, v19
	v_fma_f32 v5, v46, v16, -v5
	s_delay_alu instid0(VALU_DEP_4) | instskip(SKIP_4) | instid1(VALU_DEP_4)
	v_add_f32_e32 v2, v2, v6
	v_add_f32_e32 v3, v3, v198
	v_dual_mul_f32 v201, v48, v19 :: v_dual_mul_f32 v202, v50, v21
	v_mul_f32_e32 v6, v51, v21
	v_fma_f32 v4, v48, v18, -v4
	v_dual_add_f32 v2, v2, v5 :: v_dual_add_f32 v3, v3, v199
	s_delay_alu instid0(VALU_DEP_4) | instskip(NEXT) | instid1(VALU_DEP_4)
	v_fmac_f32_e32 v201, v49, v18
	v_fma_f32 v6, v50, v20, -v6
	v_dual_mul_f32 v203, v52, v23 :: v_dual_mul_f32 v204, v54, v25
	s_delay_alu instid0(VALU_DEP_4) | instskip(SKIP_2) | instid1(VALU_DEP_4)
	v_add_f32_e32 v2, v2, v4
	v_add_f32_e32 v3, v3, v200
	v_dual_mul_f32 v5, v53, v23 :: v_dual_fmac_f32 v202, v51, v20
	v_dual_mul_f32 v4, v55, v25 :: v_dual_fmac_f32 v203, v53, v22
	s_delay_alu instid0(VALU_DEP_3) | instskip(NEXT) | instid1(VALU_DEP_3)
	v_dual_add_f32 v2, v2, v6 :: v_dual_add_f32 v3, v3, v201
	v_fma_f32 v5, v52, v22, -v5
	v_dual_mul_f32 v205, v56, v27 :: v_dual_mul_f32 v206, v58, v29
	s_delay_alu instid0(VALU_DEP_3) | instskip(NEXT) | instid1(VALU_DEP_2)
	v_dual_mul_f32 v6, v57, v27 :: v_dual_add_f32 v3, v3, v202
	v_dual_fmac_f32 v204, v55, v24 :: v_dual_fmac_f32 v205, v57, v26
	v_fma_f32 v4, v54, v24, -v4
	s_delay_alu instid0(VALU_DEP_3) | instskip(SKIP_3) | instid1(VALU_DEP_4)
	v_dual_add_f32 v2, v2, v5 :: v_dual_add_f32 v3, v3, v203
	v_mul_f32_e32 v5, v59, v29
	v_fma_f32 v6, v56, v26, -v6
	v_fmac_f32_e32 v206, v59, v28
	v_add_f32_e32 v2, v2, v4
	v_dual_add_f32 v3, v3, v204 :: v_dual_mul_f32 v4, v65, v61
	v_fma_f32 v5, v58, v28, -v5
	s_delay_alu instid0(VALU_DEP_2) | instskip(SKIP_1) | instid1(VALU_DEP_4)
	v_dual_add_f32 v2, v2, v6 :: v_dual_add_f32 v3, v3, v205
	v_fmac_f32_e32 v207, v65, v60
	v_fma_f32 v4, v64, v60, -v4
	s_delay_alu instid0(VALU_DEP_3) | instskip(NEXT) | instid1(VALU_DEP_1)
	v_dual_add_f32 v2, v2, v5 :: v_dual_add_f32 v3, v3, v206
	v_dual_add_f32 v2, v2, v4 :: v_dual_add_f32 v3, v3, v207
	s_wait_loadcnt 0x0
	s_delay_alu instid0(VALU_DEP_1)
	v_dual_sub_f32 v2, v62, v2 :: v_dual_sub_f32 v3, v63, v3
	scratch_store_b64 off, v[2:3], off offset:384
	v_cmpx_lt_u32_e32 47, v0
	s_cbranch_execz .LBB63_303
; %bb.302:
	scratch_load_b64 v[3:4], off, off offset:376
	v_mov_b32_e32 v2, v1
	scratch_store_b64 off, v[1:2], off offset:376
	s_wait_loadcnt 0x0
	ds_store_b64 v35, v[3:4]
.LBB63_303:
	s_wait_alu 0xfffe
	s_or_b32 exec_lo, exec_lo, s0
	s_wait_storecnt_dscnt 0x0
	s_barrier_signal -1
	s_barrier_wait -1
	global_inv scope:SCOPE_SE
	s_clause 0x8
	scratch_load_b128 v[2:5], off, off offset:384
	scratch_load_b128 v[6:9], off, off offset:400
	;; [unrolled: 1-line block ×8, first 2 shown]
	scratch_load_b64 v[197:198], off, off offset:376
	ds_load_b128 v[36:39], v1 offset:896
	ds_load_b128 v[40:43], v1 offset:912
	;; [unrolled: 1-line block ×8, first 2 shown]
	s_mov_b32 s0, exec_lo
	s_wait_loadcnt_dscnt 0x807
	v_dual_mul_f32 v1, v36, v3 :: v_dual_mul_f32 v34, v38, v5
	v_mul_f32_e32 v3, v37, v3
	s_wait_loadcnt_dscnt 0x706
	v_dual_mul_f32 v5, v39, v5 :: v_dual_mul_f32 v68, v40, v7
	s_delay_alu instid0(VALU_DEP_3) | instskip(NEXT) | instid1(VALU_DEP_3)
	v_dual_mul_f32 v199, v42, v9 :: v_dual_fmac_f32 v34, v39, v4
	v_fma_f32 v3, v36, v2, -v3
	v_fmac_f32_e32 v1, v37, v2
	v_mul_f32_e32 v2, v41, v7
	v_fma_f32 v4, v38, v4, -v5
	s_wait_loadcnt_dscnt 0x605
	v_dual_mul_f32 v200, v44, v11 :: v_dual_mul_f32 v201, v46, v13
	v_dual_add_f32 v3, 0, v3 :: v_dual_fmac_f32 v68, v41, v6
	s_wait_loadcnt_dscnt 0x504
	v_dual_mul_f32 v202, v48, v15 :: v_dual_mul_f32 v203, v50, v17
	s_delay_alu instid0(VALU_DEP_3) | instskip(SKIP_1) | instid1(VALU_DEP_3)
	v_dual_mul_f32 v5, v43, v9 :: v_dual_fmac_f32 v200, v45, v10
	v_fma_f32 v2, v40, v6, -v2
	v_dual_add_f32 v3, v3, v4 :: v_dual_fmac_f32 v202, v49, v14
	s_delay_alu instid0(VALU_DEP_3)
	v_fma_f32 v5, v42, v8, -v5
	v_mul_f32_e32 v4, v45, v11
	s_wait_loadcnt_dscnt 0x403
	v_dual_mul_f32 v204, v52, v19 :: v_dual_mul_f32 v205, v54, v21
	v_add_f32_e32 v2, v3, v2
	v_mul_f32_e32 v3, v47, v13
	v_fma_f32 v4, v44, v10, -v4
	s_delay_alu instid0(VALU_DEP_4)
	v_fmac_f32_e32 v204, v53, v18
	s_wait_loadcnt_dscnt 0x302
	v_dual_mul_f32 v206, v56, v23 :: v_dual_mul_f32 v207, v58, v25
	v_add_f32_e32 v2, v2, v5
	v_add_f32_e32 v1, 0, v1
	v_fma_f32 v3, v46, v12, -v3
	s_wait_loadcnt_dscnt 0x100
	v_dual_fmac_f32 v203, v51, v16 :: v_dual_mul_f32 v210, v64, v31
	v_mul_f32_e32 v211, v66, v33
	v_dual_add_f32 v1, v1, v34 :: v_dual_add_f32 v2, v2, v4
	v_fmac_f32_e32 v199, v43, v8
	v_mul_f32_e32 v4, v51, v17
	v_dual_mul_f32 v208, v60, v27 :: v_dual_mul_f32 v209, v62, v29
	s_delay_alu instid0(VALU_DEP_4) | instskip(NEXT) | instid1(VALU_DEP_3)
	v_dual_add_f32 v1, v1, v68 :: v_dual_add_f32 v2, v2, v3
	v_fma_f32 v4, v50, v16, -v4
	v_mul_f32_e32 v5, v49, v15
	s_delay_alu instid0(VALU_DEP_4) | instskip(NEXT) | instid1(VALU_DEP_4)
	v_dual_fmac_f32 v205, v55, v20 :: v_dual_fmac_f32 v208, v61, v26
	v_add_f32_e32 v1, v1, v199
	v_fmac_f32_e32 v206, v57, v22
	s_delay_alu instid0(VALU_DEP_4) | instskip(SKIP_3) | instid1(VALU_DEP_4)
	v_fma_f32 v5, v48, v14, -v5
	v_fmac_f32_e32 v201, v47, v12
	v_fmac_f32_e32 v209, v63, v28
	v_dual_fmac_f32 v211, v67, v32 :: v_dual_fmac_f32 v210, v65, v30
	v_add_f32_e32 v2, v2, v5
	s_delay_alu instid0(VALU_DEP_1) | instskip(NEXT) | instid1(VALU_DEP_1)
	v_dual_mul_f32 v5, v55, v21 :: v_dual_add_f32 v2, v2, v4
	v_fma_f32 v5, v54, v20, -v5
	v_mul_f32_e32 v3, v53, v19
	v_mul_f32_e32 v4, v57, v23
	s_delay_alu instid0(VALU_DEP_2) | instskip(SKIP_1) | instid1(VALU_DEP_3)
	v_fma_f32 v3, v52, v18, -v3
	v_add_f32_e32 v1, v1, v200
	v_fma_f32 v4, v56, v22, -v4
	s_delay_alu instid0(VALU_DEP_3) | instskip(NEXT) | instid1(VALU_DEP_1)
	v_dual_add_f32 v2, v2, v3 :: v_dual_mul_f32 v3, v59, v25
	v_add_f32_e32 v2, v2, v5
	s_delay_alu instid0(VALU_DEP_4) | instskip(NEXT) | instid1(VALU_DEP_3)
	v_add_f32_e32 v1, v1, v201
	v_fma_f32 v3, v58, v24, -v3
	s_delay_alu instid0(VALU_DEP_2) | instskip(SKIP_1) | instid1(VALU_DEP_2)
	v_dual_add_f32 v2, v2, v4 :: v_dual_add_f32 v1, v1, v202
	v_mul_f32_e32 v4, v63, v29
	v_dual_fmac_f32 v207, v59, v24 :: v_dual_add_f32 v2, v2, v3
	v_mul_f32_e32 v3, v65, v31
	s_delay_alu instid0(VALU_DEP_3) | instskip(SKIP_1) | instid1(VALU_DEP_3)
	v_fma_f32 v4, v62, v28, -v4
	v_mul_f32_e32 v5, v61, v27
	v_fma_f32 v3, v64, v30, -v3
	s_delay_alu instid0(VALU_DEP_2) | instskip(NEXT) | instid1(VALU_DEP_1)
	v_fma_f32 v5, v60, v26, -v5
	v_dual_add_f32 v1, v1, v203 :: v_dual_add_f32 v2, v2, v5
	s_delay_alu instid0(VALU_DEP_1) | instskip(NEXT) | instid1(VALU_DEP_2)
	v_dual_mul_f32 v5, v67, v33 :: v_dual_add_f32 v2, v2, v4
	v_add_f32_e32 v1, v1, v204
	s_delay_alu instid0(VALU_DEP_2) | instskip(NEXT) | instid1(VALU_DEP_2)
	v_fma_f32 v4, v66, v32, -v5
	v_dual_add_f32 v2, v2, v3 :: v_dual_add_f32 v1, v1, v205
	s_delay_alu instid0(VALU_DEP_1) | instskip(NEXT) | instid1(VALU_DEP_1)
	v_dual_add_f32 v2, v2, v4 :: v_dual_add_f32 v1, v1, v206
	v_add_f32_e32 v1, v1, v207
	s_delay_alu instid0(VALU_DEP_1) | instskip(NEXT) | instid1(VALU_DEP_1)
	v_add_f32_e32 v1, v1, v208
	v_add_f32_e32 v1, v1, v209
	s_delay_alu instid0(VALU_DEP_1) | instskip(NEXT) | instid1(VALU_DEP_1)
	v_add_f32_e32 v1, v1, v210
	v_add_f32_e32 v3, v1, v211
	s_wait_loadcnt 0x0
	s_delay_alu instid0(VALU_DEP_1)
	v_dual_sub_f32 v1, v197, v2 :: v_dual_sub_f32 v2, v198, v3
	scratch_store_b64 off, v[1:2], off offset:376
	v_cmpx_lt_u32_e32 46, v0
	s_cbranch_execz .LBB63_305
; %bb.304:
	scratch_load_b64 v[1:2], off, off offset:368
	v_mov_b32_e32 v3, 0
	s_delay_alu instid0(VALU_DEP_1)
	v_mov_b32_e32 v4, v3
	scratch_store_b64 off, v[3:4], off offset:368
	s_wait_loadcnt 0x0
	ds_store_b64 v35, v[1:2]
.LBB63_305:
	s_wait_alu 0xfffe
	s_or_b32 exec_lo, exec_lo, s0
	s_wait_storecnt_dscnt 0x0
	s_barrier_signal -1
	s_barrier_wait -1
	global_inv scope:SCOPE_SE
	s_clause 0x9
	scratch_load_b128 v[2:5], off, off offset:376
	scratch_load_b128 v[6:9], off, off offset:392
	;; [unrolled: 1-line block ×8, first 2 shown]
	scratch_load_b64 v[197:198], off, off offset:504
	scratch_load_b64 v[199:200], off, off offset:368
	v_mov_b32_e32 v1, 0
	ds_load_2addr_b64 v[36:39], v1 offset0:111 offset1:112
	ds_load_2addr_b64 v[40:43], v1 offset0:113 offset1:114
	;; [unrolled: 1-line block ×8, first 2 shown]
	ds_load_b64 v[201:202], v1 offset:1016
	s_mov_b32 s0, exec_lo
	s_wait_loadcnt_dscnt 0x908
	v_mul_f32_e32 v34, v36, v3
	s_wait_loadcnt_dscnt 0x807
	v_dual_mul_f32 v68, v38, v5 :: v_dual_mul_f32 v203, v40, v7
	v_mul_f32_e32 v3, v37, v3
	s_delay_alu instid0(VALU_DEP_3)
	v_dual_mul_f32 v5, v39, v5 :: v_dual_fmac_f32 v34, v37, v2
	s_wait_loadcnt_dscnt 0x302
	v_mul_f32_e32 v214, v62, v29
	s_wait_loadcnt_dscnt 0x100
	v_dual_fmac_f32 v68, v39, v4 :: v_dual_mul_f32 v217, v201, v198
	v_fma_f32 v3, v36, v2, -v3
	v_mul_f32_e32 v2, v41, v7
	v_fma_f32 v4, v38, v4, -v5
	v_dual_add_f32 v5, 0, v34 :: v_dual_mul_f32 v204, v42, v9
	v_mul_f32_e32 v205, v44, v11
	v_add_f32_e32 v3, 0, v3
	v_fma_f32 v2, v40, v6, -v2
	s_delay_alu instid0(VALU_DEP_4) | instskip(SKIP_1) | instid1(VALU_DEP_4)
	v_dual_fmac_f32 v203, v41, v6 :: v_dual_fmac_f32 v204, v43, v8
	v_dual_mul_f32 v206, v46, v13 :: v_dual_mul_f32 v207, v48, v15
	v_add_f32_e32 v3, v3, v4
	v_add_f32_e32 v4, v5, v68
	v_mul_f32_e32 v5, v45, v11
	s_delay_alu instid0(VALU_DEP_4) | instskip(NEXT) | instid1(VALU_DEP_4)
	v_dual_fmac_f32 v205, v45, v10 :: v_dual_fmac_f32 v206, v47, v12
	v_add_f32_e32 v2, v3, v2
	v_mul_f32_e32 v7, v43, v9
	v_dual_add_f32 v3, v4, v203 :: v_dual_mul_f32 v4, v47, v13
	v_fma_f32 v5, v44, v10, -v5
	v_dual_mul_f32 v208, v50, v17 :: v_dual_mul_f32 v209, v52, v19
	s_delay_alu instid0(VALU_DEP_4) | instskip(NEXT) | instid1(VALU_DEP_4)
	v_fma_f32 v6, v42, v8, -v7
	v_fma_f32 v4, v46, v12, -v4
	s_delay_alu instid0(VALU_DEP_3) | instskip(SKIP_1) | instid1(VALU_DEP_4)
	v_dual_fmac_f32 v207, v49, v14 :: v_dual_fmac_f32 v208, v51, v16
	v_dual_mul_f32 v210, v54, v21 :: v_dual_mul_f32 v211, v56, v23
	v_dual_add_f32 v2, v2, v6 :: v_dual_add_f32 v3, v3, v204
	v_mul_f32_e32 v6, v49, v15
	v_dual_mul_f32 v212, v58, v25 :: v_dual_mul_f32 v213, v60, v27
	s_delay_alu instid0(VALU_DEP_3) | instskip(NEXT) | instid1(VALU_DEP_4)
	v_add_f32_e32 v2, v2, v5
	v_add_f32_e32 v3, v3, v205
	v_mul_f32_e32 v5, v51, v17
	v_fma_f32 v6, v48, v14, -v6
	s_delay_alu instid0(VALU_DEP_4) | instskip(SKIP_1) | instid1(VALU_DEP_4)
	v_dual_fmac_f32 v209, v53, v18 :: v_dual_add_f32 v2, v2, v4
	v_mul_f32_e32 v4, v53, v19
	v_fma_f32 v5, v50, v16, -v5
	v_fmac_f32_e32 v210, v55, v20
	v_dual_fmac_f32 v212, v59, v24 :: v_dual_fmac_f32 v213, v61, v26
	v_add_f32_e32 v2, v2, v6
	v_add_f32_e32 v3, v3, v206
	v_mul_f32_e32 v6, v55, v21
	v_fma_f32 v4, v52, v18, -v4
	s_delay_alu instid0(VALU_DEP_4) | instskip(NEXT) | instid1(VALU_DEP_4)
	v_dual_fmac_f32 v211, v57, v22 :: v_dual_add_f32 v2, v2, v5
	v_add_f32_e32 v3, v3, v207
	s_delay_alu instid0(VALU_DEP_4)
	v_fma_f32 v6, v54, v20, -v6
	v_mul_f32_e32 v5, v57, v23
	v_dual_mul_f32 v215, v64, v31 :: v_dual_mul_f32 v216, v66, v33
	v_add_f32_e32 v2, v2, v4
	v_add_f32_e32 v3, v3, v208
	v_mul_f32_e32 v4, v59, v25
	v_fma_f32 v5, v56, v22, -v5
	v_dual_fmac_f32 v214, v63, v28 :: v_dual_fmac_f32 v215, v65, v30
	s_delay_alu instid0(VALU_DEP_4) | instskip(SKIP_3) | instid1(VALU_DEP_4)
	v_dual_add_f32 v2, v2, v6 :: v_dual_add_f32 v3, v3, v209
	v_mul_f32_e32 v6, v61, v27
	v_fma_f32 v4, v58, v24, -v4
	v_dual_fmac_f32 v216, v67, v32 :: v_dual_fmac_f32 v217, v202, v197
	v_dual_add_f32 v3, v3, v210 :: v_dual_add_f32 v2, v2, v5
	s_delay_alu instid0(VALU_DEP_4) | instskip(NEXT) | instid1(VALU_DEP_2)
	v_fma_f32 v6, v60, v26, -v6
	v_add_f32_e32 v3, v3, v211
	s_delay_alu instid0(VALU_DEP_3) | instskip(NEXT) | instid1(VALU_DEP_2)
	v_dual_mul_f32 v5, v63, v29 :: v_dual_add_f32 v2, v2, v4
	v_dual_mul_f32 v4, v65, v31 :: v_dual_add_f32 v3, v3, v212
	s_delay_alu instid0(VALU_DEP_2) | instskip(NEXT) | instid1(VALU_DEP_3)
	v_fma_f32 v5, v62, v28, -v5
	v_add_f32_e32 v2, v2, v6
	v_mul_f32_e32 v6, v67, v33
	s_delay_alu instid0(VALU_DEP_4) | instskip(SKIP_1) | instid1(VALU_DEP_4)
	v_fma_f32 v4, v64, v30, -v4
	v_add_f32_e32 v3, v3, v213
	v_add_f32_e32 v2, v2, v5
	v_mul_f32_e32 v5, v202, v198
	v_fma_f32 v6, v66, v32, -v6
	s_delay_alu instid0(VALU_DEP_3) | instskip(NEXT) | instid1(VALU_DEP_3)
	v_dual_add_f32 v3, v3, v214 :: v_dual_add_f32 v2, v2, v4
	v_fma_f32 v4, v201, v197, -v5
	s_delay_alu instid0(VALU_DEP_2) | instskip(NEXT) | instid1(VALU_DEP_1)
	v_dual_add_f32 v3, v3, v215 :: v_dual_add_f32 v2, v2, v6
	v_add_f32_e32 v3, v3, v216
	s_delay_alu instid0(VALU_DEP_1) | instskip(SKIP_1) | instid1(VALU_DEP_1)
	v_dual_add_f32 v2, v2, v4 :: v_dual_add_f32 v3, v3, v217
	s_wait_loadcnt 0x0
	v_dual_sub_f32 v2, v199, v2 :: v_dual_sub_f32 v3, v200, v3
	scratch_store_b64 off, v[2:3], off offset:368
	v_cmpx_lt_u32_e32 45, v0
	s_cbranch_execz .LBB63_307
; %bb.306:
	scratch_load_b64 v[3:4], off, off offset:360
	v_mov_b32_e32 v2, v1
	scratch_store_b64 off, v[1:2], off offset:360
	s_wait_loadcnt 0x0
	ds_store_b64 v35, v[3:4]
.LBB63_307:
	s_wait_alu 0xfffe
	s_or_b32 exec_lo, exec_lo, s0
	s_wait_storecnt_dscnt 0x0
	s_barrier_signal -1
	s_barrier_wait -1
	global_inv scope:SCOPE_SE
	s_clause 0x9
	scratch_load_b128 v[2:5], off, off offset:368
	scratch_load_b128 v[6:9], off, off offset:384
	;; [unrolled: 1-line block ×9, first 2 shown]
	scratch_load_b64 v[205:206], off, off offset:360
	ds_load_b128 v[40:43], v1 offset:880
	ds_load_b128 v[44:47], v1 offset:896
	;; [unrolled: 1-line block ×9, first 2 shown]
	s_mov_b32 s0, exec_lo
	s_wait_loadcnt_dscnt 0x908
	v_dual_mul_f32 v1, v40, v3 :: v_dual_mul_f32 v34, v42, v5
	v_mul_f32_e32 v3, v41, v3
	s_wait_loadcnt_dscnt 0x807
	v_dual_mul_f32 v5, v43, v5 :: v_dual_mul_f32 v68, v44, v7
	s_delay_alu instid0(VALU_DEP_3) | instskip(NEXT) | instid1(VALU_DEP_3)
	v_dual_mul_f32 v207, v46, v9 :: v_dual_fmac_f32 v34, v43, v4
	v_fma_f32 v3, v40, v2, -v3
	v_fmac_f32_e32 v1, v41, v2
	v_mul_f32_e32 v2, v45, v7
	v_fma_f32 v4, v42, v4, -v5
	s_wait_loadcnt_dscnt 0x706
	v_dual_mul_f32 v208, v48, v11 :: v_dual_mul_f32 v209, v50, v13
	v_dual_add_f32 v3, 0, v3 :: v_dual_fmac_f32 v68, v45, v6
	s_wait_loadcnt_dscnt 0x605
	v_dual_mul_f32 v210, v52, v15 :: v_dual_mul_f32 v211, v54, v17
	s_delay_alu instid0(VALU_DEP_3) | instskip(SKIP_1) | instid1(VALU_DEP_3)
	v_dual_mul_f32 v5, v47, v9 :: v_dual_fmac_f32 v208, v49, v10
	v_fma_f32 v2, v44, v6, -v2
	v_dual_add_f32 v3, v3, v4 :: v_dual_fmac_f32 v210, v53, v14
	s_delay_alu instid0(VALU_DEP_3)
	v_fma_f32 v5, v46, v8, -v5
	v_mul_f32_e32 v4, v49, v11
	s_wait_loadcnt_dscnt 0x504
	v_dual_mul_f32 v212, v56, v19 :: v_dual_mul_f32 v213, v58, v21
	v_add_f32_e32 v2, v3, v2
	v_mul_f32_e32 v3, v51, v13
	v_fma_f32 v4, v48, v10, -v4
	s_delay_alu instid0(VALU_DEP_4)
	v_fmac_f32_e32 v212, v57, v18
	s_wait_loadcnt_dscnt 0x403
	v_dual_mul_f32 v214, v60, v23 :: v_dual_mul_f32 v215, v62, v25
	v_add_f32_e32 v2, v2, v5
	v_add_f32_e32 v1, 0, v1
	v_fma_f32 v3, v50, v12, -v3
	s_wait_loadcnt_dscnt 0x302
	v_dual_fmac_f32 v211, v55, v16 :: v_dual_mul_f32 v216, v64, v27
	v_mul_f32_e32 v217, v66, v29
	v_dual_add_f32 v1, v1, v34 :: v_dual_add_f32 v2, v2, v4
	v_fmac_f32_e32 v207, v47, v8
	v_mul_f32_e32 v4, v55, v17
	s_wait_loadcnt_dscnt 0x201
	v_dual_mul_f32 v218, v197, v31 :: v_dual_mul_f32 v219, v199, v33
	v_dual_add_f32 v1, v1, v68 :: v_dual_add_f32 v2, v2, v3
	s_delay_alu instid0(VALU_DEP_3) | instskip(SKIP_2) | instid1(VALU_DEP_4)
	v_fma_f32 v4, v54, v16, -v4
	v_mul_f32_e32 v5, v53, v15
	v_dual_fmac_f32 v213, v59, v20 :: v_dual_fmac_f32 v216, v65, v26
	v_add_f32_e32 v1, v1, v207
	v_fmac_f32_e32 v214, v61, v22
	s_delay_alu instid0(VALU_DEP_4) | instskip(SKIP_3) | instid1(VALU_DEP_3)
	v_fma_f32 v5, v52, v14, -v5
	s_wait_loadcnt_dscnt 0x100
	v_dual_fmac_f32 v209, v51, v12 :: v_dual_mul_f32 v220, v201, v37
	v_mul_f32_e32 v221, v203, v39
	v_dual_fmac_f32 v219, v200, v32 :: v_dual_add_f32 v2, v2, v5
	v_dual_mul_f32 v5, v59, v21 :: v_dual_fmac_f32 v218, v198, v30
	s_delay_alu instid0(VALU_DEP_3) | instskip(NEXT) | instid1(VALU_DEP_3)
	v_dual_fmac_f32 v221, v204, v38 :: v_dual_fmac_f32 v220, v202, v36
	v_add_f32_e32 v2, v2, v4
	s_delay_alu instid0(VALU_DEP_3) | instskip(SKIP_2) | instid1(VALU_DEP_2)
	v_fma_f32 v5, v58, v20, -v5
	v_mul_f32_e32 v3, v57, v19
	v_mul_f32_e32 v4, v61, v23
	v_fma_f32 v3, v56, v18, -v3
	v_add_f32_e32 v1, v1, v208
	s_delay_alu instid0(VALU_DEP_3) | instskip(NEXT) | instid1(VALU_DEP_3)
	v_fma_f32 v4, v60, v22, -v4
	v_add_f32_e32 v2, v2, v3
	s_delay_alu instid0(VALU_DEP_1) | instskip(NEXT) | instid1(VALU_DEP_4)
	v_add_f32_e32 v2, v2, v5
	v_add_f32_e32 v1, v1, v209
	s_delay_alu instid0(VALU_DEP_2) | instskip(NEXT) | instid1(VALU_DEP_2)
	v_dual_mul_f32 v5, v65, v27 :: v_dual_add_f32 v2, v2, v4
	v_dual_add_f32 v1, v1, v210 :: v_dual_mul_f32 v4, v67, v29
	s_delay_alu instid0(VALU_DEP_2) | instskip(NEXT) | instid1(VALU_DEP_2)
	v_fma_f32 v5, v64, v26, -v5
	v_fma_f32 v4, v66, v28, -v4
	v_mul_f32_e32 v3, v63, v25
	s_delay_alu instid0(VALU_DEP_1) | instskip(NEXT) | instid1(VALU_DEP_1)
	v_fma_f32 v3, v62, v24, -v3
	v_dual_fmac_f32 v215, v63, v24 :: v_dual_add_f32 v2, v2, v3
	v_add_f32_e32 v1, v1, v211
	v_mul_f32_e32 v3, v198, v31
	s_delay_alu instid0(VALU_DEP_2) | instskip(NEXT) | instid1(VALU_DEP_2)
	v_dual_add_f32 v2, v2, v5 :: v_dual_add_f32 v1, v1, v212
	v_fma_f32 v3, v197, v30, -v3
	s_delay_alu instid0(VALU_DEP_2) | instskip(SKIP_1) | instid1(VALU_DEP_2)
	v_add_f32_e32 v2, v2, v4
	v_mul_f32_e32 v4, v202, v37
	v_dual_add_f32 v1, v1, v213 :: v_dual_add_f32 v2, v2, v3
	s_delay_alu instid0(VALU_DEP_2) | instskip(SKIP_1) | instid1(VALU_DEP_3)
	v_fma_f32 v4, v201, v36, -v4
	v_mul_f32_e32 v5, v200, v33
	v_add_f32_e32 v1, v1, v214
	v_mul_f32_e32 v3, v204, v39
	s_delay_alu instid0(VALU_DEP_3) | instskip(NEXT) | instid1(VALU_DEP_3)
	v_fma_f32 v5, v199, v32, -v5
	v_add_f32_e32 v1, v1, v215
	s_delay_alu instid0(VALU_DEP_3) | instskip(NEXT) | instid1(VALU_DEP_2)
	v_fma_f32 v3, v203, v38, -v3
	v_dual_add_f32 v2, v2, v5 :: v_dual_add_f32 v1, v1, v216
	s_delay_alu instid0(VALU_DEP_1) | instskip(NEXT) | instid1(VALU_DEP_1)
	v_add_f32_e32 v2, v2, v4
	v_dual_fmac_f32 v217, v67, v28 :: v_dual_add_f32 v2, v2, v3
	s_delay_alu instid0(VALU_DEP_1) | instskip(NEXT) | instid1(VALU_DEP_1)
	v_add_f32_e32 v1, v1, v217
	v_add_f32_e32 v1, v1, v218
	s_delay_alu instid0(VALU_DEP_1) | instskip(NEXT) | instid1(VALU_DEP_1)
	v_add_f32_e32 v1, v1, v219
	v_add_f32_e32 v1, v1, v220
	s_delay_alu instid0(VALU_DEP_1) | instskip(SKIP_1) | instid1(VALU_DEP_1)
	v_add_f32_e32 v3, v1, v221
	s_wait_loadcnt 0x0
	v_dual_sub_f32 v1, v205, v2 :: v_dual_sub_f32 v2, v206, v3
	scratch_store_b64 off, v[1:2], off offset:360
	v_cmpx_lt_u32_e32 44, v0
	s_cbranch_execz .LBB63_309
; %bb.308:
	scratch_load_b64 v[1:2], off, off offset:352
	v_mov_b32_e32 v3, 0
	s_delay_alu instid0(VALU_DEP_1)
	v_mov_b32_e32 v4, v3
	scratch_store_b64 off, v[3:4], off offset:352
	s_wait_loadcnt 0x0
	ds_store_b64 v35, v[1:2]
.LBB63_309:
	s_wait_alu 0xfffe
	s_or_b32 exec_lo, exec_lo, s0
	s_wait_storecnt_dscnt 0x0
	s_barrier_signal -1
	s_barrier_wait -1
	global_inv scope:SCOPE_SE
	s_clause 0xa
	scratch_load_b128 v[2:5], off, off offset:360
	scratch_load_b128 v[6:9], off, off offset:376
	;; [unrolled: 1-line block ×9, first 2 shown]
	scratch_load_b64 v[205:206], off, off offset:504
	scratch_load_b64 v[207:208], off, off offset:352
	v_mov_b32_e32 v1, 0
	ds_load_2addr_b64 v[40:43], v1 offset0:109 offset1:110
	ds_load_2addr_b64 v[44:47], v1 offset0:111 offset1:112
	;; [unrolled: 1-line block ×9, first 2 shown]
	ds_load_b64 v[209:210], v1 offset:1016
	s_mov_b32 s0, exec_lo
	s_wait_loadcnt_dscnt 0xa09
	v_mul_f32_e32 v34, v40, v3
	s_wait_loadcnt_dscnt 0x908
	v_dual_mul_f32 v68, v42, v5 :: v_dual_mul_f32 v211, v44, v7
	v_mul_f32_e32 v3, v41, v3
	s_delay_alu instid0(VALU_DEP_3) | instskip(NEXT) | instid1(VALU_DEP_3)
	v_dual_mul_f32 v5, v43, v5 :: v_dual_fmac_f32 v34, v41, v2
	v_fmac_f32_e32 v68, v43, v4
	s_wait_loadcnt_dscnt 0x302
	v_mul_f32_e32 v224, v199, v33
	v_fma_f32 v3, v40, v2, -v3
	s_wait_loadcnt_dscnt 0x100
	v_mul_f32_e32 v227, v209, v206
	v_mul_f32_e32 v2, v45, v7
	v_fma_f32 v4, v42, v4, -v5
	v_add_f32_e32 v5, 0, v34
	v_dual_add_f32 v3, 0, v3 :: v_dual_mul_f32 v212, v46, v9
	v_mul_f32_e32 v213, v48, v11
	v_fma_f32 v2, v44, v6, -v2
	v_fmac_f32_e32 v211, v45, v6
	s_delay_alu instid0(VALU_DEP_4) | instskip(SKIP_3) | instid1(VALU_DEP_4)
	v_add_f32_e32 v3, v3, v4
	v_add_f32_e32 v4, v5, v68
	v_dual_mul_f32 v5, v49, v11 :: v_dual_fmac_f32 v212, v47, v8
	v_dual_mul_f32 v214, v50, v13 :: v_dual_mul_f32 v215, v52, v15
	v_add_f32_e32 v2, v3, v2
	v_mul_f32_e32 v7, v47, v9
	v_dual_add_f32 v3, v4, v211 :: v_dual_mul_f32 v4, v51, v13
	v_fma_f32 v5, v48, v10, -v5
	v_dual_fmac_f32 v213, v49, v10 :: v_dual_fmac_f32 v214, v51, v12
	s_delay_alu instid0(VALU_DEP_4) | instskip(NEXT) | instid1(VALU_DEP_4)
	v_fma_f32 v6, v46, v8, -v7
	v_fma_f32 v4, v50, v12, -v4
	v_dual_mul_f32 v216, v54, v17 :: v_dual_mul_f32 v217, v56, v19
	v_fmac_f32_e32 v215, v53, v14
	s_delay_alu instid0(VALU_DEP_4) | instskip(SKIP_1) | instid1(VALU_DEP_4)
	v_dual_add_f32 v2, v2, v6 :: v_dual_add_f32 v3, v3, v212
	v_mul_f32_e32 v6, v53, v15
	v_fmac_f32_e32 v216, v55, v16
	v_dual_mul_f32 v218, v58, v21 :: v_dual_mul_f32 v219, v60, v23
	s_delay_alu instid0(VALU_DEP_4)
	v_add_f32_e32 v2, v2, v5
	v_add_f32_e32 v3, v3, v213
	v_mul_f32_e32 v5, v55, v17
	v_fma_f32 v6, v52, v14, -v6
	v_dual_mul_f32 v220, v62, v25 :: v_dual_mul_f32 v221, v64, v27
	v_add_f32_e32 v2, v2, v4
	v_mul_f32_e32 v4, v57, v19
	v_fma_f32 v5, v54, v16, -v5
	s_delay_alu instid0(VALU_DEP_4)
	v_dual_fmac_f32 v217, v57, v18 :: v_dual_fmac_f32 v220, v63, v24
	v_fmac_f32_e32 v221, v65, v26
	v_add_f32_e32 v2, v2, v6
	v_add_f32_e32 v3, v3, v214
	v_mul_f32_e32 v6, v59, v21
	v_fma_f32 v4, v56, v18, -v4
	v_fmac_f32_e32 v218, v59, v20
	s_delay_alu instid0(VALU_DEP_4) | instskip(NEXT) | instid1(VALU_DEP_4)
	v_dual_add_f32 v2, v2, v5 :: v_dual_add_f32 v3, v3, v215
	v_fma_f32 v6, v58, v20, -v6
	v_mul_f32_e32 v5, v61, v23
	s_delay_alu instid0(VALU_DEP_3) | instskip(NEXT) | instid1(VALU_DEP_4)
	v_dual_fmac_f32 v219, v61, v22 :: v_dual_add_f32 v2, v2, v4
	v_add_f32_e32 v3, v3, v216
	v_mul_f32_e32 v4, v63, v25
	s_delay_alu instid0(VALU_DEP_4) | instskip(SKIP_1) | instid1(VALU_DEP_4)
	v_fma_f32 v5, v60, v22, -v5
	v_dual_mul_f32 v222, v66, v29 :: v_dual_mul_f32 v223, v197, v31
	v_dual_add_f32 v2, v2, v6 :: v_dual_add_f32 v3, v3, v217
	v_mul_f32_e32 v6, v65, v27
	v_fma_f32 v4, v62, v24, -v4
	s_delay_alu instid0(VALU_DEP_4) | instskip(NEXT) | instid1(VALU_DEP_4)
	v_dual_fmac_f32 v222, v67, v28 :: v_dual_fmac_f32 v223, v198, v30
	v_dual_add_f32 v3, v3, v218 :: v_dual_add_f32 v2, v2, v5
	s_delay_alu instid0(VALU_DEP_4) | instskip(SKIP_1) | instid1(VALU_DEP_3)
	v_fma_f32 v6, v64, v26, -v6
	v_dual_mul_f32 v225, v201, v37 :: v_dual_mul_f32 v226, v203, v39
	v_add_f32_e32 v3, v3, v219
	s_delay_alu instid0(VALU_DEP_4) | instskip(SKIP_1) | instid1(VALU_DEP_4)
	v_dual_mul_f32 v5, v67, v29 :: v_dual_add_f32 v2, v2, v4
	v_mul_f32_e32 v4, v198, v31
	v_dual_fmac_f32 v225, v202, v36 :: v_dual_fmac_f32 v226, v204, v38
	s_delay_alu instid0(VALU_DEP_3) | instskip(NEXT) | instid1(VALU_DEP_4)
	v_dual_add_f32 v3, v3, v220 :: v_dual_add_f32 v2, v2, v6
	v_fma_f32 v5, v66, v28, -v5
	v_fmac_f32_e32 v224, v200, v32
	v_fma_f32 v4, v197, v30, -v4
	s_delay_alu instid0(VALU_DEP_4) | instskip(SKIP_2) | instid1(VALU_DEP_3)
	v_add_f32_e32 v3, v3, v221
	v_mul_f32_e32 v6, v200, v33
	v_fmac_f32_e32 v227, v210, v205
	v_dual_add_f32 v3, v3, v222 :: v_dual_add_f32 v2, v2, v5
	v_mul_f32_e32 v5, v202, v37
	s_delay_alu instid0(VALU_DEP_4) | instskip(NEXT) | instid1(VALU_DEP_3)
	v_fma_f32 v6, v199, v32, -v6
	v_add_f32_e32 v3, v3, v223
	s_delay_alu instid0(VALU_DEP_3) | instskip(NEXT) | instid1(VALU_DEP_2)
	v_fma_f32 v5, v201, v36, -v5
	v_add_f32_e32 v3, v3, v224
	v_add_f32_e32 v2, v2, v4
	s_delay_alu instid0(VALU_DEP_2) | instskip(NEXT) | instid1(VALU_DEP_1)
	v_dual_mul_f32 v4, v204, v39 :: v_dual_add_f32 v3, v3, v225
	v_fma_f32 v4, v203, v38, -v4
	s_delay_alu instid0(VALU_DEP_2) | instskip(NEXT) | instid1(VALU_DEP_4)
	v_add_f32_e32 v3, v3, v226
	v_add_f32_e32 v2, v2, v6
	s_delay_alu instid0(VALU_DEP_2) | instskip(NEXT) | instid1(VALU_DEP_2)
	v_dual_mul_f32 v6, v210, v206 :: v_dual_add_f32 v3, v3, v227
	v_add_f32_e32 v2, v2, v5
	s_delay_alu instid0(VALU_DEP_2) | instskip(SKIP_1) | instid1(VALU_DEP_2)
	v_fma_f32 v5, v209, v205, -v6
	s_wait_loadcnt 0x0
	v_dual_sub_f32 v3, v208, v3 :: v_dual_add_f32 v2, v2, v4
	s_delay_alu instid0(VALU_DEP_1) | instskip(NEXT) | instid1(VALU_DEP_1)
	v_add_f32_e32 v2, v2, v5
	v_sub_f32_e32 v2, v207, v2
	scratch_store_b64 off, v[2:3], off offset:352
	v_cmpx_lt_u32_e32 43, v0
	s_cbranch_execz .LBB63_311
; %bb.310:
	scratch_load_b64 v[3:4], off, off offset:344
	v_mov_b32_e32 v2, v1
	scratch_store_b64 off, v[1:2], off offset:344
	s_wait_loadcnt 0x0
	ds_store_b64 v35, v[3:4]
.LBB63_311:
	s_wait_alu 0xfffe
	s_or_b32 exec_lo, exec_lo, s0
	s_wait_storecnt_dscnt 0x0
	s_barrier_signal -1
	s_barrier_wait -1
	global_inv scope:SCOPE_SE
	s_clause 0xa
	scratch_load_b128 v[2:5], off, off offset:352
	scratch_load_b128 v[6:9], off, off offset:368
	;; [unrolled: 1-line block ×10, first 2 shown]
	scratch_load_b64 v[213:214], off, off offset:344
	ds_load_b128 v[44:47], v1 offset:864
	ds_load_b128 v[48:51], v1 offset:880
	;; [unrolled: 1-line block ×10, first 2 shown]
	s_mov_b32 s0, exec_lo
	s_wait_loadcnt_dscnt 0xa09
	v_dual_mul_f32 v1, v44, v3 :: v_dual_mul_f32 v34, v46, v5
	v_mul_f32_e32 v3, v45, v3
	s_wait_loadcnt_dscnt 0x908
	v_dual_mul_f32 v5, v47, v5 :: v_dual_mul_f32 v68, v48, v7
	s_delay_alu instid0(VALU_DEP_3) | instskip(NEXT) | instid1(VALU_DEP_3)
	v_dual_mul_f32 v215, v50, v9 :: v_dual_fmac_f32 v34, v47, v4
	v_fma_f32 v3, v44, v2, -v3
	v_fmac_f32_e32 v1, v45, v2
	v_mul_f32_e32 v2, v49, v7
	v_fma_f32 v4, v46, v4, -v5
	s_wait_loadcnt_dscnt 0x807
	v_dual_mul_f32 v216, v52, v11 :: v_dual_mul_f32 v217, v54, v13
	v_dual_add_f32 v3, 0, v3 :: v_dual_fmac_f32 v68, v49, v6
	s_wait_loadcnt_dscnt 0x706
	v_dual_mul_f32 v218, v56, v15 :: v_dual_mul_f32 v219, v58, v17
	s_delay_alu instid0(VALU_DEP_3) | instskip(SKIP_1) | instid1(VALU_DEP_3)
	v_dual_mul_f32 v5, v51, v9 :: v_dual_fmac_f32 v216, v53, v10
	v_fma_f32 v2, v48, v6, -v2
	v_dual_add_f32 v3, v3, v4 :: v_dual_fmac_f32 v218, v57, v14
	s_delay_alu instid0(VALU_DEP_3)
	v_fma_f32 v5, v50, v8, -v5
	v_mul_f32_e32 v4, v53, v11
	s_wait_loadcnt_dscnt 0x605
	v_dual_mul_f32 v220, v60, v19 :: v_dual_mul_f32 v221, v62, v21
	v_add_f32_e32 v2, v3, v2
	v_mul_f32_e32 v3, v55, v13
	v_fma_f32 v4, v52, v10, -v4
	s_delay_alu instid0(VALU_DEP_4)
	v_fmac_f32_e32 v220, v61, v18
	s_wait_loadcnt_dscnt 0x504
	v_dual_mul_f32 v222, v64, v23 :: v_dual_mul_f32 v223, v66, v25
	v_add_f32_e32 v2, v2, v5
	v_add_f32_e32 v1, 0, v1
	v_fma_f32 v3, v54, v12, -v3
	s_wait_loadcnt_dscnt 0x302
	v_dual_fmac_f32 v219, v59, v16 :: v_dual_mul_f32 v226, v201, v31
	v_mul_f32_e32 v227, v203, v33
	v_dual_add_f32 v1, v1, v34 :: v_dual_add_f32 v2, v2, v4
	v_fmac_f32_e32 v215, v51, v8
	v_mul_f32_e32 v4, v59, v17
	v_dual_mul_f32 v224, v197, v27 :: v_dual_mul_f32 v225, v199, v29
	s_delay_alu instid0(VALU_DEP_4) | instskip(NEXT) | instid1(VALU_DEP_3)
	v_dual_add_f32 v1, v1, v68 :: v_dual_add_f32 v2, v2, v3
	v_fma_f32 v4, v58, v16, -v4
	v_mul_f32_e32 v5, v57, v15
	v_fmac_f32_e32 v223, v67, v24
	s_delay_alu instid0(VALU_DEP_4)
	v_add_f32_e32 v1, v1, v215
	s_wait_loadcnt_dscnt 0x201
	v_dual_mul_f32 v228, v205, v37 :: v_dual_mul_f32 v229, v207, v39
	v_fma_f32 v5, v56, v14, -v5
	v_dual_fmac_f32 v217, v55, v12 :: v_dual_fmac_f32 v222, v65, v22
	s_wait_loadcnt_dscnt 0x100
	v_dual_mul_f32 v230, v209, v41 :: v_dual_mul_f32 v231, v211, v43
	s_delay_alu instid0(VALU_DEP_3) | instskip(SKIP_2) | instid1(VALU_DEP_3)
	v_add_f32_e32 v2, v2, v5
	v_dual_mul_f32 v5, v63, v21 :: v_dual_fmac_f32 v226, v202, v30
	v_fmac_f32_e32 v224, v198, v26
	v_dual_fmac_f32 v231, v212, v42 :: v_dual_add_f32 v2, v2, v4
	s_delay_alu instid0(VALU_DEP_3) | instskip(SKIP_4) | instid1(VALU_DEP_4)
	v_fma_f32 v5, v62, v20, -v5
	v_mul_f32_e32 v3, v61, v19
	v_mul_f32_e32 v4, v65, v23
	v_fmac_f32_e32 v228, v206, v36
	v_fmac_f32_e32 v230, v210, v40
	v_fma_f32 v3, v60, v18, -v3
	v_add_f32_e32 v1, v1, v216
	v_fma_f32 v4, v64, v22, -v4
	s_delay_alu instid0(VALU_DEP_3) | instskip(NEXT) | instid1(VALU_DEP_1)
	v_dual_add_f32 v2, v2, v3 :: v_dual_mul_f32 v3, v67, v25
	v_add_f32_e32 v2, v2, v5
	s_delay_alu instid0(VALU_DEP_4) | instskip(SKIP_1) | instid1(VALU_DEP_4)
	v_add_f32_e32 v1, v1, v217
	v_mul_f32_e32 v5, v198, v27
	v_fma_f32 v3, v66, v24, -v3
	s_delay_alu instid0(VALU_DEP_3) | instskip(SKIP_1) | instid1(VALU_DEP_4)
	v_dual_add_f32 v2, v2, v4 :: v_dual_add_f32 v1, v1, v218
	v_dual_mul_f32 v4, v200, v29 :: v_dual_fmac_f32 v221, v63, v20
	v_fma_f32 v5, v197, v26, -v5
	s_delay_alu instid0(VALU_DEP_3) | instskip(NEXT) | instid1(VALU_DEP_4)
	v_add_f32_e32 v2, v2, v3
	v_add_f32_e32 v1, v1, v219
	s_delay_alu instid0(VALU_DEP_4) | instskip(SKIP_1) | instid1(VALU_DEP_3)
	v_fma_f32 v4, v199, v28, -v4
	v_mul_f32_e32 v3, v202, v31
	v_dual_add_f32 v2, v2, v5 :: v_dual_add_f32 v1, v1, v220
	s_delay_alu instid0(VALU_DEP_2) | instskip(NEXT) | instid1(VALU_DEP_2)
	v_fma_f32 v3, v201, v30, -v3
	v_dual_add_f32 v2, v2, v4 :: v_dual_add_f32 v1, v1, v221
	v_mul_f32_e32 v4, v206, v37
	s_delay_alu instid0(VALU_DEP_2) | instskip(NEXT) | instid1(VALU_DEP_2)
	v_dual_add_f32 v2, v2, v3 :: v_dual_add_f32 v1, v1, v222
	v_fma_f32 v4, v205, v36, -v4
	v_mul_f32_e32 v5, v204, v33
	v_mul_f32_e32 v3, v208, v39
	s_delay_alu instid0(VALU_DEP_4) | instskip(NEXT) | instid1(VALU_DEP_3)
	v_add_f32_e32 v1, v1, v223
	v_fma_f32 v5, v203, v32, -v5
	v_fmac_f32_e32 v225, v200, v28
	s_delay_alu instid0(VALU_DEP_4) | instskip(NEXT) | instid1(VALU_DEP_3)
	v_fma_f32 v3, v207, v38, -v3
	v_dual_add_f32 v1, v1, v224 :: v_dual_add_f32 v2, v2, v5
	v_mul_f32_e32 v5, v210, v41
	s_delay_alu instid0(VALU_DEP_2) | instskip(NEXT) | instid1(VALU_DEP_3)
	v_add_f32_e32 v2, v2, v4
	v_dual_mul_f32 v4, v212, v43 :: v_dual_add_f32 v1, v1, v225
	v_fmac_f32_e32 v227, v204, v32
	s_delay_alu instid0(VALU_DEP_4) | instskip(NEXT) | instid1(VALU_DEP_4)
	v_fma_f32 v5, v209, v40, -v5
	v_add_f32_e32 v2, v2, v3
	s_delay_alu instid0(VALU_DEP_4) | instskip(NEXT) | instid1(VALU_DEP_2)
	v_fma_f32 v3, v211, v42, -v4
	v_dual_add_f32 v1, v1, v226 :: v_dual_add_f32 v2, v2, v5
	v_fmac_f32_e32 v229, v208, v38
	s_delay_alu instid0(VALU_DEP_2) | instskip(NEXT) | instid1(VALU_DEP_1)
	v_add_f32_e32 v1, v1, v227
	v_dual_add_f32 v2, v2, v3 :: v_dual_add_f32 v1, v1, v228
	s_delay_alu instid0(VALU_DEP_1) | instskip(NEXT) | instid1(VALU_DEP_1)
	v_add_f32_e32 v1, v1, v229
	v_add_f32_e32 v1, v1, v230
	s_delay_alu instid0(VALU_DEP_1) | instskip(SKIP_1) | instid1(VALU_DEP_1)
	v_add_f32_e32 v3, v1, v231
	s_wait_loadcnt 0x0
	v_dual_sub_f32 v1, v213, v2 :: v_dual_sub_f32 v2, v214, v3
	scratch_store_b64 off, v[1:2], off offset:344
	v_cmpx_lt_u32_e32 42, v0
	s_cbranch_execz .LBB63_313
; %bb.312:
	scratch_load_b64 v[1:2], off, off offset:336
	v_mov_b32_e32 v3, 0
	s_delay_alu instid0(VALU_DEP_1)
	v_mov_b32_e32 v4, v3
	scratch_store_b64 off, v[3:4], off offset:336
	s_wait_loadcnt 0x0
	ds_store_b64 v35, v[1:2]
.LBB63_313:
	s_wait_alu 0xfffe
	s_or_b32 exec_lo, exec_lo, s0
	s_wait_storecnt_dscnt 0x0
	s_barrier_signal -1
	s_barrier_wait -1
	global_inv scope:SCOPE_SE
	s_clause 0xb
	scratch_load_b128 v[2:5], off, off offset:344
	scratch_load_b128 v[6:9], off, off offset:360
	;; [unrolled: 1-line block ×10, first 2 shown]
	scratch_load_b64 v[213:214], off, off offset:504
	scratch_load_b64 v[215:216], off, off offset:336
	v_mov_b32_e32 v1, 0
	ds_load_2addr_b64 v[44:47], v1 offset0:107 offset1:108
	ds_load_2addr_b64 v[48:51], v1 offset0:109 offset1:110
	ds_load_2addr_b64 v[52:55], v1 offset0:111 offset1:112
	ds_load_2addr_b64 v[56:59], v1 offset0:113 offset1:114
	ds_load_2addr_b64 v[60:63], v1 offset0:115 offset1:116
	ds_load_2addr_b64 v[64:67], v1 offset0:117 offset1:118
	ds_load_2addr_b64 v[197:200], v1 offset0:119 offset1:120
	ds_load_2addr_b64 v[201:204], v1 offset0:121 offset1:122
	ds_load_2addr_b64 v[205:208], v1 offset0:123 offset1:124
	ds_load_2addr_b64 v[209:212], v1 offset0:125 offset1:126
	ds_load_b64 v[217:218], v1 offset:1016
	s_mov_b32 s0, exec_lo
	s_wait_loadcnt_dscnt 0xb0a
	v_mul_f32_e32 v34, v44, v3
	s_wait_loadcnt_dscnt 0xa09
	v_dual_mul_f32 v68, v46, v5 :: v_dual_mul_f32 v219, v48, v7
	v_mul_f32_e32 v3, v45, v3
	s_delay_alu instid0(VALU_DEP_3) | instskip(NEXT) | instid1(VALU_DEP_3)
	v_dual_mul_f32 v5, v47, v5 :: v_dual_fmac_f32 v34, v45, v2
	v_fmac_f32_e32 v68, v47, v4
	s_wait_loadcnt_dscnt 0x403
	v_mul_f32_e32 v232, v203, v33
	v_fma_f32 v3, v44, v2, -v3
	v_mul_f32_e32 v2, v49, v7
	s_wait_loadcnt_dscnt 0x100
	v_mul_f32_e32 v237, v217, v214
	v_fma_f32 v4, v46, v4, -v5
	v_add_f32_e32 v5, 0, v34
	v_add_f32_e32 v3, 0, v3
	v_fma_f32 v2, v48, v6, -v2
	v_dual_mul_f32 v220, v50, v9 :: v_dual_mul_f32 v221, v52, v11
	v_fmac_f32_e32 v219, v49, v6
	s_delay_alu instid0(VALU_DEP_4) | instskip(SKIP_1) | instid1(VALU_DEP_4)
	v_add_f32_e32 v3, v3, v4
	v_add_f32_e32 v4, v5, v68
	v_dual_mul_f32 v5, v53, v11 :: v_dual_fmac_f32 v220, v51, v8
	v_dual_mul_f32 v222, v54, v13 :: v_dual_mul_f32 v223, v56, v15
	s_delay_alu instid0(VALU_DEP_4) | instskip(SKIP_4) | instid1(VALU_DEP_4)
	v_add_f32_e32 v2, v3, v2
	v_mul_f32_e32 v7, v51, v9
	v_dual_add_f32 v3, v4, v219 :: v_dual_mul_f32 v4, v55, v13
	v_fma_f32 v5, v52, v10, -v5
	v_dual_fmac_f32 v221, v53, v10 :: v_dual_fmac_f32 v222, v55, v12
	v_fma_f32 v6, v50, v8, -v7
	s_delay_alu instid0(VALU_DEP_4) | instskip(SKIP_2) | instid1(VALU_DEP_4)
	v_fma_f32 v4, v54, v12, -v4
	v_dual_mul_f32 v224, v58, v17 :: v_dual_mul_f32 v225, v60, v19
	v_fmac_f32_e32 v223, v57, v14
	v_dual_add_f32 v2, v2, v6 :: v_dual_add_f32 v3, v3, v220
	v_mul_f32_e32 v6, v57, v15
	s_delay_alu instid0(VALU_DEP_4) | instskip(SKIP_1) | instid1(VALU_DEP_4)
	v_fmac_f32_e32 v224, v59, v16
	v_dual_mul_f32 v226, v62, v21 :: v_dual_mul_f32 v227, v64, v23
	v_add_f32_e32 v2, v2, v5
	v_add_f32_e32 v3, v3, v221
	v_mul_f32_e32 v5, v59, v17
	v_fma_f32 v6, v56, v14, -v6
	v_dual_mul_f32 v228, v66, v25 :: v_dual_mul_f32 v229, v197, v27
	v_add_f32_e32 v2, v2, v4
	v_mul_f32_e32 v4, v61, v19
	v_fma_f32 v5, v58, v16, -v5
	s_delay_alu instid0(VALU_DEP_4) | instskip(NEXT) | instid1(VALU_DEP_4)
	v_dual_fmac_f32 v225, v61, v18 :: v_dual_fmac_f32 v228, v67, v24
	v_add_f32_e32 v2, v2, v6
	v_add_f32_e32 v3, v3, v222
	v_mul_f32_e32 v6, v63, v21
	v_fma_f32 v4, v60, v18, -v4
	v_fmac_f32_e32 v226, v63, v20
	s_delay_alu instid0(VALU_DEP_4) | instskip(NEXT) | instid1(VALU_DEP_4)
	v_dual_add_f32 v2, v2, v5 :: v_dual_add_f32 v3, v3, v223
	v_fma_f32 v6, v62, v20, -v6
	v_mul_f32_e32 v5, v65, v23
	s_delay_alu instid0(VALU_DEP_3) | instskip(NEXT) | instid1(VALU_DEP_4)
	v_dual_fmac_f32 v227, v65, v22 :: v_dual_add_f32 v2, v2, v4
	v_add_f32_e32 v3, v3, v224
	v_mul_f32_e32 v4, v67, v25
	s_delay_alu instid0(VALU_DEP_4) | instskip(SKIP_1) | instid1(VALU_DEP_4)
	v_fma_f32 v5, v64, v22, -v5
	v_dual_mul_f32 v230, v199, v29 :: v_dual_mul_f32 v231, v201, v31
	v_dual_add_f32 v2, v2, v6 :: v_dual_add_f32 v3, v3, v225
	v_mul_f32_e32 v6, v198, v27
	v_fma_f32 v4, v66, v24, -v4
	s_delay_alu instid0(VALU_DEP_4) | instskip(NEXT) | instid1(VALU_DEP_4)
	v_dual_fmac_f32 v229, v198, v26 :: v_dual_fmac_f32 v230, v200, v28
	v_dual_add_f32 v3, v3, v226 :: v_dual_add_f32 v2, v2, v5
	v_mul_f32_e32 v5, v200, v29
	v_fma_f32 v6, v197, v26, -v6
	v_dual_fmac_f32 v231, v202, v30 :: v_dual_fmac_f32 v232, v204, v32
	s_delay_alu instid0(VALU_DEP_4) | instskip(NEXT) | instid1(VALU_DEP_4)
	v_add_f32_e32 v3, v3, v227
	v_fma_f32 v5, v199, v28, -v5
	v_dual_mul_f32 v233, v205, v37 :: v_dual_mul_f32 v234, v207, v39
	v_dual_mul_f32 v235, v209, v41 :: v_dual_mul_f32 v236, v211, v43
	s_delay_alu instid0(VALU_DEP_4)
	v_add_f32_e32 v3, v3, v228
	v_add_f32_e32 v2, v2, v4
	v_mul_f32_e32 v4, v202, v31
	v_dual_fmac_f32 v233, v206, v36 :: v_dual_fmac_f32 v234, v208, v38
	v_fmac_f32_e32 v235, v210, v40
	v_add_f32_e32 v3, v3, v229
	s_delay_alu instid0(VALU_DEP_4) | instskip(SKIP_1) | instid1(VALU_DEP_3)
	v_fma_f32 v4, v201, v30, -v4
	v_dual_fmac_f32 v236, v212, v42 :: v_dual_fmac_f32 v237, v218, v213
	v_add_f32_e32 v3, v3, v230
	v_add_f32_e32 v2, v2, v6
	s_delay_alu instid0(VALU_DEP_2) | instskip(NEXT) | instid1(VALU_DEP_2)
	v_dual_mul_f32 v6, v204, v33 :: v_dual_add_f32 v3, v3, v231
	v_add_f32_e32 v2, v2, v5
	v_mul_f32_e32 v5, v206, v37
	s_delay_alu instid0(VALU_DEP_3) | instskip(NEXT) | instid1(VALU_DEP_4)
	v_fma_f32 v6, v203, v32, -v6
	v_add_f32_e32 v3, v3, v232
	s_delay_alu instid0(VALU_DEP_4) | instskip(SKIP_2) | instid1(VALU_DEP_3)
	v_add_f32_e32 v2, v2, v4
	v_mul_f32_e32 v4, v208, v39
	v_fma_f32 v5, v205, v36, -v5
	v_dual_add_f32 v3, v3, v233 :: v_dual_add_f32 v2, v2, v6
	v_mul_f32_e32 v6, v210, v41
	s_delay_alu instid0(VALU_DEP_4) | instskip(NEXT) | instid1(VALU_DEP_3)
	v_fma_f32 v4, v207, v38, -v4
	v_dual_add_f32 v3, v3, v234 :: v_dual_add_f32 v2, v2, v5
	v_mul_f32_e32 v5, v212, v43
	s_delay_alu instid0(VALU_DEP_4) | instskip(NEXT) | instid1(VALU_DEP_3)
	;; [unrolled: 4-line block ×3, first 2 shown]
	v_fma_f32 v5, v211, v42, -v5
	v_dual_add_f32 v3, v3, v236 :: v_dual_add_f32 v2, v2, v6
	s_delay_alu instid0(VALU_DEP_3) | instskip(NEXT) | instid1(VALU_DEP_2)
	v_fma_f32 v4, v217, v213, -v4
	v_add_f32_e32 v3, v3, v237
	s_wait_loadcnt 0x0
	s_delay_alu instid0(VALU_DEP_1) | instskip(NEXT) | instid1(VALU_DEP_1)
	v_dual_add_f32 v2, v2, v5 :: v_dual_sub_f32 v3, v216, v3
	v_add_f32_e32 v2, v2, v4
	s_delay_alu instid0(VALU_DEP_1)
	v_sub_f32_e32 v2, v215, v2
	scratch_store_b64 off, v[2:3], off offset:336
	v_cmpx_lt_u32_e32 41, v0
	s_cbranch_execz .LBB63_315
; %bb.314:
	scratch_load_b64 v[3:4], off, off offset:328
	v_mov_b32_e32 v2, v1
	scratch_store_b64 off, v[1:2], off offset:328
	s_wait_loadcnt 0x0
	ds_store_b64 v35, v[3:4]
.LBB63_315:
	s_wait_alu 0xfffe
	s_or_b32 exec_lo, exec_lo, s0
	s_wait_storecnt_dscnt 0x0
	s_barrier_signal -1
	s_barrier_wait -1
	global_inv scope:SCOPE_SE
	s_clause 0xb
	scratch_load_b128 v[2:5], off, off offset:336
	scratch_load_b128 v[6:9], off, off offset:352
	;; [unrolled: 1-line block ×11, first 2 shown]
	scratch_load_b64 v[221:222], off, off offset:328
	ds_load_b128 v[48:51], v1 offset:848
	ds_load_b128 v[52:55], v1 offset:864
	;; [unrolled: 1-line block ×11, first 2 shown]
	s_mov_b32 s0, exec_lo
	s_wait_loadcnt_dscnt 0xb0a
	v_dual_mul_f32 v1, v48, v3 :: v_dual_mul_f32 v34, v50, v5
	v_mul_f32_e32 v3, v49, v3
	s_wait_loadcnt_dscnt 0xa09
	v_dual_mul_f32 v5, v51, v5 :: v_dual_mul_f32 v68, v52, v7
	s_delay_alu instid0(VALU_DEP_3) | instskip(NEXT) | instid1(VALU_DEP_3)
	v_dual_mul_f32 v223, v54, v9 :: v_dual_fmac_f32 v34, v51, v4
	v_fma_f32 v3, v48, v2, -v3
	v_fmac_f32_e32 v1, v49, v2
	v_mul_f32_e32 v2, v53, v7
	v_fma_f32 v4, v50, v4, -v5
	s_wait_loadcnt_dscnt 0x908
	v_dual_mul_f32 v224, v56, v11 :: v_dual_mul_f32 v225, v58, v13
	v_dual_add_f32 v3, 0, v3 :: v_dual_fmac_f32 v68, v53, v6
	s_wait_loadcnt_dscnt 0x807
	v_dual_mul_f32 v226, v60, v15 :: v_dual_mul_f32 v227, v62, v17
	s_delay_alu instid0(VALU_DEP_3) | instskip(SKIP_1) | instid1(VALU_DEP_3)
	v_dual_mul_f32 v5, v55, v9 :: v_dual_fmac_f32 v224, v57, v10
	v_fma_f32 v2, v52, v6, -v2
	v_dual_add_f32 v3, v3, v4 :: v_dual_fmac_f32 v226, v61, v14
	s_delay_alu instid0(VALU_DEP_3)
	v_fma_f32 v5, v54, v8, -v5
	v_mul_f32_e32 v4, v57, v11
	s_wait_loadcnt_dscnt 0x706
	v_dual_mul_f32 v228, v64, v19 :: v_dual_mul_f32 v229, v66, v21
	v_add_f32_e32 v2, v3, v2
	v_mul_f32_e32 v3, v59, v13
	v_fma_f32 v4, v56, v10, -v4
	s_delay_alu instid0(VALU_DEP_4)
	v_fmac_f32_e32 v228, v65, v18
	s_wait_loadcnt_dscnt 0x605
	v_dual_mul_f32 v230, v197, v23 :: v_dual_mul_f32 v231, v199, v25
	v_add_f32_e32 v2, v2, v5
	v_add_f32_e32 v1, 0, v1
	v_fma_f32 v3, v58, v12, -v3
	s_wait_loadcnt_dscnt 0x504
	v_dual_mul_f32 v232, v201, v27 :: v_dual_mul_f32 v233, v203, v29
	s_delay_alu instid0(VALU_DEP_3) | instskip(SKIP_3) | instid1(VALU_DEP_4)
	v_dual_add_f32 v2, v2, v4 :: v_dual_add_f32 v1, v1, v34
	v_fmac_f32_e32 v223, v55, v8
	v_mul_f32_e32 v4, v63, v17
	v_fmac_f32_e32 v230, v198, v22
	v_dual_add_f32 v2, v2, v3 :: v_dual_add_f32 v1, v1, v68
	v_mul_f32_e32 v3, v65, v19
	s_delay_alu instid0(VALU_DEP_4)
	v_fma_f32 v4, v62, v16, -v4
	v_mul_f32_e32 v5, v61, v15
	s_wait_loadcnt_dscnt 0x403
	v_dual_mul_f32 v234, v205, v31 :: v_dual_mul_f32 v235, v207, v33
	v_add_f32_e32 v1, v1, v223
	v_fma_f32 v3, v64, v18, -v3
	v_fma_f32 v5, v60, v14, -v5
	v_dual_fmac_f32 v225, v59, v12 :: v_dual_fmac_f32 v232, v202, v26
	s_delay_alu instid0(VALU_DEP_4) | instskip(NEXT) | instid1(VALU_DEP_3)
	v_add_f32_e32 v1, v1, v224
	v_dual_fmac_f32 v231, v200, v24 :: v_dual_add_f32 v2, v2, v5
	v_mul_f32_e32 v5, v67, v21
	s_wait_loadcnt_dscnt 0x302
	v_dual_mul_f32 v236, v209, v37 :: v_dual_mul_f32 v237, v211, v39
	s_wait_loadcnt_dscnt 0x100
	v_dual_mul_f32 v240, v217, v45 :: v_dual_mul_f32 v241, v219, v47
	v_add_f32_e32 v2, v2, v4
	v_dual_mul_f32 v4, v198, v23 :: v_dual_add_f32 v1, v1, v225
	v_fma_f32 v5, v66, v20, -v5
	v_fmac_f32_e32 v234, v206, v30
	s_delay_alu instid0(VALU_DEP_4) | instskip(SKIP_3) | instid1(VALU_DEP_4)
	v_dual_add_f32 v2, v2, v3 :: v_dual_fmac_f32 v227, v63, v16
	v_mul_f32_e32 v3, v200, v25
	v_fma_f32 v4, v197, v22, -v4
	v_dual_mul_f32 v238, v213, v41 :: v_dual_mul_f32 v239, v215, v43
	v_dual_add_f32 v2, v2, v5 :: v_dual_add_f32 v1, v1, v226
	v_mul_f32_e32 v5, v202, v27
	v_fma_f32 v3, v199, v24, -v3
	s_delay_alu instid0(VALU_DEP_3) | instskip(NEXT) | instid1(VALU_DEP_4)
	v_dual_fmac_f32 v239, v216, v42 :: v_dual_add_f32 v2, v2, v4
	v_dual_add_f32 v1, v1, v227 :: v_dual_mul_f32 v4, v204, v29
	v_fmac_f32_e32 v229, v67, v20
	v_fma_f32 v5, v201, v26, -v5
	s_delay_alu instid0(VALU_DEP_3) | instskip(NEXT) | instid1(VALU_DEP_4)
	v_dual_add_f32 v2, v2, v3 :: v_dual_add_f32 v1, v1, v228
	v_fma_f32 v4, v203, v28, -v4
	v_mul_f32_e32 v3, v206, v31
	s_delay_alu instid0(VALU_DEP_3) | instskip(NEXT) | instid1(VALU_DEP_4)
	v_dual_fmac_f32 v241, v220, v46 :: v_dual_add_f32 v2, v2, v5
	v_dual_add_f32 v1, v1, v229 :: v_dual_fmac_f32 v236, v210, v36
	s_delay_alu instid0(VALU_DEP_3) | instskip(SKIP_1) | instid1(VALU_DEP_4)
	v_fma_f32 v3, v205, v30, -v3
	v_fmac_f32_e32 v240, v218, v44
	v_add_f32_e32 v2, v2, v4
	s_delay_alu instid0(VALU_DEP_4) | instskip(SKIP_1) | instid1(VALU_DEP_3)
	v_dual_mul_f32 v4, v210, v37 :: v_dual_add_f32 v1, v1, v230
	v_fmac_f32_e32 v238, v214, v40
	v_add_f32_e32 v2, v2, v3
	s_delay_alu instid0(VALU_DEP_3) | instskip(SKIP_3) | instid1(VALU_DEP_3)
	v_fma_f32 v4, v209, v36, -v4
	v_mul_f32_e32 v5, v208, v33
	v_add_f32_e32 v1, v1, v231
	v_mul_f32_e32 v3, v212, v39
	v_fma_f32 v5, v207, v32, -v5
	v_fmac_f32_e32 v233, v204, v28
	s_delay_alu instid0(VALU_DEP_4) | instskip(NEXT) | instid1(VALU_DEP_4)
	v_add_f32_e32 v1, v1, v232
	v_fma_f32 v3, v211, v38, -v3
	s_delay_alu instid0(VALU_DEP_4) | instskip(SKIP_1) | instid1(VALU_DEP_2)
	v_add_f32_e32 v2, v2, v5
	v_mul_f32_e32 v5, v214, v41
	v_add_f32_e32 v2, v2, v4
	v_dual_mul_f32 v4, v216, v43 :: v_dual_add_f32 v1, v1, v233
	v_fmac_f32_e32 v235, v208, v32
	s_delay_alu instid0(VALU_DEP_4) | instskip(NEXT) | instid1(VALU_DEP_4)
	v_fma_f32 v5, v213, v40, -v5
	v_add_f32_e32 v2, v2, v3
	v_mul_f32_e32 v3, v218, v45
	v_add_f32_e32 v1, v1, v234
	v_fma_f32 v4, v215, v42, -v4
	s_delay_alu instid0(VALU_DEP_4) | instskip(NEXT) | instid1(VALU_DEP_3)
	v_dual_add_f32 v2, v2, v5 :: v_dual_mul_f32 v5, v220, v47
	v_add_f32_e32 v1, v1, v235
	v_fma_f32 v3, v217, v44, -v3
	s_delay_alu instid0(VALU_DEP_3) | instskip(NEXT) | instid1(VALU_DEP_3)
	v_dual_add_f32 v2, v2, v4 :: v_dual_fmac_f32 v237, v212, v38
	v_add_f32_e32 v1, v1, v236
	v_fma_f32 v4, v219, v46, -v5
	s_delay_alu instid0(VALU_DEP_2) | instskip(NEXT) | instid1(VALU_DEP_1)
	v_dual_add_f32 v2, v2, v3 :: v_dual_add_f32 v1, v1, v237
	v_dual_add_f32 v2, v2, v4 :: v_dual_add_f32 v1, v1, v238
	s_delay_alu instid0(VALU_DEP_1) | instskip(NEXT) | instid1(VALU_DEP_1)
	v_add_f32_e32 v1, v1, v239
	v_add_f32_e32 v1, v1, v240
	s_delay_alu instid0(VALU_DEP_1) | instskip(SKIP_1) | instid1(VALU_DEP_1)
	v_add_f32_e32 v3, v1, v241
	s_wait_loadcnt 0x0
	v_dual_sub_f32 v1, v221, v2 :: v_dual_sub_f32 v2, v222, v3
	scratch_store_b64 off, v[1:2], off offset:328
	v_cmpx_lt_u32_e32 40, v0
	s_cbranch_execz .LBB63_317
; %bb.316:
	scratch_load_b64 v[1:2], off, off offset:320
	v_mov_b32_e32 v3, 0
	s_delay_alu instid0(VALU_DEP_1)
	v_mov_b32_e32 v4, v3
	scratch_store_b64 off, v[3:4], off offset:320
	s_wait_loadcnt 0x0
	ds_store_b64 v35, v[1:2]
.LBB63_317:
	s_wait_alu 0xfffe
	s_or_b32 exec_lo, exec_lo, s0
	s_wait_storecnt_dscnt 0x0
	s_barrier_signal -1
	s_barrier_wait -1
	global_inv scope:SCOPE_SE
	s_clause 0xc
	scratch_load_b128 v[2:5], off, off offset:328
	scratch_load_b128 v[6:9], off, off offset:344
	;; [unrolled: 1-line block ×11, first 2 shown]
	scratch_load_b64 v[221:222], off, off offset:504
	scratch_load_b64 v[223:224], off, off offset:320
	v_mov_b32_e32 v1, 0
	ds_load_2addr_b64 v[48:51], v1 offset0:105 offset1:106
	ds_load_2addr_b64 v[52:55], v1 offset0:107 offset1:108
	;; [unrolled: 1-line block ×11, first 2 shown]
	ds_load_b64 v[225:226], v1 offset:1016
	s_mov_b32 s0, exec_lo
	s_wait_loadcnt_dscnt 0xc0b
	v_mul_f32_e32 v34, v48, v3
	s_wait_loadcnt_dscnt 0xb0a
	v_dual_mul_f32 v68, v50, v5 :: v_dual_mul_f32 v227, v52, v7
	v_mul_f32_e32 v3, v49, v3
	s_delay_alu instid0(VALU_DEP_3)
	v_dual_mul_f32 v5, v51, v5 :: v_dual_fmac_f32 v34, v49, v2
	s_wait_loadcnt_dscnt 0xa09
	v_dual_mul_f32 v228, v54, v9 :: v_dual_mul_f32 v229, v56, v11
	s_wait_loadcnt_dscnt 0x504
	v_mul_f32_e32 v240, v207, v33
	v_fma_f32 v3, v48, v2, -v3
	v_mul_f32_e32 v2, v53, v7
	s_wait_loadcnt_dscnt 0x100
	v_dual_mul_f32 v247, v225, v222 :: v_dual_fmac_f32 v68, v51, v4
	v_fma_f32 v4, v50, v4, -v5
	v_add_f32_e32 v5, 0, v34
	v_add_f32_e32 v3, 0, v3
	v_fma_f32 v2, v52, v6, -v2
	v_dual_fmac_f32 v227, v53, v6 :: v_dual_fmac_f32 v228, v55, v8
	v_dual_mul_f32 v230, v58, v13 :: v_dual_mul_f32 v231, v60, v15
	s_delay_alu instid0(VALU_DEP_4) | instskip(SKIP_2) | instid1(VALU_DEP_4)
	v_add_f32_e32 v3, v3, v4
	v_add_f32_e32 v4, v5, v68
	v_mul_f32_e32 v5, v57, v11
	v_dual_fmac_f32 v229, v57, v10 :: v_dual_fmac_f32 v230, v59, v12
	s_delay_alu instid0(VALU_DEP_4) | instskip(SKIP_4) | instid1(VALU_DEP_4)
	v_add_f32_e32 v2, v3, v2
	v_mul_f32_e32 v7, v55, v9
	v_dual_add_f32 v3, v4, v227 :: v_dual_mul_f32 v4, v59, v13
	v_fma_f32 v5, v56, v10, -v5
	v_dual_mul_f32 v232, v62, v17 :: v_dual_mul_f32 v233, v64, v19
	v_fma_f32 v6, v54, v8, -v7
	s_delay_alu instid0(VALU_DEP_4) | instskip(NEXT) | instid1(VALU_DEP_3)
	v_fma_f32 v4, v58, v12, -v4
	v_dual_fmac_f32 v231, v61, v14 :: v_dual_fmac_f32 v232, v63, v16
	v_dual_mul_f32 v234, v66, v21 :: v_dual_mul_f32 v235, v197, v23
	s_delay_alu instid0(VALU_DEP_4) | instskip(SKIP_2) | instid1(VALU_DEP_3)
	v_dual_add_f32 v2, v2, v6 :: v_dual_add_f32 v3, v3, v228
	v_mul_f32_e32 v6, v61, v15
	v_dual_mul_f32 v236, v199, v25 :: v_dual_mul_f32 v237, v201, v27
	v_add_f32_e32 v2, v2, v5
	s_delay_alu instid0(VALU_DEP_4) | instskip(SKIP_2) | instid1(VALU_DEP_4)
	v_add_f32_e32 v3, v3, v229
	v_mul_f32_e32 v5, v63, v17
	v_fma_f32 v6, v60, v14, -v6
	v_dual_fmac_f32 v233, v65, v18 :: v_dual_add_f32 v2, v2, v4
	v_mul_f32_e32 v4, v65, v19
	s_delay_alu instid0(VALU_DEP_4) | instskip(SKIP_1) | instid1(VALU_DEP_4)
	v_fma_f32 v5, v62, v16, -v5
	v_dual_fmac_f32 v235, v198, v22 :: v_dual_fmac_f32 v236, v200, v24
	v_add_f32_e32 v2, v2, v6
	v_add_f32_e32 v3, v3, v230
	v_mul_f32_e32 v6, v67, v21
	v_fma_f32 v4, v64, v18, -v4
	v_fmac_f32_e32 v234, v67, v20
	s_delay_alu instid0(VALU_DEP_4) | instskip(SKIP_3) | instid1(VALU_DEP_4)
	v_dual_add_f32 v2, v2, v5 :: v_dual_add_f32 v3, v3, v231
	v_mul_f32_e32 v5, v198, v23
	v_fma_f32 v6, v66, v20, -v6
	v_dual_mul_f32 v238, v203, v29 :: v_dual_mul_f32 v239, v205, v31
	v_add_f32_e32 v3, v3, v232
	v_add_f32_e32 v2, v2, v4
	v_mul_f32_e32 v4, v200, v25
	v_fma_f32 v5, v197, v22, -v5
	v_dual_fmac_f32 v237, v202, v26 :: v_dual_fmac_f32 v238, v204, v28
	v_add_f32_e32 v3, v3, v233
	s_delay_alu instid0(VALU_DEP_4) | instskip(SKIP_2) | instid1(VALU_DEP_4)
	v_fma_f32 v4, v199, v24, -v4
	v_dual_fmac_f32 v239, v206, v30 :: v_dual_fmac_f32 v240, v208, v32
	v_dual_mul_f32 v241, v209, v37 :: v_dual_mul_f32 v242, v211, v39
	v_add_f32_e32 v3, v3, v234
	v_add_f32_e32 v2, v2, v6
	v_dual_mul_f32 v6, v202, v27 :: v_dual_mul_f32 v243, v213, v41
	v_mul_f32_e32 v244, v215, v43
	s_delay_alu instid0(VALU_DEP_3) | instskip(NEXT) | instid1(VALU_DEP_3)
	v_dual_add_f32 v3, v3, v235 :: v_dual_add_f32 v2, v2, v5
	v_fma_f32 v6, v201, v26, -v6
	s_delay_alu instid0(VALU_DEP_4) | instskip(NEXT) | instid1(VALU_DEP_3)
	v_dual_fmac_f32 v242, v212, v38 :: v_dual_fmac_f32 v243, v214, v40
	v_add_f32_e32 v3, v3, v236
	s_delay_alu instid0(VALU_DEP_4) | instskip(SKIP_2) | instid1(VALU_DEP_4)
	v_dual_mul_f32 v5, v204, v29 :: v_dual_add_f32 v2, v2, v4
	v_mul_f32_e32 v4, v206, v31
	v_fmac_f32_e32 v241, v210, v36
	v_add_f32_e32 v3, v3, v237
	s_delay_alu instid0(VALU_DEP_4) | instskip(SKIP_2) | instid1(VALU_DEP_4)
	v_fma_f32 v5, v203, v28, -v5
	v_dual_mul_f32 v245, v217, v45 :: v_dual_mul_f32 v246, v219, v47
	v_fma_f32 v4, v205, v30, -v4
	v_add_f32_e32 v3, v3, v238
	v_add_f32_e32 v2, v2, v6
	v_mul_f32_e32 v6, v208, v33
	v_dual_fmac_f32 v244, v216, v42 :: v_dual_fmac_f32 v245, v218, v44
	s_delay_alu instid0(VALU_DEP_3) | instskip(SKIP_1) | instid1(VALU_DEP_4)
	v_dual_add_f32 v3, v3, v239 :: v_dual_add_f32 v2, v2, v5
	v_mul_f32_e32 v5, v210, v37
	v_fma_f32 v6, v207, v32, -v6
	v_dual_fmac_f32 v246, v220, v46 :: v_dual_fmac_f32 v247, v226, v221
	s_delay_alu instid0(VALU_DEP_4) | instskip(SKIP_3) | instid1(VALU_DEP_3)
	v_add_f32_e32 v3, v3, v240
	v_add_f32_e32 v2, v2, v4
	v_mul_f32_e32 v4, v212, v39
	v_fma_f32 v5, v209, v36, -v5
	v_dual_add_f32 v3, v3, v241 :: v_dual_add_f32 v2, v2, v6
	v_mul_f32_e32 v6, v214, v41
	s_delay_alu instid0(VALU_DEP_4) | instskip(NEXT) | instid1(VALU_DEP_3)
	v_fma_f32 v4, v211, v38, -v4
	v_dual_add_f32 v3, v3, v242 :: v_dual_add_f32 v2, v2, v5
	v_mul_f32_e32 v5, v216, v43
	s_delay_alu instid0(VALU_DEP_4) | instskip(NEXT) | instid1(VALU_DEP_3)
	;; [unrolled: 4-line block ×4, first 2 shown]
	v_fma_f32 v4, v217, v44, -v4
	v_add_f32_e32 v3, v3, v245
	s_delay_alu instid0(VALU_DEP_4) | instskip(SKIP_2) | instid1(VALU_DEP_3)
	v_add_f32_e32 v2, v2, v5
	v_mul_f32_e32 v5, v226, v222
	v_fma_f32 v6, v219, v46, -v6
	v_dual_add_f32 v3, v3, v246 :: v_dual_add_f32 v2, v2, v4
	s_delay_alu instid0(VALU_DEP_3) | instskip(NEXT) | instid1(VALU_DEP_2)
	v_fma_f32 v4, v225, v221, -v5
	v_dual_add_f32 v3, v3, v247 :: v_dual_add_f32 v2, v2, v6
	s_wait_loadcnt 0x0
	s_delay_alu instid0(VALU_DEP_1) | instskip(NEXT) | instid1(VALU_DEP_1)
	v_dual_sub_f32 v3, v224, v3 :: v_dual_add_f32 v2, v2, v4
	v_sub_f32_e32 v2, v223, v2
	scratch_store_b64 off, v[2:3], off offset:320
	v_cmpx_lt_u32_e32 39, v0
	s_cbranch_execz .LBB63_319
; %bb.318:
	scratch_load_b64 v[3:4], off, off offset:312
	v_mov_b32_e32 v2, v1
	scratch_store_b64 off, v[1:2], off offset:312
	s_wait_loadcnt 0x0
	ds_store_b64 v35, v[3:4]
.LBB63_319:
	s_wait_alu 0xfffe
	s_or_b32 exec_lo, exec_lo, s0
	s_wait_storecnt_dscnt 0x0
	s_barrier_signal -1
	s_barrier_wait -1
	global_inv scope:SCOPE_SE
	s_clause 0xc
	scratch_load_b128 v[2:5], off, off offset:320
	scratch_load_b128 v[6:9], off, off offset:336
	;; [unrolled: 1-line block ×12, first 2 shown]
	scratch_load_b64 v[229:230], off, off offset:312
	ds_load_b128 v[52:55], v1 offset:832
	ds_load_b128 v[56:59], v1 offset:848
	ds_load_b128 v[60:63], v1 offset:864
	ds_load_b128 v[64:67], v1 offset:880
	ds_load_b128 v[197:200], v1 offset:896
	ds_load_b128 v[201:204], v1 offset:912
	ds_load_b128 v[205:208], v1 offset:928
	ds_load_b128 v[209:212], v1 offset:944
	ds_load_b128 v[213:216], v1 offset:960
	ds_load_b128 v[217:220], v1 offset:976
	ds_load_b128 v[221:224], v1 offset:992
	ds_load_b128 v[225:228], v1 offset:1008
	s_mov_b32 s0, exec_lo
	s_wait_loadcnt_dscnt 0xc0b
	v_dual_mul_f32 v1, v52, v3 :: v_dual_mul_f32 v34, v54, v5
	v_mul_f32_e32 v3, v53, v3
	s_wait_loadcnt_dscnt 0xb0a
	v_dual_mul_f32 v5, v55, v5 :: v_dual_mul_f32 v68, v56, v7
	s_delay_alu instid0(VALU_DEP_3) | instskip(NEXT) | instid1(VALU_DEP_3)
	v_dual_mul_f32 v231, v58, v9 :: v_dual_fmac_f32 v34, v55, v4
	v_fma_f32 v3, v52, v2, -v3
	v_fmac_f32_e32 v1, v53, v2
	v_mul_f32_e32 v2, v57, v7
	v_fma_f32 v4, v54, v4, -v5
	s_wait_loadcnt_dscnt 0xa09
	v_dual_mul_f32 v232, v60, v11 :: v_dual_mul_f32 v233, v62, v13
	v_dual_add_f32 v3, 0, v3 :: v_dual_fmac_f32 v68, v57, v6
	s_wait_loadcnt_dscnt 0x908
	v_dual_mul_f32 v234, v64, v15 :: v_dual_mul_f32 v235, v66, v17
	s_delay_alu instid0(VALU_DEP_3) | instskip(SKIP_1) | instid1(VALU_DEP_3)
	v_dual_mul_f32 v5, v59, v9 :: v_dual_fmac_f32 v232, v61, v10
	v_fma_f32 v2, v56, v6, -v2
	v_dual_add_f32 v3, v3, v4 :: v_dual_fmac_f32 v234, v65, v14
	s_delay_alu instid0(VALU_DEP_3)
	v_fma_f32 v5, v58, v8, -v5
	v_mul_f32_e32 v4, v61, v11
	s_wait_loadcnt_dscnt 0x807
	v_dual_mul_f32 v236, v197, v19 :: v_dual_mul_f32 v237, v199, v21
	v_add_f32_e32 v2, v3, v2
	v_mul_f32_e32 v3, v63, v13
	v_fma_f32 v4, v60, v10, -v4
	s_delay_alu instid0(VALU_DEP_4)
	v_fmac_f32_e32 v236, v198, v18
	s_wait_loadcnt_dscnt 0x504
	v_dual_mul_f32 v242, v209, v31 :: v_dual_mul_f32 v243, v211, v33
	v_add_f32_e32 v2, v2, v5
	v_add_f32_e32 v1, 0, v1
	v_fma_f32 v3, v62, v12, -v3
	v_dual_mul_f32 v238, v201, v23 :: v_dual_mul_f32 v239, v203, v25
	s_delay_alu instid0(VALU_DEP_3) | instskip(SKIP_2) | instid1(VALU_DEP_4)
	v_dual_add_f32 v2, v2, v4 :: v_dual_add_f32 v1, v1, v34
	v_fmac_f32_e32 v231, v59, v8
	v_mul_f32_e32 v4, v67, v17
	v_dual_fmac_f32 v235, v67, v16 :: v_dual_fmac_f32 v238, v202, v22
	s_delay_alu instid0(VALU_DEP_4) | instskip(NEXT) | instid1(VALU_DEP_3)
	v_dual_add_f32 v1, v1, v68 :: v_dual_add_f32 v2, v2, v3
	v_fma_f32 v4, v66, v16, -v4
	v_mul_f32_e32 v5, v65, v15
	v_mul_f32_e32 v3, v198, v19
	s_delay_alu instid0(VALU_DEP_4) | instskip(SKIP_1) | instid1(VALU_DEP_4)
	v_add_f32_e32 v1, v1, v231
	v_dual_mul_f32 v240, v205, v27 :: v_dual_mul_f32 v241, v207, v29
	v_fma_f32 v5, v64, v14, -v5
	v_fmac_f32_e32 v233, v63, v12
	s_delay_alu instid0(VALU_DEP_4) | instskip(SKIP_1) | instid1(VALU_DEP_4)
	v_add_f32_e32 v1, v1, v232
	v_fma_f32 v3, v197, v18, -v3
	v_dual_fmac_f32 v239, v204, v24 :: v_dual_add_f32 v2, v2, v5
	s_wait_loadcnt_dscnt 0x403
	v_dual_mul_f32 v244, v213, v37 :: v_dual_mul_f32 v245, v215, v39
	s_wait_loadcnt_dscnt 0x201
	v_dual_mul_f32 v248, v221, v45 :: v_dual_mul_f32 v249, v223, v47
	v_add_f32_e32 v2, v2, v4
	v_dual_mul_f32 v4, v202, v23 :: v_dual_add_f32 v1, v1, v233
	v_fmac_f32_e32 v242, v210, v30
	v_dual_mul_f32 v246, v217, v41 :: v_dual_mul_f32 v247, v219, v43
	s_delay_alu instid0(VALU_DEP_3) | instskip(SKIP_3) | instid1(VALU_DEP_3)
	v_fma_f32 v4, v201, v22, -v4
	v_dual_mul_f32 v5, v200, v21 :: v_dual_add_f32 v2, v2, v3
	v_dual_mul_f32 v3, v204, v25 :: v_dual_fmac_f32 v240, v206, v26
	v_fmac_f32_e32 v245, v216, v38
	v_fma_f32 v5, v199, v20, -v5
	v_add_f32_e32 v1, v1, v234
	s_delay_alu instid0(VALU_DEP_4)
	v_fma_f32 v3, v203, v24, -v3
	s_wait_loadcnt_dscnt 0x100
	v_dual_mul_f32 v250, v225, v49 :: v_dual_mul_f32 v251, v227, v51
	v_add_f32_e32 v2, v2, v5
	v_mul_f32_e32 v5, v206, v27
	v_dual_add_f32 v1, v1, v235 :: v_dual_fmac_f32 v244, v214, v36
	v_fmac_f32_e32 v248, v222, v44
	s_delay_alu instid0(VALU_DEP_4) | instskip(SKIP_3) | instid1(VALU_DEP_4)
	v_add_f32_e32 v2, v2, v4
	v_fmac_f32_e32 v237, v200, v20
	v_mul_f32_e32 v4, v208, v29
	v_fma_f32 v5, v205, v26, -v5
	v_dual_fmac_f32 v251, v228, v50 :: v_dual_add_f32 v2, v2, v3
	v_add_f32_e32 v1, v1, v236
	s_delay_alu instid0(VALU_DEP_4) | instskip(SKIP_4) | instid1(VALU_DEP_4)
	v_fma_f32 v4, v207, v28, -v4
	v_mul_f32_e32 v3, v210, v31
	v_fmac_f32_e32 v246, v218, v40
	v_add_f32_e32 v2, v2, v5
	v_dual_add_f32 v1, v1, v237 :: v_dual_fmac_f32 v250, v226, v48
	v_fma_f32 v3, v209, v30, -v3
	s_delay_alu instid0(VALU_DEP_3) | instskip(NEXT) | instid1(VALU_DEP_3)
	v_add_f32_e32 v2, v2, v4
	v_dual_mul_f32 v4, v214, v37 :: v_dual_add_f32 v1, v1, v238
	s_delay_alu instid0(VALU_DEP_2) | instskip(NEXT) | instid1(VALU_DEP_2)
	v_add_f32_e32 v2, v2, v3
	v_fma_f32 v4, v213, v36, -v4
	v_mul_f32_e32 v5, v212, v33
	s_delay_alu instid0(VALU_DEP_4) | instskip(SKIP_1) | instid1(VALU_DEP_3)
	v_add_f32_e32 v1, v1, v239
	v_mul_f32_e32 v3, v216, v39
	v_fma_f32 v5, v211, v32, -v5
	v_fmac_f32_e32 v241, v208, v28
	s_delay_alu instid0(VALU_DEP_4) | instskip(NEXT) | instid1(VALU_DEP_4)
	v_add_f32_e32 v1, v1, v240
	v_fma_f32 v3, v215, v38, -v3
	s_delay_alu instid0(VALU_DEP_4) | instskip(SKIP_1) | instid1(VALU_DEP_2)
	v_add_f32_e32 v2, v2, v5
	v_mul_f32_e32 v5, v218, v41
	v_add_f32_e32 v2, v2, v4
	v_dual_mul_f32 v4, v220, v43 :: v_dual_add_f32 v1, v1, v241
	v_fmac_f32_e32 v243, v212, v32
	s_delay_alu instid0(VALU_DEP_4) | instskip(NEXT) | instid1(VALU_DEP_4)
	v_fma_f32 v5, v217, v40, -v5
	v_add_f32_e32 v2, v2, v3
	v_mul_f32_e32 v3, v222, v45
	v_add_f32_e32 v1, v1, v242
	v_fma_f32 v4, v219, v42, -v4
	s_delay_alu instid0(VALU_DEP_4) | instskip(NEXT) | instid1(VALU_DEP_3)
	v_dual_add_f32 v2, v2, v5 :: v_dual_mul_f32 v5, v224, v47
	v_add_f32_e32 v1, v1, v243
	v_fma_f32 v3, v221, v44, -v3
	s_delay_alu instid0(VALU_DEP_3) | instskip(NEXT) | instid1(VALU_DEP_3)
	v_add_f32_e32 v2, v2, v4
	v_dual_mul_f32 v4, v226, v49 :: v_dual_add_f32 v1, v1, v244
	v_fma_f32 v5, v223, v46, -v5
	s_delay_alu instid0(VALU_DEP_3) | instskip(NEXT) | instid1(VALU_DEP_3)
	v_dual_add_f32 v2, v2, v3 :: v_dual_fmac_f32 v247, v220, v42
	v_add_f32_e32 v1, v1, v245
	s_delay_alu instid0(VALU_DEP_4) | instskip(NEXT) | instid1(VALU_DEP_3)
	v_fma_f32 v4, v225, v48, -v4
	v_dual_mul_f32 v3, v228, v51 :: v_dual_add_f32 v2, v2, v5
	s_delay_alu instid0(VALU_DEP_3) | instskip(NEXT) | instid1(VALU_DEP_2)
	v_add_f32_e32 v1, v1, v246
	v_fma_f32 v3, v227, v50, -v3
	s_delay_alu instid0(VALU_DEP_3) | instskip(NEXT) | instid1(VALU_DEP_3)
	v_dual_add_f32 v2, v2, v4 :: v_dual_fmac_f32 v249, v224, v46
	v_add_f32_e32 v1, v1, v247
	s_delay_alu instid0(VALU_DEP_1) | instskip(NEXT) | instid1(VALU_DEP_1)
	v_dual_add_f32 v2, v2, v3 :: v_dual_add_f32 v1, v1, v248
	v_add_f32_e32 v1, v1, v249
	s_delay_alu instid0(VALU_DEP_1) | instskip(NEXT) | instid1(VALU_DEP_1)
	v_add_f32_e32 v1, v1, v250
	v_add_f32_e32 v3, v1, v251
	s_wait_loadcnt 0x0
	s_delay_alu instid0(VALU_DEP_1)
	v_dual_sub_f32 v1, v229, v2 :: v_dual_sub_f32 v2, v230, v3
	scratch_store_b64 off, v[1:2], off offset:312
	v_cmpx_lt_u32_e32 38, v0
	s_cbranch_execz .LBB63_321
; %bb.320:
	scratch_load_b64 v[1:2], off, off offset:304
	v_mov_b32_e32 v3, 0
	s_delay_alu instid0(VALU_DEP_1)
	v_mov_b32_e32 v4, v3
	scratch_store_b64 off, v[3:4], off offset:304
	s_wait_loadcnt 0x0
	ds_store_b64 v35, v[1:2]
.LBB63_321:
	s_wait_alu 0xfffe
	s_or_b32 exec_lo, exec_lo, s0
	s_wait_storecnt_dscnt 0x0
	s_barrier_signal -1
	s_barrier_wait -1
	global_inv scope:SCOPE_SE
	s_clause 0x4
	scratch_load_b128 v[2:5], off, off offset:312
	scratch_load_b128 v[6:9], off, off offset:328
	;; [unrolled: 1-line block ×5, first 2 shown]
	v_mov_b32_e32 v1, 0
	ds_load_2addr_b64 v[22:25], v1 offset0:103 offset1:104
	ds_load_2addr_b64 v[26:29], v1 offset0:105 offset1:106
	;; [unrolled: 1-line block ×3, first 2 shown]
	scratch_load_b64 v[36:37], off, off offset:304
	s_mov_b32 s0, exec_lo
	s_wait_loadcnt_dscnt 0x502
	v_mul_f32_e32 v34, v23, v3
	v_dual_mul_f32 v38, v22, v3 :: v_dual_mul_f32 v39, v24, v5
	v_mul_f32_e32 v3, v25, v5
	s_wait_loadcnt_dscnt 0x300
	v_mul_f32_e32 v40, v32, v13
	v_fma_f32 v22, v22, v2, -v34
	v_dual_fmac_f32 v38, v23, v2 :: v_dual_fmac_f32 v39, v25, v4
	v_fma_f32 v23, v24, v4, -v3
	ds_load_2addr_b64 v[2:5], v1 offset0:109 offset1:110
	v_mul_f32_e32 v24, v26, v7
	v_mul_f32_e32 v7, v27, v7
	v_dual_mul_f32 v25, v28, v9 :: v_dual_mul_f32 v34, v30, v11
	s_delay_alu instid0(VALU_DEP_3) | instskip(SKIP_2) | instid1(VALU_DEP_4)
	v_dual_mul_f32 v9, v29, v9 :: v_dual_fmac_f32 v24, v27, v6
	v_dual_mul_f32 v11, v31, v11 :: v_dual_fmac_f32 v40, v33, v12
	v_mul_f32_e32 v13, v33, v13
	v_dual_fmac_f32 v25, v29, v8 :: v_dual_fmac_f32 v34, v31, v10
	s_delay_alu instid0(VALU_DEP_4) | instskip(NEXT) | instid1(VALU_DEP_4)
	v_fma_f32 v27, v28, v8, -v9
	v_fma_f32 v28, v30, v10, -v11
	s_delay_alu instid0(VALU_DEP_4)
	v_fma_f32 v29, v32, v12, -v13
	ds_load_2addr_b64 v[10:13], v1 offset0:111 offset1:112
	v_fma_f32 v26, v26, v6, -v7
	scratch_load_b128 v[6:9], off, off offset:392
	s_wait_loadcnt_dscnt 0x301
	v_mul_f32_e32 v30, v2, v15
	v_mul_f32_e32 v15, v3, v15
	;; [unrolled: 1-line block ×3, first 2 shown]
	s_delay_alu instid0(VALU_DEP_3) | instskip(NEXT) | instid1(VALU_DEP_3)
	v_dual_mul_f32 v17, v5, v17 :: v_dual_fmac_f32 v30, v3, v14
	v_fma_f32 v14, v2, v14, -v15
	s_wait_loadcnt_dscnt 0x200
	s_delay_alu instid0(VALU_DEP_3) | instskip(NEXT) | instid1(VALU_DEP_3)
	v_dual_fmac_f32 v31, v5, v16 :: v_dual_mul_f32 v32, v10, v19
	v_fma_f32 v15, v4, v16, -v17
	v_dual_mul_f32 v16, v11, v19 :: v_dual_mul_f32 v19, v12, v21
	s_delay_alu instid0(VALU_DEP_3)
	v_dual_mul_f32 v17, v13, v21 :: v_dual_fmac_f32 v32, v11, v18
	ds_load_2addr_b64 v[2:5], v1 offset0:113 offset1:114
	v_fma_f32 v18, v10, v18, -v16
	v_fmac_f32_e32 v19, v13, v20
	v_fma_f32 v20, v12, v20, -v17
	scratch_load_b128 v[10:13], off, off offset:408
	s_wait_loadcnt_dscnt 0x100
	v_mul_f32_e32 v21, v2, v7
	v_mul_f32_e32 v7, v3, v7
	;; [unrolled: 1-line block ×4, first 2 shown]
	s_delay_alu instid0(VALU_DEP_4) | instskip(NEXT) | instid1(VALU_DEP_4)
	v_fmac_f32_e32 v21, v3, v6
	v_fma_f32 v41, v2, v6, -v7
	s_delay_alu instid0(VALU_DEP_4) | instskip(NEXT) | instid1(VALU_DEP_4)
	v_fmac_f32_e32 v33, v5, v8
	v_fma_f32 v42, v4, v8, -v9
	ds_load_2addr_b64 v[2:5], v1 offset0:115 offset1:116
	ds_load_2addr_b64 v[6:9], v1 offset0:117 offset1:118
	s_wait_loadcnt_dscnt 0x1
	v_mul_f32_e32 v43, v2, v11
	v_dual_mul_f32 v11, v3, v11 :: v_dual_mul_f32 v44, v4, v13
	s_delay_alu instid0(VALU_DEP_2) | instskip(NEXT) | instid1(VALU_DEP_2)
	v_fmac_f32_e32 v43, v3, v10
	v_fma_f32 v45, v2, v10, -v11
	v_mul_f32_e32 v2, v5, v13
	s_delay_alu instid0(VALU_DEP_4) | instskip(NEXT) | instid1(VALU_DEP_2)
	v_fmac_f32_e32 v44, v5, v12
	v_fma_f32 v46, v4, v12, -v2
	s_clause 0x1
	scratch_load_b128 v[2:5], off, off offset:424
	scratch_load_b128 v[10:13], off, off offset:440
	s_wait_loadcnt_dscnt 0x100
	v_mul_f32_e32 v47, v6, v3
	v_mul_f32_e32 v3, v7, v3
	s_delay_alu instid0(VALU_DEP_2) | instskip(NEXT) | instid1(VALU_DEP_2)
	v_fmac_f32_e32 v47, v7, v2
	v_fma_f32 v48, v6, v2, -v3
	v_dual_mul_f32 v2, v9, v5 :: v_dual_add_f32 v7, 0, v38
	s_delay_alu instid0(VALU_DEP_1) | instskip(SKIP_1) | instid1(VALU_DEP_1)
	v_fma_f32 v50, v8, v4, -v2
	v_add_f32_e32 v2, 0, v22
	v_add_f32_e32 v6, v2, v23
	s_delay_alu instid0(VALU_DEP_1) | instskip(NEXT) | instid1(VALU_DEP_1)
	v_add_f32_e32 v6, v6, v26
	v_add_f32_e32 v16, v6, v27
	scratch_load_b64 v[26:27], off, off offset:504
	v_add_f32_e32 v16, v16, v28
	s_delay_alu instid0(VALU_DEP_1) | instskip(NEXT) | instid1(VALU_DEP_1)
	v_add_f32_e32 v16, v16, v29
	v_add_f32_e32 v14, v16, v14
	s_delay_alu instid0(VALU_DEP_1) | instskip(NEXT) | instid1(VALU_DEP_1)
	v_add_f32_e32 v23, v14, v15
	v_add_f32_e32 v18, v23, v18
	s_delay_alu instid0(VALU_DEP_1) | instskip(NEXT) | instid1(VALU_DEP_1)
	v_dual_add_f32 v7, v7, v39 :: v_dual_add_f32 v18, v18, v20
	v_dual_add_f32 v7, v7, v24 :: v_dual_add_f32 v18, v18, v41
	s_delay_alu instid0(VALU_DEP_1) | instskip(NEXT) | instid1(VALU_DEP_1)
	v_dual_add_f32 v17, v7, v25 :: v_dual_add_f32 v18, v18, v42
	v_dual_add_f32 v17, v17, v34 :: v_dual_add_f32 v28, v18, v45
	s_delay_alu instid0(VALU_DEP_1) | instskip(NEXT) | instid1(VALU_DEP_1)
	v_add_f32_e32 v17, v17, v40
	v_dual_mul_f32 v49, v8, v5 :: v_dual_add_f32 v22, v17, v30
	s_delay_alu instid0(VALU_DEP_1)
	v_fmac_f32_e32 v49, v9, v4
	ds_load_2addr_b64 v[2:5], v1 offset0:119 offset1:120
	ds_load_2addr_b64 v[6:9], v1 offset0:121 offset1:122
	v_add_f32_e32 v30, v28, v46
	scratch_load_b128 v[14:17], off, off offset:488
	v_add_f32_e32 v22, v22, v31
	v_add_f32_e32 v30, v30, v48
	s_delay_alu instid0(VALU_DEP_2) | instskip(NEXT) | instid1(VALU_DEP_2)
	v_add_f32_e32 v22, v22, v32
	v_add_f32_e32 v30, v30, v50
	s_delay_alu instid0(VALU_DEP_2) | instskip(SKIP_1) | instid1(VALU_DEP_1)
	v_add_f32_e32 v19, v22, v19
	s_wait_loadcnt_dscnt 0x201
	v_dual_add_f32 v19, v19, v21 :: v_dual_mul_f32 v38, v2, v11
	v_dual_mul_f32 v11, v3, v11 :: v_dual_mul_f32 v34, v4, v13
	v_mul_f32_e32 v13, v5, v13
	s_delay_alu instid0(VALU_DEP_3) | instskip(NEXT) | instid1(VALU_DEP_4)
	v_add_f32_e32 v22, v19, v33
	v_fmac_f32_e32 v38, v3, v10
	s_delay_alu instid0(VALU_DEP_4)
	v_fma_f32 v39, v2, v10, -v11
	v_fmac_f32_e32 v34, v5, v12
	v_fma_f32 v51, v4, v12, -v13
	s_clause 0x1
	scratch_load_b128 v[2:5], off, off offset:456
	scratch_load_b128 v[10:13], off, off offset:472
	ds_load_2addr_b64 v[18:21], v1 offset0:123 offset1:124
	v_add_f32_e32 v30, v30, v39
	s_delay_alu instid0(VALU_DEP_1)
	v_add_f32_e32 v30, v30, v51
	s_wait_loadcnt_dscnt 0x101
	v_mul_f32_e32 v32, v6, v3
	v_add_f32_e32 v29, v22, v43
	ds_load_2addr_b64 v[22:25], v1 offset0:125 offset1:126
	v_mul_f32_e32 v3, v7, v3
	v_dual_mul_f32 v33, v8, v5 :: v_dual_fmac_f32 v32, v7, v2
	v_add_f32_e32 v31, v29, v44
	ds_load_b64 v[28:29], v1 offset:1016
	v_fma_f32 v3, v6, v2, -v3
	s_wait_loadcnt_dscnt 0x2
	v_mul_f32_e32 v6, v21, v13
	v_mul_f32_e32 v5, v9, v5
	v_add_f32_e32 v31, v31, v47
	v_add_f32_e32 v3, v30, v3
	s_delay_alu instid0(VALU_DEP_4) | instskip(NEXT) | instid1(VALU_DEP_4)
	v_fma_f32 v6, v20, v12, -v6
	v_fma_f32 v2, v8, v4, -v5
	s_delay_alu instid0(VALU_DEP_4) | instskip(NEXT) | instid1(VALU_DEP_2)
	v_add_f32_e32 v31, v31, v49
	v_dual_mul_f32 v39, v18, v11 :: v_dual_add_f32 v2, v3, v2
	s_wait_dscnt 0x1
	s_delay_alu instid0(VALU_DEP_2) | instskip(SKIP_3) | instid1(VALU_DEP_4)
	v_dual_add_f32 v31, v31, v38 :: v_dual_mul_f32 v40, v22, v15
	v_mul_f32_e32 v41, v24, v17
	v_dual_fmac_f32 v33, v9, v4 :: v_dual_mul_f32 v4, v19, v11
	v_mul_f32_e32 v38, v20, v13
	v_fmac_f32_e32 v40, v23, v14
	v_fmac_f32_e32 v39, v19, v10
	s_delay_alu instid0(VALU_DEP_4) | instskip(SKIP_3) | instid1(VALU_DEP_3)
	v_fma_f32 v4, v18, v10, -v4
	s_wait_dscnt 0x0
	v_dual_add_f32 v31, v31, v34 :: v_dual_mul_f32 v34, v28, v27
	v_fmac_f32_e32 v38, v21, v12
	v_add_f32_e32 v2, v2, v4
	s_delay_alu instid0(VALU_DEP_3) | instskip(NEXT) | instid1(VALU_DEP_4)
	v_dual_add_f32 v5, v31, v32 :: v_dual_mul_f32 v4, v25, v17
	v_fmac_f32_e32 v34, v29, v26
	s_delay_alu instid0(VALU_DEP_3) | instskip(SKIP_1) | instid1(VALU_DEP_4)
	v_add_f32_e32 v2, v2, v6
	v_mul_f32_e32 v6, v29, v27
	v_fma_f32 v4, v24, v16, -v4
	v_add_f32_e32 v3, v5, v33
	v_mul_f32_e32 v5, v23, v15
	s_delay_alu instid0(VALU_DEP_1) | instskip(NEXT) | instid1(VALU_DEP_1)
	v_fma_f32 v5, v22, v14, -v5
	v_dual_fmac_f32 v41, v25, v16 :: v_dual_add_f32 v2, v2, v5
	v_fma_f32 v5, v28, v26, -v6
	s_delay_alu instid0(VALU_DEP_2) | instskip(NEXT) | instid1(VALU_DEP_1)
	v_dual_add_f32 v2, v2, v4 :: v_dual_add_f32 v3, v3, v39
	v_dual_add_f32 v2, v2, v5 :: v_dual_add_f32 v3, v3, v38
	s_delay_alu instid0(VALU_DEP_1) | instskip(NEXT) | instid1(VALU_DEP_1)
	v_dual_sub_f32 v2, v36, v2 :: v_dual_add_f32 v3, v3, v40
	v_add_f32_e32 v3, v3, v41
	s_delay_alu instid0(VALU_DEP_1) | instskip(NEXT) | instid1(VALU_DEP_1)
	v_add_f32_e32 v3, v3, v34
	v_sub_f32_e32 v3, v37, v3
	scratch_store_b64 off, v[2:3], off offset:304
	v_cmpx_lt_u32_e32 37, v0
	s_cbranch_execz .LBB63_323
; %bb.322:
	scratch_load_b64 v[3:4], off, off offset:296
	v_mov_b32_e32 v2, v1
	scratch_store_b64 off, v[1:2], off offset:296
	s_wait_loadcnt 0x0
	ds_store_b64 v35, v[3:4]
.LBB63_323:
	s_wait_alu 0xfffe
	s_or_b32 exec_lo, exec_lo, s0
	s_wait_storecnt_dscnt 0x0
	s_barrier_signal -1
	s_barrier_wait -1
	global_inv scope:SCOPE_SE
	s_clause 0x4
	scratch_load_b128 v[2:5], off, off offset:304
	scratch_load_b128 v[6:9], off, off offset:320
	;; [unrolled: 1-line block ×5, first 2 shown]
	ds_load_b128 v[22:25], v1 offset:816
	ds_load_b128 v[26:29], v1 offset:832
	;; [unrolled: 1-line block ×3, first 2 shown]
	scratch_load_b64 v[36:37], off, off offset:296
	s_mov_b32 s0, exec_lo
	s_wait_loadcnt_dscnt 0x502
	v_dual_mul_f32 v34, v23, v3 :: v_dual_mul_f32 v39, v24, v5
	v_dual_mul_f32 v38, v22, v3 :: v_dual_mul_f32 v3, v25, v5
	s_wait_loadcnt_dscnt 0x300
	v_mul_f32_e32 v40, v32, v13
	s_delay_alu instid0(VALU_DEP_3) | instskip(NEXT) | instid1(VALU_DEP_3)
	v_fma_f32 v22, v22, v2, -v34
	v_dual_fmac_f32 v39, v25, v4 :: v_dual_fmac_f32 v38, v23, v2
	v_fma_f32 v23, v24, v4, -v3
	ds_load_b128 v[2:5], v1 offset:864
	v_dual_mul_f32 v24, v26, v7 :: v_dual_mul_f32 v25, v28, v9
	v_mul_f32_e32 v7, v27, v7
	v_dual_mul_f32 v9, v29, v9 :: v_dual_mul_f32 v34, v30, v11
	v_dual_mul_f32 v11, v31, v11 :: v_dual_fmac_f32 v40, v33, v12
	s_delay_alu instid0(VALU_DEP_4) | instskip(SKIP_1) | instid1(VALU_DEP_4)
	v_dual_mul_f32 v13, v33, v13 :: v_dual_fmac_f32 v24, v27, v6
	v_fmac_f32_e32 v25, v29, v8
	v_fma_f32 v27, v28, v8, -v9
	v_fmac_f32_e32 v34, v31, v10
	v_fma_f32 v28, v30, v10, -v11
	v_fma_f32 v29, v32, v12, -v13
	ds_load_b128 v[10:13], v1 offset:880
	v_fma_f32 v26, v26, v6, -v7
	scratch_load_b128 v[6:9], off, off offset:384
	s_wait_loadcnt_dscnt 0x301
	v_dual_mul_f32 v30, v2, v15 :: v_dual_mul_f32 v31, v4, v17
	v_mul_f32_e32 v15, v3, v15
	s_delay_alu instid0(VALU_DEP_2) | instskip(NEXT) | instid1(VALU_DEP_3)
	v_dual_mul_f32 v17, v5, v17 :: v_dual_fmac_f32 v30, v3, v14
	v_fmac_f32_e32 v31, v5, v16
	s_delay_alu instid0(VALU_DEP_2)
	v_fma_f32 v33, v4, v16, -v17
	s_wait_loadcnt_dscnt 0x200
	v_mul_f32_e32 v42, v12, v21
	v_fma_f32 v32, v2, v14, -v15
	v_mul_f32_e32 v41, v10, v19
	v_dual_mul_f32 v14, v11, v19 :: v_dual_mul_f32 v15, v13, v21
	ds_load_b128 v[2:5], v1 offset:896
	v_dual_fmac_f32 v42, v13, v20 :: v_dual_fmac_f32 v41, v11, v18
	v_fma_f32 v18, v10, v18, -v14
	v_fma_f32 v19, v12, v20, -v15
	scratch_load_b128 v[10:13], off, off offset:400
	s_wait_loadcnt_dscnt 0x100
	v_dual_mul_f32 v44, v4, v9 :: v_dual_mul_f32 v43, v2, v7
	v_mul_f32_e32 v7, v3, v7
	v_mul_f32_e32 v9, v5, v9
	s_delay_alu instid0(VALU_DEP_3) | instskip(NEXT) | instid1(VALU_DEP_3)
	v_dual_fmac_f32 v44, v5, v8 :: v_dual_fmac_f32 v43, v3, v6
	v_fma_f32 v45, v2, v6, -v7
	s_delay_alu instid0(VALU_DEP_3)
	v_fma_f32 v46, v4, v8, -v9
	ds_load_b128 v[2:5], v1 offset:912
	ds_load_b128 v[6:9], v1 offset:928
	s_wait_loadcnt_dscnt 0x1
	v_mul_f32_e32 v47, v2, v11
	v_dual_mul_f32 v11, v3, v11 :: v_dual_mul_f32 v48, v4, v13
	s_delay_alu instid0(VALU_DEP_1) | instskip(NEXT) | instid1(VALU_DEP_3)
	v_fma_f32 v49, v2, v10, -v11
	v_dual_mul_f32 v2, v5, v13 :: v_dual_fmac_f32 v47, v3, v10
	s_delay_alu instid0(VALU_DEP_3) | instskip(NEXT) | instid1(VALU_DEP_2)
	v_fmac_f32_e32 v48, v5, v12
	v_fma_f32 v50, v4, v12, -v2
	s_clause 0x1
	scratch_load_b128 v[2:5], off, off offset:416
	scratch_load_b128 v[10:13], off, off offset:432
	s_wait_loadcnt_dscnt 0x100
	v_mul_f32_e32 v51, v6, v3
	v_mul_f32_e32 v3, v7, v3
	s_delay_alu instid0(VALU_DEP_1) | instskip(SKIP_1) | instid1(VALU_DEP_1)
	v_fma_f32 v52, v6, v2, -v3
	v_add_f32_e32 v3, 0, v38
	v_dual_mul_f32 v53, v8, v5 :: v_dual_add_f32 v6, v3, v39
	s_delay_alu instid0(VALU_DEP_1) | instskip(NEXT) | instid1(VALU_DEP_2)
	v_fmac_f32_e32 v53, v9, v4
	v_dual_add_f32 v14, v6, v24 :: v_dual_fmac_f32 v51, v7, v2
	v_mul_f32_e32 v2, v9, v5
	s_delay_alu instid0(VALU_DEP_2) | instskip(NEXT) | instid1(VALU_DEP_2)
	v_add_f32_e32 v14, v14, v25
	v_fma_f32 v54, v8, v4, -v2
	v_add_f32_e32 v2, 0, v22
	s_delay_alu instid0(VALU_DEP_3) | instskip(NEXT) | instid1(VALU_DEP_2)
	v_add_f32_e32 v14, v14, v34
	v_add_f32_e32 v2, v2, v23
	s_delay_alu instid0(VALU_DEP_1)
	v_add_f32_e32 v7, v2, v26
	ds_load_b128 v[2:5], v1 offset:944
	v_add_f32_e32 v21, v14, v40
	v_add_f32_e32 v15, v7, v27
	scratch_load_b128 v[6:9], off, off offset:448
	v_add_f32_e32 v21, v21, v30
	s_delay_alu instid0(VALU_DEP_1) | instskip(NEXT) | instid1(VALU_DEP_1)
	v_add_f32_e32 v21, v21, v31
	v_dual_add_f32 v15, v15, v28 :: v_dual_add_f32 v22, v21, v41
	s_delay_alu instid0(VALU_DEP_1)
	v_add_f32_e32 v20, v15, v29
	ds_load_b128 v[14:17], v1 offset:960
	s_wait_loadcnt_dscnt 0x101
	v_mul_f32_e32 v26, v2, v11
	v_dual_mul_f32 v11, v3, v11 :: v_dual_add_f32 v22, v22, v42
	v_add_f32_e32 v20, v20, v32
	v_mul_f32_e32 v27, v4, v13
	s_delay_alu instid0(VALU_DEP_4) | instskip(NEXT) | instid1(VALU_DEP_4)
	v_dual_mul_f32 v13, v5, v13 :: v_dual_fmac_f32 v26, v3, v10
	v_fma_f32 v28, v2, v10, -v11
	s_delay_alu instid0(VALU_DEP_4) | instskip(SKIP_1) | instid1(VALU_DEP_4)
	v_add_f32_e32 v20, v20, v33
	v_add_f32_e32 v22, v22, v43
	v_fma_f32 v29, v4, v12, -v13
	s_delay_alu instid0(VALU_DEP_3) | instskip(NEXT) | instid1(VALU_DEP_1)
	v_add_f32_e32 v18, v20, v18
	v_add_f32_e32 v23, v18, v19
	scratch_load_b128 v[18:21], off, off offset:496
	v_add_f32_e32 v23, v23, v45
	s_delay_alu instid0(VALU_DEP_1)
	v_add_f32_e32 v23, v23, v46
	v_fmac_f32_e32 v27, v5, v12
	s_clause 0x1
	scratch_load_b128 v[2:5], off, off offset:464
	scratch_load_b128 v[10:13], off, off offset:480
	s_wait_loadcnt_dscnt 0x300
	v_mul_f32_e32 v30, v14, v7
	v_mul_f32_e32 v7, v15, v7
	s_delay_alu instid0(VALU_DEP_2) | instskip(NEXT) | instid1(VALU_DEP_2)
	v_fmac_f32_e32 v30, v15, v6
	v_fma_f32 v32, v14, v6, -v7
	v_add_f32_e32 v14, v22, v44
	s_delay_alu instid0(VALU_DEP_1) | instskip(SKIP_1) | instid1(VALU_DEP_2)
	v_dual_add_f32 v22, v23, v49 :: v_dual_add_f32 v23, v14, v47
	v_mul_f32_e32 v31, v16, v9
	v_dual_mul_f32 v9, v17, v9 :: v_dual_add_f32 v34, v22, v50
	s_delay_alu instid0(VALU_DEP_3) | instskip(NEXT) | instid1(VALU_DEP_3)
	v_add_f32_e32 v38, v23, v48
	v_fmac_f32_e32 v31, v17, v8
	s_delay_alu instid0(VALU_DEP_3)
	v_fma_f32 v33, v16, v8, -v9
	ds_load_b128 v[6:9], v1 offset:976
	ds_load_b128 v[14:17], v1 offset:992
	;; [unrolled: 1-line block ×3, first 2 shown]
	v_add_f32_e32 v1, v34, v52
	v_add_f32_e32 v34, v38, v51
	s_delay_alu instid0(VALU_DEP_1) | instskip(NEXT) | instid1(VALU_DEP_1)
	v_add_f32_e32 v34, v34, v53
	v_add_f32_e32 v26, v34, v26
	s_delay_alu instid0(VALU_DEP_1) | instskip(NEXT) | instid1(VALU_DEP_1)
	v_add_f32_e32 v26, v26, v27
	v_add_f32_e32 v26, v26, v30
	s_wait_loadcnt_dscnt 0x102
	v_mul_f32_e32 v38, v6, v3
	s_wait_loadcnt_dscnt 0x1
	v_dual_mul_f32 v34, v14, v11 :: v_dual_mul_f32 v39, v16, v13
	s_delay_alu instid0(VALU_DEP_2) | instskip(SKIP_1) | instid1(VALU_DEP_3)
	v_fmac_f32_e32 v38, v7, v2
	v_mul_f32_e32 v3, v7, v3
	v_fmac_f32_e32 v34, v15, v10
	s_delay_alu instid0(VALU_DEP_2) | instskip(SKIP_1) | instid1(VALU_DEP_1)
	v_fma_f32 v3, v6, v2, -v3
	v_dual_mul_f32 v6, v15, v11 :: v_dual_add_f32 v1, v1, v54
	v_dual_add_f32 v2, v26, v31 :: v_dual_add_f32 v1, v1, v28
	s_wait_dscnt 0x0
	v_dual_mul_f32 v28, v8, v5 :: v_dual_mul_f32 v27, v22, v19
	s_delay_alu instid0(VALU_DEP_2) | instskip(NEXT) | instid1(VALU_DEP_3)
	v_dual_add_f32 v2, v2, v38 :: v_dual_mul_f32 v5, v9, v5
	v_add_f32_e32 v1, v1, v29
	s_delay_alu instid0(VALU_DEP_3) | instskip(NEXT) | instid1(VALU_DEP_3)
	v_dual_fmac_f32 v28, v9, v4 :: v_dual_mul_f32 v29, v24, v21
	v_fma_f32 v4, v8, v4, -v5
	s_delay_alu instid0(VALU_DEP_3) | instskip(NEXT) | instid1(VALU_DEP_3)
	v_add_f32_e32 v1, v1, v32
	v_add_f32_e32 v2, v2, v28
	s_delay_alu instid0(VALU_DEP_4) | instskip(SKIP_1) | instid1(VALU_DEP_3)
	v_fmac_f32_e32 v29, v25, v20
	v_fma_f32 v5, v14, v10, -v6
	v_dual_add_f32 v1, v1, v33 :: v_dual_add_f32 v2, v2, v34
	v_fmac_f32_e32 v27, v23, v18
	v_fmac_f32_e32 v39, v17, v12
	s_delay_alu instid0(VALU_DEP_1) | instskip(NEXT) | instid1(VALU_DEP_1)
	v_add_f32_e32 v2, v2, v39
	v_add_f32_e32 v2, v2, v27
	;; [unrolled: 1-line block ×3, first 2 shown]
	v_mul_f32_e32 v3, v17, v13
	s_delay_alu instid0(VALU_DEP_2) | instskip(SKIP_1) | instid1(VALU_DEP_3)
	v_dual_add_f32 v2, v2, v29 :: v_dual_add_f32 v1, v1, v4
	v_mul_f32_e32 v4, v23, v19
	v_fma_f32 v3, v16, v12, -v3
	s_delay_alu instid0(VALU_DEP_3) | instskip(NEXT) | instid1(VALU_DEP_4)
	v_sub_f32_e32 v2, v37, v2
	v_add_f32_e32 v1, v1, v5
	v_mul_f32_e32 v5, v25, v21
	v_fma_f32 v4, v22, v18, -v4
	s_delay_alu instid0(VALU_DEP_3) | instskip(NEXT) | instid1(VALU_DEP_3)
	v_add_f32_e32 v1, v1, v3
	v_fma_f32 v3, v24, v20, -v5
	s_delay_alu instid0(VALU_DEP_2) | instskip(NEXT) | instid1(VALU_DEP_1)
	v_add_f32_e32 v1, v1, v4
	v_add_f32_e32 v1, v1, v3
	s_delay_alu instid0(VALU_DEP_1)
	v_sub_f32_e32 v1, v36, v1
	scratch_store_b64 off, v[1:2], off offset:296
	v_cmpx_lt_u32_e32 36, v0
	s_cbranch_execz .LBB63_325
; %bb.324:
	scratch_load_b64 v[1:2], off, off offset:288
	v_mov_b32_e32 v3, 0
	s_delay_alu instid0(VALU_DEP_1)
	v_mov_b32_e32 v4, v3
	scratch_store_b64 off, v[3:4], off offset:288
	s_wait_loadcnt 0x0
	ds_store_b64 v35, v[1:2]
.LBB63_325:
	s_wait_alu 0xfffe
	s_or_b32 exec_lo, exec_lo, s0
	s_wait_storecnt_dscnt 0x0
	s_barrier_signal -1
	s_barrier_wait -1
	global_inv scope:SCOPE_SE
	s_clause 0x4
	scratch_load_b128 v[2:5], off, off offset:296
	scratch_load_b128 v[6:9], off, off offset:312
	;; [unrolled: 1-line block ×5, first 2 shown]
	v_mov_b32_e32 v1, 0
	ds_load_2addr_b64 v[22:25], v1 offset0:101 offset1:102
	ds_load_2addr_b64 v[26:29], v1 offset0:103 offset1:104
	;; [unrolled: 1-line block ×3, first 2 shown]
	scratch_load_b64 v[36:37], off, off offset:288
	s_mov_b32 s0, exec_lo
	s_wait_loadcnt_dscnt 0x502
	v_mul_f32_e32 v34, v23, v3
	v_dual_mul_f32 v38, v22, v3 :: v_dual_mul_f32 v39, v24, v5
	v_mul_f32_e32 v3, v25, v5
	s_wait_loadcnt_dscnt 0x300
	v_mul_f32_e32 v40, v32, v13
	v_fma_f32 v22, v22, v2, -v34
	v_dual_fmac_f32 v38, v23, v2 :: v_dual_fmac_f32 v39, v25, v4
	v_fma_f32 v23, v24, v4, -v3
	v_mul_f32_e32 v24, v26, v7
	v_mul_f32_e32 v7, v27, v7
	v_dual_mul_f32 v25, v28, v9 :: v_dual_mul_f32 v34, v30, v11
	s_delay_alu instid0(VALU_DEP_3) | instskip(NEXT) | instid1(VALU_DEP_3)
	v_dual_mul_f32 v9, v29, v9 :: v_dual_fmac_f32 v24, v27, v6
	v_fma_f32 v26, v26, v6, -v7
	s_delay_alu instid0(VALU_DEP_3) | instskip(NEXT) | instid1(VALU_DEP_3)
	v_dual_fmac_f32 v25, v29, v8 :: v_dual_fmac_f32 v34, v31, v10
	v_fma_f32 v27, v28, v8, -v9
	scratch_load_b128 v[6:9], off, off offset:376
	ds_load_2addr_b64 v[2:5], v1 offset0:107 offset1:108
	v_dual_mul_f32 v11, v31, v11 :: v_dual_fmac_f32 v40, v33, v12
	v_mul_f32_e32 v13, v33, v13
	s_delay_alu instid0(VALU_DEP_2) | instskip(NEXT) | instid1(VALU_DEP_2)
	v_fma_f32 v28, v30, v10, -v11
	v_fma_f32 v29, v32, v12, -v13
	ds_load_2addr_b64 v[10:13], v1 offset0:109 offset1:110
	s_wait_loadcnt_dscnt 0x301
	v_mul_f32_e32 v30, v2, v15
	v_mul_f32_e32 v15, v3, v15
	;; [unrolled: 1-line block ×3, first 2 shown]
	s_delay_alu instid0(VALU_DEP_3) | instskip(SKIP_1) | instid1(VALU_DEP_2)
	v_dual_mul_f32 v17, v5, v17 :: v_dual_fmac_f32 v30, v3, v14
	s_wait_loadcnt_dscnt 0x200
	v_dual_fmac_f32 v31, v5, v16 :: v_dual_mul_f32 v42, v12, v21
	v_fma_f32 v32, v2, v14, -v15
	v_mul_f32_e32 v14, v11, v19
	v_fma_f32 v33, v4, v16, -v17
	ds_load_2addr_b64 v[2:5], v1 offset0:111 offset1:112
	v_dual_mul_f32 v41, v10, v19 :: v_dual_fmac_f32 v42, v13, v20
	v_mul_f32_e32 v15, v13, v21
	s_delay_alu instid0(VALU_DEP_1) | instskip(SKIP_1) | instid1(VALU_DEP_3)
	v_fma_f32 v19, v12, v20, -v15
	s_wait_loadcnt_dscnt 0x0
	v_dual_mul_f32 v44, v4, v9 :: v_dual_fmac_f32 v41, v11, v18
	v_fma_f32 v18, v10, v18, -v14
	scratch_load_b128 v[10:13], off, off offset:392
	v_mul_f32_e32 v43, v2, v7
	v_mul_f32_e32 v7, v3, v7
	;; [unrolled: 1-line block ×3, first 2 shown]
	s_delay_alu instid0(VALU_DEP_3) | instskip(NEXT) | instid1(VALU_DEP_3)
	v_dual_fmac_f32 v44, v5, v8 :: v_dual_fmac_f32 v43, v3, v6
	v_fma_f32 v45, v2, v6, -v7
	s_delay_alu instid0(VALU_DEP_3)
	v_fma_f32 v46, v4, v8, -v9
	ds_load_2addr_b64 v[2:5], v1 offset0:113 offset1:114
	ds_load_2addr_b64 v[6:9], v1 offset0:115 offset1:116
	s_wait_loadcnt_dscnt 0x1
	v_mul_f32_e32 v47, v2, v11
	v_dual_mul_f32 v11, v3, v11 :: v_dual_mul_f32 v48, v4, v13
	s_delay_alu instid0(VALU_DEP_2) | instskip(NEXT) | instid1(VALU_DEP_2)
	v_fmac_f32_e32 v47, v3, v10
	v_fma_f32 v49, v2, v10, -v11
	v_mul_f32_e32 v2, v5, v13
	s_delay_alu instid0(VALU_DEP_4) | instskip(NEXT) | instid1(VALU_DEP_2)
	v_fmac_f32_e32 v48, v5, v12
	v_fma_f32 v50, v4, v12, -v2
	s_clause 0x1
	scratch_load_b128 v[2:5], off, off offset:408
	scratch_load_b128 v[10:13], off, off offset:424
	s_wait_loadcnt_dscnt 0x100
	v_mul_f32_e32 v51, v6, v3
	v_mul_f32_e32 v3, v7, v3
	s_delay_alu instid0(VALU_DEP_2) | instskip(NEXT) | instid1(VALU_DEP_2)
	v_fmac_f32_e32 v51, v7, v2
	v_fma_f32 v52, v6, v2, -v3
	v_dual_mul_f32 v2, v9, v5 :: v_dual_add_f32 v3, 0, v38
	v_mul_f32_e32 v53, v8, v5
	s_delay_alu instid0(VALU_DEP_2) | instskip(SKIP_1) | instid1(VALU_DEP_3)
	v_fma_f32 v54, v8, v4, -v2
	v_add_f32_e32 v2, 0, v22
	v_dual_add_f32 v6, v3, v39 :: v_dual_fmac_f32 v53, v9, v4
	s_delay_alu instid0(VALU_DEP_2) | instskip(NEXT) | instid1(VALU_DEP_2)
	v_add_f32_e32 v2, v2, v23
	v_add_f32_e32 v14, v6, v24
	s_delay_alu instid0(VALU_DEP_2)
	v_add_f32_e32 v7, v2, v26
	scratch_load_b128 v[2:5], off, off offset:440
	v_dual_add_f32 v14, v14, v25 :: v_dual_add_f32 v15, v7, v27
	ds_load_2addr_b64 v[6:9], v1 offset0:117 offset1:118
	v_add_f32_e32 v14, v14, v34
	scratch_load_b64 v[26:27], off, off offset:504
	v_add_f32_e32 v15, v15, v28
	s_delay_alu instid0(VALU_DEP_1) | instskip(SKIP_2) | instid1(VALU_DEP_1)
	v_dual_add_f32 v21, v14, v40 :: v_dual_add_f32 v20, v15, v29
	ds_load_2addr_b64 v[14:17], v1 offset0:119 offset1:120
	v_add_f32_e32 v20, v20, v32
	v_add_f32_e32 v20, v20, v33
	s_wait_loadcnt_dscnt 0x201
	v_mul_f32_e32 v32, v6, v11
	s_delay_alu instid0(VALU_DEP_2) | instskip(NEXT) | instid1(VALU_DEP_2)
	v_add_f32_e32 v18, v20, v18
	v_fmac_f32_e32 v32, v7, v10
	v_dual_add_f32 v21, v21, v30 :: v_dual_mul_f32 v30, v8, v13
	s_delay_alu instid0(VALU_DEP_1) | instskip(NEXT) | instid1(VALU_DEP_2)
	v_add_f32_e32 v21, v21, v31
	v_dual_mul_f32 v11, v7, v11 :: v_dual_fmac_f32 v30, v9, v12
	s_delay_alu instid0(VALU_DEP_2) | instskip(SKIP_1) | instid1(VALU_DEP_3)
	v_add_f32_e32 v22, v21, v41
	v_mul_f32_e32 v13, v9, v13
	v_fma_f32 v33, v6, v10, -v11
	s_delay_alu instid0(VALU_DEP_3) | instskip(NEXT) | instid1(VALU_DEP_3)
	v_add_f32_e32 v22, v22, v42
	v_fma_f32 v34, v8, v12, -v13
	s_clause 0x1
	scratch_load_b128 v[6:9], off, off offset:456
	scratch_load_b128 v[10:13], off, off offset:472
	v_add_f32_e32 v23, v18, v19
	scratch_load_b128 v[18:21], off, off offset:488
	v_add_f32_e32 v22, v22, v43
	s_delay_alu instid0(VALU_DEP_1) | instskip(SKIP_4) | instid1(VALU_DEP_2)
	v_add_f32_e32 v22, v22, v44
	s_wait_loadcnt_dscnt 0x400
	v_mul_f32_e32 v31, v14, v3
	v_dual_mul_f32 v3, v15, v3 :: v_dual_mul_f32 v38, v16, v5
	v_add_f32_e32 v23, v23, v45
	v_fma_f32 v39, v14, v2, -v3
	s_delay_alu instid0(VALU_DEP_2) | instskip(SKIP_1) | instid1(VALU_DEP_1)
	v_dual_fmac_f32 v38, v17, v4 :: v_dual_add_f32 v23, v23, v46
	v_add_f32_e32 v14, v22, v47
	v_add_f32_e32 v22, v14, v48
	s_delay_alu instid0(VALU_DEP_1) | instskip(NEXT) | instid1(VALU_DEP_1)
	v_add_f32_e32 v29, v22, v51
	v_dual_fmac_f32 v31, v15, v2 :: v_dual_add_f32 v42, v29, v53
	s_delay_alu instid0(VALU_DEP_1) | instskip(NEXT) | instid1(VALU_DEP_1)
	v_dual_add_f32 v23, v23, v49 :: v_dual_add_f32 v32, v42, v32
	v_dual_mul_f32 v5, v17, v5 :: v_dual_add_f32 v30, v32, v30
	s_delay_alu instid0(VALU_DEP_1)
	v_fma_f32 v40, v16, v4, -v5
	ds_load_2addr_b64 v[2:5], v1 offset0:121 offset1:122
	v_add_f32_e32 v15, v23, v50
	ds_load_2addr_b64 v[22:25], v1 offset0:125 offset1:126
	v_add_f32_e32 v30, v30, v31
	v_add_f32_e32 v28, v15, v52
	ds_load_2addr_b64 v[14:17], v1 offset0:123 offset1:124
	v_add_f32_e32 v30, v30, v38
	v_add_f32_e32 v41, v28, v54
	ds_load_b64 v[28:29], v1 offset:1016
	v_add_f32_e32 v33, v41, v33
	s_wait_loadcnt_dscnt 0x203
	s_delay_alu instid0(VALU_DEP_1) | instskip(SKIP_3) | instid1(VALU_DEP_4)
	v_dual_mul_f32 v32, v4, v9 :: v_dual_add_f32 v33, v33, v34
	v_mul_f32_e32 v41, v2, v7
	v_mul_f32_e32 v7, v3, v7
	;; [unrolled: 1-line block ×3, first 2 shown]
	v_fmac_f32_e32 v32, v5, v8
	s_wait_loadcnt_dscnt 0x101
	v_mul_f32_e32 v34, v14, v11
	v_fma_f32 v2, v2, v6, -v7
	v_fmac_f32_e32 v41, v3, v6
	v_fma_f32 v3, v4, v8, -v9
	v_mul_f32_e32 v4, v15, v11
	s_wait_dscnt 0x0
	v_mul_f32_e32 v38, v28, v27
	v_dual_add_f32 v33, v33, v39 :: v_dual_fmac_f32 v34, v15, v10
	s_wait_loadcnt 0x0
	v_dual_mul_f32 v39, v22, v19 :: v_dual_mul_f32 v6, v17, v13
	v_fma_f32 v4, v14, v10, -v4
	s_delay_alu instid0(VALU_DEP_3)
	v_add_f32_e32 v33, v33, v40
	v_mul_f32_e32 v31, v16, v13
	v_mul_f32_e32 v40, v24, v21
	v_fma_f32 v6, v16, v12, -v6
	v_fmac_f32_e32 v38, v29, v26
	v_add_f32_e32 v2, v33, v2
	s_delay_alu instid0(VALU_DEP_4) | instskip(NEXT) | instid1(VALU_DEP_2)
	v_fmac_f32_e32 v40, v25, v20
	v_add_f32_e32 v2, v2, v3
	s_delay_alu instid0(VALU_DEP_1) | instskip(SKIP_3) | instid1(VALU_DEP_4)
	v_add_f32_e32 v2, v2, v4
	v_add_f32_e32 v5, v30, v41
	v_fmac_f32_e32 v31, v17, v12
	v_mul_f32_e32 v4, v25, v21
	v_add_f32_e32 v2, v2, v6
	v_mul_f32_e32 v6, v29, v27
	v_add_f32_e32 v3, v5, v32
	v_mul_f32_e32 v5, v23, v19
	v_fma_f32 v4, v24, v20, -v4
	s_delay_alu instid0(VALU_DEP_2) | instskip(NEXT) | instid1(VALU_DEP_1)
	v_fma_f32 v5, v22, v18, -v5
	v_dual_add_f32 v2, v2, v5 :: v_dual_add_f32 v3, v3, v34
	v_fmac_f32_e32 v39, v23, v18
	v_fma_f32 v5, v28, v26, -v6
	s_delay_alu instid0(VALU_DEP_3) | instskip(NEXT) | instid1(VALU_DEP_1)
	v_dual_add_f32 v2, v2, v4 :: v_dual_add_f32 v3, v3, v31
	v_dual_add_f32 v2, v2, v5 :: v_dual_add_f32 v3, v3, v39
	s_delay_alu instid0(VALU_DEP_1) | instskip(NEXT) | instid1(VALU_DEP_1)
	v_dual_sub_f32 v2, v36, v2 :: v_dual_add_f32 v3, v3, v40
	v_add_f32_e32 v3, v3, v38
	s_delay_alu instid0(VALU_DEP_1)
	v_sub_f32_e32 v3, v37, v3
	scratch_store_b64 off, v[2:3], off offset:288
	v_cmpx_lt_u32_e32 35, v0
	s_cbranch_execz .LBB63_327
; %bb.326:
	scratch_load_b64 v[3:4], off, off offset:280
	v_mov_b32_e32 v2, v1
	scratch_store_b64 off, v[1:2], off offset:280
	s_wait_loadcnt 0x0
	ds_store_b64 v35, v[3:4]
.LBB63_327:
	s_wait_alu 0xfffe
	s_or_b32 exec_lo, exec_lo, s0
	s_wait_storecnt_dscnt 0x0
	s_barrier_signal -1
	s_barrier_wait -1
	global_inv scope:SCOPE_SE
	s_clause 0x4
	scratch_load_b128 v[2:5], off, off offset:288
	scratch_load_b128 v[6:9], off, off offset:304
	;; [unrolled: 1-line block ×5, first 2 shown]
	ds_load_b128 v[22:25], v1 offset:800
	ds_load_b128 v[26:29], v1 offset:816
	;; [unrolled: 1-line block ×3, first 2 shown]
	scratch_load_b64 v[36:37], off, off offset:280
	s_mov_b32 s0, exec_lo
	s_wait_loadcnt_dscnt 0x502
	v_dual_mul_f32 v34, v23, v3 :: v_dual_mul_f32 v39, v24, v5
	v_dual_mul_f32 v38, v22, v3 :: v_dual_mul_f32 v3, v25, v5
	s_wait_loadcnt_dscnt 0x300
	v_mul_f32_e32 v40, v32, v13
	s_delay_alu instid0(VALU_DEP_3) | instskip(NEXT) | instid1(VALU_DEP_3)
	v_fma_f32 v22, v22, v2, -v34
	v_dual_fmac_f32 v39, v25, v4 :: v_dual_fmac_f32 v38, v23, v2
	v_fma_f32 v23, v24, v4, -v3
	ds_load_b128 v[2:5], v1 offset:848
	v_dual_mul_f32 v24, v26, v7 :: v_dual_mul_f32 v25, v28, v9
	v_mul_f32_e32 v7, v27, v7
	v_dual_mul_f32 v9, v29, v9 :: v_dual_mul_f32 v34, v30, v11
	v_dual_mul_f32 v11, v31, v11 :: v_dual_fmac_f32 v40, v33, v12
	s_delay_alu instid0(VALU_DEP_4) | instskip(SKIP_1) | instid1(VALU_DEP_4)
	v_dual_mul_f32 v13, v33, v13 :: v_dual_fmac_f32 v24, v27, v6
	v_fmac_f32_e32 v25, v29, v8
	v_fma_f32 v27, v28, v8, -v9
	v_fmac_f32_e32 v34, v31, v10
	v_fma_f32 v28, v30, v10, -v11
	v_fma_f32 v29, v32, v12, -v13
	ds_load_b128 v[10:13], v1 offset:864
	v_fma_f32 v26, v26, v6, -v7
	scratch_load_b128 v[6:9], off, off offset:368
	s_wait_loadcnt_dscnt 0x301
	v_dual_mul_f32 v30, v2, v15 :: v_dual_mul_f32 v31, v4, v17
	v_mul_f32_e32 v15, v3, v15
	s_delay_alu instid0(VALU_DEP_2) | instskip(NEXT) | instid1(VALU_DEP_3)
	v_dual_mul_f32 v17, v5, v17 :: v_dual_fmac_f32 v30, v3, v14
	v_fmac_f32_e32 v31, v5, v16
	s_delay_alu instid0(VALU_DEP_3) | instskip(NEXT) | instid1(VALU_DEP_3)
	v_fma_f32 v14, v2, v14, -v15
	v_fma_f32 v15, v4, v16, -v17
	ds_load_b128 v[2:5], v1 offset:880
	s_wait_loadcnt_dscnt 0x201
	v_mul_f32_e32 v16, v10, v19
	v_mul_f32_e32 v17, v11, v19
	;; [unrolled: 1-line block ×3, first 2 shown]
	s_delay_alu instid0(VALU_DEP_3) | instskip(NEXT) | instid1(VALU_DEP_3)
	v_dual_mul_f32 v21, v13, v21 :: v_dual_fmac_f32 v16, v11, v18
	v_fma_f32 v17, v10, v18, -v17
	s_delay_alu instid0(VALU_DEP_3) | instskip(NEXT) | instid1(VALU_DEP_3)
	v_fmac_f32_e32 v19, v13, v20
	v_fma_f32 v18, v12, v20, -v21
	scratch_load_b128 v[10:13], off, off offset:384
	s_wait_loadcnt_dscnt 0x100
	v_mul_f32_e32 v20, v2, v7
	v_mul_f32_e32 v7, v3, v7
	;; [unrolled: 1-line block ×3, first 2 shown]
	s_delay_alu instid0(VALU_DEP_3) | instskip(NEXT) | instid1(VALU_DEP_3)
	v_dual_mul_f32 v9, v5, v9 :: v_dual_fmac_f32 v20, v3, v6
	v_fma_f32 v32, v2, v6, -v7
	s_delay_alu instid0(VALU_DEP_3) | instskip(NEXT) | instid1(VALU_DEP_3)
	v_fmac_f32_e32 v21, v5, v8
	v_fma_f32 v33, v4, v8, -v9
	ds_load_b128 v[2:5], v1 offset:896
	ds_load_b128 v[6:9], v1 offset:912
	s_wait_loadcnt_dscnt 0x1
	v_mul_f32_e32 v41, v2, v11
	v_dual_mul_f32 v11, v3, v11 :: v_dual_mul_f32 v42, v4, v13
	s_delay_alu instid0(VALU_DEP_2) | instskip(NEXT) | instid1(VALU_DEP_2)
	v_fmac_f32_e32 v41, v3, v10
	v_fma_f32 v43, v2, v10, -v11
	v_mul_f32_e32 v2, v5, v13
	s_delay_alu instid0(VALU_DEP_4) | instskip(NEXT) | instid1(VALU_DEP_2)
	v_fmac_f32_e32 v42, v5, v12
	v_fma_f32 v44, v4, v12, -v2
	s_clause 0x1
	scratch_load_b128 v[2:5], off, off offset:400
	scratch_load_b128 v[10:13], off, off offset:416
	s_wait_loadcnt_dscnt 0x100
	v_mul_f32_e32 v45, v6, v3
	v_mul_f32_e32 v3, v7, v3
	;; [unrolled: 1-line block ×3, first 2 shown]
	s_delay_alu instid0(VALU_DEP_3) | instskip(NEXT) | instid1(VALU_DEP_3)
	v_fmac_f32_e32 v45, v7, v2
	v_fma_f32 v46, v6, v2, -v3
	v_mul_f32_e32 v2, v9, v5
	s_delay_alu instid0(VALU_DEP_4) | instskip(NEXT) | instid1(VALU_DEP_2)
	v_fmac_f32_e32 v47, v9, v4
	v_fma_f32 v48, v8, v4, -v2
	ds_load_b128 v[2:5], v1 offset:928
	ds_load_b128 v[6:9], v1 offset:944
	s_wait_loadcnt_dscnt 0x1
	v_mul_f32_e32 v49, v2, v11
	v_mul_f32_e32 v51, v4, v13
	s_delay_alu instid0(VALU_DEP_2) | instskip(SKIP_1) | instid1(VALU_DEP_3)
	v_fmac_f32_e32 v49, v3, v10
	v_mul_f32_e32 v3, v3, v11
	v_fmac_f32_e32 v51, v5, v12
	s_delay_alu instid0(VALU_DEP_2) | instskip(SKIP_1) | instid1(VALU_DEP_1)
	v_fma_f32 v50, v2, v10, -v3
	v_mul_f32_e32 v2, v5, v13
	v_fma_f32 v52, v4, v12, -v2
	s_clause 0x1
	scratch_load_b128 v[2:5], off, off offset:432
	scratch_load_b128 v[10:13], off, off offset:448
	s_wait_loadcnt_dscnt 0x100
	v_mul_f32_e32 v53, v6, v3
	v_mul_f32_e32 v3, v7, v3
	s_delay_alu instid0(VALU_DEP_2) | instskip(NEXT) | instid1(VALU_DEP_2)
	v_fmac_f32_e32 v53, v7, v2
	v_fma_f32 v54, v6, v2, -v3
	v_dual_mul_f32 v2, v9, v5 :: v_dual_add_f32 v3, 0, v38
	s_delay_alu instid0(VALU_DEP_1) | instskip(NEXT) | instid1(VALU_DEP_2)
	v_fma_f32 v56, v8, v4, -v2
	v_dual_add_f32 v2, 0, v22 :: v_dual_add_f32 v3, v3, v39
	s_delay_alu instid0(VALU_DEP_1) | instskip(NEXT) | instid1(VALU_DEP_1)
	v_dual_add_f32 v2, v2, v23 :: v_dual_add_f32 v3, v3, v24
	v_dual_add_f32 v2, v2, v26 :: v_dual_add_f32 v3, v3, v25
	s_delay_alu instid0(VALU_DEP_1) | instskip(NEXT) | instid1(VALU_DEP_2)
	v_add_f32_e32 v2, v2, v27
	v_add_f32_e32 v6, v3, v34
	s_delay_alu instid0(VALU_DEP_2) | instskip(NEXT) | instid1(VALU_DEP_2)
	v_add_f32_e32 v2, v2, v28
	v_add_f32_e32 v6, v6, v40
	s_delay_alu instid0(VALU_DEP_2) | instskip(NEXT) | instid1(VALU_DEP_2)
	v_add_f32_e32 v7, v2, v29
	v_add_f32_e32 v6, v6, v30
	s_delay_alu instid0(VALU_DEP_2) | instskip(NEXT) | instid1(VALU_DEP_1)
	v_add_f32_e32 v7, v7, v14
	v_add_f32_e32 v14, v7, v15
	s_delay_alu instid0(VALU_DEP_1) | instskip(NEXT) | instid1(VALU_DEP_4)
	v_add_f32_e32 v14, v14, v17
	v_add_f32_e32 v15, v6, v31
	s_delay_alu instid0(VALU_DEP_1) | instskip(NEXT) | instid1(VALU_DEP_1)
	v_dual_add_f32 v14, v14, v18 :: v_dual_add_f32 v15, v15, v16
	v_dual_add_f32 v14, v14, v32 :: v_dual_add_f32 v15, v15, v19
	s_delay_alu instid0(VALU_DEP_1) | instskip(SKIP_2) | instid1(VALU_DEP_1)
	v_dual_add_f32 v19, v14, v33 :: v_dual_add_f32 v18, v15, v20
	scratch_load_b128 v[14:17], off, off offset:496
	v_dual_add_f32 v19, v19, v43 :: v_dual_add_f32 v18, v18, v21
	v_dual_add_f32 v19, v19, v44 :: v_dual_add_f32 v18, v18, v41
	s_delay_alu instid0(VALU_DEP_1) | instskip(NEXT) | instid1(VALU_DEP_1)
	v_dual_mul_f32 v55, v8, v5 :: v_dual_add_f32 v22, v19, v46
	v_dual_add_f32 v18, v18, v42 :: v_dual_fmac_f32 v55, v9, v4
	ds_load_b128 v[2:5], v1 offset:960
	ds_load_b128 v[6:9], v1 offset:976
	v_add_f32_e32 v30, v22, v48
	v_add_f32_e32 v23, v18, v45
	ds_load_b128 v[18:21], v1 offset:992
	v_add_f32_e32 v31, v23, v47
	ds_load_b128 v[22:25], v1 offset:1008
	v_dual_add_f32 v1, v30, v50 :: v_dual_add_f32 v30, v31, v49
	s_wait_loadcnt_dscnt 0x103
	v_mul_f32_e32 v26, v2, v11
	s_delay_alu instid0(VALU_DEP_2) | instskip(SKIP_1) | instid1(VALU_DEP_3)
	v_dual_add_f32 v30, v30, v51 :: v_dual_mul_f32 v27, v4, v13
	v_mul_f32_e32 v11, v3, v11
	v_fmac_f32_e32 v26, v3, v10
	s_delay_alu instid0(VALU_DEP_3) | instskip(NEXT) | instid1(VALU_DEP_3)
	v_add_f32_e32 v30, v30, v53
	v_fma_f32 v28, v2, v10, -v11
	s_delay_alu instid0(VALU_DEP_2) | instskip(NEXT) | instid1(VALU_DEP_1)
	v_dual_add_f32 v30, v30, v55 :: v_dual_mul_f32 v13, v5, v13
	v_add_f32_e32 v26, v30, v26
	s_delay_alu instid0(VALU_DEP_2)
	v_fma_f32 v29, v4, v12, -v13
	s_wait_loadcnt_dscnt 0x0
	v_dual_mul_f32 v38, v22, v15 :: v_dual_fmac_f32 v27, v5, v12
	s_clause 0x1
	scratch_load_b128 v[2:5], off, off offset:464
	scratch_load_b128 v[10:13], off, off offset:480
	s_wait_loadcnt 0x1
	v_dual_fmac_f32 v38, v23, v14 :: v_dual_mul_f32 v31, v6, v3
	s_wait_loadcnt 0x0
	v_dual_mul_f32 v34, v20, v13 :: v_dual_mul_f32 v3, v7, v3
	v_mul_f32_e32 v32, v8, v5
	v_mul_f32_e32 v5, v9, v5
	v_fmac_f32_e32 v31, v7, v2
	v_add_f32_e32 v1, v1, v52
	v_fmac_f32_e32 v34, v21, v12
	v_fma_f32 v3, v6, v2, -v3
	v_mul_f32_e32 v33, v18, v11
	s_delay_alu instid0(VALU_DEP_4) | instskip(SKIP_2) | instid1(VALU_DEP_4)
	v_dual_mul_f32 v6, v19, v11 :: v_dual_add_f32 v1, v1, v54
	v_fmac_f32_e32 v32, v9, v4
	v_fma_f32 v4, v8, v4, -v5
	v_fmac_f32_e32 v33, v19, v10
	s_delay_alu instid0(VALU_DEP_4) | instskip(SKIP_1) | instid1(VALU_DEP_1)
	v_fma_f32 v5, v18, v10, -v6
	v_add_f32_e32 v1, v1, v56
	v_dual_add_f32 v1, v1, v28 :: v_dual_mul_f32 v28, v24, v17
	s_delay_alu instid0(VALU_DEP_1) | instskip(NEXT) | instid1(VALU_DEP_2)
	v_dual_add_f32 v2, v26, v27 :: v_dual_add_f32 v1, v1, v29
	v_fmac_f32_e32 v28, v25, v16
	s_delay_alu instid0(VALU_DEP_2) | instskip(NEXT) | instid1(VALU_DEP_3)
	v_add_f32_e32 v2, v2, v31
	v_add_f32_e32 v1, v1, v3
	s_delay_alu instid0(VALU_DEP_2) | instskip(NEXT) | instid1(VALU_DEP_2)
	v_dual_mul_f32 v3, v21, v13 :: v_dual_add_f32 v2, v2, v32
	v_dual_add_f32 v1, v1, v4 :: v_dual_mul_f32 v4, v23, v15
	s_delay_alu instid0(VALU_DEP_2) | instskip(NEXT) | instid1(VALU_DEP_3)
	v_fma_f32 v3, v20, v12, -v3
	v_add_f32_e32 v2, v2, v33
	s_delay_alu instid0(VALU_DEP_3) | instskip(SKIP_2) | instid1(VALU_DEP_3)
	v_add_f32_e32 v1, v1, v5
	v_mul_f32_e32 v5, v25, v17
	v_fma_f32 v4, v22, v14, -v4
	v_dual_add_f32 v2, v2, v34 :: v_dual_add_f32 v1, v1, v3
	s_delay_alu instid0(VALU_DEP_3) | instskip(NEXT) | instid1(VALU_DEP_2)
	v_fma_f32 v3, v24, v16, -v5
	v_dual_add_f32 v2, v2, v38 :: v_dual_add_f32 v1, v1, v4
	s_delay_alu instid0(VALU_DEP_1) | instskip(NEXT) | instid1(VALU_DEP_1)
	v_dual_add_f32 v2, v2, v28 :: v_dual_add_f32 v1, v1, v3
	v_dual_sub_f32 v2, v37, v2 :: v_dual_sub_f32 v1, v36, v1
	scratch_store_b64 off, v[1:2], off offset:280
	v_cmpx_lt_u32_e32 34, v0
	s_cbranch_execz .LBB63_329
; %bb.328:
	scratch_load_b64 v[1:2], off, off offset:272
	v_mov_b32_e32 v3, 0
	s_delay_alu instid0(VALU_DEP_1)
	v_mov_b32_e32 v4, v3
	scratch_store_b64 off, v[3:4], off offset:272
	s_wait_loadcnt 0x0
	ds_store_b64 v35, v[1:2]
.LBB63_329:
	s_wait_alu 0xfffe
	s_or_b32 exec_lo, exec_lo, s0
	s_wait_storecnt_dscnt 0x0
	s_barrier_signal -1
	s_barrier_wait -1
	global_inv scope:SCOPE_SE
	s_clause 0x4
	scratch_load_b128 v[2:5], off, off offset:280
	scratch_load_b128 v[6:9], off, off offset:296
	;; [unrolled: 1-line block ×5, first 2 shown]
	v_mov_b32_e32 v1, 0
	ds_load_2addr_b64 v[22:25], v1 offset0:99 offset1:100
	ds_load_2addr_b64 v[26:29], v1 offset0:101 offset1:102
	ds_load_2addr_b64 v[30:33], v1 offset0:103 offset1:104
	scratch_load_b64 v[36:37], off, off offset:272
	s_mov_b32 s0, exec_lo
	s_wait_loadcnt_dscnt 0x502
	v_mul_f32_e32 v34, v23, v3
	v_dual_mul_f32 v38, v22, v3 :: v_dual_mul_f32 v39, v24, v5
	v_mul_f32_e32 v3, v25, v5
	s_wait_loadcnt_dscnt 0x300
	v_mul_f32_e32 v40, v32, v13
	v_fma_f32 v22, v22, v2, -v34
	v_dual_fmac_f32 v38, v23, v2 :: v_dual_fmac_f32 v39, v25, v4
	v_fma_f32 v23, v24, v4, -v3
	ds_load_2addr_b64 v[2:5], v1 offset0:105 offset1:106
	v_mul_f32_e32 v24, v26, v7
	v_mul_f32_e32 v7, v27, v7
	v_dual_mul_f32 v25, v28, v9 :: v_dual_mul_f32 v34, v30, v11
	s_delay_alu instid0(VALU_DEP_3) | instskip(SKIP_2) | instid1(VALU_DEP_4)
	v_dual_mul_f32 v9, v29, v9 :: v_dual_fmac_f32 v24, v27, v6
	v_dual_mul_f32 v11, v31, v11 :: v_dual_fmac_f32 v40, v33, v12
	v_mul_f32_e32 v13, v33, v13
	v_dual_fmac_f32 v25, v29, v8 :: v_dual_fmac_f32 v34, v31, v10
	s_delay_alu instid0(VALU_DEP_4) | instskip(NEXT) | instid1(VALU_DEP_4)
	v_fma_f32 v27, v28, v8, -v9
	v_fma_f32 v28, v30, v10, -v11
	s_delay_alu instid0(VALU_DEP_4)
	v_fma_f32 v29, v32, v12, -v13
	ds_load_2addr_b64 v[10:13], v1 offset0:107 offset1:108
	v_fma_f32 v26, v26, v6, -v7
	scratch_load_b128 v[6:9], off, off offset:360
	s_wait_loadcnt_dscnt 0x301
	v_mul_f32_e32 v30, v2, v15
	v_mul_f32_e32 v15, v3, v15
	;; [unrolled: 1-line block ×3, first 2 shown]
	s_delay_alu instid0(VALU_DEP_3) | instskip(NEXT) | instid1(VALU_DEP_3)
	v_dual_mul_f32 v17, v5, v17 :: v_dual_fmac_f32 v30, v3, v14
	v_fma_f32 v14, v2, v14, -v15
	s_delay_alu instid0(VALU_DEP_3) | instskip(NEXT) | instid1(VALU_DEP_3)
	v_fmac_f32_e32 v31, v5, v16
	v_fma_f32 v15, v4, v16, -v17
	ds_load_2addr_b64 v[2:5], v1 offset0:109 offset1:110
	s_wait_loadcnt_dscnt 0x201
	v_mul_f32_e32 v16, v10, v19
	v_mul_f32_e32 v17, v11, v19
	;; [unrolled: 1-line block ×3, first 2 shown]
	s_delay_alu instid0(VALU_DEP_3) | instskip(NEXT) | instid1(VALU_DEP_3)
	v_dual_mul_f32 v21, v13, v21 :: v_dual_fmac_f32 v16, v11, v18
	v_fma_f32 v17, v10, v18, -v17
	s_delay_alu instid0(VALU_DEP_3) | instskip(NEXT) | instid1(VALU_DEP_3)
	v_fmac_f32_e32 v19, v13, v20
	v_fma_f32 v18, v12, v20, -v21
	scratch_load_b128 v[10:13], off, off offset:376
	s_wait_loadcnt_dscnt 0x100
	v_mul_f32_e32 v20, v2, v7
	v_mul_f32_e32 v7, v3, v7
	;; [unrolled: 1-line block ×3, first 2 shown]
	s_delay_alu instid0(VALU_DEP_3) | instskip(NEXT) | instid1(VALU_DEP_3)
	v_dual_mul_f32 v9, v5, v9 :: v_dual_fmac_f32 v20, v3, v6
	v_fma_f32 v32, v2, v6, -v7
	s_delay_alu instid0(VALU_DEP_3) | instskip(NEXT) | instid1(VALU_DEP_3)
	v_fmac_f32_e32 v21, v5, v8
	v_fma_f32 v33, v4, v8, -v9
	ds_load_2addr_b64 v[2:5], v1 offset0:111 offset1:112
	ds_load_2addr_b64 v[6:9], v1 offset0:113 offset1:114
	s_wait_loadcnt_dscnt 0x1
	v_mul_f32_e32 v41, v2, v11
	v_dual_mul_f32 v11, v3, v11 :: v_dual_mul_f32 v42, v4, v13
	s_delay_alu instid0(VALU_DEP_2) | instskip(NEXT) | instid1(VALU_DEP_2)
	v_fmac_f32_e32 v41, v3, v10
	v_fma_f32 v43, v2, v10, -v11
	v_mul_f32_e32 v2, v5, v13
	s_delay_alu instid0(VALU_DEP_4) | instskip(NEXT) | instid1(VALU_DEP_2)
	v_fmac_f32_e32 v42, v5, v12
	v_fma_f32 v44, v4, v12, -v2
	s_clause 0x1
	scratch_load_b128 v[2:5], off, off offset:392
	scratch_load_b128 v[10:13], off, off offset:408
	s_wait_loadcnt_dscnt 0x100
	v_mul_f32_e32 v45, v6, v3
	v_mul_f32_e32 v3, v7, v3
	;; [unrolled: 1-line block ×3, first 2 shown]
	s_delay_alu instid0(VALU_DEP_3) | instskip(NEXT) | instid1(VALU_DEP_3)
	v_fmac_f32_e32 v45, v7, v2
	v_fma_f32 v46, v6, v2, -v3
	v_mul_f32_e32 v2, v9, v5
	s_delay_alu instid0(VALU_DEP_4) | instskip(NEXT) | instid1(VALU_DEP_2)
	v_fmac_f32_e32 v47, v9, v4
	v_fma_f32 v48, v8, v4, -v2
	ds_load_2addr_b64 v[2:5], v1 offset0:115 offset1:116
	ds_load_2addr_b64 v[6:9], v1 offset0:117 offset1:118
	s_wait_loadcnt_dscnt 0x1
	v_mul_f32_e32 v49, v2, v11
	v_mul_f32_e32 v51, v4, v13
	s_delay_alu instid0(VALU_DEP_2) | instskip(SKIP_1) | instid1(VALU_DEP_3)
	v_fmac_f32_e32 v49, v3, v10
	v_mul_f32_e32 v3, v3, v11
	v_fmac_f32_e32 v51, v5, v12
	s_delay_alu instid0(VALU_DEP_2) | instskip(SKIP_1) | instid1(VALU_DEP_1)
	v_fma_f32 v50, v2, v10, -v3
	v_mul_f32_e32 v2, v5, v13
	v_fma_f32 v52, v4, v12, -v2
	s_clause 0x1
	scratch_load_b128 v[2:5], off, off offset:424
	scratch_load_b128 v[10:13], off, off offset:440
	s_wait_loadcnt_dscnt 0x100
	v_mul_f32_e32 v53, v6, v3
	v_mul_f32_e32 v3, v7, v3
	s_delay_alu instid0(VALU_DEP_2) | instskip(NEXT) | instid1(VALU_DEP_2)
	v_fmac_f32_e32 v53, v7, v2
	v_fma_f32 v54, v6, v2, -v3
	v_mul_f32_e32 v2, v9, v5
	s_delay_alu instid0(VALU_DEP_1) | instskip(SKIP_1) | instid1(VALU_DEP_1)
	v_fma_f32 v56, v8, v4, -v2
	v_add_f32_e32 v2, 0, v22
	v_add_f32_e32 v2, v2, v23
	s_delay_alu instid0(VALU_DEP_1) | instskip(NEXT) | instid1(VALU_DEP_1)
	v_add_f32_e32 v2, v2, v26
	v_add_f32_e32 v2, v2, v27
	scratch_load_b64 v[26:27], off, off offset:504
	v_add_f32_e32 v2, v2, v28
	s_delay_alu instid0(VALU_DEP_1) | instskip(NEXT) | instid1(VALU_DEP_1)
	v_add_f32_e32 v7, v2, v29
	v_add_f32_e32 v7, v7, v14
	s_delay_alu instid0(VALU_DEP_1) | instskip(NEXT) | instid1(VALU_DEP_1)
	v_dual_add_f32 v14, v7, v15 :: v_dual_add_f32 v3, 0, v38
	v_dual_add_f32 v14, v14, v17 :: v_dual_add_f32 v3, v3, v39
	s_delay_alu instid0(VALU_DEP_1) | instskip(NEXT) | instid1(VALU_DEP_1)
	v_dual_add_f32 v14, v14, v18 :: v_dual_add_f32 v3, v3, v24
	v_dual_add_f32 v14, v14, v32 :: v_dual_add_f32 v3, v3, v25
	s_delay_alu instid0(VALU_DEP_1) | instskip(NEXT) | instid1(VALU_DEP_1)
	v_add_f32_e32 v6, v3, v34
	v_add_f32_e32 v6, v6, v40
	s_delay_alu instid0(VALU_DEP_1) | instskip(NEXT) | instid1(VALU_DEP_1)
	v_add_f32_e32 v6, v6, v30
	v_add_f32_e32 v15, v6, v31
	;; [unrolled: 3-line block ×3, first 2 shown]
	s_delay_alu instid0(VALU_DEP_1) | instskip(NEXT) | instid1(VALU_DEP_1)
	v_dual_add_f32 v19, v14, v33 :: v_dual_add_f32 v18, v15, v20
	v_add_f32_e32 v19, v19, v43
	scratch_load_b128 v[14:17], off, off offset:488
	v_add_f32_e32 v18, v18, v21
	s_delay_alu instid0(VALU_DEP_1) | instskip(NEXT) | instid1(VALU_DEP_1)
	v_add_f32_e32 v18, v18, v41
	v_dual_mul_f32 v55, v8, v5 :: v_dual_add_f32 v18, v18, v42
	s_delay_alu instid0(VALU_DEP_1) | instskip(SKIP_3) | instid1(VALU_DEP_1)
	v_fmac_f32_e32 v55, v9, v4
	ds_load_2addr_b64 v[2:5], v1 offset0:119 offset1:120
	ds_load_2addr_b64 v[6:9], v1 offset0:121 offset1:122
	v_add_f32_e32 v18, v18, v45
	v_add_f32_e32 v22, v18, v47
	s_delay_alu instid0(VALU_DEP_1) | instskip(SKIP_4) | instid1(VALU_DEP_1)
	v_add_f32_e32 v29, v22, v49
	ds_load_2addr_b64 v[22:25], v1 offset0:125 offset1:126
	v_add_f32_e32 v33, v29, v51
	s_wait_loadcnt_dscnt 0x202
	v_dual_mul_f32 v30, v2, v11 :: v_dual_mul_f32 v31, v4, v13
	v_dual_add_f32 v33, v33, v53 :: v_dual_fmac_f32 v30, v3, v10
	s_delay_alu instid0(VALU_DEP_2) | instskip(NEXT) | instid1(VALU_DEP_2)
	v_fmac_f32_e32 v31, v5, v12
	v_add_f32_e32 v33, v33, v55
	s_delay_alu instid0(VALU_DEP_1) | instskip(SKIP_1) | instid1(VALU_DEP_2)
	v_dual_mul_f32 v11, v3, v11 :: v_dual_add_f32 v30, v33, v30
	v_add_f32_e32 v19, v19, v44
	v_fma_f32 v34, v2, v10, -v11
	s_delay_alu instid0(VALU_DEP_2) | instskip(NEXT) | instid1(VALU_DEP_1)
	v_add_f32_e32 v19, v19, v46
	v_add_f32_e32 v19, v19, v48
	s_delay_alu instid0(VALU_DEP_1) | instskip(SKIP_4) | instid1(VALU_DEP_1)
	v_add_f32_e32 v28, v19, v50
	ds_load_2addr_b64 v[18:21], v1 offset0:123 offset1:124
	v_add_f32_e32 v32, v28, v52
	ds_load_b64 v[28:29], v1 offset:1016
	v_add_f32_e32 v32, v32, v54
	v_add_f32_e32 v32, v32, v56
	s_delay_alu instid0(VALU_DEP_1) | instskip(NEXT) | instid1(VALU_DEP_1)
	v_dual_add_f32 v32, v32, v34 :: v_dual_mul_f32 v13, v5, v13
	v_fma_f32 v38, v4, v12, -v13
	s_clause 0x1
	scratch_load_b128 v[2:5], off, off offset:456
	scratch_load_b128 v[10:13], off, off offset:472
	v_add_f32_e32 v32, v32, v38
	s_wait_loadcnt_dscnt 0x202
	v_mul_f32_e32 v38, v24, v17
	v_add_f32_e32 v30, v30, v31
	v_mul_f32_e32 v41, v22, v15
	s_wait_dscnt 0x0
	s_delay_alu instid0(VALU_DEP_3) | instskip(NEXT) | instid1(VALU_DEP_2)
	v_dual_mul_f32 v31, v28, v27 :: v_dual_fmac_f32 v38, v25, v16
	v_fmac_f32_e32 v41, v23, v14
	s_delay_alu instid0(VALU_DEP_2)
	v_fmac_f32_e32 v31, v29, v26
	s_wait_loadcnt 0x1
	v_mul_f32_e32 v39, v6, v3
	v_dual_mul_f32 v3, v7, v3 :: v_dual_mul_f32 v40, v8, v5
	s_wait_loadcnt 0x0
	v_dual_mul_f32 v5, v9, v5 :: v_dual_mul_f32 v34, v18, v11
	s_delay_alu instid0(VALU_DEP_3) | instskip(NEXT) | instid1(VALU_DEP_3)
	v_fmac_f32_e32 v39, v7, v2
	v_fma_f32 v3, v6, v2, -v3
	v_fmac_f32_e32 v40, v9, v4
	s_delay_alu instid0(VALU_DEP_4) | instskip(SKIP_4) | instid1(VALU_DEP_4)
	v_fma_f32 v2, v8, v4, -v5
	v_mul_f32_e32 v4, v19, v11
	v_add_f32_e32 v5, v30, v39
	v_dual_add_f32 v3, v32, v3 :: v_dual_mul_f32 v6, v21, v13
	v_mul_f32_e32 v33, v20, v13
	v_fma_f32 v4, v18, v10, -v4
	v_fmac_f32_e32 v34, v19, v10
	s_delay_alu instid0(VALU_DEP_4) | instskip(SKIP_1) | instid1(VALU_DEP_2)
	v_dual_add_f32 v2, v3, v2 :: v_dual_add_f32 v3, v5, v40
	v_fma_f32 v6, v20, v12, -v6
	v_dual_mul_f32 v5, v23, v15 :: v_dual_add_f32 v2, v2, v4
	s_delay_alu instid0(VALU_DEP_3) | instskip(NEXT) | instid1(VALU_DEP_2)
	v_dual_add_f32 v3, v3, v34 :: v_dual_mul_f32 v4, v25, v17
	v_fma_f32 v5, v22, v14, -v5
	s_delay_alu instid0(VALU_DEP_3) | instskip(SKIP_3) | instid1(VALU_DEP_4)
	v_add_f32_e32 v2, v2, v6
	v_mul_f32_e32 v6, v29, v27
	v_fmac_f32_e32 v33, v21, v12
	v_fma_f32 v4, v24, v16, -v4
	v_add_f32_e32 v2, v2, v5
	s_delay_alu instid0(VALU_DEP_4) | instskip(NEXT) | instid1(VALU_DEP_2)
	v_fma_f32 v5, v28, v26, -v6
	v_dual_add_f32 v3, v3, v33 :: v_dual_add_f32 v2, v2, v4
	s_delay_alu instid0(VALU_DEP_1) | instskip(NEXT) | instid1(VALU_DEP_1)
	v_add_f32_e32 v3, v3, v41
	v_dual_add_f32 v2, v2, v5 :: v_dual_add_f32 v3, v3, v38
	s_delay_alu instid0(VALU_DEP_1) | instskip(NEXT) | instid1(VALU_DEP_1)
	v_dual_sub_f32 v2, v36, v2 :: v_dual_add_f32 v3, v3, v31
	v_sub_f32_e32 v3, v37, v3
	scratch_store_b64 off, v[2:3], off offset:272
	v_cmpx_lt_u32_e32 33, v0
	s_cbranch_execz .LBB63_331
; %bb.330:
	scratch_load_b64 v[3:4], off, off offset:264
	v_mov_b32_e32 v2, v1
	scratch_store_b64 off, v[1:2], off offset:264
	s_wait_loadcnt 0x0
	ds_store_b64 v35, v[3:4]
.LBB63_331:
	s_wait_alu 0xfffe
	s_or_b32 exec_lo, exec_lo, s0
	s_wait_storecnt_dscnt 0x0
	s_barrier_signal -1
	s_barrier_wait -1
	global_inv scope:SCOPE_SE
	s_clause 0x4
	scratch_load_b128 v[2:5], off, off offset:272
	scratch_load_b128 v[6:9], off, off offset:288
	;; [unrolled: 1-line block ×5, first 2 shown]
	ds_load_b128 v[22:25], v1 offset:784
	ds_load_b128 v[26:29], v1 offset:800
	;; [unrolled: 1-line block ×3, first 2 shown]
	scratch_load_b64 v[36:37], off, off offset:264
	s_mov_b32 s0, exec_lo
	s_wait_loadcnt_dscnt 0x502
	v_dual_mul_f32 v34, v23, v3 :: v_dual_mul_f32 v39, v24, v5
	v_dual_mul_f32 v38, v22, v3 :: v_dual_mul_f32 v3, v25, v5
	s_wait_loadcnt_dscnt 0x300
	v_mul_f32_e32 v40, v32, v13
	s_delay_alu instid0(VALU_DEP_3) | instskip(NEXT) | instid1(VALU_DEP_3)
	v_fma_f32 v22, v22, v2, -v34
	v_dual_fmac_f32 v39, v25, v4 :: v_dual_fmac_f32 v38, v23, v2
	v_fma_f32 v23, v24, v4, -v3
	ds_load_b128 v[2:5], v1 offset:832
	v_dual_mul_f32 v24, v26, v7 :: v_dual_mul_f32 v25, v28, v9
	v_mul_f32_e32 v7, v27, v7
	v_dual_mul_f32 v9, v29, v9 :: v_dual_mul_f32 v34, v30, v11
	v_dual_mul_f32 v11, v31, v11 :: v_dual_fmac_f32 v40, v33, v12
	s_delay_alu instid0(VALU_DEP_4) | instskip(SKIP_1) | instid1(VALU_DEP_4)
	v_dual_mul_f32 v13, v33, v13 :: v_dual_fmac_f32 v24, v27, v6
	v_fmac_f32_e32 v25, v29, v8
	v_fma_f32 v27, v28, v8, -v9
	v_fmac_f32_e32 v34, v31, v10
	v_fma_f32 v28, v30, v10, -v11
	v_fma_f32 v29, v32, v12, -v13
	ds_load_b128 v[10:13], v1 offset:848
	v_fma_f32 v26, v26, v6, -v7
	scratch_load_b128 v[6:9], off, off offset:352
	s_wait_loadcnt_dscnt 0x301
	v_dual_mul_f32 v30, v2, v15 :: v_dual_mul_f32 v31, v4, v17
	v_mul_f32_e32 v15, v3, v15
	s_delay_alu instid0(VALU_DEP_2) | instskip(NEXT) | instid1(VALU_DEP_3)
	v_dual_mul_f32 v17, v5, v17 :: v_dual_fmac_f32 v30, v3, v14
	v_fmac_f32_e32 v31, v5, v16
	s_delay_alu instid0(VALU_DEP_3) | instskip(NEXT) | instid1(VALU_DEP_3)
	v_fma_f32 v14, v2, v14, -v15
	v_fma_f32 v15, v4, v16, -v17
	ds_load_b128 v[2:5], v1 offset:864
	s_wait_loadcnt_dscnt 0x201
	v_mul_f32_e32 v16, v10, v19
	v_mul_f32_e32 v17, v11, v19
	;; [unrolled: 1-line block ×3, first 2 shown]
	s_delay_alu instid0(VALU_DEP_3) | instskip(NEXT) | instid1(VALU_DEP_3)
	v_dual_mul_f32 v21, v13, v21 :: v_dual_fmac_f32 v16, v11, v18
	v_fma_f32 v17, v10, v18, -v17
	s_delay_alu instid0(VALU_DEP_3) | instskip(NEXT) | instid1(VALU_DEP_3)
	v_fmac_f32_e32 v19, v13, v20
	v_fma_f32 v18, v12, v20, -v21
	scratch_load_b128 v[10:13], off, off offset:368
	s_wait_loadcnt_dscnt 0x100
	v_mul_f32_e32 v20, v2, v7
	v_mul_f32_e32 v7, v3, v7
	;; [unrolled: 1-line block ×3, first 2 shown]
	s_delay_alu instid0(VALU_DEP_3) | instskip(NEXT) | instid1(VALU_DEP_3)
	v_dual_mul_f32 v9, v5, v9 :: v_dual_fmac_f32 v20, v3, v6
	v_fma_f32 v32, v2, v6, -v7
	s_delay_alu instid0(VALU_DEP_3) | instskip(NEXT) | instid1(VALU_DEP_3)
	v_fmac_f32_e32 v21, v5, v8
	v_fma_f32 v33, v4, v8, -v9
	ds_load_b128 v[2:5], v1 offset:880
	ds_load_b128 v[6:9], v1 offset:896
	s_wait_loadcnt_dscnt 0x1
	v_mul_f32_e32 v41, v2, v11
	v_dual_mul_f32 v11, v3, v11 :: v_dual_mul_f32 v42, v4, v13
	s_delay_alu instid0(VALU_DEP_2) | instskip(NEXT) | instid1(VALU_DEP_2)
	v_fmac_f32_e32 v41, v3, v10
	v_fma_f32 v43, v2, v10, -v11
	v_mul_f32_e32 v2, v5, v13
	s_delay_alu instid0(VALU_DEP_4) | instskip(NEXT) | instid1(VALU_DEP_2)
	v_fmac_f32_e32 v42, v5, v12
	v_fma_f32 v44, v4, v12, -v2
	s_clause 0x1
	scratch_load_b128 v[2:5], off, off offset:384
	scratch_load_b128 v[10:13], off, off offset:400
	s_wait_loadcnt_dscnt 0x100
	v_mul_f32_e32 v45, v6, v3
	v_mul_f32_e32 v3, v7, v3
	;; [unrolled: 1-line block ×3, first 2 shown]
	s_delay_alu instid0(VALU_DEP_3) | instskip(NEXT) | instid1(VALU_DEP_3)
	v_fmac_f32_e32 v45, v7, v2
	v_fma_f32 v46, v6, v2, -v3
	v_mul_f32_e32 v2, v9, v5
	s_delay_alu instid0(VALU_DEP_4) | instskip(NEXT) | instid1(VALU_DEP_2)
	v_fmac_f32_e32 v47, v9, v4
	v_fma_f32 v48, v8, v4, -v2
	ds_load_b128 v[2:5], v1 offset:912
	ds_load_b128 v[6:9], v1 offset:928
	s_wait_loadcnt_dscnt 0x1
	v_mul_f32_e32 v49, v2, v11
	v_mul_f32_e32 v51, v4, v13
	s_delay_alu instid0(VALU_DEP_2) | instskip(SKIP_1) | instid1(VALU_DEP_3)
	v_fmac_f32_e32 v49, v3, v10
	v_mul_f32_e32 v3, v3, v11
	v_fmac_f32_e32 v51, v5, v12
	s_delay_alu instid0(VALU_DEP_2) | instskip(SKIP_1) | instid1(VALU_DEP_1)
	v_fma_f32 v50, v2, v10, -v3
	v_mul_f32_e32 v2, v5, v13
	v_fma_f32 v52, v4, v12, -v2
	s_clause 0x1
	scratch_load_b128 v[2:5], off, off offset:416
	scratch_load_b128 v[10:13], off, off offset:432
	s_wait_loadcnt_dscnt 0x100
	v_mul_f32_e32 v53, v6, v3
	v_mul_f32_e32 v3, v7, v3
	s_delay_alu instid0(VALU_DEP_2) | instskip(NEXT) | instid1(VALU_DEP_2)
	v_fmac_f32_e32 v53, v7, v2
	v_fma_f32 v54, v6, v2, -v3
	v_dual_mul_f32 v2, v9, v5 :: v_dual_add_f32 v3, 0, v38
	s_delay_alu instid0(VALU_DEP_1) | instskip(SKIP_1) | instid1(VALU_DEP_1)
	v_fma_f32 v56, v8, v4, -v2
	v_add_f32_e32 v2, 0, v22
	v_add_f32_e32 v2, v2, v23
	s_delay_alu instid0(VALU_DEP_1) | instskip(NEXT) | instid1(VALU_DEP_1)
	v_add_f32_e32 v2, v2, v26
	v_add_f32_e32 v2, v2, v27
	s_delay_alu instid0(VALU_DEP_1) | instskip(NEXT) | instid1(VALU_DEP_1)
	v_dual_add_f32 v3, v3, v39 :: v_dual_add_f32 v2, v2, v28
	v_dual_add_f32 v2, v2, v29 :: v_dual_add_f32 v3, v3, v24
	s_delay_alu instid0(VALU_DEP_1) | instskip(NEXT) | instid1(VALU_DEP_2)
	v_add_f32_e32 v7, v2, v14
	v_add_f32_e32 v3, v3, v25
	s_delay_alu instid0(VALU_DEP_2) | instskip(NEXT) | instid1(VALU_DEP_1)
	v_add_f32_e32 v15, v7, v15
	v_add_f32_e32 v15, v15, v17
	s_delay_alu instid0(VALU_DEP_1) | instskip(NEXT) | instid1(VALU_DEP_1)
	v_add_f32_e32 v18, v15, v18
	v_add_f32_e32 v18, v18, v32
	s_delay_alu instid0(VALU_DEP_1) | instskip(NEXT) | instid1(VALU_DEP_1)
	v_dual_add_f32 v18, v18, v33 :: v_dual_add_f32 v3, v3, v34
	v_dual_mul_f32 v55, v8, v5 :: v_dual_add_f32 v18, v18, v43
	s_delay_alu instid0(VALU_DEP_2) | instskip(NEXT) | instid1(VALU_DEP_2)
	v_add_f32_e32 v6, v3, v40
	v_add_f32_e32 v23, v18, v44
	s_delay_alu instid0(VALU_DEP_2) | instskip(NEXT) | instid1(VALU_DEP_1)
	v_add_f32_e32 v14, v6, v30
	v_dual_add_f32 v23, v23, v46 :: v_dual_add_f32 v14, v14, v31
	s_delay_alu instid0(VALU_DEP_1) | instskip(NEXT) | instid1(VALU_DEP_2)
	v_add_f32_e32 v23, v23, v48
	v_add_f32_e32 v14, v14, v16
	s_delay_alu instid0(VALU_DEP_1) | instskip(SKIP_2) | instid1(VALU_DEP_1)
	v_add_f32_e32 v19, v14, v19
	ds_load_b128 v[14:17], v1 offset:960
	v_add_f32_e32 v19, v19, v20
	v_add_f32_e32 v19, v19, v21
	v_fmac_f32_e32 v55, v9, v4
	scratch_load_b128 v[6:9], off, off offset:448
	ds_load_b128 v[2:5], v1 offset:944
	v_add_f32_e32 v22, v19, v41
	scratch_load_b128 v[18:21], off, off offset:496
	v_add_f32_e32 v22, v22, v42
	s_delay_alu instid0(VALU_DEP_1) | instskip(SKIP_4) | instid1(VALU_DEP_3)
	v_add_f32_e32 v22, v22, v45
	s_wait_loadcnt_dscnt 0x200
	v_mul_f32_e32 v26, v2, v11
	v_mul_f32_e32 v11, v3, v11
	;; [unrolled: 1-line block ×3, first 2 shown]
	v_dual_mul_f32 v13, v5, v13 :: v_dual_fmac_f32 v26, v3, v10
	s_delay_alu instid0(VALU_DEP_3) | instskip(NEXT) | instid1(VALU_DEP_3)
	v_fma_f32 v28, v2, v10, -v11
	v_fmac_f32_e32 v27, v5, v12
	s_delay_alu instid0(VALU_DEP_3)
	v_fma_f32 v29, v4, v12, -v13
	s_clause 0x1
	scratch_load_b128 v[10:13], off, off offset:480
	scratch_load_b128 v[2:5], off, off offset:464
	s_wait_loadcnt 0x3
	v_mul_f32_e32 v30, v14, v7
	v_mul_f32_e32 v7, v15, v7
	;; [unrolled: 1-line block ×3, first 2 shown]
	s_delay_alu instid0(VALU_DEP_3) | instskip(NEXT) | instid1(VALU_DEP_3)
	v_dual_mul_f32 v9, v17, v9 :: v_dual_fmac_f32 v30, v15, v6
	v_fma_f32 v32, v14, v6, -v7
	v_add_f32_e32 v14, v22, v47
	v_add_f32_e32 v22, v23, v50
	s_delay_alu instid0(VALU_DEP_4) | instskip(NEXT) | instid1(VALU_DEP_3)
	v_fma_f32 v33, v16, v8, -v9
	v_add_f32_e32 v23, v14, v49
	s_delay_alu instid0(VALU_DEP_3) | instskip(NEXT) | instid1(VALU_DEP_2)
	v_add_f32_e32 v34, v22, v52
	v_add_f32_e32 v38, v23, v51
	ds_load_b128 v[22:25], v1 offset:1008
	v_fmac_f32_e32 v31, v17, v8
	ds_load_b128 v[6:9], v1 offset:976
	ds_load_b128 v[14:17], v1 offset:992
	v_add_f32_e32 v1, v34, v54
	v_add_f32_e32 v34, v38, v53
	s_delay_alu instid0(VALU_DEP_1) | instskip(NEXT) | instid1(VALU_DEP_1)
	v_add_f32_e32 v34, v34, v55
	v_add_f32_e32 v26, v34, v26
	s_delay_alu instid0(VALU_DEP_1)
	v_add_f32_e32 v26, v26, v27
	s_wait_loadcnt_dscnt 0x202
	v_mul_f32_e32 v27, v22, v19
	s_wait_loadcnt_dscnt 0x1
	v_mul_f32_e32 v38, v6, v3
	s_wait_dscnt 0x0
	v_dual_mul_f32 v34, v14, v11 :: v_dual_mul_f32 v39, v16, v13
	v_add_f32_e32 v26, v26, v30
	v_fmac_f32_e32 v27, v23, v18
	v_fmac_f32_e32 v38, v7, v2
	s_delay_alu instid0(VALU_DEP_4) | instskip(SKIP_1) | instid1(VALU_DEP_2)
	v_dual_fmac_f32 v34, v15, v10 :: v_dual_add_f32 v1, v1, v56
	v_fmac_f32_e32 v39, v17, v12
	v_dual_add_f32 v1, v1, v28 :: v_dual_mul_f32 v28, v8, v5
	v_mul_f32_e32 v5, v9, v5
	s_delay_alu instid0(VALU_DEP_2) | instskip(NEXT) | instid1(VALU_DEP_3)
	v_add_f32_e32 v1, v1, v29
	v_dual_mul_f32 v29, v24, v21 :: v_dual_fmac_f32 v28, v9, v4
	s_delay_alu instid0(VALU_DEP_3) | instskip(NEXT) | instid1(VALU_DEP_3)
	v_fma_f32 v4, v8, v4, -v5
	v_add_f32_e32 v1, v1, v32
	s_delay_alu instid0(VALU_DEP_3) | instskip(SKIP_1) | instid1(VALU_DEP_3)
	v_fmac_f32_e32 v29, v25, v20
	v_mul_f32_e32 v3, v7, v3
	v_add_f32_e32 v1, v1, v33
	s_delay_alu instid0(VALU_DEP_2) | instskip(SKIP_1) | instid1(VALU_DEP_2)
	v_fma_f32 v3, v6, v2, -v3
	v_mul_f32_e32 v6, v15, v11
	v_add_f32_e32 v1, v1, v3
	v_mul_f32_e32 v3, v17, v13
	s_delay_alu instid0(VALU_DEP_3) | instskip(NEXT) | instid1(VALU_DEP_3)
	v_fma_f32 v5, v14, v10, -v6
	v_dual_add_f32 v1, v1, v4 :: v_dual_mul_f32 v4, v23, v19
	v_add_f32_e32 v2, v26, v31
	s_delay_alu instid0(VALU_DEP_4) | instskip(NEXT) | instid1(VALU_DEP_3)
	v_fma_f32 v3, v16, v12, -v3
	v_add_f32_e32 v1, v1, v5
	s_delay_alu instid0(VALU_DEP_3) | instskip(SKIP_1) | instid1(VALU_DEP_3)
	v_dual_mul_f32 v5, v25, v21 :: v_dual_add_f32 v2, v2, v38
	v_fma_f32 v4, v22, v18, -v4
	v_add_f32_e32 v1, v1, v3
	s_delay_alu instid0(VALU_DEP_3) | instskip(NEXT) | instid1(VALU_DEP_4)
	v_fma_f32 v3, v24, v20, -v5
	v_add_f32_e32 v2, v2, v28
	s_delay_alu instid0(VALU_DEP_1) | instskip(NEXT) | instid1(VALU_DEP_1)
	v_dual_add_f32 v1, v1, v4 :: v_dual_add_f32 v2, v2, v34
	v_add_f32_e32 v1, v1, v3
	s_delay_alu instid0(VALU_DEP_1) | instskip(NEXT) | instid1(VALU_DEP_1)
	v_dual_add_f32 v2, v2, v39 :: v_dual_sub_f32 v1, v36, v1
	v_add_f32_e32 v2, v2, v27
	s_delay_alu instid0(VALU_DEP_1) | instskip(NEXT) | instid1(VALU_DEP_1)
	v_add_f32_e32 v2, v2, v29
	v_sub_f32_e32 v2, v37, v2
	scratch_store_b64 off, v[1:2], off offset:264
	v_cmpx_lt_u32_e32 32, v0
	s_cbranch_execz .LBB63_333
; %bb.332:
	scratch_load_b64 v[1:2], off, off offset:256
	v_mov_b32_e32 v3, 0
	s_delay_alu instid0(VALU_DEP_1)
	v_mov_b32_e32 v4, v3
	scratch_store_b64 off, v[3:4], off offset:256
	s_wait_loadcnt 0x0
	ds_store_b64 v35, v[1:2]
.LBB63_333:
	s_wait_alu 0xfffe
	s_or_b32 exec_lo, exec_lo, s0
	s_wait_storecnt_dscnt 0x0
	s_barrier_signal -1
	s_barrier_wait -1
	global_inv scope:SCOPE_SE
	s_clause 0x4
	scratch_load_b128 v[5:8], off, off offset:264
	scratch_load_b128 v[1:4], off, off offset:280
	;; [unrolled: 1-line block ×5, first 2 shown]
	v_mov_b32_e32 v21, 0
	ds_load_2addr_b64 v[22:25], v21 offset0:97 offset1:98
	ds_load_2addr_b64 v[26:29], v21 offset0:99 offset1:100
	;; [unrolled: 1-line block ×3, first 2 shown]
	scratch_load_b64 v[36:37], off, off offset:256
	s_mov_b32 s0, exec_lo
	s_wait_loadcnt_dscnt 0x502
	v_mul_f32_e32 v34, v23, v6
	v_dual_mul_f32 v38, v22, v6 :: v_dual_mul_f32 v39, v24, v8
	v_mul_f32_e32 v6, v25, v8
	s_wait_loadcnt_dscnt 0x300
	v_mul_f32_e32 v40, v32, v12
	v_fma_f32 v22, v22, v5, -v34
	v_dual_fmac_f32 v38, v23, v5 :: v_dual_fmac_f32 v39, v25, v7
	v_fma_f32 v23, v24, v7, -v6
	v_dual_mul_f32 v24, v26, v2 :: v_dual_mul_f32 v25, v28, v4
	v_mul_f32_e32 v2, v27, v2
	v_mul_f32_e32 v4, v29, v4
	ds_load_2addr_b64 v[5:8], v21 offset0:103 offset1:104
	v_mul_f32_e32 v34, v30, v10
	v_dual_fmac_f32 v24, v27, v1 :: v_dual_fmac_f32 v25, v29, v3
	v_fma_f32 v26, v26, v1, -v2
	v_fma_f32 v27, v28, v3, -v4
	v_mul_f32_e32 v12, v33, v12
	scratch_load_b128 v[1:4], off, off offset:344
	v_mul_f32_e32 v10, v31, v10
	v_fmac_f32_e32 v34, v31, v9
	v_fmac_f32_e32 v40, v33, v11
	v_fma_f32 v29, v32, v11, -v12
	s_delay_alu instid0(VALU_DEP_4)
	v_fma_f32 v28, v30, v9, -v10
	ds_load_2addr_b64 v[9:12], v21 offset0:105 offset1:106
	s_wait_loadcnt_dscnt 0x301
	v_mul_f32_e32 v30, v5, v14
	v_dual_mul_f32 v14, v6, v14 :: v_dual_mul_f32 v31, v7, v16
	v_mul_f32_e32 v16, v8, v16
	s_delay_alu instid0(VALU_DEP_3) | instskip(NEXT) | instid1(VALU_DEP_3)
	v_fmac_f32_e32 v30, v6, v13
	v_fma_f32 v13, v5, v13, -v14
	s_delay_alu instid0(VALU_DEP_4) | instskip(NEXT) | instid1(VALU_DEP_4)
	v_fmac_f32_e32 v31, v8, v15
	v_fma_f32 v14, v7, v15, -v16
	ds_load_2addr_b64 v[5:8], v21 offset0:107 offset1:108
	s_wait_loadcnt_dscnt 0x201
	v_mul_f32_e32 v15, v9, v18
	v_mul_f32_e32 v16, v10, v18
	;; [unrolled: 1-line block ×3, first 2 shown]
	s_delay_alu instid0(VALU_DEP_3) | instskip(NEXT) | instid1(VALU_DEP_3)
	v_dual_mul_f32 v20, v12, v20 :: v_dual_fmac_f32 v15, v10, v17
	v_fma_f32 v16, v9, v17, -v16
	s_delay_alu instid0(VALU_DEP_3) | instskip(NEXT) | instid1(VALU_DEP_3)
	v_fmac_f32_e32 v18, v12, v19
	v_fma_f32 v17, v11, v19, -v20
	scratch_load_b128 v[9:12], off, off offset:360
	s_wait_loadcnt_dscnt 0x100
	v_mul_f32_e32 v19, v5, v2
	v_mul_f32_e32 v2, v6, v2
	;; [unrolled: 1-line block ×3, first 2 shown]
	s_delay_alu instid0(VALU_DEP_3) | instskip(NEXT) | instid1(VALU_DEP_3)
	v_dual_mul_f32 v4, v8, v4 :: v_dual_fmac_f32 v19, v6, v1
	v_fma_f32 v32, v5, v1, -v2
	s_delay_alu instid0(VALU_DEP_3) | instskip(NEXT) | instid1(VALU_DEP_3)
	v_fmac_f32_e32 v20, v8, v3
	v_fma_f32 v33, v7, v3, -v4
	ds_load_2addr_b64 v[1:4], v21 offset0:109 offset1:110
	ds_load_2addr_b64 v[5:8], v21 offset0:111 offset1:112
	s_wait_loadcnt_dscnt 0x1
	v_mul_f32_e32 v41, v1, v10
	v_mul_f32_e32 v10, v2, v10
	s_delay_alu instid0(VALU_DEP_2) | instskip(NEXT) | instid1(VALU_DEP_2)
	v_dual_mul_f32 v42, v3, v12 :: v_dual_fmac_f32 v41, v2, v9
	v_fma_f32 v43, v1, v9, -v10
	v_mul_f32_e32 v1, v4, v12
	s_delay_alu instid0(VALU_DEP_3) | instskip(NEXT) | instid1(VALU_DEP_2)
	v_fmac_f32_e32 v42, v4, v11
	v_fma_f32 v44, v3, v11, -v1
	s_clause 0x1
	scratch_load_b128 v[1:4], off, off offset:376
	scratch_load_b128 v[9:12], off, off offset:392
	s_wait_loadcnt_dscnt 0x100
	v_mul_f32_e32 v45, v5, v2
	v_dual_mul_f32 v2, v6, v2 :: v_dual_mul_f32 v47, v7, v4
	s_delay_alu instid0(VALU_DEP_2) | instskip(NEXT) | instid1(VALU_DEP_2)
	v_fmac_f32_e32 v45, v6, v1
	v_fma_f32 v46, v5, v1, -v2
	v_mul_f32_e32 v1, v8, v4
	s_delay_alu instid0(VALU_DEP_4) | instskip(NEXT) | instid1(VALU_DEP_2)
	v_fmac_f32_e32 v47, v8, v3
	v_fma_f32 v48, v7, v3, -v1
	ds_load_2addr_b64 v[1:4], v21 offset0:113 offset1:114
	ds_load_2addr_b64 v[5:8], v21 offset0:115 offset1:116
	s_wait_loadcnt_dscnt 0x1
	v_mul_f32_e32 v49, v1, v10
	v_mul_f32_e32 v51, v3, v12
	s_delay_alu instid0(VALU_DEP_2) | instskip(NEXT) | instid1(VALU_DEP_2)
	v_fmac_f32_e32 v49, v2, v9
	v_dual_mul_f32 v2, v2, v10 :: v_dual_fmac_f32 v51, v4, v11
	s_delay_alu instid0(VALU_DEP_1) | instskip(SKIP_1) | instid1(VALU_DEP_1)
	v_fma_f32 v50, v1, v9, -v2
	v_mul_f32_e32 v1, v4, v12
	v_fma_f32 v52, v3, v11, -v1
	s_clause 0x1
	scratch_load_b128 v[1:4], off, off offset:408
	scratch_load_b128 v[9:12], off, off offset:424
	s_wait_loadcnt_dscnt 0x100
	v_mul_f32_e32 v53, v5, v2
	v_dual_mul_f32 v2, v6, v2 :: v_dual_mul_f32 v55, v7, v4
	s_delay_alu instid0(VALU_DEP_2) | instskip(NEXT) | instid1(VALU_DEP_2)
	v_fmac_f32_e32 v53, v6, v1
	v_fma_f32 v54, v5, v1, -v2
	v_mul_f32_e32 v1, v8, v4
	s_delay_alu instid0(VALU_DEP_4) | instskip(NEXT) | instid1(VALU_DEP_2)
	v_fmac_f32_e32 v55, v8, v3
	v_fma_f32 v56, v7, v3, -v1
	v_add_f32_e32 v1, 0, v22
	s_delay_alu instid0(VALU_DEP_1) | instskip(NEXT) | instid1(VALU_DEP_1)
	v_add_f32_e32 v1, v1, v23
	v_add_f32_e32 v1, v1, v26
	s_delay_alu instid0(VALU_DEP_1) | instskip(SKIP_2) | instid1(VALU_DEP_1)
	v_dual_add_f32 v1, v1, v27 :: v_dual_add_f32 v2, 0, v38
	scratch_load_b64 v[26:27], off, off offset:504
	v_dual_add_f32 v1, v1, v28 :: v_dual_add_f32 v2, v2, v39
	v_dual_add_f32 v1, v1, v29 :: v_dual_add_f32 v2, v2, v24
	s_delay_alu instid0(VALU_DEP_1) | instskip(NEXT) | instid1(VALU_DEP_2)
	v_add_f32_e32 v6, v1, v13
	v_add_f32_e32 v2, v2, v25
	s_delay_alu instid0(VALU_DEP_1) | instskip(NEXT) | instid1(VALU_DEP_1)
	v_add_f32_e32 v2, v2, v34
	v_add_f32_e32 v5, v2, v40
	scratch_load_b128 v[1:4], off, off offset:440
	v_add_f32_e32 v13, v5, v30
	s_delay_alu instid0(VALU_DEP_1) | instskip(SKIP_2) | instid1(VALU_DEP_1)
	v_dual_add_f32 v13, v13, v31 :: v_dual_add_f32 v14, v6, v14
	ds_load_2addr_b64 v[5:8], v21 offset0:117 offset1:118
	v_dual_add_f32 v13, v13, v15 :: v_dual_add_f32 v14, v14, v16
	v_dual_add_f32 v18, v13, v18 :: v_dual_add_f32 v17, v14, v17
	ds_load_2addr_b64 v[13:16], v21 offset0:119 offset1:120
	v_add_f32_e32 v17, v17, v32
	s_wait_loadcnt_dscnt 0x201
	v_dual_mul_f32 v30, v5, v10 :: v_dual_mul_f32 v31, v7, v12
	s_delay_alu instid0(VALU_DEP_2) | instskip(SKIP_1) | instid1(VALU_DEP_3)
	v_dual_mul_f32 v10, v6, v10 :: v_dual_add_f32 v17, v17, v33
	v_mul_f32_e32 v12, v8, v12
	v_dual_fmac_f32 v30, v6, v9 :: v_dual_fmac_f32 v31, v8, v11
	s_delay_alu instid0(VALU_DEP_3) | instskip(NEXT) | instid1(VALU_DEP_4)
	v_fma_f32 v32, v5, v9, -v10
	v_add_f32_e32 v17, v17, v43
	s_delay_alu instid0(VALU_DEP_4) | instskip(SKIP_4) | instid1(VALU_DEP_1)
	v_fma_f32 v33, v7, v11, -v12
	s_clause 0x1
	scratch_load_b128 v[5:8], off, off offset:456
	scratch_load_b128 v[9:12], off, off offset:472
	v_dual_add_f32 v18, v18, v19 :: v_dual_add_f32 v23, v17, v44
	v_dual_add_f32 v18, v18, v20 :: v_dual_add_f32 v23, v23, v46
	s_delay_alu instid0(VALU_DEP_1)
	v_dual_add_f32 v22, v18, v41 :: v_dual_add_f32 v23, v23, v48
	scratch_load_b128 v[17:20], off, off offset:488
	v_add_f32_e32 v23, v23, v50
	s_wait_loadcnt_dscnt 0x300
	v_mul_f32_e32 v34, v13, v2
	v_mul_f32_e32 v2, v14, v2
	;; [unrolled: 1-line block ×4, first 2 shown]
	s_delay_alu instid0(VALU_DEP_4) | instskip(NEXT) | instid1(VALU_DEP_4)
	v_fmac_f32_e32 v34, v14, v1
	v_fma_f32 v39, v13, v1, -v2
	s_delay_alu instid0(VALU_DEP_4) | instskip(NEXT) | instid1(VALU_DEP_4)
	v_fmac_f32_e32 v38, v16, v3
	v_fma_f32 v40, v15, v3, -v4
	ds_load_2addr_b64 v[1:4], v21 offset0:121 offset1:122
	v_add_f32_e32 v14, v23, v52
	s_delay_alu instid0(VALU_DEP_1) | instskip(NEXT) | instid1(VALU_DEP_1)
	v_add_f32_e32 v28, v14, v54
	v_dual_add_f32 v22, v22, v42 :: v_dual_add_f32 v41, v28, v56
	s_delay_alu instid0(VALU_DEP_1) | instskip(NEXT) | instid1(VALU_DEP_1)
	v_add_f32_e32 v22, v22, v45
	v_add_f32_e32 v22, v22, v47
	s_delay_alu instid0(VALU_DEP_1) | instskip(NEXT) | instid1(VALU_DEP_1)
	v_add_f32_e32 v13, v22, v49
	v_add_f32_e32 v22, v13, v51
	ds_load_2addr_b64 v[13:16], v21 offset0:123 offset1:124
	v_dual_add_f32 v32, v41, v32 :: v_dual_add_f32 v29, v22, v53
	ds_load_2addr_b64 v[22:25], v21 offset0:125 offset1:126
	s_wait_loadcnt_dscnt 0x202
	v_mul_f32_e32 v41, v1, v6
	v_add_f32_e32 v42, v29, v55
	ds_load_b64 v[28:29], v21 offset:1016
	v_mul_f32_e32 v6, v2, v6
	v_fmac_f32_e32 v41, v2, v5
	s_delay_alu instid0(VALU_DEP_2) | instskip(SKIP_2) | instid1(VALU_DEP_1)
	v_fma_f32 v1, v1, v5, -v6
	s_wait_loadcnt_dscnt 0x102
	v_dual_mul_f32 v5, v16, v12 :: v_dual_add_f32 v30, v42, v30
	v_fma_f32 v5, v15, v11, -v5
	s_delay_alu instid0(VALU_DEP_2) | instskip(SKIP_1) | instid1(VALU_DEP_2)
	v_dual_add_f32 v30, v30, v31 :: v_dual_mul_f32 v31, v3, v8
	v_mul_f32_e32 v8, v4, v8
	v_fmac_f32_e32 v31, v4, v7
	s_delay_alu instid0(VALU_DEP_2) | instskip(SKIP_1) | instid1(VALU_DEP_1)
	v_fma_f32 v2, v3, v7, -v8
	v_dual_add_f32 v32, v32, v33 :: v_dual_mul_f32 v3, v14, v10
	v_dual_mul_f32 v33, v13, v10 :: v_dual_add_f32 v32, v32, v39
	s_wait_loadcnt_dscnt 0x1
	v_mul_f32_e32 v39, v22, v18
	s_delay_alu instid0(VALU_DEP_3) | instskip(NEXT) | instid1(VALU_DEP_3)
	v_fma_f32 v3, v13, v9, -v3
	v_dual_fmac_f32 v33, v14, v9 :: v_dual_add_f32 v32, v32, v40
	s_delay_alu instid0(VALU_DEP_3) | instskip(SKIP_1) | instid1(VALU_DEP_1)
	v_dual_fmac_f32 v39, v23, v17 :: v_dual_add_f32 v30, v30, v34
	v_mul_f32_e32 v40, v24, v20
	v_dual_add_f32 v1, v32, v1 :: v_dual_fmac_f32 v40, v25, v19
	s_delay_alu instid0(VALU_DEP_1) | instskip(NEXT) | instid1(VALU_DEP_1)
	v_add_f32_e32 v1, v1, v2
	v_add_f32_e32 v1, v1, v3
	v_mul_f32_e32 v3, v25, v20
	s_delay_alu instid0(VALU_DEP_2) | instskip(SKIP_2) | instid1(VALU_DEP_3)
	v_add_f32_e32 v1, v1, v5
	s_wait_dscnt 0x0
	v_dual_mul_f32 v5, v29, v27 :: v_dual_add_f32 v30, v30, v38
	v_fma_f32 v3, v24, v19, -v3
	v_mul_f32_e32 v38, v28, v27
	s_delay_alu instid0(VALU_DEP_3) | instskip(NEXT) | instid1(VALU_DEP_2)
	v_add_f32_e32 v4, v30, v41
	v_fmac_f32_e32 v38, v29, v26
	s_delay_alu instid0(VALU_DEP_2) | instskip(SKIP_1) | instid1(VALU_DEP_2)
	v_add_f32_e32 v2, v4, v31
	v_mul_f32_e32 v4, v23, v18
	v_add_f32_e32 v2, v2, v33
	s_delay_alu instid0(VALU_DEP_2) | instskip(NEXT) | instid1(VALU_DEP_1)
	v_fma_f32 v4, v22, v17, -v4
	v_add_f32_e32 v1, v1, v4
	v_mul_f32_e32 v34, v15, v12
	v_fma_f32 v4, v28, v26, -v5
	s_delay_alu instid0(VALU_DEP_3) | instskip(NEXT) | instid1(VALU_DEP_1)
	v_add_f32_e32 v1, v1, v3
	v_dual_fmac_f32 v34, v16, v11 :: v_dual_add_f32 v1, v1, v4
	s_delay_alu instid0(VALU_DEP_1) | instskip(NEXT) | instid1(VALU_DEP_1)
	v_dual_add_f32 v2, v2, v34 :: v_dual_sub_f32 v1, v36, v1
	v_add_f32_e32 v2, v2, v39
	s_delay_alu instid0(VALU_DEP_1) | instskip(NEXT) | instid1(VALU_DEP_1)
	v_add_f32_e32 v2, v2, v40
	v_add_f32_e32 v2, v2, v38
	s_delay_alu instid0(VALU_DEP_1)
	v_sub_f32_e32 v2, v37, v2
	scratch_store_b64 off, v[1:2], off offset:256
	v_cmpx_lt_u32_e32 31, v0
	s_cbranch_execz .LBB63_335
; %bb.334:
	scratch_load_b64 v[1:2], off, off offset:248
	v_mov_b32_e32 v22, v21
	scratch_store_b64 off, v[21:22], off offset:248
	s_wait_loadcnt 0x0
	ds_store_b64 v35, v[1:2]
.LBB63_335:
	s_wait_alu 0xfffe
	s_or_b32 exec_lo, exec_lo, s0
	s_wait_storecnt_dscnt 0x0
	s_barrier_signal -1
	s_barrier_wait -1
	global_inv scope:SCOPE_SE
	s_clause 0x4
	scratch_load_b128 v[5:8], off, off offset:256
	scratch_load_b128 v[1:4], off, off offset:272
	;; [unrolled: 1-line block ×5, first 2 shown]
	ds_load_b128 v[22:25], v21 offset:768
	ds_load_b128 v[26:29], v21 offset:784
	;; [unrolled: 1-line block ×3, first 2 shown]
	scratch_load_b64 v[36:37], off, off offset:248
	s_mov_b32 s0, exec_lo
	s_wait_loadcnt_dscnt 0x502
	v_dual_mul_f32 v34, v23, v6 :: v_dual_mul_f32 v39, v24, v8
	v_mul_f32_e32 v38, v22, v6
	v_mul_f32_e32 v6, v25, v8
	s_wait_loadcnt_dscnt 0x300
	v_mul_f32_e32 v40, v32, v12
	v_fma_f32 v22, v22, v5, -v34
	v_dual_fmac_f32 v39, v25, v7 :: v_dual_fmac_f32 v38, v23, v5
	v_mul_f32_e32 v25, v28, v4
	v_fma_f32 v23, v24, v7, -v6
	ds_load_b128 v[5:8], v21 offset:816
	v_mul_f32_e32 v24, v26, v2
	v_mul_f32_e32 v4, v29, v4
	;; [unrolled: 1-line block ×5, first 2 shown]
	v_dual_mul_f32 v2, v27, v2 :: v_dual_fmac_f32 v25, v29, v3
	v_fmac_f32_e32 v24, v27, v1
	v_fma_f32 v27, v28, v3, -v4
	v_fmac_f32_e32 v34, v31, v9
	v_fma_f32 v28, v30, v9, -v10
	;; [unrolled: 2-line block ×3, first 2 shown]
	ds_load_b128 v[9:12], v21 offset:832
	s_wait_loadcnt_dscnt 0x201
	v_mul_f32_e32 v30, v5, v14
	v_dual_mul_f32 v14, v6, v14 :: v_dual_mul_f32 v31, v7, v16
	v_mul_f32_e32 v16, v8, v16
	s_delay_alu instid0(VALU_DEP_3) | instskip(NEXT) | instid1(VALU_DEP_3)
	v_fmac_f32_e32 v30, v6, v13
	v_fma_f32 v13, v5, v13, -v14
	s_delay_alu instid0(VALU_DEP_4) | instskip(NEXT) | instid1(VALU_DEP_4)
	v_fmac_f32_e32 v31, v8, v15
	v_fma_f32 v14, v7, v15, -v16
	ds_load_b128 v[5:8], v21 offset:848
	s_wait_loadcnt_dscnt 0x101
	v_mul_f32_e32 v15, v9, v18
	v_mul_f32_e32 v16, v10, v18
	;; [unrolled: 1-line block ×3, first 2 shown]
	s_delay_alu instid0(VALU_DEP_3)
	v_dual_mul_f32 v20, v12, v20 :: v_dual_fmac_f32 v15, v10, v17
	v_fma_f32 v26, v26, v1, -v2
	scratch_load_b128 v[1:4], off, off offset:336
	v_fma_f32 v16, v9, v17, -v16
	v_fmac_f32_e32 v18, v12, v19
	v_fma_f32 v17, v11, v19, -v20
	scratch_load_b128 v[9:12], off, off offset:352
	s_wait_loadcnt_dscnt 0x100
	v_mul_f32_e32 v19, v5, v2
	v_mul_f32_e32 v2, v6, v2
	;; [unrolled: 1-line block ×3, first 2 shown]
	s_delay_alu instid0(VALU_DEP_3) | instskip(NEXT) | instid1(VALU_DEP_3)
	v_dual_mul_f32 v4, v8, v4 :: v_dual_fmac_f32 v19, v6, v1
	v_fma_f32 v32, v5, v1, -v2
	s_delay_alu instid0(VALU_DEP_3) | instskip(NEXT) | instid1(VALU_DEP_3)
	v_fmac_f32_e32 v20, v8, v3
	v_fma_f32 v33, v7, v3, -v4
	ds_load_b128 v[1:4], v21 offset:864
	ds_load_b128 v[5:8], v21 offset:880
	s_wait_loadcnt_dscnt 0x1
	v_mul_f32_e32 v41, v1, v10
	v_mul_f32_e32 v10, v2, v10
	s_delay_alu instid0(VALU_DEP_2) | instskip(NEXT) | instid1(VALU_DEP_2)
	v_dual_mul_f32 v42, v3, v12 :: v_dual_fmac_f32 v41, v2, v9
	v_fma_f32 v43, v1, v9, -v10
	v_mul_f32_e32 v1, v4, v12
	s_delay_alu instid0(VALU_DEP_3) | instskip(NEXT) | instid1(VALU_DEP_2)
	v_fmac_f32_e32 v42, v4, v11
	v_fma_f32 v44, v3, v11, -v1
	s_clause 0x1
	scratch_load_b128 v[1:4], off, off offset:368
	scratch_load_b128 v[9:12], off, off offset:384
	s_wait_loadcnt_dscnt 0x100
	v_mul_f32_e32 v45, v5, v2
	v_dual_mul_f32 v2, v6, v2 :: v_dual_mul_f32 v47, v7, v4
	s_delay_alu instid0(VALU_DEP_2) | instskip(NEXT) | instid1(VALU_DEP_2)
	v_fmac_f32_e32 v45, v6, v1
	v_fma_f32 v46, v5, v1, -v2
	v_mul_f32_e32 v1, v8, v4
	s_delay_alu instid0(VALU_DEP_4) | instskip(NEXT) | instid1(VALU_DEP_2)
	v_fmac_f32_e32 v47, v8, v3
	v_fma_f32 v48, v7, v3, -v1
	ds_load_b128 v[1:4], v21 offset:896
	ds_load_b128 v[5:8], v21 offset:912
	s_wait_loadcnt_dscnt 0x1
	v_mul_f32_e32 v49, v1, v10
	v_mul_f32_e32 v51, v3, v12
	s_delay_alu instid0(VALU_DEP_2) | instskip(NEXT) | instid1(VALU_DEP_2)
	v_fmac_f32_e32 v49, v2, v9
	v_dual_mul_f32 v2, v2, v10 :: v_dual_fmac_f32 v51, v4, v11
	s_delay_alu instid0(VALU_DEP_1) | instskip(SKIP_1) | instid1(VALU_DEP_1)
	v_fma_f32 v50, v1, v9, -v2
	v_mul_f32_e32 v1, v4, v12
	v_fma_f32 v52, v3, v11, -v1
	s_clause 0x1
	scratch_load_b128 v[1:4], off, off offset:400
	scratch_load_b128 v[9:12], off, off offset:416
	s_wait_loadcnt_dscnt 0x100
	v_mul_f32_e32 v53, v5, v2
	v_dual_mul_f32 v2, v6, v2 :: v_dual_mul_f32 v55, v7, v4
	s_delay_alu instid0(VALU_DEP_2) | instskip(NEXT) | instid1(VALU_DEP_2)
	v_fmac_f32_e32 v53, v6, v1
	v_fma_f32 v54, v5, v1, -v2
	v_mul_f32_e32 v1, v8, v4
	s_delay_alu instid0(VALU_DEP_4) | instskip(NEXT) | instid1(VALU_DEP_2)
	v_fmac_f32_e32 v55, v8, v3
	v_fma_f32 v56, v7, v3, -v1
	ds_load_b128 v[1:4], v21 offset:928
	ds_load_b128 v[5:8], v21 offset:944
	s_wait_loadcnt_dscnt 0x1
	v_mul_f32_e32 v57, v1, v10
	v_mul_f32_e32 v59, v3, v12
	s_delay_alu instid0(VALU_DEP_2) | instskip(NEXT) | instid1(VALU_DEP_2)
	v_fmac_f32_e32 v57, v2, v9
	v_dual_mul_f32 v2, v2, v10 :: v_dual_fmac_f32 v59, v4, v11
	s_delay_alu instid0(VALU_DEP_1) | instskip(SKIP_1) | instid1(VALU_DEP_1)
	v_fma_f32 v58, v1, v9, -v2
	v_mul_f32_e32 v1, v4, v12
	v_fma_f32 v60, v3, v11, -v1
	s_clause 0x1
	scratch_load_b128 v[1:4], off, off offset:432
	scratch_load_b128 v[9:12], off, off offset:448
	s_wait_loadcnt_dscnt 0x100
	v_mul_f32_e32 v61, v5, v2
	v_dual_mul_f32 v2, v6, v2 :: v_dual_mul_f32 v63, v7, v4
	s_delay_alu instid0(VALU_DEP_1) | instskip(NEXT) | instid1(VALU_DEP_2)
	v_fma_f32 v62, v5, v1, -v2
	v_dual_fmac_f32 v63, v8, v3 :: v_dual_add_f32 v2, 0, v38
	s_delay_alu instid0(VALU_DEP_1) | instskip(NEXT) | instid1(VALU_DEP_1)
	v_add_f32_e32 v2, v2, v39
	v_add_f32_e32 v2, v2, v24
	s_delay_alu instid0(VALU_DEP_1) | instskip(NEXT) | instid1(VALU_DEP_1)
	v_add_f32_e32 v2, v2, v25
	v_add_f32_e32 v2, v2, v34
	;; [unrolled: 3-line block ×5, first 2 shown]
	v_fmac_f32_e32 v61, v6, v1
	v_mul_f32_e32 v1, v8, v4
	s_delay_alu instid0(VALU_DEP_1) | instskip(SKIP_1) | instid1(VALU_DEP_1)
	v_fma_f32 v64, v7, v3, -v1
	v_add_f32_e32 v1, 0, v22
	v_add_f32_e32 v1, v1, v23
	s_delay_alu instid0(VALU_DEP_1) | instskip(NEXT) | instid1(VALU_DEP_1)
	v_add_f32_e32 v1, v1, v26
	v_add_f32_e32 v1, v1, v27
	s_delay_alu instid0(VALU_DEP_1) | instskip(NEXT) | instid1(VALU_DEP_1)
	;; [unrolled: 3-line block ×3, first 2 shown]
	v_add_f32_e32 v1, v1, v13
	v_add_f32_e32 v1, v1, v14
	;; [unrolled: 1-line block ×3, first 2 shown]
	s_delay_alu instid0(VALU_DEP_1) | instskip(NEXT) | instid1(VALU_DEP_1)
	v_dual_add_f32 v1, v1, v16 :: v_dual_add_f32 v14, v14, v41
	v_add_f32_e32 v6, v1, v17
	s_delay_alu instid0(VALU_DEP_2) | instskip(SKIP_3) | instid1(VALU_DEP_1)
	v_add_f32_e32 v14, v14, v42
	ds_load_b128 v[1:4], v21 offset:960
	v_add_f32_e32 v6, v6, v32
	v_add_f32_e32 v17, v14, v45
	;; [unrolled: 1-line block ×3, first 2 shown]
	s_delay_alu instid0(VALU_DEP_1) | instskip(NEXT) | instid1(VALU_DEP_1)
	v_add_f32_e32 v17, v17, v49
	v_add_f32_e32 v17, v17, v51
	s_delay_alu instid0(VALU_DEP_1)
	v_add_f32_e32 v23, v17, v53
	v_add_f32_e32 v13, v6, v33
	ds_load_b128 v[5:8], v21 offset:976
	s_wait_loadcnt_dscnt 0x1
	v_mul_f32_e32 v26, v3, v12
	v_mul_f32_e32 v12, v4, v12
	v_add_f32_e32 v30, v23, v55
	v_add_f32_e32 v13, v13, v43
	s_delay_alu instid0(VALU_DEP_4) | instskip(NEXT) | instid1(VALU_DEP_4)
	v_fmac_f32_e32 v26, v4, v11
	v_fma_f32 v28, v3, v11, -v12
	s_delay_alu instid0(VALU_DEP_3) | instskip(NEXT) | instid1(VALU_DEP_1)
	v_dual_add_f32 v30, v30, v57 :: v_dual_add_f32 v13, v13, v44
	v_dual_add_f32 v30, v30, v59 :: v_dual_add_f32 v13, v13, v46
	s_delay_alu instid0(VALU_DEP_1) | instskip(NEXT) | instid1(VALU_DEP_2)
	v_add_f32_e32 v30, v30, v61
	v_add_f32_e32 v18, v13, v48
	scratch_load_b128 v[13:16], off, off offset:496
	v_add_f32_e32 v30, v30, v63
	v_add_f32_e32 v18, v18, v50
	v_mul_f32_e32 v25, v1, v10
	v_mul_f32_e32 v10, v2, v10
	s_delay_alu instid0(VALU_DEP_3) | instskip(NEXT) | instid1(VALU_DEP_3)
	v_add_f32_e32 v18, v18, v52
	v_fmac_f32_e32 v25, v2, v9
	s_delay_alu instid0(VALU_DEP_3)
	v_fma_f32 v27, v1, v9, -v10
	s_clause 0x1
	scratch_load_b128 v[1:4], off, off offset:464
	scratch_load_b128 v[9:12], off, off offset:480
	v_add_f32_e32 v22, v18, v54
	ds_load_b128 v[17:20], v21 offset:992
	v_add_f32_e32 v29, v22, v56
	ds_load_b128 v[21:24], v21 offset:1008
	s_wait_loadcnt_dscnt 0x200
	v_mul_f32_e32 v38, v21, v14
	s_delay_alu instid0(VALU_DEP_1) | instskip(NEXT) | instid1(VALU_DEP_1)
	v_dual_add_f32 v29, v29, v58 :: v_dual_fmac_f32 v38, v22, v13
	v_add_f32_e32 v29, v29, v60
	s_wait_loadcnt 0x1
	v_dual_mul_f32 v31, v5, v2 :: v_dual_mul_f32 v32, v7, v4
	v_mul_f32_e32 v2, v6, v2
	s_delay_alu instid0(VALU_DEP_3) | instskip(SKIP_3) | instid1(VALU_DEP_3)
	v_add_f32_e32 v29, v29, v62
	s_wait_loadcnt 0x0
	v_dual_mul_f32 v33, v17, v10 :: v_dual_mul_f32 v4, v8, v4
	v_dual_fmac_f32 v32, v8, v3 :: v_dual_fmac_f32 v31, v6, v1
	v_dual_add_f32 v29, v29, v64 :: v_dual_mul_f32 v6, v18, v10
	v_dual_add_f32 v25, v30, v25 :: v_dual_mul_f32 v34, v19, v12
	v_fma_f32 v2, v5, v1, -v2
	s_delay_alu instid0(VALU_DEP_3) | instskip(SKIP_1) | instid1(VALU_DEP_4)
	v_add_f32_e32 v27, v29, v27
	v_mul_f32_e32 v29, v23, v16
	v_add_f32_e32 v5, v25, v26
	v_fma_f32 v3, v7, v3, -v4
	v_dual_mul_f32 v4, v20, v12 :: v_dual_fmac_f32 v33, v18, v9
	v_dual_add_f32 v1, v27, v28 :: v_dual_fmac_f32 v34, v20, v11
	v_fmac_f32_e32 v29, v24, v15
	s_delay_alu instid0(VALU_DEP_3) | instskip(NEXT) | instid1(VALU_DEP_3)
	v_fma_f32 v4, v19, v11, -v4
	v_add_f32_e32 v1, v1, v2
	v_add_f32_e32 v2, v5, v31
	v_fma_f32 v5, v17, v9, -v6
	s_delay_alu instid0(VALU_DEP_2) | instskip(NEXT) | instid1(VALU_DEP_1)
	v_add_f32_e32 v2, v2, v32
	v_add_f32_e32 v2, v2, v33
	s_delay_alu instid0(VALU_DEP_1) | instskip(NEXT) | instid1(VALU_DEP_1)
	v_add_f32_e32 v2, v2, v34
	v_add_f32_e32 v2, v2, v38
	s_delay_alu instid0(VALU_DEP_1) | instskip(SKIP_1) | instid1(VALU_DEP_2)
	v_dual_add_f32 v2, v2, v29 :: v_dual_add_f32 v1, v1, v3
	v_mul_f32_e32 v3, v22, v14
	v_sub_f32_e32 v2, v37, v2
	s_delay_alu instid0(VALU_DEP_3) | instskip(SKIP_1) | instid1(VALU_DEP_4)
	v_add_f32_e32 v1, v1, v5
	v_mul_f32_e32 v5, v24, v16
	v_fma_f32 v3, v21, v13, -v3
	s_delay_alu instid0(VALU_DEP_3) | instskip(NEXT) | instid1(VALU_DEP_3)
	v_add_f32_e32 v1, v1, v4
	v_fma_f32 v4, v23, v15, -v5
	s_delay_alu instid0(VALU_DEP_2) | instskip(NEXT) | instid1(VALU_DEP_1)
	v_add_f32_e32 v1, v1, v3
	v_add_f32_e32 v1, v1, v4
	s_delay_alu instid0(VALU_DEP_1)
	v_sub_f32_e32 v1, v36, v1
	scratch_store_b64 off, v[1:2], off offset:248
	v_cmpx_lt_u32_e32 30, v0
	s_cbranch_execz .LBB63_337
; %bb.336:
	scratch_load_b64 v[1:2], off, off offset:240
	v_mov_b32_e32 v3, 0
	s_delay_alu instid0(VALU_DEP_1)
	v_mov_b32_e32 v4, v3
	scratch_store_b64 off, v[3:4], off offset:240
	s_wait_loadcnt 0x0
	ds_store_b64 v35, v[1:2]
.LBB63_337:
	s_wait_alu 0xfffe
	s_or_b32 exec_lo, exec_lo, s0
	s_wait_storecnt_dscnt 0x0
	s_barrier_signal -1
	s_barrier_wait -1
	global_inv scope:SCOPE_SE
	s_clause 0x4
	scratch_load_b128 v[5:8], off, off offset:248
	scratch_load_b128 v[1:4], off, off offset:264
	;; [unrolled: 1-line block ×5, first 2 shown]
	v_mov_b32_e32 v21, 0
	ds_load_2addr_b64 v[22:25], v21 offset0:95 offset1:96
	ds_load_2addr_b64 v[26:29], v21 offset0:97 offset1:98
	;; [unrolled: 1-line block ×3, first 2 shown]
	scratch_load_b64 v[36:37], off, off offset:240
	s_mov_b32 s0, exec_lo
	s_wait_loadcnt_dscnt 0x502
	v_mul_f32_e32 v34, v23, v6
	v_dual_mul_f32 v38, v22, v6 :: v_dual_mul_f32 v39, v24, v8
	v_mul_f32_e32 v6, v25, v8
	s_wait_loadcnt_dscnt 0x300
	v_mul_f32_e32 v40, v32, v12
	v_fma_f32 v22, v22, v5, -v34
	v_dual_fmac_f32 v38, v23, v5 :: v_dual_fmac_f32 v39, v25, v7
	v_fma_f32 v23, v24, v7, -v6
	v_dual_mul_f32 v24, v26, v2 :: v_dual_mul_f32 v25, v28, v4
	v_mul_f32_e32 v2, v27, v2
	v_mul_f32_e32 v4, v29, v4
	ds_load_2addr_b64 v[5:8], v21 offset0:101 offset1:102
	v_mul_f32_e32 v34, v30, v10
	v_dual_fmac_f32 v24, v27, v1 :: v_dual_fmac_f32 v25, v29, v3
	v_fma_f32 v26, v26, v1, -v2
	v_fma_f32 v27, v28, v3, -v4
	v_mul_f32_e32 v12, v33, v12
	scratch_load_b128 v[1:4], off, off offset:328
	v_mul_f32_e32 v10, v31, v10
	v_fmac_f32_e32 v34, v31, v9
	v_fmac_f32_e32 v40, v33, v11
	v_fma_f32 v29, v32, v11, -v12
	s_delay_alu instid0(VALU_DEP_4)
	v_fma_f32 v28, v30, v9, -v10
	ds_load_2addr_b64 v[9:12], v21 offset0:103 offset1:104
	s_wait_loadcnt_dscnt 0x301
	v_mul_f32_e32 v30, v5, v14
	v_dual_mul_f32 v14, v6, v14 :: v_dual_mul_f32 v31, v7, v16
	v_mul_f32_e32 v16, v8, v16
	s_delay_alu instid0(VALU_DEP_3) | instskip(NEXT) | instid1(VALU_DEP_3)
	v_fmac_f32_e32 v30, v6, v13
	v_fma_f32 v13, v5, v13, -v14
	s_delay_alu instid0(VALU_DEP_4) | instskip(NEXT) | instid1(VALU_DEP_4)
	v_fmac_f32_e32 v31, v8, v15
	v_fma_f32 v14, v7, v15, -v16
	ds_load_2addr_b64 v[5:8], v21 offset0:105 offset1:106
	s_wait_loadcnt_dscnt 0x201
	v_mul_f32_e32 v15, v9, v18
	v_mul_f32_e32 v16, v10, v18
	;; [unrolled: 1-line block ×3, first 2 shown]
	s_delay_alu instid0(VALU_DEP_3) | instskip(NEXT) | instid1(VALU_DEP_3)
	v_dual_mul_f32 v20, v12, v20 :: v_dual_fmac_f32 v15, v10, v17
	v_fma_f32 v16, v9, v17, -v16
	s_delay_alu instid0(VALU_DEP_3) | instskip(NEXT) | instid1(VALU_DEP_3)
	v_fmac_f32_e32 v18, v12, v19
	v_fma_f32 v17, v11, v19, -v20
	scratch_load_b128 v[9:12], off, off offset:344
	s_wait_loadcnt_dscnt 0x100
	v_mul_f32_e32 v19, v5, v2
	v_mul_f32_e32 v2, v6, v2
	;; [unrolled: 1-line block ×3, first 2 shown]
	s_delay_alu instid0(VALU_DEP_3) | instskip(NEXT) | instid1(VALU_DEP_3)
	v_dual_mul_f32 v4, v8, v4 :: v_dual_fmac_f32 v19, v6, v1
	v_fma_f32 v32, v5, v1, -v2
	s_delay_alu instid0(VALU_DEP_3) | instskip(NEXT) | instid1(VALU_DEP_3)
	v_fmac_f32_e32 v20, v8, v3
	v_fma_f32 v33, v7, v3, -v4
	ds_load_2addr_b64 v[1:4], v21 offset0:107 offset1:108
	ds_load_2addr_b64 v[5:8], v21 offset0:109 offset1:110
	s_wait_loadcnt_dscnt 0x1
	v_mul_f32_e32 v41, v1, v10
	v_mul_f32_e32 v10, v2, v10
	s_delay_alu instid0(VALU_DEP_2) | instskip(NEXT) | instid1(VALU_DEP_2)
	v_dual_mul_f32 v42, v3, v12 :: v_dual_fmac_f32 v41, v2, v9
	v_fma_f32 v43, v1, v9, -v10
	v_mul_f32_e32 v1, v4, v12
	s_delay_alu instid0(VALU_DEP_3) | instskip(NEXT) | instid1(VALU_DEP_2)
	v_fmac_f32_e32 v42, v4, v11
	v_fma_f32 v44, v3, v11, -v1
	s_clause 0x1
	scratch_load_b128 v[1:4], off, off offset:360
	scratch_load_b128 v[9:12], off, off offset:376
	s_wait_loadcnt_dscnt 0x100
	v_mul_f32_e32 v45, v5, v2
	v_dual_mul_f32 v2, v6, v2 :: v_dual_mul_f32 v47, v7, v4
	s_delay_alu instid0(VALU_DEP_2) | instskip(NEXT) | instid1(VALU_DEP_2)
	v_fmac_f32_e32 v45, v6, v1
	v_fma_f32 v46, v5, v1, -v2
	v_mul_f32_e32 v1, v8, v4
	s_delay_alu instid0(VALU_DEP_4) | instskip(NEXT) | instid1(VALU_DEP_2)
	v_fmac_f32_e32 v47, v8, v3
	v_fma_f32 v48, v7, v3, -v1
	ds_load_2addr_b64 v[1:4], v21 offset0:111 offset1:112
	ds_load_2addr_b64 v[5:8], v21 offset0:113 offset1:114
	s_wait_loadcnt_dscnt 0x1
	v_mul_f32_e32 v49, v1, v10
	v_mul_f32_e32 v51, v3, v12
	s_delay_alu instid0(VALU_DEP_2) | instskip(NEXT) | instid1(VALU_DEP_2)
	v_fmac_f32_e32 v49, v2, v9
	v_dual_mul_f32 v2, v2, v10 :: v_dual_fmac_f32 v51, v4, v11
	s_delay_alu instid0(VALU_DEP_1) | instskip(SKIP_1) | instid1(VALU_DEP_1)
	v_fma_f32 v50, v1, v9, -v2
	v_mul_f32_e32 v1, v4, v12
	v_fma_f32 v52, v3, v11, -v1
	s_clause 0x1
	scratch_load_b128 v[1:4], off, off offset:392
	scratch_load_b128 v[9:12], off, off offset:408
	s_wait_loadcnt_dscnt 0x100
	v_mul_f32_e32 v53, v5, v2
	v_dual_mul_f32 v2, v6, v2 :: v_dual_mul_f32 v55, v7, v4
	s_delay_alu instid0(VALU_DEP_2) | instskip(NEXT) | instid1(VALU_DEP_2)
	v_fmac_f32_e32 v53, v6, v1
	v_fma_f32 v54, v5, v1, -v2
	v_mul_f32_e32 v1, v8, v4
	s_delay_alu instid0(VALU_DEP_4) | instskip(NEXT) | instid1(VALU_DEP_2)
	v_fmac_f32_e32 v55, v8, v3
	v_fma_f32 v56, v7, v3, -v1
	ds_load_2addr_b64 v[1:4], v21 offset0:115 offset1:116
	ds_load_2addr_b64 v[5:8], v21 offset0:117 offset1:118
	s_wait_loadcnt_dscnt 0x1
	v_mul_f32_e32 v57, v1, v10
	v_mul_f32_e32 v59, v3, v12
	s_delay_alu instid0(VALU_DEP_2) | instskip(NEXT) | instid1(VALU_DEP_2)
	v_fmac_f32_e32 v57, v2, v9
	v_dual_mul_f32 v2, v2, v10 :: v_dual_fmac_f32 v59, v4, v11
	s_delay_alu instid0(VALU_DEP_1) | instskip(SKIP_1) | instid1(VALU_DEP_1)
	v_fma_f32 v58, v1, v9, -v2
	v_mul_f32_e32 v1, v4, v12
	v_fma_f32 v60, v3, v11, -v1
	s_clause 0x1
	scratch_load_b128 v[1:4], off, off offset:424
	scratch_load_b128 v[9:12], off, off offset:440
	s_wait_loadcnt_dscnt 0x100
	v_mul_f32_e32 v61, v5, v2
	v_dual_mul_f32 v2, v6, v2 :: v_dual_mul_f32 v63, v7, v4
	s_delay_alu instid0(VALU_DEP_1) | instskip(SKIP_1) | instid1(VALU_DEP_1)
	v_fma_f32 v62, v5, v1, -v2
	v_add_f32_e32 v2, 0, v38
	v_add_f32_e32 v2, v2, v39
	s_delay_alu instid0(VALU_DEP_1) | instskip(NEXT) | instid1(VALU_DEP_1)
	v_dual_fmac_f32 v63, v8, v3 :: v_dual_add_f32 v2, v2, v24
	v_add_f32_e32 v2, v2, v25
	s_delay_alu instid0(VALU_DEP_1) | instskip(NEXT) | instid1(VALU_DEP_1)
	v_add_f32_e32 v2, v2, v34
	v_add_f32_e32 v2, v2, v40
	s_delay_alu instid0(VALU_DEP_1) | instskip(NEXT) | instid1(VALU_DEP_1)
	v_add_f32_e32 v2, v2, v30
	;; [unrolled: 3-line block ×3, first 2 shown]
	v_add_f32_e32 v5, v5, v18
	s_delay_alu instid0(VALU_DEP_1) | instskip(SKIP_2) | instid1(VALU_DEP_1)
	v_add_f32_e32 v5, v5, v19
	v_fmac_f32_e32 v61, v6, v1
	v_mul_f32_e32 v1, v8, v4
	v_fma_f32 v64, v7, v3, -v1
	v_add_f32_e32 v1, 0, v22
	s_delay_alu instid0(VALU_DEP_1) | instskip(NEXT) | instid1(VALU_DEP_1)
	v_add_f32_e32 v1, v1, v23
	v_add_f32_e32 v1, v1, v26
	s_delay_alu instid0(VALU_DEP_1) | instskip(SKIP_2) | instid1(VALU_DEP_1)
	v_add_f32_e32 v1, v1, v27
	scratch_load_b64 v[26:27], off, off offset:504
	v_add_f32_e32 v1, v1, v28
	v_add_f32_e32 v1, v1, v29
	s_delay_alu instid0(VALU_DEP_1) | instskip(NEXT) | instid1(VALU_DEP_1)
	v_add_f32_e32 v1, v1, v13
	v_add_f32_e32 v1, v1, v14
	;; [unrolled: 1-line block ×3, first 2 shown]
	s_delay_alu instid0(VALU_DEP_1) | instskip(NEXT) | instid1(VALU_DEP_1)
	v_dual_add_f32 v1, v1, v16 :: v_dual_add_f32 v14, v14, v41
	v_add_f32_e32 v6, v1, v17
	ds_load_2addr_b64 v[1:4], v21 offset0:119 offset1:120
	v_add_f32_e32 v14, v14, v42
	v_add_f32_e32 v6, v6, v32
	s_delay_alu instid0(VALU_DEP_1) | instskip(SKIP_4) | instid1(VALU_DEP_1)
	v_add_f32_e32 v13, v6, v33
	ds_load_2addr_b64 v[5:8], v21 offset0:121 offset1:122
	s_wait_loadcnt_dscnt 0x101
	v_mul_f32_e32 v30, v1, v10
	v_dual_add_f32 v13, v13, v43 :: v_dual_mul_f32 v10, v2, v10
	v_dual_fmac_f32 v30, v2, v9 :: v_dual_add_f32 v13, v13, v44
	s_delay_alu instid0(VALU_DEP_2) | instskip(NEXT) | instid1(VALU_DEP_2)
	v_fma_f32 v32, v1, v9, -v10
	v_add_f32_e32 v13, v13, v46
	s_delay_alu instid0(VALU_DEP_1) | instskip(SKIP_2) | instid1(VALU_DEP_1)
	v_dual_add_f32 v17, v14, v45 :: v_dual_add_f32 v18, v13, v48
	scratch_load_b128 v[13:16], off, off offset:488
	v_add_f32_e32 v18, v18, v50
	v_add_f32_e32 v18, v18, v52
	v_mul_f32_e32 v31, v3, v12
	v_mul_f32_e32 v12, v4, v12
	s_delay_alu instid0(VALU_DEP_2) | instskip(NEXT) | instid1(VALU_DEP_2)
	v_dual_add_f32 v18, v18, v54 :: v_dual_fmac_f32 v31, v4, v11
	v_fma_f32 v33, v3, v11, -v12
	s_clause 0x1
	scratch_load_b128 v[1:4], off, off offset:456
	scratch_load_b128 v[9:12], off, off offset:472
	v_add_f32_e32 v18, v18, v56
	s_delay_alu instid0(VALU_DEP_1) | instskip(NEXT) | instid1(VALU_DEP_1)
	v_add_f32_e32 v28, v18, v58
	v_dual_add_f32 v34, v28, v60 :: v_dual_add_f32 v17, v17, v47
	s_delay_alu instid0(VALU_DEP_1) | instskip(NEXT) | instid1(VALU_DEP_1)
	v_dual_add_f32 v34, v34, v62 :: v_dual_add_f32 v17, v17, v49
	v_dual_add_f32 v34, v34, v64 :: v_dual_add_f32 v17, v17, v51
	s_delay_alu instid0(VALU_DEP_1) | instskip(SKIP_3) | instid1(VALU_DEP_3)
	v_add_f32_e32 v17, v17, v53
	s_wait_loadcnt_dscnt 0x100
	v_mul_f32_e32 v39, v5, v2
	v_mul_f32_e32 v2, v6, v2
	v_add_f32_e32 v22, v17, v55
	ds_load_2addr_b64 v[17:20], v21 offset0:123 offset1:124
	v_mul_f32_e32 v40, v7, v4
	v_fma_f32 v2, v5, v1, -v2
	v_add_f32_e32 v29, v22, v57
	ds_load_2addr_b64 v[22:25], v21 offset0:125 offset1:126
	v_fmac_f32_e32 v40, v8, v3
	v_add_f32_e32 v38, v29, v59
	ds_load_b64 v[28:29], v21 offset:1016
	v_add_f32_e32 v32, v34, v32
	s_wait_loadcnt_dscnt 0x2
	v_dual_mul_f32 v34, v17, v10 :: v_dual_mul_f32 v5, v20, v12
	s_wait_dscnt 0x1
	v_mul_f32_e32 v41, v22, v14
	v_add_f32_e32 v38, v38, v61
	s_delay_alu instid0(VALU_DEP_3) | instskip(SKIP_1) | instid1(VALU_DEP_3)
	v_fma_f32 v5, v19, v11, -v5
	v_fmac_f32_e32 v34, v18, v9
	v_dual_fmac_f32 v41, v23, v13 :: v_dual_add_f32 v38, v38, v63
	v_dual_mul_f32 v4, v8, v4 :: v_dual_fmac_f32 v39, v6, v1
	s_delay_alu instid0(VALU_DEP_1) | instskip(SKIP_1) | instid1(VALU_DEP_1)
	v_fma_f32 v1, v7, v3, -v4
	v_mul_f32_e32 v3, v18, v10
	v_fma_f32 v3, v17, v9, -v3
	v_add_f32_e32 v30, v38, v30
	s_delay_alu instid0(VALU_DEP_1) | instskip(SKIP_3) | instid1(VALU_DEP_3)
	v_add_f32_e32 v30, v30, v31
	s_wait_dscnt 0x0
	v_mul_f32_e32 v31, v28, v27
	v_add_f32_e32 v32, v32, v33
	v_dual_mul_f32 v33, v24, v16 :: v_dual_add_f32 v4, v30, v39
	s_delay_alu instid0(VALU_DEP_3) | instskip(NEXT) | instid1(VALU_DEP_3)
	v_fmac_f32_e32 v31, v29, v26
	v_add_f32_e32 v2, v32, v2
	s_delay_alu instid0(VALU_DEP_3) | instskip(NEXT) | instid1(VALU_DEP_2)
	v_dual_mul_f32 v38, v19, v12 :: v_dual_fmac_f32 v33, v25, v15
	v_dual_add_f32 v1, v2, v1 :: v_dual_add_f32 v2, v4, v40
	s_delay_alu instid0(VALU_DEP_1) | instskip(SKIP_1) | instid1(VALU_DEP_2)
	v_add_f32_e32 v1, v1, v3
	v_mul_f32_e32 v3, v25, v16
	v_add_f32_e32 v1, v1, v5
	s_delay_alu instid0(VALU_DEP_2) | instskip(SKIP_1) | instid1(VALU_DEP_1)
	v_fma_f32 v3, v24, v15, -v3
	v_dual_mul_f32 v4, v23, v14 :: v_dual_mul_f32 v5, v29, v27
	v_fma_f32 v4, v22, v13, -v4
	s_delay_alu instid0(VALU_DEP_1) | instskip(NEXT) | instid1(VALU_DEP_3)
	v_dual_fmac_f32 v38, v20, v11 :: v_dual_add_f32 v1, v1, v4
	v_fma_f32 v4, v28, v26, -v5
	s_delay_alu instid0(VALU_DEP_2) | instskip(NEXT) | instid1(VALU_DEP_1)
	v_dual_add_f32 v1, v1, v3 :: v_dual_add_f32 v2, v2, v34
	v_dual_add_f32 v1, v1, v4 :: v_dual_add_f32 v2, v2, v38
	s_delay_alu instid0(VALU_DEP_1) | instskip(NEXT) | instid1(VALU_DEP_2)
	v_sub_f32_e32 v1, v36, v1
	v_add_f32_e32 v2, v2, v41
	s_delay_alu instid0(VALU_DEP_1) | instskip(NEXT) | instid1(VALU_DEP_1)
	v_add_f32_e32 v2, v2, v33
	v_add_f32_e32 v2, v2, v31
	s_delay_alu instid0(VALU_DEP_1)
	v_sub_f32_e32 v2, v37, v2
	scratch_store_b64 off, v[1:2], off offset:240
	v_cmpx_lt_u32_e32 29, v0
	s_cbranch_execz .LBB63_339
; %bb.338:
	scratch_load_b64 v[1:2], off, off offset:232
	v_mov_b32_e32 v22, v21
	scratch_store_b64 off, v[21:22], off offset:232
	s_wait_loadcnt 0x0
	ds_store_b64 v35, v[1:2]
.LBB63_339:
	s_wait_alu 0xfffe
	s_or_b32 exec_lo, exec_lo, s0
	s_wait_storecnt_dscnt 0x0
	s_barrier_signal -1
	s_barrier_wait -1
	global_inv scope:SCOPE_SE
	s_clause 0x4
	scratch_load_b128 v[5:8], off, off offset:240
	scratch_load_b128 v[1:4], off, off offset:256
	;; [unrolled: 1-line block ×5, first 2 shown]
	ds_load_b128 v[22:25], v21 offset:752
	ds_load_b128 v[26:29], v21 offset:768
	ds_load_b128 v[30:33], v21 offset:784
	scratch_load_b64 v[36:37], off, off offset:232
	s_mov_b32 s0, exec_lo
	s_wait_loadcnt_dscnt 0x502
	v_dual_mul_f32 v34, v23, v6 :: v_dual_mul_f32 v39, v24, v8
	v_mul_f32_e32 v38, v22, v6
	v_mul_f32_e32 v6, v25, v8
	s_wait_loadcnt_dscnt 0x300
	v_mul_f32_e32 v40, v32, v12
	v_fma_f32 v22, v22, v5, -v34
	v_dual_fmac_f32 v39, v25, v7 :: v_dual_fmac_f32 v38, v23, v5
	v_mul_f32_e32 v25, v28, v4
	v_fma_f32 v23, v24, v7, -v6
	ds_load_b128 v[5:8], v21 offset:800
	v_mul_f32_e32 v24, v26, v2
	v_mul_f32_e32 v4, v29, v4
	;; [unrolled: 1-line block ×5, first 2 shown]
	v_dual_mul_f32 v2, v27, v2 :: v_dual_fmac_f32 v25, v29, v3
	v_fmac_f32_e32 v24, v27, v1
	v_fma_f32 v27, v28, v3, -v4
	v_fmac_f32_e32 v34, v31, v9
	v_fma_f32 v28, v30, v9, -v10
	;; [unrolled: 2-line block ×3, first 2 shown]
	ds_load_b128 v[9:12], v21 offset:816
	s_wait_loadcnt_dscnt 0x201
	v_mul_f32_e32 v30, v5, v14
	v_dual_mul_f32 v14, v6, v14 :: v_dual_mul_f32 v31, v7, v16
	v_mul_f32_e32 v16, v8, v16
	s_delay_alu instid0(VALU_DEP_3) | instskip(NEXT) | instid1(VALU_DEP_3)
	v_fmac_f32_e32 v30, v6, v13
	v_fma_f32 v13, v5, v13, -v14
	s_delay_alu instid0(VALU_DEP_4) | instskip(NEXT) | instid1(VALU_DEP_4)
	v_fmac_f32_e32 v31, v8, v15
	v_fma_f32 v14, v7, v15, -v16
	ds_load_b128 v[5:8], v21 offset:832
	s_wait_loadcnt_dscnt 0x101
	v_mul_f32_e32 v15, v9, v18
	v_mul_f32_e32 v16, v10, v18
	;; [unrolled: 1-line block ×3, first 2 shown]
	s_delay_alu instid0(VALU_DEP_3)
	v_dual_mul_f32 v20, v12, v20 :: v_dual_fmac_f32 v15, v10, v17
	v_fma_f32 v26, v26, v1, -v2
	scratch_load_b128 v[1:4], off, off offset:320
	v_fma_f32 v16, v9, v17, -v16
	v_fmac_f32_e32 v18, v12, v19
	v_fma_f32 v17, v11, v19, -v20
	scratch_load_b128 v[9:12], off, off offset:336
	s_wait_loadcnt_dscnt 0x100
	v_mul_f32_e32 v19, v5, v2
	v_mul_f32_e32 v2, v6, v2
	;; [unrolled: 1-line block ×3, first 2 shown]
	s_delay_alu instid0(VALU_DEP_3) | instskip(NEXT) | instid1(VALU_DEP_3)
	v_dual_mul_f32 v4, v8, v4 :: v_dual_fmac_f32 v19, v6, v1
	v_fma_f32 v32, v5, v1, -v2
	s_delay_alu instid0(VALU_DEP_3) | instskip(NEXT) | instid1(VALU_DEP_3)
	v_fmac_f32_e32 v20, v8, v3
	v_fma_f32 v33, v7, v3, -v4
	ds_load_b128 v[1:4], v21 offset:848
	ds_load_b128 v[5:8], v21 offset:864
	s_wait_loadcnt_dscnt 0x1
	v_mul_f32_e32 v41, v1, v10
	v_mul_f32_e32 v10, v2, v10
	s_delay_alu instid0(VALU_DEP_2) | instskip(NEXT) | instid1(VALU_DEP_2)
	v_dual_mul_f32 v42, v3, v12 :: v_dual_fmac_f32 v41, v2, v9
	v_fma_f32 v43, v1, v9, -v10
	v_mul_f32_e32 v1, v4, v12
	s_delay_alu instid0(VALU_DEP_3) | instskip(NEXT) | instid1(VALU_DEP_2)
	v_fmac_f32_e32 v42, v4, v11
	v_fma_f32 v44, v3, v11, -v1
	s_clause 0x1
	scratch_load_b128 v[1:4], off, off offset:352
	scratch_load_b128 v[9:12], off, off offset:368
	s_wait_loadcnt_dscnt 0x100
	v_mul_f32_e32 v45, v5, v2
	v_dual_mul_f32 v2, v6, v2 :: v_dual_mul_f32 v47, v7, v4
	s_delay_alu instid0(VALU_DEP_2) | instskip(NEXT) | instid1(VALU_DEP_2)
	v_fmac_f32_e32 v45, v6, v1
	v_fma_f32 v46, v5, v1, -v2
	v_mul_f32_e32 v1, v8, v4
	s_delay_alu instid0(VALU_DEP_4) | instskip(NEXT) | instid1(VALU_DEP_2)
	v_fmac_f32_e32 v47, v8, v3
	v_fma_f32 v48, v7, v3, -v1
	ds_load_b128 v[1:4], v21 offset:880
	ds_load_b128 v[5:8], v21 offset:896
	s_wait_loadcnt_dscnt 0x1
	v_mul_f32_e32 v49, v1, v10
	v_mul_f32_e32 v51, v3, v12
	s_delay_alu instid0(VALU_DEP_2) | instskip(NEXT) | instid1(VALU_DEP_2)
	v_fmac_f32_e32 v49, v2, v9
	v_dual_mul_f32 v2, v2, v10 :: v_dual_fmac_f32 v51, v4, v11
	s_delay_alu instid0(VALU_DEP_1) | instskip(SKIP_1) | instid1(VALU_DEP_1)
	v_fma_f32 v50, v1, v9, -v2
	v_mul_f32_e32 v1, v4, v12
	v_fma_f32 v52, v3, v11, -v1
	s_clause 0x1
	scratch_load_b128 v[1:4], off, off offset:384
	scratch_load_b128 v[9:12], off, off offset:400
	s_wait_loadcnt_dscnt 0x100
	v_mul_f32_e32 v53, v5, v2
	v_dual_mul_f32 v2, v6, v2 :: v_dual_mul_f32 v55, v7, v4
	s_delay_alu instid0(VALU_DEP_2) | instskip(NEXT) | instid1(VALU_DEP_2)
	v_fmac_f32_e32 v53, v6, v1
	v_fma_f32 v54, v5, v1, -v2
	v_mul_f32_e32 v1, v8, v4
	s_delay_alu instid0(VALU_DEP_4) | instskip(NEXT) | instid1(VALU_DEP_2)
	v_fmac_f32_e32 v55, v8, v3
	v_fma_f32 v56, v7, v3, -v1
	ds_load_b128 v[1:4], v21 offset:912
	ds_load_b128 v[5:8], v21 offset:928
	s_wait_loadcnt_dscnt 0x1
	v_mul_f32_e32 v57, v1, v10
	v_mul_f32_e32 v59, v3, v12
	s_delay_alu instid0(VALU_DEP_2) | instskip(NEXT) | instid1(VALU_DEP_2)
	v_fmac_f32_e32 v57, v2, v9
	v_dual_mul_f32 v2, v2, v10 :: v_dual_fmac_f32 v59, v4, v11
	s_delay_alu instid0(VALU_DEP_1) | instskip(SKIP_1) | instid1(VALU_DEP_1)
	v_fma_f32 v58, v1, v9, -v2
	v_mul_f32_e32 v1, v4, v12
	v_fma_f32 v60, v3, v11, -v1
	s_clause 0x1
	scratch_load_b128 v[1:4], off, off offset:416
	scratch_load_b128 v[9:12], off, off offset:432
	s_wait_loadcnt_dscnt 0x100
	v_mul_f32_e32 v61, v5, v2
	v_dual_mul_f32 v2, v6, v2 :: v_dual_mul_f32 v63, v7, v4
	s_delay_alu instid0(VALU_DEP_1) | instskip(NEXT) | instid1(VALU_DEP_2)
	v_fma_f32 v62, v5, v1, -v2
	v_dual_fmac_f32 v63, v8, v3 :: v_dual_add_f32 v2, 0, v38
	s_delay_alu instid0(VALU_DEP_1) | instskip(SKIP_1) | instid1(VALU_DEP_2)
	v_add_f32_e32 v2, v2, v39
	v_fmac_f32_e32 v61, v6, v1
	v_add_f32_e32 v2, v2, v24
	s_delay_alu instid0(VALU_DEP_1) | instskip(NEXT) | instid1(VALU_DEP_1)
	v_dual_mul_f32 v1, v8, v4 :: v_dual_add_f32 v2, v2, v25
	v_fma_f32 v64, v7, v3, -v1
	s_delay_alu instid0(VALU_DEP_2) | instskip(NEXT) | instid1(VALU_DEP_1)
	v_add_f32_e32 v2, v2, v34
	v_dual_add_f32 v1, 0, v22 :: v_dual_add_f32 v2, v2, v40
	s_delay_alu instid0(VALU_DEP_1) | instskip(NEXT) | instid1(VALU_DEP_1)
	v_dual_add_f32 v1, v1, v23 :: v_dual_add_f32 v2, v2, v30
	v_dual_add_f32 v1, v1, v26 :: v_dual_add_f32 v2, v2, v31
	s_delay_alu instid0(VALU_DEP_1) | instskip(NEXT) | instid1(VALU_DEP_1)
	v_add_f32_e32 v1, v1, v27
	v_dual_add_f32 v2, v2, v15 :: v_dual_add_f32 v1, v1, v28
	s_delay_alu instid0(VALU_DEP_1) | instskip(NEXT) | instid1(VALU_DEP_2)
	v_add_f32_e32 v5, v2, v18
	v_add_f32_e32 v1, v1, v29
	s_delay_alu instid0(VALU_DEP_1) | instskip(NEXT) | instid1(VALU_DEP_3)
	v_add_f32_e32 v1, v1, v13
	v_add_f32_e32 v13, v5, v19
	s_delay_alu instid0(VALU_DEP_2) | instskip(NEXT) | instid1(VALU_DEP_1)
	v_add_f32_e32 v1, v1, v14
	v_add_f32_e32 v1, v1, v16
	s_delay_alu instid0(VALU_DEP_1) | instskip(NEXT) | instid1(VALU_DEP_1)
	v_add_f32_e32 v1, v1, v17
	v_add_f32_e32 v6, v1, v32
	ds_load_b128 v[1:4], v21 offset:944
	v_dual_add_f32 v13, v13, v20 :: v_dual_add_f32 v14, v6, v33
	scratch_load_b128 v[5:8], off, off offset:448
	v_dual_add_f32 v13, v13, v41 :: v_dual_add_f32 v14, v14, v43
	s_delay_alu instid0(VALU_DEP_1) | instskip(SKIP_4) | instid1(VALU_DEP_2)
	v_dual_add_f32 v18, v13, v42 :: v_dual_add_f32 v17, v14, v44
	ds_load_b128 v[13:16], v21 offset:960
	v_add_f32_e32 v18, v18, v45
	s_wait_loadcnt_dscnt 0x101
	v_mul_f32_e32 v26, v3, v12
	v_dual_add_f32 v18, v18, v47 :: v_dual_add_f32 v17, v17, v46
	v_mul_f32_e32 v12, v4, v12
	s_delay_alu instid0(VALU_DEP_3) | instskip(NEXT) | instid1(VALU_DEP_3)
	v_fmac_f32_e32 v26, v4, v11
	v_dual_add_f32 v22, v18, v49 :: v_dual_mul_f32 v25, v1, v10
	v_mul_f32_e32 v10, v2, v10
	s_delay_alu instid0(VALU_DEP_4) | instskip(NEXT) | instid1(VALU_DEP_3)
	v_fma_f32 v28, v3, v11, -v12
	v_add_f32_e32 v22, v22, v51
	s_delay_alu instid0(VALU_DEP_4) | instskip(NEXT) | instid1(VALU_DEP_4)
	v_fmac_f32_e32 v25, v2, v9
	v_fma_f32 v27, v1, v9, -v10
	s_clause 0x1
	scratch_load_b128 v[9:12], off, off offset:480
	scratch_load_b128 v[1:4], off, off offset:464
	v_dual_add_f32 v17, v17, v48 :: v_dual_add_f32 v22, v22, v53
	s_wait_loadcnt_dscnt 0x200
	v_mul_f32_e32 v29, v13, v6
	v_mul_f32_e32 v6, v14, v6
	s_delay_alu instid0(VALU_DEP_3) | instskip(SKIP_1) | instid1(VALU_DEP_3)
	v_dual_add_f32 v17, v17, v50 :: v_dual_mul_f32 v30, v15, v8
	v_mul_f32_e32 v8, v16, v8
	v_fma_f32 v31, v13, v5, -v6
	s_delay_alu instid0(VALU_DEP_3) | instskip(SKIP_3) | instid1(VALU_DEP_1)
	v_dual_add_f32 v23, v17, v52 :: v_dual_fmac_f32 v30, v16, v7
	scratch_load_b128 v[17:20], off, off offset:496
	v_fma_f32 v32, v15, v7, -v8
	v_add_f32_e32 v23, v23, v54
	v_add_f32_e32 v23, v23, v56
	s_delay_alu instid0(VALU_DEP_1) | instskip(NEXT) | instid1(VALU_DEP_1)
	v_dual_add_f32 v13, v22, v55 :: v_dual_add_f32 v22, v23, v58
	v_add_f32_e32 v23, v13, v57
	s_delay_alu instid0(VALU_DEP_1)
	v_dual_add_f32 v34, v23, v59 :: v_dual_fmac_f32 v29, v14, v5
	ds_load_b128 v[5:8], v21 offset:976
	ds_load_b128 v[13:16], v21 offset:992
	v_add_f32_e32 v33, v22, v60
	v_add_f32_e32 v34, v34, v61
	ds_load_b128 v[21:24], v21 offset:1008
	v_add_f32_e32 v34, v34, v63
	s_delay_alu instid0(VALU_DEP_1) | instskip(NEXT) | instid1(VALU_DEP_1)
	v_add_f32_e32 v25, v34, v25
	v_add_f32_e32 v25, v25, v26
	s_wait_loadcnt_dscnt 0x102
	v_mul_f32_e32 v38, v5, v2
	s_wait_dscnt 0x1
	v_mul_f32_e32 v34, v13, v10
	v_add_f32_e32 v33, v33, v62
	v_dual_mul_f32 v2, v6, v2 :: v_dual_mul_f32 v39, v15, v12
	v_fmac_f32_e32 v38, v6, v1
	s_delay_alu instid0(VALU_DEP_3) | instskip(NEXT) | instid1(VALU_DEP_3)
	v_dual_mul_f32 v6, v14, v10 :: v_dual_add_f32 v33, v33, v64
	v_fma_f32 v2, v5, v1, -v2
	s_delay_alu instid0(VALU_DEP_4) | instskip(NEXT) | instid1(VALU_DEP_3)
	v_dual_fmac_f32 v39, v16, v11 :: v_dual_fmac_f32 v34, v14, v9
	v_add_f32_e32 v27, v33, v27
	v_mul_f32_e32 v33, v7, v4
	v_mul_f32_e32 v4, v8, v4
	s_delay_alu instid0(VALU_DEP_2) | instskip(NEXT) | instid1(VALU_DEP_2)
	v_fmac_f32_e32 v33, v8, v3
	v_fma_f32 v3, v7, v3, -v4
	v_dual_mul_f32 v4, v16, v12 :: v_dual_add_f32 v25, v25, v29
	s_delay_alu instid0(VALU_DEP_1) | instskip(SKIP_2) | instid1(VALU_DEP_1)
	v_fma_f32 v4, v15, v11, -v4
	s_wait_loadcnt_dscnt 0x0
	v_mul_f32_e32 v26, v21, v18
	v_dual_add_f32 v5, v25, v30 :: v_dual_fmac_f32 v26, v22, v17
	v_add_f32_e32 v27, v27, v28
	v_mul_f32_e32 v28, v23, v20
	s_delay_alu instid0(VALU_DEP_2) | instskip(NEXT) | instid1(VALU_DEP_1)
	v_add_f32_e32 v27, v27, v31
	v_dual_fmac_f32 v28, v24, v19 :: v_dual_add_f32 v1, v27, v32
	s_delay_alu instid0(VALU_DEP_1) | instskip(SKIP_2) | instid1(VALU_DEP_2)
	v_add_f32_e32 v1, v1, v2
	v_add_f32_e32 v2, v5, v38
	v_fma_f32 v5, v13, v9, -v6
	v_add_f32_e32 v2, v2, v33
	s_delay_alu instid0(VALU_DEP_1) | instskip(NEXT) | instid1(VALU_DEP_1)
	v_add_f32_e32 v2, v2, v34
	v_add_f32_e32 v2, v2, v39
	s_delay_alu instid0(VALU_DEP_1) | instskip(SKIP_1) | instid1(VALU_DEP_2)
	v_dual_add_f32 v2, v2, v26 :: v_dual_add_f32 v1, v1, v3
	v_mul_f32_e32 v3, v22, v18
	v_dual_add_f32 v2, v2, v28 :: v_dual_add_f32 v1, v1, v5
	v_mul_f32_e32 v5, v24, v20
	s_delay_alu instid0(VALU_DEP_3) | instskip(NEXT) | instid1(VALU_DEP_3)
	v_fma_f32 v3, v21, v17, -v3
	v_sub_f32_e32 v2, v37, v2
	s_delay_alu instid0(VALU_DEP_4) | instskip(NEXT) | instid1(VALU_DEP_4)
	v_add_f32_e32 v1, v1, v4
	v_fma_f32 v4, v23, v19, -v5
	s_delay_alu instid0(VALU_DEP_2) | instskip(NEXT) | instid1(VALU_DEP_1)
	v_add_f32_e32 v1, v1, v3
	v_add_f32_e32 v1, v1, v4
	s_delay_alu instid0(VALU_DEP_1)
	v_sub_f32_e32 v1, v36, v1
	scratch_store_b64 off, v[1:2], off offset:232
	v_cmpx_lt_u32_e32 28, v0
	s_cbranch_execz .LBB63_341
; %bb.340:
	scratch_load_b64 v[1:2], off, off offset:224
	v_mov_b32_e32 v3, 0
	s_delay_alu instid0(VALU_DEP_1)
	v_mov_b32_e32 v4, v3
	scratch_store_b64 off, v[3:4], off offset:224
	s_wait_loadcnt 0x0
	ds_store_b64 v35, v[1:2]
.LBB63_341:
	s_wait_alu 0xfffe
	s_or_b32 exec_lo, exec_lo, s0
	s_wait_storecnt_dscnt 0x0
	s_barrier_signal -1
	s_barrier_wait -1
	global_inv scope:SCOPE_SE
	s_clause 0x4
	scratch_load_b128 v[5:8], off, off offset:232
	scratch_load_b128 v[1:4], off, off offset:248
	;; [unrolled: 1-line block ×5, first 2 shown]
	v_mov_b32_e32 v21, 0
	ds_load_2addr_b64 v[22:25], v21 offset0:93 offset1:94
	ds_load_2addr_b64 v[26:29], v21 offset0:95 offset1:96
	;; [unrolled: 1-line block ×3, first 2 shown]
	scratch_load_b64 v[36:37], off, off offset:224
	s_mov_b32 s0, exec_lo
	s_wait_loadcnt_dscnt 0x502
	v_mul_f32_e32 v34, v23, v6
	v_dual_mul_f32 v38, v22, v6 :: v_dual_mul_f32 v39, v24, v8
	v_mul_f32_e32 v6, v25, v8
	s_wait_loadcnt_dscnt 0x300
	v_mul_f32_e32 v40, v32, v12
	v_fma_f32 v22, v22, v5, -v34
	v_dual_fmac_f32 v38, v23, v5 :: v_dual_fmac_f32 v39, v25, v7
	v_fma_f32 v23, v24, v7, -v6
	v_dual_mul_f32 v24, v26, v2 :: v_dual_mul_f32 v25, v28, v4
	v_mul_f32_e32 v2, v27, v2
	v_mul_f32_e32 v4, v29, v4
	ds_load_2addr_b64 v[5:8], v21 offset0:99 offset1:100
	v_mul_f32_e32 v34, v30, v10
	v_dual_fmac_f32 v24, v27, v1 :: v_dual_fmac_f32 v25, v29, v3
	v_fma_f32 v26, v26, v1, -v2
	v_fma_f32 v27, v28, v3, -v4
	v_mul_f32_e32 v12, v33, v12
	scratch_load_b128 v[1:4], off, off offset:312
	v_mul_f32_e32 v10, v31, v10
	v_fmac_f32_e32 v34, v31, v9
	v_fmac_f32_e32 v40, v33, v11
	v_fma_f32 v29, v32, v11, -v12
	s_delay_alu instid0(VALU_DEP_4)
	v_fma_f32 v28, v30, v9, -v10
	ds_load_2addr_b64 v[9:12], v21 offset0:101 offset1:102
	s_wait_loadcnt_dscnt 0x301
	v_mul_f32_e32 v30, v5, v14
	v_dual_mul_f32 v14, v6, v14 :: v_dual_mul_f32 v31, v7, v16
	v_mul_f32_e32 v16, v8, v16
	s_delay_alu instid0(VALU_DEP_3) | instskip(NEXT) | instid1(VALU_DEP_3)
	v_fmac_f32_e32 v30, v6, v13
	v_fma_f32 v13, v5, v13, -v14
	s_delay_alu instid0(VALU_DEP_4) | instskip(NEXT) | instid1(VALU_DEP_4)
	v_fmac_f32_e32 v31, v8, v15
	v_fma_f32 v14, v7, v15, -v16
	ds_load_2addr_b64 v[5:8], v21 offset0:103 offset1:104
	s_wait_loadcnt_dscnt 0x201
	v_mul_f32_e32 v15, v9, v18
	v_mul_f32_e32 v16, v10, v18
	;; [unrolled: 1-line block ×3, first 2 shown]
	s_delay_alu instid0(VALU_DEP_3) | instskip(NEXT) | instid1(VALU_DEP_3)
	v_dual_mul_f32 v20, v12, v20 :: v_dual_fmac_f32 v15, v10, v17
	v_fma_f32 v16, v9, v17, -v16
	s_delay_alu instid0(VALU_DEP_3) | instskip(NEXT) | instid1(VALU_DEP_3)
	v_fmac_f32_e32 v18, v12, v19
	v_fma_f32 v17, v11, v19, -v20
	scratch_load_b128 v[9:12], off, off offset:328
	s_wait_loadcnt_dscnt 0x100
	v_mul_f32_e32 v19, v5, v2
	v_mul_f32_e32 v2, v6, v2
	;; [unrolled: 1-line block ×3, first 2 shown]
	s_delay_alu instid0(VALU_DEP_3) | instskip(NEXT) | instid1(VALU_DEP_3)
	v_dual_mul_f32 v4, v8, v4 :: v_dual_fmac_f32 v19, v6, v1
	v_fma_f32 v32, v5, v1, -v2
	s_delay_alu instid0(VALU_DEP_3) | instskip(NEXT) | instid1(VALU_DEP_3)
	v_fmac_f32_e32 v20, v8, v3
	v_fma_f32 v33, v7, v3, -v4
	ds_load_2addr_b64 v[1:4], v21 offset0:105 offset1:106
	ds_load_2addr_b64 v[5:8], v21 offset0:107 offset1:108
	s_wait_loadcnt_dscnt 0x1
	v_mul_f32_e32 v41, v1, v10
	v_mul_f32_e32 v10, v2, v10
	s_delay_alu instid0(VALU_DEP_2) | instskip(NEXT) | instid1(VALU_DEP_2)
	v_dual_mul_f32 v42, v3, v12 :: v_dual_fmac_f32 v41, v2, v9
	v_fma_f32 v43, v1, v9, -v10
	v_mul_f32_e32 v1, v4, v12
	s_delay_alu instid0(VALU_DEP_3) | instskip(NEXT) | instid1(VALU_DEP_2)
	v_fmac_f32_e32 v42, v4, v11
	v_fma_f32 v44, v3, v11, -v1
	s_clause 0x1
	scratch_load_b128 v[1:4], off, off offset:344
	scratch_load_b128 v[9:12], off, off offset:360
	s_wait_loadcnt_dscnt 0x100
	v_mul_f32_e32 v45, v5, v2
	v_dual_mul_f32 v2, v6, v2 :: v_dual_mul_f32 v47, v7, v4
	s_delay_alu instid0(VALU_DEP_2) | instskip(NEXT) | instid1(VALU_DEP_2)
	v_fmac_f32_e32 v45, v6, v1
	v_fma_f32 v46, v5, v1, -v2
	v_mul_f32_e32 v1, v8, v4
	s_delay_alu instid0(VALU_DEP_4) | instskip(NEXT) | instid1(VALU_DEP_2)
	v_fmac_f32_e32 v47, v8, v3
	v_fma_f32 v48, v7, v3, -v1
	ds_load_2addr_b64 v[1:4], v21 offset0:109 offset1:110
	ds_load_2addr_b64 v[5:8], v21 offset0:111 offset1:112
	s_wait_loadcnt_dscnt 0x1
	v_mul_f32_e32 v49, v1, v10
	v_mul_f32_e32 v51, v3, v12
	s_delay_alu instid0(VALU_DEP_2) | instskip(NEXT) | instid1(VALU_DEP_2)
	v_fmac_f32_e32 v49, v2, v9
	v_dual_mul_f32 v2, v2, v10 :: v_dual_fmac_f32 v51, v4, v11
	s_delay_alu instid0(VALU_DEP_1) | instskip(SKIP_1) | instid1(VALU_DEP_1)
	v_fma_f32 v50, v1, v9, -v2
	v_mul_f32_e32 v1, v4, v12
	v_fma_f32 v52, v3, v11, -v1
	s_clause 0x1
	scratch_load_b128 v[1:4], off, off offset:376
	scratch_load_b128 v[9:12], off, off offset:392
	s_wait_loadcnt_dscnt 0x100
	v_mul_f32_e32 v53, v5, v2
	v_dual_mul_f32 v2, v6, v2 :: v_dual_mul_f32 v55, v7, v4
	s_delay_alu instid0(VALU_DEP_2) | instskip(NEXT) | instid1(VALU_DEP_2)
	v_fmac_f32_e32 v53, v6, v1
	v_fma_f32 v54, v5, v1, -v2
	v_mul_f32_e32 v1, v8, v4
	s_delay_alu instid0(VALU_DEP_4) | instskip(NEXT) | instid1(VALU_DEP_2)
	v_fmac_f32_e32 v55, v8, v3
	v_fma_f32 v56, v7, v3, -v1
	ds_load_2addr_b64 v[1:4], v21 offset0:113 offset1:114
	ds_load_2addr_b64 v[5:8], v21 offset0:115 offset1:116
	s_wait_loadcnt_dscnt 0x1
	v_mul_f32_e32 v57, v1, v10
	v_mul_f32_e32 v59, v3, v12
	s_delay_alu instid0(VALU_DEP_2) | instskip(NEXT) | instid1(VALU_DEP_2)
	v_fmac_f32_e32 v57, v2, v9
	v_dual_mul_f32 v2, v2, v10 :: v_dual_fmac_f32 v59, v4, v11
	s_delay_alu instid0(VALU_DEP_1) | instskip(SKIP_1) | instid1(VALU_DEP_1)
	v_fma_f32 v58, v1, v9, -v2
	v_mul_f32_e32 v1, v4, v12
	v_fma_f32 v60, v3, v11, -v1
	s_clause 0x1
	scratch_load_b128 v[1:4], off, off offset:408
	scratch_load_b128 v[9:12], off, off offset:424
	s_wait_loadcnt_dscnt 0x100
	v_mul_f32_e32 v61, v5, v2
	v_dual_mul_f32 v2, v6, v2 :: v_dual_mul_f32 v63, v7, v4
	s_delay_alu instid0(VALU_DEP_1) | instskip(SKIP_1) | instid1(VALU_DEP_1)
	v_fma_f32 v62, v5, v1, -v2
	v_add_f32_e32 v2, 0, v38
	v_add_f32_e32 v2, v2, v39
	s_delay_alu instid0(VALU_DEP_4) | instskip(SKIP_1) | instid1(VALU_DEP_3)
	v_fmac_f32_e32 v63, v8, v3
	v_fmac_f32_e32 v61, v6, v1
	v_add_f32_e32 v2, v2, v24
	s_delay_alu instid0(VALU_DEP_1) | instskip(NEXT) | instid1(VALU_DEP_1)
	v_dual_mul_f32 v1, v8, v4 :: v_dual_add_f32 v2, v2, v25
	v_fma_f32 v64, v7, v3, -v1
	s_delay_alu instid0(VALU_DEP_2) | instskip(NEXT) | instid1(VALU_DEP_1)
	v_add_f32_e32 v2, v2, v34
	v_dual_add_f32 v1, 0, v22 :: v_dual_add_f32 v2, v2, v40
	s_delay_alu instid0(VALU_DEP_1) | instskip(NEXT) | instid1(VALU_DEP_1)
	v_dual_add_f32 v1, v1, v23 :: v_dual_add_f32 v2, v2, v30
	v_dual_add_f32 v1, v1, v26 :: v_dual_add_f32 v2, v2, v31
	s_delay_alu instid0(VALU_DEP_1) | instskip(SKIP_2) | instid1(VALU_DEP_1)
	v_add_f32_e32 v1, v1, v27
	scratch_load_b64 v[26:27], off, off offset:504
	v_dual_add_f32 v2, v2, v15 :: v_dual_add_f32 v1, v1, v28
	v_add_f32_e32 v5, v2, v18
	s_delay_alu instid0(VALU_DEP_2) | instskip(NEXT) | instid1(VALU_DEP_1)
	v_add_f32_e32 v1, v1, v29
	v_add_f32_e32 v1, v1, v13
	s_delay_alu instid0(VALU_DEP_3) | instskip(NEXT) | instid1(VALU_DEP_1)
	v_add_f32_e32 v13, v5, v19
	v_add_f32_e32 v13, v13, v20
	s_delay_alu instid0(VALU_DEP_1) | instskip(NEXT) | instid1(VALU_DEP_1)
	v_add_f32_e32 v13, v13, v41
	v_add_f32_e32 v18, v13, v42
	s_delay_alu instid0(VALU_DEP_1) | instskip(NEXT) | instid1(VALU_DEP_1)
	v_dual_add_f32 v1, v1, v14 :: v_dual_add_f32 v18, v18, v45
	v_dual_add_f32 v1, v1, v16 :: v_dual_add_f32 v18, v18, v47
	s_delay_alu instid0(VALU_DEP_1) | instskip(NEXT) | instid1(VALU_DEP_2)
	v_add_f32_e32 v1, v1, v17
	v_add_f32_e32 v22, v18, v49
	s_delay_alu instid0(VALU_DEP_2)
	v_add_f32_e32 v6, v1, v32
	scratch_load_b128 v[1:4], off, off offset:440
	v_add_f32_e32 v22, v22, v51
	v_add_f32_e32 v14, v6, v33
	ds_load_2addr_b64 v[5:8], v21 offset0:117 offset1:118
	v_add_f32_e32 v22, v22, v53
	v_add_f32_e32 v14, v14, v43
	s_delay_alu instid0(VALU_DEP_2) | instskip(NEXT) | instid1(VALU_DEP_2)
	v_add_f32_e32 v22, v22, v55
	v_add_f32_e32 v17, v14, v44
	ds_load_2addr_b64 v[13:16], v21 offset0:119 offset1:120
	s_wait_loadcnt_dscnt 0x201
	v_mul_f32_e32 v30, v5, v10
	v_add_f32_e32 v17, v17, v46
	v_dual_mul_f32 v10, v6, v10 :: v_dual_mul_f32 v31, v7, v12
	v_mul_f32_e32 v12, v8, v12
	s_delay_alu instid0(VALU_DEP_3) | instskip(NEXT) | instid1(VALU_DEP_3)
	v_dual_fmac_f32 v30, v6, v9 :: v_dual_add_f32 v17, v17, v48
	v_fma_f32 v32, v5, v9, -v10
	s_delay_alu instid0(VALU_DEP_4) | instskip(NEXT) | instid1(VALU_DEP_4)
	v_fmac_f32_e32 v31, v8, v11
	v_fma_f32 v33, v7, v11, -v12
	scratch_load_b128 v[5:8], off, off offset:456
	v_add_f32_e32 v17, v17, v50
	scratch_load_b128 v[9:12], off, off offset:472
	v_add_f32_e32 v23, v17, v52
	scratch_load_b128 v[17:20], off, off offset:488
	s_wait_loadcnt_dscnt 0x300
	v_mul_f32_e32 v34, v13, v2
	v_mul_f32_e32 v2, v14, v2
	v_add_f32_e32 v23, v23, v54
	v_mul_f32_e32 v38, v15, v4
	v_mul_f32_e32 v4, v16, v4
	v_fmac_f32_e32 v34, v14, v1
	v_fma_f32 v39, v13, v1, -v2
	s_delay_alu instid0(VALU_DEP_4) | instskip(NEXT) | instid1(VALU_DEP_4)
	v_dual_add_f32 v23, v23, v56 :: v_dual_fmac_f32 v38, v16, v3
	v_fma_f32 v40, v15, v3, -v4
	ds_load_2addr_b64 v[1:4], v21 offset0:121 offset1:122
	v_add_f32_e32 v23, v23, v58
	s_delay_alu instid0(VALU_DEP_1) | instskip(NEXT) | instid1(VALU_DEP_1)
	v_dual_add_f32 v13, v22, v57 :: v_dual_add_f32 v14, v23, v60
	v_add_f32_e32 v28, v14, v62
	s_delay_alu instid0(VALU_DEP_2)
	v_add_f32_e32 v22, v13, v59
	ds_load_2addr_b64 v[13:16], v21 offset0:123 offset1:124
	v_add_f32_e32 v41, v28, v64
	v_add_f32_e32 v29, v22, v61
	ds_load_2addr_b64 v[22:25], v21 offset0:125 offset1:126
	v_add_f32_e32 v32, v41, v32
	v_add_f32_e32 v42, v29, v63
	ds_load_b64 v[28:29], v21 offset:1016
	s_wait_loadcnt_dscnt 0x203
	v_dual_mul_f32 v41, v1, v6 :: v_dual_add_f32 v32, v32, v33
	s_delay_alu instid0(VALU_DEP_1) | instskip(SKIP_1) | instid1(VALU_DEP_1)
	v_dual_fmac_f32 v41, v2, v5 :: v_dual_add_f32 v32, v32, v39
	s_wait_loadcnt_dscnt 0x102
	v_dual_mul_f32 v33, v13, v10 :: v_dual_add_f32 v32, v32, v40
	v_mul_f32_e32 v6, v2, v6
	s_wait_loadcnt_dscnt 0x1
	v_mul_f32_e32 v39, v22, v18
	v_add_f32_e32 v30, v42, v30
	v_fmac_f32_e32 v33, v14, v9
	v_fma_f32 v1, v1, v5, -v6
	s_delay_alu instid0(VALU_DEP_3) | instskip(SKIP_2) | instid1(VALU_DEP_4)
	v_dual_mul_f32 v5, v16, v12 :: v_dual_add_f32 v30, v30, v31
	v_mul_f32_e32 v31, v3, v8
	v_mul_f32_e32 v8, v4, v8
	v_add_f32_e32 v1, v32, v1
	s_delay_alu instid0(VALU_DEP_4) | instskip(SKIP_4) | instid1(VALU_DEP_4)
	v_fma_f32 v5, v15, v11, -v5
	v_add_f32_e32 v30, v30, v34
	v_mul_f32_e32 v34, v15, v12
	v_fma_f32 v2, v3, v7, -v8
	v_mul_f32_e32 v3, v14, v10
	v_dual_fmac_f32 v31, v4, v7 :: v_dual_add_f32 v30, v30, v38
	s_wait_dscnt 0x0
	v_dual_mul_f32 v38, v28, v27 :: v_dual_fmac_f32 v39, v23, v17
	s_delay_alu instid0(VALU_DEP_3) | instskip(SKIP_1) | instid1(VALU_DEP_3)
	v_fma_f32 v3, v13, v9, -v3
	v_dual_add_f32 v1, v1, v2 :: v_dual_mul_f32 v40, v24, v20
	v_fmac_f32_e32 v38, v29, v26
	s_delay_alu instid0(VALU_DEP_2) | instskip(SKIP_3) | instid1(VALU_DEP_4)
	v_add_f32_e32 v1, v1, v3
	v_dual_mul_f32 v3, v25, v20 :: v_dual_add_f32 v4, v30, v41
	v_fmac_f32_e32 v34, v16, v11
	v_fmac_f32_e32 v40, v25, v19
	v_add_f32_e32 v1, v1, v5
	v_mul_f32_e32 v5, v29, v27
	v_add_f32_e32 v2, v4, v31
	v_fma_f32 v3, v24, v19, -v3
	v_mul_f32_e32 v4, v23, v18
	s_delay_alu instid0(VALU_DEP_1) | instskip(NEXT) | instid1(VALU_DEP_1)
	v_fma_f32 v4, v22, v17, -v4
	v_add_f32_e32 v1, v1, v4
	v_fma_f32 v4, v28, v26, -v5
	s_delay_alu instid0(VALU_DEP_2) | instskip(NEXT) | instid1(VALU_DEP_1)
	v_dual_add_f32 v1, v1, v3 :: v_dual_add_f32 v2, v2, v33
	v_dual_add_f32 v1, v1, v4 :: v_dual_add_f32 v2, v2, v34
	s_delay_alu instid0(VALU_DEP_1) | instskip(NEXT) | instid1(VALU_DEP_1)
	v_dual_sub_f32 v1, v36, v1 :: v_dual_add_f32 v2, v2, v39
	v_add_f32_e32 v2, v2, v40
	s_delay_alu instid0(VALU_DEP_1) | instskip(NEXT) | instid1(VALU_DEP_1)
	v_add_f32_e32 v2, v2, v38
	v_sub_f32_e32 v2, v37, v2
	scratch_store_b64 off, v[1:2], off offset:224
	v_cmpx_lt_u32_e32 27, v0
	s_cbranch_execz .LBB63_343
; %bb.342:
	scratch_load_b64 v[1:2], off, off offset:216
	v_mov_b32_e32 v22, v21
	scratch_store_b64 off, v[21:22], off offset:216
	s_wait_loadcnt 0x0
	ds_store_b64 v35, v[1:2]
.LBB63_343:
	s_wait_alu 0xfffe
	s_or_b32 exec_lo, exec_lo, s0
	s_wait_storecnt_dscnt 0x0
	s_barrier_signal -1
	s_barrier_wait -1
	global_inv scope:SCOPE_SE
	s_clause 0x4
	scratch_load_b128 v[5:8], off, off offset:224
	scratch_load_b128 v[1:4], off, off offset:240
	;; [unrolled: 1-line block ×5, first 2 shown]
	ds_load_b128 v[22:25], v21 offset:736
	ds_load_b128 v[26:29], v21 offset:752
	ds_load_b128 v[30:33], v21 offset:768
	scratch_load_b64 v[36:37], off, off offset:216
	s_mov_b32 s0, exec_lo
	s_wait_loadcnt_dscnt 0x502
	v_dual_mul_f32 v34, v23, v6 :: v_dual_mul_f32 v39, v24, v8
	v_mul_f32_e32 v38, v22, v6
	v_mul_f32_e32 v6, v25, v8
	s_wait_loadcnt_dscnt 0x300
	v_mul_f32_e32 v40, v32, v12
	v_fma_f32 v22, v22, v5, -v34
	v_dual_fmac_f32 v39, v25, v7 :: v_dual_fmac_f32 v38, v23, v5
	v_mul_f32_e32 v25, v28, v4
	v_fma_f32 v23, v24, v7, -v6
	ds_load_b128 v[5:8], v21 offset:784
	v_mul_f32_e32 v24, v26, v2
	v_mul_f32_e32 v4, v29, v4
	;; [unrolled: 1-line block ×5, first 2 shown]
	v_dual_mul_f32 v2, v27, v2 :: v_dual_fmac_f32 v25, v29, v3
	v_fmac_f32_e32 v24, v27, v1
	v_fma_f32 v27, v28, v3, -v4
	v_fmac_f32_e32 v34, v31, v9
	v_fma_f32 v28, v30, v9, -v10
	;; [unrolled: 2-line block ×3, first 2 shown]
	ds_load_b128 v[9:12], v21 offset:800
	s_wait_loadcnt_dscnt 0x201
	v_mul_f32_e32 v30, v5, v14
	v_dual_mul_f32 v14, v6, v14 :: v_dual_mul_f32 v31, v7, v16
	v_mul_f32_e32 v16, v8, v16
	s_delay_alu instid0(VALU_DEP_3) | instskip(NEXT) | instid1(VALU_DEP_3)
	v_fmac_f32_e32 v30, v6, v13
	v_fma_f32 v13, v5, v13, -v14
	s_delay_alu instid0(VALU_DEP_4) | instskip(NEXT) | instid1(VALU_DEP_4)
	v_fmac_f32_e32 v31, v8, v15
	v_fma_f32 v14, v7, v15, -v16
	ds_load_b128 v[5:8], v21 offset:816
	s_wait_loadcnt_dscnt 0x101
	v_mul_f32_e32 v15, v9, v18
	v_mul_f32_e32 v16, v10, v18
	v_mul_f32_e32 v18, v11, v20
	s_delay_alu instid0(VALU_DEP_3)
	v_dual_mul_f32 v20, v12, v20 :: v_dual_fmac_f32 v15, v10, v17
	v_fma_f32 v26, v26, v1, -v2
	scratch_load_b128 v[1:4], off, off offset:304
	v_fma_f32 v16, v9, v17, -v16
	v_fmac_f32_e32 v18, v12, v19
	v_fma_f32 v17, v11, v19, -v20
	scratch_load_b128 v[9:12], off, off offset:320
	s_wait_loadcnt_dscnt 0x100
	v_mul_f32_e32 v19, v5, v2
	v_mul_f32_e32 v2, v6, v2
	;; [unrolled: 1-line block ×3, first 2 shown]
	s_delay_alu instid0(VALU_DEP_3) | instskip(NEXT) | instid1(VALU_DEP_3)
	v_dual_mul_f32 v4, v8, v4 :: v_dual_fmac_f32 v19, v6, v1
	v_fma_f32 v32, v5, v1, -v2
	s_delay_alu instid0(VALU_DEP_3) | instskip(NEXT) | instid1(VALU_DEP_3)
	v_fmac_f32_e32 v20, v8, v3
	v_fma_f32 v33, v7, v3, -v4
	ds_load_b128 v[1:4], v21 offset:832
	ds_load_b128 v[5:8], v21 offset:848
	s_wait_loadcnt_dscnt 0x1
	v_mul_f32_e32 v41, v1, v10
	v_mul_f32_e32 v10, v2, v10
	s_delay_alu instid0(VALU_DEP_2) | instskip(NEXT) | instid1(VALU_DEP_2)
	v_dual_mul_f32 v42, v3, v12 :: v_dual_fmac_f32 v41, v2, v9
	v_fma_f32 v43, v1, v9, -v10
	v_mul_f32_e32 v1, v4, v12
	s_delay_alu instid0(VALU_DEP_3) | instskip(NEXT) | instid1(VALU_DEP_2)
	v_fmac_f32_e32 v42, v4, v11
	v_fma_f32 v44, v3, v11, -v1
	s_clause 0x1
	scratch_load_b128 v[1:4], off, off offset:336
	scratch_load_b128 v[9:12], off, off offset:352
	s_wait_loadcnt_dscnt 0x100
	v_mul_f32_e32 v45, v5, v2
	v_dual_mul_f32 v2, v6, v2 :: v_dual_mul_f32 v47, v7, v4
	s_delay_alu instid0(VALU_DEP_2) | instskip(NEXT) | instid1(VALU_DEP_2)
	v_fmac_f32_e32 v45, v6, v1
	v_fma_f32 v46, v5, v1, -v2
	v_mul_f32_e32 v1, v8, v4
	s_delay_alu instid0(VALU_DEP_4) | instskip(NEXT) | instid1(VALU_DEP_2)
	v_fmac_f32_e32 v47, v8, v3
	v_fma_f32 v48, v7, v3, -v1
	ds_load_b128 v[1:4], v21 offset:864
	ds_load_b128 v[5:8], v21 offset:880
	s_wait_loadcnt_dscnt 0x1
	v_mul_f32_e32 v49, v1, v10
	v_mul_f32_e32 v51, v3, v12
	s_delay_alu instid0(VALU_DEP_2) | instskip(NEXT) | instid1(VALU_DEP_2)
	v_fmac_f32_e32 v49, v2, v9
	v_dual_mul_f32 v2, v2, v10 :: v_dual_fmac_f32 v51, v4, v11
	s_delay_alu instid0(VALU_DEP_1) | instskip(SKIP_1) | instid1(VALU_DEP_1)
	v_fma_f32 v50, v1, v9, -v2
	v_mul_f32_e32 v1, v4, v12
	v_fma_f32 v52, v3, v11, -v1
	s_clause 0x1
	scratch_load_b128 v[1:4], off, off offset:368
	scratch_load_b128 v[9:12], off, off offset:384
	s_wait_loadcnt_dscnt 0x100
	v_mul_f32_e32 v53, v5, v2
	v_dual_mul_f32 v2, v6, v2 :: v_dual_mul_f32 v55, v7, v4
	s_delay_alu instid0(VALU_DEP_2) | instskip(NEXT) | instid1(VALU_DEP_2)
	v_fmac_f32_e32 v53, v6, v1
	v_fma_f32 v54, v5, v1, -v2
	v_mul_f32_e32 v1, v8, v4
	s_delay_alu instid0(VALU_DEP_4) | instskip(NEXT) | instid1(VALU_DEP_2)
	v_fmac_f32_e32 v55, v8, v3
	v_fma_f32 v56, v7, v3, -v1
	ds_load_b128 v[1:4], v21 offset:896
	ds_load_b128 v[5:8], v21 offset:912
	s_wait_loadcnt_dscnt 0x1
	v_mul_f32_e32 v57, v1, v10
	v_mul_f32_e32 v59, v3, v12
	s_delay_alu instid0(VALU_DEP_2) | instskip(NEXT) | instid1(VALU_DEP_2)
	v_fmac_f32_e32 v57, v2, v9
	v_dual_mul_f32 v2, v2, v10 :: v_dual_fmac_f32 v59, v4, v11
	s_delay_alu instid0(VALU_DEP_1) | instskip(SKIP_1) | instid1(VALU_DEP_1)
	v_fma_f32 v58, v1, v9, -v2
	v_mul_f32_e32 v1, v4, v12
	;; [unrolled: 25-line block ×3, first 2 shown]
	v_fma_f32 v68, v3, v11, -v1
	s_clause 0x1
	scratch_load_b128 v[1:4], off, off offset:432
	scratch_load_b128 v[9:12], off, off offset:448
	s_wait_loadcnt_dscnt 0x100
	v_mul_f32_e32 v197, v5, v2
	v_mul_f32_e32 v2, v6, v2
	s_delay_alu instid0(VALU_DEP_1) | instskip(SKIP_1) | instid1(VALU_DEP_1)
	v_fma_f32 v198, v5, v1, -v2
	v_add_f32_e32 v2, 0, v38
	v_add_f32_e32 v2, v2, v39
	s_delay_alu instid0(VALU_DEP_1) | instskip(NEXT) | instid1(VALU_DEP_1)
	v_add_f32_e32 v2, v2, v24
	v_add_f32_e32 v2, v2, v25
	s_delay_alu instid0(VALU_DEP_1) | instskip(NEXT) | instid1(VALU_DEP_1)
	;; [unrolled: 3-line block ×3, first 2 shown]
	v_dual_add_f32 v2, v2, v30 :: v_dual_mul_f32 v199, v7, v4
	v_add_f32_e32 v2, v2, v31
	s_delay_alu instid0(VALU_DEP_1) | instskip(NEXT) | instid1(VALU_DEP_1)
	v_add_f32_e32 v2, v2, v15
	v_dual_fmac_f32 v199, v8, v3 :: v_dual_add_f32 v2, v2, v18
	s_delay_alu instid0(VALU_DEP_1) | instskip(NEXT) | instid1(VALU_DEP_1)
	v_add_f32_e32 v2, v2, v19
	v_add_f32_e32 v2, v2, v20
	s_delay_alu instid0(VALU_DEP_1) | instskip(NEXT) | instid1(VALU_DEP_1)
	v_add_f32_e32 v5, v2, v41
	v_add_f32_e32 v5, v5, v42
	s_delay_alu instid0(VALU_DEP_1) | instskip(SKIP_2) | instid1(VALU_DEP_1)
	v_add_f32_e32 v5, v5, v45
	v_fmac_f32_e32 v197, v6, v1
	v_mul_f32_e32 v1, v8, v4
	v_fma_f32 v200, v7, v3, -v1
	v_add_f32_e32 v1, 0, v22
	s_delay_alu instid0(VALU_DEP_1) | instskip(NEXT) | instid1(VALU_DEP_1)
	v_add_f32_e32 v1, v1, v23
	v_add_f32_e32 v1, v1, v26
	s_delay_alu instid0(VALU_DEP_1) | instskip(NEXT) | instid1(VALU_DEP_1)
	v_add_f32_e32 v1, v1, v27
	;; [unrolled: 3-line block ×3, first 2 shown]
	v_add_f32_e32 v1, v1, v13
	s_delay_alu instid0(VALU_DEP_1) | instskip(SKIP_1) | instid1(VALU_DEP_1)
	v_add_f32_e32 v1, v1, v14
	v_add_f32_e32 v14, v5, v47
	v_dual_add_f32 v1, v1, v16 :: v_dual_add_f32 v14, v14, v49
	s_delay_alu instid0(VALU_DEP_1) | instskip(NEXT) | instid1(VALU_DEP_1)
	v_dual_add_f32 v1, v1, v17 :: v_dual_add_f32 v14, v14, v51
	v_add_f32_e32 v17, v14, v53
	s_delay_alu instid0(VALU_DEP_1) | instskip(NEXT) | instid1(VALU_DEP_1)
	v_add_f32_e32 v17, v17, v55
	v_add_f32_e32 v17, v17, v57
	s_delay_alu instid0(VALU_DEP_1) | instskip(NEXT) | instid1(VALU_DEP_1)
	v_add_f32_e32 v17, v17, v59
	v_add_f32_e32 v23, v17, v61
	s_delay_alu instid0(VALU_DEP_1) | instskip(NEXT) | instid1(VALU_DEP_1)
	v_dual_add_f32 v1, v1, v32 :: v_dual_add_f32 v30, v23, v63
	v_add_f32_e32 v1, v1, v33
	s_delay_alu instid0(VALU_DEP_1) | instskip(NEXT) | instid1(VALU_DEP_1)
	v_add_f32_e32 v1, v1, v43
	v_add_f32_e32 v6, v1, v44
	s_delay_alu instid0(VALU_DEP_4) | instskip(SKIP_3) | instid1(VALU_DEP_2)
	v_add_f32_e32 v30, v30, v65
	ds_load_b128 v[1:4], v21 offset:960
	v_add_f32_e32 v6, v6, v46
	v_add_f32_e32 v30, v30, v67
	v_add_f32_e32 v13, v6, v48
	s_delay_alu instid0(VALU_DEP_2) | instskip(SKIP_2) | instid1(VALU_DEP_1)
	v_add_f32_e32 v30, v30, v197
	ds_load_b128 v[5:8], v21 offset:976
	v_dual_add_f32 v13, v13, v50 :: v_dual_add_f32 v30, v30, v199
	v_add_f32_e32 v13, v13, v52
	s_wait_loadcnt_dscnt 0x1
	v_dual_mul_f32 v25, v1, v10 :: v_dual_mul_f32 v26, v3, v12
	v_mul_f32_e32 v10, v2, v10
	s_delay_alu instid0(VALU_DEP_3) | instskip(NEXT) | instid1(VALU_DEP_3)
	v_dual_add_f32 v13, v13, v54 :: v_dual_mul_f32 v12, v4, v12
	v_fmac_f32_e32 v26, v4, v11
	s_delay_alu instid0(VALU_DEP_3) | instskip(NEXT) | instid1(VALU_DEP_3)
	v_fma_f32 v27, v1, v9, -v10
	v_add_f32_e32 v18, v13, v56
	s_delay_alu instid0(VALU_DEP_4) | instskip(SKIP_2) | instid1(VALU_DEP_1)
	v_fma_f32 v28, v3, v11, -v12
	scratch_load_b128 v[13:16], off, off offset:496
	v_add_f32_e32 v18, v18, v58
	v_add_f32_e32 v18, v18, v60
	s_delay_alu instid0(VALU_DEP_1)
	v_add_f32_e32 v22, v18, v62
	ds_load_b128 v[17:20], v21 offset:992
	v_fmac_f32_e32 v25, v2, v9
	s_clause 0x1
	scratch_load_b128 v[1:4], off, off offset:464
	scratch_load_b128 v[9:12], off, off offset:480
	s_wait_loadcnt_dscnt 0x0
	v_dual_mul_f32 v31, v5, v2 :: v_dual_mul_f32 v34, v19, v12
	v_mul_f32_e32 v2, v6, v2
	v_add_f32_e32 v25, v30, v25
	v_mul_f32_e32 v33, v17, v10
	s_delay_alu instid0(VALU_DEP_4) | instskip(NEXT) | instid1(VALU_DEP_4)
	v_dual_fmac_f32 v31, v6, v1 :: v_dual_fmac_f32 v34, v20, v11
	v_fma_f32 v2, v5, v1, -v2
	s_delay_alu instid0(VALU_DEP_4)
	v_add_f32_e32 v5, v25, v26
	v_add_f32_e32 v29, v22, v64
	ds_load_b128 v[21:24], v21 offset:1008
	v_dual_fmac_f32 v33, v18, v9 :: v_dual_mul_f32 v32, v7, v4
	v_dual_mul_f32 v4, v8, v4 :: v_dual_add_f32 v29, v29, v66
	v_mul_f32_e32 v6, v18, v10
	s_delay_alu instid0(VALU_DEP_3) | instskip(NEXT) | instid1(VALU_DEP_3)
	v_fmac_f32_e32 v32, v8, v3
	v_fma_f32 v3, v7, v3, -v4
	s_delay_alu instid0(VALU_DEP_4) | instskip(NEXT) | instid1(VALU_DEP_1)
	v_add_f32_e32 v29, v29, v68
	v_dual_mul_f32 v4, v20, v12 :: v_dual_add_f32 v29, v29, v198
	s_delay_alu instid0(VALU_DEP_1) | instskip(NEXT) | instid1(VALU_DEP_2)
	v_fma_f32 v4, v19, v11, -v4
	v_add_f32_e32 v29, v29, v200
	s_wait_dscnt 0x0
	v_mul_f32_e32 v38, v21, v14
	s_delay_alu instid0(VALU_DEP_1) | instskip(SKIP_1) | instid1(VALU_DEP_2)
	v_dual_fmac_f32 v38, v22, v13 :: v_dual_add_f32 v27, v29, v27
	v_mul_f32_e32 v29, v23, v16
	v_add_f32_e32 v1, v27, v28
	s_delay_alu instid0(VALU_DEP_2) | instskip(NEXT) | instid1(VALU_DEP_2)
	v_fmac_f32_e32 v29, v24, v15
	v_add_f32_e32 v1, v1, v2
	v_add_f32_e32 v2, v5, v31
	v_fma_f32 v5, v17, v9, -v6
	s_delay_alu instid0(VALU_DEP_2) | instskip(SKIP_1) | instid1(VALU_DEP_2)
	v_dual_add_f32 v1, v1, v3 :: v_dual_add_f32 v2, v2, v32
	v_mul_f32_e32 v3, v22, v14
	v_add_f32_e32 v1, v1, v5
	s_delay_alu instid0(VALU_DEP_3) | instskip(NEXT) | instid1(VALU_DEP_3)
	v_dual_add_f32 v2, v2, v33 :: v_dual_mul_f32 v5, v24, v16
	v_fma_f32 v3, v21, v13, -v3
	s_delay_alu instid0(VALU_DEP_2) | instskip(NEXT) | instid1(VALU_DEP_3)
	v_dual_add_f32 v1, v1, v4 :: v_dual_add_f32 v2, v2, v34
	v_fma_f32 v4, v23, v15, -v5
	s_delay_alu instid0(VALU_DEP_2) | instskip(NEXT) | instid1(VALU_DEP_1)
	v_dual_add_f32 v1, v1, v3 :: v_dual_add_f32 v2, v2, v38
	v_dual_add_f32 v1, v1, v4 :: v_dual_add_f32 v2, v2, v29
	s_delay_alu instid0(VALU_DEP_1)
	v_dual_sub_f32 v1, v36, v1 :: v_dual_sub_f32 v2, v37, v2
	scratch_store_b64 off, v[1:2], off offset:216
	v_cmpx_lt_u32_e32 26, v0
	s_cbranch_execz .LBB63_345
; %bb.344:
	scratch_load_b64 v[1:2], off, off offset:208
	v_mov_b32_e32 v3, 0
	s_delay_alu instid0(VALU_DEP_1)
	v_mov_b32_e32 v4, v3
	scratch_store_b64 off, v[3:4], off offset:208
	s_wait_loadcnt 0x0
	ds_store_b64 v35, v[1:2]
.LBB63_345:
	s_wait_alu 0xfffe
	s_or_b32 exec_lo, exec_lo, s0
	s_wait_storecnt_dscnt 0x0
	s_barrier_signal -1
	s_barrier_wait -1
	global_inv scope:SCOPE_SE
	s_clause 0x4
	scratch_load_b128 v[5:8], off, off offset:216
	scratch_load_b128 v[1:4], off, off offset:232
	;; [unrolled: 1-line block ×5, first 2 shown]
	v_mov_b32_e32 v21, 0
	ds_load_2addr_b64 v[22:25], v21 offset0:91 offset1:92
	ds_load_2addr_b64 v[26:29], v21 offset0:93 offset1:94
	;; [unrolled: 1-line block ×3, first 2 shown]
	scratch_load_b64 v[36:37], off, off offset:208
	s_mov_b32 s0, exec_lo
	s_wait_loadcnt_dscnt 0x502
	v_mul_f32_e32 v34, v23, v6
	v_dual_mul_f32 v38, v22, v6 :: v_dual_mul_f32 v39, v24, v8
	v_mul_f32_e32 v6, v25, v8
	s_wait_loadcnt_dscnt 0x300
	v_mul_f32_e32 v40, v32, v12
	v_fma_f32 v22, v22, v5, -v34
	v_dual_fmac_f32 v38, v23, v5 :: v_dual_fmac_f32 v39, v25, v7
	v_fma_f32 v23, v24, v7, -v6
	v_dual_mul_f32 v24, v26, v2 :: v_dual_mul_f32 v25, v28, v4
	v_mul_f32_e32 v2, v27, v2
	v_mul_f32_e32 v4, v29, v4
	ds_load_2addr_b64 v[5:8], v21 offset0:97 offset1:98
	v_mul_f32_e32 v34, v30, v10
	v_dual_fmac_f32 v24, v27, v1 :: v_dual_fmac_f32 v25, v29, v3
	v_fma_f32 v26, v26, v1, -v2
	v_fma_f32 v27, v28, v3, -v4
	v_mul_f32_e32 v12, v33, v12
	scratch_load_b128 v[1:4], off, off offset:296
	v_mul_f32_e32 v10, v31, v10
	v_fmac_f32_e32 v34, v31, v9
	v_fmac_f32_e32 v40, v33, v11
	v_fma_f32 v29, v32, v11, -v12
	s_delay_alu instid0(VALU_DEP_4)
	v_fma_f32 v28, v30, v9, -v10
	ds_load_2addr_b64 v[9:12], v21 offset0:99 offset1:100
	s_wait_loadcnt_dscnt 0x301
	v_mul_f32_e32 v30, v5, v14
	v_dual_mul_f32 v14, v6, v14 :: v_dual_mul_f32 v31, v7, v16
	v_mul_f32_e32 v16, v8, v16
	s_delay_alu instid0(VALU_DEP_3) | instskip(NEXT) | instid1(VALU_DEP_3)
	v_fmac_f32_e32 v30, v6, v13
	v_fma_f32 v13, v5, v13, -v14
	s_delay_alu instid0(VALU_DEP_4) | instskip(NEXT) | instid1(VALU_DEP_4)
	v_fmac_f32_e32 v31, v8, v15
	v_fma_f32 v14, v7, v15, -v16
	ds_load_2addr_b64 v[5:8], v21 offset0:101 offset1:102
	s_wait_loadcnt_dscnt 0x201
	v_mul_f32_e32 v15, v9, v18
	v_mul_f32_e32 v16, v10, v18
	;; [unrolled: 1-line block ×3, first 2 shown]
	s_delay_alu instid0(VALU_DEP_3) | instskip(NEXT) | instid1(VALU_DEP_3)
	v_dual_mul_f32 v20, v12, v20 :: v_dual_fmac_f32 v15, v10, v17
	v_fma_f32 v16, v9, v17, -v16
	s_delay_alu instid0(VALU_DEP_3) | instskip(NEXT) | instid1(VALU_DEP_3)
	v_fmac_f32_e32 v18, v12, v19
	v_fma_f32 v17, v11, v19, -v20
	scratch_load_b128 v[9:12], off, off offset:312
	s_wait_loadcnt_dscnt 0x100
	v_mul_f32_e32 v19, v5, v2
	v_mul_f32_e32 v2, v6, v2
	;; [unrolled: 1-line block ×3, first 2 shown]
	s_delay_alu instid0(VALU_DEP_3) | instskip(NEXT) | instid1(VALU_DEP_3)
	v_dual_mul_f32 v4, v8, v4 :: v_dual_fmac_f32 v19, v6, v1
	v_fma_f32 v32, v5, v1, -v2
	s_delay_alu instid0(VALU_DEP_3) | instskip(NEXT) | instid1(VALU_DEP_3)
	v_fmac_f32_e32 v20, v8, v3
	v_fma_f32 v33, v7, v3, -v4
	ds_load_2addr_b64 v[1:4], v21 offset0:103 offset1:104
	ds_load_2addr_b64 v[5:8], v21 offset0:105 offset1:106
	s_wait_loadcnt_dscnt 0x1
	v_mul_f32_e32 v41, v1, v10
	v_mul_f32_e32 v10, v2, v10
	s_delay_alu instid0(VALU_DEP_2) | instskip(NEXT) | instid1(VALU_DEP_2)
	v_dual_mul_f32 v42, v3, v12 :: v_dual_fmac_f32 v41, v2, v9
	v_fma_f32 v43, v1, v9, -v10
	v_mul_f32_e32 v1, v4, v12
	s_delay_alu instid0(VALU_DEP_3) | instskip(NEXT) | instid1(VALU_DEP_2)
	v_fmac_f32_e32 v42, v4, v11
	v_fma_f32 v44, v3, v11, -v1
	s_clause 0x1
	scratch_load_b128 v[1:4], off, off offset:328
	scratch_load_b128 v[9:12], off, off offset:344
	s_wait_loadcnt_dscnt 0x100
	v_mul_f32_e32 v45, v5, v2
	v_dual_mul_f32 v2, v6, v2 :: v_dual_mul_f32 v47, v7, v4
	s_delay_alu instid0(VALU_DEP_2) | instskip(NEXT) | instid1(VALU_DEP_2)
	v_fmac_f32_e32 v45, v6, v1
	v_fma_f32 v46, v5, v1, -v2
	v_mul_f32_e32 v1, v8, v4
	s_delay_alu instid0(VALU_DEP_4) | instskip(NEXT) | instid1(VALU_DEP_2)
	v_fmac_f32_e32 v47, v8, v3
	v_fma_f32 v48, v7, v3, -v1
	ds_load_2addr_b64 v[1:4], v21 offset0:107 offset1:108
	ds_load_2addr_b64 v[5:8], v21 offset0:109 offset1:110
	s_wait_loadcnt_dscnt 0x1
	v_mul_f32_e32 v49, v1, v10
	v_mul_f32_e32 v51, v3, v12
	s_delay_alu instid0(VALU_DEP_2) | instskip(NEXT) | instid1(VALU_DEP_2)
	v_fmac_f32_e32 v49, v2, v9
	v_dual_mul_f32 v2, v2, v10 :: v_dual_fmac_f32 v51, v4, v11
	s_delay_alu instid0(VALU_DEP_1) | instskip(SKIP_1) | instid1(VALU_DEP_1)
	v_fma_f32 v50, v1, v9, -v2
	v_mul_f32_e32 v1, v4, v12
	v_fma_f32 v52, v3, v11, -v1
	s_clause 0x1
	scratch_load_b128 v[1:4], off, off offset:360
	scratch_load_b128 v[9:12], off, off offset:376
	s_wait_loadcnt_dscnt 0x100
	v_mul_f32_e32 v53, v5, v2
	v_dual_mul_f32 v2, v6, v2 :: v_dual_mul_f32 v55, v7, v4
	s_delay_alu instid0(VALU_DEP_2) | instskip(NEXT) | instid1(VALU_DEP_2)
	v_fmac_f32_e32 v53, v6, v1
	v_fma_f32 v54, v5, v1, -v2
	v_mul_f32_e32 v1, v8, v4
	s_delay_alu instid0(VALU_DEP_4) | instskip(NEXT) | instid1(VALU_DEP_2)
	v_fmac_f32_e32 v55, v8, v3
	v_fma_f32 v56, v7, v3, -v1
	ds_load_2addr_b64 v[1:4], v21 offset0:111 offset1:112
	ds_load_2addr_b64 v[5:8], v21 offset0:113 offset1:114
	s_wait_loadcnt_dscnt 0x1
	v_mul_f32_e32 v57, v1, v10
	v_mul_f32_e32 v59, v3, v12
	s_delay_alu instid0(VALU_DEP_2) | instskip(NEXT) | instid1(VALU_DEP_2)
	v_fmac_f32_e32 v57, v2, v9
	v_dual_mul_f32 v2, v2, v10 :: v_dual_fmac_f32 v59, v4, v11
	s_delay_alu instid0(VALU_DEP_1) | instskip(SKIP_1) | instid1(VALU_DEP_1)
	v_fma_f32 v58, v1, v9, -v2
	v_mul_f32_e32 v1, v4, v12
	;; [unrolled: 25-line block ×3, first 2 shown]
	v_fma_f32 v68, v3, v11, -v1
	s_clause 0x1
	scratch_load_b128 v[1:4], off, off offset:424
	scratch_load_b128 v[9:12], off, off offset:440
	s_wait_loadcnt_dscnt 0x100
	v_mul_f32_e32 v197, v5, v2
	v_mul_f32_e32 v2, v6, v2
	s_delay_alu instid0(VALU_DEP_1) | instskip(SKIP_1) | instid1(VALU_DEP_1)
	v_fma_f32 v198, v5, v1, -v2
	v_add_f32_e32 v2, 0, v38
	v_add_f32_e32 v2, v2, v39
	s_delay_alu instid0(VALU_DEP_1) | instskip(NEXT) | instid1(VALU_DEP_1)
	v_add_f32_e32 v2, v2, v24
	v_add_f32_e32 v2, v2, v25
	s_delay_alu instid0(VALU_DEP_1) | instskip(NEXT) | instid1(VALU_DEP_1)
	v_add_f32_e32 v2, v2, v34
	v_add_f32_e32 v2, v2, v40
	v_fmac_f32_e32 v197, v6, v1
	s_delay_alu instid0(VALU_DEP_2) | instskip(NEXT) | instid1(VALU_DEP_1)
	v_dual_add_f32 v2, v2, v30 :: v_dual_mul_f32 v199, v7, v4
	v_dual_add_f32 v2, v2, v31 :: v_dual_mul_f32 v1, v8, v4
	s_delay_alu instid0(VALU_DEP_1) | instskip(NEXT) | instid1(VALU_DEP_3)
	v_add_f32_e32 v2, v2, v15
	v_fmac_f32_e32 v199, v8, v3
	s_delay_alu instid0(VALU_DEP_3) | instskip(NEXT) | instid1(VALU_DEP_3)
	v_fma_f32 v200, v7, v3, -v1
	v_add_f32_e32 v2, v2, v18
	s_delay_alu instid0(VALU_DEP_1) | instskip(NEXT) | instid1(VALU_DEP_1)
	v_dual_add_f32 v1, 0, v22 :: v_dual_add_f32 v2, v2, v19
	v_dual_add_f32 v1, v1, v23 :: v_dual_add_f32 v2, v2, v20
	s_delay_alu instid0(VALU_DEP_1) | instskip(NEXT) | instid1(VALU_DEP_1)
	v_add_f32_e32 v1, v1, v26
	v_add_f32_e32 v1, v1, v27
	scratch_load_b64 v[26:27], off, off offset:504
	v_add_f32_e32 v1, v1, v28
	s_delay_alu instid0(VALU_DEP_1) | instskip(NEXT) | instid1(VALU_DEP_1)
	v_add_f32_e32 v1, v1, v29
	v_add_f32_e32 v1, v1, v13
	s_delay_alu instid0(VALU_DEP_1) | instskip(NEXT) | instid1(VALU_DEP_1)
	v_add_f32_e32 v1, v1, v14
	;; [unrolled: 3-line block ×7, first 2 shown]
	v_add_f32_e32 v13, v13, v54
	v_add_f32_e32 v5, v2, v41
	ds_load_2addr_b64 v[1:4], v21 offset0:119 offset1:120
	v_add_f32_e32 v18, v13, v56
	s_delay_alu instid0(VALU_DEP_1) | instskip(NEXT) | instid1(VALU_DEP_1)
	v_add_f32_e32 v18, v18, v58
	v_add_f32_e32 v18, v18, v60
	s_delay_alu instid0(VALU_DEP_1) | instskip(NEXT) | instid1(VALU_DEP_1)
	v_add_f32_e32 v18, v18, v62
	;; [unrolled: 3-line block ×3, first 2 shown]
	v_dual_add_f32 v5, v5, v42 :: v_dual_add_f32 v34, v28, v68
	s_delay_alu instid0(VALU_DEP_1) | instskip(NEXT) | instid1(VALU_DEP_1)
	v_dual_add_f32 v5, v5, v45 :: v_dual_add_f32 v34, v34, v198
	v_add_f32_e32 v14, v5, v47
	ds_load_2addr_b64 v[5:8], v21 offset0:121 offset1:122
	s_wait_loadcnt_dscnt 0x101
	v_mul_f32_e32 v30, v1, v10
	v_mul_f32_e32 v10, v2, v10
	v_add_f32_e32 v34, v34, v200
	v_add_f32_e32 v14, v14, v49
	s_delay_alu instid0(VALU_DEP_4) | instskip(NEXT) | instid1(VALU_DEP_4)
	v_fmac_f32_e32 v30, v2, v9
	v_fma_f32 v32, v1, v9, -v10
	s_delay_alu instid0(VALU_DEP_3) | instskip(NEXT) | instid1(VALU_DEP_2)
	v_add_f32_e32 v14, v14, v51
	v_add_f32_e32 v32, v34, v32
	s_delay_alu instid0(VALU_DEP_2) | instskip(SKIP_2) | instid1(VALU_DEP_1)
	v_add_f32_e32 v17, v14, v53
	scratch_load_b128 v[13:16], off, off offset:488
	v_add_f32_e32 v17, v17, v55
	v_add_f32_e32 v17, v17, v57
	s_delay_alu instid0(VALU_DEP_1) | instskip(NEXT) | instid1(VALU_DEP_1)
	v_add_f32_e32 v17, v17, v59
	v_add_f32_e32 v17, v17, v61
	s_delay_alu instid0(VALU_DEP_1)
	v_add_f32_e32 v22, v17, v63
	ds_load_2addr_b64 v[17:20], v21 offset0:123 offset1:124
	v_add_f32_e32 v29, v22, v65
	v_mul_f32_e32 v31, v3, v12
	v_mul_f32_e32 v12, v4, v12
	ds_load_2addr_b64 v[22:25], v21 offset0:125 offset1:126
	v_add_f32_e32 v38, v29, v67
	v_fmac_f32_e32 v31, v4, v11
	v_fma_f32 v33, v3, v11, -v12
	s_clause 0x1
	scratch_load_b128 v[1:4], off, off offset:456
	scratch_load_b128 v[9:12], off, off offset:472
	v_add_f32_e32 v38, v38, v197
	ds_load_b64 v[28:29], v21 offset:1016
	v_add_f32_e32 v32, v32, v33
	v_add_f32_e32 v38, v38, v199
	s_delay_alu instid0(VALU_DEP_1) | instskip(SKIP_1) | instid1(VALU_DEP_1)
	v_add_f32_e32 v30, v38, v30
	s_wait_loadcnt_dscnt 0x201
	v_dual_add_f32 v30, v30, v31 :: v_dual_mul_f32 v33, v24, v16
	s_wait_loadcnt 0x1
	v_mul_f32_e32 v39, v5, v2
	v_mul_f32_e32 v2, v6, v2
	;; [unrolled: 1-line block ×4, first 2 shown]
	s_wait_loadcnt 0x0
	v_mul_f32_e32 v34, v17, v10
	v_mul_f32_e32 v41, v22, v14
	v_fma_f32 v2, v5, v1, -v2
	v_dual_fmac_f32 v39, v6, v1 :: v_dual_fmac_f32 v40, v8, v3
	v_fma_f32 v1, v7, v3, -v4
	v_mul_f32_e32 v5, v20, v12
	s_delay_alu instid0(VALU_DEP_4) | instskip(NEXT) | instid1(VALU_DEP_4)
	v_add_f32_e32 v2, v32, v2
	v_add_f32_e32 v4, v30, v39
	v_dual_mul_f32 v3, v18, v10 :: v_dual_mul_f32 v38, v19, v12
	s_wait_dscnt 0x0
	v_dual_mul_f32 v31, v28, v27 :: v_dual_fmac_f32 v34, v18, v9
	s_delay_alu instid0(VALU_DEP_3) | instskip(NEXT) | instid1(VALU_DEP_3)
	v_dual_add_f32 v1, v2, v1 :: v_dual_add_f32 v2, v4, v40
	v_fma_f32 v3, v17, v9, -v3
	v_mul_f32_e32 v4, v23, v14
	v_fmac_f32_e32 v38, v20, v11
	v_fma_f32 v5, v19, v11, -v5
	s_delay_alu instid0(VALU_DEP_4) | instskip(SKIP_3) | instid1(VALU_DEP_4)
	v_dual_add_f32 v2, v2, v34 :: v_dual_add_f32 v1, v1, v3
	v_mul_f32_e32 v3, v25, v16
	v_fmac_f32_e32 v41, v23, v13
	v_fma_f32 v4, v22, v13, -v4
	v_dual_add_f32 v2, v2, v38 :: v_dual_fmac_f32 v33, v25, v15
	s_delay_alu instid0(VALU_DEP_4) | instskip(NEXT) | instid1(VALU_DEP_2)
	v_fma_f32 v3, v24, v15, -v3
	v_dual_add_f32 v2, v2, v41 :: v_dual_fmac_f32 v31, v29, v26
	s_delay_alu instid0(VALU_DEP_1) | instskip(SKIP_2) | instid1(VALU_DEP_2)
	v_add_f32_e32 v2, v2, v33
	v_add_f32_e32 v1, v1, v5
	v_mul_f32_e32 v5, v29, v27
	v_dual_add_f32 v2, v2, v31 :: v_dual_add_f32 v1, v1, v4
	s_delay_alu instid0(VALU_DEP_2) | instskip(NEXT) | instid1(VALU_DEP_2)
	v_fma_f32 v4, v28, v26, -v5
	v_sub_f32_e32 v2, v37, v2
	s_delay_alu instid0(VALU_DEP_3) | instskip(NEXT) | instid1(VALU_DEP_1)
	v_add_f32_e32 v1, v1, v3
	v_add_f32_e32 v1, v1, v4
	s_delay_alu instid0(VALU_DEP_1)
	v_sub_f32_e32 v1, v36, v1
	scratch_store_b64 off, v[1:2], off offset:208
	v_cmpx_lt_u32_e32 25, v0
	s_cbranch_execz .LBB63_347
; %bb.346:
	scratch_load_b64 v[1:2], off, off offset:200
	v_mov_b32_e32 v22, v21
	scratch_store_b64 off, v[21:22], off offset:200
	s_wait_loadcnt 0x0
	ds_store_b64 v35, v[1:2]
.LBB63_347:
	s_wait_alu 0xfffe
	s_or_b32 exec_lo, exec_lo, s0
	s_wait_storecnt_dscnt 0x0
	s_barrier_signal -1
	s_barrier_wait -1
	global_inv scope:SCOPE_SE
	s_clause 0x4
	scratch_load_b128 v[5:8], off, off offset:208
	scratch_load_b128 v[1:4], off, off offset:224
	;; [unrolled: 1-line block ×5, first 2 shown]
	ds_load_b128 v[22:25], v21 offset:720
	ds_load_b128 v[26:29], v21 offset:736
	;; [unrolled: 1-line block ×3, first 2 shown]
	scratch_load_b64 v[36:37], off, off offset:200
	s_mov_b32 s0, exec_lo
	s_wait_loadcnt_dscnt 0x502
	v_dual_mul_f32 v34, v23, v6 :: v_dual_mul_f32 v39, v24, v8
	v_mul_f32_e32 v38, v22, v6
	v_mul_f32_e32 v6, v25, v8
	s_wait_loadcnt_dscnt 0x300
	v_mul_f32_e32 v40, v32, v12
	v_fma_f32 v22, v22, v5, -v34
	v_dual_fmac_f32 v39, v25, v7 :: v_dual_fmac_f32 v38, v23, v5
	v_mul_f32_e32 v25, v28, v4
	v_fma_f32 v23, v24, v7, -v6
	ds_load_b128 v[5:8], v21 offset:768
	v_mul_f32_e32 v24, v26, v2
	v_mul_f32_e32 v4, v29, v4
	;; [unrolled: 1-line block ×5, first 2 shown]
	v_dual_mul_f32 v2, v27, v2 :: v_dual_fmac_f32 v25, v29, v3
	v_fmac_f32_e32 v24, v27, v1
	v_fma_f32 v27, v28, v3, -v4
	v_fmac_f32_e32 v34, v31, v9
	v_fma_f32 v28, v30, v9, -v10
	;; [unrolled: 2-line block ×3, first 2 shown]
	ds_load_b128 v[9:12], v21 offset:784
	s_wait_loadcnt_dscnt 0x201
	v_mul_f32_e32 v30, v5, v14
	v_dual_mul_f32 v14, v6, v14 :: v_dual_mul_f32 v31, v7, v16
	v_mul_f32_e32 v16, v8, v16
	s_delay_alu instid0(VALU_DEP_3) | instskip(NEXT) | instid1(VALU_DEP_3)
	v_fmac_f32_e32 v30, v6, v13
	v_fma_f32 v13, v5, v13, -v14
	s_delay_alu instid0(VALU_DEP_4) | instskip(NEXT) | instid1(VALU_DEP_4)
	v_fmac_f32_e32 v31, v8, v15
	v_fma_f32 v14, v7, v15, -v16
	ds_load_b128 v[5:8], v21 offset:800
	s_wait_loadcnt_dscnt 0x101
	v_mul_f32_e32 v15, v9, v18
	v_mul_f32_e32 v16, v10, v18
	;; [unrolled: 1-line block ×3, first 2 shown]
	s_delay_alu instid0(VALU_DEP_3)
	v_dual_mul_f32 v20, v12, v20 :: v_dual_fmac_f32 v15, v10, v17
	v_fma_f32 v26, v26, v1, -v2
	scratch_load_b128 v[1:4], off, off offset:288
	v_fma_f32 v16, v9, v17, -v16
	v_fmac_f32_e32 v18, v12, v19
	v_fma_f32 v17, v11, v19, -v20
	scratch_load_b128 v[9:12], off, off offset:304
	s_wait_loadcnt_dscnt 0x100
	v_mul_f32_e32 v19, v5, v2
	v_mul_f32_e32 v2, v6, v2
	;; [unrolled: 1-line block ×3, first 2 shown]
	s_delay_alu instid0(VALU_DEP_3) | instskip(NEXT) | instid1(VALU_DEP_3)
	v_dual_mul_f32 v4, v8, v4 :: v_dual_fmac_f32 v19, v6, v1
	v_fma_f32 v32, v5, v1, -v2
	s_delay_alu instid0(VALU_DEP_3) | instskip(NEXT) | instid1(VALU_DEP_3)
	v_fmac_f32_e32 v20, v8, v3
	v_fma_f32 v33, v7, v3, -v4
	ds_load_b128 v[1:4], v21 offset:816
	ds_load_b128 v[5:8], v21 offset:832
	s_wait_loadcnt_dscnt 0x1
	v_mul_f32_e32 v41, v1, v10
	v_mul_f32_e32 v10, v2, v10
	s_delay_alu instid0(VALU_DEP_2) | instskip(NEXT) | instid1(VALU_DEP_2)
	v_dual_mul_f32 v42, v3, v12 :: v_dual_fmac_f32 v41, v2, v9
	v_fma_f32 v43, v1, v9, -v10
	v_mul_f32_e32 v1, v4, v12
	s_delay_alu instid0(VALU_DEP_3) | instskip(NEXT) | instid1(VALU_DEP_2)
	v_fmac_f32_e32 v42, v4, v11
	v_fma_f32 v44, v3, v11, -v1
	s_clause 0x1
	scratch_load_b128 v[1:4], off, off offset:320
	scratch_load_b128 v[9:12], off, off offset:336
	s_wait_loadcnt_dscnt 0x100
	v_mul_f32_e32 v45, v5, v2
	v_dual_mul_f32 v2, v6, v2 :: v_dual_mul_f32 v47, v7, v4
	s_delay_alu instid0(VALU_DEP_2) | instskip(NEXT) | instid1(VALU_DEP_2)
	v_fmac_f32_e32 v45, v6, v1
	v_fma_f32 v46, v5, v1, -v2
	v_mul_f32_e32 v1, v8, v4
	s_delay_alu instid0(VALU_DEP_4) | instskip(NEXT) | instid1(VALU_DEP_2)
	v_fmac_f32_e32 v47, v8, v3
	v_fma_f32 v48, v7, v3, -v1
	ds_load_b128 v[1:4], v21 offset:848
	ds_load_b128 v[5:8], v21 offset:864
	s_wait_loadcnt_dscnt 0x1
	v_mul_f32_e32 v49, v1, v10
	v_mul_f32_e32 v51, v3, v12
	s_delay_alu instid0(VALU_DEP_2) | instskip(NEXT) | instid1(VALU_DEP_2)
	v_fmac_f32_e32 v49, v2, v9
	v_dual_mul_f32 v2, v2, v10 :: v_dual_fmac_f32 v51, v4, v11
	s_delay_alu instid0(VALU_DEP_1) | instskip(SKIP_1) | instid1(VALU_DEP_1)
	v_fma_f32 v50, v1, v9, -v2
	v_mul_f32_e32 v1, v4, v12
	v_fma_f32 v52, v3, v11, -v1
	s_clause 0x1
	scratch_load_b128 v[1:4], off, off offset:352
	scratch_load_b128 v[9:12], off, off offset:368
	s_wait_loadcnt_dscnt 0x100
	v_mul_f32_e32 v53, v5, v2
	v_dual_mul_f32 v2, v6, v2 :: v_dual_mul_f32 v55, v7, v4
	s_delay_alu instid0(VALU_DEP_2) | instskip(NEXT) | instid1(VALU_DEP_2)
	v_fmac_f32_e32 v53, v6, v1
	v_fma_f32 v54, v5, v1, -v2
	v_mul_f32_e32 v1, v8, v4
	s_delay_alu instid0(VALU_DEP_4) | instskip(NEXT) | instid1(VALU_DEP_2)
	v_fmac_f32_e32 v55, v8, v3
	v_fma_f32 v56, v7, v3, -v1
	ds_load_b128 v[1:4], v21 offset:880
	ds_load_b128 v[5:8], v21 offset:896
	s_wait_loadcnt_dscnt 0x1
	v_mul_f32_e32 v57, v1, v10
	v_mul_f32_e32 v59, v3, v12
	s_delay_alu instid0(VALU_DEP_2) | instskip(NEXT) | instid1(VALU_DEP_2)
	v_fmac_f32_e32 v57, v2, v9
	v_dual_mul_f32 v2, v2, v10 :: v_dual_fmac_f32 v59, v4, v11
	s_delay_alu instid0(VALU_DEP_1) | instskip(SKIP_1) | instid1(VALU_DEP_1)
	v_fma_f32 v58, v1, v9, -v2
	v_mul_f32_e32 v1, v4, v12
	;; [unrolled: 25-line block ×3, first 2 shown]
	v_fma_f32 v68, v3, v11, -v1
	s_clause 0x1
	scratch_load_b128 v[1:4], off, off offset:416
	scratch_load_b128 v[9:12], off, off offset:432
	s_wait_loadcnt_dscnt 0x100
	v_mul_f32_e32 v197, v5, v2
	v_mul_f32_e32 v2, v6, v2
	s_delay_alu instid0(VALU_DEP_1) | instskip(SKIP_1) | instid1(VALU_DEP_1)
	v_fma_f32 v198, v5, v1, -v2
	v_add_f32_e32 v2, 0, v38
	v_add_f32_e32 v2, v2, v39
	s_delay_alu instid0(VALU_DEP_1) | instskip(NEXT) | instid1(VALU_DEP_1)
	v_add_f32_e32 v2, v2, v24
	v_add_f32_e32 v2, v2, v25
	s_delay_alu instid0(VALU_DEP_1) | instskip(NEXT) | instid1(VALU_DEP_1)
	v_add_f32_e32 v2, v2, v34
	v_add_f32_e32 v2, v2, v40
	v_fmac_f32_e32 v197, v6, v1
	s_delay_alu instid0(VALU_DEP_2) | instskip(NEXT) | instid1(VALU_DEP_1)
	v_dual_add_f32 v2, v2, v30 :: v_dual_mul_f32 v199, v7, v4
	v_dual_add_f32 v2, v2, v31 :: v_dual_mul_f32 v1, v8, v4
	s_delay_alu instid0(VALU_DEP_1) | instskip(NEXT) | instid1(VALU_DEP_3)
	v_add_f32_e32 v2, v2, v15
	v_fmac_f32_e32 v199, v8, v3
	s_delay_alu instid0(VALU_DEP_3) | instskip(NEXT) | instid1(VALU_DEP_3)
	v_fma_f32 v200, v7, v3, -v1
	v_add_f32_e32 v2, v2, v18
	s_delay_alu instid0(VALU_DEP_1) | instskip(NEXT) | instid1(VALU_DEP_1)
	v_dual_add_f32 v1, 0, v22 :: v_dual_add_f32 v2, v2, v19
	v_dual_add_f32 v1, v1, v23 :: v_dual_add_f32 v2, v2, v20
	s_delay_alu instid0(VALU_DEP_1) | instskip(NEXT) | instid1(VALU_DEP_1)
	v_dual_add_f32 v1, v1, v26 :: v_dual_add_f32 v2, v2, v41
	v_add_f32_e32 v1, v1, v27
	s_delay_alu instid0(VALU_DEP_2) | instskip(NEXT) | instid1(VALU_DEP_2)
	v_add_f32_e32 v5, v2, v42
	v_add_f32_e32 v1, v1, v28
	s_delay_alu instid0(VALU_DEP_1) | instskip(NEXT) | instid1(VALU_DEP_1)
	v_add_f32_e32 v1, v1, v29
	v_add_f32_e32 v1, v1, v13
	s_delay_alu instid0(VALU_DEP_4) | instskip(NEXT) | instid1(VALU_DEP_1)
	v_add_f32_e32 v13, v5, v45
	v_add_f32_e32 v13, v13, v47
	s_delay_alu instid0(VALU_DEP_1) | instskip(NEXT) | instid1(VALU_DEP_1)
	v_add_f32_e32 v13, v13, v49
	v_add_f32_e32 v18, v13, v51
	s_delay_alu instid0(VALU_DEP_1) | instskip(NEXT) | instid1(VALU_DEP_1)
	v_dual_add_f32 v1, v1, v14 :: v_dual_add_f32 v18, v18, v53
	v_dual_add_f32 v1, v1, v16 :: v_dual_add_f32 v18, v18, v55
	s_delay_alu instid0(VALU_DEP_1) | instskip(NEXT) | instid1(VALU_DEP_1)
	v_add_f32_e32 v1, v1, v17
	v_dual_add_f32 v22, v18, v57 :: v_dual_add_f32 v1, v1, v32
	s_delay_alu instid0(VALU_DEP_1) | instskip(NEXT) | instid1(VALU_DEP_1)
	v_dual_add_f32 v22, v22, v59 :: v_dual_add_f32 v1, v1, v33
	v_dual_add_f32 v22, v22, v61 :: v_dual_add_f32 v1, v1, v43
	s_delay_alu instid0(VALU_DEP_1) | instskip(NEXT) | instid1(VALU_DEP_1)
	v_add_f32_e32 v1, v1, v44
	v_add_f32_e32 v6, v1, v46
	ds_load_b128 v[1:4], v21 offset:944
	v_add_f32_e32 v14, v6, v48
	scratch_load_b128 v[5:8], off, off offset:448
	v_add_f32_e32 v14, v14, v50
	s_delay_alu instid0(VALU_DEP_1)
	v_add_f32_e32 v17, v14, v52
	ds_load_b128 v[13:16], v21 offset:960
	v_add_f32_e32 v17, v17, v54
	s_wait_loadcnt_dscnt 0x101
	v_mul_f32_e32 v25, v1, v10
	v_mul_f32_e32 v10, v2, v10
	;; [unrolled: 1-line block ×4, first 2 shown]
	v_add_f32_e32 v17, v17, v56
	v_fmac_f32_e32 v25, v2, v9
	v_fma_f32 v27, v1, v9, -v10
	v_fmac_f32_e32 v26, v4, v11
	v_fma_f32 v28, v3, v11, -v12
	s_clause 0x1
	scratch_load_b128 v[1:4], off, off offset:464
	scratch_load_b128 v[9:12], off, off offset:480
	s_wait_loadcnt_dscnt 0x200
	v_mul_f32_e32 v29, v13, v6
	v_mul_f32_e32 v6, v14, v6
	;; [unrolled: 1-line block ×3, first 2 shown]
	s_delay_alu instid0(VALU_DEP_3) | instskip(NEXT) | instid1(VALU_DEP_3)
	v_dual_mul_f32 v8, v16, v8 :: v_dual_fmac_f32 v29, v14, v5
	v_fma_f32 v31, v13, v5, -v6
	s_delay_alu instid0(VALU_DEP_3) | instskip(NEXT) | instid1(VALU_DEP_3)
	v_fmac_f32_e32 v30, v16, v7
	v_fma_f32 v32, v15, v7, -v8
	ds_load_b128 v[5:8], v21 offset:976
	v_add_f32_e32 v17, v17, v58
	v_add_f32_e32 v13, v22, v63
	s_delay_alu instid0(VALU_DEP_2) | instskip(SKIP_2) | instid1(VALU_DEP_1)
	v_add_f32_e32 v23, v17, v60
	scratch_load_b128 v[17:20], off, off offset:496
	v_add_f32_e32 v23, v23, v62
	v_add_f32_e32 v23, v23, v64
	s_delay_alu instid0(VALU_DEP_1)
	v_dual_add_f32 v22, v23, v66 :: v_dual_add_f32 v23, v13, v65
	ds_load_b128 v[13:16], v21 offset:992
	s_wait_loadcnt_dscnt 0x201
	v_mul_f32_e32 v38, v5, v2
	v_mul_f32_e32 v2, v6, v2
	v_add_f32_e32 v33, v22, v68
	s_delay_alu instid0(VALU_DEP_3) | instskip(NEXT) | instid1(VALU_DEP_3)
	v_fmac_f32_e32 v38, v6, v1
	v_fma_f32 v2, v5, v1, -v2
	s_delay_alu instid0(VALU_DEP_3)
	v_add_f32_e32 v33, v33, v198
	s_wait_loadcnt_dscnt 0x100
	v_mul_f32_e32 v6, v14, v10
	v_add_f32_e32 v34, v23, v67
	ds_load_b128 v[21:24], v21 offset:1008
	v_add_f32_e32 v34, v34, v197
	s_delay_alu instid0(VALU_DEP_1) | instskip(NEXT) | instid1(VALU_DEP_1)
	v_add_f32_e32 v34, v34, v199
	v_dual_add_f32 v25, v34, v25 :: v_dual_mul_f32 v34, v13, v10
	v_add_f32_e32 v33, v33, v200
	s_delay_alu instid0(VALU_DEP_2) | instskip(NEXT) | instid1(VALU_DEP_2)
	v_dual_add_f32 v25, v25, v26 :: v_dual_fmac_f32 v34, v14, v9
	v_add_f32_e32 v27, v33, v27
	v_mul_f32_e32 v33, v7, v4
	v_mul_f32_e32 v4, v8, v4
	s_delay_alu instid0(VALU_DEP_2) | instskip(NEXT) | instid1(VALU_DEP_2)
	v_fmac_f32_e32 v33, v8, v3
	v_fma_f32 v3, v7, v3, -v4
	v_mul_f32_e32 v4, v16, v12
	s_delay_alu instid0(VALU_DEP_1) | instskip(SKIP_3) | instid1(VALU_DEP_2)
	v_fma_f32 v4, v15, v11, -v4
	s_wait_loadcnt_dscnt 0x0
	v_dual_mul_f32 v26, v21, v18 :: v_dual_mul_f32 v39, v15, v12
	v_add_f32_e32 v25, v25, v29
	v_dual_fmac_f32 v26, v22, v17 :: v_dual_fmac_f32 v39, v16, v11
	v_add_f32_e32 v27, v27, v28
	s_delay_alu instid0(VALU_DEP_3) | instskip(NEXT) | instid1(VALU_DEP_2)
	v_dual_add_f32 v5, v25, v30 :: v_dual_mul_f32 v28, v23, v20
	v_add_f32_e32 v27, v27, v31
	s_delay_alu instid0(VALU_DEP_1) | instskip(NEXT) | instid1(VALU_DEP_1)
	v_dual_fmac_f32 v28, v24, v19 :: v_dual_add_f32 v1, v27, v32
	v_add_f32_e32 v1, v1, v2
	s_delay_alu instid0(VALU_DEP_4) | instskip(SKIP_1) | instid1(VALU_DEP_2)
	v_add_f32_e32 v2, v5, v38
	v_fma_f32 v5, v13, v9, -v6
	v_dual_add_f32 v1, v1, v3 :: v_dual_add_f32 v2, v2, v33
	v_mul_f32_e32 v3, v22, v18
	s_delay_alu instid0(VALU_DEP_2) | instskip(SKIP_1) | instid1(VALU_DEP_3)
	v_dual_add_f32 v1, v1, v5 :: v_dual_add_f32 v2, v2, v34
	v_mul_f32_e32 v5, v24, v20
	v_fma_f32 v3, v21, v17, -v3
	s_delay_alu instid0(VALU_DEP_3) | instskip(NEXT) | instid1(VALU_DEP_3)
	v_dual_add_f32 v1, v1, v4 :: v_dual_add_f32 v2, v2, v39
	v_fma_f32 v4, v23, v19, -v5
	s_delay_alu instid0(VALU_DEP_2) | instskip(NEXT) | instid1(VALU_DEP_1)
	v_dual_add_f32 v1, v1, v3 :: v_dual_add_f32 v2, v2, v26
	v_add_f32_e32 v1, v1, v4
	s_delay_alu instid0(VALU_DEP_1) | instskip(NEXT) | instid1(VALU_DEP_1)
	v_dual_add_f32 v2, v2, v28 :: v_dual_sub_f32 v1, v36, v1
	v_sub_f32_e32 v2, v37, v2
	scratch_store_b64 off, v[1:2], off offset:200
	v_cmpx_lt_u32_e32 24, v0
	s_cbranch_execz .LBB63_349
; %bb.348:
	scratch_load_b64 v[1:2], off, off offset:192
	v_mov_b32_e32 v3, 0
	s_delay_alu instid0(VALU_DEP_1)
	v_mov_b32_e32 v4, v3
	scratch_store_b64 off, v[3:4], off offset:192
	s_wait_loadcnt 0x0
	ds_store_b64 v35, v[1:2]
.LBB63_349:
	s_wait_alu 0xfffe
	s_or_b32 exec_lo, exec_lo, s0
	s_wait_storecnt_dscnt 0x0
	s_barrier_signal -1
	s_barrier_wait -1
	global_inv scope:SCOPE_SE
	s_clause 0x4
	scratch_load_b128 v[5:8], off, off offset:200
	scratch_load_b128 v[1:4], off, off offset:216
	;; [unrolled: 1-line block ×5, first 2 shown]
	v_mov_b32_e32 v21, 0
	ds_load_2addr_b64 v[22:25], v21 offset0:89 offset1:90
	ds_load_2addr_b64 v[26:29], v21 offset0:91 offset1:92
	;; [unrolled: 1-line block ×3, first 2 shown]
	scratch_load_b64 v[36:37], off, off offset:192
	s_mov_b32 s0, exec_lo
	s_wait_loadcnt_dscnt 0x502
	v_mul_f32_e32 v34, v23, v6
	v_dual_mul_f32 v38, v22, v6 :: v_dual_mul_f32 v39, v24, v8
	v_mul_f32_e32 v6, v25, v8
	s_wait_loadcnt_dscnt 0x300
	v_mul_f32_e32 v40, v32, v12
	v_fma_f32 v22, v22, v5, -v34
	v_dual_fmac_f32 v38, v23, v5 :: v_dual_fmac_f32 v39, v25, v7
	v_fma_f32 v23, v24, v7, -v6
	v_dual_mul_f32 v24, v26, v2 :: v_dual_mul_f32 v25, v28, v4
	v_mul_f32_e32 v2, v27, v2
	v_mul_f32_e32 v4, v29, v4
	ds_load_2addr_b64 v[5:8], v21 offset0:95 offset1:96
	v_mul_f32_e32 v34, v30, v10
	v_dual_fmac_f32 v24, v27, v1 :: v_dual_fmac_f32 v25, v29, v3
	v_fma_f32 v26, v26, v1, -v2
	v_fma_f32 v27, v28, v3, -v4
	v_mul_f32_e32 v12, v33, v12
	scratch_load_b128 v[1:4], off, off offset:280
	v_mul_f32_e32 v10, v31, v10
	v_fmac_f32_e32 v34, v31, v9
	v_fmac_f32_e32 v40, v33, v11
	v_fma_f32 v29, v32, v11, -v12
	s_delay_alu instid0(VALU_DEP_4)
	v_fma_f32 v28, v30, v9, -v10
	ds_load_2addr_b64 v[9:12], v21 offset0:97 offset1:98
	s_wait_loadcnt_dscnt 0x301
	v_mul_f32_e32 v30, v5, v14
	v_dual_mul_f32 v14, v6, v14 :: v_dual_mul_f32 v31, v7, v16
	v_mul_f32_e32 v16, v8, v16
	s_delay_alu instid0(VALU_DEP_3) | instskip(NEXT) | instid1(VALU_DEP_3)
	v_fmac_f32_e32 v30, v6, v13
	v_fma_f32 v13, v5, v13, -v14
	s_delay_alu instid0(VALU_DEP_4) | instskip(NEXT) | instid1(VALU_DEP_4)
	v_fmac_f32_e32 v31, v8, v15
	v_fma_f32 v14, v7, v15, -v16
	ds_load_2addr_b64 v[5:8], v21 offset0:99 offset1:100
	s_wait_loadcnt_dscnt 0x201
	v_mul_f32_e32 v15, v9, v18
	v_mul_f32_e32 v16, v10, v18
	;; [unrolled: 1-line block ×3, first 2 shown]
	s_delay_alu instid0(VALU_DEP_3) | instskip(NEXT) | instid1(VALU_DEP_3)
	v_dual_mul_f32 v20, v12, v20 :: v_dual_fmac_f32 v15, v10, v17
	v_fma_f32 v16, v9, v17, -v16
	s_delay_alu instid0(VALU_DEP_3) | instskip(NEXT) | instid1(VALU_DEP_3)
	v_fmac_f32_e32 v18, v12, v19
	v_fma_f32 v17, v11, v19, -v20
	scratch_load_b128 v[9:12], off, off offset:296
	s_wait_loadcnt_dscnt 0x100
	v_mul_f32_e32 v19, v5, v2
	v_mul_f32_e32 v2, v6, v2
	;; [unrolled: 1-line block ×3, first 2 shown]
	s_delay_alu instid0(VALU_DEP_3) | instskip(NEXT) | instid1(VALU_DEP_3)
	v_dual_mul_f32 v4, v8, v4 :: v_dual_fmac_f32 v19, v6, v1
	v_fma_f32 v32, v5, v1, -v2
	s_delay_alu instid0(VALU_DEP_3) | instskip(NEXT) | instid1(VALU_DEP_3)
	v_fmac_f32_e32 v20, v8, v3
	v_fma_f32 v33, v7, v3, -v4
	ds_load_2addr_b64 v[1:4], v21 offset0:101 offset1:102
	ds_load_2addr_b64 v[5:8], v21 offset0:103 offset1:104
	s_wait_loadcnt_dscnt 0x1
	v_mul_f32_e32 v41, v1, v10
	v_mul_f32_e32 v10, v2, v10
	s_delay_alu instid0(VALU_DEP_2) | instskip(NEXT) | instid1(VALU_DEP_2)
	v_dual_mul_f32 v42, v3, v12 :: v_dual_fmac_f32 v41, v2, v9
	v_fma_f32 v43, v1, v9, -v10
	v_mul_f32_e32 v1, v4, v12
	s_delay_alu instid0(VALU_DEP_3) | instskip(NEXT) | instid1(VALU_DEP_2)
	v_fmac_f32_e32 v42, v4, v11
	v_fma_f32 v44, v3, v11, -v1
	s_clause 0x1
	scratch_load_b128 v[1:4], off, off offset:312
	scratch_load_b128 v[9:12], off, off offset:328
	s_wait_loadcnt_dscnt 0x100
	v_mul_f32_e32 v45, v5, v2
	v_dual_mul_f32 v2, v6, v2 :: v_dual_mul_f32 v47, v7, v4
	s_delay_alu instid0(VALU_DEP_2) | instskip(NEXT) | instid1(VALU_DEP_2)
	v_fmac_f32_e32 v45, v6, v1
	v_fma_f32 v46, v5, v1, -v2
	v_mul_f32_e32 v1, v8, v4
	s_delay_alu instid0(VALU_DEP_4) | instskip(NEXT) | instid1(VALU_DEP_2)
	v_fmac_f32_e32 v47, v8, v3
	v_fma_f32 v48, v7, v3, -v1
	ds_load_2addr_b64 v[1:4], v21 offset0:105 offset1:106
	ds_load_2addr_b64 v[5:8], v21 offset0:107 offset1:108
	s_wait_loadcnt_dscnt 0x1
	v_mul_f32_e32 v49, v1, v10
	v_mul_f32_e32 v51, v3, v12
	s_delay_alu instid0(VALU_DEP_2) | instskip(NEXT) | instid1(VALU_DEP_2)
	v_fmac_f32_e32 v49, v2, v9
	v_dual_mul_f32 v2, v2, v10 :: v_dual_fmac_f32 v51, v4, v11
	s_delay_alu instid0(VALU_DEP_1) | instskip(SKIP_1) | instid1(VALU_DEP_1)
	v_fma_f32 v50, v1, v9, -v2
	v_mul_f32_e32 v1, v4, v12
	v_fma_f32 v52, v3, v11, -v1
	s_clause 0x1
	scratch_load_b128 v[1:4], off, off offset:344
	scratch_load_b128 v[9:12], off, off offset:360
	s_wait_loadcnt_dscnt 0x100
	v_mul_f32_e32 v53, v5, v2
	v_dual_mul_f32 v2, v6, v2 :: v_dual_mul_f32 v55, v7, v4
	s_delay_alu instid0(VALU_DEP_2) | instskip(NEXT) | instid1(VALU_DEP_2)
	v_fmac_f32_e32 v53, v6, v1
	v_fma_f32 v54, v5, v1, -v2
	v_mul_f32_e32 v1, v8, v4
	s_delay_alu instid0(VALU_DEP_4) | instskip(NEXT) | instid1(VALU_DEP_2)
	v_fmac_f32_e32 v55, v8, v3
	v_fma_f32 v56, v7, v3, -v1
	ds_load_2addr_b64 v[1:4], v21 offset0:109 offset1:110
	ds_load_2addr_b64 v[5:8], v21 offset0:111 offset1:112
	s_wait_loadcnt_dscnt 0x1
	v_mul_f32_e32 v57, v1, v10
	v_mul_f32_e32 v59, v3, v12
	s_delay_alu instid0(VALU_DEP_2) | instskip(NEXT) | instid1(VALU_DEP_2)
	v_fmac_f32_e32 v57, v2, v9
	v_dual_mul_f32 v2, v2, v10 :: v_dual_fmac_f32 v59, v4, v11
	s_delay_alu instid0(VALU_DEP_1) | instskip(SKIP_1) | instid1(VALU_DEP_1)
	v_fma_f32 v58, v1, v9, -v2
	v_mul_f32_e32 v1, v4, v12
	;; [unrolled: 25-line block ×3, first 2 shown]
	v_fma_f32 v68, v3, v11, -v1
	s_clause 0x1
	scratch_load_b128 v[1:4], off, off offset:408
	scratch_load_b128 v[9:12], off, off offset:424
	s_wait_loadcnt_dscnt 0x100
	v_mul_f32_e32 v197, v5, v2
	v_mul_f32_e32 v2, v6, v2
	s_delay_alu instid0(VALU_DEP_1) | instskip(SKIP_1) | instid1(VALU_DEP_1)
	v_fma_f32 v198, v5, v1, -v2
	v_add_f32_e32 v2, 0, v38
	v_add_f32_e32 v2, v2, v39
	s_delay_alu instid0(VALU_DEP_1) | instskip(NEXT) | instid1(VALU_DEP_1)
	v_add_f32_e32 v2, v2, v24
	v_add_f32_e32 v2, v2, v25
	s_delay_alu instid0(VALU_DEP_1) | instskip(NEXT) | instid1(VALU_DEP_1)
	v_add_f32_e32 v2, v2, v34
	v_add_f32_e32 v2, v2, v40
	v_fmac_f32_e32 v197, v6, v1
	s_delay_alu instid0(VALU_DEP_2) | instskip(NEXT) | instid1(VALU_DEP_1)
	v_dual_add_f32 v2, v2, v30 :: v_dual_mul_f32 v199, v7, v4
	v_dual_add_f32 v2, v2, v31 :: v_dual_mul_f32 v1, v8, v4
	s_delay_alu instid0(VALU_DEP_1) | instskip(NEXT) | instid1(VALU_DEP_3)
	v_add_f32_e32 v2, v2, v15
	v_fmac_f32_e32 v199, v8, v3
	s_delay_alu instid0(VALU_DEP_3) | instskip(NEXT) | instid1(VALU_DEP_3)
	v_fma_f32 v200, v7, v3, -v1
	v_add_f32_e32 v2, v2, v18
	s_delay_alu instid0(VALU_DEP_1) | instskip(NEXT) | instid1(VALU_DEP_1)
	v_dual_add_f32 v1, 0, v22 :: v_dual_add_f32 v2, v2, v19
	v_dual_add_f32 v1, v1, v23 :: v_dual_add_f32 v2, v2, v20
	s_delay_alu instid0(VALU_DEP_1) | instskip(NEXT) | instid1(VALU_DEP_1)
	v_dual_add_f32 v1, v1, v26 :: v_dual_add_f32 v2, v2, v41
	v_add_f32_e32 v1, v1, v27
	scratch_load_b64 v[26:27], off, off offset:504
	v_add_f32_e32 v5, v2, v42
	v_add_f32_e32 v1, v1, v28
	s_delay_alu instid0(VALU_DEP_1) | instskip(NEXT) | instid1(VALU_DEP_1)
	v_add_f32_e32 v1, v1, v29
	v_add_f32_e32 v1, v1, v13
	s_delay_alu instid0(VALU_DEP_4) | instskip(NEXT) | instid1(VALU_DEP_1)
	v_add_f32_e32 v13, v5, v45
	v_add_f32_e32 v13, v13, v47
	s_delay_alu instid0(VALU_DEP_1) | instskip(NEXT) | instid1(VALU_DEP_1)
	v_add_f32_e32 v13, v13, v49
	v_add_f32_e32 v18, v13, v51
	s_delay_alu instid0(VALU_DEP_1) | instskip(NEXT) | instid1(VALU_DEP_1)
	v_dual_add_f32 v1, v1, v14 :: v_dual_add_f32 v18, v18, v53
	v_dual_add_f32 v1, v1, v16 :: v_dual_add_f32 v18, v18, v55
	s_delay_alu instid0(VALU_DEP_1) | instskip(NEXT) | instid1(VALU_DEP_1)
	v_add_f32_e32 v1, v1, v17
	v_dual_add_f32 v22, v18, v57 :: v_dual_add_f32 v1, v1, v32
	s_delay_alu instid0(VALU_DEP_1) | instskip(NEXT) | instid1(VALU_DEP_1)
	v_dual_add_f32 v22, v22, v59 :: v_dual_add_f32 v1, v1, v33
	v_add_f32_e32 v1, v1, v43
	s_delay_alu instid0(VALU_DEP_1) | instskip(NEXT) | instid1(VALU_DEP_1)
	v_add_f32_e32 v1, v1, v44
	v_add_f32_e32 v6, v1, v46
	scratch_load_b128 v[1:4], off, off offset:440
	v_add_f32_e32 v22, v22, v61
	v_add_f32_e32 v14, v6, v48
	ds_load_2addr_b64 v[5:8], v21 offset0:117 offset1:118
	v_add_f32_e32 v22, v22, v63
	v_add_f32_e32 v14, v14, v50
	s_delay_alu instid0(VALU_DEP_1)
	v_add_f32_e32 v17, v14, v52
	ds_load_2addr_b64 v[13:16], v21 offset0:119 offset1:120
	s_wait_loadcnt_dscnt 0x201
	v_mul_f32_e32 v30, v5, v10
	v_dual_mul_f32 v10, v6, v10 :: v_dual_mul_f32 v31, v7, v12
	v_mul_f32_e32 v12, v8, v12
	s_delay_alu instid0(VALU_DEP_3) | instskip(NEXT) | instid1(VALU_DEP_3)
	v_fmac_f32_e32 v30, v6, v9
	v_fma_f32 v32, v5, v9, -v10
	s_delay_alu instid0(VALU_DEP_4) | instskip(NEXT) | instid1(VALU_DEP_4)
	v_fmac_f32_e32 v31, v8, v11
	v_fma_f32 v33, v7, v11, -v12
	s_clause 0x1
	scratch_load_b128 v[5:8], off, off offset:456
	scratch_load_b128 v[9:12], off, off offset:472
	s_wait_loadcnt_dscnt 0x200
	v_mul_f32_e32 v34, v13, v2
	v_mul_f32_e32 v2, v14, v2
	v_dual_add_f32 v17, v17, v54 :: v_dual_mul_f32 v38, v15, v4
	v_mul_f32_e32 v4, v16, v4
	s_delay_alu instid0(VALU_DEP_4) | instskip(NEXT) | instid1(VALU_DEP_4)
	v_fmac_f32_e32 v34, v14, v1
	v_fma_f32 v39, v13, v1, -v2
	v_add_f32_e32 v13, v22, v65
	v_dual_add_f32 v17, v17, v56 :: v_dual_fmac_f32 v38, v16, v3
	v_fma_f32 v40, v15, v3, -v4
	ds_load_2addr_b64 v[1:4], v21 offset0:121 offset1:122
	v_add_f32_e32 v22, v13, v67
	v_add_f32_e32 v17, v17, v58
	s_delay_alu instid0(VALU_DEP_2) | instskip(NEXT) | instid1(VALU_DEP_1)
	v_add_f32_e32 v29, v22, v197
	v_add_f32_e32 v42, v29, v199
	s_delay_alu instid0(VALU_DEP_3) | instskip(SKIP_3) | instid1(VALU_DEP_1)
	v_add_f32_e32 v23, v17, v60
	scratch_load_b128 v[17:20], off, off offset:488
	v_add_f32_e32 v30, v42, v30
	v_add_f32_e32 v23, v23, v62
	;; [unrolled: 1-line block ×3, first 2 shown]
	s_delay_alu instid0(VALU_DEP_1) | instskip(NEXT) | instid1(VALU_DEP_1)
	v_add_f32_e32 v23, v23, v66
	v_add_f32_e32 v14, v23, v68
	ds_load_2addr_b64 v[22:25], v21 offset0:125 offset1:126
	v_add_f32_e32 v30, v30, v31
	v_add_f32_e32 v28, v14, v198
	ds_load_2addr_b64 v[13:16], v21 offset0:123 offset1:124
	s_wait_loadcnt_dscnt 0x202
	v_dual_add_f32 v30, v30, v34 :: v_dual_mul_f32 v31, v3, v8
	v_mul_f32_e32 v8, v4, v8
	v_add_f32_e32 v41, v28, v200
	ds_load_b64 v[28:29], v21 offset:1016
	v_add_f32_e32 v30, v30, v38
	v_add_f32_e32 v32, v41, v32
	s_delay_alu instid0(VALU_DEP_1) | instskip(SKIP_2) | instid1(VALU_DEP_2)
	v_dual_add_f32 v32, v32, v33 :: v_dual_mul_f32 v41, v1, v6
	v_mul_f32_e32 v6, v2, v6
	s_wait_loadcnt_dscnt 0x101
	v_dual_add_f32 v32, v32, v39 :: v_dual_mul_f32 v33, v13, v10
	v_mul_f32_e32 v34, v15, v12
	s_delay_alu instid0(VALU_DEP_3) | instskip(NEXT) | instid1(VALU_DEP_3)
	v_fma_f32 v1, v1, v5, -v6
	v_dual_fmac_f32 v41, v2, v5 :: v_dual_add_f32 v32, v32, v40
	v_fmac_f32_e32 v31, v4, v7
	v_fma_f32 v2, v3, v7, -v8
	s_wait_dscnt 0x0
	v_dual_mul_f32 v38, v28, v27 :: v_dual_mul_f32 v3, v14, v10
	v_add_f32_e32 v1, v32, v1
	v_add_f32_e32 v4, v30, v41
	s_delay_alu instid0(VALU_DEP_3) | instskip(NEXT) | instid1(VALU_DEP_4)
	v_dual_fmac_f32 v33, v14, v9 :: v_dual_fmac_f32 v38, v29, v26
	v_fma_f32 v3, v13, v9, -v3
	s_delay_alu instid0(VALU_DEP_4) | instskip(NEXT) | instid1(VALU_DEP_4)
	v_dual_add_f32 v1, v1, v2 :: v_dual_fmac_f32 v34, v16, v11
	v_add_f32_e32 v2, v4, v31
	s_delay_alu instid0(VALU_DEP_1) | instskip(NEXT) | instid1(VALU_DEP_1)
	v_dual_mul_f32 v5, v16, v12 :: v_dual_add_f32 v2, v2, v33
	v_fma_f32 v5, v15, v11, -v5
	s_delay_alu instid0(VALU_DEP_2) | instskip(SKIP_3) | instid1(VALU_DEP_2)
	v_dual_add_f32 v1, v1, v3 :: v_dual_add_f32 v2, v2, v34
	s_wait_loadcnt 0x0
	v_dual_mul_f32 v39, v22, v18 :: v_dual_mul_f32 v40, v24, v20
	v_mul_f32_e32 v4, v23, v18
	v_dual_fmac_f32 v39, v23, v17 :: v_dual_fmac_f32 v40, v25, v19
	v_mul_f32_e32 v3, v25, v20
	s_delay_alu instid0(VALU_DEP_3) | instskip(NEXT) | instid1(VALU_DEP_3)
	v_fma_f32 v4, v22, v17, -v4
	v_dual_add_f32 v2, v2, v39 :: v_dual_add_f32 v1, v1, v5
	s_delay_alu instid0(VALU_DEP_3) | instskip(NEXT) | instid1(VALU_DEP_2)
	v_fma_f32 v3, v24, v19, -v3
	v_dual_add_f32 v2, v2, v40 :: v_dual_mul_f32 v5, v29, v27
	s_delay_alu instid0(VALU_DEP_1) | instskip(NEXT) | instid1(VALU_DEP_2)
	v_dual_add_f32 v1, v1, v4 :: v_dual_add_f32 v2, v2, v38
	v_fma_f32 v4, v28, v26, -v5
	s_delay_alu instid0(VALU_DEP_2) | instskip(NEXT) | instid1(VALU_DEP_3)
	v_add_f32_e32 v1, v1, v3
	v_sub_f32_e32 v2, v37, v2
	s_delay_alu instid0(VALU_DEP_2) | instskip(NEXT) | instid1(VALU_DEP_1)
	v_add_f32_e32 v1, v1, v4
	v_sub_f32_e32 v1, v36, v1
	scratch_store_b64 off, v[1:2], off offset:192
	v_cmpx_lt_u32_e32 23, v0
	s_cbranch_execz .LBB63_351
; %bb.350:
	scratch_load_b64 v[1:2], off, off offset:184
	v_mov_b32_e32 v22, v21
	scratch_store_b64 off, v[21:22], off offset:184
	s_wait_loadcnt 0x0
	ds_store_b64 v35, v[1:2]
.LBB63_351:
	s_wait_alu 0xfffe
	s_or_b32 exec_lo, exec_lo, s0
	s_wait_storecnt_dscnt 0x0
	s_barrier_signal -1
	s_barrier_wait -1
	global_inv scope:SCOPE_SE
	s_clause 0x4
	scratch_load_b128 v[5:8], off, off offset:192
	scratch_load_b128 v[1:4], off, off offset:208
	;; [unrolled: 1-line block ×5, first 2 shown]
	ds_load_b128 v[22:25], v21 offset:704
	ds_load_b128 v[26:29], v21 offset:720
	;; [unrolled: 1-line block ×3, first 2 shown]
	scratch_load_b64 v[36:37], off, off offset:184
	s_mov_b32 s0, exec_lo
	s_wait_loadcnt_dscnt 0x502
	v_dual_mul_f32 v34, v23, v6 :: v_dual_mul_f32 v39, v24, v8
	v_mul_f32_e32 v38, v22, v6
	v_mul_f32_e32 v6, v25, v8
	s_wait_loadcnt_dscnt 0x300
	v_mul_f32_e32 v40, v32, v12
	v_fma_f32 v22, v22, v5, -v34
	v_dual_fmac_f32 v39, v25, v7 :: v_dual_fmac_f32 v38, v23, v5
	v_mul_f32_e32 v25, v28, v4
	v_fma_f32 v23, v24, v7, -v6
	ds_load_b128 v[5:8], v21 offset:752
	v_mul_f32_e32 v24, v26, v2
	v_mul_f32_e32 v4, v29, v4
	;; [unrolled: 1-line block ×5, first 2 shown]
	v_dual_mul_f32 v2, v27, v2 :: v_dual_fmac_f32 v25, v29, v3
	v_fmac_f32_e32 v24, v27, v1
	v_fma_f32 v27, v28, v3, -v4
	v_fmac_f32_e32 v34, v31, v9
	v_fma_f32 v28, v30, v9, -v10
	;; [unrolled: 2-line block ×3, first 2 shown]
	ds_load_b128 v[9:12], v21 offset:768
	s_wait_loadcnt_dscnt 0x201
	v_mul_f32_e32 v30, v5, v14
	v_dual_mul_f32 v14, v6, v14 :: v_dual_mul_f32 v31, v7, v16
	v_mul_f32_e32 v16, v8, v16
	s_delay_alu instid0(VALU_DEP_3) | instskip(NEXT) | instid1(VALU_DEP_3)
	v_fmac_f32_e32 v30, v6, v13
	v_fma_f32 v13, v5, v13, -v14
	s_delay_alu instid0(VALU_DEP_4) | instskip(NEXT) | instid1(VALU_DEP_4)
	v_fmac_f32_e32 v31, v8, v15
	v_fma_f32 v14, v7, v15, -v16
	ds_load_b128 v[5:8], v21 offset:784
	s_wait_loadcnt_dscnt 0x101
	v_mul_f32_e32 v15, v9, v18
	v_mul_f32_e32 v16, v10, v18
	;; [unrolled: 1-line block ×3, first 2 shown]
	s_delay_alu instid0(VALU_DEP_3)
	v_dual_mul_f32 v20, v12, v20 :: v_dual_fmac_f32 v15, v10, v17
	v_fma_f32 v26, v26, v1, -v2
	scratch_load_b128 v[1:4], off, off offset:272
	v_fma_f32 v16, v9, v17, -v16
	v_fmac_f32_e32 v18, v12, v19
	v_fma_f32 v17, v11, v19, -v20
	scratch_load_b128 v[9:12], off, off offset:288
	s_wait_loadcnt_dscnt 0x100
	v_mul_f32_e32 v19, v5, v2
	v_mul_f32_e32 v2, v6, v2
	;; [unrolled: 1-line block ×3, first 2 shown]
	s_delay_alu instid0(VALU_DEP_3) | instskip(NEXT) | instid1(VALU_DEP_3)
	v_dual_mul_f32 v4, v8, v4 :: v_dual_fmac_f32 v19, v6, v1
	v_fma_f32 v32, v5, v1, -v2
	s_delay_alu instid0(VALU_DEP_3) | instskip(NEXT) | instid1(VALU_DEP_3)
	v_fmac_f32_e32 v20, v8, v3
	v_fma_f32 v33, v7, v3, -v4
	ds_load_b128 v[1:4], v21 offset:800
	ds_load_b128 v[5:8], v21 offset:816
	s_wait_loadcnt_dscnt 0x1
	v_mul_f32_e32 v41, v1, v10
	v_mul_f32_e32 v10, v2, v10
	s_delay_alu instid0(VALU_DEP_2) | instskip(NEXT) | instid1(VALU_DEP_2)
	v_dual_mul_f32 v42, v3, v12 :: v_dual_fmac_f32 v41, v2, v9
	v_fma_f32 v43, v1, v9, -v10
	v_mul_f32_e32 v1, v4, v12
	s_delay_alu instid0(VALU_DEP_3) | instskip(NEXT) | instid1(VALU_DEP_2)
	v_fmac_f32_e32 v42, v4, v11
	v_fma_f32 v44, v3, v11, -v1
	s_clause 0x1
	scratch_load_b128 v[1:4], off, off offset:304
	scratch_load_b128 v[9:12], off, off offset:320
	s_wait_loadcnt_dscnt 0x100
	v_mul_f32_e32 v45, v5, v2
	v_dual_mul_f32 v2, v6, v2 :: v_dual_mul_f32 v47, v7, v4
	s_delay_alu instid0(VALU_DEP_2) | instskip(NEXT) | instid1(VALU_DEP_2)
	v_fmac_f32_e32 v45, v6, v1
	v_fma_f32 v46, v5, v1, -v2
	v_mul_f32_e32 v1, v8, v4
	s_delay_alu instid0(VALU_DEP_4) | instskip(NEXT) | instid1(VALU_DEP_2)
	v_fmac_f32_e32 v47, v8, v3
	v_fma_f32 v48, v7, v3, -v1
	ds_load_b128 v[1:4], v21 offset:832
	ds_load_b128 v[5:8], v21 offset:848
	s_wait_loadcnt_dscnt 0x1
	v_mul_f32_e32 v49, v1, v10
	v_mul_f32_e32 v51, v3, v12
	s_delay_alu instid0(VALU_DEP_2) | instskip(NEXT) | instid1(VALU_DEP_2)
	v_fmac_f32_e32 v49, v2, v9
	v_dual_mul_f32 v2, v2, v10 :: v_dual_fmac_f32 v51, v4, v11
	s_delay_alu instid0(VALU_DEP_1) | instskip(SKIP_1) | instid1(VALU_DEP_1)
	v_fma_f32 v50, v1, v9, -v2
	v_mul_f32_e32 v1, v4, v12
	v_fma_f32 v52, v3, v11, -v1
	s_clause 0x1
	scratch_load_b128 v[1:4], off, off offset:336
	scratch_load_b128 v[9:12], off, off offset:352
	s_wait_loadcnt_dscnt 0x100
	v_mul_f32_e32 v53, v5, v2
	v_dual_mul_f32 v2, v6, v2 :: v_dual_mul_f32 v55, v7, v4
	s_delay_alu instid0(VALU_DEP_2) | instskip(NEXT) | instid1(VALU_DEP_2)
	v_fmac_f32_e32 v53, v6, v1
	v_fma_f32 v54, v5, v1, -v2
	v_mul_f32_e32 v1, v8, v4
	s_delay_alu instid0(VALU_DEP_4) | instskip(NEXT) | instid1(VALU_DEP_2)
	v_fmac_f32_e32 v55, v8, v3
	v_fma_f32 v56, v7, v3, -v1
	ds_load_b128 v[1:4], v21 offset:864
	ds_load_b128 v[5:8], v21 offset:880
	s_wait_loadcnt_dscnt 0x1
	v_mul_f32_e32 v57, v1, v10
	v_mul_f32_e32 v59, v3, v12
	s_delay_alu instid0(VALU_DEP_2) | instskip(NEXT) | instid1(VALU_DEP_2)
	v_fmac_f32_e32 v57, v2, v9
	v_dual_mul_f32 v2, v2, v10 :: v_dual_fmac_f32 v59, v4, v11
	s_delay_alu instid0(VALU_DEP_1) | instskip(SKIP_1) | instid1(VALU_DEP_1)
	v_fma_f32 v58, v1, v9, -v2
	v_mul_f32_e32 v1, v4, v12
	;; [unrolled: 25-line block ×4, first 2 shown]
	v_fma_f32 v204, v3, v11, -v1
	s_clause 0x1
	scratch_load_b128 v[1:4], off, off offset:432
	scratch_load_b128 v[9:12], off, off offset:448
	s_wait_loadcnt_dscnt 0x100
	v_mul_f32_e32 v205, v5, v2
	v_mul_f32_e32 v2, v6, v2
	s_delay_alu instid0(VALU_DEP_1) | instskip(SKIP_1) | instid1(VALU_DEP_1)
	v_fma_f32 v206, v5, v1, -v2
	v_add_f32_e32 v2, 0, v38
	v_add_f32_e32 v2, v2, v39
	s_delay_alu instid0(VALU_DEP_1) | instskip(NEXT) | instid1(VALU_DEP_1)
	v_add_f32_e32 v2, v2, v24
	v_add_f32_e32 v2, v2, v25
	s_delay_alu instid0(VALU_DEP_1) | instskip(NEXT) | instid1(VALU_DEP_1)
	v_add_f32_e32 v2, v2, v34
	v_add_f32_e32 v2, v2, v40
	s_delay_alu instid0(VALU_DEP_1) | instskip(NEXT) | instid1(VALU_DEP_1)
	v_add_f32_e32 v2, v2, v30
	v_add_f32_e32 v2, v2, v31
	s_delay_alu instid0(VALU_DEP_1) | instskip(NEXT) | instid1(VALU_DEP_1)
	v_add_f32_e32 v2, v2, v15
	v_add_f32_e32 v2, v2, v18
	s_delay_alu instid0(VALU_DEP_1) | instskip(NEXT) | instid1(VALU_DEP_1)
	v_add_f32_e32 v2, v2, v19
	v_add_f32_e32 v2, v2, v20
	s_delay_alu instid0(VALU_DEP_1) | instskip(SKIP_1) | instid1(VALU_DEP_2)
	v_dual_add_f32 v2, v2, v41 :: v_dual_mul_f32 v207, v7, v4
	v_fmac_f32_e32 v205, v6, v1
	v_dual_add_f32 v2, v2, v42 :: v_dual_fmac_f32 v207, v8, v3
	s_delay_alu instid0(VALU_DEP_1) | instskip(NEXT) | instid1(VALU_DEP_1)
	v_dual_add_f32 v2, v2, v45 :: v_dual_mul_f32 v1, v8, v4
	v_add_f32_e32 v2, v2, v47
	s_delay_alu instid0(VALU_DEP_2) | instskip(SKIP_1) | instid1(VALU_DEP_1)
	v_fma_f32 v208, v7, v3, -v1
	v_add_f32_e32 v1, 0, v22
	v_add_f32_e32 v1, v1, v23
	s_delay_alu instid0(VALU_DEP_1) | instskip(NEXT) | instid1(VALU_DEP_1)
	v_add_f32_e32 v1, v1, v26
	v_add_f32_e32 v1, v1, v27
	s_delay_alu instid0(VALU_DEP_1) | instskip(NEXT) | instid1(VALU_DEP_1)
	;; [unrolled: 3-line block ×10, first 2 shown]
	v_add_f32_e32 v13, v13, v58
	v_add_f32_e32 v13, v13, v60
	s_delay_alu instid0(VALU_DEP_1) | instskip(SKIP_3) | instid1(VALU_DEP_1)
	v_add_f32_e32 v13, v13, v62
	v_add_f32_e32 v5, v2, v49
	ds_load_b128 v[1:4], v21 offset:960
	v_add_f32_e32 v18, v13, v64
	v_dual_add_f32 v5, v5, v51 :: v_dual_add_f32 v18, v18, v66
	s_delay_alu instid0(VALU_DEP_1) | instskip(NEXT) | instid1(VALU_DEP_1)
	v_dual_add_f32 v5, v5, v53 :: v_dual_add_f32 v18, v18, v68
	v_add_f32_e32 v14, v5, v55
	ds_load_b128 v[5:8], v21 offset:976
	v_add_f32_e32 v22, v18, v198
	s_wait_loadcnt_dscnt 0x1
	v_dual_add_f32 v14, v14, v57 :: v_dual_mul_f32 v25, v1, v10
	v_mul_f32_e32 v26, v3, v12
	v_mul_f32_e32 v10, v2, v10
	;; [unrolled: 1-line block ×3, first 2 shown]
	s_delay_alu instid0(VALU_DEP_4) | instskip(NEXT) | instid1(VALU_DEP_4)
	v_add_f32_e32 v14, v14, v59
	v_dual_fmac_f32 v25, v2, v9 :: v_dual_fmac_f32 v26, v4, v11
	s_delay_alu instid0(VALU_DEP_4) | instskip(NEXT) | instid1(VALU_DEP_4)
	v_fma_f32 v27, v1, v9, -v10
	v_fma_f32 v28, v3, v11, -v12
	s_delay_alu instid0(VALU_DEP_4)
	v_add_f32_e32 v17, v14, v61
	s_clause 0x2
	scratch_load_b128 v[13:16], off, off offset:496
	scratch_load_b128 v[1:4], off, off offset:464
	;; [unrolled: 1-line block ×3, first 2 shown]
	v_add_f32_e32 v29, v22, v200
	v_add_f32_e32 v17, v17, v63
	s_delay_alu instid0(VALU_DEP_2) | instskip(NEXT) | instid1(VALU_DEP_2)
	v_add_f32_e32 v29, v29, v202
	v_add_f32_e32 v17, v17, v65
	s_delay_alu instid0(VALU_DEP_2) | instskip(NEXT) | instid1(VALU_DEP_2)
	;; [unrolled: 3-line block ×3, first 2 shown]
	v_add_f32_e32 v29, v29, v206
	v_add_f32_e32 v23, v17, v197
	ds_load_b128 v[17:20], v21 offset:992
	v_dual_add_f32 v29, v29, v208 :: v_dual_add_f32 v30, v23, v199
	ds_load_b128 v[21:24], v21 offset:1008
	v_dual_add_f32 v27, v29, v27 :: v_dual_add_f32 v30, v30, v201
	s_delay_alu instid0(VALU_DEP_1) | instskip(NEXT) | instid1(VALU_DEP_1)
	v_add_f32_e32 v30, v30, v203
	v_add_f32_e32 v30, v30, v205
	s_delay_alu instid0(VALU_DEP_1) | instskip(NEXT) | instid1(VALU_DEP_1)
	v_add_f32_e32 v30, v30, v207
	v_add_f32_e32 v25, v30, v25
	s_wait_loadcnt_dscnt 0x200
	v_mul_f32_e32 v29, v23, v16
	s_wait_loadcnt 0x1
	v_mul_f32_e32 v32, v7, v4
	s_wait_loadcnt 0x0
	v_dual_mul_f32 v4, v8, v4 :: v_dual_mul_f32 v33, v17, v10
	v_dual_mul_f32 v34, v19, v12 :: v_dual_fmac_f32 v29, v24, v15
	v_mul_f32_e32 v31, v5, v2
	v_mul_f32_e32 v2, v6, v2
	v_fmac_f32_e32 v32, v8, v3
	v_fma_f32 v3, v7, v3, -v4
	s_delay_alu instid0(VALU_DEP_4) | instskip(NEXT) | instid1(VALU_DEP_4)
	v_dual_mul_f32 v4, v20, v12 :: v_dual_fmac_f32 v31, v6, v1
	v_fma_f32 v2, v5, v1, -v2
	v_add_f32_e32 v1, v27, v28
	v_add_f32_e32 v5, v25, v26
	v_mul_f32_e32 v6, v18, v10
	v_dual_fmac_f32 v33, v18, v9 :: v_dual_mul_f32 v38, v21, v14
	s_delay_alu instid0(VALU_DEP_4) | instskip(NEXT) | instid1(VALU_DEP_4)
	v_add_f32_e32 v1, v1, v2
	v_add_f32_e32 v2, v5, v31
	s_delay_alu instid0(VALU_DEP_4) | instskip(SKIP_2) | instid1(VALU_DEP_4)
	v_fma_f32 v5, v17, v9, -v6
	v_fmac_f32_e32 v34, v20, v11
	v_fma_f32 v4, v19, v11, -v4
	v_dual_add_f32 v1, v1, v3 :: v_dual_add_f32 v2, v2, v32
	v_mul_f32_e32 v3, v22, v14
	v_fmac_f32_e32 v38, v22, v13
	s_delay_alu instid0(VALU_DEP_3) | instskip(NEXT) | instid1(VALU_DEP_4)
	v_add_f32_e32 v1, v1, v5
	v_dual_add_f32 v2, v2, v33 :: v_dual_mul_f32 v5, v24, v16
	s_delay_alu instid0(VALU_DEP_4) | instskip(NEXT) | instid1(VALU_DEP_2)
	v_fma_f32 v3, v21, v13, -v3
	v_dual_add_f32 v1, v1, v4 :: v_dual_add_f32 v2, v2, v34
	s_delay_alu instid0(VALU_DEP_3) | instskip(NEXT) | instid1(VALU_DEP_2)
	v_fma_f32 v4, v23, v15, -v5
	v_dual_add_f32 v1, v1, v3 :: v_dual_add_f32 v2, v2, v38
	s_delay_alu instid0(VALU_DEP_1) | instskip(NEXT) | instid1(VALU_DEP_1)
	v_dual_add_f32 v1, v1, v4 :: v_dual_add_f32 v2, v2, v29
	v_dual_sub_f32 v1, v36, v1 :: v_dual_sub_f32 v2, v37, v2
	scratch_store_b64 off, v[1:2], off offset:184
	v_cmpx_lt_u32_e32 22, v0
	s_cbranch_execz .LBB63_353
; %bb.352:
	scratch_load_b64 v[1:2], off, off offset:176
	v_mov_b32_e32 v3, 0
	s_delay_alu instid0(VALU_DEP_1)
	v_mov_b32_e32 v4, v3
	scratch_store_b64 off, v[3:4], off offset:176
	s_wait_loadcnt 0x0
	ds_store_b64 v35, v[1:2]
.LBB63_353:
	s_wait_alu 0xfffe
	s_or_b32 exec_lo, exec_lo, s0
	s_wait_storecnt_dscnt 0x0
	s_barrier_signal -1
	s_barrier_wait -1
	global_inv scope:SCOPE_SE
	s_clause 0x4
	scratch_load_b128 v[5:8], off, off offset:184
	scratch_load_b128 v[1:4], off, off offset:200
	;; [unrolled: 1-line block ×5, first 2 shown]
	v_mov_b32_e32 v21, 0
	ds_load_2addr_b64 v[22:25], v21 offset0:87 offset1:88
	ds_load_2addr_b64 v[26:29], v21 offset0:89 offset1:90
	;; [unrolled: 1-line block ×3, first 2 shown]
	scratch_load_b64 v[36:37], off, off offset:176
	s_mov_b32 s0, exec_lo
	s_wait_loadcnt_dscnt 0x502
	v_mul_f32_e32 v34, v23, v6
	v_dual_mul_f32 v38, v22, v6 :: v_dual_mul_f32 v39, v24, v8
	v_mul_f32_e32 v6, v25, v8
	s_wait_loadcnt_dscnt 0x300
	v_mul_f32_e32 v40, v32, v12
	v_fma_f32 v22, v22, v5, -v34
	v_dual_fmac_f32 v38, v23, v5 :: v_dual_fmac_f32 v39, v25, v7
	v_fma_f32 v23, v24, v7, -v6
	v_dual_mul_f32 v24, v26, v2 :: v_dual_mul_f32 v25, v28, v4
	v_mul_f32_e32 v2, v27, v2
	v_mul_f32_e32 v4, v29, v4
	ds_load_2addr_b64 v[5:8], v21 offset0:93 offset1:94
	v_mul_f32_e32 v34, v30, v10
	v_dual_fmac_f32 v24, v27, v1 :: v_dual_fmac_f32 v25, v29, v3
	v_fma_f32 v26, v26, v1, -v2
	v_fma_f32 v27, v28, v3, -v4
	v_mul_f32_e32 v12, v33, v12
	scratch_load_b128 v[1:4], off, off offset:264
	v_mul_f32_e32 v10, v31, v10
	v_fmac_f32_e32 v34, v31, v9
	v_fmac_f32_e32 v40, v33, v11
	v_fma_f32 v29, v32, v11, -v12
	s_delay_alu instid0(VALU_DEP_4)
	v_fma_f32 v28, v30, v9, -v10
	ds_load_2addr_b64 v[9:12], v21 offset0:95 offset1:96
	s_wait_loadcnt_dscnt 0x301
	v_mul_f32_e32 v30, v5, v14
	v_dual_mul_f32 v14, v6, v14 :: v_dual_mul_f32 v31, v7, v16
	v_mul_f32_e32 v16, v8, v16
	s_delay_alu instid0(VALU_DEP_3) | instskip(NEXT) | instid1(VALU_DEP_3)
	v_fmac_f32_e32 v30, v6, v13
	v_fma_f32 v13, v5, v13, -v14
	s_delay_alu instid0(VALU_DEP_4) | instskip(NEXT) | instid1(VALU_DEP_4)
	v_fmac_f32_e32 v31, v8, v15
	v_fma_f32 v14, v7, v15, -v16
	ds_load_2addr_b64 v[5:8], v21 offset0:97 offset1:98
	s_wait_loadcnt_dscnt 0x201
	v_mul_f32_e32 v15, v9, v18
	v_mul_f32_e32 v16, v10, v18
	;; [unrolled: 1-line block ×3, first 2 shown]
	s_delay_alu instid0(VALU_DEP_3) | instskip(NEXT) | instid1(VALU_DEP_3)
	v_dual_mul_f32 v20, v12, v20 :: v_dual_fmac_f32 v15, v10, v17
	v_fma_f32 v16, v9, v17, -v16
	s_delay_alu instid0(VALU_DEP_3) | instskip(NEXT) | instid1(VALU_DEP_3)
	v_fmac_f32_e32 v18, v12, v19
	v_fma_f32 v17, v11, v19, -v20
	scratch_load_b128 v[9:12], off, off offset:280
	s_wait_loadcnt_dscnt 0x100
	v_mul_f32_e32 v19, v5, v2
	v_mul_f32_e32 v2, v6, v2
	;; [unrolled: 1-line block ×3, first 2 shown]
	s_delay_alu instid0(VALU_DEP_3) | instskip(NEXT) | instid1(VALU_DEP_3)
	v_dual_mul_f32 v4, v8, v4 :: v_dual_fmac_f32 v19, v6, v1
	v_fma_f32 v32, v5, v1, -v2
	s_delay_alu instid0(VALU_DEP_3) | instskip(NEXT) | instid1(VALU_DEP_3)
	v_fmac_f32_e32 v20, v8, v3
	v_fma_f32 v33, v7, v3, -v4
	ds_load_2addr_b64 v[1:4], v21 offset0:99 offset1:100
	ds_load_2addr_b64 v[5:8], v21 offset0:101 offset1:102
	s_wait_loadcnt_dscnt 0x1
	v_mul_f32_e32 v41, v1, v10
	v_mul_f32_e32 v10, v2, v10
	s_delay_alu instid0(VALU_DEP_2) | instskip(NEXT) | instid1(VALU_DEP_2)
	v_dual_mul_f32 v42, v3, v12 :: v_dual_fmac_f32 v41, v2, v9
	v_fma_f32 v43, v1, v9, -v10
	v_mul_f32_e32 v1, v4, v12
	s_delay_alu instid0(VALU_DEP_3) | instskip(NEXT) | instid1(VALU_DEP_2)
	v_fmac_f32_e32 v42, v4, v11
	v_fma_f32 v44, v3, v11, -v1
	s_clause 0x1
	scratch_load_b128 v[1:4], off, off offset:296
	scratch_load_b128 v[9:12], off, off offset:312
	s_wait_loadcnt_dscnt 0x100
	v_mul_f32_e32 v45, v5, v2
	v_dual_mul_f32 v2, v6, v2 :: v_dual_mul_f32 v47, v7, v4
	s_delay_alu instid0(VALU_DEP_2) | instskip(NEXT) | instid1(VALU_DEP_2)
	v_fmac_f32_e32 v45, v6, v1
	v_fma_f32 v46, v5, v1, -v2
	v_mul_f32_e32 v1, v8, v4
	s_delay_alu instid0(VALU_DEP_4) | instskip(NEXT) | instid1(VALU_DEP_2)
	v_fmac_f32_e32 v47, v8, v3
	v_fma_f32 v48, v7, v3, -v1
	ds_load_2addr_b64 v[1:4], v21 offset0:103 offset1:104
	ds_load_2addr_b64 v[5:8], v21 offset0:105 offset1:106
	s_wait_loadcnt_dscnt 0x1
	v_mul_f32_e32 v49, v1, v10
	v_mul_f32_e32 v51, v3, v12
	s_delay_alu instid0(VALU_DEP_2) | instskip(NEXT) | instid1(VALU_DEP_2)
	v_fmac_f32_e32 v49, v2, v9
	v_dual_mul_f32 v2, v2, v10 :: v_dual_fmac_f32 v51, v4, v11
	s_delay_alu instid0(VALU_DEP_1) | instskip(SKIP_1) | instid1(VALU_DEP_1)
	v_fma_f32 v50, v1, v9, -v2
	v_mul_f32_e32 v1, v4, v12
	v_fma_f32 v52, v3, v11, -v1
	s_clause 0x1
	scratch_load_b128 v[1:4], off, off offset:328
	scratch_load_b128 v[9:12], off, off offset:344
	s_wait_loadcnt_dscnt 0x100
	v_mul_f32_e32 v53, v5, v2
	v_dual_mul_f32 v2, v6, v2 :: v_dual_mul_f32 v55, v7, v4
	s_delay_alu instid0(VALU_DEP_2) | instskip(NEXT) | instid1(VALU_DEP_2)
	v_fmac_f32_e32 v53, v6, v1
	v_fma_f32 v54, v5, v1, -v2
	v_mul_f32_e32 v1, v8, v4
	s_delay_alu instid0(VALU_DEP_4) | instskip(NEXT) | instid1(VALU_DEP_2)
	v_fmac_f32_e32 v55, v8, v3
	v_fma_f32 v56, v7, v3, -v1
	ds_load_2addr_b64 v[1:4], v21 offset0:107 offset1:108
	ds_load_2addr_b64 v[5:8], v21 offset0:109 offset1:110
	s_wait_loadcnt_dscnt 0x1
	v_mul_f32_e32 v57, v1, v10
	v_mul_f32_e32 v59, v3, v12
	s_delay_alu instid0(VALU_DEP_2) | instskip(NEXT) | instid1(VALU_DEP_2)
	v_fmac_f32_e32 v57, v2, v9
	v_dual_mul_f32 v2, v2, v10 :: v_dual_fmac_f32 v59, v4, v11
	s_delay_alu instid0(VALU_DEP_1) | instskip(SKIP_1) | instid1(VALU_DEP_1)
	v_fma_f32 v58, v1, v9, -v2
	v_mul_f32_e32 v1, v4, v12
	;; [unrolled: 25-line block ×4, first 2 shown]
	v_fma_f32 v204, v3, v11, -v1
	s_clause 0x1
	scratch_load_b128 v[1:4], off, off offset:424
	scratch_load_b128 v[9:12], off, off offset:440
	s_wait_loadcnt_dscnt 0x100
	v_mul_f32_e32 v205, v5, v2
	v_mul_f32_e32 v2, v6, v2
	s_delay_alu instid0(VALU_DEP_1) | instskip(SKIP_1) | instid1(VALU_DEP_1)
	v_fma_f32 v206, v5, v1, -v2
	v_add_f32_e32 v2, 0, v38
	v_add_f32_e32 v2, v2, v39
	s_delay_alu instid0(VALU_DEP_1) | instskip(NEXT) | instid1(VALU_DEP_1)
	v_add_f32_e32 v2, v2, v24
	v_add_f32_e32 v2, v2, v25
	s_delay_alu instid0(VALU_DEP_1) | instskip(NEXT) | instid1(VALU_DEP_1)
	;; [unrolled: 3-line block ×5, first 2 shown]
	v_add_f32_e32 v2, v2, v19
	v_add_f32_e32 v2, v2, v20
	s_delay_alu instid0(VALU_DEP_1) | instskip(SKIP_1) | instid1(VALU_DEP_2)
	v_dual_add_f32 v2, v2, v41 :: v_dual_mul_f32 v207, v7, v4
	v_fmac_f32_e32 v205, v6, v1
	v_dual_add_f32 v2, v2, v42 :: v_dual_fmac_f32 v207, v8, v3
	s_delay_alu instid0(VALU_DEP_1) | instskip(NEXT) | instid1(VALU_DEP_1)
	v_dual_add_f32 v2, v2, v45 :: v_dual_mul_f32 v1, v8, v4
	v_add_f32_e32 v2, v2, v47
	s_delay_alu instid0(VALU_DEP_2) | instskip(SKIP_1) | instid1(VALU_DEP_3)
	v_fma_f32 v208, v7, v3, -v1
	v_add_f32_e32 v1, 0, v22
	v_add_f32_e32 v5, v2, v49
	s_delay_alu instid0(VALU_DEP_2) | instskip(NEXT) | instid1(VALU_DEP_2)
	v_add_f32_e32 v1, v1, v23
	v_add_f32_e32 v5, v5, v51
	s_delay_alu instid0(VALU_DEP_2) | instskip(NEXT) | instid1(VALU_DEP_1)
	v_add_f32_e32 v1, v1, v26
	v_add_f32_e32 v1, v1, v27
	scratch_load_b64 v[26:27], off, off offset:504
	v_add_f32_e32 v1, v1, v28
	s_delay_alu instid0(VALU_DEP_1) | instskip(NEXT) | instid1(VALU_DEP_1)
	v_add_f32_e32 v1, v1, v29
	v_add_f32_e32 v1, v1, v13
	s_delay_alu instid0(VALU_DEP_1) | instskip(NEXT) | instid1(VALU_DEP_1)
	v_add_f32_e32 v1, v1, v14
	;; [unrolled: 3-line block ×6, first 2 shown]
	v_add_f32_e32 v1, v1, v50
	s_delay_alu instid0(VALU_DEP_1) | instskip(SKIP_2) | instid1(VALU_DEP_1)
	v_add_f32_e32 v6, v1, v52
	ds_load_2addr_b64 v[1:4], v21 offset0:119 offset1:120
	v_add_f32_e32 v6, v6, v54
	v_add_f32_e32 v13, v6, v56
	s_delay_alu instid0(VALU_DEP_1) | instskip(NEXT) | instid1(VALU_DEP_1)
	v_add_f32_e32 v13, v13, v58
	v_add_f32_e32 v13, v13, v60
	s_delay_alu instid0(VALU_DEP_1) | instskip(NEXT) | instid1(VALU_DEP_1)
	;; [unrolled: 3-line block ×6, first 2 shown]
	v_add_f32_e32 v34, v34, v206
	v_dual_add_f32 v34, v34, v208 :: v_dual_add_f32 v5, v5, v53
	s_delay_alu instid0(VALU_DEP_1)
	v_add_f32_e32 v14, v5, v55
	ds_load_2addr_b64 v[5:8], v21 offset0:121 offset1:122
	s_wait_loadcnt_dscnt 0x101
	v_mul_f32_e32 v30, v1, v10
	v_mul_f32_e32 v10, v2, v10
	v_add_f32_e32 v14, v14, v57
	s_delay_alu instid0(VALU_DEP_3) | instskip(NEXT) | instid1(VALU_DEP_3)
	v_fmac_f32_e32 v30, v2, v9
	v_fma_f32 v32, v1, v9, -v10
	s_delay_alu instid0(VALU_DEP_3) | instskip(NEXT) | instid1(VALU_DEP_2)
	v_add_f32_e32 v14, v14, v59
	v_add_f32_e32 v32, v34, v32
	s_delay_alu instid0(VALU_DEP_2) | instskip(SKIP_2) | instid1(VALU_DEP_1)
	v_add_f32_e32 v17, v14, v61
	scratch_load_b128 v[13:16], off, off offset:488
	v_add_f32_e32 v17, v17, v63
	v_add_f32_e32 v17, v17, v65
	s_delay_alu instid0(VALU_DEP_1) | instskip(NEXT) | instid1(VALU_DEP_1)
	v_add_f32_e32 v17, v17, v67
	v_add_f32_e32 v17, v17, v197
	s_delay_alu instid0(VALU_DEP_1)
	v_add_f32_e32 v22, v17, v199
	ds_load_2addr_b64 v[17:20], v21 offset0:123 offset1:124
	v_mul_f32_e32 v31, v3, v12
	v_dual_mul_f32 v12, v4, v12 :: v_dual_add_f32 v29, v22, v201
	ds_load_2addr_b64 v[22:25], v21 offset0:125 offset1:126
	v_fmac_f32_e32 v31, v4, v11
	v_fma_f32 v33, v3, v11, -v12
	s_clause 0x1
	scratch_load_b128 v[1:4], off, off offset:456
	scratch_load_b128 v[9:12], off, off offset:472
	v_add_f32_e32 v38, v29, v203
	ds_load_b64 v[28:29], v21 offset:1016
	v_add_f32_e32 v32, v32, v33
	v_add_f32_e32 v38, v38, v205
	s_delay_alu instid0(VALU_DEP_1) | instskip(NEXT) | instid1(VALU_DEP_1)
	v_add_f32_e32 v38, v38, v207
	v_add_f32_e32 v30, v38, v30
	s_wait_loadcnt_dscnt 0x201
	v_mul_f32_e32 v41, v22, v14
	s_delay_alu instid0(VALU_DEP_1)
	v_fmac_f32_e32 v41, v23, v13
	s_wait_loadcnt 0x1
	v_mul_f32_e32 v40, v7, v4
	s_wait_loadcnt 0x0
	v_mul_f32_e32 v34, v17, v10
	v_dual_mul_f32 v38, v19, v12 :: v_dual_mul_f32 v39, v5, v2
	v_mul_f32_e32 v2, v6, v2
	v_mul_f32_e32 v4, v8, v4
	s_delay_alu instid0(VALU_DEP_4)
	v_fmac_f32_e32 v34, v18, v9
	v_add_f32_e32 v30, v30, v31
	v_fmac_f32_e32 v38, v20, v11
	v_fma_f32 v2, v5, v1, -v2
	v_dual_fmac_f32 v39, v6, v1 :: v_dual_fmac_f32 v40, v8, v3
	v_fma_f32 v1, v7, v3, -v4
	v_mul_f32_e32 v3, v18, v10
	s_delay_alu instid0(VALU_DEP_4) | instskip(NEXT) | instid1(VALU_DEP_4)
	v_add_f32_e32 v2, v32, v2
	v_add_f32_e32 v4, v30, v39
	s_delay_alu instid0(VALU_DEP_3) | instskip(NEXT) | instid1(VALU_DEP_2)
	v_fma_f32 v3, v17, v9, -v3
	v_dual_add_f32 v1, v2, v1 :: v_dual_add_f32 v2, v4, v40
	v_dual_mul_f32 v33, v24, v16 :: v_dual_mul_f32 v4, v23, v14
	s_wait_dscnt 0x0
	s_delay_alu instid0(VALU_DEP_2) | instskip(NEXT) | instid1(VALU_DEP_2)
	v_dual_add_f32 v2, v2, v34 :: v_dual_mul_f32 v31, v28, v27
	v_fmac_f32_e32 v33, v25, v15
	s_delay_alu instid0(VALU_DEP_3) | instskip(NEXT) | instid1(VALU_DEP_3)
	v_fma_f32 v4, v22, v13, -v4
	v_dual_add_f32 v2, v2, v38 :: v_dual_mul_f32 v5, v20, v12
	s_delay_alu instid0(VALU_DEP_1) | instskip(NEXT) | instid1(VALU_DEP_2)
	v_dual_fmac_f32 v31, v29, v26 :: v_dual_add_f32 v2, v2, v41
	v_fma_f32 v5, v19, v11, -v5
	s_delay_alu instid0(VALU_DEP_2) | instskip(SKIP_1) | instid1(VALU_DEP_2)
	v_dual_add_f32 v1, v1, v3 :: v_dual_add_f32 v2, v2, v33
	v_mul_f32_e32 v3, v25, v16
	v_add_f32_e32 v1, v1, v5
	v_mul_f32_e32 v5, v29, v27
	s_delay_alu instid0(VALU_DEP_4) | instskip(NEXT) | instid1(VALU_DEP_4)
	v_add_f32_e32 v2, v2, v31
	v_fma_f32 v3, v24, v15, -v3
	s_delay_alu instid0(VALU_DEP_4) | instskip(NEXT) | instid1(VALU_DEP_4)
	v_add_f32_e32 v1, v1, v4
	v_fma_f32 v4, v28, v26, -v5
	s_delay_alu instid0(VALU_DEP_4) | instskip(NEXT) | instid1(VALU_DEP_3)
	v_sub_f32_e32 v2, v37, v2
	v_add_f32_e32 v1, v1, v3
	s_delay_alu instid0(VALU_DEP_1) | instskip(NEXT) | instid1(VALU_DEP_1)
	v_add_f32_e32 v1, v1, v4
	v_sub_f32_e32 v1, v36, v1
	scratch_store_b64 off, v[1:2], off offset:176
	v_cmpx_lt_u32_e32 21, v0
	s_cbranch_execz .LBB63_355
; %bb.354:
	scratch_load_b64 v[1:2], off, off offset:168
	v_mov_b32_e32 v22, v21
	scratch_store_b64 off, v[21:22], off offset:168
	s_wait_loadcnt 0x0
	ds_store_b64 v35, v[1:2]
.LBB63_355:
	s_wait_alu 0xfffe
	s_or_b32 exec_lo, exec_lo, s0
	s_wait_storecnt_dscnt 0x0
	s_barrier_signal -1
	s_barrier_wait -1
	global_inv scope:SCOPE_SE
	s_clause 0x4
	scratch_load_b128 v[5:8], off, off offset:176
	scratch_load_b128 v[1:4], off, off offset:192
	;; [unrolled: 1-line block ×5, first 2 shown]
	ds_load_b128 v[22:25], v21 offset:688
	ds_load_b128 v[26:29], v21 offset:704
	;; [unrolled: 1-line block ×3, first 2 shown]
	scratch_load_b64 v[36:37], off, off offset:168
	s_mov_b32 s0, exec_lo
	s_wait_loadcnt_dscnt 0x502
	v_dual_mul_f32 v34, v23, v6 :: v_dual_mul_f32 v39, v24, v8
	v_mul_f32_e32 v38, v22, v6
	v_mul_f32_e32 v6, v25, v8
	s_wait_loadcnt_dscnt 0x300
	v_mul_f32_e32 v40, v32, v12
	v_fma_f32 v22, v22, v5, -v34
	v_dual_fmac_f32 v39, v25, v7 :: v_dual_fmac_f32 v38, v23, v5
	v_mul_f32_e32 v25, v28, v4
	v_fma_f32 v23, v24, v7, -v6
	ds_load_b128 v[5:8], v21 offset:736
	v_mul_f32_e32 v24, v26, v2
	v_mul_f32_e32 v4, v29, v4
	;; [unrolled: 1-line block ×5, first 2 shown]
	v_dual_mul_f32 v2, v27, v2 :: v_dual_fmac_f32 v25, v29, v3
	v_fmac_f32_e32 v24, v27, v1
	v_fma_f32 v27, v28, v3, -v4
	v_fmac_f32_e32 v34, v31, v9
	v_fma_f32 v28, v30, v9, -v10
	;; [unrolled: 2-line block ×3, first 2 shown]
	ds_load_b128 v[9:12], v21 offset:752
	s_wait_loadcnt_dscnt 0x201
	v_mul_f32_e32 v30, v5, v14
	v_dual_mul_f32 v14, v6, v14 :: v_dual_mul_f32 v31, v7, v16
	v_mul_f32_e32 v16, v8, v16
	s_delay_alu instid0(VALU_DEP_3) | instskip(NEXT) | instid1(VALU_DEP_3)
	v_fmac_f32_e32 v30, v6, v13
	v_fma_f32 v13, v5, v13, -v14
	s_delay_alu instid0(VALU_DEP_4) | instskip(NEXT) | instid1(VALU_DEP_4)
	v_fmac_f32_e32 v31, v8, v15
	v_fma_f32 v14, v7, v15, -v16
	ds_load_b128 v[5:8], v21 offset:768
	s_wait_loadcnt_dscnt 0x101
	v_mul_f32_e32 v15, v9, v18
	v_mul_f32_e32 v16, v10, v18
	v_mul_f32_e32 v18, v11, v20
	s_delay_alu instid0(VALU_DEP_3)
	v_dual_mul_f32 v20, v12, v20 :: v_dual_fmac_f32 v15, v10, v17
	v_fma_f32 v26, v26, v1, -v2
	scratch_load_b128 v[1:4], off, off offset:256
	v_fma_f32 v16, v9, v17, -v16
	v_fmac_f32_e32 v18, v12, v19
	v_fma_f32 v17, v11, v19, -v20
	scratch_load_b128 v[9:12], off, off offset:272
	s_wait_loadcnt_dscnt 0x100
	v_mul_f32_e32 v19, v5, v2
	v_mul_f32_e32 v2, v6, v2
	;; [unrolled: 1-line block ×3, first 2 shown]
	s_delay_alu instid0(VALU_DEP_3) | instskip(NEXT) | instid1(VALU_DEP_3)
	v_dual_mul_f32 v4, v8, v4 :: v_dual_fmac_f32 v19, v6, v1
	v_fma_f32 v32, v5, v1, -v2
	s_delay_alu instid0(VALU_DEP_3) | instskip(NEXT) | instid1(VALU_DEP_3)
	v_fmac_f32_e32 v20, v8, v3
	v_fma_f32 v33, v7, v3, -v4
	ds_load_b128 v[1:4], v21 offset:784
	ds_load_b128 v[5:8], v21 offset:800
	s_wait_loadcnt_dscnt 0x1
	v_mul_f32_e32 v41, v1, v10
	v_mul_f32_e32 v10, v2, v10
	s_delay_alu instid0(VALU_DEP_2) | instskip(NEXT) | instid1(VALU_DEP_2)
	v_dual_mul_f32 v42, v3, v12 :: v_dual_fmac_f32 v41, v2, v9
	v_fma_f32 v43, v1, v9, -v10
	v_mul_f32_e32 v1, v4, v12
	s_delay_alu instid0(VALU_DEP_3) | instskip(NEXT) | instid1(VALU_DEP_2)
	v_fmac_f32_e32 v42, v4, v11
	v_fma_f32 v44, v3, v11, -v1
	s_clause 0x1
	scratch_load_b128 v[1:4], off, off offset:288
	scratch_load_b128 v[9:12], off, off offset:304
	s_wait_loadcnt_dscnt 0x100
	v_mul_f32_e32 v45, v5, v2
	v_dual_mul_f32 v2, v6, v2 :: v_dual_mul_f32 v47, v7, v4
	s_delay_alu instid0(VALU_DEP_2) | instskip(NEXT) | instid1(VALU_DEP_2)
	v_fmac_f32_e32 v45, v6, v1
	v_fma_f32 v46, v5, v1, -v2
	v_mul_f32_e32 v1, v8, v4
	s_delay_alu instid0(VALU_DEP_4) | instskip(NEXT) | instid1(VALU_DEP_2)
	v_fmac_f32_e32 v47, v8, v3
	v_fma_f32 v48, v7, v3, -v1
	ds_load_b128 v[1:4], v21 offset:816
	ds_load_b128 v[5:8], v21 offset:832
	s_wait_loadcnt_dscnt 0x1
	v_mul_f32_e32 v49, v1, v10
	v_mul_f32_e32 v51, v3, v12
	s_delay_alu instid0(VALU_DEP_2) | instskip(NEXT) | instid1(VALU_DEP_2)
	v_fmac_f32_e32 v49, v2, v9
	v_dual_mul_f32 v2, v2, v10 :: v_dual_fmac_f32 v51, v4, v11
	s_delay_alu instid0(VALU_DEP_1) | instskip(SKIP_1) | instid1(VALU_DEP_1)
	v_fma_f32 v50, v1, v9, -v2
	v_mul_f32_e32 v1, v4, v12
	v_fma_f32 v52, v3, v11, -v1
	s_clause 0x1
	scratch_load_b128 v[1:4], off, off offset:320
	scratch_load_b128 v[9:12], off, off offset:336
	s_wait_loadcnt_dscnt 0x100
	v_mul_f32_e32 v53, v5, v2
	v_dual_mul_f32 v2, v6, v2 :: v_dual_mul_f32 v55, v7, v4
	s_delay_alu instid0(VALU_DEP_2) | instskip(NEXT) | instid1(VALU_DEP_2)
	v_fmac_f32_e32 v53, v6, v1
	v_fma_f32 v54, v5, v1, -v2
	v_mul_f32_e32 v1, v8, v4
	s_delay_alu instid0(VALU_DEP_4) | instskip(NEXT) | instid1(VALU_DEP_2)
	v_fmac_f32_e32 v55, v8, v3
	v_fma_f32 v56, v7, v3, -v1
	ds_load_b128 v[1:4], v21 offset:848
	ds_load_b128 v[5:8], v21 offset:864
	s_wait_loadcnt_dscnt 0x1
	v_mul_f32_e32 v57, v1, v10
	v_mul_f32_e32 v59, v3, v12
	s_delay_alu instid0(VALU_DEP_2) | instskip(NEXT) | instid1(VALU_DEP_2)
	v_fmac_f32_e32 v57, v2, v9
	v_dual_mul_f32 v2, v2, v10 :: v_dual_fmac_f32 v59, v4, v11
	s_delay_alu instid0(VALU_DEP_1) | instskip(SKIP_1) | instid1(VALU_DEP_1)
	v_fma_f32 v58, v1, v9, -v2
	v_mul_f32_e32 v1, v4, v12
	;; [unrolled: 25-line block ×4, first 2 shown]
	v_fma_f32 v204, v3, v11, -v1
	s_clause 0x1
	scratch_load_b128 v[1:4], off, off offset:416
	scratch_load_b128 v[9:12], off, off offset:432
	s_wait_loadcnt_dscnt 0x100
	v_mul_f32_e32 v205, v5, v2
	v_mul_f32_e32 v2, v6, v2
	s_delay_alu instid0(VALU_DEP_1) | instskip(SKIP_1) | instid1(VALU_DEP_1)
	v_fma_f32 v206, v5, v1, -v2
	v_add_f32_e32 v2, 0, v38
	v_add_f32_e32 v2, v2, v39
	s_delay_alu instid0(VALU_DEP_1) | instskip(NEXT) | instid1(VALU_DEP_1)
	v_add_f32_e32 v2, v2, v24
	v_add_f32_e32 v2, v2, v25
	s_delay_alu instid0(VALU_DEP_1) | instskip(NEXT) | instid1(VALU_DEP_1)
	;; [unrolled: 3-line block ×5, first 2 shown]
	v_add_f32_e32 v2, v2, v19
	v_add_f32_e32 v2, v2, v20
	s_delay_alu instid0(VALU_DEP_1) | instskip(SKIP_1) | instid1(VALU_DEP_2)
	v_dual_add_f32 v2, v2, v41 :: v_dual_mul_f32 v207, v7, v4
	v_fmac_f32_e32 v205, v6, v1
	v_dual_add_f32 v2, v2, v42 :: v_dual_fmac_f32 v207, v8, v3
	s_delay_alu instid0(VALU_DEP_1) | instskip(NEXT) | instid1(VALU_DEP_1)
	v_dual_add_f32 v2, v2, v45 :: v_dual_mul_f32 v1, v8, v4
	v_add_f32_e32 v2, v2, v47
	s_delay_alu instid0(VALU_DEP_2) | instskip(NEXT) | instid1(VALU_DEP_2)
	v_fma_f32 v208, v7, v3, -v1
	v_dual_add_f32 v1, 0, v22 :: v_dual_add_f32 v2, v2, v49
	s_delay_alu instid0(VALU_DEP_1) | instskip(NEXT) | instid1(VALU_DEP_2)
	v_add_f32_e32 v1, v1, v23
	v_add_f32_e32 v5, v2, v51
	s_delay_alu instid0(VALU_DEP_2) | instskip(NEXT) | instid1(VALU_DEP_1)
	v_add_f32_e32 v1, v1, v26
	v_add_f32_e32 v1, v1, v27
	s_delay_alu instid0(VALU_DEP_1) | instskip(NEXT) | instid1(VALU_DEP_1)
	v_add_f32_e32 v1, v1, v28
	v_add_f32_e32 v1, v1, v29
	s_delay_alu instid0(VALU_DEP_1) | instskip(SKIP_1) | instid1(VALU_DEP_1)
	v_add_f32_e32 v1, v1, v13
	v_add_f32_e32 v13, v5, v53
	;; [unrolled: 1-line block ×3, first 2 shown]
	s_delay_alu instid0(VALU_DEP_1) | instskip(NEXT) | instid1(VALU_DEP_1)
	v_add_f32_e32 v13, v13, v57
	v_add_f32_e32 v18, v13, v59
	s_delay_alu instid0(VALU_DEP_1) | instskip(NEXT) | instid1(VALU_DEP_1)
	v_add_f32_e32 v18, v18, v61
	v_dual_add_f32 v18, v18, v63 :: v_dual_add_f32 v1, v1, v14
	s_delay_alu instid0(VALU_DEP_1) | instskip(NEXT) | instid1(VALU_DEP_1)
	v_add_f32_e32 v1, v1, v16
	v_add_f32_e32 v1, v1, v17
	s_delay_alu instid0(VALU_DEP_1) | instskip(NEXT) | instid1(VALU_DEP_1)
	v_add_f32_e32 v1, v1, v32
	v_add_f32_e32 v1, v1, v33
	;; [unrolled: 3-line block ×5, first 2 shown]
	s_delay_alu instid0(VALU_DEP_1)
	v_add_f32_e32 v6, v1, v54
	ds_load_b128 v[1:4], v21 offset:944
	v_add_f32_e32 v22, v18, v65
	v_add_f32_e32 v14, v6, v56
	scratch_load_b128 v[5:8], off, off offset:448
	v_add_f32_e32 v22, v22, v67
	v_add_f32_e32 v14, v14, v58
	s_delay_alu instid0(VALU_DEP_2) | instskip(NEXT) | instid1(VALU_DEP_2)
	v_add_f32_e32 v22, v22, v197
	v_add_f32_e32 v17, v14, v60
	ds_load_b128 v[13:16], v21 offset:960
	s_wait_loadcnt_dscnt 0x101
	v_mul_f32_e32 v25, v1, v10
	v_mul_f32_e32 v10, v2, v10
	;; [unrolled: 1-line block ×3, first 2 shown]
	s_delay_alu instid0(VALU_DEP_3) | instskip(NEXT) | instid1(VALU_DEP_3)
	v_dual_mul_f32 v12, v4, v12 :: v_dual_fmac_f32 v25, v2, v9
	v_fma_f32 v27, v1, v9, -v10
	s_delay_alu instid0(VALU_DEP_3) | instskip(NEXT) | instid1(VALU_DEP_3)
	v_fmac_f32_e32 v26, v4, v11
	v_fma_f32 v28, v3, v11, -v12
	s_clause 0x1
	scratch_load_b128 v[1:4], off, off offset:464
	scratch_load_b128 v[9:12], off, off offset:480
	s_wait_loadcnt_dscnt 0x200
	v_mul_f32_e32 v29, v13, v6
	v_mul_f32_e32 v6, v14, v6
	;; [unrolled: 1-line block ×3, first 2 shown]
	s_delay_alu instid0(VALU_DEP_3) | instskip(NEXT) | instid1(VALU_DEP_3)
	v_dual_mul_f32 v8, v16, v8 :: v_dual_fmac_f32 v29, v14, v5
	v_fma_f32 v31, v13, v5, -v6
	s_delay_alu instid0(VALU_DEP_3) | instskip(NEXT) | instid1(VALU_DEP_3)
	v_fmac_f32_e32 v30, v16, v7
	v_fma_f32 v32, v15, v7, -v8
	ds_load_b128 v[5:8], v21 offset:976
	v_add_f32_e32 v17, v17, v62
	v_add_f32_e32 v13, v22, v199
	s_delay_alu instid0(VALU_DEP_2) | instskip(NEXT) | instid1(VALU_DEP_1)
	v_add_f32_e32 v17, v17, v64
	v_add_f32_e32 v17, v17, v66
	s_delay_alu instid0(VALU_DEP_1) | instskip(SKIP_2) | instid1(VALU_DEP_1)
	v_add_f32_e32 v23, v17, v68
	scratch_load_b128 v[17:20], off, off offset:496
	v_add_f32_e32 v23, v23, v198
	v_add_f32_e32 v23, v23, v200
	s_delay_alu instid0(VALU_DEP_1)
	v_dual_add_f32 v22, v23, v202 :: v_dual_add_f32 v23, v13, v201
	ds_load_b128 v[13:16], v21 offset:992
	s_wait_loadcnt_dscnt 0x201
	v_mul_f32_e32 v38, v5, v2
	v_mul_f32_e32 v2, v6, v2
	v_dual_add_f32 v33, v22, v204 :: v_dual_add_f32 v34, v23, v203
	ds_load_b128 v[21:24], v21 offset:1008
	v_fmac_f32_e32 v38, v6, v1
	v_fma_f32 v2, v5, v1, -v2
	v_dual_add_f32 v33, v33, v206 :: v_dual_add_f32 v34, v34, v205
	s_delay_alu instid0(VALU_DEP_1) | instskip(SKIP_1) | instid1(VALU_DEP_1)
	v_add_f32_e32 v34, v34, v207
	s_wait_loadcnt_dscnt 0x101
	v_dual_add_f32 v25, v34, v25 :: v_dual_mul_f32 v34, v13, v10
	v_dual_mul_f32 v6, v14, v10 :: v_dual_mul_f32 v39, v15, v12
	s_delay_alu instid0(VALU_DEP_2) | instskip(SKIP_1) | instid1(VALU_DEP_2)
	v_dual_add_f32 v25, v25, v26 :: v_dual_fmac_f32 v34, v14, v9
	s_wait_loadcnt_dscnt 0x0
	v_dual_fmac_f32 v39, v16, v11 :: v_dual_mul_f32 v26, v21, v18
	s_delay_alu instid0(VALU_DEP_1) | instskip(NEXT) | instid1(VALU_DEP_1)
	v_dual_fmac_f32 v26, v22, v17 :: v_dual_add_f32 v33, v33, v208
	v_add_f32_e32 v27, v33, v27
	v_mul_f32_e32 v33, v7, v4
	v_mul_f32_e32 v4, v8, v4
	s_delay_alu instid0(VALU_DEP_3) | instskip(NEXT) | instid1(VALU_DEP_3)
	v_add_f32_e32 v27, v27, v28
	v_dual_mul_f32 v28, v23, v20 :: v_dual_fmac_f32 v33, v8, v3
	s_delay_alu instid0(VALU_DEP_3) | instskip(NEXT) | instid1(VALU_DEP_3)
	v_fma_f32 v3, v7, v3, -v4
	v_dual_mul_f32 v4, v16, v12 :: v_dual_add_f32 v27, v27, v31
	s_delay_alu instid0(VALU_DEP_3) | instskip(NEXT) | instid1(VALU_DEP_2)
	v_dual_fmac_f32 v28, v24, v19 :: v_dual_add_f32 v25, v25, v29
	v_fma_f32 v4, v15, v11, -v4
	s_delay_alu instid0(VALU_DEP_3) | instskip(NEXT) | instid1(VALU_DEP_3)
	v_add_f32_e32 v1, v27, v32
	v_add_f32_e32 v5, v25, v30
	s_delay_alu instid0(VALU_DEP_2) | instskip(NEXT) | instid1(VALU_DEP_2)
	v_add_f32_e32 v1, v1, v2
	v_add_f32_e32 v2, v5, v38
	v_fma_f32 v5, v13, v9, -v6
	s_delay_alu instid0(VALU_DEP_3) | instskip(SKIP_1) | instid1(VALU_DEP_4)
	v_add_f32_e32 v1, v1, v3
	v_mul_f32_e32 v3, v22, v18
	v_add_f32_e32 v2, v2, v33
	s_delay_alu instid0(VALU_DEP_3) | instskip(NEXT) | instid1(VALU_DEP_2)
	v_add_f32_e32 v1, v1, v5
	v_dual_mul_f32 v5, v24, v20 :: v_dual_add_f32 v2, v2, v34
	s_delay_alu instid0(VALU_DEP_4) | instskip(NEXT) | instid1(VALU_DEP_3)
	v_fma_f32 v3, v21, v17, -v3
	v_add_f32_e32 v1, v1, v4
	s_delay_alu instid0(VALU_DEP_3) | instskip(NEXT) | instid1(VALU_DEP_4)
	v_fma_f32 v4, v23, v19, -v5
	v_add_f32_e32 v2, v2, v39
	s_delay_alu instid0(VALU_DEP_1) | instskip(NEXT) | instid1(VALU_DEP_1)
	v_dual_add_f32 v1, v1, v3 :: v_dual_add_f32 v2, v2, v26
	v_add_f32_e32 v1, v1, v4
	s_delay_alu instid0(VALU_DEP_1) | instskip(NEXT) | instid1(VALU_DEP_1)
	v_dual_add_f32 v2, v2, v28 :: v_dual_sub_f32 v1, v36, v1
	v_sub_f32_e32 v2, v37, v2
	scratch_store_b64 off, v[1:2], off offset:168
	v_cmpx_lt_u32_e32 20, v0
	s_cbranch_execz .LBB63_357
; %bb.356:
	scratch_load_b64 v[1:2], off, off offset:160
	v_mov_b32_e32 v3, 0
	s_delay_alu instid0(VALU_DEP_1)
	v_mov_b32_e32 v4, v3
	scratch_store_b64 off, v[3:4], off offset:160
	s_wait_loadcnt 0x0
	ds_store_b64 v35, v[1:2]
.LBB63_357:
	s_wait_alu 0xfffe
	s_or_b32 exec_lo, exec_lo, s0
	s_wait_storecnt_dscnt 0x0
	s_barrier_signal -1
	s_barrier_wait -1
	global_inv scope:SCOPE_SE
	s_clause 0x4
	scratch_load_b128 v[5:8], off, off offset:168
	scratch_load_b128 v[1:4], off, off offset:184
	;; [unrolled: 1-line block ×5, first 2 shown]
	v_mov_b32_e32 v21, 0
	ds_load_2addr_b64 v[22:25], v21 offset0:85 offset1:86
	ds_load_2addr_b64 v[26:29], v21 offset0:87 offset1:88
	;; [unrolled: 1-line block ×3, first 2 shown]
	scratch_load_b64 v[36:37], off, off offset:160
	s_mov_b32 s0, exec_lo
	s_wait_loadcnt_dscnt 0x502
	v_mul_f32_e32 v34, v23, v6
	v_dual_mul_f32 v38, v22, v6 :: v_dual_mul_f32 v39, v24, v8
	v_mul_f32_e32 v6, v25, v8
	s_wait_loadcnt_dscnt 0x300
	v_mul_f32_e32 v40, v32, v12
	v_fma_f32 v22, v22, v5, -v34
	v_dual_fmac_f32 v38, v23, v5 :: v_dual_fmac_f32 v39, v25, v7
	v_fma_f32 v23, v24, v7, -v6
	v_dual_mul_f32 v24, v26, v2 :: v_dual_mul_f32 v25, v28, v4
	v_mul_f32_e32 v2, v27, v2
	v_mul_f32_e32 v4, v29, v4
	ds_load_2addr_b64 v[5:8], v21 offset0:91 offset1:92
	v_mul_f32_e32 v34, v30, v10
	v_dual_fmac_f32 v24, v27, v1 :: v_dual_fmac_f32 v25, v29, v3
	v_fma_f32 v26, v26, v1, -v2
	v_fma_f32 v27, v28, v3, -v4
	v_mul_f32_e32 v12, v33, v12
	scratch_load_b128 v[1:4], off, off offset:248
	v_mul_f32_e32 v10, v31, v10
	v_fmac_f32_e32 v34, v31, v9
	v_fmac_f32_e32 v40, v33, v11
	v_fma_f32 v29, v32, v11, -v12
	s_delay_alu instid0(VALU_DEP_4)
	v_fma_f32 v28, v30, v9, -v10
	ds_load_2addr_b64 v[9:12], v21 offset0:93 offset1:94
	s_wait_loadcnt_dscnt 0x301
	v_mul_f32_e32 v30, v5, v14
	v_dual_mul_f32 v14, v6, v14 :: v_dual_mul_f32 v31, v7, v16
	v_mul_f32_e32 v16, v8, v16
	s_delay_alu instid0(VALU_DEP_3) | instskip(NEXT) | instid1(VALU_DEP_3)
	v_fmac_f32_e32 v30, v6, v13
	v_fma_f32 v13, v5, v13, -v14
	s_delay_alu instid0(VALU_DEP_4) | instskip(NEXT) | instid1(VALU_DEP_4)
	v_fmac_f32_e32 v31, v8, v15
	v_fma_f32 v14, v7, v15, -v16
	ds_load_2addr_b64 v[5:8], v21 offset0:95 offset1:96
	s_wait_loadcnt_dscnt 0x201
	v_mul_f32_e32 v15, v9, v18
	v_mul_f32_e32 v16, v10, v18
	;; [unrolled: 1-line block ×3, first 2 shown]
	s_delay_alu instid0(VALU_DEP_3) | instskip(NEXT) | instid1(VALU_DEP_3)
	v_dual_mul_f32 v20, v12, v20 :: v_dual_fmac_f32 v15, v10, v17
	v_fma_f32 v16, v9, v17, -v16
	s_delay_alu instid0(VALU_DEP_3) | instskip(NEXT) | instid1(VALU_DEP_3)
	v_fmac_f32_e32 v18, v12, v19
	v_fma_f32 v17, v11, v19, -v20
	scratch_load_b128 v[9:12], off, off offset:264
	s_wait_loadcnt_dscnt 0x100
	v_mul_f32_e32 v19, v5, v2
	v_mul_f32_e32 v2, v6, v2
	;; [unrolled: 1-line block ×3, first 2 shown]
	s_delay_alu instid0(VALU_DEP_3) | instskip(NEXT) | instid1(VALU_DEP_3)
	v_dual_mul_f32 v4, v8, v4 :: v_dual_fmac_f32 v19, v6, v1
	v_fma_f32 v32, v5, v1, -v2
	s_delay_alu instid0(VALU_DEP_3) | instskip(NEXT) | instid1(VALU_DEP_3)
	v_fmac_f32_e32 v20, v8, v3
	v_fma_f32 v33, v7, v3, -v4
	ds_load_2addr_b64 v[1:4], v21 offset0:97 offset1:98
	ds_load_2addr_b64 v[5:8], v21 offset0:99 offset1:100
	s_wait_loadcnt_dscnt 0x1
	v_mul_f32_e32 v41, v1, v10
	v_mul_f32_e32 v10, v2, v10
	s_delay_alu instid0(VALU_DEP_2) | instskip(NEXT) | instid1(VALU_DEP_2)
	v_dual_mul_f32 v42, v3, v12 :: v_dual_fmac_f32 v41, v2, v9
	v_fma_f32 v43, v1, v9, -v10
	v_mul_f32_e32 v1, v4, v12
	s_delay_alu instid0(VALU_DEP_3) | instskip(NEXT) | instid1(VALU_DEP_2)
	v_fmac_f32_e32 v42, v4, v11
	v_fma_f32 v44, v3, v11, -v1
	s_clause 0x1
	scratch_load_b128 v[1:4], off, off offset:280
	scratch_load_b128 v[9:12], off, off offset:296
	s_wait_loadcnt_dscnt 0x100
	v_mul_f32_e32 v45, v5, v2
	v_dual_mul_f32 v2, v6, v2 :: v_dual_mul_f32 v47, v7, v4
	s_delay_alu instid0(VALU_DEP_2) | instskip(NEXT) | instid1(VALU_DEP_2)
	v_fmac_f32_e32 v45, v6, v1
	v_fma_f32 v46, v5, v1, -v2
	v_mul_f32_e32 v1, v8, v4
	s_delay_alu instid0(VALU_DEP_4) | instskip(NEXT) | instid1(VALU_DEP_2)
	v_fmac_f32_e32 v47, v8, v3
	v_fma_f32 v48, v7, v3, -v1
	ds_load_2addr_b64 v[1:4], v21 offset0:101 offset1:102
	ds_load_2addr_b64 v[5:8], v21 offset0:103 offset1:104
	s_wait_loadcnt_dscnt 0x1
	v_mul_f32_e32 v49, v1, v10
	v_mul_f32_e32 v51, v3, v12
	s_delay_alu instid0(VALU_DEP_2) | instskip(NEXT) | instid1(VALU_DEP_2)
	v_fmac_f32_e32 v49, v2, v9
	v_dual_mul_f32 v2, v2, v10 :: v_dual_fmac_f32 v51, v4, v11
	s_delay_alu instid0(VALU_DEP_1) | instskip(SKIP_1) | instid1(VALU_DEP_1)
	v_fma_f32 v50, v1, v9, -v2
	v_mul_f32_e32 v1, v4, v12
	v_fma_f32 v52, v3, v11, -v1
	s_clause 0x1
	scratch_load_b128 v[1:4], off, off offset:312
	scratch_load_b128 v[9:12], off, off offset:328
	s_wait_loadcnt_dscnt 0x100
	v_mul_f32_e32 v53, v5, v2
	v_dual_mul_f32 v2, v6, v2 :: v_dual_mul_f32 v55, v7, v4
	s_delay_alu instid0(VALU_DEP_2) | instskip(NEXT) | instid1(VALU_DEP_2)
	v_fmac_f32_e32 v53, v6, v1
	v_fma_f32 v54, v5, v1, -v2
	v_mul_f32_e32 v1, v8, v4
	s_delay_alu instid0(VALU_DEP_4) | instskip(NEXT) | instid1(VALU_DEP_2)
	v_fmac_f32_e32 v55, v8, v3
	v_fma_f32 v56, v7, v3, -v1
	ds_load_2addr_b64 v[1:4], v21 offset0:105 offset1:106
	ds_load_2addr_b64 v[5:8], v21 offset0:107 offset1:108
	s_wait_loadcnt_dscnt 0x1
	v_mul_f32_e32 v57, v1, v10
	v_mul_f32_e32 v59, v3, v12
	s_delay_alu instid0(VALU_DEP_2) | instskip(NEXT) | instid1(VALU_DEP_2)
	v_fmac_f32_e32 v57, v2, v9
	v_dual_mul_f32 v2, v2, v10 :: v_dual_fmac_f32 v59, v4, v11
	s_delay_alu instid0(VALU_DEP_1) | instskip(SKIP_1) | instid1(VALU_DEP_1)
	v_fma_f32 v58, v1, v9, -v2
	v_mul_f32_e32 v1, v4, v12
	;; [unrolled: 25-line block ×4, first 2 shown]
	v_fma_f32 v204, v3, v11, -v1
	s_clause 0x1
	scratch_load_b128 v[1:4], off, off offset:408
	scratch_load_b128 v[9:12], off, off offset:424
	s_wait_loadcnt_dscnt 0x100
	v_mul_f32_e32 v205, v5, v2
	v_mul_f32_e32 v2, v6, v2
	s_delay_alu instid0(VALU_DEP_1) | instskip(SKIP_1) | instid1(VALU_DEP_1)
	v_fma_f32 v206, v5, v1, -v2
	v_add_f32_e32 v2, 0, v38
	v_add_f32_e32 v2, v2, v39
	s_delay_alu instid0(VALU_DEP_1) | instskip(NEXT) | instid1(VALU_DEP_1)
	v_add_f32_e32 v2, v2, v24
	v_add_f32_e32 v2, v2, v25
	s_delay_alu instid0(VALU_DEP_1) | instskip(NEXT) | instid1(VALU_DEP_1)
	;; [unrolled: 3-line block ×5, first 2 shown]
	v_add_f32_e32 v2, v2, v19
	v_add_f32_e32 v2, v2, v20
	s_delay_alu instid0(VALU_DEP_1) | instskip(SKIP_1) | instid1(VALU_DEP_2)
	v_dual_add_f32 v2, v2, v41 :: v_dual_mul_f32 v207, v7, v4
	v_fmac_f32_e32 v205, v6, v1
	v_dual_add_f32 v2, v2, v42 :: v_dual_fmac_f32 v207, v8, v3
	s_delay_alu instid0(VALU_DEP_1) | instskip(NEXT) | instid1(VALU_DEP_1)
	v_dual_add_f32 v2, v2, v45 :: v_dual_mul_f32 v1, v8, v4
	v_add_f32_e32 v2, v2, v47
	s_delay_alu instid0(VALU_DEP_2) | instskip(NEXT) | instid1(VALU_DEP_2)
	v_fma_f32 v208, v7, v3, -v1
	v_dual_add_f32 v1, 0, v22 :: v_dual_add_f32 v2, v2, v49
	s_delay_alu instid0(VALU_DEP_1) | instskip(NEXT) | instid1(VALU_DEP_2)
	v_add_f32_e32 v1, v1, v23
	v_add_f32_e32 v5, v2, v51
	s_delay_alu instid0(VALU_DEP_2) | instskip(NEXT) | instid1(VALU_DEP_1)
	v_add_f32_e32 v1, v1, v26
	v_add_f32_e32 v1, v1, v27
	scratch_load_b64 v[26:27], off, off offset:504
	v_add_f32_e32 v1, v1, v28
	s_delay_alu instid0(VALU_DEP_1) | instskip(NEXT) | instid1(VALU_DEP_1)
	v_add_f32_e32 v1, v1, v29
	v_add_f32_e32 v1, v1, v13
	;; [unrolled: 1-line block ×3, first 2 shown]
	s_delay_alu instid0(VALU_DEP_2) | instskip(NEXT) | instid1(VALU_DEP_2)
	v_add_f32_e32 v1, v1, v14
	v_add_f32_e32 v13, v13, v55
	s_delay_alu instid0(VALU_DEP_1) | instskip(NEXT) | instid1(VALU_DEP_1)
	v_add_f32_e32 v13, v13, v57
	v_add_f32_e32 v18, v13, v59
	s_delay_alu instid0(VALU_DEP_4) | instskip(NEXT) | instid1(VALU_DEP_1)
	v_add_f32_e32 v1, v1, v16
	v_add_f32_e32 v1, v1, v17
	s_delay_alu instid0(VALU_DEP_1) | instskip(NEXT) | instid1(VALU_DEP_1)
	v_add_f32_e32 v1, v1, v32
	v_add_f32_e32 v1, v1, v33
	s_delay_alu instid0(VALU_DEP_1) | instskip(NEXT) | instid1(VALU_DEP_1)
	;; [unrolled: 3-line block ×4, first 2 shown]
	v_add_f32_e32 v1, v1, v50
	v_add_f32_e32 v1, v1, v52
	s_delay_alu instid0(VALU_DEP_1)
	v_add_f32_e32 v6, v1, v54
	scratch_load_b128 v[1:4], off, off offset:440
	v_add_f32_e32 v18, v18, v61
	v_add_f32_e32 v14, v6, v56
	ds_load_2addr_b64 v[5:8], v21 offset0:117 offset1:118
	v_add_f32_e32 v18, v18, v63
	v_add_f32_e32 v14, v14, v58
	s_delay_alu instid0(VALU_DEP_2) | instskip(NEXT) | instid1(VALU_DEP_2)
	v_add_f32_e32 v22, v18, v65
	v_add_f32_e32 v17, v14, v60
	ds_load_2addr_b64 v[13:16], v21 offset0:119 offset1:120
	v_add_f32_e32 v22, v22, v67
	s_wait_loadcnt_dscnt 0x201
	v_mul_f32_e32 v30, v5, v10
	v_dual_mul_f32 v10, v6, v10 :: v_dual_mul_f32 v31, v7, v12
	v_mul_f32_e32 v12, v8, v12
	v_add_f32_e32 v22, v22, v197
	s_delay_alu instid0(VALU_DEP_4) | instskip(NEXT) | instid1(VALU_DEP_4)
	v_fmac_f32_e32 v30, v6, v9
	v_fma_f32 v32, v5, v9, -v10
	v_fmac_f32_e32 v31, v8, v11
	v_fma_f32 v33, v7, v11, -v12
	scratch_load_b128 v[5:8], off, off offset:456
	v_add_f32_e32 v22, v22, v199
	scratch_load_b128 v[9:12], off, off offset:472
	s_wait_loadcnt_dscnt 0x200
	v_mul_f32_e32 v34, v13, v2
	v_mul_f32_e32 v2, v14, v2
	;; [unrolled: 1-line block ×4, first 2 shown]
	s_delay_alu instid0(VALU_DEP_4) | instskip(NEXT) | instid1(VALU_DEP_4)
	v_fmac_f32_e32 v34, v14, v1
	v_fma_f32 v39, v13, v1, -v2
	s_delay_alu instid0(VALU_DEP_4) | instskip(NEXT) | instid1(VALU_DEP_4)
	v_dual_add_f32 v13, v22, v201 :: v_dual_fmac_f32 v38, v16, v3
	v_fma_f32 v40, v15, v3, -v4
	ds_load_2addr_b64 v[1:4], v21 offset0:121 offset1:122
	v_add_f32_e32 v22, v13, v203
	v_add_f32_e32 v17, v17, v62
	s_delay_alu instid0(VALU_DEP_2) | instskip(NEXT) | instid1(VALU_DEP_2)
	v_add_f32_e32 v29, v22, v205
	v_add_f32_e32 v17, v17, v64
	s_delay_alu instid0(VALU_DEP_2) | instskip(NEXT) | instid1(VALU_DEP_2)
	v_add_f32_e32 v42, v29, v207
	v_add_f32_e32 v17, v17, v66
	s_delay_alu instid0(VALU_DEP_2) | instskip(NEXT) | instid1(VALU_DEP_1)
	v_add_f32_e32 v30, v42, v30
	v_add_f32_e32 v30, v30, v31
	s_delay_alu instid0(VALU_DEP_1) | instskip(SKIP_3) | instid1(VALU_DEP_1)
	v_dual_add_f32 v30, v30, v34 :: v_dual_add_f32 v23, v17, v68
	scratch_load_b128 v[17:20], off, off offset:488
	v_add_f32_e32 v30, v30, v38
	v_add_f32_e32 v23, v23, v198
	;; [unrolled: 1-line block ×3, first 2 shown]
	s_delay_alu instid0(VALU_DEP_1) | instskip(NEXT) | instid1(VALU_DEP_1)
	v_add_f32_e32 v23, v23, v202
	v_add_f32_e32 v14, v23, v204
	ds_load_2addr_b64 v[22:25], v21 offset0:125 offset1:126
	v_add_f32_e32 v28, v14, v206
	ds_load_2addr_b64 v[13:16], v21 offset0:123 offset1:124
	v_add_f32_e32 v41, v28, v208
	ds_load_b64 v[28:29], v21 offset:1016
	v_add_f32_e32 v32, v41, v32
	s_delay_alu instid0(VALU_DEP_1) | instskip(NEXT) | instid1(VALU_DEP_1)
	v_add_f32_e32 v32, v32, v33
	v_add_f32_e32 v32, v32, v39
	s_wait_loadcnt_dscnt 0x101
	v_dual_mul_f32 v34, v15, v12 :: v_dual_mul_f32 v41, v1, v6
	v_mul_f32_e32 v6, v2, v6
	s_delay_alu instid0(VALU_DEP_3) | instskip(SKIP_4) | instid1(VALU_DEP_3)
	v_add_f32_e32 v32, v32, v40
	s_wait_dscnt 0x0
	v_mul_f32_e32 v38, v28, v27
	v_fmac_f32_e32 v34, v16, v11
	v_fma_f32 v1, v1, v5, -v6
	v_dual_fmac_f32 v41, v2, v5 :: v_dual_fmac_f32 v38, v29, v26
	v_mul_f32_e32 v31, v3, v8
	v_mul_f32_e32 v8, v4, v8
	s_delay_alu instid0(VALU_DEP_4) | instskip(NEXT) | instid1(VALU_DEP_2)
	v_add_f32_e32 v1, v32, v1
	v_fma_f32 v2, v3, v7, -v8
	v_mul_f32_e32 v3, v14, v10
	s_delay_alu instid0(VALU_DEP_1) | instskip(SKIP_2) | instid1(VALU_DEP_1)
	v_fma_f32 v3, v13, v9, -v3
	s_wait_loadcnt 0x0
	v_dual_mul_f32 v40, v24, v20 :: v_dual_mul_f32 v39, v22, v18
	v_dual_fmac_f32 v40, v25, v19 :: v_dual_fmac_f32 v39, v23, v17
	v_mul_f32_e32 v33, v13, v10
	v_add_f32_e32 v1, v1, v2
	s_delay_alu instid0(VALU_DEP_2) | instskip(SKIP_1) | instid1(VALU_DEP_1)
	v_fmac_f32_e32 v33, v14, v9
	v_dual_fmac_f32 v31, v4, v7 :: v_dual_add_f32 v4, v30, v41
	v_add_f32_e32 v2, v4, v31
	v_mul_f32_e32 v4, v23, v18
	s_delay_alu instid0(VALU_DEP_2) | instskip(NEXT) | instid1(VALU_DEP_2)
	v_add_f32_e32 v2, v2, v33
	v_fma_f32 v4, v22, v17, -v4
	s_delay_alu instid0(VALU_DEP_2) | instskip(NEXT) | instid1(VALU_DEP_1)
	v_add_f32_e32 v2, v2, v34
	v_add_f32_e32 v2, v2, v39
	s_delay_alu instid0(VALU_DEP_1) | instskip(SKIP_2) | instid1(VALU_DEP_3)
	v_add_f32_e32 v2, v2, v40
	v_mul_f32_e32 v5, v16, v12
	v_add_f32_e32 v1, v1, v3
	v_dual_mul_f32 v3, v25, v20 :: v_dual_add_f32 v2, v2, v38
	s_delay_alu instid0(VALU_DEP_3) | instskip(NEXT) | instid1(VALU_DEP_2)
	v_fma_f32 v5, v15, v11, -v5
	v_fma_f32 v3, v24, v19, -v3
	s_delay_alu instid0(VALU_DEP_3) | instskip(NEXT) | instid1(VALU_DEP_3)
	v_sub_f32_e32 v2, v37, v2
	v_add_f32_e32 v1, v1, v5
	v_mul_f32_e32 v5, v29, v27
	s_delay_alu instid0(VALU_DEP_2) | instskip(NEXT) | instid1(VALU_DEP_2)
	v_add_f32_e32 v1, v1, v4
	v_fma_f32 v4, v28, v26, -v5
	s_delay_alu instid0(VALU_DEP_2) | instskip(NEXT) | instid1(VALU_DEP_1)
	v_add_f32_e32 v1, v1, v3
	v_add_f32_e32 v1, v1, v4
	s_delay_alu instid0(VALU_DEP_1)
	v_sub_f32_e32 v1, v36, v1
	scratch_store_b64 off, v[1:2], off offset:160
	v_cmpx_lt_u32_e32 19, v0
	s_cbranch_execz .LBB63_359
; %bb.358:
	scratch_load_b64 v[1:2], off, off offset:152
	v_mov_b32_e32 v22, v21
	scratch_store_b64 off, v[21:22], off offset:152
	s_wait_loadcnt 0x0
	ds_store_b64 v35, v[1:2]
.LBB63_359:
	s_wait_alu 0xfffe
	s_or_b32 exec_lo, exec_lo, s0
	s_wait_storecnt_dscnt 0x0
	s_barrier_signal -1
	s_barrier_wait -1
	global_inv scope:SCOPE_SE
	s_clause 0x4
	scratch_load_b128 v[5:8], off, off offset:160
	scratch_load_b128 v[1:4], off, off offset:176
	;; [unrolled: 1-line block ×5, first 2 shown]
	ds_load_b128 v[22:25], v21 offset:672
	ds_load_b128 v[26:29], v21 offset:688
	;; [unrolled: 1-line block ×3, first 2 shown]
	scratch_load_b64 v[36:37], off, off offset:152
	s_mov_b32 s0, exec_lo
	s_wait_loadcnt_dscnt 0x502
	v_dual_mul_f32 v34, v23, v6 :: v_dual_mul_f32 v39, v24, v8
	v_mul_f32_e32 v38, v22, v6
	v_mul_f32_e32 v6, v25, v8
	s_wait_loadcnt_dscnt 0x300
	v_mul_f32_e32 v40, v32, v12
	v_fma_f32 v22, v22, v5, -v34
	v_dual_fmac_f32 v39, v25, v7 :: v_dual_fmac_f32 v38, v23, v5
	v_mul_f32_e32 v25, v28, v4
	v_fma_f32 v23, v24, v7, -v6
	ds_load_b128 v[5:8], v21 offset:720
	v_mul_f32_e32 v24, v26, v2
	v_mul_f32_e32 v4, v29, v4
	;; [unrolled: 1-line block ×5, first 2 shown]
	v_dual_mul_f32 v2, v27, v2 :: v_dual_fmac_f32 v25, v29, v3
	v_fmac_f32_e32 v24, v27, v1
	v_fma_f32 v27, v28, v3, -v4
	v_fmac_f32_e32 v34, v31, v9
	v_fma_f32 v28, v30, v9, -v10
	v_fmac_f32_e32 v40, v33, v11
	v_fma_f32 v29, v32, v11, -v12
	ds_load_b128 v[9:12], v21 offset:736
	s_wait_loadcnt_dscnt 0x201
	v_mul_f32_e32 v30, v5, v14
	v_dual_mul_f32 v14, v6, v14 :: v_dual_mul_f32 v31, v7, v16
	v_mul_f32_e32 v16, v8, v16
	s_delay_alu instid0(VALU_DEP_3) | instskip(NEXT) | instid1(VALU_DEP_3)
	v_fmac_f32_e32 v30, v6, v13
	v_fma_f32 v13, v5, v13, -v14
	s_delay_alu instid0(VALU_DEP_4) | instskip(NEXT) | instid1(VALU_DEP_4)
	v_fmac_f32_e32 v31, v8, v15
	v_fma_f32 v14, v7, v15, -v16
	ds_load_b128 v[5:8], v21 offset:752
	s_wait_loadcnt_dscnt 0x101
	v_mul_f32_e32 v15, v9, v18
	v_mul_f32_e32 v16, v10, v18
	v_mul_f32_e32 v18, v11, v20
	s_delay_alu instid0(VALU_DEP_3)
	v_dual_mul_f32 v20, v12, v20 :: v_dual_fmac_f32 v15, v10, v17
	v_fma_f32 v26, v26, v1, -v2
	scratch_load_b128 v[1:4], off, off offset:240
	v_fma_f32 v16, v9, v17, -v16
	v_fmac_f32_e32 v18, v12, v19
	v_fma_f32 v17, v11, v19, -v20
	scratch_load_b128 v[9:12], off, off offset:256
	s_wait_loadcnt_dscnt 0x100
	v_mul_f32_e32 v19, v5, v2
	v_mul_f32_e32 v2, v6, v2
	;; [unrolled: 1-line block ×3, first 2 shown]
	s_delay_alu instid0(VALU_DEP_3) | instskip(NEXT) | instid1(VALU_DEP_3)
	v_dual_mul_f32 v4, v8, v4 :: v_dual_fmac_f32 v19, v6, v1
	v_fma_f32 v32, v5, v1, -v2
	s_delay_alu instid0(VALU_DEP_3) | instskip(NEXT) | instid1(VALU_DEP_3)
	v_fmac_f32_e32 v20, v8, v3
	v_fma_f32 v33, v7, v3, -v4
	ds_load_b128 v[1:4], v21 offset:768
	ds_load_b128 v[5:8], v21 offset:784
	s_wait_loadcnt_dscnt 0x1
	v_mul_f32_e32 v41, v1, v10
	v_mul_f32_e32 v10, v2, v10
	s_delay_alu instid0(VALU_DEP_2) | instskip(NEXT) | instid1(VALU_DEP_2)
	v_dual_mul_f32 v42, v3, v12 :: v_dual_fmac_f32 v41, v2, v9
	v_fma_f32 v43, v1, v9, -v10
	v_mul_f32_e32 v1, v4, v12
	s_delay_alu instid0(VALU_DEP_3) | instskip(NEXT) | instid1(VALU_DEP_2)
	v_fmac_f32_e32 v42, v4, v11
	v_fma_f32 v44, v3, v11, -v1
	s_clause 0x1
	scratch_load_b128 v[1:4], off, off offset:272
	scratch_load_b128 v[9:12], off, off offset:288
	s_wait_loadcnt_dscnt 0x100
	v_mul_f32_e32 v45, v5, v2
	v_dual_mul_f32 v2, v6, v2 :: v_dual_mul_f32 v47, v7, v4
	s_delay_alu instid0(VALU_DEP_2) | instskip(NEXT) | instid1(VALU_DEP_2)
	v_fmac_f32_e32 v45, v6, v1
	v_fma_f32 v46, v5, v1, -v2
	v_mul_f32_e32 v1, v8, v4
	s_delay_alu instid0(VALU_DEP_4) | instskip(NEXT) | instid1(VALU_DEP_2)
	v_fmac_f32_e32 v47, v8, v3
	v_fma_f32 v48, v7, v3, -v1
	ds_load_b128 v[1:4], v21 offset:800
	ds_load_b128 v[5:8], v21 offset:816
	s_wait_loadcnt_dscnt 0x1
	v_mul_f32_e32 v49, v1, v10
	v_mul_f32_e32 v51, v3, v12
	s_delay_alu instid0(VALU_DEP_2) | instskip(NEXT) | instid1(VALU_DEP_2)
	v_fmac_f32_e32 v49, v2, v9
	v_dual_mul_f32 v2, v2, v10 :: v_dual_fmac_f32 v51, v4, v11
	s_delay_alu instid0(VALU_DEP_1) | instskip(SKIP_1) | instid1(VALU_DEP_1)
	v_fma_f32 v50, v1, v9, -v2
	v_mul_f32_e32 v1, v4, v12
	v_fma_f32 v52, v3, v11, -v1
	s_clause 0x1
	scratch_load_b128 v[1:4], off, off offset:304
	scratch_load_b128 v[9:12], off, off offset:320
	s_wait_loadcnt_dscnt 0x100
	v_mul_f32_e32 v53, v5, v2
	v_dual_mul_f32 v2, v6, v2 :: v_dual_mul_f32 v55, v7, v4
	s_delay_alu instid0(VALU_DEP_2) | instskip(NEXT) | instid1(VALU_DEP_2)
	v_fmac_f32_e32 v53, v6, v1
	v_fma_f32 v54, v5, v1, -v2
	v_mul_f32_e32 v1, v8, v4
	s_delay_alu instid0(VALU_DEP_4) | instskip(NEXT) | instid1(VALU_DEP_2)
	v_fmac_f32_e32 v55, v8, v3
	v_fma_f32 v56, v7, v3, -v1
	ds_load_b128 v[1:4], v21 offset:832
	ds_load_b128 v[5:8], v21 offset:848
	s_wait_loadcnt_dscnt 0x1
	v_mul_f32_e32 v57, v1, v10
	v_mul_f32_e32 v59, v3, v12
	s_delay_alu instid0(VALU_DEP_2) | instskip(NEXT) | instid1(VALU_DEP_2)
	v_fmac_f32_e32 v57, v2, v9
	v_dual_mul_f32 v2, v2, v10 :: v_dual_fmac_f32 v59, v4, v11
	s_delay_alu instid0(VALU_DEP_1) | instskip(SKIP_1) | instid1(VALU_DEP_1)
	v_fma_f32 v58, v1, v9, -v2
	v_mul_f32_e32 v1, v4, v12
	;; [unrolled: 25-line block ×5, first 2 shown]
	v_fma_f32 v212, v3, v11, -v1
	s_clause 0x1
	scratch_load_b128 v[1:4], off, off offset:432
	scratch_load_b128 v[9:12], off, off offset:448
	s_wait_loadcnt_dscnt 0x100
	v_mul_f32_e32 v213, v5, v2
	v_mul_f32_e32 v2, v6, v2
	s_delay_alu instid0(VALU_DEP_1) | instskip(SKIP_1) | instid1(VALU_DEP_1)
	v_fma_f32 v214, v5, v1, -v2
	v_add_f32_e32 v2, 0, v38
	v_add_f32_e32 v2, v2, v39
	s_delay_alu instid0(VALU_DEP_1) | instskip(NEXT) | instid1(VALU_DEP_1)
	v_add_f32_e32 v2, v2, v24
	v_add_f32_e32 v2, v2, v25
	s_delay_alu instid0(VALU_DEP_1) | instskip(NEXT) | instid1(VALU_DEP_1)
	;; [unrolled: 3-line block ×8, first 2 shown]
	v_add_f32_e32 v2, v2, v49
	v_add_f32_e32 v2, v2, v51
	s_delay_alu instid0(VALU_DEP_1) | instskip(SKIP_2) | instid1(VALU_DEP_3)
	v_add_f32_e32 v2, v2, v53
	v_fmac_f32_e32 v213, v6, v1
	v_mul_f32_e32 v1, v8, v4
	v_dual_mul_f32 v215, v7, v4 :: v_dual_add_f32 v2, v2, v55
	s_delay_alu instid0(VALU_DEP_2) | instskip(SKIP_1) | instid1(VALU_DEP_3)
	v_fma_f32 v216, v7, v3, -v1
	v_add_f32_e32 v1, 0, v22
	v_add_f32_e32 v5, v2, v57
	s_delay_alu instid0(VALU_DEP_2) | instskip(NEXT) | instid1(VALU_DEP_2)
	v_add_f32_e32 v1, v1, v23
	v_add_f32_e32 v5, v5, v59
	s_delay_alu instid0(VALU_DEP_2) | instskip(NEXT) | instid1(VALU_DEP_2)
	v_add_f32_e32 v1, v1, v26
	v_add_f32_e32 v5, v5, v61
	s_delay_alu instid0(VALU_DEP_2) | instskip(NEXT) | instid1(VALU_DEP_1)
	v_add_f32_e32 v1, v1, v27
	v_add_f32_e32 v1, v1, v28
	s_delay_alu instid0(VALU_DEP_1) | instskip(NEXT) | instid1(VALU_DEP_1)
	v_add_f32_e32 v1, v1, v29
	v_add_f32_e32 v1, v1, v13
	s_delay_alu instid0(VALU_DEP_1) | instskip(SKIP_1) | instid1(VALU_DEP_2)
	v_add_f32_e32 v1, v1, v14
	v_add_f32_e32 v14, v5, v63
	;; [unrolled: 1-line block ×3, first 2 shown]
	s_delay_alu instid0(VALU_DEP_1) | instskip(NEXT) | instid1(VALU_DEP_1)
	v_add_f32_e32 v1, v1, v17
	v_add_f32_e32 v1, v1, v32
	s_delay_alu instid0(VALU_DEP_1) | instskip(NEXT) | instid1(VALU_DEP_1)
	v_add_f32_e32 v1, v1, v33
	v_add_f32_e32 v1, v1, v43
	s_delay_alu instid0(VALU_DEP_1) | instskip(NEXT) | instid1(VALU_DEP_1)
	v_add_f32_e32 v1, v1, v44
	v_add_f32_e32 v1, v1, v46
	s_delay_alu instid0(VALU_DEP_1) | instskip(NEXT) | instid1(VALU_DEP_1)
	v_add_f32_e32 v1, v1, v48
	v_add_f32_e32 v1, v1, v50
	s_delay_alu instid0(VALU_DEP_1) | instskip(NEXT) | instid1(VALU_DEP_1)
	v_add_f32_e32 v1, v1, v52
	v_add_f32_e32 v1, v1, v54
	s_delay_alu instid0(VALU_DEP_1) | instskip(NEXT) | instid1(VALU_DEP_1)
	v_add_f32_e32 v1, v1, v56
	v_add_f32_e32 v1, v1, v58
	s_delay_alu instid0(VALU_DEP_1) | instskip(SKIP_3) | instid1(VALU_DEP_2)
	v_dual_add_f32 v6, v1, v60 :: v_dual_fmac_f32 v215, v8, v3
	ds_load_b128 v[1:4], v21 offset:960
	v_add_f32_e32 v14, v14, v65
	v_add_f32_e32 v6, v6, v62
	;; [unrolled: 1-line block ×3, first 2 shown]
	s_delay_alu instid0(VALU_DEP_2) | instskip(SKIP_3) | instid1(VALU_DEP_2)
	v_add_f32_e32 v13, v6, v64
	ds_load_b128 v[5:8], v21 offset:976
	v_add_f32_e32 v17, v14, v197
	v_add_f32_e32 v13, v13, v66
	;; [unrolled: 1-line block ×3, first 2 shown]
	s_delay_alu instid0(VALU_DEP_2) | instskip(SKIP_3) | instid1(VALU_DEP_3)
	v_add_f32_e32 v13, v13, v68
	s_wait_loadcnt_dscnt 0x1
	v_dual_mul_f32 v25, v1, v10 :: v_dual_mul_f32 v26, v3, v12
	v_mul_f32_e32 v10, v2, v10
	v_dual_mul_f32 v12, v4, v12 :: v_dual_add_f32 v13, v13, v198
	s_delay_alu instid0(VALU_DEP_3) | instskip(NEXT) | instid1(VALU_DEP_3)
	v_dual_fmac_f32 v25, v2, v9 :: v_dual_fmac_f32 v26, v4, v11
	v_fma_f32 v27, v1, v9, -v10
	s_delay_alu instid0(VALU_DEP_3)
	v_fma_f32 v28, v3, v11, -v12
	s_clause 0x1
	scratch_load_b128 v[1:4], off, off offset:464
	scratch_load_b128 v[9:12], off, off offset:480
	v_add_f32_e32 v18, v13, v200
	scratch_load_b128 v[13:16], off, off offset:496
	v_dual_add_f32 v17, v17, v201 :: v_dual_add_f32 v18, v18, v202
	s_delay_alu instid0(VALU_DEP_1) | instskip(NEXT) | instid1(VALU_DEP_1)
	v_dual_add_f32 v17, v17, v203 :: v_dual_add_f32 v18, v18, v204
	v_dual_add_f32 v23, v17, v205 :: v_dual_add_f32 v22, v18, v206
	ds_load_b128 v[17:20], v21 offset:992
	v_dual_add_f32 v30, v23, v207 :: v_dual_add_f32 v29, v22, v208
	ds_load_b128 v[21:24], v21 offset:1008
	v_dual_add_f32 v30, v30, v209 :: v_dual_add_f32 v29, v29, v210
	s_delay_alu instid0(VALU_DEP_1) | instskip(NEXT) | instid1(VALU_DEP_1)
	v_dual_add_f32 v30, v30, v211 :: v_dual_add_f32 v29, v29, v212
	v_dual_add_f32 v30, v30, v213 :: v_dual_add_f32 v29, v29, v214
	s_delay_alu instid0(VALU_DEP_1) | instskip(NEXT) | instid1(VALU_DEP_1)
	v_dual_add_f32 v30, v30, v215 :: v_dual_add_f32 v29, v29, v216
	v_add_f32_e32 v25, v30, v25
	s_delay_alu instid0(VALU_DEP_2)
	v_add_f32_e32 v27, v29, v27
	s_wait_loadcnt_dscnt 0x202
	v_mul_f32_e32 v31, v5, v2
	v_mul_f32_e32 v2, v6, v2
	;; [unrolled: 1-line block ×3, first 2 shown]
	s_wait_loadcnt_dscnt 0x101
	v_dual_mul_f32 v4, v8, v4 :: v_dual_mul_f32 v33, v17, v10
	v_fmac_f32_e32 v31, v6, v1
	v_fma_f32 v2, v5, v1, -v2
	v_add_f32_e32 v1, v27, v28
	v_add_f32_e32 v5, v25, v26
	v_mul_f32_e32 v6, v18, v10
	v_fmac_f32_e32 v32, v8, v3
	v_fma_f32 v3, v7, v3, -v4
	v_add_f32_e32 v1, v1, v2
	v_add_f32_e32 v2, v5, v31
	v_mul_f32_e32 v34, v19, v12
	v_dual_mul_f32 v4, v20, v12 :: v_dual_fmac_f32 v33, v18, v9
	v_fma_f32 v5, v17, v9, -v6
	s_delay_alu instid0(VALU_DEP_4)
	v_dual_add_f32 v1, v1, v3 :: v_dual_add_f32 v2, v2, v32
	s_wait_loadcnt_dscnt 0x0
	v_mul_f32_e32 v38, v21, v14
	v_dual_mul_f32 v3, v22, v14 :: v_dual_fmac_f32 v34, v20, v11
	v_fma_f32 v4, v19, v11, -v4
	v_add_f32_e32 v1, v1, v5
	v_dual_add_f32 v2, v2, v33 :: v_dual_mul_f32 v29, v23, v16
	v_dual_mul_f32 v5, v24, v16 :: v_dual_fmac_f32 v38, v22, v13
	v_fma_f32 v3, v21, v13, -v3
	s_delay_alu instid0(VALU_DEP_3) | instskip(NEXT) | instid1(VALU_DEP_4)
	v_dual_add_f32 v1, v1, v4 :: v_dual_add_f32 v2, v2, v34
	v_fmac_f32_e32 v29, v24, v15
	s_delay_alu instid0(VALU_DEP_4) | instskip(NEXT) | instid1(VALU_DEP_3)
	v_fma_f32 v4, v23, v15, -v5
	v_dual_add_f32 v1, v1, v3 :: v_dual_add_f32 v2, v2, v38
	s_delay_alu instid0(VALU_DEP_1) | instskip(NEXT) | instid1(VALU_DEP_1)
	v_dual_add_f32 v1, v1, v4 :: v_dual_add_f32 v2, v2, v29
	v_dual_sub_f32 v1, v36, v1 :: v_dual_sub_f32 v2, v37, v2
	scratch_store_b64 off, v[1:2], off offset:152
	v_cmpx_lt_u32_e32 18, v0
	s_cbranch_execz .LBB63_361
; %bb.360:
	scratch_load_b64 v[1:2], off, off offset:144
	v_mov_b32_e32 v3, 0
	s_delay_alu instid0(VALU_DEP_1)
	v_mov_b32_e32 v4, v3
	scratch_store_b64 off, v[3:4], off offset:144
	s_wait_loadcnt 0x0
	ds_store_b64 v35, v[1:2]
.LBB63_361:
	s_wait_alu 0xfffe
	s_or_b32 exec_lo, exec_lo, s0
	s_wait_storecnt_dscnt 0x0
	s_barrier_signal -1
	s_barrier_wait -1
	global_inv scope:SCOPE_SE
	s_clause 0x4
	scratch_load_b128 v[5:8], off, off offset:152
	scratch_load_b128 v[1:4], off, off offset:168
	;; [unrolled: 1-line block ×5, first 2 shown]
	v_mov_b32_e32 v21, 0
	ds_load_2addr_b64 v[22:25], v21 offset0:83 offset1:84
	ds_load_2addr_b64 v[26:29], v21 offset0:85 offset1:86
	;; [unrolled: 1-line block ×3, first 2 shown]
	scratch_load_b64 v[36:37], off, off offset:144
	s_mov_b32 s0, exec_lo
	s_wait_loadcnt_dscnt 0x502
	v_mul_f32_e32 v34, v23, v6
	v_dual_mul_f32 v38, v22, v6 :: v_dual_mul_f32 v39, v24, v8
	v_mul_f32_e32 v6, v25, v8
	s_wait_loadcnt_dscnt 0x300
	v_mul_f32_e32 v40, v32, v12
	v_fma_f32 v22, v22, v5, -v34
	v_dual_fmac_f32 v38, v23, v5 :: v_dual_fmac_f32 v39, v25, v7
	v_fma_f32 v23, v24, v7, -v6
	v_dual_mul_f32 v24, v26, v2 :: v_dual_mul_f32 v25, v28, v4
	v_mul_f32_e32 v2, v27, v2
	v_mul_f32_e32 v4, v29, v4
	ds_load_2addr_b64 v[5:8], v21 offset0:89 offset1:90
	v_mul_f32_e32 v34, v30, v10
	v_dual_fmac_f32 v24, v27, v1 :: v_dual_fmac_f32 v25, v29, v3
	v_fma_f32 v26, v26, v1, -v2
	v_fma_f32 v27, v28, v3, -v4
	v_mul_f32_e32 v12, v33, v12
	scratch_load_b128 v[1:4], off, off offset:232
	v_mul_f32_e32 v10, v31, v10
	v_fmac_f32_e32 v34, v31, v9
	v_fmac_f32_e32 v40, v33, v11
	v_fma_f32 v29, v32, v11, -v12
	s_delay_alu instid0(VALU_DEP_4)
	v_fma_f32 v28, v30, v9, -v10
	ds_load_2addr_b64 v[9:12], v21 offset0:91 offset1:92
	s_wait_loadcnt_dscnt 0x301
	v_mul_f32_e32 v30, v5, v14
	v_dual_mul_f32 v14, v6, v14 :: v_dual_mul_f32 v31, v7, v16
	v_mul_f32_e32 v16, v8, v16
	s_delay_alu instid0(VALU_DEP_3) | instskip(NEXT) | instid1(VALU_DEP_3)
	v_fmac_f32_e32 v30, v6, v13
	v_fma_f32 v13, v5, v13, -v14
	s_delay_alu instid0(VALU_DEP_4) | instskip(NEXT) | instid1(VALU_DEP_4)
	v_fmac_f32_e32 v31, v8, v15
	v_fma_f32 v14, v7, v15, -v16
	ds_load_2addr_b64 v[5:8], v21 offset0:93 offset1:94
	s_wait_loadcnt_dscnt 0x201
	v_mul_f32_e32 v15, v9, v18
	v_mul_f32_e32 v16, v10, v18
	;; [unrolled: 1-line block ×3, first 2 shown]
	s_delay_alu instid0(VALU_DEP_3) | instskip(NEXT) | instid1(VALU_DEP_3)
	v_dual_mul_f32 v20, v12, v20 :: v_dual_fmac_f32 v15, v10, v17
	v_fma_f32 v16, v9, v17, -v16
	s_delay_alu instid0(VALU_DEP_3) | instskip(NEXT) | instid1(VALU_DEP_3)
	v_fmac_f32_e32 v18, v12, v19
	v_fma_f32 v17, v11, v19, -v20
	scratch_load_b128 v[9:12], off, off offset:248
	s_wait_loadcnt_dscnt 0x100
	v_mul_f32_e32 v19, v5, v2
	v_mul_f32_e32 v2, v6, v2
	;; [unrolled: 1-line block ×3, first 2 shown]
	s_delay_alu instid0(VALU_DEP_3) | instskip(NEXT) | instid1(VALU_DEP_3)
	v_dual_mul_f32 v4, v8, v4 :: v_dual_fmac_f32 v19, v6, v1
	v_fma_f32 v32, v5, v1, -v2
	s_delay_alu instid0(VALU_DEP_3) | instskip(NEXT) | instid1(VALU_DEP_3)
	v_fmac_f32_e32 v20, v8, v3
	v_fma_f32 v33, v7, v3, -v4
	ds_load_2addr_b64 v[1:4], v21 offset0:95 offset1:96
	ds_load_2addr_b64 v[5:8], v21 offset0:97 offset1:98
	s_wait_loadcnt_dscnt 0x1
	v_mul_f32_e32 v41, v1, v10
	v_mul_f32_e32 v10, v2, v10
	s_delay_alu instid0(VALU_DEP_2) | instskip(NEXT) | instid1(VALU_DEP_2)
	v_dual_mul_f32 v42, v3, v12 :: v_dual_fmac_f32 v41, v2, v9
	v_fma_f32 v43, v1, v9, -v10
	v_mul_f32_e32 v1, v4, v12
	s_delay_alu instid0(VALU_DEP_3) | instskip(NEXT) | instid1(VALU_DEP_2)
	v_fmac_f32_e32 v42, v4, v11
	v_fma_f32 v44, v3, v11, -v1
	s_clause 0x1
	scratch_load_b128 v[1:4], off, off offset:264
	scratch_load_b128 v[9:12], off, off offset:280
	s_wait_loadcnt_dscnt 0x100
	v_mul_f32_e32 v45, v5, v2
	v_dual_mul_f32 v2, v6, v2 :: v_dual_mul_f32 v47, v7, v4
	s_delay_alu instid0(VALU_DEP_2) | instskip(NEXT) | instid1(VALU_DEP_2)
	v_fmac_f32_e32 v45, v6, v1
	v_fma_f32 v46, v5, v1, -v2
	v_mul_f32_e32 v1, v8, v4
	s_delay_alu instid0(VALU_DEP_4) | instskip(NEXT) | instid1(VALU_DEP_2)
	v_fmac_f32_e32 v47, v8, v3
	v_fma_f32 v48, v7, v3, -v1
	ds_load_2addr_b64 v[1:4], v21 offset0:99 offset1:100
	ds_load_2addr_b64 v[5:8], v21 offset0:101 offset1:102
	s_wait_loadcnt_dscnt 0x1
	v_mul_f32_e32 v49, v1, v10
	v_mul_f32_e32 v51, v3, v12
	s_delay_alu instid0(VALU_DEP_2) | instskip(NEXT) | instid1(VALU_DEP_2)
	v_fmac_f32_e32 v49, v2, v9
	v_dual_mul_f32 v2, v2, v10 :: v_dual_fmac_f32 v51, v4, v11
	s_delay_alu instid0(VALU_DEP_1) | instskip(SKIP_1) | instid1(VALU_DEP_1)
	v_fma_f32 v50, v1, v9, -v2
	v_mul_f32_e32 v1, v4, v12
	v_fma_f32 v52, v3, v11, -v1
	s_clause 0x1
	scratch_load_b128 v[1:4], off, off offset:296
	scratch_load_b128 v[9:12], off, off offset:312
	s_wait_loadcnt_dscnt 0x100
	v_mul_f32_e32 v53, v5, v2
	v_dual_mul_f32 v2, v6, v2 :: v_dual_mul_f32 v55, v7, v4
	s_delay_alu instid0(VALU_DEP_2) | instskip(NEXT) | instid1(VALU_DEP_2)
	v_fmac_f32_e32 v53, v6, v1
	v_fma_f32 v54, v5, v1, -v2
	v_mul_f32_e32 v1, v8, v4
	s_delay_alu instid0(VALU_DEP_4) | instskip(NEXT) | instid1(VALU_DEP_2)
	v_fmac_f32_e32 v55, v8, v3
	v_fma_f32 v56, v7, v3, -v1
	ds_load_2addr_b64 v[1:4], v21 offset0:103 offset1:104
	ds_load_2addr_b64 v[5:8], v21 offset0:105 offset1:106
	s_wait_loadcnt_dscnt 0x1
	v_mul_f32_e32 v57, v1, v10
	v_mul_f32_e32 v59, v3, v12
	s_delay_alu instid0(VALU_DEP_2) | instskip(NEXT) | instid1(VALU_DEP_2)
	v_fmac_f32_e32 v57, v2, v9
	v_dual_mul_f32 v2, v2, v10 :: v_dual_fmac_f32 v59, v4, v11
	s_delay_alu instid0(VALU_DEP_1) | instskip(SKIP_1) | instid1(VALU_DEP_1)
	v_fma_f32 v58, v1, v9, -v2
	v_mul_f32_e32 v1, v4, v12
	;; [unrolled: 25-line block ×5, first 2 shown]
	v_fma_f32 v212, v3, v11, -v1
	s_clause 0x1
	scratch_load_b128 v[1:4], off, off offset:424
	scratch_load_b128 v[9:12], off, off offset:440
	s_wait_loadcnt_dscnt 0x100
	v_mul_f32_e32 v213, v5, v2
	v_mul_f32_e32 v2, v6, v2
	s_delay_alu instid0(VALU_DEP_1) | instskip(SKIP_1) | instid1(VALU_DEP_1)
	v_fma_f32 v214, v5, v1, -v2
	v_add_f32_e32 v2, 0, v38
	v_add_f32_e32 v2, v2, v39
	s_delay_alu instid0(VALU_DEP_1) | instskip(NEXT) | instid1(VALU_DEP_1)
	v_add_f32_e32 v2, v2, v24
	v_add_f32_e32 v2, v2, v25
	s_delay_alu instid0(VALU_DEP_1) | instskip(NEXT) | instid1(VALU_DEP_1)
	;; [unrolled: 3-line block ×8, first 2 shown]
	v_add_f32_e32 v2, v2, v49
	v_add_f32_e32 v2, v2, v51
	s_delay_alu instid0(VALU_DEP_1) | instskip(SKIP_2) | instid1(VALU_DEP_3)
	v_add_f32_e32 v2, v2, v53
	v_fmac_f32_e32 v213, v6, v1
	v_mul_f32_e32 v1, v8, v4
	v_dual_mul_f32 v215, v7, v4 :: v_dual_add_f32 v2, v2, v55
	s_delay_alu instid0(VALU_DEP_2) | instskip(SKIP_1) | instid1(VALU_DEP_3)
	v_fma_f32 v216, v7, v3, -v1
	v_add_f32_e32 v1, 0, v22
	v_add_f32_e32 v5, v2, v57
	s_delay_alu instid0(VALU_DEP_2) | instskip(NEXT) | instid1(VALU_DEP_2)
	v_add_f32_e32 v1, v1, v23
	v_add_f32_e32 v5, v5, v59
	s_delay_alu instid0(VALU_DEP_2) | instskip(NEXT) | instid1(VALU_DEP_1)
	v_add_f32_e32 v1, v1, v26
	v_add_f32_e32 v1, v1, v27
	scratch_load_b64 v[26:27], off, off offset:504
	v_add_f32_e32 v1, v1, v28
	s_delay_alu instid0(VALU_DEP_1) | instskip(NEXT) | instid1(VALU_DEP_1)
	v_add_f32_e32 v1, v1, v29
	v_add_f32_e32 v1, v1, v13
	s_delay_alu instid0(VALU_DEP_1) | instskip(NEXT) | instid1(VALU_DEP_1)
	v_add_f32_e32 v1, v1, v14
	;; [unrolled: 3-line block ×8, first 2 shown]
	v_add_f32_e32 v1, v1, v58
	s_delay_alu instid0(VALU_DEP_1) | instskip(SKIP_2) | instid1(VALU_DEP_1)
	v_dual_add_f32 v6, v1, v60 :: v_dual_fmac_f32 v215, v8, v3
	ds_load_2addr_b64 v[1:4], v21 offset0:119 offset1:120
	v_dual_add_f32 v5, v5, v61 :: v_dual_add_f32 v6, v6, v62
	v_dual_add_f32 v14, v5, v63 :: v_dual_add_f32 v13, v6, v64
	ds_load_2addr_b64 v[5:8], v21 offset0:121 offset1:122
	v_add_f32_e32 v14, v14, v65
	s_delay_alu instid0(VALU_DEP_1) | instskip(SKIP_3) | instid1(VALU_DEP_3)
	v_add_f32_e32 v14, v14, v67
	s_wait_loadcnt_dscnt 0x101
	v_mul_f32_e32 v30, v1, v10
	v_dual_mul_f32 v10, v2, v10 :: v_dual_mul_f32 v31, v3, v12
	v_dual_mul_f32 v12, v4, v12 :: v_dual_add_f32 v17, v14, v197
	s_delay_alu instid0(VALU_DEP_3) | instskip(NEXT) | instid1(VALU_DEP_3)
	v_fmac_f32_e32 v30, v2, v9
	v_fma_f32 v32, v1, v9, -v10
	s_delay_alu instid0(VALU_DEP_4) | instskip(NEXT) | instid1(VALU_DEP_4)
	v_fmac_f32_e32 v31, v4, v11
	v_fma_f32 v33, v3, v11, -v12
	s_clause 0x1
	scratch_load_b128 v[1:4], off, off offset:456
	scratch_load_b128 v[9:12], off, off offset:472
	v_add_f32_e32 v13, v13, v66
	v_add_f32_e32 v17, v17, v199
	s_delay_alu instid0(VALU_DEP_2) | instskip(NEXT) | instid1(VALU_DEP_2)
	v_add_f32_e32 v13, v13, v68
	v_add_f32_e32 v17, v17, v201
	s_wait_loadcnt_dscnt 0x100
	s_delay_alu instid0(VALU_DEP_1) | instskip(SKIP_1) | instid1(VALU_DEP_2)
	v_dual_add_f32 v17, v17, v203 :: v_dual_mul_f32 v40, v7, v4
	v_mul_f32_e32 v4, v8, v4
	v_dual_fmac_f32 v40, v8, v3 :: v_dual_add_f32 v13, v13, v198
	s_delay_alu instid0(VALU_DEP_1) | instskip(SKIP_2) | instid1(VALU_DEP_1)
	v_add_f32_e32 v18, v13, v200
	scratch_load_b128 v[13:16], off, off offset:488
	v_dual_add_f32 v17, v17, v205 :: v_dual_add_f32 v18, v18, v202
	v_add_f32_e32 v22, v17, v207
	s_delay_alu instid0(VALU_DEP_2) | instskip(NEXT) | instid1(VALU_DEP_2)
	v_add_f32_e32 v18, v18, v204
	v_add_f32_e32 v29, v22, v209
	ds_load_2addr_b64 v[22:25], v21 offset0:125 offset1:126
	v_add_f32_e32 v18, v18, v206
	v_add_f32_e32 v38, v29, v211
	s_delay_alu instid0(VALU_DEP_2) | instskip(NEXT) | instid1(VALU_DEP_1)
	v_add_f32_e32 v18, v18, v208
	v_add_f32_e32 v28, v18, v210
	ds_load_2addr_b64 v[17:20], v21 offset0:123 offset1:124
	v_add_f32_e32 v34, v28, v212
	v_add_f32_e32 v38, v38, v213
	ds_load_b64 v[28:29], v21 offset:1016
	v_add_f32_e32 v34, v34, v214
	v_add_f32_e32 v38, v38, v215
	s_delay_alu instid0(VALU_DEP_2) | instskip(NEXT) | instid1(VALU_DEP_2)
	v_add_f32_e32 v34, v34, v216
	v_add_f32_e32 v30, v38, v30
	s_delay_alu instid0(VALU_DEP_2) | instskip(NEXT) | instid1(VALU_DEP_2)
	v_add_f32_e32 v32, v34, v32
	v_add_f32_e32 v30, v30, v31
	s_wait_loadcnt_dscnt 0x101
	v_mul_f32_e32 v34, v17, v10
	v_mul_f32_e32 v38, v19, v12
	v_add_f32_e32 v32, v32, v33
	s_delay_alu instid0(VALU_DEP_3) | instskip(NEXT) | instid1(VALU_DEP_3)
	v_fmac_f32_e32 v34, v18, v9
	v_fmac_f32_e32 v38, v20, v11
	s_wait_dscnt 0x0
	v_mul_f32_e32 v31, v28, v27
	s_delay_alu instid0(VALU_DEP_1) | instskip(SKIP_3) | instid1(VALU_DEP_2)
	v_fmac_f32_e32 v31, v29, v26
	s_wait_loadcnt 0x0
	v_mul_f32_e32 v33, v24, v16
	v_mul_f32_e32 v41, v22, v14
	v_fmac_f32_e32 v33, v25, v15
	v_mul_f32_e32 v39, v5, v2
	s_delay_alu instid0(VALU_DEP_3) | instskip(NEXT) | instid1(VALU_DEP_2)
	v_dual_mul_f32 v2, v6, v2 :: v_dual_fmac_f32 v41, v23, v13
	v_fmac_f32_e32 v39, v6, v1
	s_delay_alu instid0(VALU_DEP_2) | instskip(SKIP_2) | instid1(VALU_DEP_4)
	v_fma_f32 v2, v5, v1, -v2
	v_fma_f32 v1, v7, v3, -v4
	v_mul_f32_e32 v3, v18, v10
	v_dual_mul_f32 v5, v20, v12 :: v_dual_add_f32 v4, v30, v39
	s_delay_alu instid0(VALU_DEP_4) | instskip(NEXT) | instid1(VALU_DEP_3)
	v_add_f32_e32 v2, v32, v2
	v_fma_f32 v3, v17, v9, -v3
	s_delay_alu instid0(VALU_DEP_3) | instskip(NEXT) | instid1(VALU_DEP_3)
	v_fma_f32 v5, v19, v11, -v5
	v_dual_add_f32 v1, v2, v1 :: v_dual_add_f32 v2, v4, v40
	s_delay_alu instid0(VALU_DEP_1) | instskip(NEXT) | instid1(VALU_DEP_2)
	v_dual_mul_f32 v4, v23, v14 :: v_dual_add_f32 v1, v1, v3
	v_dual_add_f32 v2, v2, v34 :: v_dual_mul_f32 v3, v25, v16
	s_delay_alu instid0(VALU_DEP_2) | instskip(NEXT) | instid1(VALU_DEP_2)
	v_fma_f32 v4, v22, v13, -v4
	v_dual_add_f32 v1, v1, v5 :: v_dual_add_f32 v2, v2, v38
	v_mul_f32_e32 v5, v29, v27
	s_delay_alu instid0(VALU_DEP_4) | instskip(NEXT) | instid1(VALU_DEP_3)
	v_fma_f32 v3, v24, v15, -v3
	v_dual_add_f32 v1, v1, v4 :: v_dual_add_f32 v2, v2, v41
	s_delay_alu instid0(VALU_DEP_3) | instskip(NEXT) | instid1(VALU_DEP_2)
	v_fma_f32 v4, v28, v26, -v5
	v_dual_add_f32 v1, v1, v3 :: v_dual_add_f32 v2, v2, v33
	s_delay_alu instid0(VALU_DEP_1) | instskip(NEXT) | instid1(VALU_DEP_1)
	v_dual_add_f32 v1, v1, v4 :: v_dual_add_f32 v2, v2, v31
	v_dual_sub_f32 v1, v36, v1 :: v_dual_sub_f32 v2, v37, v2
	scratch_store_b64 off, v[1:2], off offset:144
	v_cmpx_lt_u32_e32 17, v0
	s_cbranch_execz .LBB63_363
; %bb.362:
	scratch_load_b64 v[1:2], off, off offset:136
	v_mov_b32_e32 v22, v21
	scratch_store_b64 off, v[21:22], off offset:136
	s_wait_loadcnt 0x0
	ds_store_b64 v35, v[1:2]
.LBB63_363:
	s_wait_alu 0xfffe
	s_or_b32 exec_lo, exec_lo, s0
	s_wait_storecnt_dscnt 0x0
	s_barrier_signal -1
	s_barrier_wait -1
	global_inv scope:SCOPE_SE
	s_clause 0x4
	scratch_load_b128 v[5:8], off, off offset:144
	scratch_load_b128 v[1:4], off, off offset:160
	;; [unrolled: 1-line block ×5, first 2 shown]
	ds_load_b128 v[22:25], v21 offset:656
	ds_load_b128 v[26:29], v21 offset:672
	ds_load_b128 v[30:33], v21 offset:688
	scratch_load_b64 v[36:37], off, off offset:136
	s_mov_b32 s0, exec_lo
	s_wait_loadcnt_dscnt 0x502
	v_dual_mul_f32 v34, v23, v6 :: v_dual_mul_f32 v39, v24, v8
	v_mul_f32_e32 v38, v22, v6
	v_mul_f32_e32 v6, v25, v8
	s_wait_loadcnt_dscnt 0x300
	v_mul_f32_e32 v40, v32, v12
	v_fma_f32 v22, v22, v5, -v34
	v_dual_fmac_f32 v39, v25, v7 :: v_dual_fmac_f32 v38, v23, v5
	v_mul_f32_e32 v25, v28, v4
	v_fma_f32 v23, v24, v7, -v6
	ds_load_b128 v[5:8], v21 offset:704
	v_mul_f32_e32 v24, v26, v2
	v_mul_f32_e32 v4, v29, v4
	;; [unrolled: 1-line block ×5, first 2 shown]
	v_dual_mul_f32 v2, v27, v2 :: v_dual_fmac_f32 v25, v29, v3
	v_fmac_f32_e32 v24, v27, v1
	v_fma_f32 v27, v28, v3, -v4
	v_fmac_f32_e32 v34, v31, v9
	v_fma_f32 v28, v30, v9, -v10
	;; [unrolled: 2-line block ×3, first 2 shown]
	ds_load_b128 v[9:12], v21 offset:720
	s_wait_loadcnt_dscnt 0x201
	v_mul_f32_e32 v30, v5, v14
	v_dual_mul_f32 v14, v6, v14 :: v_dual_mul_f32 v31, v7, v16
	v_mul_f32_e32 v16, v8, v16
	s_delay_alu instid0(VALU_DEP_3) | instskip(NEXT) | instid1(VALU_DEP_3)
	v_fmac_f32_e32 v30, v6, v13
	v_fma_f32 v13, v5, v13, -v14
	s_delay_alu instid0(VALU_DEP_4) | instskip(NEXT) | instid1(VALU_DEP_4)
	v_fmac_f32_e32 v31, v8, v15
	v_fma_f32 v14, v7, v15, -v16
	ds_load_b128 v[5:8], v21 offset:736
	s_wait_loadcnt_dscnt 0x101
	v_mul_f32_e32 v15, v9, v18
	v_mul_f32_e32 v16, v10, v18
	v_mul_f32_e32 v18, v11, v20
	s_delay_alu instid0(VALU_DEP_3)
	v_dual_mul_f32 v20, v12, v20 :: v_dual_fmac_f32 v15, v10, v17
	v_fma_f32 v26, v26, v1, -v2
	scratch_load_b128 v[1:4], off, off offset:224
	v_fma_f32 v16, v9, v17, -v16
	v_fmac_f32_e32 v18, v12, v19
	v_fma_f32 v17, v11, v19, -v20
	scratch_load_b128 v[9:12], off, off offset:240
	s_wait_loadcnt_dscnt 0x100
	v_mul_f32_e32 v19, v5, v2
	v_mul_f32_e32 v2, v6, v2
	;; [unrolled: 1-line block ×3, first 2 shown]
	s_delay_alu instid0(VALU_DEP_3) | instskip(NEXT) | instid1(VALU_DEP_3)
	v_dual_mul_f32 v4, v8, v4 :: v_dual_fmac_f32 v19, v6, v1
	v_fma_f32 v32, v5, v1, -v2
	s_delay_alu instid0(VALU_DEP_3) | instskip(NEXT) | instid1(VALU_DEP_3)
	v_fmac_f32_e32 v20, v8, v3
	v_fma_f32 v33, v7, v3, -v4
	ds_load_b128 v[1:4], v21 offset:752
	ds_load_b128 v[5:8], v21 offset:768
	s_wait_loadcnt_dscnt 0x1
	v_mul_f32_e32 v41, v1, v10
	v_mul_f32_e32 v10, v2, v10
	s_delay_alu instid0(VALU_DEP_2) | instskip(NEXT) | instid1(VALU_DEP_2)
	v_dual_mul_f32 v42, v3, v12 :: v_dual_fmac_f32 v41, v2, v9
	v_fma_f32 v43, v1, v9, -v10
	v_mul_f32_e32 v1, v4, v12
	s_delay_alu instid0(VALU_DEP_3) | instskip(NEXT) | instid1(VALU_DEP_2)
	v_fmac_f32_e32 v42, v4, v11
	v_fma_f32 v44, v3, v11, -v1
	s_clause 0x1
	scratch_load_b128 v[1:4], off, off offset:256
	scratch_load_b128 v[9:12], off, off offset:272
	s_wait_loadcnt_dscnt 0x100
	v_mul_f32_e32 v45, v5, v2
	v_dual_mul_f32 v2, v6, v2 :: v_dual_mul_f32 v47, v7, v4
	s_delay_alu instid0(VALU_DEP_2) | instskip(NEXT) | instid1(VALU_DEP_2)
	v_fmac_f32_e32 v45, v6, v1
	v_fma_f32 v46, v5, v1, -v2
	v_mul_f32_e32 v1, v8, v4
	s_delay_alu instid0(VALU_DEP_4) | instskip(NEXT) | instid1(VALU_DEP_2)
	v_fmac_f32_e32 v47, v8, v3
	v_fma_f32 v48, v7, v3, -v1
	ds_load_b128 v[1:4], v21 offset:784
	ds_load_b128 v[5:8], v21 offset:800
	s_wait_loadcnt_dscnt 0x1
	v_mul_f32_e32 v49, v1, v10
	v_mul_f32_e32 v51, v3, v12
	s_delay_alu instid0(VALU_DEP_2) | instskip(NEXT) | instid1(VALU_DEP_2)
	v_fmac_f32_e32 v49, v2, v9
	v_dual_mul_f32 v2, v2, v10 :: v_dual_fmac_f32 v51, v4, v11
	s_delay_alu instid0(VALU_DEP_1) | instskip(SKIP_1) | instid1(VALU_DEP_1)
	v_fma_f32 v50, v1, v9, -v2
	v_mul_f32_e32 v1, v4, v12
	v_fma_f32 v52, v3, v11, -v1
	s_clause 0x1
	scratch_load_b128 v[1:4], off, off offset:288
	scratch_load_b128 v[9:12], off, off offset:304
	s_wait_loadcnt_dscnt 0x100
	v_mul_f32_e32 v53, v5, v2
	v_dual_mul_f32 v2, v6, v2 :: v_dual_mul_f32 v55, v7, v4
	s_delay_alu instid0(VALU_DEP_2) | instskip(NEXT) | instid1(VALU_DEP_2)
	v_fmac_f32_e32 v53, v6, v1
	v_fma_f32 v54, v5, v1, -v2
	v_mul_f32_e32 v1, v8, v4
	s_delay_alu instid0(VALU_DEP_4) | instskip(NEXT) | instid1(VALU_DEP_2)
	v_fmac_f32_e32 v55, v8, v3
	v_fma_f32 v56, v7, v3, -v1
	ds_load_b128 v[1:4], v21 offset:816
	ds_load_b128 v[5:8], v21 offset:832
	s_wait_loadcnt_dscnt 0x1
	v_mul_f32_e32 v57, v1, v10
	v_mul_f32_e32 v59, v3, v12
	s_delay_alu instid0(VALU_DEP_2) | instskip(NEXT) | instid1(VALU_DEP_2)
	v_fmac_f32_e32 v57, v2, v9
	v_dual_mul_f32 v2, v2, v10 :: v_dual_fmac_f32 v59, v4, v11
	s_delay_alu instid0(VALU_DEP_1) | instskip(SKIP_1) | instid1(VALU_DEP_1)
	v_fma_f32 v58, v1, v9, -v2
	v_mul_f32_e32 v1, v4, v12
	;; [unrolled: 25-line block ×5, first 2 shown]
	v_fma_f32 v212, v3, v11, -v1
	s_clause 0x1
	scratch_load_b128 v[1:4], off, off offset:416
	scratch_load_b128 v[9:12], off, off offset:432
	s_wait_loadcnt_dscnt 0x100
	v_mul_f32_e32 v213, v5, v2
	v_mul_f32_e32 v2, v6, v2
	s_delay_alu instid0(VALU_DEP_1) | instskip(SKIP_1) | instid1(VALU_DEP_1)
	v_fma_f32 v214, v5, v1, -v2
	v_add_f32_e32 v2, 0, v38
	v_add_f32_e32 v2, v2, v39
	s_delay_alu instid0(VALU_DEP_1) | instskip(NEXT) | instid1(VALU_DEP_1)
	v_add_f32_e32 v2, v2, v24
	v_add_f32_e32 v2, v2, v25
	s_delay_alu instid0(VALU_DEP_1) | instskip(NEXT) | instid1(VALU_DEP_1)
	;; [unrolled: 3-line block ×8, first 2 shown]
	v_add_f32_e32 v2, v2, v49
	v_add_f32_e32 v2, v2, v51
	s_delay_alu instid0(VALU_DEP_1) | instskip(SKIP_2) | instid1(VALU_DEP_3)
	v_add_f32_e32 v2, v2, v53
	v_fmac_f32_e32 v213, v6, v1
	v_mul_f32_e32 v1, v8, v4
	v_dual_mul_f32 v215, v7, v4 :: v_dual_add_f32 v2, v2, v55
	s_delay_alu instid0(VALU_DEP_2) | instskip(SKIP_1) | instid1(VALU_DEP_3)
	v_fma_f32 v216, v7, v3, -v1
	v_add_f32_e32 v1, 0, v22
	v_dual_fmac_f32 v215, v8, v3 :: v_dual_add_f32 v2, v2, v57
	s_delay_alu instid0(VALU_DEP_2) | instskip(NEXT) | instid1(VALU_DEP_2)
	v_add_f32_e32 v1, v1, v23
	v_add_f32_e32 v5, v2, v59
	s_delay_alu instid0(VALU_DEP_2) | instskip(NEXT) | instid1(VALU_DEP_1)
	v_add_f32_e32 v1, v1, v26
	v_add_f32_e32 v1, v1, v27
	s_delay_alu instid0(VALU_DEP_1) | instskip(NEXT) | instid1(VALU_DEP_1)
	v_add_f32_e32 v1, v1, v28
	v_add_f32_e32 v1, v1, v29
	s_delay_alu instid0(VALU_DEP_1) | instskip(SKIP_1) | instid1(VALU_DEP_2)
	v_add_f32_e32 v1, v1, v13
	v_add_f32_e32 v13, v5, v61
	;; [unrolled: 1-line block ×3, first 2 shown]
	s_delay_alu instid0(VALU_DEP_2) | instskip(NEXT) | instid1(VALU_DEP_2)
	v_add_f32_e32 v13, v13, v63
	v_add_f32_e32 v1, v1, v16
	s_delay_alu instid0(VALU_DEP_1) | instskip(NEXT) | instid1(VALU_DEP_1)
	v_add_f32_e32 v1, v1, v17
	v_add_f32_e32 v1, v1, v32
	s_delay_alu instid0(VALU_DEP_1) | instskip(NEXT) | instid1(VALU_DEP_1)
	v_add_f32_e32 v1, v1, v33
	v_add_f32_e32 v1, v1, v43
	s_delay_alu instid0(VALU_DEP_1) | instskip(NEXT) | instid1(VALU_DEP_1)
	v_add_f32_e32 v1, v1, v44
	v_add_f32_e32 v1, v1, v46
	s_delay_alu instid0(VALU_DEP_1) | instskip(NEXT) | instid1(VALU_DEP_1)
	v_add_f32_e32 v1, v1, v48
	v_add_f32_e32 v1, v1, v50
	s_delay_alu instid0(VALU_DEP_1) | instskip(NEXT) | instid1(VALU_DEP_1)
	v_add_f32_e32 v1, v1, v52
	v_add_f32_e32 v1, v1, v54
	s_delay_alu instid0(VALU_DEP_1) | instskip(NEXT) | instid1(VALU_DEP_1)
	v_add_f32_e32 v1, v1, v56
	v_add_f32_e32 v1, v1, v58
	s_delay_alu instid0(VALU_DEP_1) | instskip(NEXT) | instid1(VALU_DEP_1)
	v_add_f32_e32 v1, v1, v60
	v_add_f32_e32 v6, v1, v62
	ds_load_b128 v[1:4], v21 offset:944
	v_dual_add_f32 v13, v13, v65 :: v_dual_add_f32 v14, v6, v64
	scratch_load_b128 v[5:8], off, off offset:448
	v_add_f32_e32 v18, v13, v67
	v_add_f32_e32 v14, v14, v66
	s_delay_alu instid0(VALU_DEP_2) | instskip(NEXT) | instid1(VALU_DEP_2)
	v_add_f32_e32 v18, v18, v197
	v_add_f32_e32 v17, v14, v68
	ds_load_b128 v[13:16], v21 offset:960
	v_dual_add_f32 v18, v18, v199 :: v_dual_add_f32 v17, v17, v198
	s_wait_loadcnt_dscnt 0x101
	v_mul_f32_e32 v25, v1, v10
	v_mul_f32_e32 v10, v2, v10
	;; [unrolled: 1-line block ×4, first 2 shown]
	v_add_f32_e32 v17, v17, v200
	v_fmac_f32_e32 v25, v2, v9
	v_fma_f32 v27, v1, v9, -v10
	v_fmac_f32_e32 v26, v4, v11
	v_fma_f32 v28, v3, v11, -v12
	s_clause 0x1
	scratch_load_b128 v[1:4], off, off offset:464
	scratch_load_b128 v[9:12], off, off offset:480
	v_dual_add_f32 v17, v17, v202 :: v_dual_add_f32 v22, v18, v201
	s_delay_alu instid0(VALU_DEP_1) | instskip(SKIP_2) | instid1(VALU_DEP_1)
	v_add_f32_e32 v23, v17, v204
	scratch_load_b128 v[17:20], off, off offset:496
	v_dual_add_f32 v22, v22, v203 :: v_dual_add_f32 v23, v23, v206
	v_dual_add_f32 v22, v22, v205 :: v_dual_add_f32 v23, v23, v208
	s_wait_loadcnt_dscnt 0x300
	v_mul_f32_e32 v29, v13, v6
	v_mul_f32_e32 v6, v14, v6
	;; [unrolled: 1-line block ×3, first 2 shown]
	s_delay_alu instid0(VALU_DEP_3) | instskip(NEXT) | instid1(VALU_DEP_3)
	v_dual_mul_f32 v8, v16, v8 :: v_dual_fmac_f32 v29, v14, v5
	v_fma_f32 v31, v13, v5, -v6
	v_dual_add_f32 v13, v22, v207 :: v_dual_add_f32 v22, v23, v210
	s_delay_alu instid0(VALU_DEP_4) | instskip(NEXT) | instid1(VALU_DEP_4)
	v_fmac_f32_e32 v30, v16, v7
	v_fma_f32 v32, v15, v7, -v8
	ds_load_b128 v[5:8], v21 offset:976
	v_add_f32_e32 v23, v13, v209
	v_add_f32_e32 v33, v22, v212
	ds_load_b128 v[13:16], v21 offset:992
	v_dual_add_f32 v34, v23, v211 :: v_dual_add_f32 v33, v33, v214
	ds_load_b128 v[21:24], v21 offset:1008
	v_dual_add_f32 v34, v34, v213 :: v_dual_add_f32 v33, v33, v216
	s_delay_alu instid0(VALU_DEP_1) | instskip(NEXT) | instid1(VALU_DEP_2)
	v_add_f32_e32 v34, v34, v215
	v_add_f32_e32 v27, v33, v27
	s_wait_loadcnt_dscnt 0x202
	s_delay_alu instid0(VALU_DEP_2) | instskip(NEXT) | instid1(VALU_DEP_2)
	v_dual_mul_f32 v38, v5, v2 :: v_dual_add_f32 v25, v34, v25
	v_dual_add_f32 v27, v27, v28 :: v_dual_mul_f32 v2, v6, v2
	v_mul_f32_e32 v33, v7, v4
	s_delay_alu instid0(VALU_DEP_3) | instskip(NEXT) | instid1(VALU_DEP_3)
	v_dual_mul_f32 v4, v8, v4 :: v_dual_add_f32 v25, v25, v26
	v_add_f32_e32 v27, v27, v31
	s_delay_alu instid0(VALU_DEP_4)
	v_fma_f32 v2, v5, v1, -v2
	v_fmac_f32_e32 v38, v6, v1
	s_wait_loadcnt_dscnt 0x101
	v_mul_f32_e32 v34, v13, v10
	v_add_f32_e32 v25, v25, v29
	v_dual_add_f32 v1, v27, v32 :: v_dual_mul_f32 v6, v14, v10
	v_fmac_f32_e32 v33, v8, v3
	v_fma_f32 v3, v7, v3, -v4
	s_delay_alu instid0(VALU_DEP_4) | instskip(NEXT) | instid1(VALU_DEP_4)
	v_add_f32_e32 v5, v25, v30
	v_add_f32_e32 v1, v1, v2
	v_mul_f32_e32 v39, v15, v12
	v_mul_f32_e32 v4, v16, v12
	v_fmac_f32_e32 v34, v14, v9
	v_add_f32_e32 v2, v5, v38
	v_fma_f32 v5, v13, v9, -v6
	v_add_f32_e32 v1, v1, v3
	s_wait_loadcnt_dscnt 0x0
	v_mul_f32_e32 v26, v21, v18
	v_mul_f32_e32 v3, v22, v18
	v_dual_add_f32 v2, v2, v33 :: v_dual_fmac_f32 v39, v16, v11
	v_fma_f32 v4, v15, v11, -v4
	v_dual_add_f32 v1, v1, v5 :: v_dual_mul_f32 v28, v23, v20
	s_delay_alu instid0(VALU_DEP_3) | instskip(SKIP_2) | instid1(VALU_DEP_3)
	v_dual_add_f32 v2, v2, v34 :: v_dual_mul_f32 v5, v24, v20
	v_fmac_f32_e32 v26, v22, v17
	v_fma_f32 v3, v21, v17, -v3
	v_dual_add_f32 v1, v1, v4 :: v_dual_add_f32 v2, v2, v39
	v_fmac_f32_e32 v28, v24, v19
	v_fma_f32 v4, v23, v19, -v5
	s_delay_alu instid0(VALU_DEP_3) | instskip(NEXT) | instid1(VALU_DEP_1)
	v_dual_add_f32 v1, v1, v3 :: v_dual_add_f32 v2, v2, v26
	v_add_f32_e32 v1, v1, v4
	s_delay_alu instid0(VALU_DEP_1) | instskip(NEXT) | instid1(VALU_DEP_1)
	v_dual_add_f32 v2, v2, v28 :: v_dual_sub_f32 v1, v36, v1
	v_sub_f32_e32 v2, v37, v2
	scratch_store_b64 off, v[1:2], off offset:136
	v_cmpx_lt_u32_e32 16, v0
	s_cbranch_execz .LBB63_365
; %bb.364:
	scratch_load_b64 v[1:2], off, off offset:128
	v_mov_b32_e32 v3, 0
	s_delay_alu instid0(VALU_DEP_1)
	v_mov_b32_e32 v4, v3
	scratch_store_b64 off, v[3:4], off offset:128
	s_wait_loadcnt 0x0
	ds_store_b64 v35, v[1:2]
.LBB63_365:
	s_wait_alu 0xfffe
	s_or_b32 exec_lo, exec_lo, s0
	s_wait_storecnt_dscnt 0x0
	s_barrier_signal -1
	s_barrier_wait -1
	global_inv scope:SCOPE_SE
	s_clause 0x4
	scratch_load_b128 v[5:8], off, off offset:136
	scratch_load_b128 v[1:4], off, off offset:152
	;; [unrolled: 1-line block ×5, first 2 shown]
	v_mov_b32_e32 v21, 0
	ds_load_2addr_b64 v[22:25], v21 offset0:81 offset1:82
	ds_load_2addr_b64 v[26:29], v21 offset0:83 offset1:84
	;; [unrolled: 1-line block ×3, first 2 shown]
	scratch_load_b64 v[36:37], off, off offset:128
	s_mov_b32 s0, exec_lo
	s_wait_loadcnt_dscnt 0x502
	v_mul_f32_e32 v34, v23, v6
	v_dual_mul_f32 v38, v22, v6 :: v_dual_mul_f32 v39, v24, v8
	v_mul_f32_e32 v6, v25, v8
	s_wait_loadcnt_dscnt 0x300
	v_mul_f32_e32 v40, v32, v12
	v_fma_f32 v22, v22, v5, -v34
	v_dual_fmac_f32 v38, v23, v5 :: v_dual_fmac_f32 v39, v25, v7
	v_fma_f32 v23, v24, v7, -v6
	v_dual_mul_f32 v24, v26, v2 :: v_dual_mul_f32 v25, v28, v4
	v_mul_f32_e32 v2, v27, v2
	v_mul_f32_e32 v4, v29, v4
	ds_load_2addr_b64 v[5:8], v21 offset0:87 offset1:88
	v_mul_f32_e32 v34, v30, v10
	v_dual_fmac_f32 v24, v27, v1 :: v_dual_fmac_f32 v25, v29, v3
	v_fma_f32 v26, v26, v1, -v2
	v_fma_f32 v27, v28, v3, -v4
	v_mul_f32_e32 v12, v33, v12
	scratch_load_b128 v[1:4], off, off offset:216
	v_mul_f32_e32 v10, v31, v10
	v_fmac_f32_e32 v34, v31, v9
	v_fmac_f32_e32 v40, v33, v11
	v_fma_f32 v29, v32, v11, -v12
	s_delay_alu instid0(VALU_DEP_4)
	v_fma_f32 v28, v30, v9, -v10
	ds_load_2addr_b64 v[9:12], v21 offset0:89 offset1:90
	s_wait_loadcnt_dscnt 0x301
	v_mul_f32_e32 v30, v5, v14
	v_dual_mul_f32 v14, v6, v14 :: v_dual_mul_f32 v31, v7, v16
	v_mul_f32_e32 v16, v8, v16
	s_delay_alu instid0(VALU_DEP_3) | instskip(NEXT) | instid1(VALU_DEP_3)
	v_fmac_f32_e32 v30, v6, v13
	v_fma_f32 v13, v5, v13, -v14
	s_delay_alu instid0(VALU_DEP_4) | instskip(NEXT) | instid1(VALU_DEP_4)
	v_fmac_f32_e32 v31, v8, v15
	v_fma_f32 v14, v7, v15, -v16
	ds_load_2addr_b64 v[5:8], v21 offset0:91 offset1:92
	s_wait_loadcnt_dscnt 0x201
	v_mul_f32_e32 v15, v9, v18
	v_mul_f32_e32 v16, v10, v18
	;; [unrolled: 1-line block ×3, first 2 shown]
	s_delay_alu instid0(VALU_DEP_3) | instskip(NEXT) | instid1(VALU_DEP_3)
	v_dual_mul_f32 v20, v12, v20 :: v_dual_fmac_f32 v15, v10, v17
	v_fma_f32 v16, v9, v17, -v16
	s_delay_alu instid0(VALU_DEP_3) | instskip(NEXT) | instid1(VALU_DEP_3)
	v_fmac_f32_e32 v18, v12, v19
	v_fma_f32 v17, v11, v19, -v20
	scratch_load_b128 v[9:12], off, off offset:232
	s_wait_loadcnt_dscnt 0x100
	v_mul_f32_e32 v19, v5, v2
	v_mul_f32_e32 v2, v6, v2
	;; [unrolled: 1-line block ×3, first 2 shown]
	s_delay_alu instid0(VALU_DEP_3) | instskip(NEXT) | instid1(VALU_DEP_3)
	v_dual_mul_f32 v4, v8, v4 :: v_dual_fmac_f32 v19, v6, v1
	v_fma_f32 v32, v5, v1, -v2
	s_delay_alu instid0(VALU_DEP_3) | instskip(NEXT) | instid1(VALU_DEP_3)
	v_fmac_f32_e32 v20, v8, v3
	v_fma_f32 v33, v7, v3, -v4
	ds_load_2addr_b64 v[1:4], v21 offset0:93 offset1:94
	ds_load_2addr_b64 v[5:8], v21 offset0:95 offset1:96
	s_wait_loadcnt_dscnt 0x1
	v_mul_f32_e32 v41, v1, v10
	v_mul_f32_e32 v10, v2, v10
	s_delay_alu instid0(VALU_DEP_2) | instskip(NEXT) | instid1(VALU_DEP_2)
	v_dual_mul_f32 v42, v3, v12 :: v_dual_fmac_f32 v41, v2, v9
	v_fma_f32 v43, v1, v9, -v10
	v_mul_f32_e32 v1, v4, v12
	s_delay_alu instid0(VALU_DEP_3) | instskip(NEXT) | instid1(VALU_DEP_2)
	v_fmac_f32_e32 v42, v4, v11
	v_fma_f32 v44, v3, v11, -v1
	s_clause 0x1
	scratch_load_b128 v[1:4], off, off offset:248
	scratch_load_b128 v[9:12], off, off offset:264
	s_wait_loadcnt_dscnt 0x100
	v_mul_f32_e32 v45, v5, v2
	v_dual_mul_f32 v2, v6, v2 :: v_dual_mul_f32 v47, v7, v4
	s_delay_alu instid0(VALU_DEP_2) | instskip(NEXT) | instid1(VALU_DEP_2)
	v_fmac_f32_e32 v45, v6, v1
	v_fma_f32 v46, v5, v1, -v2
	v_mul_f32_e32 v1, v8, v4
	s_delay_alu instid0(VALU_DEP_4) | instskip(NEXT) | instid1(VALU_DEP_2)
	v_fmac_f32_e32 v47, v8, v3
	v_fma_f32 v48, v7, v3, -v1
	ds_load_2addr_b64 v[1:4], v21 offset0:97 offset1:98
	ds_load_2addr_b64 v[5:8], v21 offset0:99 offset1:100
	s_wait_loadcnt_dscnt 0x1
	v_mul_f32_e32 v49, v1, v10
	v_mul_f32_e32 v51, v3, v12
	s_delay_alu instid0(VALU_DEP_2) | instskip(NEXT) | instid1(VALU_DEP_2)
	v_fmac_f32_e32 v49, v2, v9
	v_dual_mul_f32 v2, v2, v10 :: v_dual_fmac_f32 v51, v4, v11
	s_delay_alu instid0(VALU_DEP_1) | instskip(SKIP_1) | instid1(VALU_DEP_1)
	v_fma_f32 v50, v1, v9, -v2
	v_mul_f32_e32 v1, v4, v12
	v_fma_f32 v52, v3, v11, -v1
	s_clause 0x1
	scratch_load_b128 v[1:4], off, off offset:280
	scratch_load_b128 v[9:12], off, off offset:296
	s_wait_loadcnt_dscnt 0x100
	v_mul_f32_e32 v53, v5, v2
	v_dual_mul_f32 v2, v6, v2 :: v_dual_mul_f32 v55, v7, v4
	s_delay_alu instid0(VALU_DEP_2) | instskip(NEXT) | instid1(VALU_DEP_2)
	v_fmac_f32_e32 v53, v6, v1
	v_fma_f32 v54, v5, v1, -v2
	v_mul_f32_e32 v1, v8, v4
	s_delay_alu instid0(VALU_DEP_4) | instskip(NEXT) | instid1(VALU_DEP_2)
	v_fmac_f32_e32 v55, v8, v3
	v_fma_f32 v56, v7, v3, -v1
	ds_load_2addr_b64 v[1:4], v21 offset0:101 offset1:102
	ds_load_2addr_b64 v[5:8], v21 offset0:103 offset1:104
	s_wait_loadcnt_dscnt 0x1
	v_mul_f32_e32 v57, v1, v10
	v_mul_f32_e32 v59, v3, v12
	s_delay_alu instid0(VALU_DEP_2) | instskip(NEXT) | instid1(VALU_DEP_2)
	v_fmac_f32_e32 v57, v2, v9
	v_dual_mul_f32 v2, v2, v10 :: v_dual_fmac_f32 v59, v4, v11
	s_delay_alu instid0(VALU_DEP_1) | instskip(SKIP_1) | instid1(VALU_DEP_1)
	v_fma_f32 v58, v1, v9, -v2
	v_mul_f32_e32 v1, v4, v12
	v_fma_f32 v60, v3, v11, -v1
	s_clause 0x1
	scratch_load_b128 v[1:4], off, off offset:312
	scratch_load_b128 v[9:12], off, off offset:328
	s_wait_loadcnt_dscnt 0x100
	v_mul_f32_e32 v61, v5, v2
	v_dual_mul_f32 v2, v6, v2 :: v_dual_mul_f32 v63, v7, v4
	s_delay_alu instid0(VALU_DEP_1) | instskip(NEXT) | instid1(VALU_DEP_3)
	v_fma_f32 v62, v5, v1, -v2
	v_fmac_f32_e32 v61, v6, v1
	v_mul_f32_e32 v1, v8, v4
	s_delay_alu instid0(VALU_DEP_4) | instskip(NEXT) | instid1(VALU_DEP_2)
	v_fmac_f32_e32 v63, v8, v3
	v_fma_f32 v64, v7, v3, -v1
	ds_load_2addr_b64 v[1:4], v21 offset0:105 offset1:106
	ds_load_2addr_b64 v[5:8], v21 offset0:107 offset1:108
	s_wait_loadcnt_dscnt 0x1
	v_mul_f32_e32 v65, v1, v10
	v_mul_f32_e32 v67, v3, v12
	s_delay_alu instid0(VALU_DEP_1) | instskip(NEXT) | instid1(VALU_DEP_3)
	v_fmac_f32_e32 v67, v4, v11
	v_fmac_f32_e32 v65, v2, v9
	v_mul_f32_e32 v2, v2, v10
	s_delay_alu instid0(VALU_DEP_1) | instskip(SKIP_1) | instid1(VALU_DEP_1)
	v_fma_f32 v66, v1, v9, -v2
	v_mul_f32_e32 v1, v4, v12
	v_fma_f32 v68, v3, v11, -v1
	s_clause 0x1
	scratch_load_b128 v[1:4], off, off offset:344
	scratch_load_b128 v[9:12], off, off offset:360
	s_wait_loadcnt_dscnt 0x100
	v_mul_f32_e32 v197, v5, v2
	v_dual_mul_f32 v2, v6, v2 :: v_dual_mul_f32 v199, v7, v4
	s_delay_alu instid0(VALU_DEP_2) | instskip(NEXT) | instid1(VALU_DEP_2)
	v_fmac_f32_e32 v197, v6, v1
	v_fma_f32 v198, v5, v1, -v2
	v_mul_f32_e32 v1, v8, v4
	s_delay_alu instid0(VALU_DEP_4) | instskip(NEXT) | instid1(VALU_DEP_2)
	v_fmac_f32_e32 v199, v8, v3
	v_fma_f32 v200, v7, v3, -v1
	ds_load_2addr_b64 v[1:4], v21 offset0:109 offset1:110
	ds_load_2addr_b64 v[5:8], v21 offset0:111 offset1:112
	s_wait_loadcnt_dscnt 0x1
	v_mul_f32_e32 v201, v1, v10
	v_mul_f32_e32 v203, v3, v12
	s_delay_alu instid0(VALU_DEP_2) | instskip(NEXT) | instid1(VALU_DEP_2)
	v_fmac_f32_e32 v201, v2, v9
	v_dual_mul_f32 v2, v2, v10 :: v_dual_fmac_f32 v203, v4, v11
	s_delay_alu instid0(VALU_DEP_1) | instskip(SKIP_1) | instid1(VALU_DEP_1)
	v_fma_f32 v202, v1, v9, -v2
	v_mul_f32_e32 v1, v4, v12
	v_fma_f32 v204, v3, v11, -v1
	s_clause 0x1
	scratch_load_b128 v[1:4], off, off offset:376
	scratch_load_b128 v[9:12], off, off offset:392
	s_wait_loadcnt_dscnt 0x100
	v_mul_f32_e32 v205, v5, v2
	v_dual_mul_f32 v2, v6, v2 :: v_dual_mul_f32 v207, v7, v4
	s_delay_alu instid0(VALU_DEP_2) | instskip(NEXT) | instid1(VALU_DEP_2)
	v_fmac_f32_e32 v205, v6, v1
	v_fma_f32 v206, v5, v1, -v2
	v_mul_f32_e32 v1, v8, v4
	s_delay_alu instid0(VALU_DEP_4) | instskip(NEXT) | instid1(VALU_DEP_2)
	v_fmac_f32_e32 v207, v8, v3
	v_fma_f32 v208, v7, v3, -v1
	ds_load_2addr_b64 v[1:4], v21 offset0:113 offset1:114
	ds_load_2addr_b64 v[5:8], v21 offset0:115 offset1:116
	s_wait_loadcnt_dscnt 0x1
	v_mul_f32_e32 v209, v1, v10
	v_mul_f32_e32 v211, v3, v12
	s_delay_alu instid0(VALU_DEP_2) | instskip(NEXT) | instid1(VALU_DEP_2)
	v_fmac_f32_e32 v209, v2, v9
	v_dual_mul_f32 v2, v2, v10 :: v_dual_fmac_f32 v211, v4, v11
	s_delay_alu instid0(VALU_DEP_1) | instskip(SKIP_1) | instid1(VALU_DEP_1)
	v_fma_f32 v210, v1, v9, -v2
	v_mul_f32_e32 v1, v4, v12
	v_fma_f32 v212, v3, v11, -v1
	s_clause 0x1
	scratch_load_b128 v[1:4], off, off offset:408
	scratch_load_b128 v[9:12], off, off offset:424
	s_wait_loadcnt_dscnt 0x100
	v_mul_f32_e32 v213, v5, v2
	v_mul_f32_e32 v2, v6, v2
	s_delay_alu instid0(VALU_DEP_1) | instskip(SKIP_1) | instid1(VALU_DEP_1)
	v_fma_f32 v214, v5, v1, -v2
	v_add_f32_e32 v2, 0, v38
	v_add_f32_e32 v2, v2, v39
	s_delay_alu instid0(VALU_DEP_1) | instskip(NEXT) | instid1(VALU_DEP_1)
	v_add_f32_e32 v2, v2, v24
	v_add_f32_e32 v2, v2, v25
	s_delay_alu instid0(VALU_DEP_1) | instskip(NEXT) | instid1(VALU_DEP_1)
	;; [unrolled: 3-line block ×8, first 2 shown]
	v_add_f32_e32 v2, v2, v49
	v_add_f32_e32 v2, v2, v51
	s_delay_alu instid0(VALU_DEP_1) | instskip(SKIP_2) | instid1(VALU_DEP_3)
	v_add_f32_e32 v2, v2, v53
	v_fmac_f32_e32 v213, v6, v1
	v_mul_f32_e32 v1, v8, v4
	v_dual_mul_f32 v215, v7, v4 :: v_dual_add_f32 v2, v2, v55
	s_delay_alu instid0(VALU_DEP_2) | instskip(SKIP_1) | instid1(VALU_DEP_3)
	v_fma_f32 v216, v7, v3, -v1
	v_add_f32_e32 v1, 0, v22
	v_dual_fmac_f32 v215, v8, v3 :: v_dual_add_f32 v2, v2, v57
	s_delay_alu instid0(VALU_DEP_2) | instskip(NEXT) | instid1(VALU_DEP_2)
	v_add_f32_e32 v1, v1, v23
	v_add_f32_e32 v5, v2, v59
	s_delay_alu instid0(VALU_DEP_2) | instskip(NEXT) | instid1(VALU_DEP_1)
	v_add_f32_e32 v1, v1, v26
	v_add_f32_e32 v1, v1, v27
	scratch_load_b64 v[26:27], off, off offset:504
	v_add_f32_e32 v1, v1, v28
	s_delay_alu instid0(VALU_DEP_1) | instskip(NEXT) | instid1(VALU_DEP_1)
	v_add_f32_e32 v1, v1, v29
	v_add_f32_e32 v1, v1, v13
	s_delay_alu instid0(VALU_DEP_1) | instskip(NEXT) | instid1(VALU_DEP_1)
	v_add_f32_e32 v1, v1, v14
	;; [unrolled: 3-line block ×9, first 2 shown]
	v_add_f32_e32 v6, v1, v62
	scratch_load_b128 v[1:4], off, off offset:440
	v_dual_add_f32 v13, v5, v61 :: v_dual_add_f32 v14, v6, v64
	ds_load_2addr_b64 v[5:8], v21 offset0:117 offset1:118
	v_dual_add_f32 v13, v13, v63 :: v_dual_add_f32 v14, v14, v66
	s_delay_alu instid0(VALU_DEP_1) | instskip(NEXT) | instid1(VALU_DEP_1)
	v_add_f32_e32 v13, v13, v65
	v_dual_add_f32 v17, v14, v68 :: v_dual_add_f32 v18, v13, v67
	ds_load_2addr_b64 v[13:16], v21 offset0:119 offset1:120
	s_wait_loadcnt_dscnt 0x201
	v_mul_f32_e32 v30, v5, v10
	v_dual_add_f32 v18, v18, v197 :: v_dual_mul_f32 v31, v7, v12
	v_mul_f32_e32 v12, v8, v12
	v_mul_f32_e32 v10, v6, v10
	s_delay_alu instid0(VALU_DEP_4) | instskip(NEXT) | instid1(VALU_DEP_4)
	v_fmac_f32_e32 v30, v6, v9
	v_add_f32_e32 v18, v18, v199
	v_fmac_f32_e32 v31, v8, v11
	v_fma_f32 v33, v7, v11, -v12
	v_fma_f32 v32, v5, v9, -v10
	scratch_load_b128 v[5:8], off, off offset:456
	v_add_f32_e32 v22, v18, v201
	scratch_load_b128 v[9:12], off, off offset:472
	v_add_f32_e32 v22, v22, v203
	s_wait_loadcnt_dscnt 0x200
	v_mul_f32_e32 v34, v13, v2
	s_delay_alu instid0(VALU_DEP_2)
	v_add_f32_e32 v22, v22, v205
	v_mul_f32_e32 v2, v14, v2
	v_mul_f32_e32 v38, v15, v4
	;; [unrolled: 1-line block ×3, first 2 shown]
	v_fmac_f32_e32 v34, v14, v1
	v_add_f32_e32 v22, v22, v207
	v_fma_f32 v39, v13, v1, -v2
	v_fmac_f32_e32 v38, v16, v3
	v_fma_f32 v40, v15, v3, -v4
	ds_load_2addr_b64 v[1:4], v21 offset0:121 offset1:122
	v_add_f32_e32 v13, v22, v209
	s_delay_alu instid0(VALU_DEP_1) | instskip(SKIP_1) | instid1(VALU_DEP_2)
	v_add_f32_e32 v22, v13, v211
	v_add_f32_e32 v17, v17, v198
	;; [unrolled: 1-line block ×3, first 2 shown]
	s_delay_alu instid0(VALU_DEP_1) | instskip(NEXT) | instid1(VALU_DEP_1)
	v_add_f32_e32 v42, v29, v215
	v_add_f32_e32 v30, v42, v30
	s_delay_alu instid0(VALU_DEP_1) | instskip(NEXT) | instid1(VALU_DEP_1)
	v_add_f32_e32 v30, v30, v31
	v_add_f32_e32 v30, v30, v34
	s_delay_alu instid0(VALU_DEP_1) | instskip(NEXT) | instid1(VALU_DEP_1)
	v_dual_add_f32 v30, v30, v38 :: v_dual_add_f32 v17, v17, v200
	v_add_f32_e32 v17, v17, v202
	s_delay_alu instid0(VALU_DEP_1) | instskip(SKIP_2) | instid1(VALU_DEP_1)
	v_add_f32_e32 v23, v17, v204
	scratch_load_b128 v[17:20], off, off offset:488
	v_add_f32_e32 v23, v23, v206
	v_add_f32_e32 v23, v23, v208
	s_delay_alu instid0(VALU_DEP_1) | instskip(NEXT) | instid1(VALU_DEP_1)
	v_add_f32_e32 v23, v23, v210
	v_add_f32_e32 v14, v23, v212
	ds_load_2addr_b64 v[22:25], v21 offset0:125 offset1:126
	v_add_f32_e32 v28, v14, v214
	ds_load_2addr_b64 v[13:16], v21 offset0:123 offset1:124
	v_add_f32_e32 v41, v28, v216
	ds_load_b64 v[28:29], v21 offset:1016
	v_add_f32_e32 v32, v41, v32
	s_delay_alu instid0(VALU_DEP_1) | instskip(SKIP_1) | instid1(VALU_DEP_1)
	v_add_f32_e32 v32, v32, v33
	s_wait_loadcnt_dscnt 0x101
	v_dual_add_f32 v32, v32, v39 :: v_dual_mul_f32 v33, v13, v10
	v_mul_f32_e32 v34, v15, v12
	s_delay_alu instid0(VALU_DEP_2) | instskip(SKIP_1) | instid1(VALU_DEP_3)
	v_add_f32_e32 v32, v32, v40
	s_wait_dscnt 0x0
	v_dual_mul_f32 v38, v28, v27 :: v_dual_fmac_f32 v33, v14, v9
	s_delay_alu instid0(VALU_DEP_3) | instskip(NEXT) | instid1(VALU_DEP_2)
	v_fmac_f32_e32 v34, v16, v11
	v_dual_fmac_f32 v38, v29, v26 :: v_dual_mul_f32 v31, v3, v8
	v_mul_f32_e32 v8, v4, v8
	s_delay_alu instid0(VALU_DEP_2) | instskip(SKIP_2) | instid1(VALU_DEP_1)
	v_fmac_f32_e32 v31, v4, v7
	s_wait_loadcnt 0x0
	v_dual_mul_f32 v40, v24, v20 :: v_dual_mul_f32 v39, v22, v18
	v_fmac_f32_e32 v40, v25, v19
	v_mul_f32_e32 v41, v1, v6
	s_delay_alu instid0(VALU_DEP_3) | instskip(NEXT) | instid1(VALU_DEP_2)
	v_dual_mul_f32 v6, v2, v6 :: v_dual_fmac_f32 v39, v23, v17
	v_fmac_f32_e32 v41, v2, v5
	s_delay_alu instid0(VALU_DEP_2) | instskip(SKIP_2) | instid1(VALU_DEP_4)
	v_fma_f32 v1, v1, v5, -v6
	v_fma_f32 v2, v3, v7, -v8
	v_mul_f32_e32 v3, v14, v10
	v_dual_mul_f32 v5, v16, v12 :: v_dual_add_f32 v4, v30, v41
	s_delay_alu instid0(VALU_DEP_4) | instskip(NEXT) | instid1(VALU_DEP_3)
	v_add_f32_e32 v1, v32, v1
	v_fma_f32 v3, v13, v9, -v3
	s_delay_alu instid0(VALU_DEP_3) | instskip(NEXT) | instid1(VALU_DEP_3)
	v_fma_f32 v5, v15, v11, -v5
	v_dual_add_f32 v1, v1, v2 :: v_dual_add_f32 v2, v4, v31
	s_delay_alu instid0(VALU_DEP_1) | instskip(NEXT) | instid1(VALU_DEP_2)
	v_dual_mul_f32 v4, v23, v18 :: v_dual_add_f32 v1, v1, v3
	v_dual_add_f32 v2, v2, v33 :: v_dual_mul_f32 v3, v25, v20
	s_delay_alu instid0(VALU_DEP_2) | instskip(NEXT) | instid1(VALU_DEP_2)
	v_fma_f32 v4, v22, v17, -v4
	v_dual_add_f32 v1, v1, v5 :: v_dual_add_f32 v2, v2, v34
	v_mul_f32_e32 v5, v29, v27
	s_delay_alu instid0(VALU_DEP_4) | instskip(NEXT) | instid1(VALU_DEP_3)
	v_fma_f32 v3, v24, v19, -v3
	v_dual_add_f32 v1, v1, v4 :: v_dual_add_f32 v2, v2, v39
	s_delay_alu instid0(VALU_DEP_3) | instskip(NEXT) | instid1(VALU_DEP_2)
	v_fma_f32 v4, v28, v26, -v5
	v_dual_add_f32 v1, v1, v3 :: v_dual_add_f32 v2, v2, v40
	s_delay_alu instid0(VALU_DEP_1) | instskip(NEXT) | instid1(VALU_DEP_1)
	v_dual_add_f32 v1, v1, v4 :: v_dual_add_f32 v2, v2, v38
	v_dual_sub_f32 v1, v36, v1 :: v_dual_sub_f32 v2, v37, v2
	scratch_store_b64 off, v[1:2], off offset:128
	v_cmpx_lt_u32_e32 15, v0
	s_cbranch_execz .LBB63_367
; %bb.366:
	scratch_load_b64 v[1:2], off, off offset:120
	v_mov_b32_e32 v22, v21
	scratch_store_b64 off, v[21:22], off offset:120
	s_wait_loadcnt 0x0
	ds_store_b64 v35, v[1:2]
.LBB63_367:
	s_wait_alu 0xfffe
	s_or_b32 exec_lo, exec_lo, s0
	s_wait_storecnt_dscnt 0x0
	s_barrier_signal -1
	s_barrier_wait -1
	global_inv scope:SCOPE_SE
	s_clause 0x4
	scratch_load_b128 v[5:8], off, off offset:128
	scratch_load_b128 v[1:4], off, off offset:144
	;; [unrolled: 1-line block ×5, first 2 shown]
	ds_load_b128 v[22:25], v21 offset:640
	ds_load_b128 v[26:29], v21 offset:656
	;; [unrolled: 1-line block ×3, first 2 shown]
	scratch_load_b64 v[36:37], off, off offset:120
	s_mov_b32 s0, exec_lo
	s_wait_loadcnt_dscnt 0x502
	v_dual_mul_f32 v34, v23, v6 :: v_dual_mul_f32 v39, v24, v8
	v_mul_f32_e32 v38, v22, v6
	v_mul_f32_e32 v6, v25, v8
	s_wait_loadcnt_dscnt 0x300
	v_mul_f32_e32 v40, v32, v12
	v_fma_f32 v22, v22, v5, -v34
	v_dual_fmac_f32 v39, v25, v7 :: v_dual_fmac_f32 v38, v23, v5
	v_mul_f32_e32 v25, v28, v4
	v_fma_f32 v23, v24, v7, -v6
	ds_load_b128 v[5:8], v21 offset:688
	v_mul_f32_e32 v24, v26, v2
	v_mul_f32_e32 v4, v29, v4
	;; [unrolled: 1-line block ×5, first 2 shown]
	v_dual_mul_f32 v2, v27, v2 :: v_dual_fmac_f32 v25, v29, v3
	v_fmac_f32_e32 v24, v27, v1
	v_fma_f32 v27, v28, v3, -v4
	v_fmac_f32_e32 v34, v31, v9
	v_fma_f32 v28, v30, v9, -v10
	;; [unrolled: 2-line block ×3, first 2 shown]
	ds_load_b128 v[9:12], v21 offset:704
	s_wait_loadcnt_dscnt 0x201
	v_mul_f32_e32 v30, v5, v14
	v_dual_mul_f32 v14, v6, v14 :: v_dual_mul_f32 v31, v7, v16
	v_mul_f32_e32 v16, v8, v16
	s_delay_alu instid0(VALU_DEP_3) | instskip(NEXT) | instid1(VALU_DEP_3)
	v_fmac_f32_e32 v30, v6, v13
	v_fma_f32 v13, v5, v13, -v14
	s_delay_alu instid0(VALU_DEP_4) | instskip(NEXT) | instid1(VALU_DEP_4)
	v_fmac_f32_e32 v31, v8, v15
	v_fma_f32 v14, v7, v15, -v16
	ds_load_b128 v[5:8], v21 offset:720
	s_wait_loadcnt_dscnt 0x101
	v_mul_f32_e32 v15, v9, v18
	v_mul_f32_e32 v16, v10, v18
	;; [unrolled: 1-line block ×3, first 2 shown]
	s_delay_alu instid0(VALU_DEP_3)
	v_dual_mul_f32 v20, v12, v20 :: v_dual_fmac_f32 v15, v10, v17
	v_fma_f32 v26, v26, v1, -v2
	scratch_load_b128 v[1:4], off, off offset:208
	v_fma_f32 v16, v9, v17, -v16
	v_fmac_f32_e32 v18, v12, v19
	v_fma_f32 v17, v11, v19, -v20
	scratch_load_b128 v[9:12], off, off offset:224
	s_wait_loadcnt_dscnt 0x100
	v_mul_f32_e32 v19, v5, v2
	v_mul_f32_e32 v2, v6, v2
	;; [unrolled: 1-line block ×3, first 2 shown]
	s_delay_alu instid0(VALU_DEP_3) | instskip(NEXT) | instid1(VALU_DEP_3)
	v_dual_mul_f32 v4, v8, v4 :: v_dual_fmac_f32 v19, v6, v1
	v_fma_f32 v32, v5, v1, -v2
	s_delay_alu instid0(VALU_DEP_3) | instskip(NEXT) | instid1(VALU_DEP_3)
	v_fmac_f32_e32 v20, v8, v3
	v_fma_f32 v33, v7, v3, -v4
	ds_load_b128 v[1:4], v21 offset:736
	ds_load_b128 v[5:8], v21 offset:752
	s_wait_loadcnt_dscnt 0x1
	v_mul_f32_e32 v41, v1, v10
	v_mul_f32_e32 v10, v2, v10
	s_delay_alu instid0(VALU_DEP_2) | instskip(NEXT) | instid1(VALU_DEP_2)
	v_dual_mul_f32 v42, v3, v12 :: v_dual_fmac_f32 v41, v2, v9
	v_fma_f32 v43, v1, v9, -v10
	v_mul_f32_e32 v1, v4, v12
	s_delay_alu instid0(VALU_DEP_3) | instskip(NEXT) | instid1(VALU_DEP_2)
	v_fmac_f32_e32 v42, v4, v11
	v_fma_f32 v44, v3, v11, -v1
	s_clause 0x1
	scratch_load_b128 v[1:4], off, off offset:240
	scratch_load_b128 v[9:12], off, off offset:256
	s_wait_loadcnt_dscnt 0x100
	v_mul_f32_e32 v45, v5, v2
	v_dual_mul_f32 v2, v6, v2 :: v_dual_mul_f32 v47, v7, v4
	s_delay_alu instid0(VALU_DEP_2) | instskip(NEXT) | instid1(VALU_DEP_2)
	v_fmac_f32_e32 v45, v6, v1
	v_fma_f32 v46, v5, v1, -v2
	v_mul_f32_e32 v1, v8, v4
	s_delay_alu instid0(VALU_DEP_4) | instskip(NEXT) | instid1(VALU_DEP_2)
	v_fmac_f32_e32 v47, v8, v3
	v_fma_f32 v48, v7, v3, -v1
	ds_load_b128 v[1:4], v21 offset:768
	ds_load_b128 v[5:8], v21 offset:784
	s_wait_loadcnt_dscnt 0x1
	v_mul_f32_e32 v49, v1, v10
	v_mul_f32_e32 v51, v3, v12
	s_delay_alu instid0(VALU_DEP_2) | instskip(NEXT) | instid1(VALU_DEP_2)
	v_fmac_f32_e32 v49, v2, v9
	v_dual_mul_f32 v2, v2, v10 :: v_dual_fmac_f32 v51, v4, v11
	s_delay_alu instid0(VALU_DEP_1) | instskip(SKIP_1) | instid1(VALU_DEP_1)
	v_fma_f32 v50, v1, v9, -v2
	v_mul_f32_e32 v1, v4, v12
	v_fma_f32 v52, v3, v11, -v1
	s_clause 0x1
	scratch_load_b128 v[1:4], off, off offset:272
	scratch_load_b128 v[9:12], off, off offset:288
	s_wait_loadcnt_dscnt 0x100
	v_mul_f32_e32 v53, v5, v2
	v_dual_mul_f32 v2, v6, v2 :: v_dual_mul_f32 v55, v7, v4
	s_delay_alu instid0(VALU_DEP_2) | instskip(NEXT) | instid1(VALU_DEP_2)
	v_fmac_f32_e32 v53, v6, v1
	v_fma_f32 v54, v5, v1, -v2
	v_mul_f32_e32 v1, v8, v4
	s_delay_alu instid0(VALU_DEP_4) | instskip(NEXT) | instid1(VALU_DEP_2)
	v_fmac_f32_e32 v55, v8, v3
	v_fma_f32 v56, v7, v3, -v1
	ds_load_b128 v[1:4], v21 offset:800
	ds_load_b128 v[5:8], v21 offset:816
	s_wait_loadcnt_dscnt 0x1
	v_mul_f32_e32 v57, v1, v10
	v_mul_f32_e32 v59, v3, v12
	s_delay_alu instid0(VALU_DEP_2) | instskip(NEXT) | instid1(VALU_DEP_2)
	v_fmac_f32_e32 v57, v2, v9
	v_dual_mul_f32 v2, v2, v10 :: v_dual_fmac_f32 v59, v4, v11
	s_delay_alu instid0(VALU_DEP_1) | instskip(SKIP_1) | instid1(VALU_DEP_1)
	v_fma_f32 v58, v1, v9, -v2
	v_mul_f32_e32 v1, v4, v12
	v_fma_f32 v60, v3, v11, -v1
	s_clause 0x1
	scratch_load_b128 v[1:4], off, off offset:304
	scratch_load_b128 v[9:12], off, off offset:320
	s_wait_loadcnt_dscnt 0x100
	v_mul_f32_e32 v61, v5, v2
	v_dual_mul_f32 v2, v6, v2 :: v_dual_mul_f32 v63, v7, v4
	s_delay_alu instid0(VALU_DEP_2) | instskip(NEXT) | instid1(VALU_DEP_2)
	v_fmac_f32_e32 v61, v6, v1
	v_fma_f32 v62, v5, v1, -v2
	v_mul_f32_e32 v1, v8, v4
	s_delay_alu instid0(VALU_DEP_4) | instskip(NEXT) | instid1(VALU_DEP_2)
	v_fmac_f32_e32 v63, v8, v3
	v_fma_f32 v64, v7, v3, -v1
	ds_load_b128 v[1:4], v21 offset:832
	ds_load_b128 v[5:8], v21 offset:848
	s_wait_loadcnt_dscnt 0x1
	v_mul_f32_e32 v65, v1, v10
	v_mul_f32_e32 v67, v3, v12
	s_delay_alu instid0(VALU_DEP_2) | instskip(NEXT) | instid1(VALU_DEP_2)
	v_fmac_f32_e32 v65, v2, v9
	v_dual_mul_f32 v2, v2, v10 :: v_dual_fmac_f32 v67, v4, v11
	s_delay_alu instid0(VALU_DEP_1) | instskip(SKIP_1) | instid1(VALU_DEP_1)
	v_fma_f32 v66, v1, v9, -v2
	v_mul_f32_e32 v1, v4, v12
	v_fma_f32 v68, v3, v11, -v1
	s_clause 0x1
	scratch_load_b128 v[1:4], off, off offset:336
	scratch_load_b128 v[9:12], off, off offset:352
	s_wait_loadcnt_dscnt 0x100
	v_mul_f32_e32 v197, v5, v2
	v_dual_mul_f32 v2, v6, v2 :: v_dual_mul_f32 v199, v7, v4
	s_delay_alu instid0(VALU_DEP_1) | instskip(NEXT) | instid1(VALU_DEP_2)
	v_fma_f32 v198, v5, v1, -v2
	v_fmac_f32_e32 v199, v8, v3
	s_delay_alu instid0(VALU_DEP_4) | instskip(SKIP_1) | instid1(VALU_DEP_1)
	v_fmac_f32_e32 v197, v6, v1
	v_mul_f32_e32 v1, v8, v4
	v_fma_f32 v200, v7, v3, -v1
	ds_load_b128 v[1:4], v21 offset:864
	ds_load_b128 v[5:8], v21 offset:880
	s_wait_loadcnt_dscnt 0x1
	v_mul_f32_e32 v201, v1, v10
	v_mul_f32_e32 v203, v3, v12
	s_delay_alu instid0(VALU_DEP_2) | instskip(NEXT) | instid1(VALU_DEP_2)
	v_fmac_f32_e32 v201, v2, v9
	v_dual_mul_f32 v2, v2, v10 :: v_dual_fmac_f32 v203, v4, v11
	s_delay_alu instid0(VALU_DEP_1) | instskip(SKIP_1) | instid1(VALU_DEP_1)
	v_fma_f32 v202, v1, v9, -v2
	v_mul_f32_e32 v1, v4, v12
	v_fma_f32 v204, v3, v11, -v1
	s_clause 0x1
	scratch_load_b128 v[1:4], off, off offset:368
	scratch_load_b128 v[9:12], off, off offset:384
	s_wait_loadcnt_dscnt 0x100
	v_mul_f32_e32 v205, v5, v2
	v_dual_mul_f32 v2, v6, v2 :: v_dual_mul_f32 v207, v7, v4
	s_delay_alu instid0(VALU_DEP_2) | instskip(NEXT) | instid1(VALU_DEP_2)
	v_fmac_f32_e32 v205, v6, v1
	v_fma_f32 v206, v5, v1, -v2
	v_mul_f32_e32 v1, v8, v4
	s_delay_alu instid0(VALU_DEP_4) | instskip(NEXT) | instid1(VALU_DEP_2)
	v_fmac_f32_e32 v207, v8, v3
	v_fma_f32 v208, v7, v3, -v1
	ds_load_b128 v[1:4], v21 offset:896
	ds_load_b128 v[5:8], v21 offset:912
	s_wait_loadcnt_dscnt 0x1
	v_mul_f32_e32 v209, v1, v10
	v_mul_f32_e32 v211, v3, v12
	s_delay_alu instid0(VALU_DEP_2) | instskip(NEXT) | instid1(VALU_DEP_2)
	v_fmac_f32_e32 v209, v2, v9
	v_dual_mul_f32 v2, v2, v10 :: v_dual_fmac_f32 v211, v4, v11
	s_delay_alu instid0(VALU_DEP_1) | instskip(SKIP_1) | instid1(VALU_DEP_1)
	v_fma_f32 v210, v1, v9, -v2
	v_mul_f32_e32 v1, v4, v12
	v_fma_f32 v212, v3, v11, -v1
	s_clause 0x1
	scratch_load_b128 v[1:4], off, off offset:400
	scratch_load_b128 v[9:12], off, off offset:416
	s_wait_loadcnt_dscnt 0x100
	v_mul_f32_e32 v213, v5, v2
	v_dual_mul_f32 v2, v6, v2 :: v_dual_mul_f32 v215, v7, v4
	s_delay_alu instid0(VALU_DEP_2) | instskip(NEXT) | instid1(VALU_DEP_2)
	v_fmac_f32_e32 v213, v6, v1
	v_fma_f32 v214, v5, v1, -v2
	v_mul_f32_e32 v1, v8, v4
	s_delay_alu instid0(VALU_DEP_4) | instskip(NEXT) | instid1(VALU_DEP_2)
	v_fmac_f32_e32 v215, v8, v3
	v_fma_f32 v216, v7, v3, -v1
	ds_load_b128 v[1:4], v21 offset:928
	ds_load_b128 v[5:8], v21 offset:944
	s_wait_loadcnt_dscnt 0x1
	v_mul_f32_e32 v217, v1, v10
	v_mul_f32_e32 v219, v3, v12
	s_delay_alu instid0(VALU_DEP_2) | instskip(NEXT) | instid1(VALU_DEP_2)
	v_fmac_f32_e32 v217, v2, v9
	v_dual_mul_f32 v2, v2, v10 :: v_dual_fmac_f32 v219, v4, v11
	s_delay_alu instid0(VALU_DEP_1) | instskip(SKIP_1) | instid1(VALU_DEP_1)
	v_fma_f32 v218, v1, v9, -v2
	v_mul_f32_e32 v1, v4, v12
	v_fma_f32 v220, v3, v11, -v1
	s_clause 0x1
	scratch_load_b128 v[1:4], off, off offset:432
	scratch_load_b128 v[9:12], off, off offset:448
	s_wait_loadcnt_dscnt 0x100
	v_mul_f32_e32 v221, v5, v2
	v_mul_f32_e32 v2, v6, v2
	s_delay_alu instid0(VALU_DEP_2) | instskip(NEXT) | instid1(VALU_DEP_2)
	v_fmac_f32_e32 v221, v6, v1
	v_fma_f32 v222, v5, v1, -v2
	v_add_f32_e32 v2, 0, v38
	s_delay_alu instid0(VALU_DEP_1) | instskip(NEXT) | instid1(VALU_DEP_1)
	v_add_f32_e32 v2, v2, v39
	v_add_f32_e32 v2, v2, v24
	s_delay_alu instid0(VALU_DEP_1) | instskip(NEXT) | instid1(VALU_DEP_1)
	v_add_f32_e32 v2, v2, v25
	;; [unrolled: 3-line block ×3, first 2 shown]
	v_dual_add_f32 v2, v2, v30 :: v_dual_mul_f32 v1, v8, v4
	s_delay_alu instid0(VALU_DEP_1) | instskip(NEXT) | instid1(VALU_DEP_2)
	v_add_f32_e32 v2, v2, v31
	v_fma_f32 v224, v7, v3, -v1
	s_delay_alu instid0(VALU_DEP_2) | instskip(NEXT) | instid1(VALU_DEP_1)
	v_dual_add_f32 v1, 0, v22 :: v_dual_add_f32 v2, v2, v15
	v_dual_add_f32 v1, v1, v23 :: v_dual_add_f32 v2, v2, v18
	s_delay_alu instid0(VALU_DEP_1) | instskip(NEXT) | instid1(VALU_DEP_1)
	v_dual_add_f32 v1, v1, v26 :: v_dual_add_f32 v2, v2, v19
	v_dual_add_f32 v1, v1, v27 :: v_dual_add_f32 v2, v2, v20
	s_delay_alu instid0(VALU_DEP_1) | instskip(NEXT) | instid1(VALU_DEP_1)
	v_add_f32_e32 v2, v2, v41
	v_add_f32_e32 v2, v2, v42
	s_delay_alu instid0(VALU_DEP_1) | instskip(NEXT) | instid1(VALU_DEP_1)
	v_add_f32_e32 v2, v2, v45
	v_add_f32_e32 v2, v2, v47
	;; [unrolled: 3-line block ×5, first 2 shown]
	s_delay_alu instid0(VALU_DEP_1) | instskip(NEXT) | instid1(VALU_DEP_1)
	v_dual_add_f32 v2, v2, v61 :: v_dual_add_f32 v1, v1, v28
	v_dual_add_f32 v2, v2, v63 :: v_dual_add_f32 v1, v1, v29
	s_delay_alu instid0(VALU_DEP_1) | instskip(NEXT) | instid1(VALU_DEP_1)
	v_add_f32_e32 v1, v1, v13
	v_add_f32_e32 v1, v1, v14
	s_delay_alu instid0(VALU_DEP_1) | instskip(NEXT) | instid1(VALU_DEP_1)
	v_add_f32_e32 v1, v1, v16
	v_add_f32_e32 v1, v1, v17
	;; [unrolled: 3-line block ×10, first 2 shown]
	v_mul_f32_e32 v223, v7, v4
	v_add_f32_e32 v5, v2, v65
	s_delay_alu instid0(VALU_DEP_2) | instskip(SKIP_3) | instid1(VALU_DEP_2)
	v_dual_add_f32 v6, v6, v198 :: v_dual_fmac_f32 v223, v8, v3
	ds_load_b128 v[1:4], v21 offset:960
	v_add_f32_e32 v5, v5, v67
	v_add_f32_e32 v13, v6, v200
	;; [unrolled: 1-line block ×3, first 2 shown]
	s_delay_alu instid0(VALU_DEP_2) | instskip(NEXT) | instid1(VALU_DEP_2)
	v_add_f32_e32 v13, v13, v202
	v_add_f32_e32 v14, v5, v199
	ds_load_b128 v[5:8], v21 offset:976
	v_add_f32_e32 v13, v13, v204
	s_delay_alu instid0(VALU_DEP_1)
	v_add_f32_e32 v13, v13, v206
	s_wait_loadcnt_dscnt 0x1
	v_dual_mul_f32 v25, v1, v10 :: v_dual_mul_f32 v26, v3, v12
	v_mul_f32_e32 v10, v2, v10
	v_mul_f32_e32 v12, v4, v12
	v_add_f32_e32 v14, v14, v201
	s_delay_alu instid0(VALU_DEP_4) | instskip(NEXT) | instid1(VALU_DEP_4)
	v_dual_fmac_f32 v25, v2, v9 :: v_dual_fmac_f32 v26, v4, v11
	v_fma_f32 v27, v1, v9, -v10
	s_delay_alu instid0(VALU_DEP_4) | instskip(SKIP_4) | instid1(VALU_DEP_1)
	v_fma_f32 v28, v3, v11, -v12
	s_clause 0x1
	scratch_load_b128 v[1:4], off, off offset:464
	scratch_load_b128 v[9:12], off, off offset:480
	v_add_f32_e32 v14, v14, v203
	v_dual_add_f32 v18, v13, v208 :: v_dual_add_f32 v17, v14, v205
	scratch_load_b128 v[13:16], off, off offset:496
	v_dual_add_f32 v18, v18, v210 :: v_dual_add_f32 v17, v17, v207
	s_delay_alu instid0(VALU_DEP_1) | instskip(NEXT) | instid1(VALU_DEP_1)
	v_dual_add_f32 v18, v18, v212 :: v_dual_add_f32 v17, v17, v209
	v_dual_add_f32 v22, v18, v214 :: v_dual_add_f32 v17, v17, v211
	s_delay_alu instid0(VALU_DEP_1) | instskip(NEXT) | instid1(VALU_DEP_2)
	v_add_f32_e32 v29, v22, v216
	v_add_f32_e32 v23, v17, v213
	ds_load_b128 v[17:20], v21 offset:992
	v_dual_add_f32 v29, v29, v218 :: v_dual_add_f32 v30, v23, v215
	ds_load_b128 v[21:24], v21 offset:1008
	v_dual_add_f32 v29, v29, v220 :: v_dual_add_f32 v30, v30, v217
	s_delay_alu instid0(VALU_DEP_1) | instskip(NEXT) | instid1(VALU_DEP_1)
	v_dual_add_f32 v29, v29, v222 :: v_dual_add_f32 v30, v30, v219
	v_add_f32_e32 v29, v29, v224
	s_wait_loadcnt_dscnt 0x202
	s_delay_alu instid0(VALU_DEP_1) | instskip(NEXT) | instid1(VALU_DEP_3)
	v_dual_add_f32 v27, v29, v27 :: v_dual_mul_f32 v32, v7, v4
	v_dual_add_f32 v30, v30, v221 :: v_dual_mul_f32 v31, v5, v2
	v_mul_f32_e32 v2, v6, v2
	s_wait_loadcnt_dscnt 0x101
	v_dual_mul_f32 v4, v8, v4 :: v_dual_mul_f32 v33, v17, v10
	s_delay_alu instid0(VALU_DEP_3) | instskip(SKIP_3) | instid1(VALU_DEP_4)
	v_add_f32_e32 v30, v30, v223
	v_fmac_f32_e32 v31, v6, v1
	v_fma_f32 v2, v5, v1, -v2
	v_dual_add_f32 v1, v27, v28 :: v_dual_mul_f32 v6, v18, v10
	v_dual_add_f32 v25, v30, v25 :: v_dual_fmac_f32 v32, v8, v3
	v_fma_f32 v3, v7, v3, -v4
	s_delay_alu instid0(VALU_DEP_3) | instskip(NEXT) | instid1(VALU_DEP_3)
	v_dual_add_f32 v1, v1, v2 :: v_dual_mul_f32 v34, v19, v12
	v_dual_add_f32 v5, v25, v26 :: v_dual_mul_f32 v4, v20, v12
	v_fmac_f32_e32 v33, v18, v9
	s_delay_alu instid0(VALU_DEP_3)
	v_add_f32_e32 v1, v1, v3
	s_wait_loadcnt_dscnt 0x0
	v_mul_f32_e32 v38, v21, v14
	v_add_f32_e32 v2, v5, v31
	v_fma_f32 v5, v17, v9, -v6
	v_dual_mul_f32 v3, v22, v14 :: v_dual_fmac_f32 v34, v20, v11
	v_fma_f32 v4, v19, v11, -v4
	s_delay_alu instid0(VALU_DEP_3) | instskip(SKIP_2) | instid1(VALU_DEP_3)
	v_dual_add_f32 v2, v2, v32 :: v_dual_add_f32 v1, v1, v5
	v_mul_f32_e32 v29, v23, v16
	v_dual_mul_f32 v5, v24, v16 :: v_dual_fmac_f32 v38, v22, v13
	v_add_f32_e32 v2, v2, v33
	v_fma_f32 v3, v21, v13, -v3
	v_add_f32_e32 v1, v1, v4
	v_fmac_f32_e32 v29, v24, v15
	v_fma_f32 v4, v23, v15, -v5
	s_delay_alu instid0(VALU_DEP_3) | instskip(NEXT) | instid1(VALU_DEP_1)
	v_dual_add_f32 v2, v2, v34 :: v_dual_add_f32 v1, v1, v3
	v_dual_add_f32 v2, v2, v38 :: v_dual_add_f32 v1, v1, v4
	s_delay_alu instid0(VALU_DEP_1) | instskip(NEXT) | instid1(VALU_DEP_1)
	v_add_f32_e32 v2, v2, v29
	v_dual_sub_f32 v1, v36, v1 :: v_dual_sub_f32 v2, v37, v2
	scratch_store_b64 off, v[1:2], off offset:120
	v_cmpx_lt_u32_e32 14, v0
	s_cbranch_execz .LBB63_369
; %bb.368:
	scratch_load_b64 v[1:2], off, off offset:112
	v_mov_b32_e32 v3, 0
	s_delay_alu instid0(VALU_DEP_1)
	v_mov_b32_e32 v4, v3
	scratch_store_b64 off, v[3:4], off offset:112
	s_wait_loadcnt 0x0
	ds_store_b64 v35, v[1:2]
.LBB63_369:
	s_wait_alu 0xfffe
	s_or_b32 exec_lo, exec_lo, s0
	s_wait_storecnt_dscnt 0x0
	s_barrier_signal -1
	s_barrier_wait -1
	global_inv scope:SCOPE_SE
	s_clause 0x4
	scratch_load_b128 v[5:8], off, off offset:120
	scratch_load_b128 v[1:4], off, off offset:136
	;; [unrolled: 1-line block ×5, first 2 shown]
	v_mov_b32_e32 v25, 0
	ds_load_2addr_b64 v[21:24], v25 offset0:79 offset1:80
	ds_load_2addr_b64 v[26:29], v25 offset0:81 offset1:82
	;; [unrolled: 1-line block ×3, first 2 shown]
	scratch_load_b64 v[36:37], off, off offset:112
	s_mov_b32 s0, exec_lo
	s_wait_loadcnt_dscnt 0x502
	v_mul_f32_e32 v34, v22, v6
	v_dual_mul_f32 v38, v21, v6 :: v_dual_mul_f32 v39, v23, v8
	v_mul_f32_e32 v6, v24, v8
	s_wait_loadcnt_dscnt 0x300
	v_mul_f32_e32 v40, v32, v12
	v_fma_f32 v21, v21, v5, -v34
	v_dual_fmac_f32 v38, v22, v5 :: v_dual_fmac_f32 v39, v24, v7
	v_fma_f32 v22, v23, v7, -v6
	ds_load_2addr_b64 v[5:8], v25 offset0:85 offset1:86
	v_dual_mul_f32 v23, v26, v2 :: v_dual_mul_f32 v24, v28, v4
	v_mul_f32_e32 v4, v29, v4
	v_mul_f32_e32 v34, v30, v10
	;; [unrolled: 1-line block ×5, first 2 shown]
	v_dual_fmac_f32 v23, v27, v1 :: v_dual_fmac_f32 v24, v29, v3
	v_fma_f32 v27, v28, v3, -v4
	v_fmac_f32_e32 v34, v31, v9
	v_fma_f32 v28, v30, v9, -v10
	v_fmac_f32_e32 v40, v33, v11
	v_fma_f32 v29, v32, v11, -v12
	ds_load_2addr_b64 v[9:12], v25 offset0:87 offset1:88
	s_wait_loadcnt_dscnt 0x201
	v_dual_mul_f32 v31, v7, v16 :: v_dual_mul_f32 v30, v5, v14
	v_mul_f32_e32 v14, v6, v14
	v_mul_f32_e32 v16, v8, v16
	s_delay_alu instid0(VALU_DEP_3)
	v_fmac_f32_e32 v31, v8, v15
	v_fma_f32 v26, v26, v1, -v2
	scratch_load_b128 v[1:4], off, off offset:200
	v_fmac_f32_e32 v30, v6, v13
	v_fma_f32 v13, v5, v13, -v14
	v_fma_f32 v14, v7, v15, -v16
	ds_load_2addr_b64 v[5:8], v25 offset0:89 offset1:90
	s_wait_loadcnt_dscnt 0x201
	v_mul_f32_e32 v15, v9, v18
	v_mul_f32_e32 v16, v10, v18
	;; [unrolled: 1-line block ×3, first 2 shown]
	s_delay_alu instid0(VALU_DEP_3) | instskip(NEXT) | instid1(VALU_DEP_3)
	v_dual_mul_f32 v20, v12, v20 :: v_dual_fmac_f32 v15, v10, v17
	v_fma_f32 v16, v9, v17, -v16
	s_delay_alu instid0(VALU_DEP_3) | instskip(NEXT) | instid1(VALU_DEP_3)
	v_fmac_f32_e32 v18, v12, v19
	v_fma_f32 v17, v11, v19, -v20
	scratch_load_b128 v[9:12], off, off offset:216
	s_wait_loadcnt_dscnt 0x100
	v_mul_f32_e32 v19, v5, v2
	v_mul_f32_e32 v2, v6, v2
	;; [unrolled: 1-line block ×3, first 2 shown]
	s_delay_alu instid0(VALU_DEP_3) | instskip(NEXT) | instid1(VALU_DEP_3)
	v_dual_mul_f32 v4, v8, v4 :: v_dual_fmac_f32 v19, v6, v1
	v_fma_f32 v32, v5, v1, -v2
	s_delay_alu instid0(VALU_DEP_3) | instskip(NEXT) | instid1(VALU_DEP_3)
	v_fmac_f32_e32 v20, v8, v3
	v_fma_f32 v33, v7, v3, -v4
	ds_load_2addr_b64 v[1:4], v25 offset0:91 offset1:92
	ds_load_2addr_b64 v[5:8], v25 offset0:93 offset1:94
	s_wait_loadcnt_dscnt 0x1
	v_mul_f32_e32 v41, v1, v10
	v_mul_f32_e32 v10, v2, v10
	s_delay_alu instid0(VALU_DEP_2) | instskip(NEXT) | instid1(VALU_DEP_2)
	v_dual_mul_f32 v42, v3, v12 :: v_dual_fmac_f32 v41, v2, v9
	v_fma_f32 v43, v1, v9, -v10
	v_mul_f32_e32 v1, v4, v12
	s_delay_alu instid0(VALU_DEP_3) | instskip(NEXT) | instid1(VALU_DEP_2)
	v_fmac_f32_e32 v42, v4, v11
	v_fma_f32 v44, v3, v11, -v1
	s_clause 0x1
	scratch_load_b128 v[1:4], off, off offset:232
	scratch_load_b128 v[9:12], off, off offset:248
	s_wait_loadcnt_dscnt 0x100
	v_mul_f32_e32 v45, v5, v2
	v_dual_mul_f32 v2, v6, v2 :: v_dual_mul_f32 v47, v7, v4
	s_delay_alu instid0(VALU_DEP_2) | instskip(NEXT) | instid1(VALU_DEP_2)
	v_fmac_f32_e32 v45, v6, v1
	v_fma_f32 v46, v5, v1, -v2
	v_mul_f32_e32 v1, v8, v4
	s_delay_alu instid0(VALU_DEP_4) | instskip(NEXT) | instid1(VALU_DEP_2)
	v_fmac_f32_e32 v47, v8, v3
	v_fma_f32 v48, v7, v3, -v1
	ds_load_2addr_b64 v[1:4], v25 offset0:95 offset1:96
	ds_load_2addr_b64 v[5:8], v25 offset0:97 offset1:98
	s_wait_loadcnt_dscnt 0x1
	v_mul_f32_e32 v49, v1, v10
	v_mul_f32_e32 v51, v3, v12
	s_delay_alu instid0(VALU_DEP_2) | instskip(NEXT) | instid1(VALU_DEP_2)
	v_fmac_f32_e32 v49, v2, v9
	v_dual_mul_f32 v2, v2, v10 :: v_dual_fmac_f32 v51, v4, v11
	s_delay_alu instid0(VALU_DEP_1) | instskip(SKIP_1) | instid1(VALU_DEP_1)
	v_fma_f32 v50, v1, v9, -v2
	v_mul_f32_e32 v1, v4, v12
	v_fma_f32 v52, v3, v11, -v1
	s_clause 0x1
	scratch_load_b128 v[1:4], off, off offset:264
	scratch_load_b128 v[9:12], off, off offset:280
	s_wait_loadcnt_dscnt 0x100
	v_mul_f32_e32 v53, v5, v2
	v_dual_mul_f32 v2, v6, v2 :: v_dual_mul_f32 v55, v7, v4
	s_delay_alu instid0(VALU_DEP_2) | instskip(NEXT) | instid1(VALU_DEP_2)
	v_fmac_f32_e32 v53, v6, v1
	v_fma_f32 v54, v5, v1, -v2
	v_mul_f32_e32 v1, v8, v4
	s_delay_alu instid0(VALU_DEP_4) | instskip(NEXT) | instid1(VALU_DEP_2)
	v_fmac_f32_e32 v55, v8, v3
	v_fma_f32 v56, v7, v3, -v1
	ds_load_2addr_b64 v[1:4], v25 offset0:99 offset1:100
	ds_load_2addr_b64 v[5:8], v25 offset0:101 offset1:102
	s_wait_loadcnt_dscnt 0x1
	v_mul_f32_e32 v57, v1, v10
	v_mul_f32_e32 v59, v3, v12
	s_delay_alu instid0(VALU_DEP_2) | instskip(NEXT) | instid1(VALU_DEP_2)
	v_fmac_f32_e32 v57, v2, v9
	v_dual_mul_f32 v2, v2, v10 :: v_dual_fmac_f32 v59, v4, v11
	s_delay_alu instid0(VALU_DEP_1) | instskip(SKIP_1) | instid1(VALU_DEP_1)
	v_fma_f32 v58, v1, v9, -v2
	v_mul_f32_e32 v1, v4, v12
	;; [unrolled: 25-line block ×6, first 2 shown]
	v_fma_f32 v220, v3, v11, -v1
	s_clause 0x1
	scratch_load_b128 v[1:4], off, off offset:424
	scratch_load_b128 v[9:12], off, off offset:440
	s_wait_loadcnt_dscnt 0x100
	v_mul_f32_e32 v221, v5, v2
	v_mul_f32_e32 v2, v6, v2
	s_delay_alu instid0(VALU_DEP_2) | instskip(NEXT) | instid1(VALU_DEP_2)
	v_fmac_f32_e32 v221, v6, v1
	v_fma_f32 v222, v5, v1, -v2
	v_dual_add_f32 v2, 0, v38 :: v_dual_mul_f32 v1, v8, v4
	s_delay_alu instid0(VALU_DEP_1) | instskip(NEXT) | instid1(VALU_DEP_2)
	v_add_f32_e32 v2, v2, v39
	v_fma_f32 v224, v7, v3, -v1
	s_delay_alu instid0(VALU_DEP_2) | instskip(NEXT) | instid1(VALU_DEP_1)
	v_add_f32_e32 v2, v2, v23
	v_add_f32_e32 v2, v2, v24
	s_delay_alu instid0(VALU_DEP_1) | instskip(NEXT) | instid1(VALU_DEP_1)
	v_add_f32_e32 v2, v2, v34
	v_add_f32_e32 v2, v2, v40
	s_delay_alu instid0(VALU_DEP_1) | instskip(NEXT) | instid1(VALU_DEP_1)
	v_dual_add_f32 v2, v2, v30 :: v_dual_add_f32 v1, 0, v21
	v_dual_add_f32 v2, v2, v31 :: v_dual_add_f32 v1, v1, v22
	s_delay_alu instid0(VALU_DEP_1) | instskip(NEXT) | instid1(VALU_DEP_1)
	v_dual_add_f32 v2, v2, v15 :: v_dual_add_f32 v1, v1, v26
	v_dual_add_f32 v2, v2, v18 :: v_dual_add_f32 v1, v1, v27
	scratch_load_b64 v[26:27], off, off offset:504
	v_dual_add_f32 v2, v2, v19 :: v_dual_add_f32 v1, v1, v28
	s_delay_alu instid0(VALU_DEP_1) | instskip(NEXT) | instid1(VALU_DEP_1)
	v_dual_add_f32 v2, v2, v20 :: v_dual_add_f32 v1, v1, v29
	v_add_f32_e32 v2, v2, v41
	s_delay_alu instid0(VALU_DEP_1) | instskip(NEXT) | instid1(VALU_DEP_1)
	v_dual_add_f32 v1, v1, v13 :: v_dual_add_f32 v2, v2, v42
	v_dual_add_f32 v1, v1, v14 :: v_dual_add_f32 v2, v2, v45
	s_delay_alu instid0(VALU_DEP_1) | instskip(NEXT) | instid1(VALU_DEP_1)
	v_dual_add_f32 v1, v1, v16 :: v_dual_add_f32 v2, v2, v47
	v_add_f32_e32 v1, v1, v17
	s_delay_alu instid0(VALU_DEP_1) | instskip(NEXT) | instid1(VALU_DEP_1)
	v_dual_add_f32 v2, v2, v49 :: v_dual_add_f32 v1, v1, v32
	v_dual_add_f32 v2, v2, v51 :: v_dual_add_f32 v1, v1, v33
	s_delay_alu instid0(VALU_DEP_1) | instskip(NEXT) | instid1(VALU_DEP_1)
	v_dual_add_f32 v2, v2, v53 :: v_dual_add_f32 v1, v1, v43
	v_dual_add_f32 v2, v2, v55 :: v_dual_add_f32 v1, v1, v44
	;; [unrolled: 3-line block ×3, first 2 shown]
	s_delay_alu instid0(VALU_DEP_1) | instskip(NEXT) | instid1(VALU_DEP_1)
	v_add_f32_e32 v1, v1, v50
	v_add_f32_e32 v1, v1, v52
	s_delay_alu instid0(VALU_DEP_1) | instskip(NEXT) | instid1(VALU_DEP_1)
	v_add_f32_e32 v1, v1, v54
	v_add_f32_e32 v1, v1, v56
	;; [unrolled: 3-line block ×5, first 2 shown]
	v_dual_add_f32 v2, v2, v61 :: v_dual_mul_f32 v223, v7, v4
	s_delay_alu instid0(VALU_DEP_2) | instskip(NEXT) | instid1(VALU_DEP_2)
	v_add_f32_e32 v6, v6, v198
	v_add_f32_e32 v2, v2, v63
	s_delay_alu instid0(VALU_DEP_3) | instskip(NEXT) | instid1(VALU_DEP_3)
	v_fmac_f32_e32 v223, v8, v3
	v_add_f32_e32 v13, v6, v200
	s_delay_alu instid0(VALU_DEP_3) | instskip(SKIP_3) | instid1(VALU_DEP_2)
	v_add_f32_e32 v5, v2, v65
	ds_load_2addr_b64 v[1:4], v25 offset0:119 offset1:120
	v_add_f32_e32 v13, v13, v202
	v_add_f32_e32 v5, v5, v67
	;; [unrolled: 1-line block ×3, first 2 shown]
	s_delay_alu instid0(VALU_DEP_2) | instskip(NEXT) | instid1(VALU_DEP_2)
	v_add_f32_e32 v5, v5, v197
	v_add_f32_e32 v13, v13, v206
	s_delay_alu instid0(VALU_DEP_2)
	v_add_f32_e32 v14, v5, v199
	ds_load_2addr_b64 v[5:8], v25 offset0:121 offset1:122
	v_add_f32_e32 v18, v13, v208
	s_wait_loadcnt_dscnt 0x101
	v_mul_f32_e32 v30, v1, v10
	v_dual_mul_f32 v10, v2, v10 :: v_dual_mul_f32 v31, v3, v12
	v_mul_f32_e32 v12, v4, v12
	v_add_f32_e32 v14, v14, v201
	s_delay_alu instid0(VALU_DEP_4) | instskip(NEXT) | instid1(VALU_DEP_4)
	v_fmac_f32_e32 v30, v2, v9
	v_fma_f32 v32, v1, v9, -v10
	v_fmac_f32_e32 v31, v4, v11
	v_fma_f32 v33, v3, v11, -v12
	s_clause 0x1
	scratch_load_b128 v[1:4], off, off offset:456
	scratch_load_b128 v[9:12], off, off offset:472
	v_add_f32_e32 v14, v14, v203
	v_add_f32_e32 v18, v18, v210
	s_delay_alu instid0(VALU_DEP_2) | instskip(SKIP_2) | instid1(VALU_DEP_1)
	v_add_f32_e32 v17, v14, v205
	scratch_load_b128 v[13:16], off, off offset:488
	v_dual_add_f32 v18, v18, v212 :: v_dual_add_f32 v17, v17, v207
	v_add_f32_e32 v18, v18, v214
	s_delay_alu instid0(VALU_DEP_1) | instskip(NEXT) | instid1(VALU_DEP_1)
	v_add_f32_e32 v18, v18, v216
	v_add_f32_e32 v28, v18, v218
	s_delay_alu instid0(VALU_DEP_1) | instskip(NEXT) | instid1(VALU_DEP_1)
	v_dual_add_f32 v34, v28, v220 :: v_dual_add_f32 v17, v17, v209
	v_dual_add_f32 v34, v34, v222 :: v_dual_add_f32 v17, v17, v211
	s_delay_alu instid0(VALU_DEP_1) | instskip(NEXT) | instid1(VALU_DEP_1)
	v_dual_add_f32 v34, v34, v224 :: v_dual_add_f32 v17, v17, v213
	v_dual_add_f32 v32, v34, v32 :: v_dual_add_f32 v21, v17, v215
	ds_load_2addr_b64 v[17:20], v25 offset0:123 offset1:124
	v_add_f32_e32 v32, v32, v33
	s_wait_loadcnt_dscnt 0x201
	v_dual_mul_f32 v40, v7, v4 :: v_dual_add_f32 v29, v21, v217
	v_mul_f32_e32 v4, v8, v4
	ds_load_2addr_b64 v[21:24], v25 offset0:125 offset1:126
	v_mul_f32_e32 v39, v5, v2
	v_mul_f32_e32 v2, v6, v2
	v_add_f32_e32 v38, v29, v219
	ds_load_b64 v[28:29], v25 offset:1016
	s_wait_loadcnt_dscnt 0x102
	v_dual_mul_f32 v34, v17, v10 :: v_dual_fmac_f32 v39, v6, v1
	v_fma_f32 v2, v5, v1, -v2
	v_add_f32_e32 v38, v38, v221
	v_fmac_f32_e32 v40, v8, v3
	v_fma_f32 v1, v7, v3, -v4
	v_mul_f32_e32 v3, v18, v10
	v_add_f32_e32 v2, v32, v2
	v_dual_add_f32 v38, v38, v223 :: v_dual_mul_f32 v5, v20, v12
	v_fmac_f32_e32 v34, v18, v9
	s_delay_alu instid0(VALU_DEP_4) | instskip(NEXT) | instid1(VALU_DEP_4)
	v_fma_f32 v3, v17, v9, -v3
	v_add_f32_e32 v1, v2, v1
	s_delay_alu instid0(VALU_DEP_4)
	v_add_f32_e32 v30, v38, v30
	s_wait_loadcnt_dscnt 0x1
	v_dual_mul_f32 v38, v19, v12 :: v_dual_mul_f32 v41, v21, v14
	v_fma_f32 v5, v19, v11, -v5
	v_add_f32_e32 v1, v1, v3
	v_add_f32_e32 v30, v30, v31
	s_delay_alu instid0(VALU_DEP_4) | instskip(SKIP_2) | instid1(VALU_DEP_4)
	v_dual_fmac_f32 v38, v20, v11 :: v_dual_mul_f32 v33, v23, v16
	v_mul_f32_e32 v3, v24, v16
	v_fmac_f32_e32 v41, v22, v13
	v_dual_add_f32 v4, v30, v39 :: v_dual_add_f32 v1, v1, v5
	s_wait_dscnt 0x0
	v_mul_f32_e32 v31, v28, v27
	v_mul_f32_e32 v5, v29, v27
	v_fmac_f32_e32 v33, v24, v15
	v_add_f32_e32 v2, v4, v40
	v_mul_f32_e32 v4, v22, v14
	v_fma_f32 v3, v23, v15, -v3
	v_fmac_f32_e32 v31, v29, v26
	s_delay_alu instid0(VALU_DEP_4) | instskip(NEXT) | instid1(VALU_DEP_4)
	v_add_f32_e32 v2, v2, v34
	v_fma_f32 v4, v21, v13, -v4
	s_delay_alu instid0(VALU_DEP_1) | instskip(SKIP_1) | instid1(VALU_DEP_2)
	v_dual_add_f32 v2, v2, v38 :: v_dual_add_f32 v1, v1, v4
	v_fma_f32 v4, v28, v26, -v5
	v_dual_add_f32 v2, v2, v41 :: v_dual_add_f32 v1, v1, v3
	s_delay_alu instid0(VALU_DEP_1) | instskip(NEXT) | instid1(VALU_DEP_1)
	v_dual_add_f32 v2, v2, v33 :: v_dual_add_f32 v1, v1, v4
	v_dual_add_f32 v2, v2, v31 :: v_dual_sub_f32 v1, v36, v1
	s_delay_alu instid0(VALU_DEP_1)
	v_sub_f32_e32 v2, v37, v2
	scratch_store_b64 off, v[1:2], off offset:112
	v_cmpx_lt_u32_e32 13, v0
	s_cbranch_execz .LBB63_371
; %bb.370:
	scratch_load_b64 v[1:2], off, off offset:104
	v_mov_b32_e32 v26, v25
	scratch_store_b64 off, v[25:26], off offset:104
	s_wait_loadcnt 0x0
	ds_store_b64 v35, v[1:2]
.LBB63_371:
	s_wait_alu 0xfffe
	s_or_b32 exec_lo, exec_lo, s0
	s_wait_storecnt_dscnt 0x0
	s_barrier_signal -1
	s_barrier_wait -1
	global_inv scope:SCOPE_SE
	s_clause 0x4
	scratch_load_b128 v[5:8], off, off offset:112
	scratch_load_b128 v[1:4], off, off offset:128
	;; [unrolled: 1-line block ×5, first 2 shown]
	ds_load_b128 v[21:24], v25 offset:624
	ds_load_b128 v[26:29], v25 offset:640
	;; [unrolled: 1-line block ×3, first 2 shown]
	scratch_load_b64 v[36:37], off, off offset:104
	s_mov_b32 s0, exec_lo
	s_wait_loadcnt_dscnt 0x502
	v_mul_f32_e32 v34, v21, v6
	v_mul_f32_e32 v38, v23, v8
	s_wait_loadcnt_dscnt 0x300
	v_dual_mul_f32 v8, v24, v8 :: v_dual_mul_f32 v39, v30, v10
	v_mul_f32_e32 v6, v22, v6
	v_fmac_f32_e32 v34, v22, v5
	v_mul_f32_e32 v10, v31, v10
	s_delay_alu instid0(VALU_DEP_4)
	v_fma_f32 v22, v23, v7, -v8
	v_dual_mul_f32 v23, v26, v2 :: v_dual_fmac_f32 v38, v24, v7
	v_fmac_f32_e32 v39, v31, v9
	v_fma_f32 v21, v21, v5, -v6
	ds_load_b128 v[5:8], v25 offset:672
	v_mul_f32_e32 v24, v28, v4
	v_mul_f32_e32 v4, v29, v4
	;; [unrolled: 1-line block ×5, first 2 shown]
	v_dual_fmac_f32 v23, v27, v1 :: v_dual_fmac_f32 v24, v29, v3
	v_fma_f32 v27, v28, v3, -v4
	v_fma_f32 v28, v30, v9, -v10
	v_fmac_f32_e32 v40, v33, v11
	v_fma_f32 v29, v32, v11, -v12
	ds_load_b128 v[9:12], v25 offset:688
	s_wait_loadcnt_dscnt 0x201
	v_dual_mul_f32 v31, v7, v16 :: v_dual_mul_f32 v30, v5, v14
	v_mul_f32_e32 v14, v6, v14
	v_mul_f32_e32 v16, v8, v16
	s_delay_alu instid0(VALU_DEP_3)
	v_fmac_f32_e32 v31, v8, v15
	v_fma_f32 v26, v26, v1, -v2
	scratch_load_b128 v[1:4], off, off offset:192
	v_fmac_f32_e32 v30, v6, v13
	v_fma_f32 v13, v5, v13, -v14
	v_fma_f32 v14, v7, v15, -v16
	ds_load_b128 v[5:8], v25 offset:704
	s_wait_loadcnt_dscnt 0x201
	v_mul_f32_e32 v15, v9, v18
	v_mul_f32_e32 v16, v10, v18
	;; [unrolled: 1-line block ×3, first 2 shown]
	s_delay_alu instid0(VALU_DEP_3) | instskip(NEXT) | instid1(VALU_DEP_3)
	v_dual_mul_f32 v20, v12, v20 :: v_dual_fmac_f32 v15, v10, v17
	v_fma_f32 v16, v9, v17, -v16
	s_delay_alu instid0(VALU_DEP_3) | instskip(NEXT) | instid1(VALU_DEP_3)
	v_fmac_f32_e32 v18, v12, v19
	v_fma_f32 v17, v11, v19, -v20
	scratch_load_b128 v[9:12], off, off offset:208
	s_wait_loadcnt_dscnt 0x100
	v_mul_f32_e32 v19, v5, v2
	v_mul_f32_e32 v2, v6, v2
	;; [unrolled: 1-line block ×3, first 2 shown]
	s_delay_alu instid0(VALU_DEP_3) | instskip(NEXT) | instid1(VALU_DEP_3)
	v_dual_mul_f32 v4, v8, v4 :: v_dual_fmac_f32 v19, v6, v1
	v_fma_f32 v32, v5, v1, -v2
	s_delay_alu instid0(VALU_DEP_3) | instskip(NEXT) | instid1(VALU_DEP_3)
	v_fmac_f32_e32 v20, v8, v3
	v_fma_f32 v33, v7, v3, -v4
	ds_load_b128 v[1:4], v25 offset:720
	ds_load_b128 v[5:8], v25 offset:736
	s_wait_loadcnt_dscnt 0x1
	v_mul_f32_e32 v41, v1, v10
	v_mul_f32_e32 v10, v2, v10
	s_delay_alu instid0(VALU_DEP_2) | instskip(NEXT) | instid1(VALU_DEP_2)
	v_dual_mul_f32 v42, v3, v12 :: v_dual_fmac_f32 v41, v2, v9
	v_fma_f32 v43, v1, v9, -v10
	v_mul_f32_e32 v1, v4, v12
	s_delay_alu instid0(VALU_DEP_3) | instskip(NEXT) | instid1(VALU_DEP_2)
	v_fmac_f32_e32 v42, v4, v11
	v_fma_f32 v44, v3, v11, -v1
	s_clause 0x1
	scratch_load_b128 v[1:4], off, off offset:224
	scratch_load_b128 v[9:12], off, off offset:240
	s_wait_loadcnt_dscnt 0x100
	v_mul_f32_e32 v45, v5, v2
	v_dual_mul_f32 v2, v6, v2 :: v_dual_mul_f32 v47, v7, v4
	s_delay_alu instid0(VALU_DEP_2) | instskip(NEXT) | instid1(VALU_DEP_2)
	v_fmac_f32_e32 v45, v6, v1
	v_fma_f32 v46, v5, v1, -v2
	v_mul_f32_e32 v1, v8, v4
	s_delay_alu instid0(VALU_DEP_4) | instskip(NEXT) | instid1(VALU_DEP_2)
	v_fmac_f32_e32 v47, v8, v3
	v_fma_f32 v48, v7, v3, -v1
	ds_load_b128 v[1:4], v25 offset:752
	ds_load_b128 v[5:8], v25 offset:768
	s_wait_loadcnt_dscnt 0x1
	v_mul_f32_e32 v49, v1, v10
	v_mul_f32_e32 v51, v3, v12
	s_delay_alu instid0(VALU_DEP_2) | instskip(NEXT) | instid1(VALU_DEP_2)
	v_fmac_f32_e32 v49, v2, v9
	v_dual_mul_f32 v2, v2, v10 :: v_dual_fmac_f32 v51, v4, v11
	s_delay_alu instid0(VALU_DEP_1) | instskip(SKIP_1) | instid1(VALU_DEP_1)
	v_fma_f32 v50, v1, v9, -v2
	v_mul_f32_e32 v1, v4, v12
	v_fma_f32 v52, v3, v11, -v1
	s_clause 0x1
	scratch_load_b128 v[1:4], off, off offset:256
	scratch_load_b128 v[9:12], off, off offset:272
	s_wait_loadcnt_dscnt 0x100
	v_mul_f32_e32 v53, v5, v2
	v_dual_mul_f32 v2, v6, v2 :: v_dual_mul_f32 v55, v7, v4
	s_delay_alu instid0(VALU_DEP_2) | instskip(NEXT) | instid1(VALU_DEP_2)
	v_fmac_f32_e32 v53, v6, v1
	v_fma_f32 v54, v5, v1, -v2
	v_mul_f32_e32 v1, v8, v4
	s_delay_alu instid0(VALU_DEP_4) | instskip(NEXT) | instid1(VALU_DEP_2)
	v_fmac_f32_e32 v55, v8, v3
	v_fma_f32 v56, v7, v3, -v1
	ds_load_b128 v[1:4], v25 offset:784
	ds_load_b128 v[5:8], v25 offset:800
	s_wait_loadcnt_dscnt 0x1
	v_mul_f32_e32 v57, v1, v10
	v_mul_f32_e32 v59, v3, v12
	s_delay_alu instid0(VALU_DEP_2) | instskip(NEXT) | instid1(VALU_DEP_2)
	v_fmac_f32_e32 v57, v2, v9
	v_dual_mul_f32 v2, v2, v10 :: v_dual_fmac_f32 v59, v4, v11
	s_delay_alu instid0(VALU_DEP_1) | instskip(SKIP_1) | instid1(VALU_DEP_1)
	v_fma_f32 v58, v1, v9, -v2
	v_mul_f32_e32 v1, v4, v12
	;; [unrolled: 25-line block ×6, first 2 shown]
	v_fma_f32 v220, v3, v11, -v1
	s_clause 0x1
	scratch_load_b128 v[1:4], off, off offset:416
	scratch_load_b128 v[9:12], off, off offset:432
	s_wait_loadcnt_dscnt 0x100
	v_mul_f32_e32 v221, v5, v2
	v_mul_f32_e32 v2, v6, v2
	s_delay_alu instid0(VALU_DEP_2) | instskip(NEXT) | instid1(VALU_DEP_2)
	v_fmac_f32_e32 v221, v6, v1
	v_fma_f32 v222, v5, v1, -v2
	v_dual_add_f32 v2, 0, v34 :: v_dual_mul_f32 v1, v8, v4
	s_delay_alu instid0(VALU_DEP_1) | instskip(NEXT) | instid1(VALU_DEP_2)
	v_add_f32_e32 v2, v2, v38
	v_fma_f32 v224, v7, v3, -v1
	s_delay_alu instid0(VALU_DEP_2) | instskip(NEXT) | instid1(VALU_DEP_1)
	v_dual_add_f32 v1, 0, v21 :: v_dual_add_f32 v2, v2, v23
	v_dual_add_f32 v1, v1, v22 :: v_dual_add_f32 v2, v2, v24
	s_delay_alu instid0(VALU_DEP_1) | instskip(NEXT) | instid1(VALU_DEP_1)
	v_add_f32_e32 v2, v2, v39
	v_add_f32_e32 v2, v2, v40
	s_delay_alu instid0(VALU_DEP_1) | instskip(NEXT) | instid1(VALU_DEP_1)
	v_add_f32_e32 v2, v2, v30
	v_add_f32_e32 v2, v2, v31
	;; [unrolled: 3-line block ×3, first 2 shown]
	s_delay_alu instid0(VALU_DEP_1) | instskip(NEXT) | instid1(VALU_DEP_1)
	v_add_f32_e32 v2, v2, v19
	v_dual_add_f32 v2, v2, v20 :: v_dual_add_f32 v1, v1, v26
	s_delay_alu instid0(VALU_DEP_1) | instskip(NEXT) | instid1(VALU_DEP_1)
	v_dual_add_f32 v2, v2, v41 :: v_dual_add_f32 v1, v1, v27
	v_dual_add_f32 v2, v2, v42 :: v_dual_add_f32 v1, v1, v28
	s_delay_alu instid0(VALU_DEP_1) | instskip(NEXT) | instid1(VALU_DEP_1)
	v_add_f32_e32 v2, v2, v45
	v_dual_add_f32 v1, v1, v29 :: v_dual_add_f32 v2, v2, v47
	s_delay_alu instid0(VALU_DEP_1) | instskip(NEXT) | instid1(VALU_DEP_1)
	v_add_f32_e32 v2, v2, v49
	v_add_f32_e32 v2, v2, v51
	s_delay_alu instid0(VALU_DEP_1) | instskip(NEXT) | instid1(VALU_DEP_1)
	v_add_f32_e32 v2, v2, v53
	v_add_f32_e32 v2, v2, v55
	s_delay_alu instid0(VALU_DEP_1) | instskip(NEXT) | instid1(VALU_DEP_1)
	v_add_f32_e32 v2, v2, v57
	v_add_f32_e32 v2, v2, v59
	s_delay_alu instid0(VALU_DEP_1) | instskip(NEXT) | instid1(VALU_DEP_1)
	v_add_f32_e32 v2, v2, v61
	v_dual_add_f32 v1, v1, v13 :: v_dual_add_f32 v2, v2, v63
	s_delay_alu instid0(VALU_DEP_1) | instskip(NEXT) | instid1(VALU_DEP_1)
	v_add_f32_e32 v1, v1, v14
	v_add_f32_e32 v1, v1, v16
	s_delay_alu instid0(VALU_DEP_1) | instskip(NEXT) | instid1(VALU_DEP_1)
	v_add_f32_e32 v1, v1, v17
	v_add_f32_e32 v1, v1, v32
	;; [unrolled: 3-line block ×10, first 2 shown]
	v_add_f32_e32 v2, v2, v65
	s_delay_alu instid0(VALU_DEP_2) | instskip(SKIP_1) | instid1(VALU_DEP_3)
	v_add_f32_e32 v14, v6, v200
	v_mul_f32_e32 v223, v7, v4
	v_add_f32_e32 v5, v2, v67
	s_delay_alu instid0(VALU_DEP_2) | instskip(NEXT) | instid1(VALU_DEP_2)
	v_dual_add_f32 v14, v14, v202 :: v_dual_fmac_f32 v223, v8, v3
	v_add_f32_e32 v13, v5, v197
	scratch_load_b128 v[5:8], off, off offset:448
	ds_load_b128 v[1:4], v25 offset:944
	v_add_f32_e32 v17, v14, v204
	v_add_f32_e32 v13, v13, v199
	s_delay_alu instid0(VALU_DEP_2) | instskip(NEXT) | instid1(VALU_DEP_2)
	v_add_f32_e32 v17, v17, v206
	v_add_f32_e32 v13, v13, v201
	s_delay_alu instid0(VALU_DEP_2) | instskip(NEXT) | instid1(VALU_DEP_2)
	v_add_f32_e32 v17, v17, v208
	v_add_f32_e32 v18, v13, v203
	ds_load_b128 v[13:16], v25 offset:960
	v_add_f32_e32 v17, v17, v210
	s_wait_loadcnt_dscnt 0x101
	v_mul_f32_e32 v26, v1, v10
	v_dual_mul_f32 v10, v2, v10 :: v_dual_mul_f32 v27, v3, v12
	v_mul_f32_e32 v12, v4, v12
	v_add_f32_e32 v18, v18, v205
	s_delay_alu instid0(VALU_DEP_4) | instskip(NEXT) | instid1(VALU_DEP_4)
	v_fmac_f32_e32 v26, v2, v9
	v_fma_f32 v28, v1, v9, -v10
	v_fmac_f32_e32 v27, v4, v11
	v_fma_f32 v29, v3, v11, -v12
	s_clause 0x1
	scratch_load_b128 v[1:4], off, off offset:464
	scratch_load_b128 v[9:12], off, off offset:480
	v_add_f32_e32 v18, v18, v207
	s_delay_alu instid0(VALU_DEP_1) | instskip(SKIP_2) | instid1(VALU_DEP_1)
	v_dual_add_f32 v22, v17, v212 :: v_dual_add_f32 v21, v18, v209
	scratch_load_b128 v[17:20], off, off offset:496
	v_dual_add_f32 v22, v22, v214 :: v_dual_add_f32 v21, v21, v211
	v_add_f32_e32 v22, v22, v216
	s_wait_loadcnt_dscnt 0x300
	v_mul_f32_e32 v30, v13, v6
	s_delay_alu instid0(VALU_DEP_3) | instskip(SKIP_2) | instid1(VALU_DEP_4)
	v_dual_mul_f32 v6, v14, v6 :: v_dual_add_f32 v21, v21, v213
	v_mul_f32_e32 v31, v15, v8
	v_mul_f32_e32 v8, v16, v8
	v_fmac_f32_e32 v30, v14, v5
	s_delay_alu instid0(VALU_DEP_4)
	v_fma_f32 v32, v13, v5, -v6
	v_add_f32_e32 v13, v21, v215
	v_add_f32_e32 v21, v22, v218
	v_fmac_f32_e32 v31, v16, v7
	v_fma_f32 v33, v15, v7, -v8
	ds_load_b128 v[5:8], v25 offset:976
	v_add_f32_e32 v22, v13, v217
	v_add_f32_e32 v34, v21, v220
	ds_load_b128 v[13:16], v25 offset:992
	v_add_f32_e32 v38, v22, v219
	ds_load_b128 v[21:24], v25 offset:1008
	v_add_f32_e32 v25, v34, v222
	s_delay_alu instid0(VALU_DEP_1) | instskip(NEXT) | instid1(VALU_DEP_1)
	v_dual_add_f32 v34, v38, v221 :: v_dual_add_f32 v25, v25, v224
	v_dual_add_f32 v34, v34, v223 :: v_dual_add_f32 v25, v25, v28
	s_wait_loadcnt_dscnt 0x202
	v_mul_f32_e32 v38, v5, v2
	s_delay_alu instid0(VALU_DEP_2) | instskip(NEXT) | instid1(VALU_DEP_3)
	v_add_f32_e32 v26, v34, v26
	v_dual_mul_f32 v2, v6, v2 :: v_dual_add_f32 v25, v25, v29
	v_mul_f32_e32 v28, v7, v4
	v_mul_f32_e32 v4, v8, v4
	s_delay_alu instid0(VALU_DEP_4) | instskip(NEXT) | instid1(VALU_DEP_4)
	v_add_f32_e32 v26, v26, v27
	v_fma_f32 v2, v5, v1, -v2
	v_dual_add_f32 v25, v25, v32 :: v_dual_fmac_f32 v38, v6, v1
	s_wait_loadcnt_dscnt 0x101
	v_mul_f32_e32 v34, v13, v10
	v_add_f32_e32 v26, v26, v30
	s_delay_alu instid0(VALU_DEP_3) | instskip(SKIP_2) | instid1(VALU_DEP_4)
	v_dual_mul_f32 v6, v14, v10 :: v_dual_add_f32 v1, v25, v33
	v_fmac_f32_e32 v28, v8, v3
	v_fma_f32 v3, v7, v3, -v4
	v_add_f32_e32 v5, v26, v31
	v_mul_f32_e32 v39, v15, v12
	v_dual_add_f32 v1, v1, v2 :: v_dual_mul_f32 v4, v16, v12
	v_fmac_f32_e32 v34, v14, v9
	s_delay_alu instid0(VALU_DEP_4) | instskip(SKIP_1) | instid1(VALU_DEP_4)
	v_add_f32_e32 v2, v5, v38
	v_fma_f32 v5, v13, v9, -v6
	v_add_f32_e32 v1, v1, v3
	s_wait_loadcnt_dscnt 0x0
	v_mul_f32_e32 v27, v21, v18
	v_mul_f32_e32 v3, v22, v18
	v_dual_add_f32 v2, v2, v28 :: v_dual_fmac_f32 v39, v16, v11
	v_fma_f32 v4, v15, v11, -v4
	v_add_f32_e32 v1, v1, v5
	s_delay_alu instid0(VALU_DEP_3) | instskip(SKIP_3) | instid1(VALU_DEP_4)
	v_dual_mul_f32 v29, v23, v20 :: v_dual_add_f32 v2, v2, v34
	v_mul_f32_e32 v5, v24, v20
	v_fmac_f32_e32 v27, v22, v17
	v_fma_f32 v3, v21, v17, -v3
	v_dual_add_f32 v1, v1, v4 :: v_dual_add_f32 v2, v2, v39
	v_fmac_f32_e32 v29, v24, v19
	v_fma_f32 v4, v23, v19, -v5
	s_delay_alu instid0(VALU_DEP_3) | instskip(NEXT) | instid1(VALU_DEP_1)
	v_add_f32_e32 v1, v1, v3
	v_dual_add_f32 v2, v2, v27 :: v_dual_add_f32 v1, v1, v4
	s_delay_alu instid0(VALU_DEP_1) | instskip(NEXT) | instid1(VALU_DEP_1)
	v_add_f32_e32 v2, v2, v29
	v_dual_sub_f32 v1, v36, v1 :: v_dual_sub_f32 v2, v37, v2
	scratch_store_b64 off, v[1:2], off offset:104
	v_cmpx_lt_u32_e32 12, v0
	s_cbranch_execz .LBB63_373
; %bb.372:
	scratch_load_b64 v[1:2], off, off offset:96
	v_mov_b32_e32 v3, 0
	s_delay_alu instid0(VALU_DEP_1)
	v_mov_b32_e32 v4, v3
	scratch_store_b64 off, v[3:4], off offset:96
	s_wait_loadcnt 0x0
	ds_store_b64 v35, v[1:2]
.LBB63_373:
	s_wait_alu 0xfffe
	s_or_b32 exec_lo, exec_lo, s0
	s_wait_storecnt_dscnt 0x0
	s_barrier_signal -1
	s_barrier_wait -1
	global_inv scope:SCOPE_SE
	s_clause 0x4
	scratch_load_b128 v[5:8], off, off offset:104
	scratch_load_b128 v[1:4], off, off offset:120
	;; [unrolled: 1-line block ×5, first 2 shown]
	v_mov_b32_e32 v25, 0
	ds_load_2addr_b64 v[21:24], v25 offset0:77 offset1:78
	ds_load_2addr_b64 v[26:29], v25 offset0:79 offset1:80
	;; [unrolled: 1-line block ×3, first 2 shown]
	scratch_load_b64 v[36:37], off, off offset:96
	s_mov_b32 s0, exec_lo
	s_wait_loadcnt_dscnt 0x502
	v_mul_f32_e32 v34, v21, v6
	v_mul_f32_e32 v38, v23, v8
	s_wait_loadcnt_dscnt 0x300
	v_dual_mul_f32 v8, v24, v8 :: v_dual_mul_f32 v39, v30, v10
	v_mul_f32_e32 v6, v22, v6
	v_fmac_f32_e32 v34, v22, v5
	v_mul_f32_e32 v10, v31, v10
	s_delay_alu instid0(VALU_DEP_4) | instskip(SKIP_2) | instid1(VALU_DEP_2)
	v_fma_f32 v22, v23, v7, -v8
	v_dual_mul_f32 v23, v26, v2 :: v_dual_fmac_f32 v38, v24, v7
	v_dual_fmac_f32 v39, v31, v9 :: v_dual_mul_f32 v24, v28, v4
	v_dual_mul_f32 v4, v29, v4 :: v_dual_fmac_f32 v23, v27, v1
	v_fma_f32 v21, v21, v5, -v6
	ds_load_2addr_b64 v[5:8], v25 offset0:83 offset1:84
	v_mul_f32_e32 v40, v32, v12
	v_mul_f32_e32 v12, v33, v12
	;; [unrolled: 1-line block ×3, first 2 shown]
	v_fmac_f32_e32 v24, v29, v3
	v_fma_f32 v27, v28, v3, -v4
	v_fma_f32 v28, v30, v9, -v10
	v_fmac_f32_e32 v40, v33, v11
	v_fma_f32 v29, v32, v11, -v12
	ds_load_2addr_b64 v[9:12], v25 offset0:85 offset1:86
	s_wait_loadcnt_dscnt 0x201
	v_dual_mul_f32 v31, v7, v16 :: v_dual_mul_f32 v30, v5, v14
	v_mul_f32_e32 v14, v6, v14
	v_mul_f32_e32 v16, v8, v16
	s_delay_alu instid0(VALU_DEP_3)
	v_fmac_f32_e32 v31, v8, v15
	v_fma_f32 v26, v26, v1, -v2
	scratch_load_b128 v[1:4], off, off offset:184
	v_fmac_f32_e32 v30, v6, v13
	v_fma_f32 v13, v5, v13, -v14
	v_fma_f32 v14, v7, v15, -v16
	s_wait_loadcnt_dscnt 0x200
	v_mul_f32_e32 v15, v9, v18
	v_mul_f32_e32 v16, v10, v18
	;; [unrolled: 1-line block ×4, first 2 shown]
	ds_load_2addr_b64 v[5:8], v25 offset0:87 offset1:88
	v_fmac_f32_e32 v15, v10, v17
	v_fma_f32 v16, v9, v17, -v16
	v_fmac_f32_e32 v18, v12, v19
	v_fma_f32 v17, v11, v19, -v20
	scratch_load_b128 v[9:12], off, off offset:200
	s_wait_loadcnt_dscnt 0x100
	v_mul_f32_e32 v19, v5, v2
	v_mul_f32_e32 v2, v6, v2
	;; [unrolled: 1-line block ×3, first 2 shown]
	s_delay_alu instid0(VALU_DEP_3) | instskip(NEXT) | instid1(VALU_DEP_3)
	v_dual_mul_f32 v4, v8, v4 :: v_dual_fmac_f32 v19, v6, v1
	v_fma_f32 v32, v5, v1, -v2
	s_delay_alu instid0(VALU_DEP_3) | instskip(NEXT) | instid1(VALU_DEP_3)
	v_fmac_f32_e32 v20, v8, v3
	v_fma_f32 v33, v7, v3, -v4
	ds_load_2addr_b64 v[1:4], v25 offset0:89 offset1:90
	ds_load_2addr_b64 v[5:8], v25 offset0:91 offset1:92
	s_wait_loadcnt_dscnt 0x1
	v_mul_f32_e32 v41, v1, v10
	v_mul_f32_e32 v10, v2, v10
	s_delay_alu instid0(VALU_DEP_2) | instskip(NEXT) | instid1(VALU_DEP_2)
	v_dual_mul_f32 v42, v3, v12 :: v_dual_fmac_f32 v41, v2, v9
	v_fma_f32 v43, v1, v9, -v10
	v_mul_f32_e32 v1, v4, v12
	s_delay_alu instid0(VALU_DEP_3) | instskip(NEXT) | instid1(VALU_DEP_2)
	v_fmac_f32_e32 v42, v4, v11
	v_fma_f32 v44, v3, v11, -v1
	s_clause 0x1
	scratch_load_b128 v[1:4], off, off offset:216
	scratch_load_b128 v[9:12], off, off offset:232
	s_wait_loadcnt_dscnt 0x100
	v_mul_f32_e32 v45, v5, v2
	v_dual_mul_f32 v2, v6, v2 :: v_dual_mul_f32 v47, v7, v4
	s_delay_alu instid0(VALU_DEP_2) | instskip(NEXT) | instid1(VALU_DEP_2)
	v_fmac_f32_e32 v45, v6, v1
	v_fma_f32 v46, v5, v1, -v2
	v_mul_f32_e32 v1, v8, v4
	s_delay_alu instid0(VALU_DEP_4) | instskip(NEXT) | instid1(VALU_DEP_2)
	v_fmac_f32_e32 v47, v8, v3
	v_fma_f32 v48, v7, v3, -v1
	ds_load_2addr_b64 v[1:4], v25 offset0:93 offset1:94
	ds_load_2addr_b64 v[5:8], v25 offset0:95 offset1:96
	s_wait_loadcnt_dscnt 0x1
	v_mul_f32_e32 v49, v1, v10
	v_mul_f32_e32 v51, v3, v12
	s_delay_alu instid0(VALU_DEP_2) | instskip(NEXT) | instid1(VALU_DEP_2)
	v_fmac_f32_e32 v49, v2, v9
	v_dual_mul_f32 v2, v2, v10 :: v_dual_fmac_f32 v51, v4, v11
	s_delay_alu instid0(VALU_DEP_1) | instskip(SKIP_1) | instid1(VALU_DEP_1)
	v_fma_f32 v50, v1, v9, -v2
	v_mul_f32_e32 v1, v4, v12
	v_fma_f32 v52, v3, v11, -v1
	s_clause 0x1
	scratch_load_b128 v[1:4], off, off offset:248
	scratch_load_b128 v[9:12], off, off offset:264
	s_wait_loadcnt_dscnt 0x100
	v_mul_f32_e32 v53, v5, v2
	v_dual_mul_f32 v2, v6, v2 :: v_dual_mul_f32 v55, v7, v4
	s_delay_alu instid0(VALU_DEP_2) | instskip(NEXT) | instid1(VALU_DEP_2)
	v_fmac_f32_e32 v53, v6, v1
	v_fma_f32 v54, v5, v1, -v2
	v_mul_f32_e32 v1, v8, v4
	s_delay_alu instid0(VALU_DEP_4) | instskip(NEXT) | instid1(VALU_DEP_2)
	v_fmac_f32_e32 v55, v8, v3
	v_fma_f32 v56, v7, v3, -v1
	ds_load_2addr_b64 v[1:4], v25 offset0:97 offset1:98
	ds_load_2addr_b64 v[5:8], v25 offset0:99 offset1:100
	s_wait_loadcnt_dscnt 0x1
	v_mul_f32_e32 v57, v1, v10
	v_mul_f32_e32 v59, v3, v12
	s_delay_alu instid0(VALU_DEP_2) | instskip(NEXT) | instid1(VALU_DEP_2)
	v_fmac_f32_e32 v57, v2, v9
	v_dual_mul_f32 v2, v2, v10 :: v_dual_fmac_f32 v59, v4, v11
	s_delay_alu instid0(VALU_DEP_1) | instskip(SKIP_1) | instid1(VALU_DEP_1)
	v_fma_f32 v58, v1, v9, -v2
	v_mul_f32_e32 v1, v4, v12
	;; [unrolled: 25-line block ×6, first 2 shown]
	v_fma_f32 v220, v3, v11, -v1
	s_clause 0x1
	scratch_load_b128 v[1:4], off, off offset:408
	scratch_load_b128 v[9:12], off, off offset:424
	s_wait_loadcnt_dscnt 0x100
	v_mul_f32_e32 v221, v5, v2
	v_mul_f32_e32 v2, v6, v2
	s_delay_alu instid0(VALU_DEP_2) | instskip(NEXT) | instid1(VALU_DEP_2)
	v_fmac_f32_e32 v221, v6, v1
	v_fma_f32 v222, v5, v1, -v2
	v_dual_add_f32 v2, 0, v34 :: v_dual_mul_f32 v1, v8, v4
	s_delay_alu instid0(VALU_DEP_1) | instskip(NEXT) | instid1(VALU_DEP_2)
	v_add_f32_e32 v2, v2, v38
	v_fma_f32 v224, v7, v3, -v1
	s_delay_alu instid0(VALU_DEP_2) | instskip(NEXT) | instid1(VALU_DEP_1)
	v_dual_add_f32 v1, 0, v21 :: v_dual_add_f32 v2, v2, v23
	v_dual_add_f32 v1, v1, v22 :: v_dual_add_f32 v2, v2, v24
	s_delay_alu instid0(VALU_DEP_1) | instskip(NEXT) | instid1(VALU_DEP_1)
	v_add_f32_e32 v2, v2, v39
	v_add_f32_e32 v2, v2, v40
	s_delay_alu instid0(VALU_DEP_1) | instskip(NEXT) | instid1(VALU_DEP_1)
	v_add_f32_e32 v2, v2, v30
	v_add_f32_e32 v2, v2, v31
	;; [unrolled: 3-line block ×3, first 2 shown]
	s_delay_alu instid0(VALU_DEP_1) | instskip(NEXT) | instid1(VALU_DEP_1)
	v_add_f32_e32 v2, v2, v19
	v_dual_add_f32 v2, v2, v20 :: v_dual_add_f32 v1, v1, v26
	s_delay_alu instid0(VALU_DEP_1) | instskip(SKIP_2) | instid1(VALU_DEP_1)
	v_dual_add_f32 v2, v2, v41 :: v_dual_add_f32 v1, v1, v27
	scratch_load_b64 v[26:27], off, off offset:504
	v_dual_add_f32 v2, v2, v42 :: v_dual_add_f32 v1, v1, v28
	v_add_f32_e32 v2, v2, v45
	s_delay_alu instid0(VALU_DEP_1) | instskip(NEXT) | instid1(VALU_DEP_1)
	v_dual_add_f32 v1, v1, v29 :: v_dual_add_f32 v2, v2, v47
	v_add_f32_e32 v1, v1, v13
	s_delay_alu instid0(VALU_DEP_1) | instskip(NEXT) | instid1(VALU_DEP_1)
	v_dual_add_f32 v2, v2, v49 :: v_dual_add_f32 v1, v1, v14
	v_dual_add_f32 v2, v2, v51 :: v_dual_add_f32 v1, v1, v16
	s_delay_alu instid0(VALU_DEP_1) | instskip(NEXT) | instid1(VALU_DEP_1)
	v_add_f32_e32 v2, v2, v53
	v_dual_add_f32 v1, v1, v17 :: v_dual_add_f32 v2, v2, v55
	s_delay_alu instid0(VALU_DEP_1) | instskip(NEXT) | instid1(VALU_DEP_1)
	v_dual_add_f32 v1, v1, v32 :: v_dual_add_f32 v2, v2, v57
	v_dual_add_f32 v1, v1, v33 :: v_dual_add_f32 v2, v2, v59
	s_delay_alu instid0(VALU_DEP_1) | instskip(NEXT) | instid1(VALU_DEP_1)
	v_add_f32_e32 v1, v1, v43
	v_add_f32_e32 v1, v1, v44
	s_delay_alu instid0(VALU_DEP_1) | instskip(NEXT) | instid1(VALU_DEP_1)
	v_add_f32_e32 v1, v1, v46
	v_add_f32_e32 v1, v1, v48
	;; [unrolled: 3-line block ×7, first 2 shown]
	s_delay_alu instid0(VALU_DEP_1) | instskip(SKIP_1) | instid1(VALU_DEP_2)
	v_add_f32_e32 v6, v1, v198
	v_add_f32_e32 v2, v2, v61
	;; [unrolled: 1-line block ×3, first 2 shown]
	s_delay_alu instid0(VALU_DEP_2) | instskip(NEXT) | instid1(VALU_DEP_2)
	v_dual_add_f32 v2, v2, v63 :: v_dual_mul_f32 v223, v7, v4
	v_add_f32_e32 v14, v14, v202
	s_delay_alu instid0(VALU_DEP_2) | instskip(NEXT) | instid1(VALU_DEP_2)
	v_dual_add_f32 v2, v2, v65 :: v_dual_fmac_f32 v223, v8, v3
	v_add_f32_e32 v17, v14, v204
	s_delay_alu instid0(VALU_DEP_2)
	v_add_f32_e32 v5, v2, v67
	scratch_load_b128 v[1:4], off, off offset:440
	v_add_f32_e32 v17, v17, v206
	v_add_f32_e32 v13, v5, v197
	ds_load_2addr_b64 v[5:8], v25 offset0:117 offset1:118
	v_add_f32_e32 v17, v17, v208
	v_add_f32_e32 v13, v13, v199
	s_delay_alu instid0(VALU_DEP_2) | instskip(NEXT) | instid1(VALU_DEP_2)
	v_add_f32_e32 v17, v17, v210
	v_add_f32_e32 v13, v13, v201
	s_delay_alu instid0(VALU_DEP_2) | instskip(NEXT) | instid1(VALU_DEP_2)
	v_add_f32_e32 v22, v17, v212
	v_add_f32_e32 v18, v13, v203
	ds_load_2addr_b64 v[13:16], v25 offset0:119 offset1:120
	v_add_f32_e32 v22, v22, v214
	v_add_f32_e32 v18, v18, v205
	s_wait_loadcnt_dscnt 0x201
	v_mul_f32_e32 v30, v5, v10
	v_dual_mul_f32 v10, v6, v10 :: v_dual_mul_f32 v31, v7, v12
	v_mul_f32_e32 v12, v8, v12
	v_add_f32_e32 v18, v18, v207
	s_delay_alu instid0(VALU_DEP_4) | instskip(NEXT) | instid1(VALU_DEP_4)
	v_fmac_f32_e32 v30, v6, v9
	v_fma_f32 v32, v5, v9, -v10
	v_fmac_f32_e32 v31, v8, v11
	v_fma_f32 v33, v7, v11, -v12
	s_clause 0x1
	scratch_load_b128 v[5:8], off, off offset:456
	scratch_load_b128 v[9:12], off, off offset:472
	v_add_f32_e32 v22, v22, v216
	s_delay_alu instid0(VALU_DEP_1)
	v_add_f32_e32 v22, v22, v218
	s_wait_loadcnt_dscnt 0x200
	v_dual_mul_f32 v34, v13, v2 :: v_dual_add_f32 v21, v18, v209
	scratch_load_b128 v[17:20], off, off offset:488
	v_mul_f32_e32 v38, v15, v4
	v_mul_f32_e32 v2, v14, v2
	v_dual_mul_f32 v4, v16, v4 :: v_dual_add_f32 v21, v21, v211
	v_fmac_f32_e32 v34, v14, v1
	v_add_f32_e32 v14, v22, v220
	s_delay_alu instid0(VALU_DEP_4) | instskip(NEXT) | instid1(VALU_DEP_4)
	v_fma_f32 v39, v13, v1, -v2
	v_dual_fmac_f32 v38, v16, v3 :: v_dual_add_f32 v21, v21, v213
	v_fma_f32 v40, v15, v3, -v4
	ds_load_2addr_b64 v[1:4], v25 offset0:121 offset1:122
	v_dual_add_f32 v28, v14, v222 :: v_dual_add_f32 v21, v21, v215
	s_delay_alu instid0(VALU_DEP_1) | instskip(NEXT) | instid1(VALU_DEP_2)
	v_add_f32_e32 v41, v28, v224
	v_add_f32_e32 v13, v21, v217
	s_delay_alu instid0(VALU_DEP_2) | instskip(NEXT) | instid1(VALU_DEP_2)
	v_add_f32_e32 v32, v41, v32
	v_add_f32_e32 v21, v13, v219
	ds_load_2addr_b64 v[13:16], v25 offset0:123 offset1:124
	v_add_f32_e32 v32, v32, v33
	v_add_f32_e32 v29, v21, v221
	ds_load_2addr_b64 v[21:24], v25 offset0:125 offset1:126
	s_wait_loadcnt_dscnt 0x202
	v_mul_f32_e32 v41, v1, v6
	v_mul_f32_e32 v6, v2, v6
	v_add_f32_e32 v42, v29, v223
	v_add_f32_e32 v32, v32, v39
	ds_load_b64 v[28:29], v25 offset:1016
	v_fmac_f32_e32 v41, v2, v5
	v_fma_f32 v1, v1, v5, -v6
	v_add_f32_e32 v30, v42, v30
	v_add_f32_e32 v32, v32, v40
	s_delay_alu instid0(VALU_DEP_2) | instskip(SKIP_2) | instid1(VALU_DEP_2)
	v_dual_add_f32 v30, v30, v31 :: v_dual_mul_f32 v31, v3, v8
	s_wait_loadcnt_dscnt 0x102
	v_dual_mul_f32 v8, v4, v8 :: v_dual_mul_f32 v33, v13, v10
	v_dual_add_f32 v1, v32, v1 :: v_dual_add_f32 v30, v30, v34
	s_delay_alu instid0(VALU_DEP_3) | instskip(NEXT) | instid1(VALU_DEP_3)
	v_fmac_f32_e32 v31, v4, v7
	v_fma_f32 v2, v3, v7, -v8
	v_dual_mul_f32 v3, v14, v10 :: v_dual_mul_f32 v34, v15, v12
	s_delay_alu instid0(VALU_DEP_4) | instskip(SKIP_1) | instid1(VALU_DEP_3)
	v_dual_add_f32 v30, v30, v38 :: v_dual_mul_f32 v5, v16, v12
	v_fmac_f32_e32 v33, v14, v9
	v_fma_f32 v3, v13, v9, -v3
	s_delay_alu instid0(VALU_DEP_3)
	v_dual_add_f32 v1, v1, v2 :: v_dual_add_f32 v4, v30, v41
	v_fmac_f32_e32 v34, v16, v11
	v_fma_f32 v5, v15, v11, -v5
	s_wait_dscnt 0x0
	v_mul_f32_e32 v38, v28, v27
	v_add_f32_e32 v1, v1, v3
	v_add_f32_e32 v2, v4, v31
	s_delay_alu instid0(VALU_DEP_3) | instskip(NEXT) | instid1(VALU_DEP_3)
	v_fmac_f32_e32 v38, v29, v26
	v_add_f32_e32 v1, v1, v5
	s_delay_alu instid0(VALU_DEP_3) | instskip(NEXT) | instid1(VALU_DEP_1)
	v_dual_add_f32 v2, v2, v33 :: v_dual_mul_f32 v5, v29, v27
	v_add_f32_e32 v2, v2, v34
	s_wait_loadcnt 0x0
	v_mul_f32_e32 v39, v21, v18
	v_mul_f32_e32 v4, v22, v18
	;; [unrolled: 1-line block ×4, first 2 shown]
	s_delay_alu instid0(VALU_DEP_4) | instskip(NEXT) | instid1(VALU_DEP_4)
	v_fmac_f32_e32 v39, v22, v17
	v_fma_f32 v4, v21, v17, -v4
	s_delay_alu instid0(VALU_DEP_4) | instskip(NEXT) | instid1(VALU_DEP_4)
	v_fmac_f32_e32 v40, v24, v19
	v_fma_f32 v3, v23, v19, -v3
	s_delay_alu instid0(VALU_DEP_3) | instskip(SKIP_1) | instid1(VALU_DEP_2)
	v_dual_add_f32 v2, v2, v39 :: v_dual_add_f32 v1, v1, v4
	v_fma_f32 v4, v28, v26, -v5
	v_dual_add_f32 v2, v2, v40 :: v_dual_add_f32 v1, v1, v3
	s_delay_alu instid0(VALU_DEP_1) | instskip(NEXT) | instid1(VALU_DEP_1)
	v_dual_add_f32 v2, v2, v38 :: v_dual_add_f32 v1, v1, v4
	v_dual_sub_f32 v2, v37, v2 :: v_dual_sub_f32 v1, v36, v1
	scratch_store_b64 off, v[1:2], off offset:96
	v_cmpx_lt_u32_e32 11, v0
	s_cbranch_execz .LBB63_375
; %bb.374:
	scratch_load_b64 v[1:2], off, off offset:88
	v_mov_b32_e32 v26, v25
	scratch_store_b64 off, v[25:26], off offset:88
	s_wait_loadcnt 0x0
	ds_store_b64 v35, v[1:2]
.LBB63_375:
	s_wait_alu 0xfffe
	s_or_b32 exec_lo, exec_lo, s0
	s_wait_storecnt_dscnt 0x0
	s_barrier_signal -1
	s_barrier_wait -1
	global_inv scope:SCOPE_SE
	s_clause 0x4
	scratch_load_b128 v[5:8], off, off offset:96
	scratch_load_b128 v[1:4], off, off offset:112
	;; [unrolled: 1-line block ×5, first 2 shown]
	ds_load_b128 v[21:24], v25 offset:608
	ds_load_b128 v[26:29], v25 offset:624
	;; [unrolled: 1-line block ×3, first 2 shown]
	scratch_load_b64 v[36:37], off, off offset:88
	s_mov_b32 s0, exec_lo
	s_wait_loadcnt_dscnt 0x502
	v_mul_f32_e32 v34, v21, v6
	v_mul_f32_e32 v38, v23, v8
	s_wait_loadcnt_dscnt 0x300
	v_dual_mul_f32 v8, v24, v8 :: v_dual_mul_f32 v39, v30, v10
	v_mul_f32_e32 v6, v22, v6
	v_fmac_f32_e32 v34, v22, v5
	v_mul_f32_e32 v10, v31, v10
	s_delay_alu instid0(VALU_DEP_4)
	v_fma_f32 v22, v23, v7, -v8
	v_dual_mul_f32 v23, v26, v2 :: v_dual_fmac_f32 v38, v24, v7
	v_fmac_f32_e32 v39, v31, v9
	v_fma_f32 v21, v21, v5, -v6
	ds_load_b128 v[5:8], v25 offset:656
	v_mul_f32_e32 v24, v28, v4
	v_mul_f32_e32 v4, v29, v4
	;; [unrolled: 1-line block ×5, first 2 shown]
	v_dual_fmac_f32 v23, v27, v1 :: v_dual_fmac_f32 v24, v29, v3
	v_fma_f32 v27, v28, v3, -v4
	v_fma_f32 v28, v30, v9, -v10
	v_fmac_f32_e32 v40, v33, v11
	v_fma_f32 v29, v32, v11, -v12
	ds_load_b128 v[9:12], v25 offset:672
	s_wait_loadcnt_dscnt 0x201
	v_dual_mul_f32 v31, v7, v16 :: v_dual_mul_f32 v30, v5, v14
	v_mul_f32_e32 v14, v6, v14
	v_mul_f32_e32 v16, v8, v16
	s_delay_alu instid0(VALU_DEP_3)
	v_fmac_f32_e32 v31, v8, v15
	v_fma_f32 v26, v26, v1, -v2
	scratch_load_b128 v[1:4], off, off offset:176
	v_fmac_f32_e32 v30, v6, v13
	v_fma_f32 v13, v5, v13, -v14
	v_fma_f32 v14, v7, v15, -v16
	ds_load_b128 v[5:8], v25 offset:688
	s_wait_loadcnt_dscnt 0x201
	v_mul_f32_e32 v15, v9, v18
	v_mul_f32_e32 v16, v10, v18
	;; [unrolled: 1-line block ×3, first 2 shown]
	s_delay_alu instid0(VALU_DEP_3) | instskip(NEXT) | instid1(VALU_DEP_3)
	v_dual_mul_f32 v20, v12, v20 :: v_dual_fmac_f32 v15, v10, v17
	v_fma_f32 v16, v9, v17, -v16
	s_delay_alu instid0(VALU_DEP_3) | instskip(NEXT) | instid1(VALU_DEP_3)
	v_fmac_f32_e32 v18, v12, v19
	v_fma_f32 v17, v11, v19, -v20
	scratch_load_b128 v[9:12], off, off offset:192
	s_wait_loadcnt_dscnt 0x100
	v_mul_f32_e32 v19, v5, v2
	v_mul_f32_e32 v2, v6, v2
	;; [unrolled: 1-line block ×3, first 2 shown]
	s_delay_alu instid0(VALU_DEP_3) | instskip(NEXT) | instid1(VALU_DEP_3)
	v_dual_mul_f32 v4, v8, v4 :: v_dual_fmac_f32 v19, v6, v1
	v_fma_f32 v32, v5, v1, -v2
	s_delay_alu instid0(VALU_DEP_3) | instskip(NEXT) | instid1(VALU_DEP_3)
	v_fmac_f32_e32 v20, v8, v3
	v_fma_f32 v33, v7, v3, -v4
	ds_load_b128 v[1:4], v25 offset:704
	ds_load_b128 v[5:8], v25 offset:720
	s_wait_loadcnt_dscnt 0x1
	v_mul_f32_e32 v41, v1, v10
	v_mul_f32_e32 v10, v2, v10
	s_delay_alu instid0(VALU_DEP_2) | instskip(NEXT) | instid1(VALU_DEP_2)
	v_dual_mul_f32 v42, v3, v12 :: v_dual_fmac_f32 v41, v2, v9
	v_fma_f32 v43, v1, v9, -v10
	v_mul_f32_e32 v1, v4, v12
	s_delay_alu instid0(VALU_DEP_3) | instskip(NEXT) | instid1(VALU_DEP_2)
	v_fmac_f32_e32 v42, v4, v11
	v_fma_f32 v44, v3, v11, -v1
	s_clause 0x1
	scratch_load_b128 v[1:4], off, off offset:208
	scratch_load_b128 v[9:12], off, off offset:224
	s_wait_loadcnt_dscnt 0x100
	v_mul_f32_e32 v45, v5, v2
	v_dual_mul_f32 v2, v6, v2 :: v_dual_mul_f32 v47, v7, v4
	s_delay_alu instid0(VALU_DEP_2) | instskip(NEXT) | instid1(VALU_DEP_2)
	v_fmac_f32_e32 v45, v6, v1
	v_fma_f32 v46, v5, v1, -v2
	v_mul_f32_e32 v1, v8, v4
	s_delay_alu instid0(VALU_DEP_4) | instskip(NEXT) | instid1(VALU_DEP_2)
	v_fmac_f32_e32 v47, v8, v3
	v_fma_f32 v48, v7, v3, -v1
	ds_load_b128 v[1:4], v25 offset:736
	ds_load_b128 v[5:8], v25 offset:752
	s_wait_loadcnt_dscnt 0x1
	v_mul_f32_e32 v49, v1, v10
	v_mul_f32_e32 v51, v3, v12
	s_delay_alu instid0(VALU_DEP_2) | instskip(NEXT) | instid1(VALU_DEP_2)
	v_fmac_f32_e32 v49, v2, v9
	v_dual_mul_f32 v2, v2, v10 :: v_dual_fmac_f32 v51, v4, v11
	s_delay_alu instid0(VALU_DEP_1) | instskip(SKIP_1) | instid1(VALU_DEP_1)
	v_fma_f32 v50, v1, v9, -v2
	v_mul_f32_e32 v1, v4, v12
	v_fma_f32 v52, v3, v11, -v1
	s_clause 0x1
	scratch_load_b128 v[1:4], off, off offset:240
	scratch_load_b128 v[9:12], off, off offset:256
	s_wait_loadcnt_dscnt 0x100
	v_mul_f32_e32 v53, v5, v2
	v_dual_mul_f32 v2, v6, v2 :: v_dual_mul_f32 v55, v7, v4
	s_delay_alu instid0(VALU_DEP_2) | instskip(NEXT) | instid1(VALU_DEP_2)
	v_fmac_f32_e32 v53, v6, v1
	v_fma_f32 v54, v5, v1, -v2
	v_mul_f32_e32 v1, v8, v4
	s_delay_alu instid0(VALU_DEP_4) | instskip(NEXT) | instid1(VALU_DEP_2)
	v_fmac_f32_e32 v55, v8, v3
	v_fma_f32 v56, v7, v3, -v1
	ds_load_b128 v[1:4], v25 offset:768
	ds_load_b128 v[5:8], v25 offset:784
	s_wait_loadcnt_dscnt 0x1
	v_mul_f32_e32 v57, v1, v10
	v_mul_f32_e32 v59, v3, v12
	s_delay_alu instid0(VALU_DEP_2) | instskip(NEXT) | instid1(VALU_DEP_2)
	v_fmac_f32_e32 v57, v2, v9
	v_dual_mul_f32 v2, v2, v10 :: v_dual_fmac_f32 v59, v4, v11
	s_delay_alu instid0(VALU_DEP_1) | instskip(SKIP_1) | instid1(VALU_DEP_1)
	v_fma_f32 v58, v1, v9, -v2
	v_mul_f32_e32 v1, v4, v12
	;; [unrolled: 25-line block ×7, first 2 shown]
	v_fma_f32 v228, v3, v11, -v1
	s_clause 0x1
	scratch_load_b128 v[1:4], off, off offset:432
	scratch_load_b128 v[9:12], off, off offset:448
	s_wait_loadcnt_dscnt 0x100
	v_mul_f32_e32 v229, v5, v2
	v_dual_mul_f32 v2, v6, v2 :: v_dual_mul_f32 v231, v7, v4
	s_delay_alu instid0(VALU_DEP_2) | instskip(NEXT) | instid1(VALU_DEP_2)
	v_fmac_f32_e32 v229, v6, v1
	v_fma_f32 v230, v5, v1, -v2
	v_add_f32_e32 v2, 0, v34
	s_delay_alu instid0(VALU_DEP_1) | instskip(NEXT) | instid1(VALU_DEP_1)
	v_add_f32_e32 v2, v2, v38
	v_add_f32_e32 v2, v2, v23
	s_delay_alu instid0(VALU_DEP_1) | instskip(NEXT) | instid1(VALU_DEP_1)
	v_add_f32_e32 v2, v2, v24
	v_add_f32_e32 v2, v2, v39
	s_delay_alu instid0(VALU_DEP_1) | instskip(NEXT) | instid1(VALU_DEP_1)
	v_add_f32_e32 v2, v2, v40
	v_add_f32_e32 v2, v2, v30
	s_delay_alu instid0(VALU_DEP_1) | instskip(NEXT) | instid1(VALU_DEP_1)
	v_add_f32_e32 v2, v2, v31
	v_add_f32_e32 v2, v2, v15
	s_delay_alu instid0(VALU_DEP_1) | instskip(NEXT) | instid1(VALU_DEP_1)
	v_add_f32_e32 v2, v2, v18
	v_add_f32_e32 v2, v2, v19
	s_delay_alu instid0(VALU_DEP_1) | instskip(NEXT) | instid1(VALU_DEP_1)
	v_add_f32_e32 v2, v2, v20
	v_dual_mul_f32 v1, v8, v4 :: v_dual_add_f32 v2, v2, v41
	s_delay_alu instid0(VALU_DEP_1) | instskip(NEXT) | instid1(VALU_DEP_2)
	v_fma_f32 v232, v7, v3, -v1
	v_dual_add_f32 v1, 0, v21 :: v_dual_add_f32 v2, v2, v42
	s_delay_alu instid0(VALU_DEP_1) | instskip(NEXT) | instid1(VALU_DEP_1)
	v_dual_add_f32 v1, v1, v22 :: v_dual_add_f32 v2, v2, v45
	v_dual_add_f32 v1, v1, v26 :: v_dual_add_f32 v2, v2, v47
	s_delay_alu instid0(VALU_DEP_1) | instskip(NEXT) | instid1(VALU_DEP_1)
	v_dual_add_f32 v1, v1, v27 :: v_dual_add_f32 v2, v2, v49
	v_dual_add_f32 v1, v1, v28 :: v_dual_add_f32 v2, v2, v51
	s_delay_alu instid0(VALU_DEP_1) | instskip(NEXT) | instid1(VALU_DEP_2)
	v_add_f32_e32 v1, v1, v29
	v_add_f32_e32 v2, v2, v53
	s_delay_alu instid0(VALU_DEP_1) | instskip(NEXT) | instid1(VALU_DEP_1)
	v_dual_add_f32 v1, v1, v13 :: v_dual_add_f32 v2, v2, v55
	v_dual_add_f32 v1, v1, v14 :: v_dual_add_f32 v2, v2, v57
	s_delay_alu instid0(VALU_DEP_1) | instskip(NEXT) | instid1(VALU_DEP_1)
	v_dual_add_f32 v1, v1, v16 :: v_dual_add_f32 v2, v2, v59
	v_add_f32_e32 v1, v1, v17
	s_delay_alu instid0(VALU_DEP_1) | instskip(NEXT) | instid1(VALU_DEP_1)
	v_dual_add_f32 v2, v2, v61 :: v_dual_add_f32 v1, v1, v32
	v_dual_add_f32 v2, v2, v63 :: v_dual_add_f32 v1, v1, v33
	s_delay_alu instid0(VALU_DEP_1) | instskip(NEXT) | instid1(VALU_DEP_1)
	v_add_f32_e32 v1, v1, v43
	v_add_f32_e32 v1, v1, v44
	s_delay_alu instid0(VALU_DEP_1) | instskip(NEXT) | instid1(VALU_DEP_1)
	v_add_f32_e32 v1, v1, v46
	v_add_f32_e32 v1, v1, v48
	;; [unrolled: 3-line block ×9, first 2 shown]
	v_add_f32_e32 v2, v2, v65
	s_delay_alu instid0(VALU_DEP_2) | instskip(NEXT) | instid1(VALU_DEP_2)
	v_add_f32_e32 v6, v6, v206
	v_add_f32_e32 v2, v2, v67
	s_delay_alu instid0(VALU_DEP_2) | instskip(NEXT) | instid1(VALU_DEP_1)
	v_add_f32_e32 v13, v6, v208
	v_dual_add_f32 v2, v2, v197 :: v_dual_add_f32 v13, v13, v210
	s_delay_alu instid0(VALU_DEP_1) | instskip(NEXT) | instid1(VALU_DEP_1)
	v_dual_add_f32 v2, v2, v199 :: v_dual_add_f32 v13, v13, v212
	v_add_f32_e32 v5, v2, v201
	s_delay_alu instid0(VALU_DEP_2) | instskip(NEXT) | instid1(VALU_DEP_2)
	v_add_f32_e32 v13, v13, v214
	v_add_f32_e32 v5, v5, v203
	s_delay_alu instid0(VALU_DEP_2) | instskip(SKIP_2) | instid1(VALU_DEP_1)
	v_dual_add_f32 v18, v13, v216 :: v_dual_fmac_f32 v231, v8, v3
	ds_load_b128 v[1:4], v25 offset:960
	v_dual_add_f32 v5, v5, v205 :: v_dual_add_f32 v18, v18, v218
	v_add_f32_e32 v14, v5, v207
	ds_load_b128 v[5:8], v25 offset:976
	v_add_f32_e32 v18, v18, v220
	v_add_f32_e32 v14, v14, v209
	s_delay_alu instid0(VALU_DEP_2) | instskip(NEXT) | instid1(VALU_DEP_2)
	v_add_f32_e32 v21, v18, v222
	v_add_f32_e32 v14, v14, v211
	s_delay_alu instid0(VALU_DEP_2) | instskip(SKIP_4) | instid1(VALU_DEP_3)
	v_add_f32_e32 v30, v21, v224
	s_wait_loadcnt_dscnt 0x1
	v_dual_mul_f32 v26, v1, v10 :: v_dual_mul_f32 v27, v3, v12
	v_mul_f32_e32 v10, v2, v10
	v_dual_mul_f32 v12, v4, v12 :: v_dual_add_f32 v17, v14, v213
	v_dual_fmac_f32 v26, v2, v9 :: v_dual_fmac_f32 v27, v4, v11
	s_delay_alu instid0(VALU_DEP_3) | instskip(NEXT) | instid1(VALU_DEP_3)
	v_fma_f32 v28, v1, v9, -v10
	v_fma_f32 v29, v3, v11, -v12
	s_clause 0x2
	scratch_load_b128 v[1:4], off, off offset:464
	scratch_load_b128 v[9:12], off, off offset:480
	;; [unrolled: 1-line block ×3, first 2 shown]
	s_wait_loadcnt_dscnt 0x200
	v_dual_add_f32 v17, v17, v215 :: v_dual_mul_f32 v32, v7, v4
	s_delay_alu instid0(VALU_DEP_1) | instskip(NEXT) | instid1(VALU_DEP_2)
	v_dual_add_f32 v17, v17, v217 :: v_dual_mul_f32 v4, v8, v4
	v_fmac_f32_e32 v32, v8, v3
	s_delay_alu instid0(VALU_DEP_2) | instskip(NEXT) | instid1(VALU_DEP_3)
	v_add_f32_e32 v17, v17, v219
	v_fma_f32 v3, v7, v3, -v4
	s_delay_alu instid0(VALU_DEP_2) | instskip(SKIP_4) | instid1(VALU_DEP_1)
	v_add_f32_e32 v22, v17, v221
	ds_load_b128 v[17:20], v25 offset:992
	v_add_f32_e32 v31, v22, v223
	ds_load_b128 v[21:24], v25 offset:1008
	v_add_f32_e32 v25, v30, v226
	v_add_f32_e32 v25, v25, v228
	s_delay_alu instid0(VALU_DEP_1) | instskip(SKIP_2) | instid1(VALU_DEP_2)
	v_add_f32_e32 v25, v25, v230
	s_wait_loadcnt_dscnt 0x101
	v_mul_f32_e32 v33, v17, v10
	v_add_f32_e32 v25, v25, v232
	v_mul_f32_e32 v34, v19, v12
	v_mul_f32_e32 v4, v20, v12
	s_wait_loadcnt_dscnt 0x0
	v_mul_f32_e32 v38, v21, v14
	v_dual_add_f32 v30, v31, v225 :: v_dual_mul_f32 v31, v5, v2
	v_dual_mul_f32 v2, v6, v2 :: v_dual_add_f32 v25, v25, v28
	v_fmac_f32_e32 v33, v18, v9
	s_delay_alu instid0(VALU_DEP_3) | instskip(NEXT) | instid1(VALU_DEP_4)
	v_add_f32_e32 v30, v30, v227
	v_fmac_f32_e32 v31, v6, v1
	s_delay_alu instid0(VALU_DEP_4) | instskip(SKIP_1) | instid1(VALU_DEP_4)
	v_fma_f32 v2, v5, v1, -v2
	v_dual_add_f32 v1, v25, v29 :: v_dual_mul_f32 v6, v18, v10
	v_add_f32_e32 v30, v30, v229
	v_fmac_f32_e32 v34, v20, v11
	v_fma_f32 v4, v19, v11, -v4
	s_delay_alu instid0(VALU_DEP_4) | instskip(NEXT) | instid1(VALU_DEP_4)
	v_dual_add_f32 v1, v1, v2 :: v_dual_mul_f32 v28, v23, v16
	v_add_f32_e32 v30, v30, v231
	s_delay_alu instid0(VALU_DEP_2) | instskip(SKIP_1) | instid1(VALU_DEP_3)
	v_dual_fmac_f32 v38, v22, v13 :: v_dual_add_f32 v1, v1, v3
	v_mul_f32_e32 v3, v22, v14
	v_add_f32_e32 v26, v30, v26
	v_fmac_f32_e32 v28, v24, v15
	s_delay_alu instid0(VALU_DEP_3) | instskip(NEXT) | instid1(VALU_DEP_3)
	v_fma_f32 v3, v21, v13, -v3
	v_add_f32_e32 v5, v26, v27
	s_delay_alu instid0(VALU_DEP_1) | instskip(SKIP_1) | instid1(VALU_DEP_1)
	v_add_f32_e32 v2, v5, v31
	v_fma_f32 v5, v17, v9, -v6
	v_dual_add_f32 v2, v2, v32 :: v_dual_add_f32 v1, v1, v5
	s_delay_alu instid0(VALU_DEP_1) | instskip(NEXT) | instid1(VALU_DEP_2)
	v_dual_mul_f32 v5, v24, v16 :: v_dual_add_f32 v2, v2, v33
	v_add_f32_e32 v1, v1, v4
	s_delay_alu instid0(VALU_DEP_2) | instskip(NEXT) | instid1(VALU_DEP_2)
	v_fma_f32 v4, v23, v15, -v5
	v_dual_add_f32 v2, v2, v34 :: v_dual_add_f32 v1, v1, v3
	s_delay_alu instid0(VALU_DEP_1) | instskip(NEXT) | instid1(VALU_DEP_1)
	v_dual_add_f32 v2, v2, v38 :: v_dual_add_f32 v1, v1, v4
	v_dual_add_f32 v2, v2, v28 :: v_dual_sub_f32 v1, v36, v1
	s_delay_alu instid0(VALU_DEP_1)
	v_sub_f32_e32 v2, v37, v2
	scratch_store_b64 off, v[1:2], off offset:88
	v_cmpx_lt_u32_e32 10, v0
	s_cbranch_execz .LBB63_377
; %bb.376:
	scratch_load_b64 v[1:2], off, off offset:80
	v_mov_b32_e32 v3, 0
	s_delay_alu instid0(VALU_DEP_1)
	v_mov_b32_e32 v4, v3
	scratch_store_b64 off, v[3:4], off offset:80
	s_wait_loadcnt 0x0
	ds_store_b64 v35, v[1:2]
.LBB63_377:
	s_wait_alu 0xfffe
	s_or_b32 exec_lo, exec_lo, s0
	s_wait_storecnt_dscnt 0x0
	s_barrier_signal -1
	s_barrier_wait -1
	global_inv scope:SCOPE_SE
	s_clause 0x4
	scratch_load_b128 v[5:8], off, off offset:88
	scratch_load_b128 v[1:4], off, off offset:104
	;; [unrolled: 1-line block ×5, first 2 shown]
	v_mov_b32_e32 v25, 0
	ds_load_2addr_b64 v[21:24], v25 offset0:75 offset1:76
	ds_load_2addr_b64 v[26:29], v25 offset0:77 offset1:78
	ds_load_2addr_b64 v[30:33], v25 offset0:79 offset1:80
	scratch_load_b64 v[36:37], off, off offset:80
	s_mov_b32 s0, exec_lo
	s_wait_loadcnt_dscnt 0x502
	v_mul_f32_e32 v34, v21, v6
	v_mul_f32_e32 v38, v23, v8
	s_wait_loadcnt_dscnt 0x300
	v_dual_mul_f32 v8, v24, v8 :: v_dual_mul_f32 v39, v30, v10
	v_mul_f32_e32 v6, v22, v6
	v_fmac_f32_e32 v34, v22, v5
	v_mul_f32_e32 v40, v32, v12
	s_delay_alu instid0(VALU_DEP_4) | instskip(SKIP_2) | instid1(VALU_DEP_2)
	v_fma_f32 v22, v23, v7, -v8
	v_dual_mul_f32 v23, v26, v2 :: v_dual_fmac_f32 v38, v24, v7
	v_dual_fmac_f32 v39, v31, v9 :: v_dual_mul_f32 v24, v28, v4
	v_dual_mul_f32 v4, v29, v4 :: v_dual_fmac_f32 v23, v27, v1
	v_fma_f32 v21, v21, v5, -v6
	ds_load_2addr_b64 v[5:8], v25 offset0:81 offset1:82
	v_mul_f32_e32 v10, v31, v10
	v_mul_f32_e32 v12, v33, v12
	;; [unrolled: 1-line block ×3, first 2 shown]
	v_fmac_f32_e32 v24, v29, v3
	v_fma_f32 v27, v28, v3, -v4
	v_fmac_f32_e32 v40, v33, v11
	v_fma_f32 v28, v30, v9, -v10
	v_fma_f32 v29, v32, v11, -v12
	ds_load_2addr_b64 v[9:12], v25 offset0:83 offset1:84
	s_wait_loadcnt_dscnt 0x201
	v_dual_mul_f32 v31, v7, v16 :: v_dual_mul_f32 v30, v5, v14
	v_mul_f32_e32 v14, v6, v14
	v_mul_f32_e32 v16, v8, v16
	s_delay_alu instid0(VALU_DEP_3)
	v_fmac_f32_e32 v31, v8, v15
	v_fma_f32 v26, v26, v1, -v2
	scratch_load_b128 v[1:4], off, off offset:168
	v_fmac_f32_e32 v30, v6, v13
	v_fma_f32 v13, v5, v13, -v14
	v_fma_f32 v14, v7, v15, -v16
	s_wait_loadcnt_dscnt 0x200
	v_mul_f32_e32 v15, v9, v18
	v_mul_f32_e32 v16, v10, v18
	v_mul_f32_e32 v18, v11, v20
	v_mul_f32_e32 v20, v12, v20
	ds_load_2addr_b64 v[5:8], v25 offset0:85 offset1:86
	v_fmac_f32_e32 v15, v10, v17
	v_fma_f32 v16, v9, v17, -v16
	v_fmac_f32_e32 v18, v12, v19
	v_fma_f32 v17, v11, v19, -v20
	scratch_load_b128 v[9:12], off, off offset:184
	s_wait_loadcnt_dscnt 0x100
	v_mul_f32_e32 v19, v5, v2
	v_mul_f32_e32 v2, v6, v2
	;; [unrolled: 1-line block ×3, first 2 shown]
	s_delay_alu instid0(VALU_DEP_3) | instskip(NEXT) | instid1(VALU_DEP_3)
	v_dual_mul_f32 v4, v8, v4 :: v_dual_fmac_f32 v19, v6, v1
	v_fma_f32 v32, v5, v1, -v2
	s_delay_alu instid0(VALU_DEP_3) | instskip(NEXT) | instid1(VALU_DEP_3)
	v_fmac_f32_e32 v20, v8, v3
	v_fma_f32 v33, v7, v3, -v4
	ds_load_2addr_b64 v[1:4], v25 offset0:87 offset1:88
	ds_load_2addr_b64 v[5:8], v25 offset0:89 offset1:90
	s_wait_loadcnt_dscnt 0x1
	v_mul_f32_e32 v41, v1, v10
	v_mul_f32_e32 v10, v2, v10
	s_delay_alu instid0(VALU_DEP_2) | instskip(NEXT) | instid1(VALU_DEP_2)
	v_dual_mul_f32 v42, v3, v12 :: v_dual_fmac_f32 v41, v2, v9
	v_fma_f32 v43, v1, v9, -v10
	v_mul_f32_e32 v1, v4, v12
	s_delay_alu instid0(VALU_DEP_3) | instskip(NEXT) | instid1(VALU_DEP_2)
	v_fmac_f32_e32 v42, v4, v11
	v_fma_f32 v44, v3, v11, -v1
	s_clause 0x1
	scratch_load_b128 v[1:4], off, off offset:200
	scratch_load_b128 v[9:12], off, off offset:216
	s_wait_loadcnt_dscnt 0x100
	v_mul_f32_e32 v45, v5, v2
	v_dual_mul_f32 v2, v6, v2 :: v_dual_mul_f32 v47, v7, v4
	s_delay_alu instid0(VALU_DEP_2) | instskip(NEXT) | instid1(VALU_DEP_2)
	v_fmac_f32_e32 v45, v6, v1
	v_fma_f32 v46, v5, v1, -v2
	v_mul_f32_e32 v1, v8, v4
	s_delay_alu instid0(VALU_DEP_4) | instskip(NEXT) | instid1(VALU_DEP_2)
	v_fmac_f32_e32 v47, v8, v3
	v_fma_f32 v48, v7, v3, -v1
	ds_load_2addr_b64 v[1:4], v25 offset0:91 offset1:92
	ds_load_2addr_b64 v[5:8], v25 offset0:93 offset1:94
	s_wait_loadcnt_dscnt 0x1
	v_mul_f32_e32 v49, v1, v10
	v_mul_f32_e32 v51, v3, v12
	s_delay_alu instid0(VALU_DEP_2) | instskip(NEXT) | instid1(VALU_DEP_2)
	v_fmac_f32_e32 v49, v2, v9
	v_dual_mul_f32 v2, v2, v10 :: v_dual_fmac_f32 v51, v4, v11
	s_delay_alu instid0(VALU_DEP_1) | instskip(SKIP_1) | instid1(VALU_DEP_1)
	v_fma_f32 v50, v1, v9, -v2
	v_mul_f32_e32 v1, v4, v12
	v_fma_f32 v52, v3, v11, -v1
	s_clause 0x1
	scratch_load_b128 v[1:4], off, off offset:232
	scratch_load_b128 v[9:12], off, off offset:248
	s_wait_loadcnt_dscnt 0x100
	v_mul_f32_e32 v53, v5, v2
	v_dual_mul_f32 v2, v6, v2 :: v_dual_mul_f32 v55, v7, v4
	s_delay_alu instid0(VALU_DEP_2) | instskip(NEXT) | instid1(VALU_DEP_2)
	v_fmac_f32_e32 v53, v6, v1
	v_fma_f32 v54, v5, v1, -v2
	v_mul_f32_e32 v1, v8, v4
	s_delay_alu instid0(VALU_DEP_4) | instskip(NEXT) | instid1(VALU_DEP_2)
	v_fmac_f32_e32 v55, v8, v3
	v_fma_f32 v56, v7, v3, -v1
	ds_load_2addr_b64 v[1:4], v25 offset0:95 offset1:96
	ds_load_2addr_b64 v[5:8], v25 offset0:97 offset1:98
	s_wait_loadcnt_dscnt 0x1
	v_mul_f32_e32 v57, v1, v10
	v_mul_f32_e32 v59, v3, v12
	s_delay_alu instid0(VALU_DEP_2) | instskip(NEXT) | instid1(VALU_DEP_2)
	v_fmac_f32_e32 v57, v2, v9
	v_dual_mul_f32 v2, v2, v10 :: v_dual_fmac_f32 v59, v4, v11
	s_delay_alu instid0(VALU_DEP_1) | instskip(SKIP_1) | instid1(VALU_DEP_1)
	v_fma_f32 v58, v1, v9, -v2
	v_mul_f32_e32 v1, v4, v12
	v_fma_f32 v60, v3, v11, -v1
	s_clause 0x1
	scratch_load_b128 v[1:4], off, off offset:264
	scratch_load_b128 v[9:12], off, off offset:280
	s_wait_loadcnt_dscnt 0x100
	v_mul_f32_e32 v61, v5, v2
	v_dual_mul_f32 v2, v6, v2 :: v_dual_mul_f32 v63, v7, v4
	s_delay_alu instid0(VALU_DEP_2) | instskip(NEXT) | instid1(VALU_DEP_2)
	v_fmac_f32_e32 v61, v6, v1
	v_fma_f32 v62, v5, v1, -v2
	v_mul_f32_e32 v1, v8, v4
	s_delay_alu instid0(VALU_DEP_4) | instskip(NEXT) | instid1(VALU_DEP_2)
	v_fmac_f32_e32 v63, v8, v3
	v_fma_f32 v64, v7, v3, -v1
	ds_load_2addr_b64 v[1:4], v25 offset0:99 offset1:100
	ds_load_2addr_b64 v[5:8], v25 offset0:101 offset1:102
	s_wait_loadcnt_dscnt 0x1
	v_mul_f32_e32 v65, v1, v10
	v_mul_f32_e32 v67, v3, v12
	s_delay_alu instid0(VALU_DEP_2) | instskip(NEXT) | instid1(VALU_DEP_2)
	v_fmac_f32_e32 v65, v2, v9
	v_dual_mul_f32 v2, v2, v10 :: v_dual_fmac_f32 v67, v4, v11
	s_delay_alu instid0(VALU_DEP_1) | instskip(SKIP_1) | instid1(VALU_DEP_1)
	v_fma_f32 v66, v1, v9, -v2
	v_mul_f32_e32 v1, v4, v12
	v_fma_f32 v68, v3, v11, -v1
	s_clause 0x1
	scratch_load_b128 v[1:4], off, off offset:296
	scratch_load_b128 v[9:12], off, off offset:312
	s_wait_loadcnt_dscnt 0x100
	v_mul_f32_e32 v197, v5, v2
	v_dual_mul_f32 v2, v6, v2 :: v_dual_mul_f32 v199, v7, v4
	s_delay_alu instid0(VALU_DEP_2) | instskip(NEXT) | instid1(VALU_DEP_2)
	v_fmac_f32_e32 v197, v6, v1
	v_fma_f32 v198, v5, v1, -v2
	v_mul_f32_e32 v1, v8, v4
	s_delay_alu instid0(VALU_DEP_4) | instskip(NEXT) | instid1(VALU_DEP_2)
	v_fmac_f32_e32 v199, v8, v3
	v_fma_f32 v200, v7, v3, -v1
	ds_load_2addr_b64 v[1:4], v25 offset0:103 offset1:104
	ds_load_2addr_b64 v[5:8], v25 offset0:105 offset1:106
	s_wait_loadcnt_dscnt 0x1
	v_mul_f32_e32 v201, v1, v10
	v_mul_f32_e32 v203, v3, v12
	s_delay_alu instid0(VALU_DEP_2) | instskip(NEXT) | instid1(VALU_DEP_2)
	v_fmac_f32_e32 v201, v2, v9
	v_dual_mul_f32 v2, v2, v10 :: v_dual_fmac_f32 v203, v4, v11
	s_delay_alu instid0(VALU_DEP_1) | instskip(SKIP_1) | instid1(VALU_DEP_1)
	v_fma_f32 v202, v1, v9, -v2
	v_mul_f32_e32 v1, v4, v12
	v_fma_f32 v204, v3, v11, -v1
	s_clause 0x1
	scratch_load_b128 v[1:4], off, off offset:328
	scratch_load_b128 v[9:12], off, off offset:344
	s_wait_loadcnt_dscnt 0x100
	v_mul_f32_e32 v205, v5, v2
	v_dual_mul_f32 v2, v6, v2 :: v_dual_mul_f32 v207, v7, v4
	s_delay_alu instid0(VALU_DEP_2) | instskip(NEXT) | instid1(VALU_DEP_2)
	v_fmac_f32_e32 v205, v6, v1
	v_fma_f32 v206, v5, v1, -v2
	v_mul_f32_e32 v1, v8, v4
	s_delay_alu instid0(VALU_DEP_4) | instskip(NEXT) | instid1(VALU_DEP_2)
	v_fmac_f32_e32 v207, v8, v3
	v_fma_f32 v208, v7, v3, -v1
	ds_load_2addr_b64 v[1:4], v25 offset0:107 offset1:108
	ds_load_2addr_b64 v[5:8], v25 offset0:109 offset1:110
	s_wait_loadcnt_dscnt 0x1
	v_mul_f32_e32 v209, v1, v10
	v_mul_f32_e32 v211, v3, v12
	s_delay_alu instid0(VALU_DEP_2) | instskip(NEXT) | instid1(VALU_DEP_2)
	v_fmac_f32_e32 v209, v2, v9
	v_dual_mul_f32 v2, v2, v10 :: v_dual_fmac_f32 v211, v4, v11
	s_delay_alu instid0(VALU_DEP_1) | instskip(SKIP_1) | instid1(VALU_DEP_1)
	v_fma_f32 v210, v1, v9, -v2
	v_mul_f32_e32 v1, v4, v12
	v_fma_f32 v212, v3, v11, -v1
	s_clause 0x1
	scratch_load_b128 v[1:4], off, off offset:360
	scratch_load_b128 v[9:12], off, off offset:376
	s_wait_loadcnt_dscnt 0x100
	v_mul_f32_e32 v213, v5, v2
	v_dual_mul_f32 v2, v6, v2 :: v_dual_mul_f32 v215, v7, v4
	s_delay_alu instid0(VALU_DEP_2) | instskip(NEXT) | instid1(VALU_DEP_2)
	v_fmac_f32_e32 v213, v6, v1
	v_fma_f32 v214, v5, v1, -v2
	v_mul_f32_e32 v1, v8, v4
	s_delay_alu instid0(VALU_DEP_4) | instskip(NEXT) | instid1(VALU_DEP_2)
	v_fmac_f32_e32 v215, v8, v3
	v_fma_f32 v216, v7, v3, -v1
	ds_load_2addr_b64 v[1:4], v25 offset0:111 offset1:112
	ds_load_2addr_b64 v[5:8], v25 offset0:113 offset1:114
	s_wait_loadcnt_dscnt 0x1
	v_mul_f32_e32 v217, v1, v10
	v_mul_f32_e32 v219, v3, v12
	s_delay_alu instid0(VALU_DEP_2) | instskip(NEXT) | instid1(VALU_DEP_2)
	v_fmac_f32_e32 v217, v2, v9
	v_dual_mul_f32 v2, v2, v10 :: v_dual_fmac_f32 v219, v4, v11
	s_delay_alu instid0(VALU_DEP_1) | instskip(SKIP_1) | instid1(VALU_DEP_1)
	v_fma_f32 v218, v1, v9, -v2
	v_mul_f32_e32 v1, v4, v12
	v_fma_f32 v220, v3, v11, -v1
	s_clause 0x1
	scratch_load_b128 v[1:4], off, off offset:392
	scratch_load_b128 v[9:12], off, off offset:408
	s_wait_loadcnt_dscnt 0x100
	v_mul_f32_e32 v221, v5, v2
	v_dual_mul_f32 v2, v6, v2 :: v_dual_mul_f32 v223, v7, v4
	s_delay_alu instid0(VALU_DEP_2) | instskip(NEXT) | instid1(VALU_DEP_2)
	v_fmac_f32_e32 v221, v6, v1
	v_fma_f32 v222, v5, v1, -v2
	v_mul_f32_e32 v1, v8, v4
	s_delay_alu instid0(VALU_DEP_4) | instskip(NEXT) | instid1(VALU_DEP_2)
	v_fmac_f32_e32 v223, v8, v3
	v_fma_f32 v224, v7, v3, -v1
	ds_load_2addr_b64 v[1:4], v25 offset0:115 offset1:116
	ds_load_2addr_b64 v[5:8], v25 offset0:117 offset1:118
	s_wait_loadcnt_dscnt 0x1
	v_mul_f32_e32 v225, v1, v10
	v_mul_f32_e32 v227, v3, v12
	s_delay_alu instid0(VALU_DEP_2) | instskip(NEXT) | instid1(VALU_DEP_2)
	v_fmac_f32_e32 v225, v2, v9
	v_dual_mul_f32 v2, v2, v10 :: v_dual_fmac_f32 v227, v4, v11
	s_delay_alu instid0(VALU_DEP_1) | instskip(SKIP_1) | instid1(VALU_DEP_1)
	v_fma_f32 v226, v1, v9, -v2
	v_mul_f32_e32 v1, v4, v12
	v_fma_f32 v228, v3, v11, -v1
	s_clause 0x1
	scratch_load_b128 v[1:4], off, off offset:424
	scratch_load_b128 v[9:12], off, off offset:440
	s_wait_loadcnt_dscnt 0x100
	v_mul_f32_e32 v229, v5, v2
	v_dual_mul_f32 v2, v6, v2 :: v_dual_mul_f32 v231, v7, v4
	s_delay_alu instid0(VALU_DEP_2) | instskip(NEXT) | instid1(VALU_DEP_2)
	v_fmac_f32_e32 v229, v6, v1
	v_fma_f32 v230, v5, v1, -v2
	v_add_f32_e32 v2, 0, v34
	s_delay_alu instid0(VALU_DEP_1) | instskip(NEXT) | instid1(VALU_DEP_1)
	v_add_f32_e32 v2, v2, v38
	v_add_f32_e32 v2, v2, v23
	s_delay_alu instid0(VALU_DEP_1) | instskip(NEXT) | instid1(VALU_DEP_1)
	v_add_f32_e32 v2, v2, v24
	;; [unrolled: 3-line block ×6, first 2 shown]
	v_dual_mul_f32 v1, v8, v4 :: v_dual_add_f32 v2, v2, v41
	s_delay_alu instid0(VALU_DEP_1) | instskip(NEXT) | instid1(VALU_DEP_2)
	v_fma_f32 v232, v7, v3, -v1
	v_dual_add_f32 v1, 0, v21 :: v_dual_add_f32 v2, v2, v42
	s_delay_alu instid0(VALU_DEP_1) | instskip(NEXT) | instid1(VALU_DEP_1)
	v_dual_add_f32 v1, v1, v22 :: v_dual_add_f32 v2, v2, v45
	v_dual_add_f32 v1, v1, v26 :: v_dual_add_f32 v2, v2, v47
	s_delay_alu instid0(VALU_DEP_1) | instskip(SKIP_2) | instid1(VALU_DEP_1)
	v_add_f32_e32 v1, v1, v27
	scratch_load_b64 v[26:27], off, off offset:504
	v_dual_add_f32 v2, v2, v49 :: v_dual_add_f32 v1, v1, v28
	v_dual_add_f32 v2, v2, v51 :: v_dual_add_f32 v1, v1, v29
	s_delay_alu instid0(VALU_DEP_1) | instskip(NEXT) | instid1(VALU_DEP_1)
	v_add_f32_e32 v2, v2, v53
	v_dual_add_f32 v1, v1, v13 :: v_dual_add_f32 v2, v2, v55
	s_delay_alu instid0(VALU_DEP_1) | instskip(NEXT) | instid1(VALU_DEP_1)
	v_dual_add_f32 v1, v1, v14 :: v_dual_add_f32 v2, v2, v57
	v_dual_add_f32 v1, v1, v16 :: v_dual_add_f32 v2, v2, v59
	s_delay_alu instid0(VALU_DEP_1) | instskip(NEXT) | instid1(VALU_DEP_1)
	v_add_f32_e32 v1, v1, v17
	v_add_f32_e32 v1, v1, v32
	s_delay_alu instid0(VALU_DEP_1) | instskip(NEXT) | instid1(VALU_DEP_1)
	v_add_f32_e32 v1, v1, v33
	v_add_f32_e32 v1, v1, v43
	;; [unrolled: 3-line block ×10, first 2 shown]
	s_delay_alu instid0(VALU_DEP_1) | instskip(SKIP_1) | instid1(VALU_DEP_2)
	v_add_f32_e32 v6, v1, v204
	v_add_f32_e32 v2, v2, v61
	;; [unrolled: 1-line block ×3, first 2 shown]
	s_delay_alu instid0(VALU_DEP_2) | instskip(NEXT) | instid1(VALU_DEP_2)
	v_add_f32_e32 v2, v2, v63
	v_add_f32_e32 v13, v6, v208
	s_delay_alu instid0(VALU_DEP_1) | instskip(NEXT) | instid1(VALU_DEP_1)
	v_dual_add_f32 v2, v2, v65 :: v_dual_add_f32 v13, v13, v210
	v_dual_add_f32 v2, v2, v67 :: v_dual_add_f32 v13, v13, v212
	s_delay_alu instid0(VALU_DEP_1) | instskip(NEXT) | instid1(VALU_DEP_1)
	v_dual_add_f32 v2, v2, v197 :: v_dual_add_f32 v13, v13, v214
	v_add_f32_e32 v2, v2, v199
	s_delay_alu instid0(VALU_DEP_2) | instskip(NEXT) | instid1(VALU_DEP_2)
	v_dual_add_f32 v18, v13, v216 :: v_dual_fmac_f32 v231, v8, v3
	v_add_f32_e32 v5, v2, v201
	ds_load_2addr_b64 v[1:4], v25 offset0:119 offset1:120
	v_dual_add_f32 v18, v18, v218 :: v_dual_add_f32 v5, v5, v203
	s_delay_alu instid0(VALU_DEP_1) | instskip(NEXT) | instid1(VALU_DEP_1)
	v_dual_add_f32 v18, v18, v220 :: v_dual_add_f32 v5, v5, v205
	v_add_f32_e32 v18, v18, v222
	s_delay_alu instid0(VALU_DEP_2)
	v_add_f32_e32 v14, v5, v207
	ds_load_2addr_b64 v[5:8], v25 offset0:121 offset1:122
	v_add_f32_e32 v18, v18, v224
	s_wait_loadcnt_dscnt 0x101
	v_mul_f32_e32 v30, v1, v10
	v_dual_mul_f32 v10, v2, v10 :: v_dual_mul_f32 v31, v3, v12
	v_mul_f32_e32 v12, v4, v12
	v_add_f32_e32 v28, v18, v226
	s_delay_alu instid0(VALU_DEP_4) | instskip(NEXT) | instid1(VALU_DEP_4)
	v_fmac_f32_e32 v30, v2, v9
	v_fma_f32 v32, v1, v9, -v10
	v_fmac_f32_e32 v31, v4, v11
	v_fma_f32 v33, v3, v11, -v12
	s_clause 0x1
	scratch_load_b128 v[1:4], off, off offset:456
	scratch_load_b128 v[9:12], off, off offset:472
	v_add_f32_e32 v34, v28, v228
	v_add_f32_e32 v14, v14, v209
	s_delay_alu instid0(VALU_DEP_2) | instskip(NEXT) | instid1(VALU_DEP_2)
	v_add_f32_e32 v34, v34, v230
	v_add_f32_e32 v14, v14, v211
	s_delay_alu instid0(VALU_DEP_2) | instskip(NEXT) | instid1(VALU_DEP_2)
	v_add_f32_e32 v34, v34, v232
	v_add_f32_e32 v17, v14, v213
	scratch_load_b128 v[13:16], off, off offset:488
	v_dual_add_f32 v32, v34, v32 :: v_dual_add_f32 v17, v17, v215
	s_delay_alu instid0(VALU_DEP_1) | instskip(SKIP_1) | instid1(VALU_DEP_2)
	v_add_f32_e32 v32, v32, v33
	s_wait_loadcnt_dscnt 0x200
	v_dual_mul_f32 v40, v7, v4 :: v_dual_add_f32 v17, v17, v217
	v_dual_mul_f32 v4, v8, v4 :: v_dual_mul_f32 v39, v5, v2
	v_mul_f32_e32 v2, v6, v2
	s_delay_alu instid0(VALU_DEP_3) | instskip(NEXT) | instid1(VALU_DEP_4)
	v_fmac_f32_e32 v40, v8, v3
	v_add_f32_e32 v17, v17, v219
	s_delay_alu instid0(VALU_DEP_4) | instskip(NEXT) | instid1(VALU_DEP_4)
	v_fmac_f32_e32 v39, v6, v1
	v_fma_f32 v2, v5, v1, -v2
	v_fma_f32 v1, v7, v3, -v4
	s_delay_alu instid0(VALU_DEP_2) | instskip(NEXT) | instid1(VALU_DEP_1)
	v_dual_add_f32 v17, v17, v221 :: v_dual_add_f32 v2, v32, v2
	v_add_f32_e32 v21, v17, v223
	ds_load_2addr_b64 v[17:20], v25 offset0:123 offset1:124
	v_add_f32_e32 v1, v2, v1
	v_add_f32_e32 v29, v21, v225
	ds_load_2addr_b64 v[21:24], v25 offset0:125 offset1:126
	v_add_f32_e32 v38, v29, v227
	ds_load_b64 v[28:29], v25 offset:1016
	v_add_f32_e32 v38, v38, v229
	s_delay_alu instid0(VALU_DEP_1) | instskip(SKIP_3) | instid1(VALU_DEP_3)
	v_add_f32_e32 v38, v38, v231
	s_wait_loadcnt_dscnt 0x102
	v_mul_f32_e32 v34, v17, v10
	v_mul_f32_e32 v3, v18, v10
	v_dual_mul_f32 v5, v20, v12 :: v_dual_add_f32 v30, v38, v30
	v_mul_f32_e32 v38, v19, v12
	s_delay_alu instid0(VALU_DEP_4) | instskip(NEXT) | instid1(VALU_DEP_4)
	v_fmac_f32_e32 v34, v18, v9
	v_fma_f32 v3, v17, v9, -v3
	s_wait_loadcnt_dscnt 0x1
	v_dual_mul_f32 v41, v21, v14 :: v_dual_add_f32 v30, v30, v31
	v_fmac_f32_e32 v38, v20, v11
	v_fma_f32 v5, v19, v11, -v5
	v_add_f32_e32 v1, v1, v3
	s_delay_alu instid0(VALU_DEP_4) | instskip(SKIP_2) | instid1(VALU_DEP_4)
	v_dual_mul_f32 v33, v23, v16 :: v_dual_add_f32 v4, v30, v39
	v_mul_f32_e32 v3, v24, v16
	v_fmac_f32_e32 v41, v22, v13
	v_add_f32_e32 v1, v1, v5
	s_wait_dscnt 0x0
	v_mul_f32_e32 v31, v28, v27
	v_add_f32_e32 v2, v4, v40
	v_dual_mul_f32 v4, v22, v14 :: v_dual_mul_f32 v5, v29, v27
	v_fmac_f32_e32 v33, v24, v15
	v_fma_f32 v3, v23, v15, -v3
	s_delay_alu instid0(VALU_DEP_4) | instskip(NEXT) | instid1(VALU_DEP_4)
	v_add_f32_e32 v2, v2, v34
	v_fma_f32 v4, v21, v13, -v4
	v_fmac_f32_e32 v31, v29, v26
	s_delay_alu instid0(VALU_DEP_2) | instskip(SKIP_1) | instid1(VALU_DEP_2)
	v_dual_add_f32 v2, v2, v38 :: v_dual_add_f32 v1, v1, v4
	v_fma_f32 v4, v28, v26, -v5
	v_dual_add_f32 v2, v2, v41 :: v_dual_add_f32 v1, v1, v3
	s_delay_alu instid0(VALU_DEP_1) | instskip(NEXT) | instid1(VALU_DEP_1)
	v_dual_add_f32 v2, v2, v33 :: v_dual_add_f32 v1, v1, v4
	v_dual_add_f32 v2, v2, v31 :: v_dual_sub_f32 v1, v36, v1
	s_delay_alu instid0(VALU_DEP_1)
	v_sub_f32_e32 v2, v37, v2
	scratch_store_b64 off, v[1:2], off offset:80
	v_cmpx_lt_u32_e32 9, v0
	s_cbranch_execz .LBB63_379
; %bb.378:
	scratch_load_b64 v[1:2], off, off offset:72
	v_mov_b32_e32 v26, v25
	scratch_store_b64 off, v[25:26], off offset:72
	s_wait_loadcnt 0x0
	ds_store_b64 v35, v[1:2]
.LBB63_379:
	s_wait_alu 0xfffe
	s_or_b32 exec_lo, exec_lo, s0
	s_wait_storecnt_dscnt 0x0
	s_barrier_signal -1
	s_barrier_wait -1
	global_inv scope:SCOPE_SE
	s_clause 0x4
	scratch_load_b128 v[5:8], off, off offset:80
	scratch_load_b128 v[1:4], off, off offset:96
	;; [unrolled: 1-line block ×5, first 2 shown]
	ds_load_b128 v[21:24], v25 offset:592
	ds_load_b128 v[26:29], v25 offset:608
	;; [unrolled: 1-line block ×3, first 2 shown]
	scratch_load_b64 v[36:37], off, off offset:72
	s_mov_b32 s0, exec_lo
	s_wait_loadcnt_dscnt 0x502
	v_mul_f32_e32 v34, v21, v6
	v_mul_f32_e32 v38, v23, v8
	s_wait_loadcnt_dscnt 0x300
	v_dual_mul_f32 v8, v24, v8 :: v_dual_mul_f32 v39, v30, v10
	v_mul_f32_e32 v6, v22, v6
	v_fmac_f32_e32 v34, v22, v5
	v_mul_f32_e32 v40, v32, v12
	s_delay_alu instid0(VALU_DEP_4)
	v_fma_f32 v22, v23, v7, -v8
	v_dual_mul_f32 v23, v26, v2 :: v_dual_fmac_f32 v38, v24, v7
	v_fmac_f32_e32 v39, v31, v9
	v_fma_f32 v21, v21, v5, -v6
	ds_load_b128 v[5:8], v25 offset:640
	v_mul_f32_e32 v24, v28, v4
	v_mul_f32_e32 v4, v29, v4
	;; [unrolled: 1-line block ×5, first 2 shown]
	v_dual_fmac_f32 v23, v27, v1 :: v_dual_fmac_f32 v24, v29, v3
	v_fma_f32 v27, v28, v3, -v4
	v_fmac_f32_e32 v40, v33, v11
	v_fma_f32 v28, v30, v9, -v10
	v_fma_f32 v29, v32, v11, -v12
	ds_load_b128 v[9:12], v25 offset:656
	s_wait_loadcnt_dscnt 0x201
	v_dual_mul_f32 v31, v7, v16 :: v_dual_mul_f32 v30, v5, v14
	v_mul_f32_e32 v14, v6, v14
	v_mul_f32_e32 v16, v8, v16
	s_delay_alu instid0(VALU_DEP_3)
	v_fmac_f32_e32 v31, v8, v15
	v_fma_f32 v26, v26, v1, -v2
	scratch_load_b128 v[1:4], off, off offset:160
	v_fmac_f32_e32 v30, v6, v13
	v_fma_f32 v13, v5, v13, -v14
	v_fma_f32 v14, v7, v15, -v16
	ds_load_b128 v[5:8], v25 offset:672
	s_wait_loadcnt_dscnt 0x201
	v_mul_f32_e32 v15, v9, v18
	v_mul_f32_e32 v16, v10, v18
	;; [unrolled: 1-line block ×3, first 2 shown]
	s_delay_alu instid0(VALU_DEP_3) | instskip(NEXT) | instid1(VALU_DEP_3)
	v_dual_mul_f32 v20, v12, v20 :: v_dual_fmac_f32 v15, v10, v17
	v_fma_f32 v16, v9, v17, -v16
	s_delay_alu instid0(VALU_DEP_3) | instskip(NEXT) | instid1(VALU_DEP_3)
	v_fmac_f32_e32 v18, v12, v19
	v_fma_f32 v17, v11, v19, -v20
	scratch_load_b128 v[9:12], off, off offset:176
	s_wait_loadcnt_dscnt 0x100
	v_mul_f32_e32 v19, v5, v2
	v_mul_f32_e32 v2, v6, v2
	;; [unrolled: 1-line block ×3, first 2 shown]
	s_delay_alu instid0(VALU_DEP_3) | instskip(NEXT) | instid1(VALU_DEP_3)
	v_dual_mul_f32 v4, v8, v4 :: v_dual_fmac_f32 v19, v6, v1
	v_fma_f32 v32, v5, v1, -v2
	s_delay_alu instid0(VALU_DEP_3) | instskip(NEXT) | instid1(VALU_DEP_3)
	v_fmac_f32_e32 v20, v8, v3
	v_fma_f32 v33, v7, v3, -v4
	ds_load_b128 v[1:4], v25 offset:688
	ds_load_b128 v[5:8], v25 offset:704
	s_wait_loadcnt_dscnt 0x1
	v_mul_f32_e32 v41, v1, v10
	v_mul_f32_e32 v10, v2, v10
	s_delay_alu instid0(VALU_DEP_2) | instskip(NEXT) | instid1(VALU_DEP_2)
	v_dual_mul_f32 v42, v3, v12 :: v_dual_fmac_f32 v41, v2, v9
	v_fma_f32 v43, v1, v9, -v10
	v_mul_f32_e32 v1, v4, v12
	s_delay_alu instid0(VALU_DEP_3) | instskip(NEXT) | instid1(VALU_DEP_2)
	v_fmac_f32_e32 v42, v4, v11
	v_fma_f32 v44, v3, v11, -v1
	s_clause 0x1
	scratch_load_b128 v[1:4], off, off offset:192
	scratch_load_b128 v[9:12], off, off offset:208
	s_wait_loadcnt_dscnt 0x100
	v_mul_f32_e32 v45, v5, v2
	v_dual_mul_f32 v2, v6, v2 :: v_dual_mul_f32 v47, v7, v4
	s_delay_alu instid0(VALU_DEP_2) | instskip(NEXT) | instid1(VALU_DEP_2)
	v_fmac_f32_e32 v45, v6, v1
	v_fma_f32 v46, v5, v1, -v2
	v_mul_f32_e32 v1, v8, v4
	s_delay_alu instid0(VALU_DEP_4) | instskip(NEXT) | instid1(VALU_DEP_2)
	v_fmac_f32_e32 v47, v8, v3
	v_fma_f32 v48, v7, v3, -v1
	ds_load_b128 v[1:4], v25 offset:720
	ds_load_b128 v[5:8], v25 offset:736
	s_wait_loadcnt_dscnt 0x1
	v_mul_f32_e32 v49, v1, v10
	v_mul_f32_e32 v51, v3, v12
	s_delay_alu instid0(VALU_DEP_2) | instskip(NEXT) | instid1(VALU_DEP_2)
	v_fmac_f32_e32 v49, v2, v9
	v_dual_mul_f32 v2, v2, v10 :: v_dual_fmac_f32 v51, v4, v11
	s_delay_alu instid0(VALU_DEP_1) | instskip(SKIP_1) | instid1(VALU_DEP_1)
	v_fma_f32 v50, v1, v9, -v2
	v_mul_f32_e32 v1, v4, v12
	v_fma_f32 v52, v3, v11, -v1
	s_clause 0x1
	scratch_load_b128 v[1:4], off, off offset:224
	scratch_load_b128 v[9:12], off, off offset:240
	s_wait_loadcnt_dscnt 0x100
	v_mul_f32_e32 v53, v5, v2
	v_dual_mul_f32 v2, v6, v2 :: v_dual_mul_f32 v55, v7, v4
	s_delay_alu instid0(VALU_DEP_2) | instskip(NEXT) | instid1(VALU_DEP_2)
	v_fmac_f32_e32 v53, v6, v1
	v_fma_f32 v54, v5, v1, -v2
	v_mul_f32_e32 v1, v8, v4
	s_delay_alu instid0(VALU_DEP_4) | instskip(NEXT) | instid1(VALU_DEP_2)
	v_fmac_f32_e32 v55, v8, v3
	v_fma_f32 v56, v7, v3, -v1
	ds_load_b128 v[1:4], v25 offset:752
	ds_load_b128 v[5:8], v25 offset:768
	s_wait_loadcnt_dscnt 0x1
	v_mul_f32_e32 v57, v1, v10
	v_mul_f32_e32 v59, v3, v12
	s_delay_alu instid0(VALU_DEP_2) | instskip(NEXT) | instid1(VALU_DEP_2)
	v_fmac_f32_e32 v57, v2, v9
	v_dual_mul_f32 v2, v2, v10 :: v_dual_fmac_f32 v59, v4, v11
	s_delay_alu instid0(VALU_DEP_1) | instskip(SKIP_1) | instid1(VALU_DEP_1)
	v_fma_f32 v58, v1, v9, -v2
	v_mul_f32_e32 v1, v4, v12
	;; [unrolled: 25-line block ×7, first 2 shown]
	v_fma_f32 v228, v3, v11, -v1
	s_clause 0x1
	scratch_load_b128 v[1:4], off, off offset:416
	scratch_load_b128 v[9:12], off, off offset:432
	s_wait_loadcnt_dscnt 0x100
	v_mul_f32_e32 v229, v5, v2
	v_dual_mul_f32 v2, v6, v2 :: v_dual_mul_f32 v231, v7, v4
	s_delay_alu instid0(VALU_DEP_2) | instskip(NEXT) | instid1(VALU_DEP_2)
	v_fmac_f32_e32 v229, v6, v1
	v_fma_f32 v230, v5, v1, -v2
	v_dual_add_f32 v2, 0, v34 :: v_dual_mul_f32 v1, v8, v4
	s_delay_alu instid0(VALU_DEP_1) | instskip(NEXT) | instid1(VALU_DEP_2)
	v_add_f32_e32 v2, v2, v38
	v_fma_f32 v232, v7, v3, -v1
	s_delay_alu instid0(VALU_DEP_2) | instskip(NEXT) | instid1(VALU_DEP_1)
	v_add_f32_e32 v2, v2, v23
	v_add_f32_e32 v2, v2, v24
	s_delay_alu instid0(VALU_DEP_1) | instskip(NEXT) | instid1(VALU_DEP_1)
	v_add_f32_e32 v2, v2, v39
	v_add_f32_e32 v2, v2, v40
	s_delay_alu instid0(VALU_DEP_1) | instskip(NEXT) | instid1(VALU_DEP_1)
	;; [unrolled: 3-line block ×7, first 2 shown]
	v_add_f32_e32 v2, v2, v49
	v_dual_add_f32 v1, 0, v21 :: v_dual_add_f32 v2, v2, v51
	s_delay_alu instid0(VALU_DEP_1) | instskip(NEXT) | instid1(VALU_DEP_1)
	v_dual_add_f32 v1, v1, v22 :: v_dual_add_f32 v2, v2, v53
	v_dual_add_f32 v1, v1, v26 :: v_dual_add_f32 v2, v2, v55
	s_delay_alu instid0(VALU_DEP_1) | instskip(NEXT) | instid1(VALU_DEP_1)
	v_dual_add_f32 v1, v1, v27 :: v_dual_add_f32 v2, v2, v57
	v_dual_add_f32 v1, v1, v28 :: v_dual_add_f32 v2, v2, v59
	s_delay_alu instid0(VALU_DEP_1) | instskip(NEXT) | instid1(VALU_DEP_2)
	v_add_f32_e32 v1, v1, v29
	v_add_f32_e32 v2, v2, v61
	s_delay_alu instid0(VALU_DEP_1) | instskip(NEXT) | instid1(VALU_DEP_1)
	v_dual_add_f32 v1, v1, v13 :: v_dual_add_f32 v2, v2, v63
	v_add_f32_e32 v1, v1, v14
	s_delay_alu instid0(VALU_DEP_1) | instskip(NEXT) | instid1(VALU_DEP_1)
	v_add_f32_e32 v1, v1, v16
	v_add_f32_e32 v1, v1, v17
	s_delay_alu instid0(VALU_DEP_1) | instskip(NEXT) | instid1(VALU_DEP_1)
	v_add_f32_e32 v1, v1, v32
	;; [unrolled: 3-line block ×11, first 2 shown]
	v_add_f32_e32 v1, v1, v204
	s_delay_alu instid0(VALU_DEP_1) | instskip(SKIP_1) | instid1(VALU_DEP_2)
	v_add_f32_e32 v6, v1, v206
	v_add_f32_e32 v2, v2, v65
	;; [unrolled: 1-line block ×3, first 2 shown]
	s_delay_alu instid0(VALU_DEP_2) | instskip(NEXT) | instid1(VALU_DEP_2)
	v_add_f32_e32 v2, v2, v67
	v_add_f32_e32 v14, v14, v210
	s_delay_alu instid0(VALU_DEP_2) | instskip(NEXT) | instid1(VALU_DEP_2)
	v_add_f32_e32 v2, v2, v197
	v_add_f32_e32 v17, v14, v212
	s_delay_alu instid0(VALU_DEP_1) | instskip(NEXT) | instid1(VALU_DEP_1)
	v_dual_add_f32 v2, v2, v199 :: v_dual_add_f32 v17, v17, v214
	v_dual_add_f32 v2, v2, v201 :: v_dual_add_f32 v17, v17, v216
	s_delay_alu instid0(VALU_DEP_1) | instskip(NEXT) | instid1(VALU_DEP_2)
	v_add_f32_e32 v5, v2, v203
	v_add_f32_e32 v17, v17, v218
	s_delay_alu instid0(VALU_DEP_2) | instskip(NEXT) | instid1(VALU_DEP_2)
	v_add_f32_e32 v13, v5, v205
	v_add_f32_e32 v22, v17, v220
	s_delay_alu instid0(VALU_DEP_1) | instskip(NEXT) | instid1(VALU_DEP_1)
	v_dual_add_f32 v13, v13, v207 :: v_dual_add_f32 v22, v22, v222
	v_dual_add_f32 v13, v13, v209 :: v_dual_add_f32 v22, v22, v224
	s_delay_alu instid0(VALU_DEP_1)
	v_add_f32_e32 v18, v13, v211
	v_fmac_f32_e32 v231, v8, v3
	scratch_load_b128 v[5:8], off, off offset:448
	ds_load_b128 v[1:4], v25 offset:944
	ds_load_b128 v[13:16], v25 offset:960
	s_wait_loadcnt_dscnt 0x101
	v_mul_f32_e32 v26, v1, v10
	v_dual_mul_f32 v10, v2, v10 :: v_dual_mul_f32 v27, v3, v12
	v_mul_f32_e32 v12, v4, v12
	s_delay_alu instid0(VALU_DEP_3) | instskip(NEXT) | instid1(VALU_DEP_3)
	v_fmac_f32_e32 v26, v2, v9
	v_fma_f32 v28, v1, v9, -v10
	s_delay_alu instid0(VALU_DEP_4) | instskip(NEXT) | instid1(VALU_DEP_4)
	v_fmac_f32_e32 v27, v4, v11
	v_fma_f32 v29, v3, v11, -v12
	s_clause 0x1
	scratch_load_b128 v[1:4], off, off offset:464
	scratch_load_b128 v[9:12], off, off offset:480
	s_wait_loadcnt_dscnt 0x200
	v_mul_f32_e32 v30, v13, v6
	v_dual_add_f32 v18, v18, v213 :: v_dual_mul_f32 v31, v15, v8
	v_mul_f32_e32 v8, v16, v8
	v_mul_f32_e32 v6, v14, v6
	s_delay_alu instid0(VALU_DEP_4) | instskip(NEXT) | instid1(VALU_DEP_4)
	v_fmac_f32_e32 v30, v14, v5
	v_add_f32_e32 v18, v18, v215
	v_fmac_f32_e32 v31, v16, v7
	v_fma_f32 v33, v15, v7, -v8
	v_fma_f32 v32, v13, v5, -v6
	ds_load_b128 v[5:8], v25 offset:976
	v_add_f32_e32 v21, v18, v217
	scratch_load_b128 v[17:20], off, off offset:496
	v_add_f32_e32 v21, v21, v219
	s_delay_alu instid0(VALU_DEP_1) | instskip(NEXT) | instid1(VALU_DEP_1)
	v_add_f32_e32 v21, v21, v221
	v_add_f32_e32 v13, v21, v223
	s_delay_alu instid0(VALU_DEP_1) | instskip(NEXT) | instid1(VALU_DEP_1)
	v_dual_add_f32 v21, v22, v226 :: v_dual_add_f32 v22, v13, v225
	v_add_f32_e32 v34, v21, v228
	ds_load_b128 v[13:16], v25 offset:992
	v_add_f32_e32 v38, v22, v227
	ds_load_b128 v[21:24], v25 offset:1008
	v_add_f32_e32 v25, v34, v230
	s_delay_alu instid0(VALU_DEP_1) | instskip(NEXT) | instid1(VALU_DEP_1)
	v_add_f32_e32 v25, v25, v232
	v_add_f32_e32 v25, v25, v28
	s_wait_loadcnt_dscnt 0x202
	v_mul_f32_e32 v28, v7, v4
	v_add_f32_e32 v34, v38, v229
	v_mul_f32_e32 v38, v5, v2
	v_dual_mul_f32 v2, v6, v2 :: v_dual_add_f32 v25, v25, v29
	v_mul_f32_e32 v4, v8, v4
	s_delay_alu instid0(VALU_DEP_4) | instskip(NEXT) | instid1(VALU_DEP_4)
	v_add_f32_e32 v34, v34, v231
	v_fmac_f32_e32 v38, v6, v1
	s_delay_alu instid0(VALU_DEP_4) | instskip(SKIP_4) | instid1(VALU_DEP_3)
	v_fma_f32 v2, v5, v1, -v2
	s_wait_loadcnt_dscnt 0x101
	v_dual_add_f32 v25, v25, v32 :: v_dual_mul_f32 v6, v14, v10
	v_add_f32_e32 v26, v34, v26
	v_mul_f32_e32 v34, v13, v10
	v_dual_fmac_f32 v28, v8, v3 :: v_dual_add_f32 v1, v25, v33
	v_fma_f32 v3, v7, v3, -v4
	s_delay_alu instid0(VALU_DEP_4) | instskip(NEXT) | instid1(VALU_DEP_3)
	v_dual_add_f32 v26, v26, v27 :: v_dual_mul_f32 v39, v15, v12
	v_dual_mul_f32 v4, v16, v12 :: v_dual_add_f32 v1, v1, v2
	v_fmac_f32_e32 v34, v14, v9
	s_delay_alu instid0(VALU_DEP_3) | instskip(NEXT) | instid1(VALU_DEP_3)
	v_dual_add_f32 v26, v26, v30 :: v_dual_fmac_f32 v39, v16, v11
	v_fma_f32 v4, v15, v11, -v4
	s_delay_alu instid0(VALU_DEP_4) | instskip(NEXT) | instid1(VALU_DEP_3)
	v_add_f32_e32 v1, v1, v3
	v_add_f32_e32 v5, v26, v31
	s_delay_alu instid0(VALU_DEP_1) | instskip(SKIP_1) | instid1(VALU_DEP_1)
	v_add_f32_e32 v2, v5, v38
	v_fma_f32 v5, v13, v9, -v6
	v_dual_add_f32 v2, v2, v28 :: v_dual_add_f32 v1, v1, v5
	s_delay_alu instid0(VALU_DEP_1) | instskip(SKIP_1) | instid1(VALU_DEP_1)
	v_dual_add_f32 v2, v2, v34 :: v_dual_add_f32 v1, v1, v4
	s_wait_loadcnt_dscnt 0x0
	v_dual_add_f32 v2, v2, v39 :: v_dual_mul_f32 v27, v21, v18
	v_mul_f32_e32 v3, v22, v18
	v_mul_f32_e32 v29, v23, v20
	;; [unrolled: 1-line block ×3, first 2 shown]
	s_delay_alu instid0(VALU_DEP_4) | instskip(NEXT) | instid1(VALU_DEP_4)
	v_fmac_f32_e32 v27, v22, v17
	v_fma_f32 v3, v21, v17, -v3
	s_delay_alu instid0(VALU_DEP_4) | instskip(NEXT) | instid1(VALU_DEP_4)
	v_fmac_f32_e32 v29, v24, v19
	v_fma_f32 v4, v23, v19, -v5
	s_delay_alu instid0(VALU_DEP_4) | instskip(NEXT) | instid1(VALU_DEP_1)
	v_add_f32_e32 v2, v2, v27
	v_dual_add_f32 v1, v1, v3 :: v_dual_add_f32 v2, v2, v29
	s_delay_alu instid0(VALU_DEP_1) | instskip(NEXT) | instid1(VALU_DEP_1)
	v_add_f32_e32 v1, v1, v4
	v_dual_sub_f32 v2, v37, v2 :: v_dual_sub_f32 v1, v36, v1
	scratch_store_b64 off, v[1:2], off offset:72
	v_cmpx_lt_u32_e32 8, v0
	s_cbranch_execz .LBB63_381
; %bb.380:
	scratch_load_b64 v[1:2], off, off offset:64
	v_mov_b32_e32 v3, 0
	s_delay_alu instid0(VALU_DEP_1)
	v_mov_b32_e32 v4, v3
	scratch_store_b64 off, v[3:4], off offset:64
	s_wait_loadcnt 0x0
	ds_store_b64 v35, v[1:2]
.LBB63_381:
	s_wait_alu 0xfffe
	s_or_b32 exec_lo, exec_lo, s0
	s_wait_storecnt_dscnt 0x0
	s_barrier_signal -1
	s_barrier_wait -1
	global_inv scope:SCOPE_SE
	s_clause 0x4
	scratch_load_b128 v[5:8], off, off offset:72
	scratch_load_b128 v[1:4], off, off offset:88
	;; [unrolled: 1-line block ×5, first 2 shown]
	v_mov_b32_e32 v29, 0
	ds_load_2addr_b64 v[21:24], v29 offset0:73 offset1:74
	ds_load_2addr_b64 v[25:28], v29 offset0:75 offset1:76
	;; [unrolled: 1-line block ×3, first 2 shown]
	scratch_load_b64 v[36:37], off, off offset:64
	s_mov_b32 s0, exec_lo
	s_wait_loadcnt_dscnt 0x502
	v_mul_f32_e32 v34, v21, v6
	v_mul_f32_e32 v38, v23, v8
	s_wait_loadcnt_dscnt 0x300
	v_dual_mul_f32 v8, v24, v8 :: v_dual_mul_f32 v39, v30, v10
	v_mul_f32_e32 v6, v22, v6
	v_fmac_f32_e32 v34, v22, v5
	v_mul_f32_e32 v40, v32, v12
	s_delay_alu instid0(VALU_DEP_4)
	v_fma_f32 v22, v23, v7, -v8
	v_dual_mul_f32 v23, v25, v2 :: v_dual_fmac_f32 v38, v24, v7
	v_dual_mul_f32 v2, v26, v2 :: v_dual_fmac_f32 v39, v31, v9
	v_fma_f32 v21, v21, v5, -v6
	ds_load_2addr_b64 v[5:8], v29 offset0:79 offset1:80
	v_mul_f32_e32 v24, v27, v4
	v_dual_mul_f32 v4, v28, v4 :: v_dual_fmac_f32 v23, v26, v1
	v_fma_f32 v25, v25, v1, -v2
	v_mul_f32_e32 v12, v33, v12
	s_delay_alu instid0(VALU_DEP_4) | instskip(NEXT) | instid1(VALU_DEP_4)
	v_fmac_f32_e32 v24, v28, v3
	v_fma_f32 v26, v27, v3, -v4
	scratch_load_b128 v[1:4], off, off offset:152
	v_mul_f32_e32 v10, v31, v10
	v_fmac_f32_e32 v40, v33, v11
	v_fma_f32 v28, v32, v11, -v12
	s_delay_alu instid0(VALU_DEP_3)
	v_fma_f32 v27, v30, v9, -v10
	ds_load_2addr_b64 v[9:12], v29 offset0:81 offset1:82
	s_wait_loadcnt_dscnt 0x301
	v_dual_mul_f32 v30, v5, v14 :: v_dual_mul_f32 v31, v7, v16
	v_mul_f32_e32 v14, v6, v14
	v_mul_f32_e32 v16, v8, v16
	s_delay_alu instid0(VALU_DEP_3) | instskip(NEXT) | instid1(VALU_DEP_3)
	v_dual_fmac_f32 v30, v6, v13 :: v_dual_fmac_f32 v31, v8, v15
	v_fma_f32 v13, v5, v13, -v14
	s_delay_alu instid0(VALU_DEP_3)
	v_fma_f32 v14, v7, v15, -v16
	ds_load_2addr_b64 v[5:8], v29 offset0:83 offset1:84
	s_wait_loadcnt_dscnt 0x201
	v_mul_f32_e32 v15, v9, v18
	v_mul_f32_e32 v16, v10, v18
	;; [unrolled: 1-line block ×3, first 2 shown]
	s_delay_alu instid0(VALU_DEP_3) | instskip(NEXT) | instid1(VALU_DEP_3)
	v_dual_mul_f32 v20, v12, v20 :: v_dual_fmac_f32 v15, v10, v17
	v_fma_f32 v16, v9, v17, -v16
	s_delay_alu instid0(VALU_DEP_3) | instskip(NEXT) | instid1(VALU_DEP_3)
	v_fmac_f32_e32 v18, v12, v19
	v_fma_f32 v17, v11, v19, -v20
	scratch_load_b128 v[9:12], off, off offset:168
	s_wait_loadcnt_dscnt 0x100
	v_mul_f32_e32 v19, v5, v2
	v_mul_f32_e32 v2, v6, v2
	;; [unrolled: 1-line block ×3, first 2 shown]
	s_delay_alu instid0(VALU_DEP_3) | instskip(NEXT) | instid1(VALU_DEP_3)
	v_dual_mul_f32 v4, v8, v4 :: v_dual_fmac_f32 v19, v6, v1
	v_fma_f32 v32, v5, v1, -v2
	s_delay_alu instid0(VALU_DEP_3) | instskip(NEXT) | instid1(VALU_DEP_3)
	v_fmac_f32_e32 v20, v8, v3
	v_fma_f32 v33, v7, v3, -v4
	ds_load_2addr_b64 v[1:4], v29 offset0:85 offset1:86
	ds_load_2addr_b64 v[5:8], v29 offset0:87 offset1:88
	s_wait_loadcnt_dscnt 0x1
	v_mul_f32_e32 v41, v1, v10
	v_mul_f32_e32 v10, v2, v10
	s_delay_alu instid0(VALU_DEP_2) | instskip(NEXT) | instid1(VALU_DEP_2)
	v_dual_mul_f32 v42, v3, v12 :: v_dual_fmac_f32 v41, v2, v9
	v_fma_f32 v43, v1, v9, -v10
	v_mul_f32_e32 v1, v4, v12
	s_delay_alu instid0(VALU_DEP_3) | instskip(NEXT) | instid1(VALU_DEP_2)
	v_fmac_f32_e32 v42, v4, v11
	v_fma_f32 v44, v3, v11, -v1
	s_clause 0x1
	scratch_load_b128 v[1:4], off, off offset:184
	scratch_load_b128 v[9:12], off, off offset:200
	s_wait_loadcnt_dscnt 0x100
	v_mul_f32_e32 v45, v5, v2
	v_dual_mul_f32 v2, v6, v2 :: v_dual_mul_f32 v47, v7, v4
	s_delay_alu instid0(VALU_DEP_2) | instskip(NEXT) | instid1(VALU_DEP_2)
	v_fmac_f32_e32 v45, v6, v1
	v_fma_f32 v46, v5, v1, -v2
	v_mul_f32_e32 v1, v8, v4
	s_delay_alu instid0(VALU_DEP_4) | instskip(NEXT) | instid1(VALU_DEP_2)
	v_fmac_f32_e32 v47, v8, v3
	v_fma_f32 v48, v7, v3, -v1
	ds_load_2addr_b64 v[1:4], v29 offset0:89 offset1:90
	ds_load_2addr_b64 v[5:8], v29 offset0:91 offset1:92
	s_wait_loadcnt_dscnt 0x1
	v_mul_f32_e32 v49, v1, v10
	v_mul_f32_e32 v51, v3, v12
	s_delay_alu instid0(VALU_DEP_2) | instskip(NEXT) | instid1(VALU_DEP_2)
	v_fmac_f32_e32 v49, v2, v9
	v_dual_mul_f32 v2, v2, v10 :: v_dual_fmac_f32 v51, v4, v11
	s_delay_alu instid0(VALU_DEP_1) | instskip(SKIP_1) | instid1(VALU_DEP_1)
	v_fma_f32 v50, v1, v9, -v2
	v_mul_f32_e32 v1, v4, v12
	v_fma_f32 v52, v3, v11, -v1
	s_clause 0x1
	scratch_load_b128 v[1:4], off, off offset:216
	scratch_load_b128 v[9:12], off, off offset:232
	s_wait_loadcnt_dscnt 0x100
	v_mul_f32_e32 v53, v5, v2
	v_dual_mul_f32 v2, v6, v2 :: v_dual_mul_f32 v55, v7, v4
	s_delay_alu instid0(VALU_DEP_2) | instskip(NEXT) | instid1(VALU_DEP_2)
	v_fmac_f32_e32 v53, v6, v1
	v_fma_f32 v54, v5, v1, -v2
	v_mul_f32_e32 v1, v8, v4
	s_delay_alu instid0(VALU_DEP_4) | instskip(NEXT) | instid1(VALU_DEP_2)
	v_fmac_f32_e32 v55, v8, v3
	v_fma_f32 v56, v7, v3, -v1
	ds_load_2addr_b64 v[1:4], v29 offset0:93 offset1:94
	ds_load_2addr_b64 v[5:8], v29 offset0:95 offset1:96
	s_wait_loadcnt_dscnt 0x1
	v_mul_f32_e32 v57, v1, v10
	v_mul_f32_e32 v59, v3, v12
	s_delay_alu instid0(VALU_DEP_2) | instskip(NEXT) | instid1(VALU_DEP_2)
	v_fmac_f32_e32 v57, v2, v9
	v_dual_mul_f32 v2, v2, v10 :: v_dual_fmac_f32 v59, v4, v11
	s_delay_alu instid0(VALU_DEP_1) | instskip(SKIP_1) | instid1(VALU_DEP_1)
	v_fma_f32 v58, v1, v9, -v2
	v_mul_f32_e32 v1, v4, v12
	;; [unrolled: 25-line block ×7, first 2 shown]
	v_fma_f32 v228, v3, v11, -v1
	s_clause 0x1
	scratch_load_b128 v[1:4], off, off offset:408
	scratch_load_b128 v[9:12], off, off offset:424
	s_wait_loadcnt_dscnt 0x100
	v_mul_f32_e32 v229, v5, v2
	v_dual_mul_f32 v2, v6, v2 :: v_dual_mul_f32 v231, v7, v4
	s_delay_alu instid0(VALU_DEP_2) | instskip(NEXT) | instid1(VALU_DEP_2)
	v_fmac_f32_e32 v229, v6, v1
	v_fma_f32 v230, v5, v1, -v2
	v_dual_add_f32 v2, 0, v34 :: v_dual_mul_f32 v1, v8, v4
	s_delay_alu instid0(VALU_DEP_1) | instskip(NEXT) | instid1(VALU_DEP_2)
	v_add_f32_e32 v2, v2, v38
	v_fma_f32 v232, v7, v3, -v1
	s_delay_alu instid0(VALU_DEP_2) | instskip(NEXT) | instid1(VALU_DEP_1)
	v_add_f32_e32 v2, v2, v23
	v_add_f32_e32 v2, v2, v24
	s_delay_alu instid0(VALU_DEP_1) | instskip(NEXT) | instid1(VALU_DEP_1)
	v_add_f32_e32 v2, v2, v39
	v_add_f32_e32 v2, v2, v40
	s_delay_alu instid0(VALU_DEP_1) | instskip(NEXT) | instid1(VALU_DEP_1)
	;; [unrolled: 3-line block ×7, first 2 shown]
	v_add_f32_e32 v2, v2, v49
	v_dual_add_f32 v1, 0, v21 :: v_dual_add_f32 v2, v2, v51
	s_delay_alu instid0(VALU_DEP_1) | instskip(NEXT) | instid1(VALU_DEP_1)
	v_dual_add_f32 v1, v1, v22 :: v_dual_add_f32 v2, v2, v53
	v_dual_add_f32 v1, v1, v25 :: v_dual_add_f32 v2, v2, v55
	s_delay_alu instid0(VALU_DEP_1) | instskip(SKIP_2) | instid1(VALU_DEP_1)
	v_add_f32_e32 v1, v1, v26
	scratch_load_b64 v[25:26], off, off offset:504
	v_dual_add_f32 v2, v2, v57 :: v_dual_add_f32 v1, v1, v27
	v_dual_add_f32 v2, v2, v59 :: v_dual_add_f32 v1, v1, v28
	s_delay_alu instid0(VALU_DEP_1) | instskip(NEXT) | instid1(VALU_DEP_1)
	v_add_f32_e32 v1, v1, v13
	v_add_f32_e32 v1, v1, v14
	s_delay_alu instid0(VALU_DEP_1) | instskip(NEXT) | instid1(VALU_DEP_1)
	v_add_f32_e32 v1, v1, v16
	v_add_f32_e32 v1, v1, v17
	;; [unrolled: 3-line block ×12, first 2 shown]
	s_delay_alu instid0(VALU_DEP_1) | instskip(SKIP_1) | instid1(VALU_DEP_2)
	v_add_f32_e32 v6, v1, v206
	v_add_f32_e32 v2, v2, v61
	v_add_f32_e32 v14, v6, v208
	s_delay_alu instid0(VALU_DEP_2) | instskip(NEXT) | instid1(VALU_DEP_2)
	v_add_f32_e32 v2, v2, v63
	v_add_f32_e32 v14, v14, v210
	s_delay_alu instid0(VALU_DEP_2) | instskip(NEXT) | instid1(VALU_DEP_2)
	v_add_f32_e32 v2, v2, v65
	v_add_f32_e32 v17, v14, v212
	s_delay_alu instid0(VALU_DEP_1) | instskip(NEXT) | instid1(VALU_DEP_1)
	v_dual_add_f32 v2, v2, v67 :: v_dual_add_f32 v17, v17, v214
	v_dual_add_f32 v2, v2, v197 :: v_dual_add_f32 v17, v17, v216
	s_delay_alu instid0(VALU_DEP_1) | instskip(NEXT) | instid1(VALU_DEP_1)
	v_dual_add_f32 v2, v2, v199 :: v_dual_add_f32 v17, v17, v218
	v_add_f32_e32 v2, v2, v201
	s_delay_alu instid0(VALU_DEP_1) | instskip(NEXT) | instid1(VALU_DEP_1)
	v_dual_add_f32 v22, v17, v220 :: v_dual_add_f32 v5, v2, v203
	v_dual_add_f32 v22, v22, v222 :: v_dual_add_f32 v13, v5, v205
	s_delay_alu instid0(VALU_DEP_1) | instskip(NEXT) | instid1(VALU_DEP_1)
	v_dual_add_f32 v22, v22, v224 :: v_dual_add_f32 v13, v13, v207
	v_dual_add_f32 v22, v22, v226 :: v_dual_add_f32 v13, v13, v209
	s_delay_alu instid0(VALU_DEP_1)
	v_add_f32_e32 v18, v13, v211
	v_fmac_f32_e32 v231, v8, v3
	scratch_load_b128 v[1:4], off, off offset:440
	ds_load_2addr_b64 v[5:8], v29 offset0:117 offset1:118
	ds_load_2addr_b64 v[13:16], v29 offset0:119 offset1:120
	s_wait_loadcnt_dscnt 0x201
	v_mul_f32_e32 v30, v5, v10
	v_dual_mul_f32 v10, v6, v10 :: v_dual_mul_f32 v31, v7, v12
	v_mul_f32_e32 v12, v8, v12
	s_delay_alu instid0(VALU_DEP_3) | instskip(NEXT) | instid1(VALU_DEP_3)
	v_fmac_f32_e32 v30, v6, v9
	v_fma_f32 v32, v5, v9, -v10
	s_delay_alu instid0(VALU_DEP_4) | instskip(NEXT) | instid1(VALU_DEP_4)
	v_fmac_f32_e32 v31, v8, v11
	v_fma_f32 v33, v7, v11, -v12
	s_clause 0x1
	scratch_load_b128 v[5:8], off, off offset:456
	scratch_load_b128 v[9:12], off, off offset:472
	s_wait_loadcnt_dscnt 0x200
	v_mul_f32_e32 v38, v15, v4
	v_add_f32_e32 v18, v18, v213
	v_mul_f32_e32 v4, v16, v4
	v_mul_f32_e32 v34, v13, v2
	;; [unrolled: 1-line block ×3, first 2 shown]
	v_fmac_f32_e32 v38, v16, v3
	v_add_f32_e32 v18, v18, v215
	v_fma_f32 v40, v15, v3, -v4
	v_fmac_f32_e32 v34, v14, v1
	v_add_f32_e32 v14, v22, v228
	v_fma_f32 v39, v13, v1, -v2
	v_add_f32_e32 v21, v18, v217
	scratch_load_b128 v[17:20], off, off offset:488
	ds_load_2addr_b64 v[1:4], v29 offset0:121 offset1:122
	v_add_f32_e32 v27, v14, v230
	v_add_f32_e32 v21, v21, v219
	s_delay_alu instid0(VALU_DEP_2) | instskip(NEXT) | instid1(VALU_DEP_2)
	v_add_f32_e32 v41, v27, v232
	v_add_f32_e32 v21, v21, v221
	s_delay_alu instid0(VALU_DEP_2) | instskip(NEXT) | instid1(VALU_DEP_1)
	v_add_f32_e32 v32, v41, v32
	v_dual_add_f32 v21, v21, v223 :: v_dual_add_f32 v32, v32, v33
	s_delay_alu instid0(VALU_DEP_1) | instskip(NEXT) | instid1(VALU_DEP_1)
	v_dual_add_f32 v13, v21, v225 :: v_dual_add_f32 v32, v32, v39
	v_add_f32_e32 v21, v13, v227
	ds_load_2addr_b64 v[13:16], v29 offset0:123 offset1:124
	s_wait_loadcnt_dscnt 0x201
	v_mul_f32_e32 v41, v1, v6
	v_mul_f32_e32 v6, v2, v6
	v_add_f32_e32 v32, v32, v40
	v_add_f32_e32 v28, v21, v229
	ds_load_2addr_b64 v[21:24], v29 offset0:125 offset1:126
	v_fmac_f32_e32 v41, v2, v5
	v_fma_f32 v1, v1, v5, -v6
	v_add_f32_e32 v42, v28, v231
	ds_load_b64 v[27:28], v29 offset:1016
	v_dual_add_f32 v1, v32, v1 :: v_dual_add_f32 v30, v42, v30
	s_delay_alu instid0(VALU_DEP_1) | instskip(SKIP_2) | instid1(VALU_DEP_2)
	v_dual_add_f32 v30, v30, v31 :: v_dual_mul_f32 v31, v3, v8
	s_wait_loadcnt_dscnt 0x102
	v_dual_mul_f32 v8, v4, v8 :: v_dual_mul_f32 v33, v13, v10
	v_dual_mul_f32 v5, v16, v12 :: v_dual_add_f32 v30, v30, v34
	s_delay_alu instid0(VALU_DEP_3) | instskip(NEXT) | instid1(VALU_DEP_3)
	v_fmac_f32_e32 v31, v4, v7
	v_fma_f32 v2, v3, v7, -v8
	v_dual_mul_f32 v3, v14, v10 :: v_dual_mul_f32 v34, v15, v12
	s_delay_alu instid0(VALU_DEP_4) | instskip(SKIP_1) | instid1(VALU_DEP_4)
	v_add_f32_e32 v30, v30, v38
	v_fmac_f32_e32 v33, v14, v9
	v_add_f32_e32 v1, v1, v2
	s_delay_alu instid0(VALU_DEP_4)
	v_fma_f32 v3, v13, v9, -v3
	v_fmac_f32_e32 v34, v16, v11
	v_add_f32_e32 v4, v30, v41
	v_fma_f32 v5, v15, v11, -v5
	s_wait_dscnt 0x0
	v_dual_mul_f32 v38, v27, v26 :: v_dual_add_f32 v1, v1, v3
	s_delay_alu instid0(VALU_DEP_3) | instskip(NEXT) | instid1(VALU_DEP_2)
	v_add_f32_e32 v2, v4, v31
	v_fmac_f32_e32 v38, v28, v25
	s_delay_alu instid0(VALU_DEP_3) | instskip(NEXT) | instid1(VALU_DEP_3)
	v_add_f32_e32 v1, v1, v5
	v_dual_mul_f32 v5, v28, v26 :: v_dual_add_f32 v2, v2, v33
	s_delay_alu instid0(VALU_DEP_1)
	v_add_f32_e32 v2, v2, v34
	s_wait_loadcnt 0x0
	v_mul_f32_e32 v39, v21, v18
	v_mul_f32_e32 v4, v22, v18
	;; [unrolled: 1-line block ×4, first 2 shown]
	s_delay_alu instid0(VALU_DEP_4) | instskip(NEXT) | instid1(VALU_DEP_4)
	v_fmac_f32_e32 v39, v22, v17
	v_fma_f32 v4, v21, v17, -v4
	s_delay_alu instid0(VALU_DEP_4) | instskip(NEXT) | instid1(VALU_DEP_4)
	v_fmac_f32_e32 v40, v24, v19
	v_fma_f32 v3, v23, v19, -v3
	s_delay_alu instid0(VALU_DEP_3) | instskip(SKIP_1) | instid1(VALU_DEP_2)
	v_dual_add_f32 v2, v2, v39 :: v_dual_add_f32 v1, v1, v4
	v_fma_f32 v4, v27, v25, -v5
	v_dual_add_f32 v2, v2, v40 :: v_dual_add_f32 v1, v1, v3
	s_delay_alu instid0(VALU_DEP_1) | instskip(NEXT) | instid1(VALU_DEP_1)
	v_dual_add_f32 v2, v2, v38 :: v_dual_add_f32 v1, v1, v4
	v_dual_sub_f32 v2, v37, v2 :: v_dual_sub_f32 v1, v36, v1
	scratch_store_b64 off, v[1:2], off offset:64
	v_cmpx_lt_u32_e32 7, v0
	s_cbranch_execz .LBB63_383
; %bb.382:
	scratch_load_b64 v[1:2], off, off offset:56
	v_mov_b32_e32 v30, v29
	scratch_store_b64 off, v[29:30], off offset:56
	s_wait_loadcnt 0x0
	ds_store_b64 v35, v[1:2]
.LBB63_383:
	s_wait_alu 0xfffe
	s_or_b32 exec_lo, exec_lo, s0
	s_wait_storecnt_dscnt 0x0
	s_barrier_signal -1
	s_barrier_wait -1
	global_inv scope:SCOPE_SE
	s_clause 0x4
	scratch_load_b128 v[5:8], off, off offset:64
	scratch_load_b128 v[1:4], off, off offset:80
	;; [unrolled: 1-line block ×5, first 2 shown]
	ds_load_b128 v[21:24], v29 offset:576
	ds_load_b128 v[25:28], v29 offset:592
	;; [unrolled: 1-line block ×3, first 2 shown]
	scratch_load_b64 v[36:37], off, off offset:56
	s_mov_b32 s0, exec_lo
	s_wait_loadcnt_dscnt 0x502
	v_mul_f32_e32 v34, v21, v6
	v_mul_f32_e32 v38, v23, v8
	s_wait_loadcnt_dscnt 0x300
	v_dual_mul_f32 v8, v24, v8 :: v_dual_mul_f32 v39, v30, v10
	v_mul_f32_e32 v6, v22, v6
	v_fmac_f32_e32 v34, v22, v5
	s_delay_alu instid0(VALU_DEP_3)
	v_fma_f32 v22, v23, v7, -v8
	v_dual_mul_f32 v23, v25, v2 :: v_dual_fmac_f32 v38, v24, v7
	v_dual_mul_f32 v2, v26, v2 :: v_dual_fmac_f32 v39, v31, v9
	v_fma_f32 v21, v21, v5, -v6
	ds_load_b128 v[5:8], v29 offset:624
	v_mul_f32_e32 v24, v27, v4
	v_dual_mul_f32 v4, v28, v4 :: v_dual_fmac_f32 v23, v26, v1
	v_fma_f32 v25, v25, v1, -v2
	s_delay_alu instid0(VALU_DEP_3) | instskip(NEXT) | instid1(VALU_DEP_3)
	v_fmac_f32_e32 v24, v28, v3
	v_fma_f32 v26, v27, v3, -v4
	scratch_load_b128 v[1:4], off, off offset:144
	v_mul_f32_e32 v40, v32, v12
	v_mul_f32_e32 v10, v31, v10
	v_mul_f32_e32 v12, v33, v12
	s_delay_alu instid0(VALU_DEP_3) | instskip(NEXT) | instid1(VALU_DEP_3)
	v_fmac_f32_e32 v40, v33, v11
	v_fma_f32 v27, v30, v9, -v10
	s_delay_alu instid0(VALU_DEP_3)
	v_fma_f32 v28, v32, v11, -v12
	ds_load_b128 v[9:12], v29 offset:640
	s_wait_loadcnt_dscnt 0x301
	v_dual_mul_f32 v30, v5, v14 :: v_dual_mul_f32 v31, v7, v16
	v_mul_f32_e32 v14, v6, v14
	v_mul_f32_e32 v16, v8, v16
	s_delay_alu instid0(VALU_DEP_3) | instskip(NEXT) | instid1(VALU_DEP_3)
	v_dual_fmac_f32 v30, v6, v13 :: v_dual_fmac_f32 v31, v8, v15
	v_fma_f32 v13, v5, v13, -v14
	s_delay_alu instid0(VALU_DEP_3)
	v_fma_f32 v14, v7, v15, -v16
	ds_load_b128 v[5:8], v29 offset:656
	s_wait_loadcnt_dscnt 0x201
	v_mul_f32_e32 v15, v9, v18
	v_mul_f32_e32 v16, v10, v18
	;; [unrolled: 1-line block ×3, first 2 shown]
	s_delay_alu instid0(VALU_DEP_3) | instskip(NEXT) | instid1(VALU_DEP_3)
	v_dual_mul_f32 v20, v12, v20 :: v_dual_fmac_f32 v15, v10, v17
	v_fma_f32 v16, v9, v17, -v16
	s_delay_alu instid0(VALU_DEP_3) | instskip(NEXT) | instid1(VALU_DEP_3)
	v_fmac_f32_e32 v18, v12, v19
	v_fma_f32 v17, v11, v19, -v20
	scratch_load_b128 v[9:12], off, off offset:160
	s_wait_loadcnt_dscnt 0x100
	v_mul_f32_e32 v19, v5, v2
	v_mul_f32_e32 v2, v6, v2
	;; [unrolled: 1-line block ×3, first 2 shown]
	s_delay_alu instid0(VALU_DEP_3) | instskip(NEXT) | instid1(VALU_DEP_3)
	v_dual_mul_f32 v4, v8, v4 :: v_dual_fmac_f32 v19, v6, v1
	v_fma_f32 v32, v5, v1, -v2
	s_delay_alu instid0(VALU_DEP_3) | instskip(NEXT) | instid1(VALU_DEP_3)
	v_fmac_f32_e32 v20, v8, v3
	v_fma_f32 v33, v7, v3, -v4
	ds_load_b128 v[1:4], v29 offset:672
	ds_load_b128 v[5:8], v29 offset:688
	s_wait_loadcnt_dscnt 0x1
	v_mul_f32_e32 v41, v1, v10
	v_mul_f32_e32 v10, v2, v10
	s_delay_alu instid0(VALU_DEP_2) | instskip(NEXT) | instid1(VALU_DEP_2)
	v_dual_mul_f32 v42, v3, v12 :: v_dual_fmac_f32 v41, v2, v9
	v_fma_f32 v43, v1, v9, -v10
	v_mul_f32_e32 v1, v4, v12
	s_delay_alu instid0(VALU_DEP_3) | instskip(NEXT) | instid1(VALU_DEP_2)
	v_fmac_f32_e32 v42, v4, v11
	v_fma_f32 v44, v3, v11, -v1
	s_clause 0x1
	scratch_load_b128 v[1:4], off, off offset:176
	scratch_load_b128 v[9:12], off, off offset:192
	s_wait_loadcnt_dscnt 0x100
	v_mul_f32_e32 v45, v5, v2
	v_dual_mul_f32 v2, v6, v2 :: v_dual_mul_f32 v47, v7, v4
	s_delay_alu instid0(VALU_DEP_2) | instskip(NEXT) | instid1(VALU_DEP_2)
	v_fmac_f32_e32 v45, v6, v1
	v_fma_f32 v46, v5, v1, -v2
	v_mul_f32_e32 v1, v8, v4
	s_delay_alu instid0(VALU_DEP_4) | instskip(NEXT) | instid1(VALU_DEP_2)
	v_fmac_f32_e32 v47, v8, v3
	v_fma_f32 v48, v7, v3, -v1
	ds_load_b128 v[1:4], v29 offset:704
	ds_load_b128 v[5:8], v29 offset:720
	s_wait_loadcnt_dscnt 0x1
	v_mul_f32_e32 v49, v1, v10
	v_mul_f32_e32 v51, v3, v12
	s_delay_alu instid0(VALU_DEP_2) | instskip(NEXT) | instid1(VALU_DEP_2)
	v_fmac_f32_e32 v49, v2, v9
	v_dual_mul_f32 v2, v2, v10 :: v_dual_fmac_f32 v51, v4, v11
	s_delay_alu instid0(VALU_DEP_1) | instskip(SKIP_1) | instid1(VALU_DEP_1)
	v_fma_f32 v50, v1, v9, -v2
	v_mul_f32_e32 v1, v4, v12
	v_fma_f32 v52, v3, v11, -v1
	s_clause 0x1
	scratch_load_b128 v[1:4], off, off offset:208
	scratch_load_b128 v[9:12], off, off offset:224
	s_wait_loadcnt_dscnt 0x100
	v_mul_f32_e32 v53, v5, v2
	v_dual_mul_f32 v2, v6, v2 :: v_dual_mul_f32 v55, v7, v4
	s_delay_alu instid0(VALU_DEP_2) | instskip(NEXT) | instid1(VALU_DEP_2)
	v_fmac_f32_e32 v53, v6, v1
	v_fma_f32 v54, v5, v1, -v2
	v_mul_f32_e32 v1, v8, v4
	s_delay_alu instid0(VALU_DEP_4) | instskip(NEXT) | instid1(VALU_DEP_2)
	v_fmac_f32_e32 v55, v8, v3
	v_fma_f32 v56, v7, v3, -v1
	ds_load_b128 v[1:4], v29 offset:736
	ds_load_b128 v[5:8], v29 offset:752
	s_wait_loadcnt_dscnt 0x1
	v_mul_f32_e32 v57, v1, v10
	v_mul_f32_e32 v59, v3, v12
	s_delay_alu instid0(VALU_DEP_2) | instskip(NEXT) | instid1(VALU_DEP_2)
	v_fmac_f32_e32 v57, v2, v9
	v_dual_mul_f32 v2, v2, v10 :: v_dual_fmac_f32 v59, v4, v11
	s_delay_alu instid0(VALU_DEP_1) | instskip(SKIP_1) | instid1(VALU_DEP_1)
	v_fma_f32 v58, v1, v9, -v2
	v_mul_f32_e32 v1, v4, v12
	;; [unrolled: 25-line block ×8, first 2 shown]
	v_fma_f32 v236, v3, v11, -v1
	s_clause 0x1
	scratch_load_b128 v[1:4], off, off offset:432
	scratch_load_b128 v[9:12], off, off offset:448
	s_wait_loadcnt_dscnt 0x100
	v_mul_f32_e32 v237, v5, v2
	v_mul_f32_e32 v2, v6, v2
	s_delay_alu instid0(VALU_DEP_2) | instskip(NEXT) | instid1(VALU_DEP_2)
	v_fmac_f32_e32 v237, v6, v1
	v_fma_f32 v238, v5, v1, -v2
	v_dual_mul_f32 v1, v8, v4 :: v_dual_add_f32 v2, 0, v34
	s_delay_alu instid0(VALU_DEP_1) | instskip(NEXT) | instid1(VALU_DEP_2)
	v_fma_f32 v240, v7, v3, -v1
	v_dual_add_f32 v1, 0, v21 :: v_dual_add_f32 v2, v2, v38
	s_delay_alu instid0(VALU_DEP_1) | instskip(NEXT) | instid1(VALU_DEP_1)
	v_dual_add_f32 v1, v1, v22 :: v_dual_add_f32 v2, v2, v23
	v_dual_add_f32 v1, v1, v25 :: v_dual_add_f32 v2, v2, v24
	s_delay_alu instid0(VALU_DEP_1) | instskip(NEXT) | instid1(VALU_DEP_1)
	v_dual_add_f32 v1, v1, v26 :: v_dual_add_f32 v2, v2, v39
	;; [unrolled: 3-line block ×5, first 2 shown]
	v_add_f32_e32 v1, v1, v32
	s_delay_alu instid0(VALU_DEP_1) | instskip(NEXT) | instid1(VALU_DEP_1)
	v_dual_add_f32 v2, v2, v20 :: v_dual_add_f32 v1, v1, v33
	v_dual_add_f32 v2, v2, v41 :: v_dual_add_f32 v1, v1, v43
	s_delay_alu instid0(VALU_DEP_1) | instskip(NEXT) | instid1(VALU_DEP_1)
	v_dual_add_f32 v2, v2, v42 :: v_dual_add_f32 v1, v1, v44
	v_dual_add_f32 v2, v2, v45 :: v_dual_add_f32 v1, v1, v46
	s_delay_alu instid0(VALU_DEP_1) | instskip(NEXT) | instid1(VALU_DEP_1)
	v_dual_add_f32 v2, v2, v47 :: v_dual_add_f32 v1, v1, v48
	v_dual_add_f32 v2, v2, v49 :: v_dual_add_f32 v1, v1, v50
	s_delay_alu instid0(VALU_DEP_1) | instskip(NEXT) | instid1(VALU_DEP_1)
	v_dual_add_f32 v2, v2, v51 :: v_dual_add_f32 v1, v1, v52
	v_dual_add_f32 v2, v2, v53 :: v_dual_add_f32 v1, v1, v54
	s_delay_alu instid0(VALU_DEP_1) | instskip(NEXT) | instid1(VALU_DEP_1)
	v_dual_add_f32 v2, v2, v55 :: v_dual_add_f32 v1, v1, v56
	v_dual_add_f32 v2, v2, v57 :: v_dual_add_f32 v1, v1, v58
	s_delay_alu instid0(VALU_DEP_1) | instskip(NEXT) | instid1(VALU_DEP_1)
	v_dual_add_f32 v2, v2, v59 :: v_dual_add_f32 v1, v1, v60
	v_dual_add_f32 v2, v2, v61 :: v_dual_add_f32 v1, v1, v62
	s_delay_alu instid0(VALU_DEP_1) | instskip(NEXT) | instid1(VALU_DEP_1)
	v_dual_add_f32 v2, v2, v63 :: v_dual_add_f32 v1, v1, v64
	v_add_f32_e32 v1, v1, v66
	s_delay_alu instid0(VALU_DEP_1) | instskip(NEXT) | instid1(VALU_DEP_1)
	v_add_f32_e32 v1, v1, v68
	v_add_f32_e32 v1, v1, v198
	s_delay_alu instid0(VALU_DEP_1) | instskip(NEXT) | instid1(VALU_DEP_1)
	v_add_f32_e32 v1, v1, v200
	v_add_f32_e32 v1, v1, v202
	s_delay_alu instid0(VALU_DEP_1) | instskip(NEXT) | instid1(VALU_DEP_1)
	v_add_f32_e32 v1, v1, v204
	v_add_f32_e32 v1, v1, v206
	s_delay_alu instid0(VALU_DEP_1) | instskip(NEXT) | instid1(VALU_DEP_1)
	v_add_f32_e32 v1, v1, v208
	v_add_f32_e32 v1, v1, v210
	s_delay_alu instid0(VALU_DEP_1) | instskip(SKIP_1) | instid1(VALU_DEP_2)
	v_add_f32_e32 v6, v1, v212
	v_add_f32_e32 v2, v2, v65
	;; [unrolled: 1-line block ×3, first 2 shown]
	s_delay_alu instid0(VALU_DEP_2) | instskip(NEXT) | instid1(VALU_DEP_2)
	v_add_f32_e32 v2, v2, v67
	v_add_f32_e32 v13, v6, v216
	s_delay_alu instid0(VALU_DEP_1) | instskip(NEXT) | instid1(VALU_DEP_1)
	v_dual_add_f32 v2, v2, v197 :: v_dual_add_f32 v13, v13, v218
	v_dual_add_f32 v2, v2, v199 :: v_dual_add_f32 v13, v13, v220
	s_delay_alu instid0(VALU_DEP_1) | instskip(NEXT) | instid1(VALU_DEP_1)
	v_dual_add_f32 v2, v2, v201 :: v_dual_add_f32 v13, v13, v222
	v_add_f32_e32 v2, v2, v203
	s_delay_alu instid0(VALU_DEP_2) | instskip(NEXT) | instid1(VALU_DEP_2)
	v_add_f32_e32 v18, v13, v224
	v_dual_add_f32 v2, v2, v205 :: v_dual_mul_f32 v239, v7, v4
	s_delay_alu instid0(VALU_DEP_2) | instskip(NEXT) | instid1(VALU_DEP_2)
	v_add_f32_e32 v18, v18, v226
	v_add_f32_e32 v2, v2, v207
	s_delay_alu instid0(VALU_DEP_2) | instskip(NEXT) | instid1(VALU_DEP_2)
	v_dual_fmac_f32 v239, v8, v3 :: v_dual_add_f32 v18, v18, v228
	v_add_f32_e32 v5, v2, v209
	ds_load_b128 v[1:4], v29 offset:960
	v_add_f32_e32 v21, v18, v230
	v_add_f32_e32 v5, v5, v211
	s_delay_alu instid0(VALU_DEP_2) | instskip(NEXT) | instid1(VALU_DEP_2)
	v_add_f32_e32 v30, v21, v232
	v_add_f32_e32 v5, v5, v213
	s_delay_alu instid0(VALU_DEP_1)
	v_add_f32_e32 v14, v5, v215
	ds_load_b128 v[5:8], v29 offset:976
	s_wait_loadcnt_dscnt 0x1
	v_dual_add_f32 v14, v14, v217 :: v_dual_mul_f32 v25, v1, v10
	v_mul_f32_e32 v26, v3, v12
	v_mul_f32_e32 v10, v2, v10
	;; [unrolled: 1-line block ×3, first 2 shown]
	s_delay_alu instid0(VALU_DEP_4) | instskip(NEXT) | instid1(VALU_DEP_4)
	v_add_f32_e32 v14, v14, v219
	v_dual_fmac_f32 v25, v2, v9 :: v_dual_fmac_f32 v26, v4, v11
	s_delay_alu instid0(VALU_DEP_4) | instskip(NEXT) | instid1(VALU_DEP_4)
	v_fma_f32 v27, v1, v9, -v10
	v_fma_f32 v28, v3, v11, -v12
	s_clause 0x1
	scratch_load_b128 v[1:4], off, off offset:464
	scratch_load_b128 v[9:12], off, off offset:480
	s_wait_loadcnt_dscnt 0x100
	v_dual_mul_f32 v32, v7, v4 :: v_dual_add_f32 v17, v14, v221
	scratch_load_b128 v[13:16], off, off offset:496
	v_mul_f32_e32 v4, v8, v4
	v_fmac_f32_e32 v32, v8, v3
	v_add_f32_e32 v17, v17, v223
	s_delay_alu instid0(VALU_DEP_3) | instskip(NEXT) | instid1(VALU_DEP_2)
	v_fma_f32 v3, v7, v3, -v4
	v_add_f32_e32 v17, v17, v225
	s_delay_alu instid0(VALU_DEP_1) | instskip(NEXT) | instid1(VALU_DEP_1)
	v_add_f32_e32 v17, v17, v227
	v_add_f32_e32 v22, v17, v229
	ds_load_b128 v[17:20], v29 offset:992
	v_add_f32_e32 v31, v22, v231
	ds_load_b128 v[21:24], v29 offset:1008
	v_dual_add_f32 v29, v30, v234 :: v_dual_add_f32 v30, v31, v233
	v_mul_f32_e32 v31, v5, v2
	s_delay_alu instid0(VALU_DEP_2) | instskip(NEXT) | instid1(VALU_DEP_3)
	v_dual_add_f32 v29, v29, v236 :: v_dual_mul_f32 v2, v6, v2
	v_add_f32_e32 v30, v30, v235
	s_delay_alu instid0(VALU_DEP_3) | instskip(NEXT) | instid1(VALU_DEP_3)
	v_fmac_f32_e32 v31, v6, v1
	v_add_f32_e32 v29, v29, v238
	s_delay_alu instid0(VALU_DEP_4) | instskip(SKIP_2) | instid1(VALU_DEP_3)
	v_fma_f32 v2, v5, v1, -v2
	s_wait_loadcnt_dscnt 0x101
	v_dual_add_f32 v30, v30, v237 :: v_dual_mul_f32 v33, v17, v10
	v_dual_add_f32 v29, v29, v240 :: v_dual_mul_f32 v6, v18, v10
	v_mul_f32_e32 v34, v19, v12
	s_delay_alu instid0(VALU_DEP_3) | instskip(NEXT) | instid1(VALU_DEP_3)
	v_add_f32_e32 v30, v30, v239
	v_dual_mul_f32 v4, v20, v12 :: v_dual_add_f32 v27, v29, v27
	s_delay_alu instid0(VALU_DEP_3) | instskip(NEXT) | instid1(VALU_DEP_3)
	v_dual_fmac_f32 v33, v18, v9 :: v_dual_fmac_f32 v34, v20, v11
	v_add_f32_e32 v25, v30, v25
	s_delay_alu instid0(VALU_DEP_3) | instskip(NEXT) | instid1(VALU_DEP_4)
	v_fma_f32 v4, v19, v11, -v4
	v_add_f32_e32 v1, v27, v28
	s_delay_alu instid0(VALU_DEP_3) | instskip(NEXT) | instid1(VALU_DEP_2)
	v_add_f32_e32 v5, v25, v26
	v_add_f32_e32 v1, v1, v2
	s_delay_alu instid0(VALU_DEP_2) | instskip(SKIP_1) | instid1(VALU_DEP_2)
	v_add_f32_e32 v2, v5, v31
	v_fma_f32 v5, v17, v9, -v6
	v_dual_add_f32 v1, v1, v3 :: v_dual_add_f32 v2, v2, v32
	s_delay_alu instid0(VALU_DEP_1) | instskip(NEXT) | instid1(VALU_DEP_1)
	v_add_f32_e32 v1, v1, v5
	v_dual_add_f32 v2, v2, v33 :: v_dual_add_f32 v1, v1, v4
	s_delay_alu instid0(VALU_DEP_1) | instskip(SKIP_4) | instid1(VALU_DEP_3)
	v_add_f32_e32 v2, v2, v34
	s_wait_loadcnt_dscnt 0x0
	v_mul_f32_e32 v38, v21, v14
	v_mul_f32_e32 v3, v22, v14
	;; [unrolled: 1-line block ×3, first 2 shown]
	v_dual_mul_f32 v5, v24, v16 :: v_dual_fmac_f32 v38, v22, v13
	s_delay_alu instid0(VALU_DEP_3) | instskip(NEXT) | instid1(VALU_DEP_3)
	v_fma_f32 v3, v21, v13, -v3
	v_fmac_f32_e32 v29, v24, v15
	s_delay_alu instid0(VALU_DEP_3) | instskip(NEXT) | instid1(VALU_DEP_3)
	v_fma_f32 v4, v23, v15, -v5
	v_dual_add_f32 v2, v2, v38 :: v_dual_add_f32 v1, v1, v3
	s_delay_alu instid0(VALU_DEP_1) | instskip(NEXT) | instid1(VALU_DEP_1)
	v_dual_add_f32 v2, v2, v29 :: v_dual_add_f32 v1, v1, v4
	v_dual_sub_f32 v2, v37, v2 :: v_dual_sub_f32 v1, v36, v1
	scratch_store_b64 off, v[1:2], off offset:56
	v_cmpx_lt_u32_e32 6, v0
	s_cbranch_execz .LBB63_385
; %bb.384:
	scratch_load_b64 v[1:2], off, off offset:48
	v_mov_b32_e32 v3, 0
	s_delay_alu instid0(VALU_DEP_1)
	v_mov_b32_e32 v4, v3
	scratch_store_b64 off, v[3:4], off offset:48
	s_wait_loadcnt 0x0
	ds_store_b64 v35, v[1:2]
.LBB63_385:
	s_wait_alu 0xfffe
	s_or_b32 exec_lo, exec_lo, s0
	s_wait_storecnt_dscnt 0x0
	s_barrier_signal -1
	s_barrier_wait -1
	global_inv scope:SCOPE_SE
	s_clause 0x4
	scratch_load_b128 v[5:8], off, off offset:56
	scratch_load_b128 v[1:4], off, off offset:72
	;; [unrolled: 1-line block ×5, first 2 shown]
	v_mov_b32_e32 v33, 0
	ds_load_2addr_b64 v[21:24], v33 offset0:71 offset1:72
	ds_load_2addr_b64 v[25:28], v33 offset0:73 offset1:74
	;; [unrolled: 1-line block ×3, first 2 shown]
	scratch_load_b64 v[36:37], off, off offset:48
	s_mov_b32 s0, exec_lo
	s_wait_loadcnt_dscnt 0x502
	v_mul_f32_e32 v34, v21, v6
	v_mul_f32_e32 v38, v23, v8
	;; [unrolled: 1-line block ×3, first 2 shown]
	s_wait_loadcnt_dscnt 0x300
	v_dual_mul_f32 v8, v24, v8 :: v_dual_mul_f32 v39, v29, v10
	v_fmac_f32_e32 v34, v22, v5
	v_mul_f32_e32 v40, v31, v12
	v_fma_f32 v21, v21, v5, -v6
	s_delay_alu instid0(VALU_DEP_4)
	v_fma_f32 v22, v23, v7, -v8
	v_dual_mul_f32 v23, v25, v2 :: v_dual_fmac_f32 v38, v24, v7
	ds_load_2addr_b64 v[5:8], v33 offset0:77 offset1:78
	v_dual_mul_f32 v24, v27, v4 :: v_dual_fmac_f32 v39, v30, v9
	v_mul_f32_e32 v2, v26, v2
	v_mul_f32_e32 v4, v28, v4
	;; [unrolled: 1-line block ×3, first 2 shown]
	s_delay_alu instid0(VALU_DEP_4) | instskip(NEXT) | instid1(VALU_DEP_4)
	v_dual_fmac_f32 v23, v26, v1 :: v_dual_fmac_f32 v24, v28, v3
	v_fma_f32 v25, v25, v1, -v2
	s_delay_alu instid0(VALU_DEP_4) | instskip(SKIP_4) | instid1(VALU_DEP_3)
	v_fma_f32 v26, v27, v3, -v4
	scratch_load_b128 v[1:4], off, off offset:136
	v_mul_f32_e32 v12, v32, v12
	v_fmac_f32_e32 v40, v32, v11
	v_fma_f32 v27, v29, v9, -v10
	v_fma_f32 v28, v31, v11, -v12
	ds_load_2addr_b64 v[9:12], v33 offset0:79 offset1:80
	s_wait_loadcnt_dscnt 0x301
	v_dual_mul_f32 v29, v5, v14 :: v_dual_mul_f32 v30, v7, v16
	v_mul_f32_e32 v14, v6, v14
	s_delay_alu instid0(VALU_DEP_2) | instskip(NEXT) | instid1(VALU_DEP_3)
	v_dual_mul_f32 v16, v8, v16 :: v_dual_fmac_f32 v29, v6, v13
	v_fmac_f32_e32 v30, v8, v15
	s_delay_alu instid0(VALU_DEP_3) | instskip(NEXT) | instid1(VALU_DEP_3)
	v_fma_f32 v13, v5, v13, -v14
	v_fma_f32 v14, v7, v15, -v16
	ds_load_2addr_b64 v[5:8], v33 offset0:81 offset1:82
	s_wait_loadcnt_dscnt 0x201
	v_dual_mul_f32 v15, v9, v18 :: v_dual_mul_f32 v16, v11, v20
	v_mul_f32_e32 v18, v10, v18
	s_delay_alu instid0(VALU_DEP_2) | instskip(NEXT) | instid1(VALU_DEP_3)
	v_dual_mul_f32 v20, v12, v20 :: v_dual_fmac_f32 v15, v10, v17
	v_fmac_f32_e32 v16, v12, v19
	s_delay_alu instid0(VALU_DEP_3) | instskip(NEXT) | instid1(VALU_DEP_3)
	v_fma_f32 v17, v9, v17, -v18
	v_fma_f32 v18, v11, v19, -v20
	scratch_load_b128 v[9:12], off, off offset:152
	s_wait_loadcnt_dscnt 0x100
	v_mul_f32_e32 v19, v5, v2
	v_mul_f32_e32 v2, v6, v2
	;; [unrolled: 1-line block ×3, first 2 shown]
	s_delay_alu instid0(VALU_DEP_3) | instskip(NEXT) | instid1(VALU_DEP_3)
	v_dual_mul_f32 v4, v8, v4 :: v_dual_fmac_f32 v19, v6, v1
	v_fma_f32 v31, v5, v1, -v2
	s_delay_alu instid0(VALU_DEP_3) | instskip(NEXT) | instid1(VALU_DEP_3)
	v_fmac_f32_e32 v20, v8, v3
	v_fma_f32 v32, v7, v3, -v4
	ds_load_2addr_b64 v[1:4], v33 offset0:83 offset1:84
	ds_load_2addr_b64 v[5:8], v33 offset0:85 offset1:86
	s_wait_loadcnt_dscnt 0x1
	v_mul_f32_e32 v41, v1, v10
	v_mul_f32_e32 v10, v2, v10
	s_delay_alu instid0(VALU_DEP_2) | instskip(NEXT) | instid1(VALU_DEP_2)
	v_dual_mul_f32 v42, v3, v12 :: v_dual_fmac_f32 v41, v2, v9
	v_fma_f32 v43, v1, v9, -v10
	v_mul_f32_e32 v1, v4, v12
	s_delay_alu instid0(VALU_DEP_3) | instskip(NEXT) | instid1(VALU_DEP_2)
	v_fmac_f32_e32 v42, v4, v11
	v_fma_f32 v44, v3, v11, -v1
	s_clause 0x1
	scratch_load_b128 v[1:4], off, off offset:168
	scratch_load_b128 v[9:12], off, off offset:184
	s_wait_loadcnt_dscnt 0x100
	v_mul_f32_e32 v45, v5, v2
	v_dual_mul_f32 v2, v6, v2 :: v_dual_mul_f32 v47, v7, v4
	s_delay_alu instid0(VALU_DEP_2) | instskip(NEXT) | instid1(VALU_DEP_2)
	v_fmac_f32_e32 v45, v6, v1
	v_fma_f32 v46, v5, v1, -v2
	v_mul_f32_e32 v1, v8, v4
	s_delay_alu instid0(VALU_DEP_4) | instskip(NEXT) | instid1(VALU_DEP_2)
	v_fmac_f32_e32 v47, v8, v3
	v_fma_f32 v48, v7, v3, -v1
	ds_load_2addr_b64 v[1:4], v33 offset0:87 offset1:88
	ds_load_2addr_b64 v[5:8], v33 offset0:89 offset1:90
	s_wait_loadcnt_dscnt 0x1
	v_mul_f32_e32 v49, v1, v10
	v_mul_f32_e32 v51, v3, v12
	s_delay_alu instid0(VALU_DEP_2) | instskip(NEXT) | instid1(VALU_DEP_2)
	v_fmac_f32_e32 v49, v2, v9
	v_dual_mul_f32 v2, v2, v10 :: v_dual_fmac_f32 v51, v4, v11
	s_delay_alu instid0(VALU_DEP_1) | instskip(SKIP_1) | instid1(VALU_DEP_1)
	v_fma_f32 v50, v1, v9, -v2
	v_mul_f32_e32 v1, v4, v12
	v_fma_f32 v52, v3, v11, -v1
	s_clause 0x1
	scratch_load_b128 v[1:4], off, off offset:200
	scratch_load_b128 v[9:12], off, off offset:216
	s_wait_loadcnt_dscnt 0x100
	v_mul_f32_e32 v53, v5, v2
	v_dual_mul_f32 v2, v6, v2 :: v_dual_mul_f32 v55, v7, v4
	s_delay_alu instid0(VALU_DEP_2) | instskip(NEXT) | instid1(VALU_DEP_2)
	v_fmac_f32_e32 v53, v6, v1
	v_fma_f32 v54, v5, v1, -v2
	v_mul_f32_e32 v1, v8, v4
	s_delay_alu instid0(VALU_DEP_4) | instskip(NEXT) | instid1(VALU_DEP_2)
	v_fmac_f32_e32 v55, v8, v3
	v_fma_f32 v56, v7, v3, -v1
	ds_load_2addr_b64 v[1:4], v33 offset0:91 offset1:92
	ds_load_2addr_b64 v[5:8], v33 offset0:93 offset1:94
	s_wait_loadcnt_dscnt 0x1
	v_mul_f32_e32 v57, v1, v10
	v_mul_f32_e32 v59, v3, v12
	s_delay_alu instid0(VALU_DEP_2) | instskip(NEXT) | instid1(VALU_DEP_2)
	v_fmac_f32_e32 v57, v2, v9
	v_dual_mul_f32 v2, v2, v10 :: v_dual_fmac_f32 v59, v4, v11
	s_delay_alu instid0(VALU_DEP_1) | instskip(SKIP_1) | instid1(VALU_DEP_1)
	v_fma_f32 v58, v1, v9, -v2
	v_mul_f32_e32 v1, v4, v12
	;; [unrolled: 25-line block ×8, first 2 shown]
	v_fma_f32 v236, v3, v11, -v1
	s_clause 0x1
	scratch_load_b128 v[1:4], off, off offset:424
	scratch_load_b128 v[9:12], off, off offset:440
	s_wait_loadcnt_dscnt 0x100
	v_mul_f32_e32 v237, v5, v2
	v_mul_f32_e32 v2, v6, v2
	s_delay_alu instid0(VALU_DEP_2) | instskip(NEXT) | instid1(VALU_DEP_2)
	v_fmac_f32_e32 v237, v6, v1
	v_fma_f32 v238, v5, v1, -v2
	v_dual_mul_f32 v1, v8, v4 :: v_dual_add_f32 v2, 0, v34
	s_delay_alu instid0(VALU_DEP_1) | instskip(NEXT) | instid1(VALU_DEP_2)
	v_fma_f32 v240, v7, v3, -v1
	v_dual_add_f32 v1, 0, v21 :: v_dual_add_f32 v2, v2, v38
	s_delay_alu instid0(VALU_DEP_1) | instskip(NEXT) | instid1(VALU_DEP_1)
	v_dual_add_f32 v1, v1, v22 :: v_dual_add_f32 v2, v2, v23
	v_dual_add_f32 v1, v1, v25 :: v_dual_add_f32 v2, v2, v24
	s_delay_alu instid0(VALU_DEP_1) | instskip(SKIP_2) | instid1(VALU_DEP_1)
	v_dual_add_f32 v1, v1, v26 :: v_dual_add_f32 v2, v2, v39
	scratch_load_b64 v[25:26], off, off offset:504
	v_dual_add_f32 v1, v1, v27 :: v_dual_add_f32 v2, v2, v40
	v_dual_add_f32 v1, v1, v28 :: v_dual_add_f32 v2, v2, v29
	s_delay_alu instid0(VALU_DEP_1) | instskip(NEXT) | instid1(VALU_DEP_1)
	v_dual_add_f32 v1, v1, v13 :: v_dual_add_f32 v2, v2, v30
	v_dual_add_f32 v1, v1, v14 :: v_dual_add_f32 v2, v2, v15
	s_delay_alu instid0(VALU_DEP_1) | instskip(NEXT) | instid1(VALU_DEP_1)
	;; [unrolled: 3-line block ×8, first 2 shown]
	v_dual_add_f32 v1, v1, v58 :: v_dual_add_f32 v2, v2, v59
	v_add_f32_e32 v1, v1, v60
	s_delay_alu instid0(VALU_DEP_1) | instskip(NEXT) | instid1(VALU_DEP_1)
	v_add_f32_e32 v1, v1, v62
	v_add_f32_e32 v1, v1, v64
	s_delay_alu instid0(VALU_DEP_1) | instskip(NEXT) | instid1(VALU_DEP_1)
	v_add_f32_e32 v1, v1, v66
	;; [unrolled: 3-line block ×6, first 2 shown]
	v_add_f32_e32 v6, v1, v212
	v_add_f32_e32 v2, v2, v61
	s_delay_alu instid0(VALU_DEP_2) | instskip(NEXT) | instid1(VALU_DEP_2)
	v_add_f32_e32 v6, v6, v214
	v_add_f32_e32 v2, v2, v63
	s_delay_alu instid0(VALU_DEP_2) | instskip(NEXT) | instid1(VALU_DEP_1)
	v_add_f32_e32 v13, v6, v216
	v_dual_add_f32 v2, v2, v65 :: v_dual_add_f32 v13, v13, v218
	s_delay_alu instid0(VALU_DEP_1) | instskip(NEXT) | instid1(VALU_DEP_1)
	v_dual_add_f32 v2, v2, v67 :: v_dual_add_f32 v13, v13, v220
	v_dual_add_f32 v2, v2, v197 :: v_dual_add_f32 v13, v13, v222
	s_delay_alu instid0(VALU_DEP_1) | instskip(NEXT) | instid1(VALU_DEP_2)
	v_add_f32_e32 v2, v2, v199
	v_add_f32_e32 v18, v13, v224
	s_delay_alu instid0(VALU_DEP_2) | instskip(NEXT) | instid1(VALU_DEP_2)
	v_dual_add_f32 v2, v2, v201 :: v_dual_mul_f32 v239, v7, v4
	v_add_f32_e32 v18, v18, v226
	s_delay_alu instid0(VALU_DEP_2) | instskip(NEXT) | instid1(VALU_DEP_2)
	v_add_f32_e32 v2, v2, v203
	v_add_f32_e32 v18, v18, v228
	s_delay_alu instid0(VALU_DEP_2) | instskip(NEXT) | instid1(VALU_DEP_2)
	v_dual_add_f32 v2, v2, v205 :: v_dual_fmac_f32 v239, v8, v3
	v_add_f32_e32 v18, v18, v230
	s_delay_alu instid0(VALU_DEP_2) | instskip(NEXT) | instid1(VALU_DEP_2)
	v_add_f32_e32 v2, v2, v207
	v_add_f32_e32 v18, v18, v232
	s_delay_alu instid0(VALU_DEP_2) | instskip(SKIP_2) | instid1(VALU_DEP_1)
	v_add_f32_e32 v5, v2, v209
	ds_load_2addr_b64 v[1:4], v33 offset0:119 offset1:120
	v_add_f32_e32 v27, v18, v234
	v_dual_add_f32 v5, v5, v211 :: v_dual_add_f32 v34, v27, v236
	s_delay_alu instid0(VALU_DEP_1) | instskip(NEXT) | instid1(VALU_DEP_1)
	v_dual_add_f32 v5, v5, v213 :: v_dual_add_f32 v34, v34, v238
	v_add_f32_e32 v14, v5, v215
	ds_load_2addr_b64 v[5:8], v33 offset0:121 offset1:122
	v_add_f32_e32 v34, v34, v240
	s_wait_loadcnt_dscnt 0x101
	v_dual_add_f32 v14, v14, v217 :: v_dual_mul_f32 v29, v1, v10
	v_mul_f32_e32 v10, v2, v10
	v_mul_f32_e32 v30, v3, v12
	;; [unrolled: 1-line block ×3, first 2 shown]
	s_delay_alu instid0(VALU_DEP_4)
	v_add_f32_e32 v14, v14, v219
	v_fmac_f32_e32 v29, v2, v9
	v_fma_f32 v31, v1, v9, -v10
	v_fmac_f32_e32 v30, v4, v11
	v_fma_f32 v32, v3, v11, -v12
	s_clause 0x1
	scratch_load_b128 v[1:4], off, off offset:456
	scratch_load_b128 v[9:12], off, off offset:472
	v_add_f32_e32 v31, v34, v31
	s_delay_alu instid0(VALU_DEP_1)
	v_add_f32_e32 v31, v31, v32
	s_wait_loadcnt_dscnt 0x100
	v_dual_mul_f32 v40, v7, v4 :: v_dual_add_f32 v17, v14, v221
	scratch_load_b128 v[13:16], off, off offset:488
	v_dual_mul_f32 v4, v8, v4 :: v_dual_mul_f32 v39, v5, v2
	v_dual_mul_f32 v2, v6, v2 :: v_dual_add_f32 v17, v17, v223
	s_delay_alu instid0(VALU_DEP_2) | instskip(NEXT) | instid1(VALU_DEP_2)
	v_dual_fmac_f32 v40, v8, v3 :: v_dual_fmac_f32 v39, v6, v1
	v_fma_f32 v2, v5, v1, -v2
	s_delay_alu instid0(VALU_DEP_3) | instskip(SKIP_1) | instid1(VALU_DEP_2)
	v_add_f32_e32 v17, v17, v225
	v_fma_f32 v1, v7, v3, -v4
	v_dual_add_f32 v2, v31, v2 :: v_dual_add_f32 v17, v17, v227
	s_delay_alu instid0(VALU_DEP_1) | instskip(NEXT) | instid1(VALU_DEP_2)
	v_add_f32_e32 v1, v2, v1
	v_add_f32_e32 v17, v17, v229
	s_delay_alu instid0(VALU_DEP_1)
	v_add_f32_e32 v21, v17, v231
	ds_load_2addr_b64 v[17:20], v33 offset0:123 offset1:124
	v_add_f32_e32 v28, v21, v233
	ds_load_2addr_b64 v[21:24], v33 offset0:125 offset1:126
	v_add_f32_e32 v38, v28, v235
	ds_load_b64 v[27:28], v33 offset:1016
	s_wait_loadcnt_dscnt 0x102
	v_mul_f32_e32 v34, v17, v10
	v_mul_f32_e32 v3, v18, v10
	s_delay_alu instid0(VALU_DEP_2) | instskip(NEXT) | instid1(VALU_DEP_2)
	v_dual_mul_f32 v5, v20, v12 :: v_dual_fmac_f32 v34, v18, v9
	v_fma_f32 v3, v17, v9, -v3
	s_delay_alu instid0(VALU_DEP_2) | instskip(NEXT) | instid1(VALU_DEP_2)
	v_fma_f32 v5, v19, v11, -v5
	v_add_f32_e32 v1, v1, v3
	s_delay_alu instid0(VALU_DEP_1) | instskip(SKIP_4) | instid1(VALU_DEP_3)
	v_add_f32_e32 v1, v1, v5
	s_wait_loadcnt_dscnt 0x0
	v_dual_mul_f32 v5, v28, v26 :: v_dual_mul_f32 v32, v23, v16
	v_dual_add_f32 v38, v38, v237 :: v_dual_mul_f32 v41, v21, v14
	v_mul_f32_e32 v3, v24, v16
	v_fmac_f32_e32 v32, v24, v15
	s_delay_alu instid0(VALU_DEP_3) | instskip(NEXT) | instid1(VALU_DEP_4)
	v_add_f32_e32 v38, v38, v239
	v_fmac_f32_e32 v41, v22, v13
	s_delay_alu instid0(VALU_DEP_4) | instskip(NEXT) | instid1(VALU_DEP_3)
	v_fma_f32 v3, v23, v15, -v3
	v_dual_add_f32 v29, v38, v29 :: v_dual_mul_f32 v38, v19, v12
	s_delay_alu instid0(VALU_DEP_1) | instskip(SKIP_1) | instid1(VALU_DEP_2)
	v_dual_add_f32 v29, v29, v30 :: v_dual_fmac_f32 v38, v20, v11
	v_mul_f32_e32 v30, v27, v26
	v_add_f32_e32 v4, v29, v39
	s_delay_alu instid0(VALU_DEP_2) | instskip(NEXT) | instid1(VALU_DEP_2)
	v_fmac_f32_e32 v30, v28, v25
	v_add_f32_e32 v2, v4, v40
	v_mul_f32_e32 v4, v22, v14
	s_delay_alu instid0(VALU_DEP_2) | instskip(NEXT) | instid1(VALU_DEP_2)
	v_add_f32_e32 v2, v2, v34
	v_fma_f32 v4, v21, v13, -v4
	s_delay_alu instid0(VALU_DEP_1) | instskip(SKIP_1) | instid1(VALU_DEP_2)
	v_dual_add_f32 v2, v2, v38 :: v_dual_add_f32 v1, v1, v4
	v_fma_f32 v4, v27, v25, -v5
	v_dual_add_f32 v2, v2, v41 :: v_dual_add_f32 v1, v1, v3
	s_delay_alu instid0(VALU_DEP_1) | instskip(NEXT) | instid1(VALU_DEP_1)
	v_add_f32_e32 v2, v2, v32
	v_dual_add_f32 v1, v1, v4 :: v_dual_add_f32 v2, v2, v30
	s_delay_alu instid0(VALU_DEP_1)
	v_dual_sub_f32 v1, v36, v1 :: v_dual_sub_f32 v2, v37, v2
	scratch_store_b64 off, v[1:2], off offset:48
	v_cmpx_lt_u32_e32 5, v0
	s_cbranch_execz .LBB63_387
; %bb.386:
	scratch_load_b64 v[1:2], off, off offset:40
	v_mov_b32_e32 v34, v33
	scratch_store_b64 off, v[33:34], off offset:40
	s_wait_loadcnt 0x0
	ds_store_b64 v35, v[1:2]
.LBB63_387:
	s_wait_alu 0xfffe
	s_or_b32 exec_lo, exec_lo, s0
	s_wait_storecnt_dscnt 0x0
	s_barrier_signal -1
	s_barrier_wait -1
	global_inv scope:SCOPE_SE
	s_clause 0x4
	scratch_load_b128 v[5:8], off, off offset:48
	scratch_load_b128 v[1:4], off, off offset:64
	;; [unrolled: 1-line block ×5, first 2 shown]
	ds_load_b128 v[21:24], v33 offset:560
	ds_load_b128 v[25:28], v33 offset:576
	;; [unrolled: 1-line block ×3, first 2 shown]
	scratch_load_b64 v[36:37], off, off offset:40
	s_mov_b32 s0, exec_lo
	s_wait_loadcnt_dscnt 0x502
	v_mul_f32_e32 v34, v21, v6
	v_mul_f32_e32 v38, v23, v8
	;; [unrolled: 1-line block ×3, first 2 shown]
	s_wait_loadcnt_dscnt 0x300
	v_dual_mul_f32 v8, v24, v8 :: v_dual_mul_f32 v39, v29, v10
	v_fmac_f32_e32 v34, v22, v5
	v_mul_f32_e32 v40, v31, v12
	v_fma_f32 v21, v21, v5, -v6
	s_delay_alu instid0(VALU_DEP_4)
	v_fma_f32 v22, v23, v7, -v8
	v_dual_mul_f32 v23, v25, v2 :: v_dual_fmac_f32 v38, v24, v7
	v_fmac_f32_e32 v39, v30, v9
	ds_load_b128 v[5:8], v33 offset:608
	v_mul_f32_e32 v24, v27, v4
	v_mul_f32_e32 v2, v26, v2
	;; [unrolled: 1-line block ×4, first 2 shown]
	s_delay_alu instid0(VALU_DEP_4) | instskip(NEXT) | instid1(VALU_DEP_4)
	v_dual_fmac_f32 v23, v26, v1 :: v_dual_fmac_f32 v24, v28, v3
	v_fma_f32 v25, v25, v1, -v2
	s_delay_alu instid0(VALU_DEP_4) | instskip(SKIP_4) | instid1(VALU_DEP_3)
	v_fma_f32 v26, v27, v3, -v4
	scratch_load_b128 v[1:4], off, off offset:128
	v_mul_f32_e32 v12, v32, v12
	v_fmac_f32_e32 v40, v32, v11
	v_fma_f32 v27, v29, v9, -v10
	v_fma_f32 v28, v31, v11, -v12
	ds_load_b128 v[9:12], v33 offset:624
	s_wait_loadcnt_dscnt 0x301
	v_dual_mul_f32 v29, v5, v14 :: v_dual_mul_f32 v30, v7, v16
	v_mul_f32_e32 v14, v6, v14
	s_delay_alu instid0(VALU_DEP_2) | instskip(NEXT) | instid1(VALU_DEP_3)
	v_dual_mul_f32 v16, v8, v16 :: v_dual_fmac_f32 v29, v6, v13
	v_fmac_f32_e32 v30, v8, v15
	s_delay_alu instid0(VALU_DEP_3) | instskip(NEXT) | instid1(VALU_DEP_3)
	v_fma_f32 v13, v5, v13, -v14
	v_fma_f32 v14, v7, v15, -v16
	ds_load_b128 v[5:8], v33 offset:640
	s_wait_loadcnt_dscnt 0x201
	v_dual_mul_f32 v15, v9, v18 :: v_dual_mul_f32 v16, v11, v20
	v_mul_f32_e32 v18, v10, v18
	s_delay_alu instid0(VALU_DEP_2) | instskip(NEXT) | instid1(VALU_DEP_3)
	v_dual_mul_f32 v20, v12, v20 :: v_dual_fmac_f32 v15, v10, v17
	v_fmac_f32_e32 v16, v12, v19
	s_delay_alu instid0(VALU_DEP_3) | instskip(NEXT) | instid1(VALU_DEP_3)
	v_fma_f32 v17, v9, v17, -v18
	v_fma_f32 v18, v11, v19, -v20
	scratch_load_b128 v[9:12], off, off offset:144
	s_wait_loadcnt_dscnt 0x100
	v_mul_f32_e32 v19, v5, v2
	v_mul_f32_e32 v2, v6, v2
	;; [unrolled: 1-line block ×3, first 2 shown]
	s_delay_alu instid0(VALU_DEP_3) | instskip(NEXT) | instid1(VALU_DEP_3)
	v_dual_mul_f32 v4, v8, v4 :: v_dual_fmac_f32 v19, v6, v1
	v_fma_f32 v31, v5, v1, -v2
	s_delay_alu instid0(VALU_DEP_3) | instskip(NEXT) | instid1(VALU_DEP_3)
	v_fmac_f32_e32 v20, v8, v3
	v_fma_f32 v32, v7, v3, -v4
	ds_load_b128 v[1:4], v33 offset:656
	ds_load_b128 v[5:8], v33 offset:672
	s_wait_loadcnt_dscnt 0x1
	v_mul_f32_e32 v41, v1, v10
	v_mul_f32_e32 v10, v2, v10
	s_delay_alu instid0(VALU_DEP_2) | instskip(NEXT) | instid1(VALU_DEP_2)
	v_dual_mul_f32 v42, v3, v12 :: v_dual_fmac_f32 v41, v2, v9
	v_fma_f32 v43, v1, v9, -v10
	v_mul_f32_e32 v1, v4, v12
	s_delay_alu instid0(VALU_DEP_3) | instskip(NEXT) | instid1(VALU_DEP_2)
	v_fmac_f32_e32 v42, v4, v11
	v_fma_f32 v44, v3, v11, -v1
	s_clause 0x1
	scratch_load_b128 v[1:4], off, off offset:160
	scratch_load_b128 v[9:12], off, off offset:176
	s_wait_loadcnt_dscnt 0x100
	v_mul_f32_e32 v45, v5, v2
	v_dual_mul_f32 v2, v6, v2 :: v_dual_mul_f32 v47, v7, v4
	s_delay_alu instid0(VALU_DEP_2) | instskip(NEXT) | instid1(VALU_DEP_2)
	v_fmac_f32_e32 v45, v6, v1
	v_fma_f32 v46, v5, v1, -v2
	v_mul_f32_e32 v1, v8, v4
	s_delay_alu instid0(VALU_DEP_4) | instskip(NEXT) | instid1(VALU_DEP_2)
	v_fmac_f32_e32 v47, v8, v3
	v_fma_f32 v48, v7, v3, -v1
	ds_load_b128 v[1:4], v33 offset:688
	ds_load_b128 v[5:8], v33 offset:704
	s_wait_loadcnt_dscnt 0x1
	v_mul_f32_e32 v49, v1, v10
	v_mul_f32_e32 v51, v3, v12
	s_delay_alu instid0(VALU_DEP_2) | instskip(NEXT) | instid1(VALU_DEP_2)
	v_fmac_f32_e32 v49, v2, v9
	v_dual_mul_f32 v2, v2, v10 :: v_dual_fmac_f32 v51, v4, v11
	s_delay_alu instid0(VALU_DEP_1) | instskip(SKIP_1) | instid1(VALU_DEP_1)
	v_fma_f32 v50, v1, v9, -v2
	v_mul_f32_e32 v1, v4, v12
	v_fma_f32 v52, v3, v11, -v1
	s_clause 0x1
	scratch_load_b128 v[1:4], off, off offset:192
	scratch_load_b128 v[9:12], off, off offset:208
	s_wait_loadcnt_dscnt 0x100
	v_mul_f32_e32 v53, v5, v2
	v_dual_mul_f32 v2, v6, v2 :: v_dual_mul_f32 v55, v7, v4
	s_delay_alu instid0(VALU_DEP_2) | instskip(NEXT) | instid1(VALU_DEP_2)
	v_fmac_f32_e32 v53, v6, v1
	v_fma_f32 v54, v5, v1, -v2
	v_mul_f32_e32 v1, v8, v4
	s_delay_alu instid0(VALU_DEP_4) | instskip(NEXT) | instid1(VALU_DEP_2)
	v_fmac_f32_e32 v55, v8, v3
	v_fma_f32 v56, v7, v3, -v1
	ds_load_b128 v[1:4], v33 offset:720
	ds_load_b128 v[5:8], v33 offset:736
	s_wait_loadcnt_dscnt 0x1
	v_mul_f32_e32 v57, v1, v10
	v_mul_f32_e32 v59, v3, v12
	s_delay_alu instid0(VALU_DEP_2) | instskip(NEXT) | instid1(VALU_DEP_2)
	v_fmac_f32_e32 v57, v2, v9
	v_dual_mul_f32 v2, v2, v10 :: v_dual_fmac_f32 v59, v4, v11
	s_delay_alu instid0(VALU_DEP_1) | instskip(SKIP_1) | instid1(VALU_DEP_1)
	v_fma_f32 v58, v1, v9, -v2
	v_mul_f32_e32 v1, v4, v12
	v_fma_f32 v60, v3, v11, -v1
	s_clause 0x1
	scratch_load_b128 v[1:4], off, off offset:224
	scratch_load_b128 v[9:12], off, off offset:240
	s_wait_loadcnt_dscnt 0x100
	v_mul_f32_e32 v61, v5, v2
	v_dual_mul_f32 v2, v6, v2 :: v_dual_mul_f32 v63, v7, v4
	s_delay_alu instid0(VALU_DEP_2) | instskip(NEXT) | instid1(VALU_DEP_2)
	v_fmac_f32_e32 v61, v6, v1
	v_fma_f32 v62, v5, v1, -v2
	v_mul_f32_e32 v1, v8, v4
	s_delay_alu instid0(VALU_DEP_4) | instskip(NEXT) | instid1(VALU_DEP_2)
	v_fmac_f32_e32 v63, v8, v3
	v_fma_f32 v64, v7, v3, -v1
	ds_load_b128 v[1:4], v33 offset:752
	ds_load_b128 v[5:8], v33 offset:768
	s_wait_loadcnt_dscnt 0x1
	v_mul_f32_e32 v65, v1, v10
	v_mul_f32_e32 v67, v3, v12
	s_delay_alu instid0(VALU_DEP_2) | instskip(NEXT) | instid1(VALU_DEP_2)
	v_fmac_f32_e32 v65, v2, v9
	v_dual_mul_f32 v2, v2, v10 :: v_dual_fmac_f32 v67, v4, v11
	s_delay_alu instid0(VALU_DEP_1) | instskip(SKIP_1) | instid1(VALU_DEP_1)
	v_fma_f32 v66, v1, v9, -v2
	v_mul_f32_e32 v1, v4, v12
	v_fma_f32 v68, v3, v11, -v1
	s_clause 0x1
	scratch_load_b128 v[1:4], off, off offset:256
	scratch_load_b128 v[9:12], off, off offset:272
	s_wait_loadcnt_dscnt 0x100
	v_mul_f32_e32 v197, v5, v2
	v_dual_mul_f32 v2, v6, v2 :: v_dual_mul_f32 v199, v7, v4
	s_delay_alu instid0(VALU_DEP_2) | instskip(NEXT) | instid1(VALU_DEP_2)
	v_fmac_f32_e32 v197, v6, v1
	v_fma_f32 v198, v5, v1, -v2
	v_mul_f32_e32 v1, v8, v4
	s_delay_alu instid0(VALU_DEP_4) | instskip(NEXT) | instid1(VALU_DEP_2)
	v_fmac_f32_e32 v199, v8, v3
	v_fma_f32 v200, v7, v3, -v1
	ds_load_b128 v[1:4], v33 offset:784
	ds_load_b128 v[5:8], v33 offset:800
	s_wait_loadcnt_dscnt 0x1
	v_mul_f32_e32 v201, v1, v10
	v_mul_f32_e32 v203, v3, v12
	s_delay_alu instid0(VALU_DEP_2) | instskip(NEXT) | instid1(VALU_DEP_2)
	v_fmac_f32_e32 v201, v2, v9
	v_dual_mul_f32 v2, v2, v10 :: v_dual_fmac_f32 v203, v4, v11
	s_delay_alu instid0(VALU_DEP_1) | instskip(SKIP_1) | instid1(VALU_DEP_1)
	v_fma_f32 v202, v1, v9, -v2
	v_mul_f32_e32 v1, v4, v12
	v_fma_f32 v204, v3, v11, -v1
	s_clause 0x1
	scratch_load_b128 v[1:4], off, off offset:288
	scratch_load_b128 v[9:12], off, off offset:304
	s_wait_loadcnt_dscnt 0x100
	v_mul_f32_e32 v205, v5, v2
	v_dual_mul_f32 v2, v6, v2 :: v_dual_mul_f32 v207, v7, v4
	s_delay_alu instid0(VALU_DEP_2) | instskip(NEXT) | instid1(VALU_DEP_2)
	v_fmac_f32_e32 v205, v6, v1
	v_fma_f32 v206, v5, v1, -v2
	v_mul_f32_e32 v1, v8, v4
	s_delay_alu instid0(VALU_DEP_4) | instskip(NEXT) | instid1(VALU_DEP_2)
	v_fmac_f32_e32 v207, v8, v3
	v_fma_f32 v208, v7, v3, -v1
	ds_load_b128 v[1:4], v33 offset:816
	ds_load_b128 v[5:8], v33 offset:832
	s_wait_loadcnt_dscnt 0x1
	v_mul_f32_e32 v209, v1, v10
	v_mul_f32_e32 v211, v3, v12
	s_delay_alu instid0(VALU_DEP_2) | instskip(NEXT) | instid1(VALU_DEP_2)
	v_fmac_f32_e32 v209, v2, v9
	v_dual_mul_f32 v2, v2, v10 :: v_dual_fmac_f32 v211, v4, v11
	s_delay_alu instid0(VALU_DEP_1) | instskip(SKIP_1) | instid1(VALU_DEP_1)
	v_fma_f32 v210, v1, v9, -v2
	v_mul_f32_e32 v1, v4, v12
	v_fma_f32 v212, v3, v11, -v1
	s_clause 0x1
	scratch_load_b128 v[1:4], off, off offset:320
	scratch_load_b128 v[9:12], off, off offset:336
	s_wait_loadcnt_dscnt 0x100
	v_mul_f32_e32 v213, v5, v2
	v_dual_mul_f32 v2, v6, v2 :: v_dual_mul_f32 v215, v7, v4
	s_delay_alu instid0(VALU_DEP_2) | instskip(NEXT) | instid1(VALU_DEP_2)
	v_fmac_f32_e32 v213, v6, v1
	v_fma_f32 v214, v5, v1, -v2
	v_mul_f32_e32 v1, v8, v4
	s_delay_alu instid0(VALU_DEP_4) | instskip(NEXT) | instid1(VALU_DEP_2)
	v_fmac_f32_e32 v215, v8, v3
	v_fma_f32 v216, v7, v3, -v1
	ds_load_b128 v[1:4], v33 offset:848
	ds_load_b128 v[5:8], v33 offset:864
	s_wait_loadcnt_dscnt 0x1
	v_mul_f32_e32 v217, v1, v10
	v_mul_f32_e32 v219, v3, v12
	s_delay_alu instid0(VALU_DEP_2) | instskip(NEXT) | instid1(VALU_DEP_2)
	v_fmac_f32_e32 v217, v2, v9
	v_dual_mul_f32 v2, v2, v10 :: v_dual_fmac_f32 v219, v4, v11
	s_delay_alu instid0(VALU_DEP_1) | instskip(SKIP_1) | instid1(VALU_DEP_1)
	v_fma_f32 v218, v1, v9, -v2
	v_mul_f32_e32 v1, v4, v12
	v_fma_f32 v220, v3, v11, -v1
	s_clause 0x1
	scratch_load_b128 v[1:4], off, off offset:352
	scratch_load_b128 v[9:12], off, off offset:368
	s_wait_loadcnt_dscnt 0x100
	v_mul_f32_e32 v221, v5, v2
	v_dual_mul_f32 v2, v6, v2 :: v_dual_mul_f32 v223, v7, v4
	s_delay_alu instid0(VALU_DEP_2) | instskip(NEXT) | instid1(VALU_DEP_2)
	v_fmac_f32_e32 v221, v6, v1
	v_fma_f32 v222, v5, v1, -v2
	v_mul_f32_e32 v1, v8, v4
	s_delay_alu instid0(VALU_DEP_4) | instskip(NEXT) | instid1(VALU_DEP_2)
	v_fmac_f32_e32 v223, v8, v3
	v_fma_f32 v224, v7, v3, -v1
	ds_load_b128 v[1:4], v33 offset:880
	ds_load_b128 v[5:8], v33 offset:896
	s_wait_loadcnt_dscnt 0x1
	v_mul_f32_e32 v225, v1, v10
	v_mul_f32_e32 v227, v3, v12
	s_delay_alu instid0(VALU_DEP_2) | instskip(NEXT) | instid1(VALU_DEP_2)
	v_fmac_f32_e32 v225, v2, v9
	v_dual_mul_f32 v2, v2, v10 :: v_dual_fmac_f32 v227, v4, v11
	s_delay_alu instid0(VALU_DEP_1) | instskip(SKIP_1) | instid1(VALU_DEP_1)
	v_fma_f32 v226, v1, v9, -v2
	v_mul_f32_e32 v1, v4, v12
	v_fma_f32 v228, v3, v11, -v1
	s_clause 0x1
	scratch_load_b128 v[1:4], off, off offset:384
	scratch_load_b128 v[9:12], off, off offset:400
	s_wait_loadcnt_dscnt 0x100
	v_mul_f32_e32 v229, v5, v2
	v_dual_mul_f32 v2, v6, v2 :: v_dual_mul_f32 v231, v7, v4
	s_delay_alu instid0(VALU_DEP_2) | instskip(NEXT) | instid1(VALU_DEP_2)
	v_fmac_f32_e32 v229, v6, v1
	v_fma_f32 v230, v5, v1, -v2
	v_mul_f32_e32 v1, v8, v4
	s_delay_alu instid0(VALU_DEP_4) | instskip(NEXT) | instid1(VALU_DEP_2)
	v_fmac_f32_e32 v231, v8, v3
	v_fma_f32 v232, v7, v3, -v1
	ds_load_b128 v[1:4], v33 offset:912
	ds_load_b128 v[5:8], v33 offset:928
	s_wait_loadcnt_dscnt 0x1
	v_mul_f32_e32 v233, v1, v10
	v_mul_f32_e32 v235, v3, v12
	s_delay_alu instid0(VALU_DEP_2) | instskip(NEXT) | instid1(VALU_DEP_2)
	v_fmac_f32_e32 v233, v2, v9
	v_dual_mul_f32 v2, v2, v10 :: v_dual_fmac_f32 v235, v4, v11
	s_delay_alu instid0(VALU_DEP_1) | instskip(SKIP_1) | instid1(VALU_DEP_1)
	v_fma_f32 v234, v1, v9, -v2
	v_mul_f32_e32 v1, v4, v12
	v_fma_f32 v236, v3, v11, -v1
	s_clause 0x1
	scratch_load_b128 v[1:4], off, off offset:416
	scratch_load_b128 v[9:12], off, off offset:432
	s_wait_loadcnt_dscnt 0x100
	v_mul_f32_e32 v237, v5, v2
	v_mul_f32_e32 v2, v6, v2
	s_delay_alu instid0(VALU_DEP_2) | instskip(NEXT) | instid1(VALU_DEP_2)
	v_fmac_f32_e32 v237, v6, v1
	v_fma_f32 v238, v5, v1, -v2
	v_dual_mul_f32 v1, v8, v4 :: v_dual_add_f32 v2, 0, v34
	s_delay_alu instid0(VALU_DEP_1) | instskip(NEXT) | instid1(VALU_DEP_2)
	v_fma_f32 v240, v7, v3, -v1
	v_dual_add_f32 v1, 0, v21 :: v_dual_add_f32 v2, v2, v38
	s_delay_alu instid0(VALU_DEP_1) | instskip(NEXT) | instid1(VALU_DEP_1)
	v_dual_add_f32 v1, v1, v22 :: v_dual_add_f32 v2, v2, v23
	v_dual_add_f32 v1, v1, v25 :: v_dual_add_f32 v2, v2, v24
	s_delay_alu instid0(VALU_DEP_1) | instskip(NEXT) | instid1(VALU_DEP_1)
	v_dual_add_f32 v1, v1, v26 :: v_dual_add_f32 v2, v2, v39
	;; [unrolled: 3-line block ×10, first 2 shown]
	v_dual_add_f32 v1, v1, v58 :: v_dual_add_f32 v2, v2, v59
	s_delay_alu instid0(VALU_DEP_1) | instskip(SKIP_1) | instid1(VALU_DEP_2)
	v_dual_add_f32 v1, v1, v60 :: v_dual_add_f32 v2, v2, v61
	v_mul_f32_e32 v239, v7, v4
	v_dual_add_f32 v1, v1, v62 :: v_dual_add_f32 v2, v2, v63
	s_delay_alu instid0(VALU_DEP_1) | instskip(NEXT) | instid1(VALU_DEP_1)
	v_add_f32_e32 v1, v1, v64
	v_add_f32_e32 v1, v1, v66
	s_delay_alu instid0(VALU_DEP_1) | instskip(NEXT) | instid1(VALU_DEP_1)
	v_add_f32_e32 v1, v1, v68
	v_add_f32_e32 v1, v1, v198
	;; [unrolled: 3-line block ×6, first 2 shown]
	v_add_f32_e32 v2, v2, v65
	s_delay_alu instid0(VALU_DEP_2) | instskip(NEXT) | instid1(VALU_DEP_2)
	v_add_f32_e32 v14, v6, v216
	v_add_f32_e32 v2, v2, v67
	s_delay_alu instid0(VALU_DEP_2) | instskip(NEXT) | instid1(VALU_DEP_2)
	v_add_f32_e32 v14, v14, v218
	v_add_f32_e32 v2, v2, v197
	s_delay_alu instid0(VALU_DEP_2) | instskip(NEXT) | instid1(VALU_DEP_1)
	v_add_f32_e32 v17, v14, v220
	v_dual_add_f32 v2, v2, v199 :: v_dual_add_f32 v17, v17, v222
	s_delay_alu instid0(VALU_DEP_1) | instskip(NEXT) | instid1(VALU_DEP_1)
	v_dual_add_f32 v2, v2, v201 :: v_dual_add_f32 v17, v17, v224
	v_dual_add_f32 v2, v2, v203 :: v_dual_add_f32 v17, v17, v226
	s_delay_alu instid0(VALU_DEP_1) | instskip(NEXT) | instid1(VALU_DEP_2)
	v_add_f32_e32 v2, v2, v205
	v_add_f32_e32 v22, v17, v228
	s_delay_alu instid0(VALU_DEP_2) | instskip(NEXT) | instid1(VALU_DEP_2)
	v_add_f32_e32 v2, v2, v207
	v_dual_fmac_f32 v239, v8, v3 :: v_dual_add_f32 v22, v22, v230
	s_delay_alu instid0(VALU_DEP_2) | instskip(NEXT) | instid1(VALU_DEP_2)
	v_add_f32_e32 v2, v2, v209
	v_add_f32_e32 v22, v22, v232
	s_delay_alu instid0(VALU_DEP_2) | instskip(SKIP_4) | instid1(VALU_DEP_1)
	v_add_f32_e32 v5, v2, v211
	ds_load_b128 v[1:4], v33 offset:944
	v_add_f32_e32 v13, v5, v213
	scratch_load_b128 v[5:8], off, off offset:448
	v_add_f32_e32 v13, v13, v215
	v_add_f32_e32 v13, v13, v217
	s_delay_alu instid0(VALU_DEP_1)
	v_add_f32_e32 v18, v13, v219
	ds_load_b128 v[13:16], v33 offset:960
	s_wait_loadcnt_dscnt 0x101
	v_mul_f32_e32 v25, v1, v10
	v_mul_f32_e32 v10, v2, v10
	;; [unrolled: 1-line block ×3, first 2 shown]
	s_delay_alu instid0(VALU_DEP_3) | instskip(NEXT) | instid1(VALU_DEP_3)
	v_dual_mul_f32 v12, v4, v12 :: v_dual_fmac_f32 v25, v2, v9
	v_fma_f32 v27, v1, v9, -v10
	s_delay_alu instid0(VALU_DEP_3) | instskip(NEXT) | instid1(VALU_DEP_3)
	v_fmac_f32_e32 v26, v4, v11
	v_fma_f32 v28, v3, v11, -v12
	s_clause 0x1
	scratch_load_b128 v[1:4], off, off offset:464
	scratch_load_b128 v[9:12], off, off offset:480
	s_wait_loadcnt_dscnt 0x200
	v_mul_f32_e32 v30, v15, v8
	v_mul_f32_e32 v8, v16, v8
	v_dual_add_f32 v18, v18, v221 :: v_dual_mul_f32 v29, v13, v6
	v_mul_f32_e32 v6, v14, v6
	s_delay_alu instid0(VALU_DEP_4) | instskip(NEXT) | instid1(VALU_DEP_4)
	v_fmac_f32_e32 v30, v16, v7
	v_fma_f32 v32, v15, v7, -v8
	s_delay_alu instid0(VALU_DEP_4)
	v_add_f32_e32 v18, v18, v223
	v_fmac_f32_e32 v29, v14, v5
	v_fma_f32 v31, v13, v5, -v6
	ds_load_b128 v[5:8], v33 offset:976
	v_add_f32_e32 v21, v18, v225
	scratch_load_b128 v[17:20], off, off offset:496
	v_add_f32_e32 v21, v21, v227
	s_delay_alu instid0(VALU_DEP_1) | instskip(NEXT) | instid1(VALU_DEP_1)
	v_add_f32_e32 v21, v21, v229
	v_add_f32_e32 v13, v21, v231
	s_delay_alu instid0(VALU_DEP_1) | instskip(NEXT) | instid1(VALU_DEP_1)
	v_dual_add_f32 v21, v22, v234 :: v_dual_add_f32 v22, v13, v233
	v_add_f32_e32 v34, v21, v236
	ds_load_b128 v[13:16], v33 offset:992
	v_add_f32_e32 v38, v22, v235
	ds_load_b128 v[21:24], v33 offset:1008
	v_add_f32_e32 v33, v34, v238
	v_add_f32_e32 v34, v38, v237
	s_wait_loadcnt_dscnt 0x202
	v_mul_f32_e32 v38, v5, v2
	s_delay_alu instid0(VALU_DEP_3) | instskip(NEXT) | instid1(VALU_DEP_3)
	v_dual_add_f32 v33, v33, v240 :: v_dual_mul_f32 v2, v6, v2
	v_add_f32_e32 v34, v34, v239
	s_delay_alu instid0(VALU_DEP_2) | instskip(SKIP_1) | instid1(VALU_DEP_3)
	v_dual_fmac_f32 v38, v6, v1 :: v_dual_add_f32 v27, v33, v27
	v_mul_f32_e32 v33, v7, v4
	v_dual_mul_f32 v4, v8, v4 :: v_dual_add_f32 v25, v34, v25
	v_fma_f32 v2, v5, v1, -v2
	s_wait_loadcnt_dscnt 0x101
	v_dual_add_f32 v27, v27, v28 :: v_dual_mul_f32 v34, v13, v10
	v_mul_f32_e32 v6, v14, v10
	v_add_f32_e32 v25, v25, v26
	v_fmac_f32_e32 v33, v8, v3
	s_delay_alu instid0(VALU_DEP_4) | instskip(SKIP_3) | instid1(VALU_DEP_4)
	v_add_f32_e32 v27, v27, v31
	v_fma_f32 v3, v7, v3, -v4
	v_mul_f32_e32 v39, v15, v12
	v_dual_add_f32 v25, v25, v29 :: v_dual_mul_f32 v4, v16, v12
	v_dual_add_f32 v1, v27, v32 :: v_dual_fmac_f32 v34, v14, v9
	s_delay_alu instid0(VALU_DEP_3) | instskip(NEXT) | instid1(VALU_DEP_3)
	v_fmac_f32_e32 v39, v16, v11
	v_add_f32_e32 v5, v25, v30
	s_delay_alu instid0(VALU_DEP_4) | instskip(NEXT) | instid1(VALU_DEP_4)
	v_fma_f32 v4, v15, v11, -v4
	v_add_f32_e32 v1, v1, v2
	s_delay_alu instid0(VALU_DEP_3) | instskip(SKIP_1) | instid1(VALU_DEP_2)
	v_add_f32_e32 v2, v5, v38
	v_fma_f32 v5, v13, v9, -v6
	v_dual_add_f32 v1, v1, v3 :: v_dual_add_f32 v2, v2, v33
	s_delay_alu instid0(VALU_DEP_1) | instskip(NEXT) | instid1(VALU_DEP_1)
	v_dual_add_f32 v1, v1, v5 :: v_dual_add_f32 v2, v2, v34
	v_dual_add_f32 v1, v1, v4 :: v_dual_add_f32 v2, v2, v39
	s_wait_loadcnt_dscnt 0x0
	v_mul_f32_e32 v26, v21, v18
	v_dual_mul_f32 v3, v22, v18 :: v_dual_mul_f32 v28, v23, v20
	s_delay_alu instid0(VALU_DEP_2) | instskip(NEXT) | instid1(VALU_DEP_2)
	v_dual_mul_f32 v5, v24, v20 :: v_dual_fmac_f32 v26, v22, v17
	v_fma_f32 v3, v21, v17, -v3
	s_delay_alu instid0(VALU_DEP_3) | instskip(NEXT) | instid1(VALU_DEP_3)
	v_fmac_f32_e32 v28, v24, v19
	v_fma_f32 v4, v23, v19, -v5
	s_delay_alu instid0(VALU_DEP_3) | instskip(NEXT) | instid1(VALU_DEP_1)
	v_dual_add_f32 v2, v2, v26 :: v_dual_add_f32 v1, v1, v3
	v_add_f32_e32 v2, v2, v28
	s_delay_alu instid0(VALU_DEP_2) | instskip(NEXT) | instid1(VALU_DEP_1)
	v_add_f32_e32 v1, v1, v4
	v_dual_sub_f32 v2, v37, v2 :: v_dual_sub_f32 v1, v36, v1
	scratch_store_b64 off, v[1:2], off offset:40
	v_cmpx_lt_u32_e32 4, v0
	s_cbranch_execz .LBB63_389
; %bb.388:
	scratch_load_b64 v[1:2], off, off offset:32
	v_mov_b32_e32 v3, 0
	s_delay_alu instid0(VALU_DEP_1)
	v_mov_b32_e32 v4, v3
	scratch_store_b64 off, v[3:4], off offset:32
	s_wait_loadcnt 0x0
	ds_store_b64 v35, v[1:2]
.LBB63_389:
	s_wait_alu 0xfffe
	s_or_b32 exec_lo, exec_lo, s0
	s_wait_storecnt_dscnt 0x0
	s_barrier_signal -1
	s_barrier_wait -1
	global_inv scope:SCOPE_SE
	s_clause 0x4
	scratch_load_b128 v[5:8], off, off offset:40
	scratch_load_b128 v[1:4], off, off offset:56
	;; [unrolled: 1-line block ×5, first 2 shown]
	v_mov_b32_e32 v33, 0
	ds_load_2addr_b64 v[21:24], v33 offset0:69 offset1:70
	ds_load_2addr_b64 v[25:28], v33 offset0:71 offset1:72
	;; [unrolled: 1-line block ×3, first 2 shown]
	scratch_load_b64 v[36:37], off, off offset:32
	s_mov_b32 s0, exec_lo
	s_wait_loadcnt_dscnt 0x502
	v_mul_f32_e32 v34, v21, v6
	v_mul_f32_e32 v38, v23, v8
	;; [unrolled: 1-line block ×3, first 2 shown]
	s_wait_loadcnt_dscnt 0x300
	v_dual_mul_f32 v8, v24, v8 :: v_dual_mul_f32 v39, v29, v10
	v_fmac_f32_e32 v34, v22, v5
	v_mul_f32_e32 v40, v31, v12
	v_fma_f32 v21, v21, v5, -v6
	s_delay_alu instid0(VALU_DEP_4)
	v_fma_f32 v22, v23, v7, -v8
	v_dual_mul_f32 v23, v25, v2 :: v_dual_fmac_f32 v38, v24, v7
	ds_load_2addr_b64 v[5:8], v33 offset0:75 offset1:76
	v_dual_mul_f32 v24, v27, v4 :: v_dual_fmac_f32 v39, v30, v9
	v_mul_f32_e32 v2, v26, v2
	v_mul_f32_e32 v4, v28, v4
	;; [unrolled: 1-line block ×3, first 2 shown]
	s_delay_alu instid0(VALU_DEP_4) | instskip(NEXT) | instid1(VALU_DEP_4)
	v_dual_fmac_f32 v23, v26, v1 :: v_dual_fmac_f32 v24, v28, v3
	v_fma_f32 v25, v25, v1, -v2
	s_delay_alu instid0(VALU_DEP_4) | instskip(SKIP_4) | instid1(VALU_DEP_3)
	v_fma_f32 v26, v27, v3, -v4
	scratch_load_b128 v[1:4], off, off offset:120
	v_mul_f32_e32 v12, v32, v12
	v_fmac_f32_e32 v40, v32, v11
	v_fma_f32 v27, v29, v9, -v10
	v_fma_f32 v28, v31, v11, -v12
	ds_load_2addr_b64 v[9:12], v33 offset0:77 offset1:78
	s_wait_loadcnt_dscnt 0x301
	v_dual_mul_f32 v29, v5, v14 :: v_dual_mul_f32 v30, v7, v16
	v_mul_f32_e32 v14, v6, v14
	s_delay_alu instid0(VALU_DEP_2) | instskip(NEXT) | instid1(VALU_DEP_3)
	v_dual_mul_f32 v16, v8, v16 :: v_dual_fmac_f32 v29, v6, v13
	v_fmac_f32_e32 v30, v8, v15
	s_delay_alu instid0(VALU_DEP_3) | instskip(NEXT) | instid1(VALU_DEP_3)
	v_fma_f32 v13, v5, v13, -v14
	v_fma_f32 v14, v7, v15, -v16
	ds_load_2addr_b64 v[5:8], v33 offset0:79 offset1:80
	s_wait_loadcnt_dscnt 0x201
	v_dual_mul_f32 v15, v9, v18 :: v_dual_mul_f32 v16, v11, v20
	v_mul_f32_e32 v18, v10, v18
	s_delay_alu instid0(VALU_DEP_2) | instskip(NEXT) | instid1(VALU_DEP_3)
	v_dual_mul_f32 v20, v12, v20 :: v_dual_fmac_f32 v15, v10, v17
	v_fmac_f32_e32 v16, v12, v19
	s_delay_alu instid0(VALU_DEP_3) | instskip(NEXT) | instid1(VALU_DEP_3)
	v_fma_f32 v17, v9, v17, -v18
	v_fma_f32 v18, v11, v19, -v20
	scratch_load_b128 v[9:12], off, off offset:136
	s_wait_loadcnt_dscnt 0x100
	v_dual_mul_f32 v19, v5, v2 :: v_dual_mul_f32 v20, v7, v4
	v_mul_f32_e32 v2, v6, v2
	s_delay_alu instid0(VALU_DEP_2) | instskip(NEXT) | instid1(VALU_DEP_3)
	v_dual_mul_f32 v4, v8, v4 :: v_dual_fmac_f32 v19, v6, v1
	v_fmac_f32_e32 v20, v8, v3
	s_delay_alu instid0(VALU_DEP_3) | instskip(NEXT) | instid1(VALU_DEP_3)
	v_fma_f32 v31, v5, v1, -v2
	v_fma_f32 v32, v7, v3, -v4
	ds_load_2addr_b64 v[1:4], v33 offset0:81 offset1:82
	ds_load_2addr_b64 v[5:8], v33 offset0:83 offset1:84
	s_wait_loadcnt_dscnt 0x1
	v_mul_f32_e32 v41, v1, v10
	v_mul_f32_e32 v10, v2, v10
	s_delay_alu instid0(VALU_DEP_2) | instskip(NEXT) | instid1(VALU_DEP_2)
	v_dual_mul_f32 v42, v3, v12 :: v_dual_fmac_f32 v41, v2, v9
	v_fma_f32 v43, v1, v9, -v10
	v_mul_f32_e32 v1, v4, v12
	s_delay_alu instid0(VALU_DEP_3) | instskip(NEXT) | instid1(VALU_DEP_2)
	v_fmac_f32_e32 v42, v4, v11
	v_fma_f32 v44, v3, v11, -v1
	s_clause 0x1
	scratch_load_b128 v[1:4], off, off offset:152
	scratch_load_b128 v[9:12], off, off offset:168
	s_wait_loadcnt_dscnt 0x100
	v_mul_f32_e32 v45, v5, v2
	v_dual_mul_f32 v2, v6, v2 :: v_dual_mul_f32 v47, v7, v4
	s_delay_alu instid0(VALU_DEP_2) | instskip(NEXT) | instid1(VALU_DEP_2)
	v_fmac_f32_e32 v45, v6, v1
	v_fma_f32 v46, v5, v1, -v2
	v_mul_f32_e32 v1, v8, v4
	s_delay_alu instid0(VALU_DEP_4) | instskip(NEXT) | instid1(VALU_DEP_2)
	v_fmac_f32_e32 v47, v8, v3
	v_fma_f32 v48, v7, v3, -v1
	ds_load_2addr_b64 v[1:4], v33 offset0:85 offset1:86
	ds_load_2addr_b64 v[5:8], v33 offset0:87 offset1:88
	s_wait_loadcnt_dscnt 0x1
	v_mul_f32_e32 v49, v1, v10
	v_mul_f32_e32 v51, v3, v12
	s_delay_alu instid0(VALU_DEP_2) | instskip(NEXT) | instid1(VALU_DEP_2)
	v_fmac_f32_e32 v49, v2, v9
	v_dual_mul_f32 v2, v2, v10 :: v_dual_fmac_f32 v51, v4, v11
	s_delay_alu instid0(VALU_DEP_1) | instskip(SKIP_1) | instid1(VALU_DEP_1)
	v_fma_f32 v50, v1, v9, -v2
	v_mul_f32_e32 v1, v4, v12
	v_fma_f32 v52, v3, v11, -v1
	s_clause 0x1
	scratch_load_b128 v[1:4], off, off offset:184
	scratch_load_b128 v[9:12], off, off offset:200
	s_wait_loadcnt_dscnt 0x100
	v_mul_f32_e32 v53, v5, v2
	v_dual_mul_f32 v2, v6, v2 :: v_dual_mul_f32 v55, v7, v4
	s_delay_alu instid0(VALU_DEP_2) | instskip(NEXT) | instid1(VALU_DEP_2)
	v_fmac_f32_e32 v53, v6, v1
	v_fma_f32 v54, v5, v1, -v2
	v_mul_f32_e32 v1, v8, v4
	s_delay_alu instid0(VALU_DEP_4) | instskip(NEXT) | instid1(VALU_DEP_2)
	v_fmac_f32_e32 v55, v8, v3
	v_fma_f32 v56, v7, v3, -v1
	ds_load_2addr_b64 v[1:4], v33 offset0:89 offset1:90
	ds_load_2addr_b64 v[5:8], v33 offset0:91 offset1:92
	s_wait_loadcnt_dscnt 0x1
	v_mul_f32_e32 v57, v1, v10
	v_mul_f32_e32 v59, v3, v12
	s_delay_alu instid0(VALU_DEP_2) | instskip(NEXT) | instid1(VALU_DEP_2)
	v_fmac_f32_e32 v57, v2, v9
	v_dual_mul_f32 v2, v2, v10 :: v_dual_fmac_f32 v59, v4, v11
	s_delay_alu instid0(VALU_DEP_1) | instskip(SKIP_1) | instid1(VALU_DEP_1)
	v_fma_f32 v58, v1, v9, -v2
	v_mul_f32_e32 v1, v4, v12
	;; [unrolled: 25-line block ×8, first 2 shown]
	v_fma_f32 v236, v3, v11, -v1
	s_clause 0x1
	scratch_load_b128 v[1:4], off, off offset:408
	scratch_load_b128 v[9:12], off, off offset:424
	s_wait_loadcnt_dscnt 0x100
	v_mul_f32_e32 v237, v5, v2
	v_mul_f32_e32 v2, v6, v2
	s_delay_alu instid0(VALU_DEP_2) | instskip(NEXT) | instid1(VALU_DEP_2)
	v_fmac_f32_e32 v237, v6, v1
	v_fma_f32 v238, v5, v1, -v2
	v_dual_mul_f32 v1, v8, v4 :: v_dual_add_f32 v2, 0, v34
	s_delay_alu instid0(VALU_DEP_1) | instskip(NEXT) | instid1(VALU_DEP_2)
	v_fma_f32 v240, v7, v3, -v1
	v_dual_add_f32 v1, 0, v21 :: v_dual_add_f32 v2, v2, v38
	s_delay_alu instid0(VALU_DEP_1) | instskip(NEXT) | instid1(VALU_DEP_1)
	v_dual_add_f32 v1, v1, v22 :: v_dual_add_f32 v2, v2, v23
	v_dual_add_f32 v1, v1, v25 :: v_dual_add_f32 v2, v2, v24
	s_delay_alu instid0(VALU_DEP_1) | instskip(SKIP_2) | instid1(VALU_DEP_1)
	v_add_f32_e32 v1, v1, v26
	scratch_load_b64 v[25:26], off, off offset:504
	v_add_f32_e32 v2, v2, v39
	v_dual_add_f32 v1, v1, v27 :: v_dual_add_f32 v2, v2, v40
	s_delay_alu instid0(VALU_DEP_1) | instskip(NEXT) | instid1(VALU_DEP_1)
	v_dual_add_f32 v1, v1, v28 :: v_dual_add_f32 v2, v2, v29
	v_dual_add_f32 v1, v1, v13 :: v_dual_add_f32 v2, v2, v30
	s_delay_alu instid0(VALU_DEP_1) | instskip(NEXT) | instid1(VALU_DEP_1)
	v_dual_add_f32 v1, v1, v14 :: v_dual_add_f32 v2, v2, v15
	;; [unrolled: 3-line block ×8, first 2 shown]
	v_dual_add_f32 v1, v1, v58 :: v_dual_add_f32 v2, v2, v59
	s_delay_alu instid0(VALU_DEP_1) | instskip(NEXT) | instid1(VALU_DEP_1)
	v_add_f32_e32 v1, v1, v60
	v_add_f32_e32 v1, v1, v62
	s_delay_alu instid0(VALU_DEP_1) | instskip(NEXT) | instid1(VALU_DEP_1)
	v_add_f32_e32 v1, v1, v64
	v_add_f32_e32 v1, v1, v66
	;; [unrolled: 3-line block ×7, first 2 shown]
	v_dual_add_f32 v2, v2, v61 :: v_dual_mul_f32 v239, v7, v4
	s_delay_alu instid0(VALU_DEP_2) | instskip(NEXT) | instid1(VALU_DEP_2)
	v_add_f32_e32 v14, v6, v216
	v_add_f32_e32 v2, v2, v63
	s_delay_alu instid0(VALU_DEP_2) | instskip(NEXT) | instid1(VALU_DEP_2)
	v_add_f32_e32 v14, v14, v218
	v_add_f32_e32 v2, v2, v65
	s_delay_alu instid0(VALU_DEP_2) | instskip(NEXT) | instid1(VALU_DEP_1)
	v_add_f32_e32 v17, v14, v220
	v_dual_add_f32 v2, v2, v67 :: v_dual_add_f32 v17, v17, v222
	s_delay_alu instid0(VALU_DEP_1) | instskip(NEXT) | instid1(VALU_DEP_1)
	v_dual_add_f32 v2, v2, v197 :: v_dual_add_f32 v17, v17, v224
	v_dual_add_f32 v2, v2, v199 :: v_dual_add_f32 v17, v17, v226
	s_delay_alu instid0(VALU_DEP_1) | instskip(NEXT) | instid1(VALU_DEP_2)
	v_add_f32_e32 v2, v2, v201
	v_add_f32_e32 v22, v17, v228
	s_delay_alu instid0(VALU_DEP_2) | instskip(NEXT) | instid1(VALU_DEP_2)
	v_add_f32_e32 v2, v2, v203
	v_dual_fmac_f32 v239, v8, v3 :: v_dual_add_f32 v22, v22, v230
	s_delay_alu instid0(VALU_DEP_2) | instskip(NEXT) | instid1(VALU_DEP_2)
	v_add_f32_e32 v2, v2, v205
	v_add_f32_e32 v22, v22, v232
	s_delay_alu instid0(VALU_DEP_2) | instskip(NEXT) | instid1(VALU_DEP_2)
	v_add_f32_e32 v2, v2, v207
	v_add_f32_e32 v22, v22, v234
	s_delay_alu instid0(VALU_DEP_2) | instskip(NEXT) | instid1(VALU_DEP_1)
	v_add_f32_e32 v2, v2, v209
	v_add_f32_e32 v5, v2, v211
	scratch_load_b128 v[1:4], off, off offset:440
	v_add_f32_e32 v13, v5, v213
	ds_load_2addr_b64 v[5:8], v33 offset0:117 offset1:118
	v_add_f32_e32 v13, v13, v215
	s_delay_alu instid0(VALU_DEP_1) | instskip(NEXT) | instid1(VALU_DEP_1)
	v_add_f32_e32 v13, v13, v217
	v_add_f32_e32 v18, v13, v219
	ds_load_2addr_b64 v[13:16], v33 offset0:119 offset1:120
	s_wait_loadcnt_dscnt 0x201
	v_mul_f32_e32 v29, v5, v10
	v_mul_f32_e32 v10, v6, v10
	;; [unrolled: 1-line block ×3, first 2 shown]
	s_delay_alu instid0(VALU_DEP_3) | instskip(NEXT) | instid1(VALU_DEP_3)
	v_dual_mul_f32 v12, v8, v12 :: v_dual_fmac_f32 v29, v6, v9
	v_fma_f32 v31, v5, v9, -v10
	s_delay_alu instid0(VALU_DEP_3) | instskip(NEXT) | instid1(VALU_DEP_3)
	v_fmac_f32_e32 v30, v8, v11
	v_fma_f32 v32, v7, v11, -v12
	s_clause 0x1
	scratch_load_b128 v[5:8], off, off offset:456
	scratch_load_b128 v[9:12], off, off offset:472
	s_wait_loadcnt_dscnt 0x200
	v_mul_f32_e32 v38, v15, v4
	v_mul_f32_e32 v4, v16, v4
	v_add_f32_e32 v18, v18, v221
	v_mul_f32_e32 v34, v13, v2
	v_mul_f32_e32 v2, v14, v2
	v_fmac_f32_e32 v38, v16, v3
	v_fma_f32 v40, v15, v3, -v4
	v_add_f32_e32 v18, v18, v223
	v_fmac_f32_e32 v34, v14, v1
	v_fma_f32 v39, v13, v1, -v2
	v_add_f32_e32 v14, v22, v236
	ds_load_2addr_b64 v[1:4], v33 offset0:121 offset1:122
	v_add_f32_e32 v21, v18, v225
	scratch_load_b128 v[17:20], off, off offset:488
	v_add_f32_e32 v21, v21, v227
	s_delay_alu instid0(VALU_DEP_1) | instskip(NEXT) | instid1(VALU_DEP_1)
	v_add_f32_e32 v21, v21, v229
	v_add_f32_e32 v21, v21, v231
	s_delay_alu instid0(VALU_DEP_1) | instskip(NEXT) | instid1(VALU_DEP_1)
	v_add_f32_e32 v13, v21, v233
	v_add_f32_e32 v21, v13, v235
	s_delay_alu instid0(VALU_DEP_1) | instskip(SKIP_2) | instid1(VALU_DEP_1)
	v_add_f32_e32 v28, v21, v237
	ds_load_2addr_b64 v[21:24], v33 offset0:125 offset1:126
	v_add_f32_e32 v42, v28, v239
	v_add_f32_e32 v29, v42, v29
	s_delay_alu instid0(VALU_DEP_1) | instskip(NEXT) | instid1(VALU_DEP_1)
	v_add_f32_e32 v29, v29, v30
	v_add_f32_e32 v29, v29, v34
	s_delay_alu instid0(VALU_DEP_1)
	v_add_f32_e32 v29, v29, v38
	v_add_f32_e32 v27, v14, v238
	ds_load_2addr_b64 v[13:16], v33 offset0:123 offset1:124
	s_wait_loadcnt_dscnt 0x202
	v_mul_f32_e32 v30, v3, v8
	v_mul_f32_e32 v8, v4, v8
	v_add_f32_e32 v41, v27, v240
	ds_load_b64 v[27:28], v33 offset:1016
	v_fmac_f32_e32 v30, v4, v7
	v_add_f32_e32 v31, v41, v31
	v_mul_f32_e32 v41, v1, v6
	s_delay_alu instid0(VALU_DEP_2) | instskip(NEXT) | instid1(VALU_DEP_2)
	v_dual_mul_f32 v6, v2, v6 :: v_dual_add_f32 v31, v31, v32
	v_fmac_f32_e32 v41, v2, v5
	s_delay_alu instid0(VALU_DEP_2)
	v_fma_f32 v1, v1, v5, -v6
	v_fma_f32 v2, v3, v7, -v8
	s_wait_loadcnt_dscnt 0x101
	v_dual_add_f32 v31, v31, v39 :: v_dual_mul_f32 v32, v13, v10
	v_dual_mul_f32 v3, v14, v10 :: v_dual_add_f32 v4, v29, v41
	v_mul_f32_e32 v34, v15, v12
	s_delay_alu instid0(VALU_DEP_3) | instskip(NEXT) | instid1(VALU_DEP_4)
	v_add_f32_e32 v31, v31, v40
	v_dual_mul_f32 v5, v16, v12 :: v_dual_fmac_f32 v32, v14, v9
	s_delay_alu instid0(VALU_DEP_4) | instskip(NEXT) | instid1(VALU_DEP_3)
	v_fma_f32 v3, v13, v9, -v3
	v_dual_fmac_f32 v34, v16, v11 :: v_dual_add_f32 v1, v31, v1
	s_delay_alu instid0(VALU_DEP_3) | instskip(SKIP_2) | instid1(VALU_DEP_3)
	v_fma_f32 v5, v15, v11, -v5
	s_wait_dscnt 0x0
	v_mul_f32_e32 v38, v27, v26
	v_add_f32_e32 v1, v1, v2
	v_add_f32_e32 v2, v4, v30
	s_delay_alu instid0(VALU_DEP_2) | instskip(NEXT) | instid1(VALU_DEP_1)
	v_dual_fmac_f32 v38, v28, v25 :: v_dual_add_f32 v1, v1, v3
	v_dual_add_f32 v2, v2, v32 :: v_dual_add_f32 v1, v1, v5
	s_delay_alu instid0(VALU_DEP_1)
	v_add_f32_e32 v2, v2, v34
	v_mul_f32_e32 v5, v28, v26
	s_wait_loadcnt 0x0
	v_mul_f32_e32 v39, v21, v18
	v_mul_f32_e32 v4, v22, v18
	;; [unrolled: 1-line block ×4, first 2 shown]
	s_delay_alu instid0(VALU_DEP_4) | instskip(NEXT) | instid1(VALU_DEP_4)
	v_fmac_f32_e32 v39, v22, v17
	v_fma_f32 v4, v21, v17, -v4
	s_delay_alu instid0(VALU_DEP_4) | instskip(NEXT) | instid1(VALU_DEP_4)
	v_fmac_f32_e32 v40, v24, v19
	v_fma_f32 v3, v23, v19, -v3
	s_delay_alu instid0(VALU_DEP_3) | instskip(SKIP_1) | instid1(VALU_DEP_2)
	v_dual_add_f32 v2, v2, v39 :: v_dual_add_f32 v1, v1, v4
	v_fma_f32 v4, v27, v25, -v5
	v_dual_add_f32 v2, v2, v40 :: v_dual_add_f32 v1, v1, v3
	s_delay_alu instid0(VALU_DEP_1) | instskip(NEXT) | instid1(VALU_DEP_1)
	v_dual_add_f32 v2, v2, v38 :: v_dual_add_f32 v1, v1, v4
	v_dual_sub_f32 v2, v37, v2 :: v_dual_sub_f32 v1, v36, v1
	scratch_store_b64 off, v[1:2], off offset:32
	v_cmpx_lt_u32_e32 3, v0
	s_cbranch_execz .LBB63_391
; %bb.390:
	scratch_load_b64 v[1:2], off, off offset:24
	v_mov_b32_e32 v34, v33
	scratch_store_b64 off, v[33:34], off offset:24
	s_wait_loadcnt 0x0
	ds_store_b64 v35, v[1:2]
.LBB63_391:
	s_wait_alu 0xfffe
	s_or_b32 exec_lo, exec_lo, s0
	s_wait_storecnt_dscnt 0x0
	s_barrier_signal -1
	s_barrier_wait -1
	global_inv scope:SCOPE_SE
	s_clause 0x4
	scratch_load_b128 v[5:8], off, off offset:32
	scratch_load_b128 v[1:4], off, off offset:48
	;; [unrolled: 1-line block ×5, first 2 shown]
	ds_load_b128 v[21:24], v33 offset:544
	ds_load_b128 v[25:28], v33 offset:560
	;; [unrolled: 1-line block ×3, first 2 shown]
	scratch_load_b64 v[36:37], off, off offset:24
	s_mov_b32 s0, exec_lo
	s_wait_loadcnt_dscnt 0x502
	v_mul_f32_e32 v34, v21, v6
	v_mul_f32_e32 v38, v23, v8
	;; [unrolled: 1-line block ×3, first 2 shown]
	s_wait_loadcnt_dscnt 0x300
	v_dual_mul_f32 v8, v24, v8 :: v_dual_mul_f32 v39, v29, v10
	v_fmac_f32_e32 v34, v22, v5
	v_mul_f32_e32 v40, v31, v12
	v_fma_f32 v21, v21, v5, -v6
	s_delay_alu instid0(VALU_DEP_4)
	v_fma_f32 v22, v23, v7, -v8
	v_dual_mul_f32 v23, v25, v2 :: v_dual_fmac_f32 v38, v24, v7
	v_fmac_f32_e32 v39, v30, v9
	ds_load_b128 v[5:8], v33 offset:592
	v_mul_f32_e32 v24, v27, v4
	v_mul_f32_e32 v2, v26, v2
	v_mul_f32_e32 v4, v28, v4
	v_mul_f32_e32 v10, v30, v10
	s_delay_alu instid0(VALU_DEP_4) | instskip(NEXT) | instid1(VALU_DEP_4)
	v_dual_fmac_f32 v23, v26, v1 :: v_dual_fmac_f32 v24, v28, v3
	v_fma_f32 v25, v25, v1, -v2
	s_delay_alu instid0(VALU_DEP_4) | instskip(SKIP_4) | instid1(VALU_DEP_3)
	v_fma_f32 v26, v27, v3, -v4
	scratch_load_b128 v[1:4], off, off offset:112
	v_mul_f32_e32 v12, v32, v12
	v_fmac_f32_e32 v40, v32, v11
	v_fma_f32 v27, v29, v9, -v10
	v_fma_f32 v28, v31, v11, -v12
	ds_load_b128 v[9:12], v33 offset:608
	s_wait_loadcnt_dscnt 0x301
	v_dual_mul_f32 v29, v5, v14 :: v_dual_mul_f32 v30, v7, v16
	v_mul_f32_e32 v14, v6, v14
	s_delay_alu instid0(VALU_DEP_2) | instskip(NEXT) | instid1(VALU_DEP_3)
	v_dual_mul_f32 v16, v8, v16 :: v_dual_fmac_f32 v29, v6, v13
	v_fmac_f32_e32 v30, v8, v15
	s_delay_alu instid0(VALU_DEP_3) | instskip(NEXT) | instid1(VALU_DEP_3)
	v_fma_f32 v13, v5, v13, -v14
	v_fma_f32 v14, v7, v15, -v16
	ds_load_b128 v[5:8], v33 offset:624
	s_wait_loadcnt_dscnt 0x201
	v_dual_mul_f32 v15, v9, v18 :: v_dual_mul_f32 v16, v11, v20
	v_mul_f32_e32 v18, v10, v18
	s_delay_alu instid0(VALU_DEP_2) | instskip(NEXT) | instid1(VALU_DEP_3)
	v_dual_mul_f32 v20, v12, v20 :: v_dual_fmac_f32 v15, v10, v17
	v_fmac_f32_e32 v16, v12, v19
	s_delay_alu instid0(VALU_DEP_3) | instskip(NEXT) | instid1(VALU_DEP_3)
	v_fma_f32 v17, v9, v17, -v18
	v_fma_f32 v18, v11, v19, -v20
	scratch_load_b128 v[9:12], off, off offset:128
	s_wait_loadcnt_dscnt 0x100
	v_dual_mul_f32 v19, v5, v2 :: v_dual_mul_f32 v20, v7, v4
	v_mul_f32_e32 v2, v6, v2
	s_delay_alu instid0(VALU_DEP_2) | instskip(NEXT) | instid1(VALU_DEP_3)
	v_dual_mul_f32 v4, v8, v4 :: v_dual_fmac_f32 v19, v6, v1
	v_fmac_f32_e32 v20, v8, v3
	s_delay_alu instid0(VALU_DEP_3) | instskip(NEXT) | instid1(VALU_DEP_3)
	v_fma_f32 v31, v5, v1, -v2
	v_fma_f32 v32, v7, v3, -v4
	ds_load_b128 v[1:4], v33 offset:640
	ds_load_b128 v[5:8], v33 offset:656
	s_wait_loadcnt_dscnt 0x1
	v_mul_f32_e32 v41, v1, v10
	v_mul_f32_e32 v10, v2, v10
	s_delay_alu instid0(VALU_DEP_2) | instskip(NEXT) | instid1(VALU_DEP_2)
	v_dual_mul_f32 v42, v3, v12 :: v_dual_fmac_f32 v41, v2, v9
	v_fma_f32 v43, v1, v9, -v10
	v_mul_f32_e32 v1, v4, v12
	s_delay_alu instid0(VALU_DEP_3) | instskip(NEXT) | instid1(VALU_DEP_2)
	v_fmac_f32_e32 v42, v4, v11
	v_fma_f32 v44, v3, v11, -v1
	s_clause 0x1
	scratch_load_b128 v[1:4], off, off offset:144
	scratch_load_b128 v[9:12], off, off offset:160
	s_wait_loadcnt_dscnt 0x100
	v_mul_f32_e32 v45, v5, v2
	v_dual_mul_f32 v2, v6, v2 :: v_dual_mul_f32 v47, v7, v4
	s_delay_alu instid0(VALU_DEP_2) | instskip(NEXT) | instid1(VALU_DEP_2)
	v_fmac_f32_e32 v45, v6, v1
	v_fma_f32 v46, v5, v1, -v2
	v_mul_f32_e32 v1, v8, v4
	s_delay_alu instid0(VALU_DEP_4) | instskip(NEXT) | instid1(VALU_DEP_2)
	v_fmac_f32_e32 v47, v8, v3
	v_fma_f32 v48, v7, v3, -v1
	ds_load_b128 v[1:4], v33 offset:672
	ds_load_b128 v[5:8], v33 offset:688
	s_wait_loadcnt_dscnt 0x1
	v_mul_f32_e32 v49, v1, v10
	v_mul_f32_e32 v51, v3, v12
	s_delay_alu instid0(VALU_DEP_2) | instskip(NEXT) | instid1(VALU_DEP_2)
	v_fmac_f32_e32 v49, v2, v9
	v_dual_mul_f32 v2, v2, v10 :: v_dual_fmac_f32 v51, v4, v11
	s_delay_alu instid0(VALU_DEP_1) | instskip(SKIP_1) | instid1(VALU_DEP_1)
	v_fma_f32 v50, v1, v9, -v2
	v_mul_f32_e32 v1, v4, v12
	v_fma_f32 v52, v3, v11, -v1
	s_clause 0x1
	scratch_load_b128 v[1:4], off, off offset:176
	scratch_load_b128 v[9:12], off, off offset:192
	s_wait_loadcnt_dscnt 0x100
	v_mul_f32_e32 v53, v5, v2
	v_dual_mul_f32 v2, v6, v2 :: v_dual_mul_f32 v55, v7, v4
	s_delay_alu instid0(VALU_DEP_2) | instskip(NEXT) | instid1(VALU_DEP_2)
	v_fmac_f32_e32 v53, v6, v1
	v_fma_f32 v54, v5, v1, -v2
	v_mul_f32_e32 v1, v8, v4
	s_delay_alu instid0(VALU_DEP_4) | instskip(NEXT) | instid1(VALU_DEP_2)
	v_fmac_f32_e32 v55, v8, v3
	v_fma_f32 v56, v7, v3, -v1
	ds_load_b128 v[1:4], v33 offset:704
	ds_load_b128 v[5:8], v33 offset:720
	s_wait_loadcnt_dscnt 0x1
	v_mul_f32_e32 v57, v1, v10
	v_mul_f32_e32 v59, v3, v12
	s_delay_alu instid0(VALU_DEP_2) | instskip(NEXT) | instid1(VALU_DEP_2)
	v_fmac_f32_e32 v57, v2, v9
	v_dual_mul_f32 v2, v2, v10 :: v_dual_fmac_f32 v59, v4, v11
	s_delay_alu instid0(VALU_DEP_1) | instskip(SKIP_1) | instid1(VALU_DEP_1)
	v_fma_f32 v58, v1, v9, -v2
	v_mul_f32_e32 v1, v4, v12
	;; [unrolled: 25-line block ×9, first 2 shown]
	v_fma_f32 v244, v3, v11, -v1
	s_clause 0x1
	scratch_load_b128 v[1:4], off, off offset:432
	scratch_load_b128 v[9:12], off, off offset:448
	s_wait_loadcnt_dscnt 0x100
	v_mul_f32_e32 v245, v5, v2
	v_mul_f32_e32 v2, v6, v2
	s_delay_alu instid0(VALU_DEP_2) | instskip(NEXT) | instid1(VALU_DEP_2)
	v_fmac_f32_e32 v245, v6, v1
	v_fma_f32 v246, v5, v1, -v2
	v_dual_mul_f32 v1, v8, v4 :: v_dual_add_f32 v2, 0, v34
	s_delay_alu instid0(VALU_DEP_1) | instskip(NEXT) | instid1(VALU_DEP_2)
	v_fma_f32 v248, v7, v3, -v1
	v_dual_add_f32 v1, 0, v21 :: v_dual_add_f32 v2, v2, v38
	s_delay_alu instid0(VALU_DEP_1) | instskip(NEXT) | instid1(VALU_DEP_1)
	v_dual_add_f32 v1, v1, v22 :: v_dual_add_f32 v2, v2, v23
	v_dual_add_f32 v1, v1, v25 :: v_dual_add_f32 v2, v2, v24
	s_delay_alu instid0(VALU_DEP_1) | instskip(NEXT) | instid1(VALU_DEP_1)
	v_dual_add_f32 v1, v1, v26 :: v_dual_add_f32 v2, v2, v39
	;; [unrolled: 3-line block ×11, first 2 shown]
	v_dual_add_f32 v1, v1, v62 :: v_dual_add_f32 v2, v2, v63
	s_delay_alu instid0(VALU_DEP_1) | instskip(NEXT) | instid1(VALU_DEP_1)
	v_add_f32_e32 v1, v1, v64
	v_add_f32_e32 v1, v1, v66
	s_delay_alu instid0(VALU_DEP_1) | instskip(NEXT) | instid1(VALU_DEP_1)
	v_add_f32_e32 v1, v1, v68
	v_add_f32_e32 v1, v1, v198
	;; [unrolled: 3-line block ×7, first 2 shown]
	s_delay_alu instid0(VALU_DEP_1) | instskip(SKIP_1) | instid1(VALU_DEP_2)
	v_add_f32_e32 v6, v1, v220
	v_add_f32_e32 v2, v2, v65
	;; [unrolled: 1-line block ×3, first 2 shown]
	s_delay_alu instid0(VALU_DEP_2) | instskip(NEXT) | instid1(VALU_DEP_2)
	v_dual_add_f32 v2, v2, v67 :: v_dual_mul_f32 v247, v7, v4
	v_add_f32_e32 v13, v6, v224
	s_delay_alu instid0(VALU_DEP_2) | instskip(NEXT) | instid1(VALU_DEP_1)
	v_dual_add_f32 v2, v2, v197 :: v_dual_fmac_f32 v247, v8, v3
	v_dual_add_f32 v13, v13, v226 :: v_dual_add_f32 v2, v2, v199
	s_delay_alu instid0(VALU_DEP_1) | instskip(NEXT) | instid1(VALU_DEP_1)
	v_dual_add_f32 v13, v13, v228 :: v_dual_add_f32 v2, v2, v201
	v_dual_add_f32 v13, v13, v230 :: v_dual_add_f32 v2, v2, v203
	s_delay_alu instid0(VALU_DEP_1) | instskip(NEXT) | instid1(VALU_DEP_2)
	v_add_f32_e32 v18, v13, v232
	v_add_f32_e32 v2, v2, v205
	s_delay_alu instid0(VALU_DEP_2) | instskip(NEXT) | instid1(VALU_DEP_2)
	v_add_f32_e32 v18, v18, v234
	v_add_f32_e32 v2, v2, v207
	s_delay_alu instid0(VALU_DEP_2) | instskip(NEXT) | instid1(VALU_DEP_2)
	v_add_f32_e32 v18, v18, v236
	v_add_f32_e32 v2, v2, v209
	s_delay_alu instid0(VALU_DEP_2) | instskip(NEXT) | instid1(VALU_DEP_1)
	v_add_f32_e32 v21, v18, v238
	v_dual_add_f32 v2, v2, v211 :: v_dual_add_f32 v29, v21, v240
	s_delay_alu instid0(VALU_DEP_1) | instskip(NEXT) | instid1(VALU_DEP_1)
	v_dual_add_f32 v2, v2, v213 :: v_dual_add_f32 v29, v29, v242
	v_dual_add_f32 v2, v2, v215 :: v_dual_add_f32 v29, v29, v244
	s_delay_alu instid0(VALU_DEP_1) | instskip(SKIP_3) | instid1(VALU_DEP_2)
	v_add_f32_e32 v5, v2, v217
	ds_load_b128 v[1:4], v33 offset:960
	v_add_f32_e32 v29, v29, v246
	v_add_f32_e32 v5, v5, v219
	;; [unrolled: 1-line block ×3, first 2 shown]
	s_delay_alu instid0(VALU_DEP_2) | instskip(NEXT) | instid1(VALU_DEP_1)
	v_add_f32_e32 v5, v5, v221
	v_add_f32_e32 v14, v5, v223
	ds_load_b128 v[5:8], v33 offset:976
	s_wait_loadcnt_dscnt 0x1
	v_dual_add_f32 v14, v14, v225 :: v_dual_mul_f32 v25, v1, v10
	v_mul_f32_e32 v26, v3, v12
	v_mul_f32_e32 v10, v2, v10
	;; [unrolled: 1-line block ×3, first 2 shown]
	s_delay_alu instid0(VALU_DEP_4) | instskip(NEXT) | instid1(VALU_DEP_4)
	v_add_f32_e32 v14, v14, v227
	v_dual_fmac_f32 v25, v2, v9 :: v_dual_fmac_f32 v26, v4, v11
	s_delay_alu instid0(VALU_DEP_4) | instskip(NEXT) | instid1(VALU_DEP_4)
	v_fma_f32 v27, v1, v9, -v10
	v_fma_f32 v28, v3, v11, -v12
	s_clause 0x1
	scratch_load_b128 v[1:4], off, off offset:464
	scratch_load_b128 v[9:12], off, off offset:480
	s_wait_loadcnt_dscnt 0x100
	v_dual_add_f32 v27, v29, v27 :: v_dual_mul_f32 v32, v7, v4
	v_dual_mul_f32 v4, v8, v4 :: v_dual_add_f32 v17, v14, v229
	scratch_load_b128 v[13:16], off, off offset:496
	v_dual_mul_f32 v31, v5, v2 :: v_dual_fmac_f32 v32, v8, v3
	v_fma_f32 v3, v7, v3, -v4
	v_dual_add_f32 v17, v17, v231 :: v_dual_mul_f32 v2, v6, v2
	s_delay_alu instid0(VALU_DEP_3) | instskip(NEXT) | instid1(VALU_DEP_2)
	v_fmac_f32_e32 v31, v6, v1
	v_add_f32_e32 v17, v17, v233
	s_delay_alu instid0(VALU_DEP_3) | instskip(SKIP_1) | instid1(VALU_DEP_3)
	v_fma_f32 v2, v5, v1, -v2
	v_add_f32_e32 v1, v27, v28
	v_add_f32_e32 v17, v17, v235
	s_delay_alu instid0(VALU_DEP_2) | instskip(NEXT) | instid1(VALU_DEP_2)
	v_add_f32_e32 v1, v1, v2
	v_add_f32_e32 v22, v17, v237
	ds_load_b128 v[17:20], v33 offset:992
	v_add_f32_e32 v1, v1, v3
	v_add_f32_e32 v30, v22, v239
	ds_load_b128 v[21:24], v33 offset:1008
	s_wait_loadcnt_dscnt 0x101
	v_mul_f32_e32 v4, v20, v12
	v_add_f32_e32 v30, v30, v241
	v_dual_mul_f32 v34, v19, v12 :: v_dual_mul_f32 v33, v17, v10
	v_mul_f32_e32 v6, v18, v10
	s_delay_alu instid0(VALU_DEP_4) | instskip(NEXT) | instid1(VALU_DEP_4)
	v_fma_f32 v4, v19, v11, -v4
	v_add_f32_e32 v30, v30, v243
	s_delay_alu instid0(VALU_DEP_4) | instskip(NEXT) | instid1(VALU_DEP_2)
	v_dual_fmac_f32 v34, v20, v11 :: v_dual_fmac_f32 v33, v18, v9
	v_add_f32_e32 v30, v30, v245
	s_delay_alu instid0(VALU_DEP_1) | instskip(NEXT) | instid1(VALU_DEP_1)
	v_add_f32_e32 v30, v30, v247
	v_add_f32_e32 v25, v30, v25
	s_delay_alu instid0(VALU_DEP_1) | instskip(NEXT) | instid1(VALU_DEP_1)
	v_add_f32_e32 v5, v25, v26
	v_add_f32_e32 v2, v5, v31
	v_fma_f32 v5, v17, v9, -v6
	s_delay_alu instid0(VALU_DEP_1) | instskip(NEXT) | instid1(VALU_DEP_1)
	v_dual_add_f32 v2, v2, v32 :: v_dual_add_f32 v1, v1, v5
	v_dual_add_f32 v2, v2, v33 :: v_dual_add_f32 v1, v1, v4
	s_delay_alu instid0(VALU_DEP_1) | instskip(SKIP_4) | instid1(VALU_DEP_3)
	v_add_f32_e32 v2, v2, v34
	s_wait_loadcnt_dscnt 0x0
	v_mul_f32_e32 v38, v21, v14
	v_mul_f32_e32 v3, v22, v14
	;; [unrolled: 1-line block ×3, first 2 shown]
	v_dual_mul_f32 v5, v24, v16 :: v_dual_fmac_f32 v38, v22, v13
	s_delay_alu instid0(VALU_DEP_3) | instskip(NEXT) | instid1(VALU_DEP_3)
	v_fma_f32 v3, v21, v13, -v3
	v_fmac_f32_e32 v29, v24, v15
	s_delay_alu instid0(VALU_DEP_3) | instskip(NEXT) | instid1(VALU_DEP_3)
	v_fma_f32 v4, v23, v15, -v5
	v_dual_add_f32 v2, v2, v38 :: v_dual_add_f32 v1, v1, v3
	s_delay_alu instid0(VALU_DEP_1) | instskip(NEXT) | instid1(VALU_DEP_1)
	v_dual_add_f32 v2, v2, v29 :: v_dual_add_f32 v1, v1, v4
	v_dual_sub_f32 v2, v37, v2 :: v_dual_sub_f32 v1, v36, v1
	scratch_store_b64 off, v[1:2], off offset:24
	v_cmpx_lt_u32_e32 2, v0
	s_cbranch_execz .LBB63_393
; %bb.392:
	scratch_load_b64 v[1:2], off, off offset:16
	v_mov_b32_e32 v3, 0
	s_delay_alu instid0(VALU_DEP_1)
	v_mov_b32_e32 v4, v3
	scratch_store_b64 off, v[3:4], off offset:16
	s_wait_loadcnt 0x0
	ds_store_b64 v35, v[1:2]
.LBB63_393:
	s_wait_alu 0xfffe
	s_or_b32 exec_lo, exec_lo, s0
	s_wait_storecnt_dscnt 0x0
	s_barrier_signal -1
	s_barrier_wait -1
	global_inv scope:SCOPE_SE
	s_clause 0x4
	scratch_load_b128 v[5:8], off, off offset:24
	scratch_load_b128 v[1:4], off, off offset:40
	;; [unrolled: 1-line block ×5, first 2 shown]
	v_mov_b32_e32 v33, 0
	ds_load_2addr_b64 v[21:24], v33 offset0:67 offset1:68
	ds_load_2addr_b64 v[25:28], v33 offset0:69 offset1:70
	;; [unrolled: 1-line block ×3, first 2 shown]
	scratch_load_b64 v[36:37], off, off offset:16
	s_mov_b32 s0, exec_lo
	s_wait_loadcnt_dscnt 0x502
	v_mul_f32_e32 v34, v21, v6
	v_mul_f32_e32 v38, v23, v8
	;; [unrolled: 1-line block ×3, first 2 shown]
	s_wait_loadcnt_dscnt 0x300
	v_dual_mul_f32 v8, v24, v8 :: v_dual_mul_f32 v39, v29, v10
	v_fmac_f32_e32 v34, v22, v5
	v_mul_f32_e32 v40, v31, v12
	v_fma_f32 v21, v21, v5, -v6
	s_delay_alu instid0(VALU_DEP_4)
	v_fma_f32 v22, v23, v7, -v8
	v_dual_mul_f32 v23, v25, v2 :: v_dual_fmac_f32 v38, v24, v7
	ds_load_2addr_b64 v[5:8], v33 offset0:73 offset1:74
	v_dual_mul_f32 v24, v27, v4 :: v_dual_fmac_f32 v39, v30, v9
	v_mul_f32_e32 v2, v26, v2
	v_mul_f32_e32 v4, v28, v4
	;; [unrolled: 1-line block ×3, first 2 shown]
	s_delay_alu instid0(VALU_DEP_4) | instskip(NEXT) | instid1(VALU_DEP_4)
	v_dual_fmac_f32 v23, v26, v1 :: v_dual_fmac_f32 v24, v28, v3
	v_fma_f32 v25, v25, v1, -v2
	s_delay_alu instid0(VALU_DEP_4) | instskip(SKIP_4) | instid1(VALU_DEP_3)
	v_fma_f32 v26, v27, v3, -v4
	scratch_load_b128 v[1:4], off, off offset:104
	v_mul_f32_e32 v12, v32, v12
	v_fmac_f32_e32 v40, v32, v11
	v_fma_f32 v27, v29, v9, -v10
	v_fma_f32 v28, v31, v11, -v12
	ds_load_2addr_b64 v[9:12], v33 offset0:75 offset1:76
	s_wait_loadcnt_dscnt 0x301
	v_dual_mul_f32 v29, v5, v14 :: v_dual_mul_f32 v30, v7, v16
	v_mul_f32_e32 v14, v6, v14
	s_delay_alu instid0(VALU_DEP_2) | instskip(NEXT) | instid1(VALU_DEP_3)
	v_dual_mul_f32 v16, v8, v16 :: v_dual_fmac_f32 v29, v6, v13
	v_fmac_f32_e32 v30, v8, v15
	s_delay_alu instid0(VALU_DEP_3) | instskip(NEXT) | instid1(VALU_DEP_3)
	v_fma_f32 v13, v5, v13, -v14
	v_fma_f32 v14, v7, v15, -v16
	ds_load_2addr_b64 v[5:8], v33 offset0:77 offset1:78
	s_wait_loadcnt_dscnt 0x201
	v_dual_mul_f32 v15, v9, v18 :: v_dual_mul_f32 v16, v11, v20
	v_mul_f32_e32 v18, v10, v18
	s_delay_alu instid0(VALU_DEP_2) | instskip(NEXT) | instid1(VALU_DEP_3)
	v_dual_mul_f32 v20, v12, v20 :: v_dual_fmac_f32 v15, v10, v17
	v_fmac_f32_e32 v16, v12, v19
	s_delay_alu instid0(VALU_DEP_3) | instskip(NEXT) | instid1(VALU_DEP_3)
	v_fma_f32 v17, v9, v17, -v18
	v_fma_f32 v18, v11, v19, -v20
	scratch_load_b128 v[9:12], off, off offset:120
	s_wait_loadcnt_dscnt 0x100
	v_dual_mul_f32 v19, v5, v2 :: v_dual_mul_f32 v20, v7, v4
	v_mul_f32_e32 v2, v6, v2
	s_delay_alu instid0(VALU_DEP_2) | instskip(NEXT) | instid1(VALU_DEP_3)
	v_dual_mul_f32 v4, v8, v4 :: v_dual_fmac_f32 v19, v6, v1
	v_fmac_f32_e32 v20, v8, v3
	s_delay_alu instid0(VALU_DEP_3) | instskip(NEXT) | instid1(VALU_DEP_3)
	v_fma_f32 v31, v5, v1, -v2
	v_fma_f32 v32, v7, v3, -v4
	ds_load_2addr_b64 v[1:4], v33 offset0:79 offset1:80
	ds_load_2addr_b64 v[5:8], v33 offset0:81 offset1:82
	s_wait_loadcnt_dscnt 0x1
	v_mul_f32_e32 v41, v1, v10
	v_mul_f32_e32 v10, v2, v10
	s_delay_alu instid0(VALU_DEP_2) | instskip(NEXT) | instid1(VALU_DEP_2)
	v_dual_mul_f32 v42, v3, v12 :: v_dual_fmac_f32 v41, v2, v9
	v_fma_f32 v43, v1, v9, -v10
	v_mul_f32_e32 v1, v4, v12
	s_delay_alu instid0(VALU_DEP_3) | instskip(NEXT) | instid1(VALU_DEP_2)
	v_fmac_f32_e32 v42, v4, v11
	v_fma_f32 v44, v3, v11, -v1
	s_clause 0x1
	scratch_load_b128 v[1:4], off, off offset:136
	scratch_load_b128 v[9:12], off, off offset:152
	s_wait_loadcnt_dscnt 0x100
	v_mul_f32_e32 v45, v5, v2
	v_dual_mul_f32 v2, v6, v2 :: v_dual_mul_f32 v47, v7, v4
	s_delay_alu instid0(VALU_DEP_2) | instskip(NEXT) | instid1(VALU_DEP_2)
	v_fmac_f32_e32 v45, v6, v1
	v_fma_f32 v46, v5, v1, -v2
	v_mul_f32_e32 v1, v8, v4
	s_delay_alu instid0(VALU_DEP_4) | instskip(NEXT) | instid1(VALU_DEP_2)
	v_fmac_f32_e32 v47, v8, v3
	v_fma_f32 v48, v7, v3, -v1
	ds_load_2addr_b64 v[1:4], v33 offset0:83 offset1:84
	ds_load_2addr_b64 v[5:8], v33 offset0:85 offset1:86
	s_wait_loadcnt_dscnt 0x1
	v_mul_f32_e32 v49, v1, v10
	v_mul_f32_e32 v51, v3, v12
	s_delay_alu instid0(VALU_DEP_2) | instskip(NEXT) | instid1(VALU_DEP_2)
	v_fmac_f32_e32 v49, v2, v9
	v_dual_mul_f32 v2, v2, v10 :: v_dual_fmac_f32 v51, v4, v11
	s_delay_alu instid0(VALU_DEP_1) | instskip(SKIP_1) | instid1(VALU_DEP_1)
	v_fma_f32 v50, v1, v9, -v2
	v_mul_f32_e32 v1, v4, v12
	v_fma_f32 v52, v3, v11, -v1
	s_clause 0x1
	scratch_load_b128 v[1:4], off, off offset:168
	scratch_load_b128 v[9:12], off, off offset:184
	s_wait_loadcnt_dscnt 0x100
	v_mul_f32_e32 v53, v5, v2
	v_dual_mul_f32 v2, v6, v2 :: v_dual_mul_f32 v55, v7, v4
	s_delay_alu instid0(VALU_DEP_2) | instskip(NEXT) | instid1(VALU_DEP_2)
	v_fmac_f32_e32 v53, v6, v1
	v_fma_f32 v54, v5, v1, -v2
	v_mul_f32_e32 v1, v8, v4
	s_delay_alu instid0(VALU_DEP_4) | instskip(NEXT) | instid1(VALU_DEP_2)
	v_fmac_f32_e32 v55, v8, v3
	v_fma_f32 v56, v7, v3, -v1
	ds_load_2addr_b64 v[1:4], v33 offset0:87 offset1:88
	ds_load_2addr_b64 v[5:8], v33 offset0:89 offset1:90
	s_wait_loadcnt_dscnt 0x1
	v_mul_f32_e32 v57, v1, v10
	v_mul_f32_e32 v59, v3, v12
	s_delay_alu instid0(VALU_DEP_2) | instskip(NEXT) | instid1(VALU_DEP_2)
	v_fmac_f32_e32 v57, v2, v9
	v_dual_mul_f32 v2, v2, v10 :: v_dual_fmac_f32 v59, v4, v11
	s_delay_alu instid0(VALU_DEP_1) | instskip(SKIP_1) | instid1(VALU_DEP_1)
	v_fma_f32 v58, v1, v9, -v2
	v_mul_f32_e32 v1, v4, v12
	;; [unrolled: 25-line block ×9, first 2 shown]
	v_fma_f32 v244, v3, v11, -v1
	s_clause 0x1
	scratch_load_b128 v[1:4], off, off offset:424
	scratch_load_b128 v[9:12], off, off offset:440
	s_wait_loadcnt_dscnt 0x100
	v_mul_f32_e32 v245, v5, v2
	v_dual_mul_f32 v2, v6, v2 :: v_dual_mul_f32 v247, v7, v4
	s_delay_alu instid0(VALU_DEP_2) | instskip(NEXT) | instid1(VALU_DEP_2)
	v_fmac_f32_e32 v245, v6, v1
	v_fma_f32 v246, v5, v1, -v2
	v_dual_mul_f32 v1, v8, v4 :: v_dual_add_f32 v2, 0, v34
	s_delay_alu instid0(VALU_DEP_1) | instskip(NEXT) | instid1(VALU_DEP_2)
	v_fma_f32 v248, v7, v3, -v1
	v_dual_add_f32 v1, 0, v21 :: v_dual_add_f32 v2, v2, v38
	s_delay_alu instid0(VALU_DEP_1) | instskip(NEXT) | instid1(VALU_DEP_1)
	v_dual_add_f32 v1, v1, v22 :: v_dual_add_f32 v2, v2, v23
	v_dual_add_f32 v1, v1, v25 :: v_dual_add_f32 v2, v2, v24
	s_delay_alu instid0(VALU_DEP_1) | instskip(SKIP_2) | instid1(VALU_DEP_1)
	v_dual_add_f32 v1, v1, v26 :: v_dual_add_f32 v2, v2, v39
	scratch_load_b64 v[25:26], off, off offset:504
	v_dual_add_f32 v1, v1, v27 :: v_dual_add_f32 v2, v2, v40
	v_dual_add_f32 v1, v1, v28 :: v_dual_add_f32 v2, v2, v29
	s_delay_alu instid0(VALU_DEP_1) | instskip(NEXT) | instid1(VALU_DEP_1)
	v_dual_add_f32 v1, v1, v13 :: v_dual_add_f32 v2, v2, v30
	v_dual_add_f32 v1, v1, v14 :: v_dual_add_f32 v2, v2, v15
	s_delay_alu instid0(VALU_DEP_1) | instskip(NEXT) | instid1(VALU_DEP_1)
	;; [unrolled: 3-line block ×8, first 2 shown]
	v_dual_add_f32 v1, v1, v58 :: v_dual_add_f32 v2, v2, v59
	v_add_f32_e32 v1, v1, v60
	s_delay_alu instid0(VALU_DEP_1) | instskip(NEXT) | instid1(VALU_DEP_1)
	v_add_f32_e32 v1, v1, v62
	v_add_f32_e32 v1, v1, v64
	s_delay_alu instid0(VALU_DEP_1) | instskip(NEXT) | instid1(VALU_DEP_1)
	v_add_f32_e32 v1, v1, v66
	;; [unrolled: 3-line block ×8, first 2 shown]
	v_add_f32_e32 v6, v1, v220
	v_add_f32_e32 v2, v2, v61
	s_delay_alu instid0(VALU_DEP_2) | instskip(NEXT) | instid1(VALU_DEP_2)
	v_add_f32_e32 v6, v6, v222
	v_add_f32_e32 v2, v2, v63
	s_delay_alu instid0(VALU_DEP_2) | instskip(NEXT) | instid1(VALU_DEP_1)
	v_add_f32_e32 v13, v6, v224
	v_dual_add_f32 v2, v2, v65 :: v_dual_add_f32 v13, v13, v226
	s_delay_alu instid0(VALU_DEP_1) | instskip(NEXT) | instid1(VALU_DEP_1)
	v_dual_add_f32 v2, v2, v67 :: v_dual_add_f32 v13, v13, v228
	v_dual_add_f32 v2, v2, v197 :: v_dual_add_f32 v13, v13, v230
	s_delay_alu instid0(VALU_DEP_1) | instskip(NEXT) | instid1(VALU_DEP_2)
	v_add_f32_e32 v2, v2, v199
	v_add_f32_e32 v18, v13, v232
	s_delay_alu instid0(VALU_DEP_2) | instskip(NEXT) | instid1(VALU_DEP_2)
	v_add_f32_e32 v2, v2, v201
	v_add_f32_e32 v18, v18, v234
	s_delay_alu instid0(VALU_DEP_2) | instskip(NEXT) | instid1(VALU_DEP_2)
	;; [unrolled: 3-line block ×4, first 2 shown]
	v_add_f32_e32 v2, v2, v207
	v_dual_fmac_f32 v247, v8, v3 :: v_dual_add_f32 v18, v18, v240
	s_delay_alu instid0(VALU_DEP_2) | instskip(NEXT) | instid1(VALU_DEP_2)
	v_add_f32_e32 v2, v2, v209
	v_add_f32_e32 v27, v18, v242
	s_delay_alu instid0(VALU_DEP_2) | instskip(NEXT) | instid1(VALU_DEP_2)
	v_add_f32_e32 v2, v2, v211
	v_add_f32_e32 v34, v27, v244
	;; [unrolled: 3-line block ×4, first 2 shown]
	s_delay_alu instid0(VALU_DEP_2) | instskip(SKIP_2) | instid1(VALU_DEP_1)
	v_add_f32_e32 v5, v2, v217
	ds_load_2addr_b64 v[1:4], v33 offset0:119 offset1:120
	v_add_f32_e32 v5, v5, v219
	v_add_f32_e32 v5, v5, v221
	s_delay_alu instid0(VALU_DEP_1)
	v_add_f32_e32 v14, v5, v223
	ds_load_2addr_b64 v[5:8], v33 offset0:121 offset1:122
	s_wait_loadcnt_dscnt 0x101
	v_mul_f32_e32 v29, v1, v10
	v_mul_f32_e32 v10, v2, v10
	;; [unrolled: 1-line block ×3, first 2 shown]
	s_delay_alu instid0(VALU_DEP_3) | instskip(NEXT) | instid1(VALU_DEP_3)
	v_dual_mul_f32 v12, v4, v12 :: v_dual_fmac_f32 v29, v2, v9
	v_fma_f32 v31, v1, v9, -v10
	s_delay_alu instid0(VALU_DEP_3) | instskip(NEXT) | instid1(VALU_DEP_3)
	v_fmac_f32_e32 v30, v4, v11
	v_fma_f32 v32, v3, v11, -v12
	s_clause 0x1
	scratch_load_b128 v[1:4], off, off offset:456
	scratch_load_b128 v[9:12], off, off offset:472
	v_add_f32_e32 v31, v34, v31
	s_delay_alu instid0(VALU_DEP_1)
	v_add_f32_e32 v31, v31, v32
	s_wait_loadcnt_dscnt 0x100
	v_mul_f32_e32 v40, v7, v4
	v_mul_f32_e32 v4, v8, v4
	v_dual_add_f32 v14, v14, v225 :: v_dual_mul_f32 v39, v5, v2
	v_mul_f32_e32 v2, v6, v2
	s_delay_alu instid0(VALU_DEP_4) | instskip(NEXT) | instid1(VALU_DEP_3)
	v_fmac_f32_e32 v40, v8, v3
	v_add_f32_e32 v14, v14, v227
	s_delay_alu instid0(VALU_DEP_4) | instskip(NEXT) | instid1(VALU_DEP_4)
	v_fmac_f32_e32 v39, v6, v1
	v_fma_f32 v2, v5, v1, -v2
	v_fma_f32 v1, v7, v3, -v4
	s_delay_alu instid0(VALU_DEP_4) | instskip(SKIP_2) | instid1(VALU_DEP_1)
	v_add_f32_e32 v17, v14, v229
	scratch_load_b128 v[13:16], off, off offset:488
	v_dual_add_f32 v2, v31, v2 :: v_dual_add_f32 v17, v17, v231
	v_add_f32_e32 v1, v2, v1
	s_delay_alu instid0(VALU_DEP_2) | instskip(NEXT) | instid1(VALU_DEP_1)
	v_add_f32_e32 v17, v17, v233
	v_add_f32_e32 v17, v17, v235
	s_delay_alu instid0(VALU_DEP_1) | instskip(NEXT) | instid1(VALU_DEP_1)
	v_add_f32_e32 v17, v17, v237
	v_add_f32_e32 v21, v17, v239
	ds_load_2addr_b64 v[17:20], v33 offset0:123 offset1:124
	v_add_f32_e32 v28, v21, v241
	ds_load_2addr_b64 v[21:24], v33 offset0:125 offset1:126
	v_add_f32_e32 v38, v28, v243
	ds_load_b64 v[27:28], v33 offset:1016
	v_add_f32_e32 v38, v38, v245
	s_delay_alu instid0(VALU_DEP_1)
	v_add_f32_e32 v38, v38, v247
	s_wait_loadcnt_dscnt 0x102
	v_mul_f32_e32 v34, v17, v10
	v_mul_f32_e32 v3, v18, v10
	;; [unrolled: 1-line block ×3, first 2 shown]
	v_dual_add_f32 v29, v38, v29 :: v_dual_mul_f32 v38, v19, v12
	s_delay_alu instid0(VALU_DEP_4) | instskip(NEXT) | instid1(VALU_DEP_4)
	v_fmac_f32_e32 v34, v18, v9
	v_fma_f32 v3, v17, v9, -v3
	s_delay_alu instid0(VALU_DEP_4) | instskip(NEXT) | instid1(VALU_DEP_4)
	v_fma_f32 v5, v19, v11, -v5
	v_dual_add_f32 v29, v29, v30 :: v_dual_fmac_f32 v38, v20, v11
	s_wait_dscnt 0x0
	s_delay_alu instid0(VALU_DEP_3) | instskip(NEXT) | instid1(VALU_DEP_2)
	v_dual_mul_f32 v30, v27, v26 :: v_dual_add_f32 v1, v1, v3
	v_add_f32_e32 v4, v29, v39
	s_delay_alu instid0(VALU_DEP_2) | instskip(NEXT) | instid1(VALU_DEP_3)
	v_fmac_f32_e32 v30, v28, v25
	v_add_f32_e32 v1, v1, v5
	v_mul_f32_e32 v5, v28, v26
	s_delay_alu instid0(VALU_DEP_4) | instskip(NEXT) | instid1(VALU_DEP_1)
	v_add_f32_e32 v2, v4, v40
	v_add_f32_e32 v2, v2, v34
	s_delay_alu instid0(VALU_DEP_1)
	v_add_f32_e32 v2, v2, v38
	s_wait_loadcnt 0x0
	v_mul_f32_e32 v41, v21, v14
	v_mul_f32_e32 v4, v22, v14
	;; [unrolled: 1-line block ×4, first 2 shown]
	s_delay_alu instid0(VALU_DEP_4) | instskip(NEXT) | instid1(VALU_DEP_4)
	v_fmac_f32_e32 v41, v22, v13
	v_fma_f32 v4, v21, v13, -v4
	s_delay_alu instid0(VALU_DEP_4) | instskip(NEXT) | instid1(VALU_DEP_4)
	v_fmac_f32_e32 v32, v24, v15
	v_fma_f32 v3, v23, v15, -v3
	s_delay_alu instid0(VALU_DEP_3) | instskip(SKIP_1) | instid1(VALU_DEP_2)
	v_dual_add_f32 v2, v2, v41 :: v_dual_add_f32 v1, v1, v4
	v_fma_f32 v4, v27, v25, -v5
	v_dual_add_f32 v2, v2, v32 :: v_dual_add_f32 v1, v1, v3
	s_delay_alu instid0(VALU_DEP_1) | instskip(NEXT) | instid1(VALU_DEP_1)
	v_dual_add_f32 v2, v2, v30 :: v_dual_add_f32 v1, v1, v4
	v_dual_sub_f32 v2, v37, v2 :: v_dual_sub_f32 v1, v36, v1
	scratch_store_b64 off, v[1:2], off offset:16
	v_cmpx_lt_u32_e32 1, v0
	s_cbranch_execz .LBB63_395
; %bb.394:
	scratch_load_b64 v[1:2], off, off offset:8
	v_mov_b32_e32 v34, v33
	scratch_store_b64 off, v[33:34], off offset:8
	s_wait_loadcnt 0x0
	ds_store_b64 v35, v[1:2]
.LBB63_395:
	s_wait_alu 0xfffe
	s_or_b32 exec_lo, exec_lo, s0
	s_wait_storecnt_dscnt 0x0
	s_barrier_signal -1
	s_barrier_wait -1
	global_inv scope:SCOPE_SE
	s_clause 0x4
	scratch_load_b128 v[5:8], off, off offset:16
	scratch_load_b128 v[1:4], off, off offset:32
	;; [unrolled: 1-line block ×5, first 2 shown]
	ds_load_b128 v[21:24], v33 offset:528
	ds_load_b128 v[25:28], v33 offset:544
	;; [unrolled: 1-line block ×3, first 2 shown]
	scratch_load_b64 v[36:37], off, off offset:8
	s_mov_b32 s0, exec_lo
	s_wait_loadcnt_dscnt 0x502
	v_mul_f32_e32 v34, v21, v6
	v_mul_f32_e32 v38, v23, v8
	;; [unrolled: 1-line block ×3, first 2 shown]
	s_wait_loadcnt_dscnt 0x300
	v_dual_mul_f32 v8, v24, v8 :: v_dual_mul_f32 v39, v29, v10
	v_fmac_f32_e32 v34, v22, v5
	v_mul_f32_e32 v40, v31, v12
	v_fma_f32 v21, v21, v5, -v6
	s_delay_alu instid0(VALU_DEP_4)
	v_fma_f32 v22, v23, v7, -v8
	v_dual_mul_f32 v23, v25, v2 :: v_dual_fmac_f32 v38, v24, v7
	v_fmac_f32_e32 v39, v30, v9
	ds_load_b128 v[5:8], v33 offset:576
	v_mul_f32_e32 v24, v27, v4
	v_mul_f32_e32 v2, v26, v2
	v_mul_f32_e32 v4, v28, v4
	v_mul_f32_e32 v10, v30, v10
	s_delay_alu instid0(VALU_DEP_4) | instskip(NEXT) | instid1(VALU_DEP_4)
	v_dual_fmac_f32 v23, v26, v1 :: v_dual_fmac_f32 v24, v28, v3
	v_fma_f32 v25, v25, v1, -v2
	s_delay_alu instid0(VALU_DEP_4) | instskip(SKIP_4) | instid1(VALU_DEP_3)
	v_fma_f32 v26, v27, v3, -v4
	scratch_load_b128 v[1:4], off, off offset:96
	v_mul_f32_e32 v12, v32, v12
	v_fmac_f32_e32 v40, v32, v11
	v_fma_f32 v27, v29, v9, -v10
	v_fma_f32 v28, v31, v11, -v12
	ds_load_b128 v[9:12], v33 offset:592
	s_wait_loadcnt_dscnt 0x301
	v_dual_mul_f32 v29, v5, v14 :: v_dual_mul_f32 v30, v7, v16
	v_mul_f32_e32 v14, v6, v14
	s_delay_alu instid0(VALU_DEP_2) | instskip(NEXT) | instid1(VALU_DEP_3)
	v_dual_mul_f32 v16, v8, v16 :: v_dual_fmac_f32 v29, v6, v13
	v_fmac_f32_e32 v30, v8, v15
	s_delay_alu instid0(VALU_DEP_3) | instskip(NEXT) | instid1(VALU_DEP_3)
	v_fma_f32 v13, v5, v13, -v14
	v_fma_f32 v14, v7, v15, -v16
	ds_load_b128 v[5:8], v33 offset:608
	s_wait_loadcnt_dscnt 0x201
	v_dual_mul_f32 v15, v9, v18 :: v_dual_mul_f32 v16, v11, v20
	v_mul_f32_e32 v18, v10, v18
	s_delay_alu instid0(VALU_DEP_2) | instskip(NEXT) | instid1(VALU_DEP_3)
	v_dual_mul_f32 v20, v12, v20 :: v_dual_fmac_f32 v15, v10, v17
	v_fmac_f32_e32 v16, v12, v19
	s_delay_alu instid0(VALU_DEP_3) | instskip(NEXT) | instid1(VALU_DEP_3)
	v_fma_f32 v17, v9, v17, -v18
	v_fma_f32 v18, v11, v19, -v20
	scratch_load_b128 v[9:12], off, off offset:112
	s_wait_loadcnt_dscnt 0x100
	v_dual_mul_f32 v19, v5, v2 :: v_dual_mul_f32 v20, v7, v4
	v_mul_f32_e32 v2, v6, v2
	s_delay_alu instid0(VALU_DEP_2) | instskip(NEXT) | instid1(VALU_DEP_3)
	v_dual_mul_f32 v4, v8, v4 :: v_dual_fmac_f32 v19, v6, v1
	v_fmac_f32_e32 v20, v8, v3
	s_delay_alu instid0(VALU_DEP_3) | instskip(NEXT) | instid1(VALU_DEP_3)
	v_fma_f32 v31, v5, v1, -v2
	v_fma_f32 v32, v7, v3, -v4
	ds_load_b128 v[1:4], v33 offset:624
	ds_load_b128 v[5:8], v33 offset:640
	s_wait_loadcnt_dscnt 0x1
	v_mul_f32_e32 v41, v1, v10
	v_mul_f32_e32 v10, v2, v10
	s_delay_alu instid0(VALU_DEP_2) | instskip(NEXT) | instid1(VALU_DEP_2)
	v_dual_mul_f32 v42, v3, v12 :: v_dual_fmac_f32 v41, v2, v9
	v_fma_f32 v43, v1, v9, -v10
	v_mul_f32_e32 v1, v4, v12
	s_delay_alu instid0(VALU_DEP_3) | instskip(NEXT) | instid1(VALU_DEP_2)
	v_fmac_f32_e32 v42, v4, v11
	v_fma_f32 v44, v3, v11, -v1
	s_clause 0x1
	scratch_load_b128 v[1:4], off, off offset:128
	scratch_load_b128 v[9:12], off, off offset:144
	s_wait_loadcnt_dscnt 0x100
	v_mul_f32_e32 v45, v5, v2
	v_dual_mul_f32 v2, v6, v2 :: v_dual_mul_f32 v47, v7, v4
	s_delay_alu instid0(VALU_DEP_2) | instskip(NEXT) | instid1(VALU_DEP_2)
	v_fmac_f32_e32 v45, v6, v1
	v_fma_f32 v46, v5, v1, -v2
	v_mul_f32_e32 v1, v8, v4
	s_delay_alu instid0(VALU_DEP_4) | instskip(NEXT) | instid1(VALU_DEP_2)
	v_fmac_f32_e32 v47, v8, v3
	v_fma_f32 v48, v7, v3, -v1
	ds_load_b128 v[1:4], v33 offset:656
	ds_load_b128 v[5:8], v33 offset:672
	s_wait_loadcnt_dscnt 0x1
	v_mul_f32_e32 v49, v1, v10
	v_mul_f32_e32 v51, v3, v12
	s_delay_alu instid0(VALU_DEP_2) | instskip(NEXT) | instid1(VALU_DEP_2)
	v_fmac_f32_e32 v49, v2, v9
	v_dual_mul_f32 v2, v2, v10 :: v_dual_fmac_f32 v51, v4, v11
	s_delay_alu instid0(VALU_DEP_1) | instskip(SKIP_1) | instid1(VALU_DEP_1)
	v_fma_f32 v50, v1, v9, -v2
	v_mul_f32_e32 v1, v4, v12
	v_fma_f32 v52, v3, v11, -v1
	s_clause 0x1
	scratch_load_b128 v[1:4], off, off offset:160
	scratch_load_b128 v[9:12], off, off offset:176
	s_wait_loadcnt_dscnt 0x100
	v_mul_f32_e32 v53, v5, v2
	v_dual_mul_f32 v2, v6, v2 :: v_dual_mul_f32 v55, v7, v4
	s_delay_alu instid0(VALU_DEP_2) | instskip(NEXT) | instid1(VALU_DEP_2)
	v_fmac_f32_e32 v53, v6, v1
	v_fma_f32 v54, v5, v1, -v2
	v_mul_f32_e32 v1, v8, v4
	s_delay_alu instid0(VALU_DEP_4) | instskip(NEXT) | instid1(VALU_DEP_2)
	v_fmac_f32_e32 v55, v8, v3
	v_fma_f32 v56, v7, v3, -v1
	ds_load_b128 v[1:4], v33 offset:688
	ds_load_b128 v[5:8], v33 offset:704
	s_wait_loadcnt_dscnt 0x1
	v_mul_f32_e32 v57, v1, v10
	v_mul_f32_e32 v59, v3, v12
	s_delay_alu instid0(VALU_DEP_2) | instskip(NEXT) | instid1(VALU_DEP_2)
	v_fmac_f32_e32 v57, v2, v9
	v_dual_mul_f32 v2, v2, v10 :: v_dual_fmac_f32 v59, v4, v11
	s_delay_alu instid0(VALU_DEP_1) | instskip(SKIP_1) | instid1(VALU_DEP_1)
	v_fma_f32 v58, v1, v9, -v2
	v_mul_f32_e32 v1, v4, v12
	v_fma_f32 v60, v3, v11, -v1
	s_clause 0x1
	scratch_load_b128 v[1:4], off, off offset:192
	scratch_load_b128 v[9:12], off, off offset:208
	s_wait_loadcnt_dscnt 0x100
	v_mul_f32_e32 v61, v5, v2
	v_dual_mul_f32 v63, v7, v4 :: v_dual_mul_f32 v2, v6, v2
	s_delay_alu instid0(VALU_DEP_2) | instskip(NEXT) | instid1(VALU_DEP_2)
	v_fmac_f32_e32 v61, v6, v1
	v_fmac_f32_e32 v63, v8, v3
	s_delay_alu instid0(VALU_DEP_3) | instskip(SKIP_1) | instid1(VALU_DEP_1)
	v_fma_f32 v62, v5, v1, -v2
	v_mul_f32_e32 v1, v8, v4
	v_fma_f32 v64, v7, v3, -v1
	ds_load_b128 v[1:4], v33 offset:720
	ds_load_b128 v[5:8], v33 offset:736
	s_wait_loadcnt_dscnt 0x1
	v_mul_f32_e32 v65, v1, v10
	v_mul_f32_e32 v67, v3, v12
	s_delay_alu instid0(VALU_DEP_2) | instskip(NEXT) | instid1(VALU_DEP_2)
	v_fmac_f32_e32 v65, v2, v9
	v_dual_mul_f32 v2, v2, v10 :: v_dual_fmac_f32 v67, v4, v11
	s_delay_alu instid0(VALU_DEP_1) | instskip(SKIP_1) | instid1(VALU_DEP_1)
	v_fma_f32 v66, v1, v9, -v2
	v_mul_f32_e32 v1, v4, v12
	v_fma_f32 v68, v3, v11, -v1
	s_clause 0x1
	scratch_load_b128 v[1:4], off, off offset:224
	scratch_load_b128 v[9:12], off, off offset:240
	s_wait_loadcnt_dscnt 0x100
	v_mul_f32_e32 v197, v5, v2
	v_dual_mul_f32 v2, v6, v2 :: v_dual_mul_f32 v199, v7, v4
	s_delay_alu instid0(VALU_DEP_2) | instskip(NEXT) | instid1(VALU_DEP_2)
	v_fmac_f32_e32 v197, v6, v1
	v_fma_f32 v198, v5, v1, -v2
	v_mul_f32_e32 v1, v8, v4
	s_delay_alu instid0(VALU_DEP_4) | instskip(NEXT) | instid1(VALU_DEP_2)
	v_fmac_f32_e32 v199, v8, v3
	v_fma_f32 v200, v7, v3, -v1
	ds_load_b128 v[1:4], v33 offset:752
	ds_load_b128 v[5:8], v33 offset:768
	s_wait_loadcnt_dscnt 0x1
	v_mul_f32_e32 v201, v1, v10
	v_mul_f32_e32 v203, v3, v12
	s_delay_alu instid0(VALU_DEP_2) | instskip(NEXT) | instid1(VALU_DEP_2)
	v_fmac_f32_e32 v201, v2, v9
	v_dual_mul_f32 v2, v2, v10 :: v_dual_fmac_f32 v203, v4, v11
	s_delay_alu instid0(VALU_DEP_1) | instskip(SKIP_1) | instid1(VALU_DEP_1)
	v_fma_f32 v202, v1, v9, -v2
	v_mul_f32_e32 v1, v4, v12
	v_fma_f32 v204, v3, v11, -v1
	s_clause 0x1
	scratch_load_b128 v[1:4], off, off offset:256
	scratch_load_b128 v[9:12], off, off offset:272
	s_wait_loadcnt_dscnt 0x100
	v_mul_f32_e32 v205, v5, v2
	v_dual_mul_f32 v2, v6, v2 :: v_dual_mul_f32 v207, v7, v4
	s_delay_alu instid0(VALU_DEP_2) | instskip(NEXT) | instid1(VALU_DEP_2)
	v_fmac_f32_e32 v205, v6, v1
	v_fma_f32 v206, v5, v1, -v2
	v_mul_f32_e32 v1, v8, v4
	s_delay_alu instid0(VALU_DEP_4) | instskip(NEXT) | instid1(VALU_DEP_2)
	v_fmac_f32_e32 v207, v8, v3
	;; [unrolled: 25-line block ×6, first 2 shown]
	v_fma_f32 v240, v7, v3, -v1
	ds_load_b128 v[1:4], v33 offset:912
	ds_load_b128 v[5:8], v33 offset:928
	s_wait_loadcnt_dscnt 0x1
	v_mul_f32_e32 v241, v1, v10
	v_mul_f32_e32 v243, v3, v12
	s_delay_alu instid0(VALU_DEP_2) | instskip(NEXT) | instid1(VALU_DEP_2)
	v_fmac_f32_e32 v241, v2, v9
	v_dual_mul_f32 v2, v2, v10 :: v_dual_fmac_f32 v243, v4, v11
	s_delay_alu instid0(VALU_DEP_1) | instskip(SKIP_1) | instid1(VALU_DEP_1)
	v_fma_f32 v242, v1, v9, -v2
	v_mul_f32_e32 v1, v4, v12
	v_fma_f32 v244, v3, v11, -v1
	s_clause 0x1
	scratch_load_b128 v[1:4], off, off offset:416
	scratch_load_b128 v[9:12], off, off offset:432
	s_wait_loadcnt_dscnt 0x100
	v_mul_f32_e32 v245, v5, v2
	v_mul_f32_e32 v2, v6, v2
	s_delay_alu instid0(VALU_DEP_2) | instskip(NEXT) | instid1(VALU_DEP_2)
	v_fmac_f32_e32 v245, v6, v1
	v_fma_f32 v246, v5, v1, -v2
	v_dual_mul_f32 v1, v8, v4 :: v_dual_add_f32 v2, 0, v34
	s_delay_alu instid0(VALU_DEP_1) | instskip(NEXT) | instid1(VALU_DEP_2)
	v_fma_f32 v248, v7, v3, -v1
	v_dual_add_f32 v1, 0, v21 :: v_dual_add_f32 v2, v2, v38
	s_delay_alu instid0(VALU_DEP_1) | instskip(NEXT) | instid1(VALU_DEP_1)
	v_dual_add_f32 v1, v1, v22 :: v_dual_add_f32 v2, v2, v23
	v_dual_add_f32 v1, v1, v25 :: v_dual_add_f32 v2, v2, v24
	s_delay_alu instid0(VALU_DEP_1) | instskip(NEXT) | instid1(VALU_DEP_1)
	v_dual_add_f32 v1, v1, v26 :: v_dual_add_f32 v2, v2, v39
	;; [unrolled: 3-line block ×10, first 2 shown]
	v_dual_add_f32 v1, v1, v58 :: v_dual_add_f32 v2, v2, v59
	s_delay_alu instid0(VALU_DEP_1) | instskip(NEXT) | instid1(VALU_DEP_1)
	v_add_f32_e32 v1, v1, v60
	v_add_f32_e32 v1, v1, v62
	s_delay_alu instid0(VALU_DEP_1) | instskip(NEXT) | instid1(VALU_DEP_1)
	v_add_f32_e32 v1, v1, v64
	v_add_f32_e32 v1, v1, v66
	;; [unrolled: 3-line block ×9, first 2 shown]
	v_add_f32_e32 v2, v2, v61
	s_delay_alu instid0(VALU_DEP_2) | instskip(NEXT) | instid1(VALU_DEP_2)
	v_add_f32_e32 v14, v6, v224
	v_add_f32_e32 v2, v2, v63
	s_delay_alu instid0(VALU_DEP_2) | instskip(NEXT) | instid1(VALU_DEP_2)
	v_add_f32_e32 v14, v14, v226
	v_add_f32_e32 v2, v2, v65
	s_delay_alu instid0(VALU_DEP_2) | instskip(NEXT) | instid1(VALU_DEP_1)
	v_add_f32_e32 v17, v14, v228
	v_dual_add_f32 v2, v2, v67 :: v_dual_add_f32 v17, v17, v230
	s_delay_alu instid0(VALU_DEP_1) | instskip(NEXT) | instid1(VALU_DEP_1)
	v_dual_add_f32 v2, v2, v197 :: v_dual_add_f32 v17, v17, v232
	v_dual_add_f32 v2, v2, v199 :: v_dual_add_f32 v17, v17, v234
	s_delay_alu instid0(VALU_DEP_1) | instskip(NEXT) | instid1(VALU_DEP_2)
	v_add_f32_e32 v2, v2, v201
	v_add_f32_e32 v22, v17, v236
	s_delay_alu instid0(VALU_DEP_2) | instskip(NEXT) | instid1(VALU_DEP_2)
	v_dual_add_f32 v2, v2, v203 :: v_dual_mul_f32 v247, v7, v4
	v_add_f32_e32 v22, v22, v238
	s_delay_alu instid0(VALU_DEP_2) | instskip(NEXT) | instid1(VALU_DEP_2)
	v_dual_add_f32 v2, v2, v205 :: v_dual_fmac_f32 v247, v8, v3
	v_add_f32_e32 v22, v22, v240
	s_delay_alu instid0(VALU_DEP_2) | instskip(NEXT) | instid1(VALU_DEP_1)
	v_add_f32_e32 v2, v2, v207
	v_add_f32_e32 v2, v2, v209
	s_delay_alu instid0(VALU_DEP_1) | instskip(NEXT) | instid1(VALU_DEP_1)
	v_add_f32_e32 v2, v2, v211
	v_add_f32_e32 v2, v2, v213
	s_delay_alu instid0(VALU_DEP_1) | instskip(NEXT) | instid1(VALU_DEP_1)
	v_add_f32_e32 v2, v2, v215
	v_add_f32_e32 v2, v2, v217
	s_delay_alu instid0(VALU_DEP_1) | instskip(SKIP_4) | instid1(VALU_DEP_1)
	v_add_f32_e32 v5, v2, v219
	ds_load_b128 v[1:4], v33 offset:944
	v_add_f32_e32 v13, v5, v221
	scratch_load_b128 v[5:8], off, off offset:448
	v_add_f32_e32 v13, v13, v223
	v_add_f32_e32 v13, v13, v225
	s_delay_alu instid0(VALU_DEP_1)
	v_add_f32_e32 v18, v13, v227
	ds_load_b128 v[13:16], v33 offset:960
	s_wait_loadcnt_dscnt 0x101
	v_mul_f32_e32 v25, v1, v10
	v_mul_f32_e32 v10, v2, v10
	;; [unrolled: 1-line block ×3, first 2 shown]
	v_add_f32_e32 v18, v18, v229
	s_delay_alu instid0(VALU_DEP_4) | instskip(NEXT) | instid1(VALU_DEP_4)
	v_dual_mul_f32 v12, v4, v12 :: v_dual_fmac_f32 v25, v2, v9
	v_fma_f32 v27, v1, v9, -v10
	s_delay_alu instid0(VALU_DEP_4) | instskip(NEXT) | instid1(VALU_DEP_4)
	v_fmac_f32_e32 v26, v4, v11
	v_add_f32_e32 v18, v18, v231
	s_delay_alu instid0(VALU_DEP_4)
	v_fma_f32 v28, v3, v11, -v12
	s_clause 0x1
	scratch_load_b128 v[9:12], off, off offset:480
	scratch_load_b128 v[1:4], off, off offset:464
	v_add_f32_e32 v21, v18, v233
	scratch_load_b128 v[17:20], off, off offset:496
	v_add_f32_e32 v21, v21, v235
	s_delay_alu instid0(VALU_DEP_1) | instskip(SKIP_4) | instid1(VALU_DEP_3)
	v_add_f32_e32 v21, v21, v237
	s_wait_loadcnt_dscnt 0x300
	v_mul_f32_e32 v29, v13, v6
	v_mul_f32_e32 v6, v14, v6
	v_mul_f32_e32 v30, v15, v8
	v_dual_mul_f32 v8, v16, v8 :: v_dual_fmac_f32 v29, v14, v5
	s_delay_alu instid0(VALU_DEP_3) | instskip(SKIP_1) | instid1(VALU_DEP_4)
	v_fma_f32 v31, v13, v5, -v6
	v_add_f32_e32 v13, v21, v239
	v_dual_add_f32 v21, v22, v242 :: v_dual_fmac_f32 v30, v16, v7
	s_delay_alu instid0(VALU_DEP_4)
	v_fma_f32 v32, v15, v7, -v8
	ds_load_b128 v[5:8], v33 offset:976
	v_add_f32_e32 v22, v13, v241
	v_add_f32_e32 v34, v21, v244
	ds_load_b128 v[13:16], v33 offset:992
	v_add_f32_e32 v38, v22, v243
	ds_load_b128 v[21:24], v33 offset:1008
	v_add_f32_e32 v33, v34, v246
	s_delay_alu instid0(VALU_DEP_1) | instskip(NEXT) | instid1(VALU_DEP_1)
	v_add_f32_e32 v33, v33, v248
	v_add_f32_e32 v27, v33, v27
	s_wait_loadcnt_dscnt 0x102
	v_mul_f32_e32 v33, v7, v4
	v_mul_f32_e32 v4, v8, v4
	s_delay_alu instid0(VALU_DEP_3)
	v_add_f32_e32 v27, v27, v28
	s_wait_dscnt 0x1
	v_mul_f32_e32 v39, v15, v12
	v_fmac_f32_e32 v33, v8, v3
	v_fma_f32 v3, v7, v3, -v4
	s_wait_loadcnt_dscnt 0x0
	v_mul_f32_e32 v28, v23, v20
	v_add_f32_e32 v34, v38, v245
	v_mul_f32_e32 v38, v5, v2
	v_dual_mul_f32 v2, v6, v2 :: v_dual_add_f32 v27, v27, v31
	v_mul_f32_e32 v4, v16, v12
	s_delay_alu instid0(VALU_DEP_4) | instskip(NEXT) | instid1(VALU_DEP_4)
	v_add_f32_e32 v34, v34, v247
	v_fmac_f32_e32 v38, v6, v1
	s_delay_alu instid0(VALU_DEP_4) | instskip(SKIP_1) | instid1(VALU_DEP_4)
	v_fma_f32 v2, v5, v1, -v2
	v_dual_add_f32 v1, v27, v32 :: v_dual_mul_f32 v6, v14, v10
	v_dual_add_f32 v25, v34, v25 :: v_dual_mul_f32 v34, v13, v10
	v_fmac_f32_e32 v39, v16, v11
	s_delay_alu instid0(VALU_DEP_3) | instskip(SKIP_1) | instid1(VALU_DEP_4)
	v_add_f32_e32 v1, v1, v2
	v_fma_f32 v4, v15, v11, -v4
	v_dual_add_f32 v25, v25, v26 :: v_dual_fmac_f32 v34, v14, v9
	v_mul_f32_e32 v26, v21, v18
	s_delay_alu instid0(VALU_DEP_4) | instskip(SKIP_1) | instid1(VALU_DEP_4)
	v_add_f32_e32 v1, v1, v3
	v_mul_f32_e32 v3, v22, v18
	v_dual_add_f32 v25, v25, v29 :: v_dual_fmac_f32 v28, v24, v19
	s_delay_alu instid0(VALU_DEP_4) | instskip(NEXT) | instid1(VALU_DEP_3)
	v_fmac_f32_e32 v26, v22, v17
	v_fma_f32 v3, v21, v17, -v3
	s_delay_alu instid0(VALU_DEP_3) | instskip(NEXT) | instid1(VALU_DEP_1)
	v_add_f32_e32 v5, v25, v30
	v_add_f32_e32 v2, v5, v38
	v_fma_f32 v5, v13, v9, -v6
	s_delay_alu instid0(VALU_DEP_2) | instskip(NEXT) | instid1(VALU_DEP_2)
	v_add_f32_e32 v2, v2, v33
	v_add_f32_e32 v1, v1, v5
	s_delay_alu instid0(VALU_DEP_2) | instskip(NEXT) | instid1(VALU_DEP_2)
	v_dual_mul_f32 v5, v24, v20 :: v_dual_add_f32 v2, v2, v34
	v_add_f32_e32 v1, v1, v4
	s_delay_alu instid0(VALU_DEP_2) | instskip(NEXT) | instid1(VALU_DEP_3)
	v_fma_f32 v4, v23, v19, -v5
	v_add_f32_e32 v2, v2, v39
	s_delay_alu instid0(VALU_DEP_1) | instskip(NEXT) | instid1(VALU_DEP_1)
	v_dual_add_f32 v1, v1, v3 :: v_dual_add_f32 v2, v2, v26
	v_add_f32_e32 v1, v1, v4
	s_delay_alu instid0(VALU_DEP_1) | instskip(NEXT) | instid1(VALU_DEP_1)
	v_dual_add_f32 v2, v2, v28 :: v_dual_sub_f32 v1, v36, v1
	v_sub_f32_e32 v2, v37, v2
	scratch_store_b64 off, v[1:2], off offset:8
	v_cmpx_ne_u32_e32 0, v0
	s_cbranch_execz .LBB63_397
; %bb.396:
	scratch_load_b64 v[0:1], off, off
	v_mov_b32_e32 v2, 0
	s_delay_alu instid0(VALU_DEP_1)
	v_mov_b32_e32 v3, v2
	scratch_store_b64 off, v[2:3], off
	s_wait_loadcnt 0x0
	ds_store_b64 v35, v[0:1]
.LBB63_397:
	s_wait_alu 0xfffe
	s_or_b32 exec_lo, exec_lo, s0
	s_wait_storecnt_dscnt 0x0
	s_barrier_signal -1
	s_barrier_wait -1
	global_inv scope:SCOPE_SE
	s_clause 0x6
	scratch_load_b128 v[0:3], off, off offset:8
	scratch_load_b128 v[4:7], off, off offset:24
	;; [unrolled: 1-line block ×7, first 2 shown]
	v_mov_b32_e32 v32, 0
	scratch_load_b64 v[37:38], off, off
	s_and_b32 vcc_lo, exec_lo, s18
	ds_load_2addr_b64 v[28:31], v32 offset0:65 offset1:66
	ds_load_2addr_b64 v[33:36], v32 offset0:67 offset1:68
	s_wait_loadcnt_dscnt 0x701
	v_dual_mul_f32 v39, v28, v1 :: v_dual_mul_f32 v40, v30, v3
	v_mul_f32_e32 v1, v29, v1
	v_mul_f32_e32 v3, v31, v3
	s_delay_alu instid0(VALU_DEP_3) | instskip(NEXT) | instid1(VALU_DEP_3)
	v_dual_fmac_f32 v39, v29, v0 :: v_dual_fmac_f32 v40, v31, v2
	v_fma_f32 v28, v28, v0, -v1
	s_delay_alu instid0(VALU_DEP_3) | instskip(SKIP_4) | instid1(VALU_DEP_2)
	v_fma_f32 v29, v30, v2, -v3
	ds_load_2addr_b64 v[0:3], v32 offset0:69 offset1:70
	s_wait_loadcnt_dscnt 0x601
	v_dual_mul_f32 v30, v33, v5 :: v_dual_mul_f32 v31, v35, v7
	v_mul_f32_e32 v5, v34, v5
	v_dual_mul_f32 v7, v36, v7 :: v_dual_fmac_f32 v30, v34, v4
	s_delay_alu instid0(VALU_DEP_3) | instskip(NEXT) | instid1(VALU_DEP_3)
	v_fmac_f32_e32 v31, v36, v6
	v_fma_f32 v33, v33, v4, -v5
	s_delay_alu instid0(VALU_DEP_3) | instskip(SKIP_4) | instid1(VALU_DEP_2)
	v_fma_f32 v34, v35, v6, -v7
	ds_load_2addr_b64 v[4:7], v32 offset0:71 offset1:72
	s_wait_loadcnt_dscnt 0x501
	v_dual_mul_f32 v35, v0, v9 :: v_dual_mul_f32 v36, v2, v11
	v_mul_f32_e32 v11, v3, v11
	v_fmac_f32_e32 v36, v3, v10
	s_delay_alu instid0(VALU_DEP_2) | instskip(SKIP_2) | instid1(VALU_DEP_1)
	v_fma_f32 v42, v2, v10, -v11
	s_wait_loadcnt_dscnt 0x400
	v_dual_mul_f32 v44, v6, v15 :: v_dual_mul_f32 v9, v1, v9
	v_dual_fmac_f32 v35, v1, v8 :: v_dual_fmac_f32 v44, v7, v14
	s_delay_alu instid0(VALU_DEP_2) | instskip(SKIP_3) | instid1(VALU_DEP_2)
	v_fma_f32 v41, v0, v8, -v9
	ds_load_2addr_b64 v[0:3], v32 offset0:73 offset1:74
	v_mul_f32_e32 v43, v4, v13
	v_dual_mul_f32 v8, v5, v13 :: v_dual_mul_f32 v9, v7, v15
	v_fmac_f32_e32 v43, v5, v12
	s_delay_alu instid0(VALU_DEP_2) | instskip(NEXT) | instid1(VALU_DEP_3)
	v_fma_f32 v12, v4, v12, -v8
	v_fma_f32 v13, v6, v14, -v9
	ds_load_2addr_b64 v[4:7], v32 offset0:75 offset1:76
	s_wait_loadcnt_dscnt 0x301
	v_dual_mul_f32 v14, v0, v17 :: v_dual_mul_f32 v15, v2, v19
	v_dual_mul_f32 v8, v1, v17 :: v_dual_mul_f32 v9, v3, v19
	s_delay_alu instid0(VALU_DEP_2) | instskip(NEXT) | instid1(VALU_DEP_2)
	v_fmac_f32_e32 v14, v1, v16
	v_fma_f32 v16, v0, v16, -v8
	s_delay_alu instid0(VALU_DEP_3) | instskip(SKIP_4) | instid1(VALU_DEP_1)
	v_fma_f32 v17, v2, v18, -v9
	s_wait_loadcnt_dscnt 0x200
	v_dual_mul_f32 v8, v5, v21 :: v_dual_fmac_f32 v15, v3, v18
	ds_load_2addr_b64 v[0:3], v32 offset0:77 offset1:78
	v_dual_mul_f32 v18, v4, v21 :: v_dual_mul_f32 v19, v6, v23
	v_dual_mul_f32 v9, v7, v23 :: v_dual_fmac_f32 v18, v5, v20
	s_delay_alu instid0(VALU_DEP_2) | instskip(SKIP_1) | instid1(VALU_DEP_3)
	v_fmac_f32_e32 v19, v7, v22
	v_fma_f32 v20, v4, v20, -v8
	v_fma_f32 v21, v6, v22, -v9
	ds_load_2addr_b64 v[4:7], v32 offset0:79 offset1:80
	s_wait_loadcnt_dscnt 0x101
	v_dual_mul_f32 v22, v0, v25 :: v_dual_mul_f32 v23, v2, v27
	v_dual_mul_f32 v8, v1, v25 :: v_dual_mul_f32 v9, v3, v27
	s_delay_alu instid0(VALU_DEP_2) | instskip(NEXT) | instid1(VALU_DEP_2)
	v_dual_fmac_f32 v22, v1, v24 :: v_dual_fmac_f32 v23, v3, v26
	v_fma_f32 v24, v0, v24, -v8
	s_delay_alu instid0(VALU_DEP_3)
	v_fma_f32 v25, v2, v26, -v9
	s_clause 0x1
	scratch_load_b128 v[0:3], off, off offset:120
	scratch_load_b128 v[8:11], off, off offset:136
	s_wait_loadcnt_dscnt 0x100
	v_mul_f32_e32 v26, v5, v1
	v_mul_f32_e32 v27, v4, v1
	;; [unrolled: 1-line block ×3, first 2 shown]
	s_delay_alu instid0(VALU_DEP_3) | instskip(NEXT) | instid1(VALU_DEP_3)
	v_fma_f32 v26, v4, v0, -v26
	v_dual_fmac_f32 v27, v5, v0 :: v_dual_mul_f32 v0, v7, v3
	s_delay_alu instid0(VALU_DEP_3) | instskip(NEXT) | instid1(VALU_DEP_2)
	v_fmac_f32_e32 v45, v7, v2
	v_fma_f32 v46, v6, v2, -v0
	ds_load_2addr_b64 v[0:3], v32 offset0:81 offset1:82
	ds_load_2addr_b64 v[4:7], v32 offset0:83 offset1:84
	s_wait_loadcnt_dscnt 0x1
	v_mul_f32_e32 v47, v0, v9
	v_mul_f32_e32 v49, v2, v11
	s_delay_alu instid0(VALU_DEP_2) | instskip(SKIP_1) | instid1(VALU_DEP_3)
	v_fmac_f32_e32 v47, v1, v8
	v_mul_f32_e32 v1, v1, v9
	v_fmac_f32_e32 v49, v3, v10
	s_delay_alu instid0(VALU_DEP_2) | instskip(SKIP_1) | instid1(VALU_DEP_1)
	v_fma_f32 v48, v0, v8, -v1
	v_mul_f32_e32 v0, v3, v11
	v_fma_f32 v50, v2, v10, -v0
	s_clause 0x1
	scratch_load_b128 v[0:3], off, off offset:152
	scratch_load_b128 v[8:11], off, off offset:168
	s_wait_loadcnt_dscnt 0x100
	v_mul_f32_e32 v51, v4, v1
	v_mul_f32_e32 v1, v5, v1
	v_mul_f32_e32 v53, v6, v3
	s_delay_alu instid0(VALU_DEP_3) | instskip(NEXT) | instid1(VALU_DEP_3)
	v_fmac_f32_e32 v51, v5, v0
	v_fma_f32 v52, v4, v0, -v1
	v_mul_f32_e32 v0, v7, v3
	s_delay_alu instid0(VALU_DEP_4) | instskip(NEXT) | instid1(VALU_DEP_2)
	v_fmac_f32_e32 v53, v7, v2
	v_fma_f32 v54, v6, v2, -v0
	ds_load_2addr_b64 v[0:3], v32 offset0:85 offset1:86
	ds_load_2addr_b64 v[4:7], v32 offset0:87 offset1:88
	s_wait_loadcnt_dscnt 0x1
	v_mul_f32_e32 v55, v0, v9
	v_mul_f32_e32 v57, v2, v11
	s_delay_alu instid0(VALU_DEP_2) | instskip(SKIP_1) | instid1(VALU_DEP_3)
	v_fmac_f32_e32 v55, v1, v8
	v_mul_f32_e32 v1, v1, v9
	v_fmac_f32_e32 v57, v3, v10
	s_delay_alu instid0(VALU_DEP_2) | instskip(SKIP_1) | instid1(VALU_DEP_1)
	v_fma_f32 v56, v0, v8, -v1
	v_mul_f32_e32 v0, v3, v11
	v_fma_f32 v58, v2, v10, -v0
	s_clause 0x1
	scratch_load_b128 v[0:3], off, off offset:184
	scratch_load_b128 v[8:11], off, off offset:200
	s_wait_loadcnt_dscnt 0x100
	v_mul_f32_e32 v59, v4, v1
	v_mul_f32_e32 v1, v5, v1
	v_mul_f32_e32 v61, v6, v3
	s_delay_alu instid0(VALU_DEP_3) | instskip(NEXT) | instid1(VALU_DEP_3)
	v_fmac_f32_e32 v59, v5, v0
	v_fma_f32 v60, v4, v0, -v1
	v_mul_f32_e32 v0, v7, v3
	s_delay_alu instid0(VALU_DEP_4) | instskip(NEXT) | instid1(VALU_DEP_2)
	;; [unrolled: 27-line block ×8, first 2 shown]
	v_fmac_f32_e32 v237, v7, v2
	v_fma_f32 v238, v6, v2, -v0
	ds_load_2addr_b64 v[0:3], v32 offset0:113 offset1:114
	ds_load_2addr_b64 v[4:7], v32 offset0:115 offset1:116
	s_wait_loadcnt_dscnt 0x1
	v_mul_f32_e32 v239, v0, v9
	v_mul_f32_e32 v241, v2, v11
	s_delay_alu instid0(VALU_DEP_2) | instskip(SKIP_1) | instid1(VALU_DEP_3)
	v_fmac_f32_e32 v239, v1, v8
	v_mul_f32_e32 v1, v1, v9
	v_fmac_f32_e32 v241, v3, v10
	s_delay_alu instid0(VALU_DEP_2) | instskip(SKIP_1) | instid1(VALU_DEP_1)
	v_fma_f32 v240, v0, v8, -v1
	v_mul_f32_e32 v0, v3, v11
	v_fma_f32 v242, v2, v10, -v0
	s_clause 0x1
	scratch_load_b128 v[0:3], off, off offset:408
	scratch_load_b128 v[8:11], off, off offset:424
	s_wait_loadcnt_dscnt 0x100
	v_mul_f32_e32 v243, v4, v1
	v_mul_f32_e32 v1, v5, v1
	;; [unrolled: 1-line block ×3, first 2 shown]
	s_delay_alu instid0(VALU_DEP_3) | instskip(NEXT) | instid1(VALU_DEP_3)
	v_fmac_f32_e32 v243, v5, v0
	v_fma_f32 v244, v4, v0, -v1
	v_mul_f32_e32 v0, v7, v3
	v_add_f32_e32 v1, 0, v39
	v_fmac_f32_e32 v245, v7, v2
	s_delay_alu instid0(VALU_DEP_3) | instskip(SKIP_1) | instid1(VALU_DEP_1)
	v_fma_f32 v246, v6, v2, -v0
	v_add_f32_e32 v0, 0, v28
	v_dual_add_f32 v1, v1, v40 :: v_dual_add_f32 v0, v0, v29
	s_delay_alu instid0(VALU_DEP_1) | instskip(NEXT) | instid1(VALU_DEP_1)
	v_dual_add_f32 v1, v1, v30 :: v_dual_add_f32 v0, v0, v33
	v_dual_add_f32 v1, v1, v31 :: v_dual_add_f32 v0, v0, v34
	s_delay_alu instid0(VALU_DEP_1) | instskip(NEXT) | instid1(VALU_DEP_1)
	v_dual_add_f32 v1, v1, v35 :: v_dual_add_f32 v0, v0, v41
	;; [unrolled: 3-line block ×6, first 2 shown]
	v_dual_add_f32 v1, v1, v23 :: v_dual_add_f32 v0, v0, v25
	s_delay_alu instid0(VALU_DEP_1) | instskip(SKIP_2) | instid1(VALU_DEP_1)
	v_add_f32_e32 v1, v1, v27
	scratch_load_b64 v[24:25], off, off offset:504
	v_dual_add_f32 v0, v0, v26 :: v_dual_add_f32 v1, v1, v45
	v_dual_add_f32 v0, v0, v46 :: v_dual_add_f32 v1, v1, v47
	s_delay_alu instid0(VALU_DEP_1) | instskip(NEXT) | instid1(VALU_DEP_1)
	v_dual_add_f32 v0, v0, v48 :: v_dual_add_f32 v1, v1, v49
	v_dual_add_f32 v0, v0, v50 :: v_dual_add_f32 v1, v1, v51
	s_delay_alu instid0(VALU_DEP_1) | instskip(NEXT) | instid1(VALU_DEP_1)
	;; [unrolled: 3-line block ×10, first 2 shown]
	v_dual_add_f32 v0, v0, v212 :: v_dual_add_f32 v1, v1, v213
	v_add_f32_e32 v0, v0, v214
	s_delay_alu instid0(VALU_DEP_2) | instskip(NEXT) | instid1(VALU_DEP_2)
	v_add_f32_e32 v4, v1, v215
	v_add_f32_e32 v0, v0, v216
	s_delay_alu instid0(VALU_DEP_2) | instskip(NEXT) | instid1(VALU_DEP_2)
	v_add_f32_e32 v12, v4, v217
	v_add_f32_e32 v5, v0, v218
	scratch_load_b128 v[0:3], off, off offset:440
	v_dual_add_f32 v12, v12, v219 :: v_dual_add_f32 v13, v5, v220
	ds_load_2addr_b64 v[4:7], v32 offset0:117 offset1:118
	v_add_f32_e32 v13, v13, v222
	s_delay_alu instid0(VALU_DEP_1) | instskip(NEXT) | instid1(VALU_DEP_1)
	v_add_f32_e32 v16, v13, v224
	v_add_f32_e32 v16, v16, v226
	s_delay_alu instid0(VALU_DEP_1) | instskip(SKIP_1) | instid1(VALU_DEP_2)
	v_add_f32_e32 v16, v16, v228
	v_add_f32_e32 v12, v12, v221
	;; [unrolled: 1-line block ×3, first 2 shown]
	s_delay_alu instid0(VALU_DEP_2)
	v_add_f32_e32 v17, v12, v223
	ds_load_2addr_b64 v[12:15], v32 offset0:119 offset1:120
	s_wait_loadcnt_dscnt 0x201
	v_mul_f32_e32 v28, v4, v9
	v_mul_f32_e32 v9, v5, v9
	;; [unrolled: 1-line block ×4, first 2 shown]
	v_add_f32_e32 v17, v17, v225
	v_fmac_f32_e32 v28, v5, v8
	v_fma_f32 v30, v4, v8, -v9
	v_fmac_f32_e32 v29, v7, v10
	v_fma_f32 v31, v6, v10, -v11
	s_clause 0x1
	scratch_load_b128 v[4:7], off, off offset:456
	scratch_load_b128 v[8:11], off, off offset:472
	v_add_f32_e32 v17, v17, v227
	s_delay_alu instid0(VALU_DEP_1) | instskip(SKIP_2) | instid1(VALU_DEP_1)
	v_dual_add_f32 v21, v16, v232 :: v_dual_add_f32 v20, v17, v229
	scratch_load_b128 v[16:19], off, off offset:488
	v_dual_add_f32 v21, v21, v234 :: v_dual_add_f32 v20, v20, v231
	v_add_f32_e32 v21, v21, v236
	s_delay_alu instid0(VALU_DEP_1) | instskip(SKIP_4) | instid1(VALU_DEP_3)
	v_add_f32_e32 v21, v21, v238
	s_wait_loadcnt_dscnt 0x300
	v_mul_f32_e32 v33, v12, v1
	v_dual_mul_f32 v1, v13, v1 :: v_dual_mul_f32 v34, v14, v3
	v_mul_f32_e32 v3, v15, v3
	v_fmac_f32_e32 v33, v13, v0
	v_add_f32_e32 v13, v21, v240
	s_delay_alu instid0(VALU_DEP_4) | instskip(SKIP_4) | instid1(VALU_DEP_1)
	v_fma_f32 v35, v12, v0, -v1
	v_fmac_f32_e32 v34, v15, v2
	v_fma_f32 v36, v14, v2, -v3
	ds_load_2addr_b64 v[0:3], v32 offset0:121 offset1:122
	v_add_f32_e32 v26, v13, v242
	v_add_f32_e32 v39, v26, v244
	s_delay_alu instid0(VALU_DEP_1) | instskip(NEXT) | instid1(VALU_DEP_1)
	v_add_f32_e32 v39, v39, v246
	v_add_f32_e32 v30, v39, v30
	s_delay_alu instid0(VALU_DEP_1) | instskip(NEXT) | instid1(VALU_DEP_1)
	v_add_f32_e32 v30, v30, v31
	v_add_f32_e32 v30, v30, v35
	;; [unrolled: 1-line block ×3, first 2 shown]
	s_delay_alu instid0(VALU_DEP_1) | instskip(NEXT) | instid1(VALU_DEP_1)
	v_add_f32_e32 v20, v20, v235
	v_add_f32_e32 v12, v20, v237
	s_delay_alu instid0(VALU_DEP_1)
	v_add_f32_e32 v20, v12, v239
	ds_load_2addr_b64 v[12:15], v32 offset0:123 offset1:124
	s_wait_loadcnt_dscnt 0x201
	v_mul_f32_e32 v41, v0, v5
	v_mul_f32_e32 v5, v1, v5
	;; [unrolled: 1-line block ×3, first 2 shown]
	v_add_f32_e32 v27, v20, v241
	ds_load_2addr_b64 v[20:23], v32 offset0:125 offset1:126
	v_mul_f32_e32 v7, v3, v7
	v_fmac_f32_e32 v41, v1, v4
	v_fma_f32 v0, v0, v4, -v5
	v_dual_add_f32 v40, v27, v243 :: v_dual_add_f32 v1, v30, v36
	ds_load_b64 v[26:27], v32 offset:1016
	v_fmac_f32_e32 v39, v3, v6
	v_fma_f32 v2, v2, v6, -v7
	v_add_f32_e32 v40, v40, v245
	v_add_f32_e32 v0, v1, v0
	s_delay_alu instid0(VALU_DEP_2)
	v_add_f32_e32 v28, v40, v28
	s_wait_loadcnt_dscnt 0x102
	v_mul_f32_e32 v31, v12, v9
	v_mul_f32_e32 v5, v13, v9
	v_dual_mul_f32 v3, v15, v11 :: v_dual_add_f32 v0, v0, v2
	v_dual_add_f32 v28, v28, v29 :: v_dual_mul_f32 v29, v14, v11
	s_wait_loadcnt_dscnt 0x1
	v_dual_fmac_f32 v31, v13, v8 :: v_dual_mul_f32 v40, v20, v17
	v_mul_f32_e32 v2, v21, v17
	s_delay_alu instid0(VALU_DEP_3) | instskip(SKIP_1) | instid1(VALU_DEP_4)
	v_dual_add_f32 v28, v28, v33 :: v_dual_fmac_f32 v29, v15, v10
	v_fma_f32 v3, v14, v10, -v3
	v_dual_mul_f32 v35, v22, v19 :: v_dual_fmac_f32 v40, v21, v16
	s_delay_alu instid0(VALU_DEP_3)
	v_add_f32_e32 v4, v28, v34
	v_fma_f32 v2, v20, v16, -v2
	s_wait_dscnt 0x0
	v_mul_f32_e32 v33, v26, v25
	v_fmac_f32_e32 v35, v23, v18
	v_add_f32_e32 v1, v4, v41
	v_fma_f32 v4, v12, v8, -v5
	s_delay_alu instid0(VALU_DEP_4) | instskip(NEXT) | instid1(VALU_DEP_2)
	v_fmac_f32_e32 v33, v27, v24
	v_dual_add_f32 v1, v1, v39 :: v_dual_add_f32 v0, v0, v4
	v_mul_f32_e32 v4, v23, v19
	s_delay_alu instid0(VALU_DEP_2) | instskip(NEXT) | instid1(VALU_DEP_3)
	v_add_f32_e32 v1, v1, v31
	v_dual_add_f32 v0, v0, v3 :: v_dual_mul_f32 v3, v27, v25
	s_delay_alu instid0(VALU_DEP_3) | instskip(NEXT) | instid1(VALU_DEP_2)
	v_fma_f32 v4, v22, v18, -v4
	v_dual_add_f32 v1, v1, v29 :: v_dual_add_f32 v0, v0, v2
	s_delay_alu instid0(VALU_DEP_3) | instskip(NEXT) | instid1(VALU_DEP_2)
	v_fma_f32 v2, v26, v24, -v3
	v_add_f32_e32 v1, v1, v40
	s_delay_alu instid0(VALU_DEP_1) | instskip(NEXT) | instid1(VALU_DEP_1)
	v_dual_add_f32 v0, v0, v4 :: v_dual_add_f32 v1, v1, v35
	v_dual_add_f32 v0, v0, v2 :: v_dual_add_f32 v1, v1, v33
	s_delay_alu instid0(VALU_DEP_1)
	v_dual_sub_f32 v0, v37, v0 :: v_dual_sub_f32 v1, v38, v1
	scratch_store_b64 off, v[0:1], off
	s_wait_alu 0xfffe
	s_cbranch_vccz .LBB63_524
; %bb.398:
	global_load_b32 v0, v32, s[2:3] offset:248
	s_wait_loadcnt 0x0
	v_cmp_ne_u32_e32 vcc_lo, 63, v0
	s_cbranch_vccz .LBB63_400
; %bb.399:
	v_lshlrev_b32_e32 v0, 3, v0
	s_delay_alu instid0(VALU_DEP_1)
	v_mov_b32_e32 v4, v0
	scratch_load_b64 v[0:1], v4, off offset:-8
	scratch_load_b64 v[2:3], off, off offset:496
	s_wait_loadcnt 0x1
	scratch_store_b64 off, v[0:1], off offset:496
	s_wait_loadcnt 0x0
	scratch_store_b64 v4, v[2:3], off offset:-8
.LBB63_400:
	v_mov_b32_e32 v0, 0
	global_load_b32 v1, v0, s[2:3] offset:244
	s_wait_loadcnt 0x0
	v_cmp_eq_u32_e32 vcc_lo, 62, v1
	s_cbranch_vccnz .LBB63_402
; %bb.401:
	v_lshlrev_b32_e32 v1, 3, v1
	s_delay_alu instid0(VALU_DEP_1)
	v_mov_b32_e32 v5, v1
	scratch_load_b64 v[1:2], v5, off offset:-8
	scratch_load_b64 v[3:4], off, off offset:488
	s_wait_loadcnt 0x1
	scratch_store_b64 off, v[1:2], off offset:488
	s_wait_loadcnt 0x0
	scratch_store_b64 v5, v[3:4], off offset:-8
.LBB63_402:
	global_load_b32 v0, v0, s[2:3] offset:240
	s_wait_loadcnt 0x0
	v_cmp_eq_u32_e32 vcc_lo, 61, v0
	s_cbranch_vccnz .LBB63_404
; %bb.403:
	v_lshlrev_b32_e32 v0, 3, v0
	s_delay_alu instid0(VALU_DEP_1)
	v_mov_b32_e32 v4, v0
	scratch_load_b64 v[0:1], v4, off offset:-8
	scratch_load_b64 v[2:3], off, off offset:480
	s_wait_loadcnt 0x1
	scratch_store_b64 off, v[0:1], off offset:480
	s_wait_loadcnt 0x0
	scratch_store_b64 v4, v[2:3], off offset:-8
.LBB63_404:
	v_mov_b32_e32 v0, 0
	global_load_b32 v1, v0, s[2:3] offset:236
	s_wait_loadcnt 0x0
	v_cmp_eq_u32_e32 vcc_lo, 60, v1
	s_cbranch_vccnz .LBB63_406
; %bb.405:
	v_lshlrev_b32_e32 v1, 3, v1
	s_delay_alu instid0(VALU_DEP_1)
	v_mov_b32_e32 v5, v1
	scratch_load_b64 v[1:2], v5, off offset:-8
	scratch_load_b64 v[3:4], off, off offset:472
	s_wait_loadcnt 0x1
	scratch_store_b64 off, v[1:2], off offset:472
	s_wait_loadcnt 0x0
	scratch_store_b64 v5, v[3:4], off offset:-8
.LBB63_406:
	global_load_b32 v0, v0, s[2:3] offset:232
	s_wait_loadcnt 0x0
	v_cmp_eq_u32_e32 vcc_lo, 59, v0
	s_cbranch_vccnz .LBB63_408
; %bb.407:
	v_lshlrev_b32_e32 v0, 3, v0
	s_delay_alu instid0(VALU_DEP_1)
	v_mov_b32_e32 v4, v0
	scratch_load_b64 v[0:1], v4, off offset:-8
	scratch_load_b64 v[2:3], off, off offset:464
	s_wait_loadcnt 0x1
	scratch_store_b64 off, v[0:1], off offset:464
	s_wait_loadcnt 0x0
	scratch_store_b64 v4, v[2:3], off offset:-8
.LBB63_408:
	;; [unrolled: 31-line block ×30, first 2 shown]
	v_mov_b32_e32 v0, 0
	global_load_b32 v1, v0, s[2:3] offset:4
	s_wait_loadcnt 0x0
	v_cmp_eq_u32_e32 vcc_lo, 2, v1
	s_cbranch_vccnz .LBB63_522
; %bb.521:
	v_lshlrev_b32_e32 v1, 3, v1
	s_delay_alu instid0(VALU_DEP_1)
	v_mov_b32_e32 v5, v1
	scratch_load_b64 v[1:2], v5, off offset:-8
	scratch_load_b64 v[3:4], off, off offset:8
	s_wait_loadcnt 0x1
	scratch_store_b64 off, v[1:2], off offset:8
	s_wait_loadcnt 0x0
	scratch_store_b64 v5, v[3:4], off offset:-8
.LBB63_522:
	global_load_b32 v0, v0, s[2:3]
	s_wait_loadcnt 0x0
	v_cmp_eq_u32_e32 vcc_lo, 1, v0
	s_cbranch_vccnz .LBB63_524
; %bb.523:
	v_lshlrev_b32_e32 v0, 3, v0
	s_delay_alu instid0(VALU_DEP_1)
	v_mov_b32_e32 v4, v0
	scratch_load_b64 v[0:1], v4, off offset:-8
	scratch_load_b64 v[2:3], off, off
	s_wait_loadcnt 0x1
	scratch_store_b64 off, v[0:1], off
	s_wait_loadcnt 0x0
	scratch_store_b64 v4, v[2:3], off offset:-8
.LBB63_524:
	s_clause 0x1e
	scratch_load_b128 v[0:3], off, off
	scratch_load_b128 v[4:7], off, off offset:16
	scratch_load_b128 v[8:11], off, off offset:32
	;; [unrolled: 1-line block ×30, first 2 shown]
	s_wait_loadcnt 0x1e
	s_clause 0x1
	global_store_b64 v[69:70], v[0:1], off
	global_store_b64 v[71:72], v[2:3], off
	scratch_load_b128 v[0:3], off, off offset:496
	s_wait_loadcnt 0x1e
	s_clause 0x1
	global_store_b64 v[73:74], v[4:5], off
	global_store_b64 v[75:76], v[6:7], off
	s_wait_loadcnt 0x1d
	s_clause 0x1
	global_store_b64 v[77:78], v[8:9], off
	global_store_b64 v[79:80], v[10:11], off
	;; [unrolled: 4-line block ×31, first 2 shown]
	s_nop 0
	s_sendmsg sendmsg(MSG_DEALLOC_VGPRS)
	s_endpgm
	.section	.rodata,"a",@progbits
	.p2align	6, 0x0
	.amdhsa_kernel _ZN9rocsolver6v33100L18getri_kernel_smallILi64E19rocblas_complex_numIfEPS3_EEvT1_iilPiilS6_bb
		.amdhsa_group_segment_fixed_size 1028
		.amdhsa_private_segment_fixed_size 528
		.amdhsa_kernarg_size 60
		.amdhsa_user_sgpr_count 2
		.amdhsa_user_sgpr_dispatch_ptr 0
		.amdhsa_user_sgpr_queue_ptr 0
		.amdhsa_user_sgpr_kernarg_segment_ptr 1
		.amdhsa_user_sgpr_dispatch_id 0
		.amdhsa_user_sgpr_private_segment_size 0
		.amdhsa_wavefront_size32 1
		.amdhsa_uses_dynamic_stack 0
		.amdhsa_enable_private_segment 1
		.amdhsa_system_sgpr_workgroup_id_x 1
		.amdhsa_system_sgpr_workgroup_id_y 0
		.amdhsa_system_sgpr_workgroup_id_z 0
		.amdhsa_system_sgpr_workgroup_info 0
		.amdhsa_system_vgpr_workitem_id 0
		.amdhsa_next_free_vgpr 253
		.amdhsa_next_free_sgpr 19
		.amdhsa_reserve_vcc 1
		.amdhsa_float_round_mode_32 0
		.amdhsa_float_round_mode_16_64 0
		.amdhsa_float_denorm_mode_32 3
		.amdhsa_float_denorm_mode_16_64 3
		.amdhsa_fp16_overflow 0
		.amdhsa_workgroup_processor_mode 1
		.amdhsa_memory_ordered 1
		.amdhsa_forward_progress 1
		.amdhsa_inst_pref_size 255
		.amdhsa_round_robin_scheduling 0
		.amdhsa_exception_fp_ieee_invalid_op 0
		.amdhsa_exception_fp_denorm_src 0
		.amdhsa_exception_fp_ieee_div_zero 0
		.amdhsa_exception_fp_ieee_overflow 0
		.amdhsa_exception_fp_ieee_underflow 0
		.amdhsa_exception_fp_ieee_inexact 0
		.amdhsa_exception_int_div_zero 0
	.end_amdhsa_kernel
	.section	.text._ZN9rocsolver6v33100L18getri_kernel_smallILi64E19rocblas_complex_numIfEPS3_EEvT1_iilPiilS6_bb,"axG",@progbits,_ZN9rocsolver6v33100L18getri_kernel_smallILi64E19rocblas_complex_numIfEPS3_EEvT1_iilPiilS6_bb,comdat
.Lfunc_end63:
	.size	_ZN9rocsolver6v33100L18getri_kernel_smallILi64E19rocblas_complex_numIfEPS3_EEvT1_iilPiilS6_bb, .Lfunc_end63-_ZN9rocsolver6v33100L18getri_kernel_smallILi64E19rocblas_complex_numIfEPS3_EEvT1_iilPiilS6_bb
                                        ; -- End function
	.set _ZN9rocsolver6v33100L18getri_kernel_smallILi64E19rocblas_complex_numIfEPS3_EEvT1_iilPiilS6_bb.num_vgpr, 253
	.set _ZN9rocsolver6v33100L18getri_kernel_smallILi64E19rocblas_complex_numIfEPS3_EEvT1_iilPiilS6_bb.num_agpr, 0
	.set _ZN9rocsolver6v33100L18getri_kernel_smallILi64E19rocblas_complex_numIfEPS3_EEvT1_iilPiilS6_bb.numbered_sgpr, 19
	.set _ZN9rocsolver6v33100L18getri_kernel_smallILi64E19rocblas_complex_numIfEPS3_EEvT1_iilPiilS6_bb.num_named_barrier, 0
	.set _ZN9rocsolver6v33100L18getri_kernel_smallILi64E19rocblas_complex_numIfEPS3_EEvT1_iilPiilS6_bb.private_seg_size, 528
	.set _ZN9rocsolver6v33100L18getri_kernel_smallILi64E19rocblas_complex_numIfEPS3_EEvT1_iilPiilS6_bb.uses_vcc, 1
	.set _ZN9rocsolver6v33100L18getri_kernel_smallILi64E19rocblas_complex_numIfEPS3_EEvT1_iilPiilS6_bb.uses_flat_scratch, 1
	.set _ZN9rocsolver6v33100L18getri_kernel_smallILi64E19rocblas_complex_numIfEPS3_EEvT1_iilPiilS6_bb.has_dyn_sized_stack, 0
	.set _ZN9rocsolver6v33100L18getri_kernel_smallILi64E19rocblas_complex_numIfEPS3_EEvT1_iilPiilS6_bb.has_recursion, 0
	.set _ZN9rocsolver6v33100L18getri_kernel_smallILi64E19rocblas_complex_numIfEPS3_EEvT1_iilPiilS6_bb.has_indirect_call, 0
	.section	.AMDGPU.csdata,"",@progbits
; Kernel info:
; codeLenInByte = 130672
; TotalNumSgprs: 21
; NumVgprs: 253
; ScratchSize: 528
; MemoryBound: 0
; FloatMode: 240
; IeeeMode: 1
; LDSByteSize: 1028 bytes/workgroup (compile time only)
; SGPRBlocks: 0
; VGPRBlocks: 31
; NumSGPRsForWavesPerEU: 21
; NumVGPRsForWavesPerEU: 253
; Occupancy: 5
; WaveLimiterHint : 1
; COMPUTE_PGM_RSRC2:SCRATCH_EN: 1
; COMPUTE_PGM_RSRC2:USER_SGPR: 2
; COMPUTE_PGM_RSRC2:TRAP_HANDLER: 0
; COMPUTE_PGM_RSRC2:TGID_X_EN: 1
; COMPUTE_PGM_RSRC2:TGID_Y_EN: 0
; COMPUTE_PGM_RSRC2:TGID_Z_EN: 0
; COMPUTE_PGM_RSRC2:TIDIG_COMP_CNT: 0
	.section	.text._ZN9rocsolver6v33100L18getri_kernel_smallILi1E19rocblas_complex_numIfEPKPS3_EEvT1_iilPiilS8_bb,"axG",@progbits,_ZN9rocsolver6v33100L18getri_kernel_smallILi1E19rocblas_complex_numIfEPKPS3_EEvT1_iilPiilS8_bb,comdat
	.globl	_ZN9rocsolver6v33100L18getri_kernel_smallILi1E19rocblas_complex_numIfEPKPS3_EEvT1_iilPiilS8_bb ; -- Begin function _ZN9rocsolver6v33100L18getri_kernel_smallILi1E19rocblas_complex_numIfEPKPS3_EEvT1_iilPiilS8_bb
	.p2align	8
	.type	_ZN9rocsolver6v33100L18getri_kernel_smallILi1E19rocblas_complex_numIfEPKPS3_EEvT1_iilPiilS8_bb,@function
_ZN9rocsolver6v33100L18getri_kernel_smallILi1E19rocblas_complex_numIfEPKPS3_EEvT1_iilPiilS8_bb: ; @_ZN9rocsolver6v33100L18getri_kernel_smallILi1E19rocblas_complex_numIfEPKPS3_EEvT1_iilPiilS8_bb
; %bb.0:
	s_mov_b32 s7, 0
	s_mov_b32 s2, exec_lo
	v_cmpx_eq_u32_e32 0, v0
	s_cbranch_execz .LBB64_16
; %bb.1:
	s_clause 0x1
	s_load_b96 s[12:14], s[0:1], 0x0
	s_load_b96 s[4:6], s[0:1], 0x30
	s_mov_b32 s8, ttmp9
	s_wait_kmcnt 0x0
	s_ashr_i32 s1, s14, 31
	s_bitcmp1_b32 s6, 0
	s_mov_b32 s0, s14
	s_cselect_b32 s6, -1, 0
	s_ashr_i32 s9, ttmp9, 31
	s_lshl_b64 s[0:1], s[0:1], 3
	s_lshl_b64 s[2:3], s[8:9], 3
	s_and_b32 vcc_lo, exec_lo, s6
	s_add_nc_u64 s[2:3], s[12:13], s[2:3]
	s_load_b64 s[2:3], s[2:3], 0x0
	s_wait_kmcnt 0x0
	s_add_nc_u64 s[2:3], s[2:3], s[0:1]
	s_mov_b32 s0, -1
	v_dual_mov_b32 v0, s2 :: v_dual_mov_b32 v1, s3
	flat_load_b64 v[0:1], v[0:1]
	s_cbranch_vccnz .LBB64_3
; %bb.2:
	s_lshl_b64 s[0:1], s[8:9], 2
	s_delay_alu instid0(SALU_CYCLE_1)
	s_add_nc_u64 s[0:1], s[4:5], s[0:1]
	s_load_b32 s0, s[0:1], 0x0
	s_wait_kmcnt 0x0
	s_cmp_eq_u32 s0, 0
	s_mov_b32 s0, 0
	s_cselect_b32 s7, -1, 0
.LBB64_3:
	s_and_not1_b32 vcc_lo, exec_lo, s0
	s_cbranch_vccnz .LBB64_14
; %bb.4:
	s_wait_loadcnt_dscnt 0x0
	v_cmp_eq_f32_e32 vcc_lo, 0, v0
	v_cmp_eq_f32_e64 s0, 0, v1
	v_mov_b32_e32 v2, 0
	s_and_b32 s0, vcc_lo, s0
	ds_store_b32 v2, v2
	s_wait_dscnt 0x0
	s_barrier_signal -1
	s_barrier_wait -1
	global_inv scope:SCOPE_SE
	s_and_saveexec_b32 s1, s0
	s_cbranch_execz .LBB64_8
; %bb.5:
	ds_load_b32 v3, v2
	s_wait_dscnt 0x0
	v_cmp_ne_u32_e32 vcc_lo, 0, v3
	v_cmp_gt_i32_e64 s0, 2, v3
	s_and_b32 s0, vcc_lo, s0
	s_delay_alu instid0(SALU_CYCLE_1)
	s_and_b32 vcc_lo, exec_lo, s0
	s_cbranch_vccnz .LBB64_8
; %bb.6:
	v_dual_mov_b32 v4, 1 :: v_dual_mov_b32 v5, 0
	s_mov_b32 s6, 0
.LBB64_7:                               ; =>This Inner Loop Header: Depth=1
	ds_cmpstore_rtn_b32 v3, v5, v4, v3
	s_wait_dscnt 0x0
	v_cmp_ne_u32_e32 vcc_lo, 0, v3
	v_cmp_gt_i32_e64 s0, 2, v3
	s_and_b32 s0, vcc_lo, s0
	s_delay_alu instid0(SALU_CYCLE_1) | instskip(NEXT) | instid1(SALU_CYCLE_1)
	s_and_b32 s0, exec_lo, s0
	s_or_b32 s6, s0, s6
	s_delay_alu instid0(SALU_CYCLE_1)
	s_and_not1_b32 exec_lo, exec_lo, s6
	s_cbranch_execnz .LBB64_7
.LBB64_8:
	s_or_b32 exec_lo, exec_lo, s1
	s_wait_loadcnt 0x0
	s_barrier_signal -1
	s_barrier_wait -1
	global_inv scope:SCOPE_SE
	ds_load_b32 v3, v2
	s_lshl_b64 s[0:1], s[8:9], 2
	s_delay_alu instid0(SALU_CYCLE_1)
	s_add_nc_u64 s[0:1], s[4:5], s[0:1]
	s_wait_dscnt 0x0
	v_cmp_ne_u32_e32 vcc_lo, 0, v3
	global_store_b32 v2, v3, s[0:1]
	s_cbranch_vccnz .LBB64_14
; %bb.9:
	v_cmp_ngt_f32_e64 s0, |v0|, |v1|
	s_and_saveexec_b32 s1, s0
	s_delay_alu instid0(SALU_CYCLE_1)
	s_xor_b32 s0, exec_lo, s1
	s_cbranch_execz .LBB64_11
; %bb.10:
	v_div_scale_f32 v2, null, v1, v1, v0
	v_div_scale_f32 v5, vcc_lo, v0, v1, v0
	s_delay_alu instid0(VALU_DEP_2) | instskip(NEXT) | instid1(TRANS32_DEP_1)
	v_rcp_f32_e32 v3, v2
	v_fma_f32 v4, -v2, v3, 1.0
	s_delay_alu instid0(VALU_DEP_1) | instskip(NEXT) | instid1(VALU_DEP_1)
	v_fmac_f32_e32 v3, v4, v3
	v_mul_f32_e32 v4, v5, v3
	s_delay_alu instid0(VALU_DEP_1) | instskip(NEXT) | instid1(VALU_DEP_1)
	v_fma_f32 v6, -v2, v4, v5
	v_fmac_f32_e32 v4, v6, v3
	s_delay_alu instid0(VALU_DEP_1) | instskip(NEXT) | instid1(VALU_DEP_1)
	v_fma_f32 v2, -v2, v4, v5
	v_div_fmas_f32 v2, v2, v3, v4
	s_delay_alu instid0(VALU_DEP_1) | instskip(NEXT) | instid1(VALU_DEP_1)
	v_div_fixup_f32 v2, v2, v1, v0
	v_fmac_f32_e32 v1, v0, v2
	s_delay_alu instid0(VALU_DEP_1) | instskip(SKIP_1) | instid1(VALU_DEP_2)
	v_div_scale_f32 v0, null, v1, v1, 1.0
	v_div_scale_f32 v5, vcc_lo, 1.0, v1, 1.0
	v_rcp_f32_e32 v3, v0
	s_delay_alu instid0(TRANS32_DEP_1) | instskip(NEXT) | instid1(VALU_DEP_1)
	v_fma_f32 v4, -v0, v3, 1.0
	v_fmac_f32_e32 v3, v4, v3
	s_delay_alu instid0(VALU_DEP_1) | instskip(NEXT) | instid1(VALU_DEP_1)
	v_mul_f32_e32 v4, v5, v3
	v_fma_f32 v6, -v0, v4, v5
	s_delay_alu instid0(VALU_DEP_1) | instskip(NEXT) | instid1(VALU_DEP_1)
	v_fmac_f32_e32 v4, v6, v3
	v_fma_f32 v0, -v0, v4, v5
	s_wait_alu 0xfffd
	s_delay_alu instid0(VALU_DEP_1) | instskip(NEXT) | instid1(VALU_DEP_1)
	v_div_fmas_f32 v0, v0, v3, v4
	v_div_fixup_f32 v1, v0, v1, 1.0
	s_delay_alu instid0(VALU_DEP_1)
	v_mul_f32_e32 v0, v2, v1
	v_xor_b32_e32 v1, 0x80000000, v1
.LBB64_11:
	s_and_not1_saveexec_b32 s0, s0
	s_cbranch_execz .LBB64_13
; %bb.12:
	s_delay_alu instid0(VALU_DEP_1) | instskip(SKIP_1) | instid1(VALU_DEP_2)
	v_div_scale_f32 v2, null, v0, v0, v1
	v_div_scale_f32 v5, vcc_lo, v1, v0, v1
	v_rcp_f32_e32 v3, v2
	s_delay_alu instid0(TRANS32_DEP_1) | instskip(NEXT) | instid1(VALU_DEP_1)
	v_fma_f32 v4, -v2, v3, 1.0
	v_fmac_f32_e32 v3, v4, v3
	s_delay_alu instid0(VALU_DEP_1) | instskip(NEXT) | instid1(VALU_DEP_1)
	v_mul_f32_e32 v4, v5, v3
	v_fma_f32 v6, -v2, v4, v5
	s_delay_alu instid0(VALU_DEP_1) | instskip(NEXT) | instid1(VALU_DEP_1)
	v_fmac_f32_e32 v4, v6, v3
	v_fma_f32 v2, -v2, v4, v5
	s_wait_alu 0xfffd
	s_delay_alu instid0(VALU_DEP_1) | instskip(NEXT) | instid1(VALU_DEP_1)
	v_div_fmas_f32 v2, v2, v3, v4
	v_div_fixup_f32 v2, v2, v0, v1
	s_delay_alu instid0(VALU_DEP_1) | instskip(NEXT) | instid1(VALU_DEP_1)
	v_fmac_f32_e32 v0, v1, v2
	v_div_scale_f32 v1, null, v0, v0, 1.0
	s_delay_alu instid0(VALU_DEP_1) | instskip(NEXT) | instid1(TRANS32_DEP_1)
	v_rcp_f32_e32 v3, v1
	v_fma_f32 v4, -v1, v3, 1.0
	s_delay_alu instid0(VALU_DEP_1) | instskip(SKIP_1) | instid1(VALU_DEP_1)
	v_fmac_f32_e32 v3, v4, v3
	v_div_scale_f32 v4, vcc_lo, 1.0, v0, 1.0
	v_mul_f32_e32 v5, v4, v3
	s_delay_alu instid0(VALU_DEP_1) | instskip(NEXT) | instid1(VALU_DEP_1)
	v_fma_f32 v6, -v1, v5, v4
	v_fmac_f32_e32 v5, v6, v3
	s_delay_alu instid0(VALU_DEP_1) | instskip(SKIP_1) | instid1(VALU_DEP_1)
	v_fma_f32 v1, -v1, v5, v4
	s_wait_alu 0xfffd
	v_div_fmas_f32 v1, v1, v3, v5
	s_delay_alu instid0(VALU_DEP_1) | instskip(NEXT) | instid1(VALU_DEP_1)
	v_div_fixup_f32 v0, v1, v0, 1.0
	v_mul_f32_e64 v1, v2, -v0
.LBB64_13:
	s_or_b32 exec_lo, exec_lo, s0
	s_mov_b32 s7, -1
.LBB64_14:
	s_delay_alu instid0(SALU_CYCLE_1)
	s_and_b32 vcc_lo, exec_lo, s7
	s_wait_alu 0xfffe
	s_cbranch_vccz .LBB64_16
; %bb.15:
	v_dual_mov_b32 v2, s2 :: v_dual_mov_b32 v3, s3
	s_wait_loadcnt_dscnt 0x0
	flat_store_b64 v[2:3], v[0:1]
.LBB64_16:
	s_endpgm
	.section	.rodata,"a",@progbits
	.p2align	6, 0x0
	.amdhsa_kernel _ZN9rocsolver6v33100L18getri_kernel_smallILi1E19rocblas_complex_numIfEPKPS3_EEvT1_iilPiilS8_bb
		.amdhsa_group_segment_fixed_size 4
		.amdhsa_private_segment_fixed_size 0
		.amdhsa_kernarg_size 60
		.amdhsa_user_sgpr_count 2
		.amdhsa_user_sgpr_dispatch_ptr 0
		.amdhsa_user_sgpr_queue_ptr 0
		.amdhsa_user_sgpr_kernarg_segment_ptr 1
		.amdhsa_user_sgpr_dispatch_id 0
		.amdhsa_user_sgpr_private_segment_size 0
		.amdhsa_wavefront_size32 1
		.amdhsa_uses_dynamic_stack 0
		.amdhsa_enable_private_segment 0
		.amdhsa_system_sgpr_workgroup_id_x 1
		.amdhsa_system_sgpr_workgroup_id_y 0
		.amdhsa_system_sgpr_workgroup_id_z 0
		.amdhsa_system_sgpr_workgroup_info 0
		.amdhsa_system_vgpr_workitem_id 0
		.amdhsa_next_free_vgpr 7
		.amdhsa_next_free_sgpr 15
		.amdhsa_reserve_vcc 1
		.amdhsa_float_round_mode_32 0
		.amdhsa_float_round_mode_16_64 0
		.amdhsa_float_denorm_mode_32 3
		.amdhsa_float_denorm_mode_16_64 3
		.amdhsa_fp16_overflow 0
		.amdhsa_workgroup_processor_mode 1
		.amdhsa_memory_ordered 1
		.amdhsa_forward_progress 1
		.amdhsa_inst_pref_size 8
		.amdhsa_round_robin_scheduling 0
		.amdhsa_exception_fp_ieee_invalid_op 0
		.amdhsa_exception_fp_denorm_src 0
		.amdhsa_exception_fp_ieee_div_zero 0
		.amdhsa_exception_fp_ieee_overflow 0
		.amdhsa_exception_fp_ieee_underflow 0
		.amdhsa_exception_fp_ieee_inexact 0
		.amdhsa_exception_int_div_zero 0
	.end_amdhsa_kernel
	.section	.text._ZN9rocsolver6v33100L18getri_kernel_smallILi1E19rocblas_complex_numIfEPKPS3_EEvT1_iilPiilS8_bb,"axG",@progbits,_ZN9rocsolver6v33100L18getri_kernel_smallILi1E19rocblas_complex_numIfEPKPS3_EEvT1_iilPiilS8_bb,comdat
.Lfunc_end64:
	.size	_ZN9rocsolver6v33100L18getri_kernel_smallILi1E19rocblas_complex_numIfEPKPS3_EEvT1_iilPiilS8_bb, .Lfunc_end64-_ZN9rocsolver6v33100L18getri_kernel_smallILi1E19rocblas_complex_numIfEPKPS3_EEvT1_iilPiilS8_bb
                                        ; -- End function
	.set _ZN9rocsolver6v33100L18getri_kernel_smallILi1E19rocblas_complex_numIfEPKPS3_EEvT1_iilPiilS8_bb.num_vgpr, 7
	.set _ZN9rocsolver6v33100L18getri_kernel_smallILi1E19rocblas_complex_numIfEPKPS3_EEvT1_iilPiilS8_bb.num_agpr, 0
	.set _ZN9rocsolver6v33100L18getri_kernel_smallILi1E19rocblas_complex_numIfEPKPS3_EEvT1_iilPiilS8_bb.numbered_sgpr, 15
	.set _ZN9rocsolver6v33100L18getri_kernel_smallILi1E19rocblas_complex_numIfEPKPS3_EEvT1_iilPiilS8_bb.num_named_barrier, 0
	.set _ZN9rocsolver6v33100L18getri_kernel_smallILi1E19rocblas_complex_numIfEPKPS3_EEvT1_iilPiilS8_bb.private_seg_size, 0
	.set _ZN9rocsolver6v33100L18getri_kernel_smallILi1E19rocblas_complex_numIfEPKPS3_EEvT1_iilPiilS8_bb.uses_vcc, 1
	.set _ZN9rocsolver6v33100L18getri_kernel_smallILi1E19rocblas_complex_numIfEPKPS3_EEvT1_iilPiilS8_bb.uses_flat_scratch, 0
	.set _ZN9rocsolver6v33100L18getri_kernel_smallILi1E19rocblas_complex_numIfEPKPS3_EEvT1_iilPiilS8_bb.has_dyn_sized_stack, 0
	.set _ZN9rocsolver6v33100L18getri_kernel_smallILi1E19rocblas_complex_numIfEPKPS3_EEvT1_iilPiilS8_bb.has_recursion, 0
	.set _ZN9rocsolver6v33100L18getri_kernel_smallILi1E19rocblas_complex_numIfEPKPS3_EEvT1_iilPiilS8_bb.has_indirect_call, 0
	.section	.AMDGPU.csdata,"",@progbits
; Kernel info:
; codeLenInByte = 908
; TotalNumSgprs: 17
; NumVgprs: 7
; ScratchSize: 0
; MemoryBound: 0
; FloatMode: 240
; IeeeMode: 1
; LDSByteSize: 4 bytes/workgroup (compile time only)
; SGPRBlocks: 0
; VGPRBlocks: 0
; NumSGPRsForWavesPerEU: 17
; NumVGPRsForWavesPerEU: 7
; Occupancy: 16
; WaveLimiterHint : 1
; COMPUTE_PGM_RSRC2:SCRATCH_EN: 0
; COMPUTE_PGM_RSRC2:USER_SGPR: 2
; COMPUTE_PGM_RSRC2:TRAP_HANDLER: 0
; COMPUTE_PGM_RSRC2:TGID_X_EN: 1
; COMPUTE_PGM_RSRC2:TGID_Y_EN: 0
; COMPUTE_PGM_RSRC2:TGID_Z_EN: 0
; COMPUTE_PGM_RSRC2:TIDIG_COMP_CNT: 0
	.section	.text._ZN9rocsolver6v33100L18getri_kernel_smallILi2E19rocblas_complex_numIfEPKPS3_EEvT1_iilPiilS8_bb,"axG",@progbits,_ZN9rocsolver6v33100L18getri_kernel_smallILi2E19rocblas_complex_numIfEPKPS3_EEvT1_iilPiilS8_bb,comdat
	.globl	_ZN9rocsolver6v33100L18getri_kernel_smallILi2E19rocblas_complex_numIfEPKPS3_EEvT1_iilPiilS8_bb ; -- Begin function _ZN9rocsolver6v33100L18getri_kernel_smallILi2E19rocblas_complex_numIfEPKPS3_EEvT1_iilPiilS8_bb
	.p2align	8
	.type	_ZN9rocsolver6v33100L18getri_kernel_smallILi2E19rocblas_complex_numIfEPKPS3_EEvT1_iilPiilS8_bb,@function
_ZN9rocsolver6v33100L18getri_kernel_smallILi2E19rocblas_complex_numIfEPKPS3_EEvT1_iilPiilS8_bb: ; @_ZN9rocsolver6v33100L18getri_kernel_smallILi2E19rocblas_complex_numIfEPKPS3_EEvT1_iilPiilS8_bb
; %bb.0:
	s_mov_b32 s2, exec_lo
	v_cmpx_gt_u32_e32 2, v0
	s_cbranch_execz .LBB65_22
; %bb.1:
	s_clause 0x1
	s_load_b32 s13, s[0:1], 0x38
	s_load_b64 s[2:3], s[0:1], 0x0
	s_mov_b32 s8, ttmp9
	s_load_b128 s[4:7], s[0:1], 0x28
	s_wait_kmcnt 0x0
	s_bitcmp1_b32 s13, 8
	s_cselect_b32 s12, -1, 0
	s_ashr_i32 s9, ttmp9, 31
	s_delay_alu instid0(SALU_CYCLE_1) | instskip(NEXT) | instid1(SALU_CYCLE_1)
	s_lshl_b64 s[10:11], s[8:9], 3
	s_add_nc_u64 s[2:3], s[2:3], s[10:11]
	s_load_b64 s[10:11], s[2:3], 0x0
	s_bfe_u32 s2, s13, 0x10008
	s_delay_alu instid0(SALU_CYCLE_1)
	s_cmp_eq_u32 s2, 0
                                        ; implicit-def: $sgpr2_sgpr3
	s_cbranch_scc1 .LBB65_3
; %bb.2:
	s_load_b96 s[16:18], s[0:1], 0x18
	s_mul_u64 s[2:3], s[4:5], s[8:9]
	s_delay_alu instid0(SALU_CYCLE_1)
	s_lshl_b64 s[2:3], s[2:3], 2
	s_wait_kmcnt 0x0
	s_ashr_i32 s5, s18, 31
	s_mov_b32 s4, s18
	s_add_nc_u64 s[2:3], s[16:17], s[2:3]
	s_lshl_b64 s[4:5], s[4:5], 2
	s_delay_alu instid0(SALU_CYCLE_1)
	s_add_nc_u64 s[2:3], s[2:3], s[4:5]
.LBB65_3:
	s_clause 0x1
	s_load_b64 s[4:5], s[0:1], 0x8
	s_load_b32 s13, s[0:1], 0x38
	v_lshlrev_b32_e32 v11, 3, v0
	s_wait_kmcnt 0x0
	s_ashr_i32 s1, s4, 31
	s_mov_b32 s0, s4
	s_ashr_i32 s15, s5, 31
	s_lshl_b64 s[0:1], s[0:1], 3
	s_mov_b32 s14, s5
	s_add_nc_u64 s[0:1], s[10:11], s[0:1]
	s_delay_alu instid0(SALU_CYCLE_1)
	v_add_co_u32 v1, s0, s0, v11
	s_wait_alu 0xf1ff
	v_add_co_ci_u32_e64 v2, null, s1, 0, s0
	s_lshl_b64 s[0:1], s[14:15], 3
	s_bitcmp0_b32 s13, 0
	s_wait_alu 0xfffe
	v_add_co_u32 v3, vcc_lo, v1, s0
	s_delay_alu instid0(VALU_DEP_1)
	v_add_co_ci_u32_e64 v4, null, s1, v2, vcc_lo
	s_clause 0x1
	flat_load_b64 v[5:6], v[1:2]
	flat_load_b64 v[7:8], v[3:4]
	s_mov_b32 s1, -1
	s_wait_loadcnt_dscnt 0x0
	scratch_store_b128 off, v[5:8], off
	s_cbranch_scc1 .LBB65_20
; %bb.4:
	v_cmp_eq_u32_e64 s0, 0, v0
	s_and_saveexec_b32 s1, s0
; %bb.5:
	v_mov_b32_e32 v5, 0
	ds_store_b32 v5, v5 offset:32
; %bb.6:
	s_wait_alu 0xfffe
	s_or_b32 exec_lo, exec_lo, s1
	s_wait_storecnt_dscnt 0x0
	s_barrier_signal -1
	s_barrier_wait -1
	global_inv scope:SCOPE_SE
	scratch_load_b64 v[5:6], v11, off
	s_wait_loadcnt 0x0
	v_cmp_eq_f32_e32 vcc_lo, 0, v5
	v_cmp_eq_f32_e64 s1, 0, v6
	s_and_b32 s1, vcc_lo, s1
	s_wait_alu 0xfffe
	s_and_saveexec_b32 s4, s1
	s_cbranch_execz .LBB65_10
; %bb.7:
	v_mov_b32_e32 v5, 0
	s_mov_b32 s5, 0
	ds_load_b32 v6, v5 offset:32
	s_wait_dscnt 0x0
	v_readfirstlane_b32 s1, v6
	v_add_nc_u32_e32 v6, 1, v0
	s_cmp_eq_u32 s1, 0
	s_delay_alu instid0(VALU_DEP_1) | instskip(SKIP_1) | instid1(SALU_CYCLE_1)
	v_cmp_gt_i32_e32 vcc_lo, s1, v6
	s_cselect_b32 s10, -1, 0
	s_or_b32 s10, s10, vcc_lo
	s_delay_alu instid0(SALU_CYCLE_1)
	s_and_b32 exec_lo, exec_lo, s10
	s_cbranch_execz .LBB65_10
; %bb.8:
	v_mov_b32_e32 v7, s1
.LBB65_9:                               ; =>This Inner Loop Header: Depth=1
	ds_cmpstore_rtn_b32 v7, v5, v6, v7 offset:32
	s_wait_dscnt 0x0
	v_cmp_ne_u32_e32 vcc_lo, 0, v7
	v_cmp_le_i32_e64 s1, v7, v6
	s_and_b32 s1, vcc_lo, s1
	s_wait_alu 0xfffe
	s_and_b32 s1, exec_lo, s1
	s_wait_alu 0xfffe
	s_or_b32 s5, s1, s5
	s_delay_alu instid0(SALU_CYCLE_1)
	s_and_not1_b32 exec_lo, exec_lo, s5
	s_cbranch_execnz .LBB65_9
.LBB65_10:
	s_or_b32 exec_lo, exec_lo, s4
	v_mov_b32_e32 v5, 0
	s_barrier_signal -1
	s_barrier_wait -1
	global_inv scope:SCOPE_SE
	ds_load_b32 v6, v5 offset:32
	s_and_saveexec_b32 s1, s0
	s_cbranch_execz .LBB65_12
; %bb.11:
	s_lshl_b64 s[4:5], s[8:9], 2
	s_delay_alu instid0(SALU_CYCLE_1)
	s_add_nc_u64 s[4:5], s[6:7], s[4:5]
	s_wait_dscnt 0x0
	global_store_b32 v5, v6, s[4:5]
.LBB65_12:
	s_wait_alu 0xfffe
	s_or_b32 exec_lo, exec_lo, s1
	s_wait_dscnt 0x0
	v_cmp_ne_u32_e32 vcc_lo, 0, v6
	s_mov_b32 s1, 0
	s_cbranch_vccnz .LBB65_20
; %bb.13:
	v_mov_b32_e32 v10, v11
                                        ; implicit-def: $vgpr7
                                        ; implicit-def: $vgpr9
	scratch_load_b64 v[5:6], v10, off
	s_wait_loadcnt 0x0
	v_cmp_ngt_f32_e64 s1, |v5|, |v6|
	s_wait_alu 0xfffe
	s_and_saveexec_b32 s4, s1
	s_delay_alu instid0(SALU_CYCLE_1)
	s_xor_b32 s1, exec_lo, s4
	s_cbranch_execz .LBB65_15
; %bb.14:
	v_div_scale_f32 v7, null, v6, v6, v5
	v_div_scale_f32 v12, vcc_lo, v5, v6, v5
	s_delay_alu instid0(VALU_DEP_2) | instskip(NEXT) | instid1(TRANS32_DEP_1)
	v_rcp_f32_e32 v8, v7
	v_fma_f32 v9, -v7, v8, 1.0
	s_delay_alu instid0(VALU_DEP_1) | instskip(NEXT) | instid1(VALU_DEP_1)
	v_fmac_f32_e32 v8, v9, v8
	v_mul_f32_e32 v9, v12, v8
	s_delay_alu instid0(VALU_DEP_1) | instskip(NEXT) | instid1(VALU_DEP_1)
	v_fma_f32 v13, -v7, v9, v12
	v_fmac_f32_e32 v9, v13, v8
	s_delay_alu instid0(VALU_DEP_1) | instskip(SKIP_1) | instid1(VALU_DEP_1)
	v_fma_f32 v7, -v7, v9, v12
	s_wait_alu 0xfffd
	v_div_fmas_f32 v7, v7, v8, v9
	s_delay_alu instid0(VALU_DEP_1) | instskip(NEXT) | instid1(VALU_DEP_1)
	v_div_fixup_f32 v7, v7, v6, v5
	v_fmac_f32_e32 v6, v5, v7
	s_delay_alu instid0(VALU_DEP_1) | instskip(NEXT) | instid1(VALU_DEP_1)
	v_div_scale_f32 v5, null, v6, v6, 1.0
	v_rcp_f32_e32 v8, v5
	s_delay_alu instid0(TRANS32_DEP_1) | instskip(NEXT) | instid1(VALU_DEP_1)
	v_fma_f32 v9, -v5, v8, 1.0
	v_fmac_f32_e32 v8, v9, v8
	v_div_scale_f32 v9, vcc_lo, 1.0, v6, 1.0
	s_delay_alu instid0(VALU_DEP_1) | instskip(NEXT) | instid1(VALU_DEP_1)
	v_mul_f32_e32 v12, v9, v8
	v_fma_f32 v13, -v5, v12, v9
	s_delay_alu instid0(VALU_DEP_1) | instskip(NEXT) | instid1(VALU_DEP_1)
	v_fmac_f32_e32 v12, v13, v8
	v_fma_f32 v5, -v5, v12, v9
	s_wait_alu 0xfffd
	s_delay_alu instid0(VALU_DEP_1) | instskip(NEXT) | instid1(VALU_DEP_1)
	v_div_fmas_f32 v5, v5, v8, v12
	v_div_fixup_f32 v5, v5, v6, 1.0
	s_delay_alu instid0(VALU_DEP_1) | instskip(SKIP_1) | instid1(VALU_DEP_2)
	v_mul_f32_e32 v7, v7, v5
	v_xor_b32_e32 v8, 0x80000000, v5
                                        ; implicit-def: $vgpr5_vgpr6
	v_xor_b32_e32 v9, 0x80000000, v7
.LBB65_15:
	s_wait_alu 0xfffe
	s_and_not1_saveexec_b32 s1, s1
	s_cbranch_execz .LBB65_17
; %bb.16:
	v_div_scale_f32 v7, null, v5, v5, v6
	v_div_scale_f32 v12, vcc_lo, v6, v5, v6
	s_delay_alu instid0(VALU_DEP_2) | instskip(NEXT) | instid1(TRANS32_DEP_1)
	v_rcp_f32_e32 v8, v7
	v_fma_f32 v9, -v7, v8, 1.0
	s_delay_alu instid0(VALU_DEP_1) | instskip(NEXT) | instid1(VALU_DEP_1)
	v_fmac_f32_e32 v8, v9, v8
	v_mul_f32_e32 v9, v12, v8
	s_delay_alu instid0(VALU_DEP_1) | instskip(NEXT) | instid1(VALU_DEP_1)
	v_fma_f32 v13, -v7, v9, v12
	v_fmac_f32_e32 v9, v13, v8
	s_delay_alu instid0(VALU_DEP_1) | instskip(SKIP_1) | instid1(VALU_DEP_1)
	v_fma_f32 v7, -v7, v9, v12
	s_wait_alu 0xfffd
	v_div_fmas_f32 v7, v7, v8, v9
	s_delay_alu instid0(VALU_DEP_1) | instskip(NEXT) | instid1(VALU_DEP_1)
	v_div_fixup_f32 v8, v7, v5, v6
	v_fmac_f32_e32 v5, v6, v8
	s_delay_alu instid0(VALU_DEP_1) | instskip(SKIP_1) | instid1(VALU_DEP_2)
	v_div_scale_f32 v6, null, v5, v5, 1.0
	v_div_scale_f32 v12, vcc_lo, 1.0, v5, 1.0
	v_rcp_f32_e32 v7, v6
	s_delay_alu instid0(TRANS32_DEP_1) | instskip(NEXT) | instid1(VALU_DEP_1)
	v_fma_f32 v9, -v6, v7, 1.0
	v_fmac_f32_e32 v7, v9, v7
	s_delay_alu instid0(VALU_DEP_1) | instskip(NEXT) | instid1(VALU_DEP_1)
	v_mul_f32_e32 v9, v12, v7
	v_fma_f32 v13, -v6, v9, v12
	s_delay_alu instid0(VALU_DEP_1) | instskip(NEXT) | instid1(VALU_DEP_1)
	v_fmac_f32_e32 v9, v13, v7
	v_fma_f32 v6, -v6, v9, v12
	s_wait_alu 0xfffd
	s_delay_alu instid0(VALU_DEP_1) | instskip(NEXT) | instid1(VALU_DEP_1)
	v_div_fmas_f32 v6, v6, v7, v9
	v_div_fixup_f32 v7, v6, v5, 1.0
	s_delay_alu instid0(VALU_DEP_1)
	v_xor_b32_e32 v9, 0x80000000, v7
	v_mul_f32_e64 v8, v8, -v7
.LBB65_17:
	s_wait_alu 0xfffe
	s_or_b32 exec_lo, exec_lo, s1
	scratch_store_b64 v10, v[7:8], off
	scratch_load_b64 v[5:6], off, off offset:8
	v_xor_b32_e32 v10, 0x80000000, v8
	s_wait_loadcnt 0x0
	ds_store_2addr_b64 v11, v[9:10], v[5:6] offset1:2
	s_wait_storecnt_dscnt 0x0
	s_barrier_signal -1
	s_barrier_wait -1
	global_inv scope:SCOPE_SE
	s_and_saveexec_b32 s1, s0
	s_cbranch_execz .LBB65_19
; %bb.18:
	scratch_load_b64 v[9:10], off, off
	v_mov_b32_e32 v5, 0
	ds_load_2addr_b64 v[5:8], v5 offset0:1 offset1:2
	s_wait_loadcnt_dscnt 0x0
	v_mul_f32_e32 v11, v7, v10
	v_mul_f32_e32 v10, v8, v10
	s_delay_alu instid0(VALU_DEP_2) | instskip(NEXT) | instid1(VALU_DEP_2)
	v_fmac_f32_e32 v11, v8, v9
	v_fma_f32 v7, v7, v9, -v10
	s_delay_alu instid0(VALU_DEP_1) | instskip(NEXT) | instid1(VALU_DEP_1)
	v_add_f32_e32 v9, 0, v7
	v_dual_add_f32 v8, 0, v11 :: v_dual_mul_f32 v7, v9, v6
	s_delay_alu instid0(VALU_DEP_1) | instskip(NEXT) | instid1(VALU_DEP_2)
	v_mul_f32_e32 v10, v8, v6
	v_fmac_f32_e32 v7, v8, v5
	s_delay_alu instid0(VALU_DEP_2)
	v_fma_f32 v6, v9, v5, -v10
	scratch_store_b64 off, v[6:7], off offset:8
.LBB65_19:
	s_wait_alu 0xfffe
	s_or_b32 exec_lo, exec_lo, s1
	s_mov_b32 s1, -1
	s_wait_loadcnt 0x0
	s_wait_storecnt 0x0
	s_barrier_signal -1
	s_barrier_wait -1
	global_inv scope:SCOPE_SE
.LBB65_20:
	s_wait_alu 0xfffe
	s_and_b32 vcc_lo, exec_lo, s1
	s_wait_alu 0xfffe
	s_cbranch_vccz .LBB65_22
; %bb.21:
	v_mov_b32_e32 v5, 0
	s_lshl_b64 s[0:1], s[8:9], 2
	s_wait_alu 0xfffe
	s_add_nc_u64 s[0:1], s[6:7], s[0:1]
	global_load_b32 v5, v5, s[0:1]
	s_wait_loadcnt 0x0
	v_cmp_ne_u32_e32 vcc_lo, 0, v5
	s_cbranch_vccz .LBB65_23
.LBB65_22:
	s_endpgm
.LBB65_23:
	s_mov_b32 s0, exec_lo
	v_cmpx_eq_u32_e32 1, v0
	s_cbranch_execz .LBB65_25
; %bb.24:
	scratch_load_b64 v[5:6], off, off
	v_mov_b32_e32 v7, 0
	s_delay_alu instid0(VALU_DEP_1)
	v_mov_b32_e32 v8, v7
	scratch_store_b64 off, v[7:8], off
	s_wait_loadcnt 0x0
	ds_store_b64 v7, v[5:6] offset:24
.LBB65_25:
	s_wait_alu 0xfffe
	s_or_b32 exec_lo, exec_lo, s0
	s_wait_storecnt_dscnt 0x0
	s_barrier_signal -1
	s_barrier_wait -1
	global_inv scope:SCOPE_SE
	s_clause 0x1
	scratch_load_b64 v[5:6], off, off offset:8
	scratch_load_b64 v[7:8], off, off
	v_mov_b32_e32 v0, 0
	s_and_b32 vcc_lo, exec_lo, s12
	ds_load_b64 v[9:10], v0 offset:24
	s_wait_loadcnt_dscnt 0x100
	v_mul_f32_e32 v11, v10, v6
	v_mul_f32_e32 v12, v9, v6
	s_delay_alu instid0(VALU_DEP_2) | instskip(NEXT) | instid1(VALU_DEP_1)
	v_fma_f32 v9, v9, v5, -v11
	v_add_f32_e32 v9, 0, v9
	s_delay_alu instid0(VALU_DEP_3) | instskip(SKIP_1) | instid1(VALU_DEP_1)
	v_fmac_f32_e32 v12, v10, v5
	s_wait_loadcnt 0x0
	v_dual_sub_f32 v7, v7, v9 :: v_dual_add_f32 v10, 0, v12
	s_delay_alu instid0(VALU_DEP_1)
	v_sub_f32_e32 v8, v8, v10
	scratch_store_b64 off, v[7:8], off
	s_wait_alu 0xfffe
	s_cbranch_vccz .LBB65_28
; %bb.26:
	global_load_b32 v0, v0, s[2:3]
	s_wait_loadcnt 0x0
	v_cmp_ne_u32_e32 vcc_lo, 1, v0
	s_cbranch_vccz .LBB65_28
; %bb.27:
	v_lshlrev_b32_e32 v0, 3, v0
	scratch_load_b64 v[5:6], v0, off offset:-8
	scratch_load_b64 v[7:8], off, off
	s_wait_loadcnt 0x1
	scratch_store_b64 off, v[5:6], off
	s_wait_loadcnt 0x0
	scratch_store_b64 v0, v[7:8], off offset:-8
	scratch_load_b64 v[5:6], off, off offset:8
.LBB65_28:
	scratch_load_b64 v[7:8], off, off
	s_wait_loadcnt 0x0
	s_clause 0x1
	flat_store_b64 v[1:2], v[7:8]
	flat_store_b64 v[3:4], v[5:6]
	s_endpgm
	.section	.rodata,"a",@progbits
	.p2align	6, 0x0
	.amdhsa_kernel _ZN9rocsolver6v33100L18getri_kernel_smallILi2E19rocblas_complex_numIfEPKPS3_EEvT1_iilPiilS8_bb
		.amdhsa_group_segment_fixed_size 36
		.amdhsa_private_segment_fixed_size 32
		.amdhsa_kernarg_size 60
		.amdhsa_user_sgpr_count 2
		.amdhsa_user_sgpr_dispatch_ptr 0
		.amdhsa_user_sgpr_queue_ptr 0
		.amdhsa_user_sgpr_kernarg_segment_ptr 1
		.amdhsa_user_sgpr_dispatch_id 0
		.amdhsa_user_sgpr_private_segment_size 0
		.amdhsa_wavefront_size32 1
		.amdhsa_uses_dynamic_stack 0
		.amdhsa_enable_private_segment 1
		.amdhsa_system_sgpr_workgroup_id_x 1
		.amdhsa_system_sgpr_workgroup_id_y 0
		.amdhsa_system_sgpr_workgroup_id_z 0
		.amdhsa_system_sgpr_workgroup_info 0
		.amdhsa_system_vgpr_workitem_id 0
		.amdhsa_next_free_vgpr 14
		.amdhsa_next_free_sgpr 19
		.amdhsa_reserve_vcc 1
		.amdhsa_float_round_mode_32 0
		.amdhsa_float_round_mode_16_64 0
		.amdhsa_float_denorm_mode_32 3
		.amdhsa_float_denorm_mode_16_64 3
		.amdhsa_fp16_overflow 0
		.amdhsa_workgroup_processor_mode 1
		.amdhsa_memory_ordered 1
		.amdhsa_forward_progress 1
		.amdhsa_inst_pref_size 14
		.amdhsa_round_robin_scheduling 0
		.amdhsa_exception_fp_ieee_invalid_op 0
		.amdhsa_exception_fp_denorm_src 0
		.amdhsa_exception_fp_ieee_div_zero 0
		.amdhsa_exception_fp_ieee_overflow 0
		.amdhsa_exception_fp_ieee_underflow 0
		.amdhsa_exception_fp_ieee_inexact 0
		.amdhsa_exception_int_div_zero 0
	.end_amdhsa_kernel
	.section	.text._ZN9rocsolver6v33100L18getri_kernel_smallILi2E19rocblas_complex_numIfEPKPS3_EEvT1_iilPiilS8_bb,"axG",@progbits,_ZN9rocsolver6v33100L18getri_kernel_smallILi2E19rocblas_complex_numIfEPKPS3_EEvT1_iilPiilS8_bb,comdat
.Lfunc_end65:
	.size	_ZN9rocsolver6v33100L18getri_kernel_smallILi2E19rocblas_complex_numIfEPKPS3_EEvT1_iilPiilS8_bb, .Lfunc_end65-_ZN9rocsolver6v33100L18getri_kernel_smallILi2E19rocblas_complex_numIfEPKPS3_EEvT1_iilPiilS8_bb
                                        ; -- End function
	.set _ZN9rocsolver6v33100L18getri_kernel_smallILi2E19rocblas_complex_numIfEPKPS3_EEvT1_iilPiilS8_bb.num_vgpr, 14
	.set _ZN9rocsolver6v33100L18getri_kernel_smallILi2E19rocblas_complex_numIfEPKPS3_EEvT1_iilPiilS8_bb.num_agpr, 0
	.set _ZN9rocsolver6v33100L18getri_kernel_smallILi2E19rocblas_complex_numIfEPKPS3_EEvT1_iilPiilS8_bb.numbered_sgpr, 19
	.set _ZN9rocsolver6v33100L18getri_kernel_smallILi2E19rocblas_complex_numIfEPKPS3_EEvT1_iilPiilS8_bb.num_named_barrier, 0
	.set _ZN9rocsolver6v33100L18getri_kernel_smallILi2E19rocblas_complex_numIfEPKPS3_EEvT1_iilPiilS8_bb.private_seg_size, 32
	.set _ZN9rocsolver6v33100L18getri_kernel_smallILi2E19rocblas_complex_numIfEPKPS3_EEvT1_iilPiilS8_bb.uses_vcc, 1
	.set _ZN9rocsolver6v33100L18getri_kernel_smallILi2E19rocblas_complex_numIfEPKPS3_EEvT1_iilPiilS8_bb.uses_flat_scratch, 1
	.set _ZN9rocsolver6v33100L18getri_kernel_smallILi2E19rocblas_complex_numIfEPKPS3_EEvT1_iilPiilS8_bb.has_dyn_sized_stack, 0
	.set _ZN9rocsolver6v33100L18getri_kernel_smallILi2E19rocblas_complex_numIfEPKPS3_EEvT1_iilPiilS8_bb.has_recursion, 0
	.set _ZN9rocsolver6v33100L18getri_kernel_smallILi2E19rocblas_complex_numIfEPKPS3_EEvT1_iilPiilS8_bb.has_indirect_call, 0
	.section	.AMDGPU.csdata,"",@progbits
; Kernel info:
; codeLenInByte = 1764
; TotalNumSgprs: 21
; NumVgprs: 14
; ScratchSize: 32
; MemoryBound: 0
; FloatMode: 240
; IeeeMode: 1
; LDSByteSize: 36 bytes/workgroup (compile time only)
; SGPRBlocks: 0
; VGPRBlocks: 1
; NumSGPRsForWavesPerEU: 21
; NumVGPRsForWavesPerEU: 14
; Occupancy: 16
; WaveLimiterHint : 1
; COMPUTE_PGM_RSRC2:SCRATCH_EN: 1
; COMPUTE_PGM_RSRC2:USER_SGPR: 2
; COMPUTE_PGM_RSRC2:TRAP_HANDLER: 0
; COMPUTE_PGM_RSRC2:TGID_X_EN: 1
; COMPUTE_PGM_RSRC2:TGID_Y_EN: 0
; COMPUTE_PGM_RSRC2:TGID_Z_EN: 0
; COMPUTE_PGM_RSRC2:TIDIG_COMP_CNT: 0
	.section	.text._ZN9rocsolver6v33100L18getri_kernel_smallILi3E19rocblas_complex_numIfEPKPS3_EEvT1_iilPiilS8_bb,"axG",@progbits,_ZN9rocsolver6v33100L18getri_kernel_smallILi3E19rocblas_complex_numIfEPKPS3_EEvT1_iilPiilS8_bb,comdat
	.globl	_ZN9rocsolver6v33100L18getri_kernel_smallILi3E19rocblas_complex_numIfEPKPS3_EEvT1_iilPiilS8_bb ; -- Begin function _ZN9rocsolver6v33100L18getri_kernel_smallILi3E19rocblas_complex_numIfEPKPS3_EEvT1_iilPiilS8_bb
	.p2align	8
	.type	_ZN9rocsolver6v33100L18getri_kernel_smallILi3E19rocblas_complex_numIfEPKPS3_EEvT1_iilPiilS8_bb,@function
_ZN9rocsolver6v33100L18getri_kernel_smallILi3E19rocblas_complex_numIfEPKPS3_EEvT1_iilPiilS8_bb: ; @_ZN9rocsolver6v33100L18getri_kernel_smallILi3E19rocblas_complex_numIfEPKPS3_EEvT1_iilPiilS8_bb
; %bb.0:
	s_mov_b32 s2, exec_lo
	v_cmpx_gt_u32_e32 3, v0
	s_cbranch_execz .LBB66_26
; %bb.1:
	s_clause 0x1
	s_load_b32 s13, s[0:1], 0x38
	s_load_b64 s[2:3], s[0:1], 0x0
	s_mov_b32 s8, ttmp9
	s_load_b128 s[4:7], s[0:1], 0x28
	s_wait_kmcnt 0x0
	s_bitcmp1_b32 s13, 8
	s_cselect_b32 s12, -1, 0
	s_ashr_i32 s9, ttmp9, 31
	s_delay_alu instid0(SALU_CYCLE_1) | instskip(NEXT) | instid1(SALU_CYCLE_1)
	s_lshl_b64 s[10:11], s[8:9], 3
	s_add_nc_u64 s[2:3], s[2:3], s[10:11]
	s_load_b64 s[10:11], s[2:3], 0x0
	s_bfe_u32 s2, s13, 0x10008
	s_delay_alu instid0(SALU_CYCLE_1)
	s_cmp_eq_u32 s2, 0
                                        ; implicit-def: $sgpr2_sgpr3
	s_cbranch_scc1 .LBB66_3
; %bb.2:
	s_load_b96 s[16:18], s[0:1], 0x18
	s_mul_u64 s[2:3], s[4:5], s[8:9]
	s_delay_alu instid0(SALU_CYCLE_1)
	s_lshl_b64 s[2:3], s[2:3], 2
	s_wait_kmcnt 0x0
	s_ashr_i32 s5, s18, 31
	s_mov_b32 s4, s18
	s_add_nc_u64 s[2:3], s[16:17], s[2:3]
	s_lshl_b64 s[4:5], s[4:5], 2
	s_delay_alu instid0(SALU_CYCLE_1)
	s_add_nc_u64 s[2:3], s[2:3], s[4:5]
.LBB66_3:
	s_clause 0x1
	s_load_b64 s[4:5], s[0:1], 0x8
	s_load_b32 s13, s[0:1], 0x38
	v_lshlrev_b32_e32 v3, 3, v0
	s_wait_kmcnt 0x0
	v_add3_u32 v1, s5, s5, v0
	s_ashr_i32 s1, s4, 31
	s_mov_b32 s0, s4
	s_ashr_i32 s15, s5, 31
	s_lshl_b64 s[0:1], s[0:1], 3
	v_ashrrev_i32_e32 v2, 31, v1
	s_add_nc_u64 s[0:1], s[10:11], s[0:1]
	s_mov_b32 s14, s5
	v_add_co_u32 v4, s10, s0, v3
	s_delay_alu instid0(VALU_DEP_2)
	v_lshlrev_b64_e32 v[1:2], 3, v[1:2]
	v_add_co_ci_u32_e64 v5, null, s1, 0, s10
	s_lshl_b64 s[4:5], s[14:15], 3
	s_bitcmp0_b32 s13, 0
	s_wait_alu 0xfffe
	v_add_co_u32 v6, vcc_lo, v4, s4
	s_delay_alu instid0(VALU_DEP_1)
	v_add_co_ci_u32_e64 v7, null, s5, v5, vcc_lo
	v_add_co_u32 v8, vcc_lo, s0, v1
	s_wait_alu 0xfffd
	v_add_co_ci_u32_e64 v9, null, s1, v2, vcc_lo
	s_clause 0x2
	flat_load_b64 v[10:11], v[4:5]
	flat_load_b64 v[12:13], v[6:7]
	;; [unrolled: 1-line block ×3, first 2 shown]
	s_mov_b32 s1, -1
	s_wait_loadcnt_dscnt 0x101
	scratch_store_b128 off, v[10:13], off
	s_wait_loadcnt_dscnt 0x0
	scratch_store_b64 off, v[1:2], off offset:16
	s_cbranch_scc1 .LBB66_24
; %bb.4:
	v_cmp_eq_u32_e64 s0, 0, v0
	s_and_saveexec_b32 s1, s0
; %bb.5:
	v_mov_b32_e32 v1, 0
	ds_store_b32 v1, v1 offset:24
; %bb.6:
	s_wait_alu 0xfffe
	s_or_b32 exec_lo, exec_lo, s1
	s_wait_storecnt_dscnt 0x0
	s_barrier_signal -1
	s_barrier_wait -1
	global_inv scope:SCOPE_SE
	scratch_load_b64 v[1:2], v3, off
	s_wait_loadcnt 0x0
	v_cmp_eq_f32_e32 vcc_lo, 0, v1
	v_cmp_eq_f32_e64 s1, 0, v2
	s_and_b32 s1, vcc_lo, s1
	s_wait_alu 0xfffe
	s_and_saveexec_b32 s4, s1
	s_cbranch_execz .LBB66_10
; %bb.7:
	v_mov_b32_e32 v1, 0
	s_mov_b32 s5, 0
	ds_load_b32 v2, v1 offset:24
	s_wait_dscnt 0x0
	v_readfirstlane_b32 s1, v2
	v_add_nc_u32_e32 v2, 1, v0
	s_cmp_eq_u32 s1, 0
	s_delay_alu instid0(VALU_DEP_1)
	v_cmp_gt_i32_e32 vcc_lo, s1, v2
	s_cselect_b32 s10, -1, 0
	s_wait_alu 0xfffe
	s_or_b32 s10, s10, vcc_lo
	s_wait_alu 0xfffe
	s_and_b32 exec_lo, exec_lo, s10
	s_cbranch_execz .LBB66_10
; %bb.8:
	v_mov_b32_e32 v10, s1
.LBB66_9:                               ; =>This Inner Loop Header: Depth=1
	ds_cmpstore_rtn_b32 v10, v1, v2, v10 offset:24
	s_wait_dscnt 0x0
	v_cmp_ne_u32_e32 vcc_lo, 0, v10
	v_cmp_le_i32_e64 s1, v10, v2
	s_and_b32 s1, vcc_lo, s1
	s_wait_alu 0xfffe
	s_and_b32 s1, exec_lo, s1
	s_wait_alu 0xfffe
	s_or_b32 s5, s1, s5
	s_wait_alu 0xfffe
	s_and_not1_b32 exec_lo, exec_lo, s5
	s_cbranch_execnz .LBB66_9
.LBB66_10:
	s_wait_alu 0xfffe
	s_or_b32 exec_lo, exec_lo, s4
	v_mov_b32_e32 v1, 0
	s_barrier_signal -1
	s_barrier_wait -1
	global_inv scope:SCOPE_SE
	ds_load_b32 v2, v1 offset:24
	s_and_saveexec_b32 s1, s0
	s_cbranch_execz .LBB66_12
; %bb.11:
	s_lshl_b64 s[4:5], s[8:9], 2
	s_wait_alu 0xfffe
	s_add_nc_u64 s[4:5], s[6:7], s[4:5]
	s_wait_dscnt 0x0
	global_store_b32 v1, v2, s[4:5]
.LBB66_12:
	s_wait_alu 0xfffe
	s_or_b32 exec_lo, exec_lo, s1
	s_wait_dscnt 0x0
	v_cmp_ne_u32_e32 vcc_lo, 0, v2
	s_mov_b32 s1, 0
	s_cbranch_vccnz .LBB66_24
; %bb.13:
	v_mov_b32_e32 v14, v3
                                        ; implicit-def: $vgpr10
                                        ; implicit-def: $vgpr12
	scratch_load_b64 v[1:2], v14, off
	s_wait_loadcnt 0x0
	v_cmp_ngt_f32_e64 s1, |v1|, |v2|
	s_wait_alu 0xfffe
	s_and_saveexec_b32 s4, s1
	s_wait_alu 0xfffe
	s_xor_b32 s1, exec_lo, s4
	s_cbranch_execz .LBB66_15
; %bb.14:
	v_div_scale_f32 v10, null, v2, v2, v1
	v_div_scale_f32 v13, vcc_lo, v1, v2, v1
	s_delay_alu instid0(VALU_DEP_2) | instskip(NEXT) | instid1(TRANS32_DEP_1)
	v_rcp_f32_e32 v11, v10
	v_fma_f32 v12, -v10, v11, 1.0
	s_delay_alu instid0(VALU_DEP_1) | instskip(NEXT) | instid1(VALU_DEP_1)
	v_fmac_f32_e32 v11, v12, v11
	v_mul_f32_e32 v12, v13, v11
	s_delay_alu instid0(VALU_DEP_1) | instskip(NEXT) | instid1(VALU_DEP_1)
	v_fma_f32 v15, -v10, v12, v13
	v_fmac_f32_e32 v12, v15, v11
	s_delay_alu instid0(VALU_DEP_1) | instskip(SKIP_1) | instid1(VALU_DEP_1)
	v_fma_f32 v10, -v10, v12, v13
	s_wait_alu 0xfffd
	v_div_fmas_f32 v10, v10, v11, v12
	s_delay_alu instid0(VALU_DEP_1) | instskip(NEXT) | instid1(VALU_DEP_1)
	v_div_fixup_f32 v10, v10, v2, v1
	v_fmac_f32_e32 v2, v1, v10
	s_delay_alu instid0(VALU_DEP_1) | instskip(NEXT) | instid1(VALU_DEP_1)
	v_div_scale_f32 v1, null, v2, v2, 1.0
	v_rcp_f32_e32 v11, v1
	s_delay_alu instid0(TRANS32_DEP_1) | instskip(NEXT) | instid1(VALU_DEP_1)
	v_fma_f32 v12, -v1, v11, 1.0
	v_fmac_f32_e32 v11, v12, v11
	v_div_scale_f32 v12, vcc_lo, 1.0, v2, 1.0
	s_delay_alu instid0(VALU_DEP_1) | instskip(NEXT) | instid1(VALU_DEP_1)
	v_mul_f32_e32 v13, v12, v11
	v_fma_f32 v15, -v1, v13, v12
	s_delay_alu instid0(VALU_DEP_1) | instskip(NEXT) | instid1(VALU_DEP_1)
	v_fmac_f32_e32 v13, v15, v11
	v_fma_f32 v1, -v1, v13, v12
	s_wait_alu 0xfffd
	s_delay_alu instid0(VALU_DEP_1) | instskip(NEXT) | instid1(VALU_DEP_1)
	v_div_fmas_f32 v1, v1, v11, v13
	v_div_fixup_f32 v1, v1, v2, 1.0
	s_delay_alu instid0(VALU_DEP_1) | instskip(SKIP_1) | instid1(VALU_DEP_2)
	v_mul_f32_e32 v10, v10, v1
	v_xor_b32_e32 v11, 0x80000000, v1
                                        ; implicit-def: $vgpr1_vgpr2
	v_xor_b32_e32 v12, 0x80000000, v10
.LBB66_15:
	s_wait_alu 0xfffe
	s_and_not1_saveexec_b32 s1, s1
	s_cbranch_execz .LBB66_17
; %bb.16:
	v_div_scale_f32 v10, null, v1, v1, v2
	v_div_scale_f32 v13, vcc_lo, v2, v1, v2
	s_delay_alu instid0(VALU_DEP_2) | instskip(NEXT) | instid1(TRANS32_DEP_1)
	v_rcp_f32_e32 v11, v10
	v_fma_f32 v12, -v10, v11, 1.0
	s_delay_alu instid0(VALU_DEP_1) | instskip(NEXT) | instid1(VALU_DEP_1)
	v_fmac_f32_e32 v11, v12, v11
	v_mul_f32_e32 v12, v13, v11
	s_delay_alu instid0(VALU_DEP_1) | instskip(NEXT) | instid1(VALU_DEP_1)
	v_fma_f32 v15, -v10, v12, v13
	v_fmac_f32_e32 v12, v15, v11
	s_delay_alu instid0(VALU_DEP_1) | instskip(SKIP_1) | instid1(VALU_DEP_1)
	v_fma_f32 v10, -v10, v12, v13
	s_wait_alu 0xfffd
	v_div_fmas_f32 v10, v10, v11, v12
	s_delay_alu instid0(VALU_DEP_1) | instskip(NEXT) | instid1(VALU_DEP_1)
	v_div_fixup_f32 v11, v10, v1, v2
	v_fmac_f32_e32 v1, v2, v11
	s_delay_alu instid0(VALU_DEP_1) | instskip(NEXT) | instid1(VALU_DEP_1)
	v_div_scale_f32 v2, null, v1, v1, 1.0
	v_rcp_f32_e32 v10, v2
	s_delay_alu instid0(TRANS32_DEP_1) | instskip(NEXT) | instid1(VALU_DEP_1)
	v_fma_f32 v12, -v2, v10, 1.0
	v_fmac_f32_e32 v10, v12, v10
	v_div_scale_f32 v13, vcc_lo, 1.0, v1, 1.0
	s_delay_alu instid0(VALU_DEP_1) | instskip(NEXT) | instid1(VALU_DEP_1)
	v_mul_f32_e32 v12, v13, v10
	v_fma_f32 v15, -v2, v12, v13
	s_delay_alu instid0(VALU_DEP_1) | instskip(NEXT) | instid1(VALU_DEP_1)
	v_fmac_f32_e32 v12, v15, v10
	v_fma_f32 v2, -v2, v12, v13
	s_wait_alu 0xfffd
	s_delay_alu instid0(VALU_DEP_1) | instskip(NEXT) | instid1(VALU_DEP_1)
	v_div_fmas_f32 v2, v2, v10, v12
	v_div_fixup_f32 v10, v2, v1, 1.0
	s_delay_alu instid0(VALU_DEP_1)
	v_xor_b32_e32 v12, 0x80000000, v10
	v_mul_f32_e64 v11, v11, -v10
.LBB66_17:
	s_wait_alu 0xfffe
	s_or_b32 exec_lo, exec_lo, s1
	scratch_store_b64 v14, v[10:11], off
	scratch_load_b64 v[15:16], off, off offset:8
	v_xor_b32_e32 v13, 0x80000000, v11
	v_add_nc_u32_e32 v1, 32, v3
	s_wait_loadcnt 0x0
	ds_store_2addr_b64 v3, v[12:13], v[15:16] offset1:4
	s_wait_storecnt_dscnt 0x0
	s_barrier_signal -1
	s_barrier_wait -1
	global_inv scope:SCOPE_SE
	s_and_saveexec_b32 s1, s0
	s_cbranch_execz .LBB66_19
; %bb.18:
	scratch_load_b64 v[2:3], v14, off
	ds_load_b64 v[10:11], v1
	v_mov_b32_e32 v12, 0
	ds_load_b64 v[12:13], v12 offset:8
	s_wait_loadcnt_dscnt 0x1
	v_mul_f32_e32 v15, v10, v3
	v_mul_f32_e32 v3, v11, v3
	s_delay_alu instid0(VALU_DEP_2) | instskip(NEXT) | instid1(VALU_DEP_2)
	v_fmac_f32_e32 v15, v11, v2
	v_fma_f32 v2, v10, v2, -v3
	s_delay_alu instid0(VALU_DEP_1) | instskip(SKIP_1) | instid1(VALU_DEP_1)
	v_add_f32_e32 v2, 0, v2
	s_wait_dscnt 0x0
	v_dual_add_f32 v10, 0, v15 :: v_dual_mul_f32 v3, v2, v13
	s_delay_alu instid0(VALU_DEP_1) | instskip(NEXT) | instid1(VALU_DEP_2)
	v_mul_f32_e32 v11, v10, v13
	v_fmac_f32_e32 v3, v10, v12
	s_delay_alu instid0(VALU_DEP_2)
	v_fma_f32 v2, v2, v12, -v11
	scratch_store_b64 off, v[2:3], off offset:8
.LBB66_19:
	s_wait_alu 0xfffe
	s_or_b32 exec_lo, exec_lo, s1
	s_wait_loadcnt 0x0
	s_wait_storecnt 0x0
	s_barrier_signal -1
	s_barrier_wait -1
	global_inv scope:SCOPE_SE
	scratch_load_b64 v[2:3], off, off offset:16
	s_mov_b32 s1, exec_lo
	s_wait_loadcnt 0x0
	ds_store_b64 v1, v[2:3]
	s_wait_dscnt 0x0
	s_barrier_signal -1
	s_barrier_wait -1
	global_inv scope:SCOPE_SE
	v_cmpx_ne_u32_e32 2, v0
	s_cbranch_execz .LBB66_23
; %bb.20:
	scratch_load_b64 v[2:3], v14, off
	ds_load_b64 v[10:11], v1
	s_wait_loadcnt_dscnt 0x0
	v_mul_f32_e32 v1, v11, v3
	s_delay_alu instid0(VALU_DEP_1) | instskip(SKIP_1) | instid1(VALU_DEP_1)
	v_fma_f32 v1, v10, v2, -v1
	v_mul_f32_e32 v3, v10, v3
	v_dual_fmac_f32 v3, v11, v2 :: v_dual_add_f32 v2, 0, v1
	s_delay_alu instid0(VALU_DEP_1)
	v_add_f32_e32 v1, 0, v3
	s_and_saveexec_b32 s4, s0
	s_cbranch_execz .LBB66_22
; %bb.21:
	scratch_load_b64 v[10:11], off, off offset:8
	v_mov_b32_e32 v3, 0
	ds_load_b64 v[12:13], v3 offset:40
	s_wait_loadcnt_dscnt 0x0
	v_mul_f32_e32 v3, v12, v11
	v_mul_f32_e32 v11, v13, v11
	s_delay_alu instid0(VALU_DEP_2) | instskip(NEXT) | instid1(VALU_DEP_2)
	v_fmac_f32_e32 v3, v13, v10
	v_fma_f32 v10, v12, v10, -v11
	s_delay_alu instid0(VALU_DEP_1)
	v_dual_add_f32 v1, v1, v3 :: v_dual_add_f32 v2, v2, v10
.LBB66_22:
	s_wait_alu 0xfffe
	s_or_b32 exec_lo, exec_lo, s4
	v_mov_b32_e32 v3, 0
	ds_load_b64 v[10:11], v3 offset:16
	s_wait_dscnt 0x0
	v_mul_f32_e32 v12, v1, v11
	v_mul_f32_e32 v3, v2, v11
	s_delay_alu instid0(VALU_DEP_2) | instskip(NEXT) | instid1(VALU_DEP_2)
	v_fma_f32 v2, v2, v10, -v12
	v_fmac_f32_e32 v3, v1, v10
	scratch_store_b64 off, v[2:3], off offset:16
.LBB66_23:
	s_wait_alu 0xfffe
	s_or_b32 exec_lo, exec_lo, s1
	s_mov_b32 s1, -1
	s_wait_loadcnt 0x0
	s_wait_storecnt 0x0
	s_barrier_signal -1
	s_barrier_wait -1
	global_inv scope:SCOPE_SE
.LBB66_24:
	s_wait_alu 0xfffe
	s_and_b32 vcc_lo, exec_lo, s1
	s_wait_alu 0xfffe
	s_cbranch_vccz .LBB66_26
; %bb.25:
	v_mov_b32_e32 v1, 0
	s_lshl_b64 s[0:1], s[8:9], 2
	s_wait_alu 0xfffe
	s_add_nc_u64 s[0:1], s[6:7], s[0:1]
	global_load_b32 v1, v1, s[0:1]
	s_wait_loadcnt 0x0
	v_cmp_ne_u32_e32 vcc_lo, 0, v1
	s_cbranch_vccz .LBB66_27
.LBB66_26:
	s_endpgm
.LBB66_27:
	v_lshl_add_u32 v1, v0, 3, 32
	s_mov_b32 s0, exec_lo
	v_cmpx_eq_u32_e32 2, v0
	s_cbranch_execz .LBB66_29
; %bb.28:
	scratch_load_b64 v[2:3], off, off offset:8
	v_mov_b32_e32 v10, 0
	s_delay_alu instid0(VALU_DEP_1)
	v_mov_b32_e32 v11, v10
	scratch_store_b64 off, v[10:11], off offset:8
	s_wait_loadcnt 0x0
	ds_store_b64 v1, v[2:3]
.LBB66_29:
	s_wait_alu 0xfffe
	s_or_b32 exec_lo, exec_lo, s0
	s_wait_storecnt_dscnt 0x0
	s_barrier_signal -1
	s_barrier_wait -1
	global_inv scope:SCOPE_SE
	s_clause 0x1
	scratch_load_b64 v[2:3], off, off offset:16
	scratch_load_b64 v[11:12], off, off offset:8
	v_mov_b32_e32 v10, 0
	s_mov_b32 s0, exec_lo
	ds_load_b64 v[13:14], v10 offset:48
	s_wait_loadcnt_dscnt 0x100
	v_mul_f32_e32 v15, v14, v3
	v_mul_f32_e32 v3, v13, v3
	s_delay_alu instid0(VALU_DEP_2) | instskip(NEXT) | instid1(VALU_DEP_1)
	v_fma_f32 v13, v13, v2, -v15
	v_dual_fmac_f32 v3, v14, v2 :: v_dual_add_f32 v2, 0, v13
	s_wait_loadcnt 0x0
	s_delay_alu instid0(VALU_DEP_1) | instskip(NEXT) | instid1(VALU_DEP_1)
	v_dual_add_f32 v3, 0, v3 :: v_dual_sub_f32 v2, v11, v2
	v_sub_f32_e32 v3, v12, v3
	scratch_store_b64 off, v[2:3], off offset:8
	v_cmpx_ne_u32_e32 0, v0
	s_cbranch_execz .LBB66_31
; %bb.30:
	scratch_load_b64 v[2:3], off, off
	v_mov_b32_e32 v11, v10
	scratch_store_b64 off, v[10:11], off
	s_wait_loadcnt 0x0
	ds_store_b64 v1, v[2:3]
.LBB66_31:
	s_wait_alu 0xfffe
	s_or_b32 exec_lo, exec_lo, s0
	s_wait_storecnt_dscnt 0x0
	s_barrier_signal -1
	s_barrier_wait -1
	global_inv scope:SCOPE_SE
	s_clause 0x1
	scratch_load_b128 v[0:3], off, off offset:8
	scratch_load_b64 v[14:15], off, off
	ds_load_2addr_b64 v[10:13], v10 offset0:5 offset1:6
	s_and_b32 vcc_lo, exec_lo, s12
	s_wait_loadcnt_dscnt 0x100
	v_mul_f32_e32 v16, v11, v1
	v_dual_mul_f32 v17, v10, v1 :: v_dual_mul_f32 v18, v12, v3
	v_mul_f32_e32 v3, v13, v3
	s_delay_alu instid0(VALU_DEP_3) | instskip(NEXT) | instid1(VALU_DEP_3)
	v_fma_f32 v10, v10, v0, -v16
	v_dual_fmac_f32 v17, v11, v0 :: v_dual_fmac_f32 v18, v13, v2
	s_delay_alu instid0(VALU_DEP_3) | instskip(NEXT) | instid1(VALU_DEP_2)
	v_fma_f32 v2, v12, v2, -v3
	v_dual_add_f32 v3, 0, v10 :: v_dual_add_f32 v10, 0, v17
	s_delay_alu instid0(VALU_DEP_1) | instskip(NEXT) | instid1(VALU_DEP_2)
	v_add_f32_e32 v2, v3, v2
	v_add_f32_e32 v3, v10, v18
	s_wait_loadcnt 0x0
	s_delay_alu instid0(VALU_DEP_1)
	v_dual_sub_f32 v2, v14, v2 :: v_dual_sub_f32 v3, v15, v3
	scratch_store_b64 off, v[2:3], off
	s_wait_alu 0xfffe
	s_cbranch_vccz .LBB66_36
; %bb.32:
	v_mov_b32_e32 v2, 0
	global_load_b32 v3, v2, s[2:3] offset:4
	s_wait_loadcnt 0x0
	v_cmp_ne_u32_e32 vcc_lo, 2, v3
	s_cbranch_vccz .LBB66_34
; %bb.33:
	v_lshlrev_b32_e32 v3, 3, v3
	scratch_load_b64 v[10:11], v3, off offset:-8
	s_wait_loadcnt 0x0
	scratch_store_b64 off, v[10:11], off offset:8
	scratch_store_b64 v3, v[0:1], off offset:-8
.LBB66_34:
	global_load_b32 v0, v2, s[2:3]
	s_wait_loadcnt 0x0
	v_cmp_eq_u32_e32 vcc_lo, 1, v0
	s_cbranch_vccnz .LBB66_36
; %bb.35:
	v_lshlrev_b32_e32 v0, 3, v0
	s_delay_alu instid0(VALU_DEP_1)
	v_mov_b32_e32 v10, v0
	scratch_load_b64 v[0:1], v10, off offset:-8
	scratch_load_b64 v[2:3], off, off
	s_wait_loadcnt 0x1
	scratch_store_b64 off, v[0:1], off
	s_wait_loadcnt 0x0
	scratch_store_b64 v10, v[2:3], off offset:-8
.LBB66_36:
	s_clause 0x1
	scratch_load_b128 v[0:3], off, off
	scratch_load_b64 v[10:11], off, off offset:16
	s_wait_loadcnt 0x1
	s_clause 0x1
	flat_store_b64 v[4:5], v[0:1]
	flat_store_b64 v[6:7], v[2:3]
	s_wait_loadcnt 0x0
	flat_store_b64 v[8:9], v[10:11]
	s_endpgm
	.section	.rodata,"a",@progbits
	.p2align	6, 0x0
	.amdhsa_kernel _ZN9rocsolver6v33100L18getri_kernel_smallILi3E19rocblas_complex_numIfEPKPS3_EEvT1_iilPiilS8_bb
		.amdhsa_group_segment_fixed_size 56
		.amdhsa_private_segment_fixed_size 32
		.amdhsa_kernarg_size 60
		.amdhsa_user_sgpr_count 2
		.amdhsa_user_sgpr_dispatch_ptr 0
		.amdhsa_user_sgpr_queue_ptr 0
		.amdhsa_user_sgpr_kernarg_segment_ptr 1
		.amdhsa_user_sgpr_dispatch_id 0
		.amdhsa_user_sgpr_private_segment_size 0
		.amdhsa_wavefront_size32 1
		.amdhsa_uses_dynamic_stack 0
		.amdhsa_enable_private_segment 1
		.amdhsa_system_sgpr_workgroup_id_x 1
		.amdhsa_system_sgpr_workgroup_id_y 0
		.amdhsa_system_sgpr_workgroup_id_z 0
		.amdhsa_system_sgpr_workgroup_info 0
		.amdhsa_system_vgpr_workitem_id 0
		.amdhsa_next_free_vgpr 19
		.amdhsa_next_free_sgpr 19
		.amdhsa_reserve_vcc 1
		.amdhsa_float_round_mode_32 0
		.amdhsa_float_round_mode_16_64 0
		.amdhsa_float_denorm_mode_32 3
		.amdhsa_float_denorm_mode_16_64 3
		.amdhsa_fp16_overflow 0
		.amdhsa_workgroup_processor_mode 1
		.amdhsa_memory_ordered 1
		.amdhsa_forward_progress 1
		.amdhsa_inst_pref_size 20
		.amdhsa_round_robin_scheduling 0
		.amdhsa_exception_fp_ieee_invalid_op 0
		.amdhsa_exception_fp_denorm_src 0
		.amdhsa_exception_fp_ieee_div_zero 0
		.amdhsa_exception_fp_ieee_overflow 0
		.amdhsa_exception_fp_ieee_underflow 0
		.amdhsa_exception_fp_ieee_inexact 0
		.amdhsa_exception_int_div_zero 0
	.end_amdhsa_kernel
	.section	.text._ZN9rocsolver6v33100L18getri_kernel_smallILi3E19rocblas_complex_numIfEPKPS3_EEvT1_iilPiilS8_bb,"axG",@progbits,_ZN9rocsolver6v33100L18getri_kernel_smallILi3E19rocblas_complex_numIfEPKPS3_EEvT1_iilPiilS8_bb,comdat
.Lfunc_end66:
	.size	_ZN9rocsolver6v33100L18getri_kernel_smallILi3E19rocblas_complex_numIfEPKPS3_EEvT1_iilPiilS8_bb, .Lfunc_end66-_ZN9rocsolver6v33100L18getri_kernel_smallILi3E19rocblas_complex_numIfEPKPS3_EEvT1_iilPiilS8_bb
                                        ; -- End function
	.set _ZN9rocsolver6v33100L18getri_kernel_smallILi3E19rocblas_complex_numIfEPKPS3_EEvT1_iilPiilS8_bb.num_vgpr, 19
	.set _ZN9rocsolver6v33100L18getri_kernel_smallILi3E19rocblas_complex_numIfEPKPS3_EEvT1_iilPiilS8_bb.num_agpr, 0
	.set _ZN9rocsolver6v33100L18getri_kernel_smallILi3E19rocblas_complex_numIfEPKPS3_EEvT1_iilPiilS8_bb.numbered_sgpr, 19
	.set _ZN9rocsolver6v33100L18getri_kernel_smallILi3E19rocblas_complex_numIfEPKPS3_EEvT1_iilPiilS8_bb.num_named_barrier, 0
	.set _ZN9rocsolver6v33100L18getri_kernel_smallILi3E19rocblas_complex_numIfEPKPS3_EEvT1_iilPiilS8_bb.private_seg_size, 32
	.set _ZN9rocsolver6v33100L18getri_kernel_smallILi3E19rocblas_complex_numIfEPKPS3_EEvT1_iilPiilS8_bb.uses_vcc, 1
	.set _ZN9rocsolver6v33100L18getri_kernel_smallILi3E19rocblas_complex_numIfEPKPS3_EEvT1_iilPiilS8_bb.uses_flat_scratch, 1
	.set _ZN9rocsolver6v33100L18getri_kernel_smallILi3E19rocblas_complex_numIfEPKPS3_EEvT1_iilPiilS8_bb.has_dyn_sized_stack, 0
	.set _ZN9rocsolver6v33100L18getri_kernel_smallILi3E19rocblas_complex_numIfEPKPS3_EEvT1_iilPiilS8_bb.has_recursion, 0
	.set _ZN9rocsolver6v33100L18getri_kernel_smallILi3E19rocblas_complex_numIfEPKPS3_EEvT1_iilPiilS8_bb.has_indirect_call, 0
	.section	.AMDGPU.csdata,"",@progbits
; Kernel info:
; codeLenInByte = 2460
; TotalNumSgprs: 21
; NumVgprs: 19
; ScratchSize: 32
; MemoryBound: 0
; FloatMode: 240
; IeeeMode: 1
; LDSByteSize: 56 bytes/workgroup (compile time only)
; SGPRBlocks: 0
; VGPRBlocks: 2
; NumSGPRsForWavesPerEU: 21
; NumVGPRsForWavesPerEU: 19
; Occupancy: 16
; WaveLimiterHint : 1
; COMPUTE_PGM_RSRC2:SCRATCH_EN: 1
; COMPUTE_PGM_RSRC2:USER_SGPR: 2
; COMPUTE_PGM_RSRC2:TRAP_HANDLER: 0
; COMPUTE_PGM_RSRC2:TGID_X_EN: 1
; COMPUTE_PGM_RSRC2:TGID_Y_EN: 0
; COMPUTE_PGM_RSRC2:TGID_Z_EN: 0
; COMPUTE_PGM_RSRC2:TIDIG_COMP_CNT: 0
	.section	.text._ZN9rocsolver6v33100L18getri_kernel_smallILi4E19rocblas_complex_numIfEPKPS3_EEvT1_iilPiilS8_bb,"axG",@progbits,_ZN9rocsolver6v33100L18getri_kernel_smallILi4E19rocblas_complex_numIfEPKPS3_EEvT1_iilPiilS8_bb,comdat
	.globl	_ZN9rocsolver6v33100L18getri_kernel_smallILi4E19rocblas_complex_numIfEPKPS3_EEvT1_iilPiilS8_bb ; -- Begin function _ZN9rocsolver6v33100L18getri_kernel_smallILi4E19rocblas_complex_numIfEPKPS3_EEvT1_iilPiilS8_bb
	.p2align	8
	.type	_ZN9rocsolver6v33100L18getri_kernel_smallILi4E19rocblas_complex_numIfEPKPS3_EEvT1_iilPiilS8_bb,@function
_ZN9rocsolver6v33100L18getri_kernel_smallILi4E19rocblas_complex_numIfEPKPS3_EEvT1_iilPiilS8_bb: ; @_ZN9rocsolver6v33100L18getri_kernel_smallILi4E19rocblas_complex_numIfEPKPS3_EEvT1_iilPiilS8_bb
; %bb.0:
	s_mov_b32 s2, exec_lo
	v_cmpx_gt_u32_e32 4, v0
	s_cbranch_execz .LBB67_30
; %bb.1:
	s_clause 0x1
	s_load_b32 s13, s[0:1], 0x38
	s_load_b64 s[2:3], s[0:1], 0x0
	s_mov_b32 s8, ttmp9
	s_load_b128 s[4:7], s[0:1], 0x28
	s_wait_kmcnt 0x0
	s_bitcmp1_b32 s13, 8
	s_cselect_b32 s12, -1, 0
	s_ashr_i32 s9, ttmp9, 31
	s_delay_alu instid0(SALU_CYCLE_1) | instskip(NEXT) | instid1(SALU_CYCLE_1)
	s_lshl_b64 s[10:11], s[8:9], 3
	s_add_nc_u64 s[2:3], s[2:3], s[10:11]
	s_load_b64 s[10:11], s[2:3], 0x0
	s_bfe_u32 s2, s13, 0x10008
	s_delay_alu instid0(SALU_CYCLE_1)
	s_cmp_eq_u32 s2, 0
                                        ; implicit-def: $sgpr2_sgpr3
	s_cbranch_scc1 .LBB67_3
; %bb.2:
	s_load_b96 s[16:18], s[0:1], 0x18
	s_mul_u64 s[2:3], s[4:5], s[8:9]
	s_delay_alu instid0(SALU_CYCLE_1)
	s_lshl_b64 s[2:3], s[2:3], 2
	s_wait_kmcnt 0x0
	s_ashr_i32 s5, s18, 31
	s_mov_b32 s4, s18
	s_add_nc_u64 s[2:3], s[16:17], s[2:3]
	s_lshl_b64 s[4:5], s[4:5], 2
	s_delay_alu instid0(SALU_CYCLE_1)
	s_add_nc_u64 s[2:3], s[2:3], s[4:5]
.LBB67_3:
	s_clause 0x1
	s_load_b64 s[4:5], s[0:1], 0x8
	s_load_b32 s13, s[0:1], 0x38
	v_lshlrev_b32_e32 v16, 3, v0
	s_wait_kmcnt 0x0
	v_add3_u32 v1, s5, s5, v0
	s_ashr_i32 s1, s4, 31
	s_mov_b32 s0, s4
	s_ashr_i32 s15, s5, 31
	s_lshl_b64 s[0:1], s[0:1], 3
	v_add_nc_u32_e32 v8, s5, v1
	v_ashrrev_i32_e32 v2, 31, v1
	s_add_nc_u64 s[0:1], s[10:11], s[0:1]
	s_mov_b32 s14, s5
	v_add_co_u32 v4, s4, s0, v16
	v_ashrrev_i32_e32 v9, 31, v8
	v_lshlrev_b64_e32 v[1:2], 3, v[1:2]
	s_wait_alu 0xf1ff
	v_add_co_ci_u32_e64 v5, null, s1, 0, s4
	s_lshl_b64 s[14:15], s[14:15], 3
	v_lshlrev_b64_e32 v[10:11], 3, v[8:9]
	v_add_co_u32 v6, vcc_lo, v4, s14
	s_delay_alu instid0(VALU_DEP_1)
	v_add_co_ci_u32_e64 v7, null, s15, v5, vcc_lo
	v_add_co_u32 v8, vcc_lo, s0, v1
	s_wait_alu 0xfffd
	v_add_co_ci_u32_e64 v9, null, s1, v2, vcc_lo
	v_add_co_u32 v10, vcc_lo, s0, v10
	s_wait_alu 0xfffd
	v_add_co_ci_u32_e64 v11, null, s1, v11, vcc_lo
	s_clause 0x3
	flat_load_b64 v[12:13], v[4:5]
	flat_load_b64 v[14:15], v[6:7]
	;; [unrolled: 1-line block ×4, first 2 shown]
	s_mov_b32 s1, -1
	s_bitcmp0_b32 s13, 0
	s_wait_loadcnt_dscnt 0x202
	scratch_store_b128 off, v[12:15], off
	s_wait_loadcnt_dscnt 0x0
	scratch_store_b128 off, v[17:20], off offset:16
	s_cbranch_scc1 .LBB67_28
; %bb.4:
	v_cmp_eq_u32_e64 s0, 0, v0
	s_and_saveexec_b32 s1, s0
; %bb.5:
	v_mov_b32_e32 v1, 0
	ds_store_b32 v1, v1 offset:64
; %bb.6:
	s_wait_alu 0xfffe
	s_or_b32 exec_lo, exec_lo, s1
	s_wait_storecnt_dscnt 0x0
	s_barrier_signal -1
	s_barrier_wait -1
	global_inv scope:SCOPE_SE
	scratch_load_b64 v[1:2], v16, off
	s_wait_loadcnt 0x0
	v_cmp_eq_f32_e32 vcc_lo, 0, v1
	v_cmp_eq_f32_e64 s1, 0, v2
	s_and_b32 s1, vcc_lo, s1
	s_wait_alu 0xfffe
	s_and_saveexec_b32 s4, s1
	s_cbranch_execz .LBB67_10
; %bb.7:
	v_mov_b32_e32 v1, 0
	s_mov_b32 s5, 0
	ds_load_b32 v2, v1 offset:64
	s_wait_dscnt 0x0
	v_readfirstlane_b32 s1, v2
	v_add_nc_u32_e32 v2, 1, v0
	s_cmp_eq_u32 s1, 0
	s_delay_alu instid0(VALU_DEP_1) | instskip(SKIP_1) | instid1(SALU_CYCLE_1)
	v_cmp_gt_i32_e32 vcc_lo, s1, v2
	s_cselect_b32 s10, -1, 0
	s_or_b32 s10, s10, vcc_lo
	s_delay_alu instid0(SALU_CYCLE_1)
	s_and_b32 exec_lo, exec_lo, s10
	s_cbranch_execz .LBB67_10
; %bb.8:
	v_mov_b32_e32 v3, s1
.LBB67_9:                               ; =>This Inner Loop Header: Depth=1
	ds_cmpstore_rtn_b32 v3, v1, v2, v3 offset:64
	s_wait_dscnt 0x0
	v_cmp_ne_u32_e32 vcc_lo, 0, v3
	v_cmp_le_i32_e64 s1, v3, v2
	s_and_b32 s1, vcc_lo, s1
	s_wait_alu 0xfffe
	s_and_b32 s1, exec_lo, s1
	s_wait_alu 0xfffe
	s_or_b32 s5, s1, s5
	s_wait_alu 0xfffe
	s_and_not1_b32 exec_lo, exec_lo, s5
	s_cbranch_execnz .LBB67_9
.LBB67_10:
	s_wait_alu 0xfffe
	s_or_b32 exec_lo, exec_lo, s4
	v_mov_b32_e32 v1, 0
	s_barrier_signal -1
	s_barrier_wait -1
	global_inv scope:SCOPE_SE
	ds_load_b32 v2, v1 offset:64
	s_and_saveexec_b32 s1, s0
	s_cbranch_execz .LBB67_12
; %bb.11:
	s_lshl_b64 s[4:5], s[8:9], 2
	s_wait_alu 0xfffe
	s_add_nc_u64 s[4:5], s[6:7], s[4:5]
	s_wait_dscnt 0x0
	global_store_b32 v1, v2, s[4:5]
.LBB67_12:
	s_wait_alu 0xfffe
	s_or_b32 exec_lo, exec_lo, s1
	s_wait_dscnt 0x0
	v_cmp_ne_u32_e32 vcc_lo, 0, v2
	s_mov_b32 s1, 0
	s_cbranch_vccnz .LBB67_28
; %bb.13:
	v_mov_b32_e32 v3, v16
                                        ; implicit-def: $vgpr12
                                        ; implicit-def: $vgpr14
	scratch_load_b64 v[1:2], v3, off
	s_wait_loadcnt 0x0
	v_cmp_ngt_f32_e64 s1, |v1|, |v2|
	s_wait_alu 0xfffe
	s_and_saveexec_b32 s4, s1
	s_wait_alu 0xfffe
	s_xor_b32 s1, exec_lo, s4
	s_cbranch_execz .LBB67_15
; %bb.14:
	v_div_scale_f32 v12, null, v2, v2, v1
	v_div_scale_f32 v15, vcc_lo, v1, v2, v1
	s_delay_alu instid0(VALU_DEP_2) | instskip(NEXT) | instid1(TRANS32_DEP_1)
	v_rcp_f32_e32 v13, v12
	v_fma_f32 v14, -v12, v13, 1.0
	s_delay_alu instid0(VALU_DEP_1) | instskip(NEXT) | instid1(VALU_DEP_1)
	v_fmac_f32_e32 v13, v14, v13
	v_mul_f32_e32 v14, v15, v13
	s_delay_alu instid0(VALU_DEP_1) | instskip(NEXT) | instid1(VALU_DEP_1)
	v_fma_f32 v17, -v12, v14, v15
	v_fmac_f32_e32 v14, v17, v13
	s_delay_alu instid0(VALU_DEP_1) | instskip(SKIP_1) | instid1(VALU_DEP_1)
	v_fma_f32 v12, -v12, v14, v15
	s_wait_alu 0xfffd
	v_div_fmas_f32 v12, v12, v13, v14
	s_delay_alu instid0(VALU_DEP_1) | instskip(NEXT) | instid1(VALU_DEP_1)
	v_div_fixup_f32 v12, v12, v2, v1
	v_fmac_f32_e32 v2, v1, v12
	s_delay_alu instid0(VALU_DEP_1) | instskip(NEXT) | instid1(VALU_DEP_1)
	v_div_scale_f32 v1, null, v2, v2, 1.0
	v_rcp_f32_e32 v13, v1
	s_delay_alu instid0(TRANS32_DEP_1) | instskip(NEXT) | instid1(VALU_DEP_1)
	v_fma_f32 v14, -v1, v13, 1.0
	v_fmac_f32_e32 v13, v14, v13
	v_div_scale_f32 v14, vcc_lo, 1.0, v2, 1.0
	s_delay_alu instid0(VALU_DEP_1) | instskip(NEXT) | instid1(VALU_DEP_1)
	v_mul_f32_e32 v15, v14, v13
	v_fma_f32 v17, -v1, v15, v14
	s_delay_alu instid0(VALU_DEP_1) | instskip(NEXT) | instid1(VALU_DEP_1)
	v_fmac_f32_e32 v15, v17, v13
	v_fma_f32 v1, -v1, v15, v14
	s_wait_alu 0xfffd
	s_delay_alu instid0(VALU_DEP_1) | instskip(NEXT) | instid1(VALU_DEP_1)
	v_div_fmas_f32 v1, v1, v13, v15
	v_div_fixup_f32 v1, v1, v2, 1.0
	s_delay_alu instid0(VALU_DEP_1) | instskip(SKIP_1) | instid1(VALU_DEP_2)
	v_mul_f32_e32 v12, v12, v1
	v_xor_b32_e32 v13, 0x80000000, v1
                                        ; implicit-def: $vgpr1_vgpr2
	v_xor_b32_e32 v14, 0x80000000, v12
.LBB67_15:
	s_wait_alu 0xfffe
	s_and_not1_saveexec_b32 s1, s1
	s_cbranch_execz .LBB67_17
; %bb.16:
	v_div_scale_f32 v12, null, v1, v1, v2
	v_div_scale_f32 v15, vcc_lo, v2, v1, v2
	s_delay_alu instid0(VALU_DEP_2) | instskip(NEXT) | instid1(TRANS32_DEP_1)
	v_rcp_f32_e32 v13, v12
	v_fma_f32 v14, -v12, v13, 1.0
	s_delay_alu instid0(VALU_DEP_1) | instskip(NEXT) | instid1(VALU_DEP_1)
	v_fmac_f32_e32 v13, v14, v13
	v_mul_f32_e32 v14, v15, v13
	s_delay_alu instid0(VALU_DEP_1) | instskip(NEXT) | instid1(VALU_DEP_1)
	v_fma_f32 v17, -v12, v14, v15
	v_fmac_f32_e32 v14, v17, v13
	s_delay_alu instid0(VALU_DEP_1) | instskip(SKIP_1) | instid1(VALU_DEP_1)
	v_fma_f32 v12, -v12, v14, v15
	s_wait_alu 0xfffd
	v_div_fmas_f32 v12, v12, v13, v14
	s_delay_alu instid0(VALU_DEP_1) | instskip(NEXT) | instid1(VALU_DEP_1)
	v_div_fixup_f32 v13, v12, v1, v2
	v_fmac_f32_e32 v1, v2, v13
	s_delay_alu instid0(VALU_DEP_1) | instskip(SKIP_1) | instid1(VALU_DEP_2)
	v_div_scale_f32 v2, null, v1, v1, 1.0
	v_div_scale_f32 v15, vcc_lo, 1.0, v1, 1.0
	v_rcp_f32_e32 v12, v2
	s_delay_alu instid0(TRANS32_DEP_1) | instskip(NEXT) | instid1(VALU_DEP_1)
	v_fma_f32 v14, -v2, v12, 1.0
	v_fmac_f32_e32 v12, v14, v12
	s_delay_alu instid0(VALU_DEP_1) | instskip(NEXT) | instid1(VALU_DEP_1)
	v_mul_f32_e32 v14, v15, v12
	v_fma_f32 v17, -v2, v14, v15
	s_delay_alu instid0(VALU_DEP_1) | instskip(NEXT) | instid1(VALU_DEP_1)
	v_fmac_f32_e32 v14, v17, v12
	v_fma_f32 v2, -v2, v14, v15
	s_wait_alu 0xfffd
	s_delay_alu instid0(VALU_DEP_1) | instskip(NEXT) | instid1(VALU_DEP_1)
	v_div_fmas_f32 v2, v2, v12, v14
	v_div_fixup_f32 v12, v2, v1, 1.0
	s_delay_alu instid0(VALU_DEP_1)
	v_xor_b32_e32 v14, 0x80000000, v12
	v_mul_f32_e64 v13, v13, -v12
.LBB67_17:
	s_wait_alu 0xfffe
	s_or_b32 exec_lo, exec_lo, s1
	scratch_store_b64 v3, v[12:13], off
	scratch_load_b64 v[17:18], off, off offset:8
	v_xor_b32_e32 v15, 0x80000000, v13
	v_add_nc_u32_e32 v1, 32, v16
	s_wait_loadcnt 0x0
	ds_store_2addr_b64 v16, v[14:15], v[17:18] offset1:4
	s_wait_storecnt_dscnt 0x0
	s_barrier_signal -1
	s_barrier_wait -1
	global_inv scope:SCOPE_SE
	s_and_saveexec_b32 s1, s0
	s_cbranch_execz .LBB67_19
; %bb.18:
	scratch_load_b64 v[12:13], v3, off
	ds_load_b64 v[14:15], v1
	v_mov_b32_e32 v2, 0
	ds_load_b64 v[16:17], v2 offset:8
	s_wait_loadcnt_dscnt 0x1
	v_mul_f32_e32 v2, v14, v13
	v_mul_f32_e32 v13, v15, v13
	s_delay_alu instid0(VALU_DEP_2) | instskip(NEXT) | instid1(VALU_DEP_2)
	v_fmac_f32_e32 v2, v15, v12
	v_fma_f32 v12, v14, v12, -v13
	s_delay_alu instid0(VALU_DEP_1) | instskip(SKIP_1) | instid1(VALU_DEP_1)
	v_add_f32_e32 v12, 0, v12
	s_wait_dscnt 0x0
	v_dual_mul_f32 v13, v12, v17 :: v_dual_add_f32 v2, 0, v2
	s_delay_alu instid0(VALU_DEP_1) | instskip(NEXT) | instid1(VALU_DEP_2)
	v_mul_f32_e32 v14, v2, v17
	v_fmac_f32_e32 v13, v2, v16
	s_delay_alu instid0(VALU_DEP_2)
	v_fma_f32 v12, v12, v16, -v14
	scratch_store_b64 off, v[12:13], off offset:8
.LBB67_19:
	s_wait_alu 0xfffe
	s_or_b32 exec_lo, exec_lo, s1
	s_wait_loadcnt 0x0
	s_wait_storecnt 0x0
	s_barrier_signal -1
	s_barrier_wait -1
	global_inv scope:SCOPE_SE
	scratch_load_b64 v[12:13], off, off offset:16
	s_mov_b32 s1, exec_lo
	s_wait_loadcnt 0x0
	ds_store_b64 v1, v[12:13]
	s_wait_dscnt 0x0
	s_barrier_signal -1
	s_barrier_wait -1
	global_inv scope:SCOPE_SE
	v_cmpx_gt_u32_e32 2, v0
	s_cbranch_execz .LBB67_23
; %bb.20:
	scratch_load_b64 v[12:13], v3, off
	ds_load_b64 v[14:15], v1
	s_wait_loadcnt_dscnt 0x0
	v_mul_f32_e32 v2, v15, v13
	s_delay_alu instid0(VALU_DEP_1) | instskip(SKIP_1) | instid1(VALU_DEP_1)
	v_fma_f32 v2, v14, v12, -v2
	v_mul_f32_e32 v13, v14, v13
	v_dual_fmac_f32 v13, v15, v12 :: v_dual_add_f32 v12, 0, v2
	s_delay_alu instid0(VALU_DEP_1)
	v_add_f32_e32 v2, 0, v13
	s_and_saveexec_b32 s4, s0
	s_cbranch_execz .LBB67_22
; %bb.21:
	scratch_load_b64 v[13:14], off, off offset:8
	v_mov_b32_e32 v15, 0
	ds_load_b64 v[15:16], v15 offset:40
	s_wait_loadcnt_dscnt 0x0
	v_mul_f32_e32 v17, v15, v14
	v_mul_f32_e32 v14, v16, v14
	s_delay_alu instid0(VALU_DEP_2) | instskip(NEXT) | instid1(VALU_DEP_2)
	v_fmac_f32_e32 v17, v16, v13
	v_fma_f32 v13, v15, v13, -v14
	s_delay_alu instid0(VALU_DEP_2) | instskip(NEXT) | instid1(VALU_DEP_2)
	v_add_f32_e32 v2, v2, v17
	v_add_f32_e32 v12, v12, v13
.LBB67_22:
	s_wait_alu 0xfffe
	s_or_b32 exec_lo, exec_lo, s4
	v_mov_b32_e32 v13, 0
	ds_load_b64 v[13:14], v13 offset:16
	s_wait_dscnt 0x0
	v_mul_f32_e32 v16, v2, v14
	v_mul_f32_e32 v15, v12, v14
	s_delay_alu instid0(VALU_DEP_2) | instskip(NEXT) | instid1(VALU_DEP_2)
	v_fma_f32 v14, v12, v13, -v16
	v_fmac_f32_e32 v15, v2, v13
	scratch_store_b64 off, v[14:15], off offset:16
.LBB67_23:
	s_wait_alu 0xfffe
	s_or_b32 exec_lo, exec_lo, s1
	s_wait_loadcnt 0x0
	s_wait_storecnt 0x0
	s_barrier_signal -1
	s_barrier_wait -1
	global_inv scope:SCOPE_SE
	scratch_load_b64 v[12:13], off, off offset:24
	s_mov_b32 s0, exec_lo
	s_wait_loadcnt 0x0
	ds_store_b64 v1, v[12:13]
	s_wait_dscnt 0x0
	s_barrier_signal -1
	s_barrier_wait -1
	global_inv scope:SCOPE_SE
	v_cmpx_ne_u32_e32 3, v0
	s_cbranch_execz .LBB67_27
; %bb.24:
	v_dual_mov_b32 v13, 0 :: v_dual_add_nc_u32 v12, -1, v0
	v_mov_b32_e32 v2, 0
	s_mov_b32 s1, 0
.LBB67_25:                              ; =>This Inner Loop Header: Depth=1
	scratch_load_b64 v[14:15], v3, off
	ds_load_b64 v[16:17], v1
	v_add_nc_u32_e32 v3, 8, v3
	v_add_nc_u32_e32 v12, 1, v12
	;; [unrolled: 1-line block ×3, first 2 shown]
	s_delay_alu instid0(VALU_DEP_2)
	v_cmp_lt_u32_e32 vcc_lo, 1, v12
	s_wait_alu 0xfffe
	s_or_b32 s1, vcc_lo, s1
	s_wait_loadcnt_dscnt 0x0
	v_mul_f32_e32 v18, v17, v15
	v_mul_f32_e32 v15, v16, v15
	s_delay_alu instid0(VALU_DEP_2) | instskip(NEXT) | instid1(VALU_DEP_2)
	v_fma_f32 v16, v16, v14, -v18
	v_fmac_f32_e32 v15, v17, v14
	s_delay_alu instid0(VALU_DEP_1)
	v_dual_add_f32 v13, v13, v16 :: v_dual_add_f32 v2, v2, v15
	s_wait_alu 0xfffe
	s_and_not1_b32 exec_lo, exec_lo, s1
	s_cbranch_execnz .LBB67_25
; %bb.26:
	s_or_b32 exec_lo, exec_lo, s1
	v_mov_b32_e32 v1, 0
	ds_load_b64 v[14:15], v1 offset:24
	s_wait_dscnt 0x0
	v_mul_f32_e32 v1, v2, v15
	v_mul_f32_e32 v16, v13, v15
	s_delay_alu instid0(VALU_DEP_2) | instskip(NEXT) | instid1(VALU_DEP_2)
	v_fma_f32 v15, v13, v14, -v1
	v_fmac_f32_e32 v16, v2, v14
	scratch_store_b64 off, v[15:16], off offset:24
.LBB67_27:
	s_wait_alu 0xfffe
	s_or_b32 exec_lo, exec_lo, s0
	s_mov_b32 s1, -1
	s_wait_loadcnt 0x0
	s_wait_storecnt 0x0
	s_barrier_signal -1
	s_barrier_wait -1
	global_inv scope:SCOPE_SE
.LBB67_28:
	s_wait_alu 0xfffe
	s_and_b32 vcc_lo, exec_lo, s1
	s_wait_alu 0xfffe
	s_cbranch_vccz .LBB67_30
; %bb.29:
	v_mov_b32_e32 v1, 0
	s_lshl_b64 s[0:1], s[8:9], 2
	s_wait_alu 0xfffe
	s_add_nc_u64 s[0:1], s[6:7], s[0:1]
	global_load_b32 v1, v1, s[0:1]
	s_wait_loadcnt 0x0
	v_cmp_ne_u32_e32 vcc_lo, 0, v1
	s_cbranch_vccz .LBB67_31
.LBB67_30:
	s_endpgm
.LBB67_31:
	v_lshl_add_u32 v3, v0, 3, 32
	s_mov_b32 s0, exec_lo
	v_cmpx_eq_u32_e32 3, v0
	s_cbranch_execz .LBB67_33
; %bb.32:
	scratch_load_b64 v[1:2], off, off offset:16
	v_mov_b32_e32 v12, 0
	s_delay_alu instid0(VALU_DEP_1)
	v_mov_b32_e32 v13, v12
	scratch_store_b64 off, v[12:13], off offset:16
	s_wait_loadcnt 0x0
	ds_store_b64 v3, v[1:2]
.LBB67_33:
	s_wait_alu 0xfffe
	s_or_b32 exec_lo, exec_lo, s0
	s_wait_storecnt_dscnt 0x0
	s_barrier_signal -1
	s_barrier_wait -1
	global_inv scope:SCOPE_SE
	s_clause 0x1
	scratch_load_b64 v[12:13], off, off offset:24
	scratch_load_b64 v[14:15], off, off offset:16
	v_mov_b32_e32 v1, 0
	s_mov_b32 s0, exec_lo
	ds_load_b64 v[16:17], v1 offset:56
	s_wait_loadcnt_dscnt 0x100
	v_mul_f32_e32 v2, v17, v13
	s_delay_alu instid0(VALU_DEP_1) | instskip(NEXT) | instid1(VALU_DEP_1)
	v_fma_f32 v2, v16, v12, -v2
	v_dual_mul_f32 v13, v16, v13 :: v_dual_add_f32 v2, 0, v2
	s_wait_loadcnt 0x0
	s_delay_alu instid0(VALU_DEP_1) | instskip(NEXT) | instid1(VALU_DEP_1)
	v_dual_fmac_f32 v13, v17, v12 :: v_dual_sub_f32 v12, v14, v2
	v_add_f32_e32 v13, 0, v13
	s_delay_alu instid0(VALU_DEP_1)
	v_sub_f32_e32 v13, v15, v13
	scratch_store_b64 off, v[12:13], off offset:16
	v_cmpx_lt_u32_e32 1, v0
	s_cbranch_execz .LBB67_35
; %bb.34:
	scratch_load_b64 v[12:13], off, off offset:8
	v_mov_b32_e32 v2, v1
	scratch_store_b64 off, v[1:2], off offset:8
	s_wait_loadcnt 0x0
	ds_store_b64 v3, v[12:13]
.LBB67_35:
	s_wait_alu 0xfffe
	s_or_b32 exec_lo, exec_lo, s0
	s_wait_storecnt_dscnt 0x0
	s_barrier_signal -1
	s_barrier_wait -1
	global_inv scope:SCOPE_SE
	s_clause 0x1
	scratch_load_b128 v[12:15], off, off offset:16
	scratch_load_b64 v[20:21], off, off offset:8
	ds_load_b128 v[16:19], v1 offset:48
	s_mov_b32 s0, exec_lo
	s_wait_loadcnt_dscnt 0x100
	v_mul_f32_e32 v2, v16, v13
	s_delay_alu instid0(VALU_DEP_1) | instskip(SKIP_2) | instid1(VALU_DEP_1)
	v_fmac_f32_e32 v2, v17, v12
	v_mul_f32_e32 v1, v17, v13
	v_mul_f32_e32 v13, v18, v15
	v_fmac_f32_e32 v13, v19, v14
	s_delay_alu instid0(VALU_DEP_4) | instskip(NEXT) | instid1(VALU_DEP_4)
	v_dual_add_f32 v2, 0, v2 :: v_dual_mul_f32 v15, v19, v15
	v_fma_f32 v1, v16, v12, -v1
	s_delay_alu instid0(VALU_DEP_2) | instskip(NEXT) | instid1(VALU_DEP_3)
	v_add_f32_e32 v2, v2, v13
	v_fma_f32 v12, v18, v14, -v15
	s_wait_loadcnt 0x0
	s_delay_alu instid0(VALU_DEP_2) | instskip(NEXT) | instid1(VALU_DEP_1)
	v_dual_add_f32 v1, 0, v1 :: v_dual_sub_f32 v2, v21, v2
	v_add_f32_e32 v1, v1, v12
	s_delay_alu instid0(VALU_DEP_1)
	v_sub_f32_e32 v1, v20, v1
	scratch_store_b64 off, v[1:2], off offset:8
	v_cmpx_ne_u32_e32 0, v0
	s_cbranch_execz .LBB67_37
; %bb.36:
	scratch_load_b64 v[0:1], off, off
	v_mov_b32_e32 v12, 0
	s_delay_alu instid0(VALU_DEP_1)
	v_mov_b32_e32 v13, v12
	scratch_store_b64 off, v[12:13], off
	s_wait_loadcnt 0x0
	ds_store_b64 v3, v[0:1]
.LBB67_37:
	s_wait_alu 0xfffe
	s_or_b32 exec_lo, exec_lo, s0
	s_wait_storecnt_dscnt 0x0
	s_barrier_signal -1
	s_barrier_wait -1
	global_inv scope:SCOPE_SE
	s_clause 0x2
	scratch_load_b128 v[0:3], off, off offset:8
	scratch_load_b64 v[17:18], off, off offset:24
	scratch_load_b64 v[19:20], off, off
	v_mov_b32_e32 v12, 0
	ds_load_2addr_b64 v[13:16], v12 offset0:5 offset1:6
	ds_load_b64 v[21:22], v12 offset:56
	s_and_b32 vcc_lo, exec_lo, s12
	s_wait_loadcnt_dscnt 0x201
	v_mul_f32_e32 v23, v14, v1
	v_dual_mul_f32 v1, v13, v1 :: v_dual_mul_f32 v24, v15, v3
	s_wait_loadcnt_dscnt 0x100
	v_dual_mul_f32 v25, v21, v18 :: v_dual_mul_f32 v26, v16, v3
	s_delay_alu instid0(VALU_DEP_3) | instskip(NEXT) | instid1(VALU_DEP_3)
	v_fma_f32 v13, v13, v0, -v23
	v_dual_fmac_f32 v1, v14, v0 :: v_dual_fmac_f32 v24, v16, v2
	v_mul_f32_e32 v0, v22, v18
	s_delay_alu instid0(VALU_DEP_4) | instskip(NEXT) | instid1(VALU_DEP_4)
	v_fma_f32 v14, v15, v2, -v26
	v_add_f32_e32 v13, 0, v13
	s_delay_alu instid0(VALU_DEP_3) | instskip(NEXT) | instid1(VALU_DEP_2)
	v_fma_f32 v0, v21, v17, -v0
	v_add_f32_e32 v13, v13, v14
	s_delay_alu instid0(VALU_DEP_1) | instskip(SKIP_1) | instid1(VALU_DEP_2)
	v_dual_add_f32 v1, 0, v1 :: v_dual_add_f32 v0, v13, v0
	v_fmac_f32_e32 v25, v22, v17
	v_add_f32_e32 v1, v1, v24
	s_wait_loadcnt 0x0
	s_delay_alu instid0(VALU_DEP_1) | instskip(NEXT) | instid1(VALU_DEP_1)
	v_dual_sub_f32 v0, v19, v0 :: v_dual_add_f32 v1, v1, v25
	v_sub_f32_e32 v1, v20, v1
	scratch_store_b64 off, v[0:1], off
	s_wait_alu 0xfffe
	s_cbranch_vccz .LBB67_44
; %bb.38:
	global_load_b32 v0, v12, s[2:3] offset:8
	s_wait_loadcnt 0x0
	v_cmp_ne_u32_e32 vcc_lo, 3, v0
	s_cbranch_vccz .LBB67_40
; %bb.39:
	v_lshlrev_b32_e32 v0, 3, v0
	s_delay_alu instid0(VALU_DEP_1)
	v_mov_b32_e32 v12, v0
	scratch_load_b64 v[0:1], v12, off offset:-8
	s_wait_loadcnt 0x0
	scratch_store_b64 off, v[0:1], off offset:16
	scratch_store_b64 v12, v[2:3], off offset:-8
.LBB67_40:
	v_mov_b32_e32 v0, 0
	global_load_b32 v1, v0, s[2:3] offset:4
	s_wait_loadcnt 0x0
	v_cmp_eq_u32_e32 vcc_lo, 2, v1
	s_cbranch_vccnz .LBB67_42
; %bb.41:
	v_lshlrev_b32_e32 v1, 3, v1
	s_delay_alu instid0(VALU_DEP_1)
	v_mov_b32_e32 v3, v1
	scratch_load_b64 v[1:2], v3, off offset:-8
	scratch_load_b64 v[12:13], off, off offset:8
	s_wait_loadcnt 0x1
	scratch_store_b64 off, v[1:2], off offset:8
	s_wait_loadcnt 0x0
	scratch_store_b64 v3, v[12:13], off offset:-8
.LBB67_42:
	global_load_b32 v0, v0, s[2:3]
	s_wait_loadcnt 0x0
	v_cmp_eq_u32_e32 vcc_lo, 1, v0
	s_cbranch_vccnz .LBB67_44
; %bb.43:
	v_lshlrev_b32_e32 v0, 3, v0
	s_delay_alu instid0(VALU_DEP_1)
	v_mov_b32_e32 v12, v0
	scratch_load_b64 v[0:1], v12, off offset:-8
	scratch_load_b64 v[2:3], off, off
	s_wait_loadcnt 0x1
	scratch_store_b64 off, v[0:1], off
	s_wait_loadcnt 0x0
	scratch_store_b64 v12, v[2:3], off offset:-8
.LBB67_44:
	s_clause 0x3
	scratch_load_b64 v[0:1], off, off
	scratch_load_b64 v[2:3], off, off offset:8
	scratch_load_b64 v[12:13], off, off offset:16
	;; [unrolled: 1-line block ×3, first 2 shown]
	s_wait_loadcnt 0x3
	flat_store_b64 v[4:5], v[0:1]
	s_wait_loadcnt 0x2
	flat_store_b64 v[6:7], v[2:3]
	;; [unrolled: 2-line block ×4, first 2 shown]
	s_endpgm
	.section	.rodata,"a",@progbits
	.p2align	6, 0x0
	.amdhsa_kernel _ZN9rocsolver6v33100L18getri_kernel_smallILi4E19rocblas_complex_numIfEPKPS3_EEvT1_iilPiilS8_bb
		.amdhsa_group_segment_fixed_size 68
		.amdhsa_private_segment_fixed_size 48
		.amdhsa_kernarg_size 60
		.amdhsa_user_sgpr_count 2
		.amdhsa_user_sgpr_dispatch_ptr 0
		.amdhsa_user_sgpr_queue_ptr 0
		.amdhsa_user_sgpr_kernarg_segment_ptr 1
		.amdhsa_user_sgpr_dispatch_id 0
		.amdhsa_user_sgpr_private_segment_size 0
		.amdhsa_wavefront_size32 1
		.amdhsa_uses_dynamic_stack 0
		.amdhsa_enable_private_segment 1
		.amdhsa_system_sgpr_workgroup_id_x 1
		.amdhsa_system_sgpr_workgroup_id_y 0
		.amdhsa_system_sgpr_workgroup_id_z 0
		.amdhsa_system_sgpr_workgroup_info 0
		.amdhsa_system_vgpr_workitem_id 0
		.amdhsa_next_free_vgpr 27
		.amdhsa_next_free_sgpr 19
		.amdhsa_reserve_vcc 1
		.amdhsa_float_round_mode_32 0
		.amdhsa_float_round_mode_16_64 0
		.amdhsa_float_denorm_mode_32 3
		.amdhsa_float_denorm_mode_16_64 3
		.amdhsa_fp16_overflow 0
		.amdhsa_workgroup_processor_mode 1
		.amdhsa_memory_ordered 1
		.amdhsa_forward_progress 1
		.amdhsa_inst_pref_size 25
		.amdhsa_round_robin_scheduling 0
		.amdhsa_exception_fp_ieee_invalid_op 0
		.amdhsa_exception_fp_denorm_src 0
		.amdhsa_exception_fp_ieee_div_zero 0
		.amdhsa_exception_fp_ieee_overflow 0
		.amdhsa_exception_fp_ieee_underflow 0
		.amdhsa_exception_fp_ieee_inexact 0
		.amdhsa_exception_int_div_zero 0
	.end_amdhsa_kernel
	.section	.text._ZN9rocsolver6v33100L18getri_kernel_smallILi4E19rocblas_complex_numIfEPKPS3_EEvT1_iilPiilS8_bb,"axG",@progbits,_ZN9rocsolver6v33100L18getri_kernel_smallILi4E19rocblas_complex_numIfEPKPS3_EEvT1_iilPiilS8_bb,comdat
.Lfunc_end67:
	.size	_ZN9rocsolver6v33100L18getri_kernel_smallILi4E19rocblas_complex_numIfEPKPS3_EEvT1_iilPiilS8_bb, .Lfunc_end67-_ZN9rocsolver6v33100L18getri_kernel_smallILi4E19rocblas_complex_numIfEPKPS3_EEvT1_iilPiilS8_bb
                                        ; -- End function
	.set _ZN9rocsolver6v33100L18getri_kernel_smallILi4E19rocblas_complex_numIfEPKPS3_EEvT1_iilPiilS8_bb.num_vgpr, 27
	.set _ZN9rocsolver6v33100L18getri_kernel_smallILi4E19rocblas_complex_numIfEPKPS3_EEvT1_iilPiilS8_bb.num_agpr, 0
	.set _ZN9rocsolver6v33100L18getri_kernel_smallILi4E19rocblas_complex_numIfEPKPS3_EEvT1_iilPiilS8_bb.numbered_sgpr, 19
	.set _ZN9rocsolver6v33100L18getri_kernel_smallILi4E19rocblas_complex_numIfEPKPS3_EEvT1_iilPiilS8_bb.num_named_barrier, 0
	.set _ZN9rocsolver6v33100L18getri_kernel_smallILi4E19rocblas_complex_numIfEPKPS3_EEvT1_iilPiilS8_bb.private_seg_size, 48
	.set _ZN9rocsolver6v33100L18getri_kernel_smallILi4E19rocblas_complex_numIfEPKPS3_EEvT1_iilPiilS8_bb.uses_vcc, 1
	.set _ZN9rocsolver6v33100L18getri_kernel_smallILi4E19rocblas_complex_numIfEPKPS3_EEvT1_iilPiilS8_bb.uses_flat_scratch, 1
	.set _ZN9rocsolver6v33100L18getri_kernel_smallILi4E19rocblas_complex_numIfEPKPS3_EEvT1_iilPiilS8_bb.has_dyn_sized_stack, 0
	.set _ZN9rocsolver6v33100L18getri_kernel_smallILi4E19rocblas_complex_numIfEPKPS3_EEvT1_iilPiilS8_bb.has_recursion, 0
	.set _ZN9rocsolver6v33100L18getri_kernel_smallILi4E19rocblas_complex_numIfEPKPS3_EEvT1_iilPiilS8_bb.has_indirect_call, 0
	.section	.AMDGPU.csdata,"",@progbits
; Kernel info:
; codeLenInByte = 3200
; TotalNumSgprs: 21
; NumVgprs: 27
; ScratchSize: 48
; MemoryBound: 0
; FloatMode: 240
; IeeeMode: 1
; LDSByteSize: 68 bytes/workgroup (compile time only)
; SGPRBlocks: 0
; VGPRBlocks: 3
; NumSGPRsForWavesPerEU: 21
; NumVGPRsForWavesPerEU: 27
; Occupancy: 16
; WaveLimiterHint : 1
; COMPUTE_PGM_RSRC2:SCRATCH_EN: 1
; COMPUTE_PGM_RSRC2:USER_SGPR: 2
; COMPUTE_PGM_RSRC2:TRAP_HANDLER: 0
; COMPUTE_PGM_RSRC2:TGID_X_EN: 1
; COMPUTE_PGM_RSRC2:TGID_Y_EN: 0
; COMPUTE_PGM_RSRC2:TGID_Z_EN: 0
; COMPUTE_PGM_RSRC2:TIDIG_COMP_CNT: 0
	.section	.text._ZN9rocsolver6v33100L18getri_kernel_smallILi5E19rocblas_complex_numIfEPKPS3_EEvT1_iilPiilS8_bb,"axG",@progbits,_ZN9rocsolver6v33100L18getri_kernel_smallILi5E19rocblas_complex_numIfEPKPS3_EEvT1_iilPiilS8_bb,comdat
	.globl	_ZN9rocsolver6v33100L18getri_kernel_smallILi5E19rocblas_complex_numIfEPKPS3_EEvT1_iilPiilS8_bb ; -- Begin function _ZN9rocsolver6v33100L18getri_kernel_smallILi5E19rocblas_complex_numIfEPKPS3_EEvT1_iilPiilS8_bb
	.p2align	8
	.type	_ZN9rocsolver6v33100L18getri_kernel_smallILi5E19rocblas_complex_numIfEPKPS3_EEvT1_iilPiilS8_bb,@function
_ZN9rocsolver6v33100L18getri_kernel_smallILi5E19rocblas_complex_numIfEPKPS3_EEvT1_iilPiilS8_bb: ; @_ZN9rocsolver6v33100L18getri_kernel_smallILi5E19rocblas_complex_numIfEPKPS3_EEvT1_iilPiilS8_bb
; %bb.0:
	s_mov_b32 s2, exec_lo
	v_cmpx_gt_u32_e32 5, v0
	s_cbranch_execz .LBB68_34
; %bb.1:
	s_clause 0x1
	s_load_b32 s13, s[0:1], 0x38
	s_load_b64 s[2:3], s[0:1], 0x0
	s_mov_b32 s8, ttmp9
	s_load_b128 s[4:7], s[0:1], 0x28
	s_wait_kmcnt 0x0
	s_bitcmp1_b32 s13, 8
	s_cselect_b32 s12, -1, 0
	s_ashr_i32 s9, ttmp9, 31
	s_delay_alu instid0(SALU_CYCLE_1) | instskip(NEXT) | instid1(SALU_CYCLE_1)
	s_lshl_b64 s[10:11], s[8:9], 3
	s_add_nc_u64 s[2:3], s[2:3], s[10:11]
	s_load_b64 s[10:11], s[2:3], 0x0
	s_bfe_u32 s2, s13, 0x10008
	s_delay_alu instid0(SALU_CYCLE_1)
	s_cmp_eq_u32 s2, 0
                                        ; implicit-def: $sgpr2_sgpr3
	s_cbranch_scc1 .LBB68_3
; %bb.2:
	s_load_b96 s[16:18], s[0:1], 0x18
	s_mul_u64 s[2:3], s[4:5], s[8:9]
	s_delay_alu instid0(SALU_CYCLE_1)
	s_lshl_b64 s[2:3], s[2:3], 2
	s_wait_kmcnt 0x0
	s_ashr_i32 s5, s18, 31
	s_mov_b32 s4, s18
	s_add_nc_u64 s[2:3], s[16:17], s[2:3]
	s_lshl_b64 s[4:5], s[4:5], 2
	s_delay_alu instid0(SALU_CYCLE_1)
	s_add_nc_u64 s[2:3], s[2:3], s[4:5]
.LBB68_3:
	s_clause 0x1
	s_load_b64 s[4:5], s[0:1], 0x8
	s_load_b32 s13, s[0:1], 0x38
	v_lshlrev_b32_e32 v3, 3, v0
	s_wait_kmcnt 0x0
	s_ashr_i32 s1, s4, 31
	s_mov_b32 s0, s4
	v_add3_u32 v10, s5, s5, v0
	s_lshl_b64 s[0:1], s[0:1], 3
	s_delay_alu instid0(SALU_CYCLE_1)
	s_add_nc_u64 s[0:1], s[10:11], s[0:1]
	s_ashr_i32 s11, s5, 31
	v_add_co_u32 v4, s4, s0, v3
	s_wait_alu 0xf1ff
	v_add_co_ci_u32_e64 v5, null, s1, 0, s4
	s_mov_b32 s10, s5
	v_ashrrev_i32_e32 v11, 31, v10
	s_lshl_b64 s[10:11], s[10:11], 3
	flat_load_b64 v[1:2], v[4:5]
	v_add_co_u32 v6, vcc_lo, v4, s10
	s_delay_alu instid0(VALU_DEP_1) | instskip(SKIP_3) | instid1(VALU_DEP_2)
	v_add_co_ci_u32_e64 v7, null, s11, v5, vcc_lo
	v_lshlrev_b64_e32 v[8:9], 3, v[10:11]
	v_add_nc_u32_e32 v12, s5, v10
	s_bitcmp0_b32 s13, 0
	v_add_co_u32 v8, vcc_lo, s0, v8
	s_wait_alu 0xfffd
	s_delay_alu instid0(VALU_DEP_3) | instskip(SKIP_1) | instid1(VALU_DEP_1)
	v_add_co_ci_u32_e64 v9, null, s1, v9, vcc_lo
	v_ashrrev_i32_e32 v13, 31, v12
	v_lshlrev_b64_e32 v[10:11], 3, v[12:13]
	v_add_nc_u32_e32 v12, s5, v12
	s_delay_alu instid0(VALU_DEP_2) | instskip(SKIP_1) | instid1(VALU_DEP_3)
	v_add_co_u32 v10, vcc_lo, s0, v10
	s_wait_alu 0xfffd
	v_add_co_ci_u32_e64 v11, null, s1, v11, vcc_lo
	s_delay_alu instid0(VALU_DEP_3) | instskip(NEXT) | instid1(VALU_DEP_1)
	v_ashrrev_i32_e32 v13, 31, v12
	v_lshlrev_b64_e32 v[12:13], 3, v[12:13]
	s_delay_alu instid0(VALU_DEP_1) | instskip(SKIP_1) | instid1(VALU_DEP_2)
	v_add_co_u32 v12, vcc_lo, s0, v12
	s_wait_alu 0xfffd
	v_add_co_ci_u32_e64 v13, null, s1, v13, vcc_lo
	s_mov_b32 s1, -1
	s_wait_loadcnt_dscnt 0x0
	scratch_store_b64 off, v[1:2], off
	flat_load_b64 v[1:2], v[6:7]
	s_wait_loadcnt_dscnt 0x0
	scratch_store_b64 off, v[1:2], off offset:8
	flat_load_b64 v[1:2], v[8:9]
	s_wait_loadcnt_dscnt 0x0
	scratch_store_b64 off, v[1:2], off offset:16
	;; [unrolled: 3-line block ×4, first 2 shown]
	s_cbranch_scc1 .LBB68_32
; %bb.4:
	v_cmp_eq_u32_e64 s0, 0, v0
	s_and_saveexec_b32 s1, s0
; %bb.5:
	v_mov_b32_e32 v1, 0
	ds_store_b32 v1, v1 offset:40
; %bb.6:
	s_wait_alu 0xfffe
	s_or_b32 exec_lo, exec_lo, s1
	s_wait_storecnt_dscnt 0x0
	s_barrier_signal -1
	s_barrier_wait -1
	global_inv scope:SCOPE_SE
	scratch_load_b64 v[1:2], v3, off
	s_wait_loadcnt 0x0
	v_cmp_eq_f32_e32 vcc_lo, 0, v1
	v_cmp_eq_f32_e64 s1, 0, v2
	s_and_b32 s1, vcc_lo, s1
	s_wait_alu 0xfffe
	s_and_saveexec_b32 s4, s1
	s_cbranch_execz .LBB68_10
; %bb.7:
	v_mov_b32_e32 v1, 0
	s_mov_b32 s5, 0
	ds_load_b32 v2, v1 offset:40
	s_wait_dscnt 0x0
	v_readfirstlane_b32 s1, v2
	v_add_nc_u32_e32 v2, 1, v0
	s_cmp_eq_u32 s1, 0
	s_delay_alu instid0(VALU_DEP_1)
	v_cmp_gt_i32_e32 vcc_lo, s1, v2
	s_cselect_b32 s10, -1, 0
	s_wait_alu 0xfffe
	s_or_b32 s10, s10, vcc_lo
	s_wait_alu 0xfffe
	s_and_b32 exec_lo, exec_lo, s10
	s_cbranch_execz .LBB68_10
; %bb.8:
	v_mov_b32_e32 v14, s1
.LBB68_9:                               ; =>This Inner Loop Header: Depth=1
	ds_cmpstore_rtn_b32 v14, v1, v2, v14 offset:40
	s_wait_dscnt 0x0
	v_cmp_ne_u32_e32 vcc_lo, 0, v14
	v_cmp_le_i32_e64 s1, v14, v2
	s_and_b32 s1, vcc_lo, s1
	s_wait_alu 0xfffe
	s_and_b32 s1, exec_lo, s1
	s_wait_alu 0xfffe
	s_or_b32 s5, s1, s5
	s_wait_alu 0xfffe
	s_and_not1_b32 exec_lo, exec_lo, s5
	s_cbranch_execnz .LBB68_9
.LBB68_10:
	s_wait_alu 0xfffe
	s_or_b32 exec_lo, exec_lo, s4
	v_mov_b32_e32 v1, 0
	s_barrier_signal -1
	s_barrier_wait -1
	global_inv scope:SCOPE_SE
	ds_load_b32 v2, v1 offset:40
	s_and_saveexec_b32 s1, s0
	s_cbranch_execz .LBB68_12
; %bb.11:
	s_lshl_b64 s[4:5], s[8:9], 2
	s_wait_alu 0xfffe
	s_add_nc_u64 s[4:5], s[6:7], s[4:5]
	s_wait_dscnt 0x0
	global_store_b32 v1, v2, s[4:5]
.LBB68_12:
	s_wait_alu 0xfffe
	s_or_b32 exec_lo, exec_lo, s1
	s_wait_dscnt 0x0
	v_cmp_ne_u32_e32 vcc_lo, 0, v2
	s_mov_b32 s1, 0
	s_cbranch_vccnz .LBB68_32
; %bb.13:
	v_mov_b32_e32 v18, v3
                                        ; implicit-def: $vgpr14
                                        ; implicit-def: $vgpr16
	scratch_load_b64 v[1:2], v18, off
	s_wait_loadcnt 0x0
	v_cmp_ngt_f32_e64 s1, |v1|, |v2|
	s_wait_alu 0xfffe
	s_and_saveexec_b32 s4, s1
	s_wait_alu 0xfffe
	s_xor_b32 s1, exec_lo, s4
	s_cbranch_execz .LBB68_15
; %bb.14:
	v_div_scale_f32 v14, null, v2, v2, v1
	v_div_scale_f32 v17, vcc_lo, v1, v2, v1
	s_delay_alu instid0(VALU_DEP_2) | instskip(NEXT) | instid1(TRANS32_DEP_1)
	v_rcp_f32_e32 v15, v14
	v_fma_f32 v16, -v14, v15, 1.0
	s_delay_alu instid0(VALU_DEP_1) | instskip(NEXT) | instid1(VALU_DEP_1)
	v_fmac_f32_e32 v15, v16, v15
	v_mul_f32_e32 v16, v17, v15
	s_delay_alu instid0(VALU_DEP_1) | instskip(NEXT) | instid1(VALU_DEP_1)
	v_fma_f32 v19, -v14, v16, v17
	v_fmac_f32_e32 v16, v19, v15
	s_delay_alu instid0(VALU_DEP_1) | instskip(SKIP_1) | instid1(VALU_DEP_1)
	v_fma_f32 v14, -v14, v16, v17
	s_wait_alu 0xfffd
	v_div_fmas_f32 v14, v14, v15, v16
	s_delay_alu instid0(VALU_DEP_1) | instskip(NEXT) | instid1(VALU_DEP_1)
	v_div_fixup_f32 v14, v14, v2, v1
	v_fmac_f32_e32 v2, v1, v14
	s_delay_alu instid0(VALU_DEP_1) | instskip(NEXT) | instid1(VALU_DEP_1)
	v_div_scale_f32 v1, null, v2, v2, 1.0
	v_rcp_f32_e32 v15, v1
	s_delay_alu instid0(TRANS32_DEP_1) | instskip(NEXT) | instid1(VALU_DEP_1)
	v_fma_f32 v16, -v1, v15, 1.0
	v_fmac_f32_e32 v15, v16, v15
	v_div_scale_f32 v16, vcc_lo, 1.0, v2, 1.0
	s_delay_alu instid0(VALU_DEP_1) | instskip(NEXT) | instid1(VALU_DEP_1)
	v_mul_f32_e32 v17, v16, v15
	v_fma_f32 v19, -v1, v17, v16
	s_delay_alu instid0(VALU_DEP_1) | instskip(NEXT) | instid1(VALU_DEP_1)
	v_fmac_f32_e32 v17, v19, v15
	v_fma_f32 v1, -v1, v17, v16
	s_wait_alu 0xfffd
	s_delay_alu instid0(VALU_DEP_1) | instskip(NEXT) | instid1(VALU_DEP_1)
	v_div_fmas_f32 v1, v1, v15, v17
	v_div_fixup_f32 v1, v1, v2, 1.0
	s_delay_alu instid0(VALU_DEP_1) | instskip(SKIP_1) | instid1(VALU_DEP_2)
	v_mul_f32_e32 v14, v14, v1
	v_xor_b32_e32 v15, 0x80000000, v1
                                        ; implicit-def: $vgpr1_vgpr2
	v_xor_b32_e32 v16, 0x80000000, v14
.LBB68_15:
	s_wait_alu 0xfffe
	s_and_not1_saveexec_b32 s1, s1
	s_cbranch_execz .LBB68_17
; %bb.16:
	v_div_scale_f32 v14, null, v1, v1, v2
	v_div_scale_f32 v17, vcc_lo, v2, v1, v2
	s_delay_alu instid0(VALU_DEP_2) | instskip(NEXT) | instid1(TRANS32_DEP_1)
	v_rcp_f32_e32 v15, v14
	v_fma_f32 v16, -v14, v15, 1.0
	s_delay_alu instid0(VALU_DEP_1) | instskip(NEXT) | instid1(VALU_DEP_1)
	v_fmac_f32_e32 v15, v16, v15
	v_mul_f32_e32 v16, v17, v15
	s_delay_alu instid0(VALU_DEP_1) | instskip(NEXT) | instid1(VALU_DEP_1)
	v_fma_f32 v19, -v14, v16, v17
	v_fmac_f32_e32 v16, v19, v15
	s_delay_alu instid0(VALU_DEP_1) | instskip(SKIP_1) | instid1(VALU_DEP_1)
	v_fma_f32 v14, -v14, v16, v17
	s_wait_alu 0xfffd
	v_div_fmas_f32 v14, v14, v15, v16
	s_delay_alu instid0(VALU_DEP_1) | instskip(NEXT) | instid1(VALU_DEP_1)
	v_div_fixup_f32 v15, v14, v1, v2
	v_fmac_f32_e32 v1, v2, v15
	s_delay_alu instid0(VALU_DEP_1) | instskip(NEXT) | instid1(VALU_DEP_1)
	v_div_scale_f32 v2, null, v1, v1, 1.0
	v_rcp_f32_e32 v14, v2
	s_delay_alu instid0(TRANS32_DEP_1) | instskip(NEXT) | instid1(VALU_DEP_1)
	v_fma_f32 v16, -v2, v14, 1.0
	v_fmac_f32_e32 v14, v16, v14
	v_div_scale_f32 v17, vcc_lo, 1.0, v1, 1.0
	s_delay_alu instid0(VALU_DEP_1) | instskip(NEXT) | instid1(VALU_DEP_1)
	v_mul_f32_e32 v16, v17, v14
	v_fma_f32 v19, -v2, v16, v17
	s_delay_alu instid0(VALU_DEP_1) | instskip(NEXT) | instid1(VALU_DEP_1)
	v_fmac_f32_e32 v16, v19, v14
	v_fma_f32 v2, -v2, v16, v17
	s_wait_alu 0xfffd
	s_delay_alu instid0(VALU_DEP_1) | instskip(NEXT) | instid1(VALU_DEP_1)
	v_div_fmas_f32 v2, v2, v14, v16
	v_div_fixup_f32 v14, v2, v1, 1.0
	s_delay_alu instid0(VALU_DEP_1)
	v_xor_b32_e32 v16, 0x80000000, v14
	v_mul_f32_e64 v15, v15, -v14
.LBB68_17:
	s_wait_alu 0xfffe
	s_or_b32 exec_lo, exec_lo, s1
	scratch_store_b64 v18, v[14:15], off
	scratch_load_b64 v[19:20], off, off offset:8
	v_xor_b32_e32 v17, 0x80000000, v15
	v_add_nc_u32_e32 v1, 48, v3
	s_wait_loadcnt 0x0
	ds_store_2addr_b64 v3, v[16:17], v[19:20] offset1:6
	s_wait_storecnt_dscnt 0x0
	s_barrier_signal -1
	s_barrier_wait -1
	global_inv scope:SCOPE_SE
	s_and_saveexec_b32 s1, s0
	s_cbranch_execz .LBB68_19
; %bb.18:
	scratch_load_b64 v[14:15], v18, off
	ds_load_b64 v[16:17], v1
	v_mov_b32_e32 v2, 0
	ds_load_b64 v[19:20], v2 offset:8
	s_wait_loadcnt_dscnt 0x1
	v_mul_f32_e32 v2, v16, v15
	v_mul_f32_e32 v15, v17, v15
	s_delay_alu instid0(VALU_DEP_2) | instskip(NEXT) | instid1(VALU_DEP_2)
	v_fmac_f32_e32 v2, v17, v14
	v_fma_f32 v14, v16, v14, -v15
	s_delay_alu instid0(VALU_DEP_2) | instskip(NEXT) | instid1(VALU_DEP_2)
	v_add_f32_e32 v2, 0, v2
	v_add_f32_e32 v14, 0, v14
	s_wait_dscnt 0x0
	s_delay_alu instid0(VALU_DEP_2) | instskip(NEXT) | instid1(VALU_DEP_2)
	v_mul_f32_e32 v16, v2, v20
	v_mul_f32_e32 v15, v14, v20
	s_delay_alu instid0(VALU_DEP_1) | instskip(NEXT) | instid1(VALU_DEP_3)
	v_fmac_f32_e32 v15, v2, v19
	v_fma_f32 v14, v14, v19, -v16
	scratch_store_b64 off, v[14:15], off offset:8
.LBB68_19:
	s_wait_alu 0xfffe
	s_or_b32 exec_lo, exec_lo, s1
	s_wait_loadcnt 0x0
	s_wait_storecnt 0x0
	s_barrier_signal -1
	s_barrier_wait -1
	global_inv scope:SCOPE_SE
	scratch_load_b64 v[14:15], off, off offset:16
	s_mov_b32 s1, exec_lo
	s_wait_loadcnt 0x0
	ds_store_b64 v1, v[14:15]
	s_wait_dscnt 0x0
	s_barrier_signal -1
	s_barrier_wait -1
	global_inv scope:SCOPE_SE
	v_cmpx_gt_u32_e32 2, v0
	s_cbranch_execz .LBB68_23
; %bb.20:
	scratch_load_b64 v[14:15], v18, off
	ds_load_b64 v[16:17], v1
	s_wait_loadcnt_dscnt 0x0
	v_mul_f32_e32 v2, v17, v15
	s_delay_alu instid0(VALU_DEP_1) | instskip(SKIP_1) | instid1(VALU_DEP_1)
	v_fma_f32 v2, v16, v14, -v2
	v_mul_f32_e32 v15, v16, v15
	v_fmac_f32_e32 v15, v17, v14
	s_delay_alu instid0(VALU_DEP_3) | instskip(NEXT) | instid1(VALU_DEP_2)
	v_add_f32_e32 v14, 0, v2
	v_add_f32_e32 v2, 0, v15
	s_and_saveexec_b32 s4, s0
	s_cbranch_execz .LBB68_22
; %bb.21:
	scratch_load_b64 v[15:16], off, off offset:8
	v_mov_b32_e32 v17, 0
	ds_load_b64 v[19:20], v17 offset:56
	s_wait_loadcnt_dscnt 0x0
	v_mul_f32_e32 v17, v19, v16
	v_mul_f32_e32 v16, v20, v16
	s_delay_alu instid0(VALU_DEP_2) | instskip(NEXT) | instid1(VALU_DEP_2)
	v_fmac_f32_e32 v17, v20, v15
	v_fma_f32 v15, v19, v15, -v16
	s_delay_alu instid0(VALU_DEP_2) | instskip(NEXT) | instid1(VALU_DEP_2)
	v_add_f32_e32 v2, v2, v17
	v_add_f32_e32 v14, v14, v15
.LBB68_22:
	s_wait_alu 0xfffe
	s_or_b32 exec_lo, exec_lo, s4
	v_mov_b32_e32 v15, 0
	ds_load_b64 v[15:16], v15 offset:16
	s_wait_dscnt 0x0
	v_mul_f32_e32 v19, v2, v16
	v_mul_f32_e32 v17, v14, v16
	s_delay_alu instid0(VALU_DEP_2) | instskip(NEXT) | instid1(VALU_DEP_2)
	v_fma_f32 v16, v14, v15, -v19
	v_fmac_f32_e32 v17, v2, v15
	scratch_store_b64 off, v[16:17], off offset:16
.LBB68_23:
	s_wait_alu 0xfffe
	s_or_b32 exec_lo, exec_lo, s1
	s_wait_loadcnt 0x0
	s_wait_storecnt 0x0
	s_barrier_signal -1
	s_barrier_wait -1
	global_inv scope:SCOPE_SE
	scratch_load_b64 v[14:15], off, off offset:24
	v_add_nc_u32_e32 v2, -1, v0
	s_mov_b32 s0, exec_lo
	s_wait_loadcnt 0x0
	ds_store_b64 v1, v[14:15]
	s_wait_dscnt 0x0
	s_barrier_signal -1
	s_barrier_wait -1
	global_inv scope:SCOPE_SE
	v_cmpx_gt_u32_e32 3, v0
	s_cbranch_execz .LBB68_27
; %bb.24:
	v_add_nc_u32_e32 v14, -1, v0
	v_dual_mov_b32 v16, v3 :: v_dual_add_nc_u32 v15, 48, v3
	v_mov_b32_e32 v3, 0
	v_mov_b32_e32 v17, 0
	s_mov_b32 s1, 0
.LBB68_25:                              ; =>This Inner Loop Header: Depth=1
	scratch_load_b64 v[19:20], v16, off
	ds_load_b64 v[21:22], v15
	v_add_nc_u32_e32 v16, 8, v16
	v_add_nc_u32_e32 v14, 1, v14
	;; [unrolled: 1-line block ×3, first 2 shown]
	s_delay_alu instid0(VALU_DEP_2)
	v_cmp_lt_u32_e32 vcc_lo, 1, v14
	s_wait_alu 0xfffe
	s_or_b32 s1, vcc_lo, s1
	s_wait_loadcnt_dscnt 0x0
	v_mul_f32_e32 v23, v22, v20
	v_mul_f32_e32 v20, v21, v20
	s_delay_alu instid0(VALU_DEP_2) | instskip(NEXT) | instid1(VALU_DEP_1)
	v_fma_f32 v21, v21, v19, -v23
	v_dual_fmac_f32 v20, v22, v19 :: v_dual_add_f32 v17, v17, v21
	s_delay_alu instid0(VALU_DEP_1)
	v_add_f32_e32 v3, v3, v20
	s_wait_alu 0xfffe
	s_and_not1_b32 exec_lo, exec_lo, s1
	s_cbranch_execnz .LBB68_25
; %bb.26:
	s_or_b32 exec_lo, exec_lo, s1
	v_mov_b32_e32 v14, 0
	ds_load_b64 v[14:15], v14 offset:24
	s_wait_dscnt 0x0
	v_mul_f32_e32 v19, v3, v15
	v_mul_f32_e32 v16, v17, v15
	s_delay_alu instid0(VALU_DEP_2) | instskip(NEXT) | instid1(VALU_DEP_2)
	v_fma_f32 v15, v17, v14, -v19
	v_fmac_f32_e32 v16, v3, v14
	scratch_store_b64 off, v[15:16], off offset:24
.LBB68_27:
	s_wait_alu 0xfffe
	s_or_b32 exec_lo, exec_lo, s0
	s_wait_loadcnt 0x0
	s_wait_storecnt 0x0
	s_barrier_signal -1
	s_barrier_wait -1
	global_inv scope:SCOPE_SE
	scratch_load_b64 v[14:15], off, off offset:32
	s_mov_b32 s0, exec_lo
	s_wait_loadcnt 0x0
	ds_store_b64 v1, v[14:15]
	s_wait_dscnt 0x0
	s_barrier_signal -1
	s_barrier_wait -1
	global_inv scope:SCOPE_SE
	v_cmpx_ne_u32_e32 4, v0
	s_cbranch_execz .LBB68_31
; %bb.28:
	v_dual_mov_b32 v3, 0 :: v_dual_mov_b32 v14, 0
	s_mov_b32 s1, 0
.LBB68_29:                              ; =>This Inner Loop Header: Depth=1
	scratch_load_b64 v[15:16], v18, off
	ds_load_b64 v[19:20], v1
	v_add_nc_u32_e32 v2, 1, v2
	v_add_nc_u32_e32 v1, 8, v1
	s_delay_alu instid0(VALU_DEP_2)
	v_cmp_lt_u32_e32 vcc_lo, 2, v2
	s_wait_alu 0xfffe
	s_or_b32 s1, vcc_lo, s1
	s_wait_loadcnt_dscnt 0x0
	v_mul_f32_e32 v17, v20, v16
	v_mul_f32_e32 v16, v19, v16
	s_delay_alu instid0(VALU_DEP_2) | instskip(NEXT) | instid1(VALU_DEP_2)
	v_fma_f32 v17, v19, v15, -v17
	v_fmac_f32_e32 v16, v20, v15
	v_add_nc_u32_e32 v18, 8, v18
	s_delay_alu instid0(VALU_DEP_2)
	v_dual_add_f32 v14, v14, v17 :: v_dual_add_f32 v3, v3, v16
	s_wait_alu 0xfffe
	s_and_not1_b32 exec_lo, exec_lo, s1
	s_cbranch_execnz .LBB68_29
; %bb.30:
	s_or_b32 exec_lo, exec_lo, s1
	v_mov_b32_e32 v1, 0
	ds_load_b64 v[1:2], v1 offset:32
	s_wait_dscnt 0x0
	v_mul_f32_e32 v16, v3, v2
	v_mul_f32_e32 v15, v14, v2
	s_delay_alu instid0(VALU_DEP_2) | instskip(NEXT) | instid1(VALU_DEP_2)
	v_fma_f32 v14, v14, v1, -v16
	v_fmac_f32_e32 v15, v3, v1
	scratch_store_b64 off, v[14:15], off offset:32
.LBB68_31:
	s_wait_alu 0xfffe
	s_or_b32 exec_lo, exec_lo, s0
	s_mov_b32 s1, -1
	s_wait_loadcnt 0x0
	s_wait_storecnt 0x0
	s_barrier_signal -1
	s_barrier_wait -1
	global_inv scope:SCOPE_SE
.LBB68_32:
	s_wait_alu 0xfffe
	s_and_b32 vcc_lo, exec_lo, s1
	s_wait_alu 0xfffe
	s_cbranch_vccz .LBB68_34
; %bb.33:
	v_mov_b32_e32 v1, 0
	s_lshl_b64 s[0:1], s[8:9], 2
	s_wait_alu 0xfffe
	s_add_nc_u64 s[0:1], s[6:7], s[0:1]
	global_load_b32 v1, v1, s[0:1]
	s_wait_loadcnt 0x0
	v_cmp_ne_u32_e32 vcc_lo, 0, v1
	s_cbranch_vccz .LBB68_35
.LBB68_34:
	s_endpgm
.LBB68_35:
	v_lshl_add_u32 v3, v0, 3, 48
	s_mov_b32 s0, exec_lo
	v_cmpx_eq_u32_e32 4, v0
	s_cbranch_execz .LBB68_37
; %bb.36:
	scratch_load_b64 v[1:2], off, off offset:24
	v_mov_b32_e32 v14, 0
	s_delay_alu instid0(VALU_DEP_1)
	v_mov_b32_e32 v15, v14
	scratch_store_b64 off, v[14:15], off offset:24
	s_wait_loadcnt 0x0
	ds_store_b64 v3, v[1:2]
.LBB68_37:
	s_wait_alu 0xfffe
	s_or_b32 exec_lo, exec_lo, s0
	s_wait_storecnt_dscnt 0x0
	s_barrier_signal -1
	s_barrier_wait -1
	global_inv scope:SCOPE_SE
	s_clause 0x1
	scratch_load_b64 v[14:15], off, off offset:32
	scratch_load_b64 v[16:17], off, off offset:24
	v_mov_b32_e32 v1, 0
	s_mov_b32 s0, exec_lo
	ds_load_b64 v[18:19], v1 offset:80
	s_wait_loadcnt_dscnt 0x100
	v_mul_f32_e32 v2, v19, v15
	s_delay_alu instid0(VALU_DEP_1) | instskip(NEXT) | instid1(VALU_DEP_1)
	v_fma_f32 v2, v18, v14, -v2
	v_dual_mul_f32 v15, v18, v15 :: v_dual_add_f32 v2, 0, v2
	s_delay_alu instid0(VALU_DEP_1) | instskip(SKIP_1) | instid1(VALU_DEP_1)
	v_fmac_f32_e32 v15, v19, v14
	s_wait_loadcnt 0x0
	v_dual_sub_f32 v14, v16, v2 :: v_dual_add_f32 v15, 0, v15
	s_delay_alu instid0(VALU_DEP_1)
	v_sub_f32_e32 v15, v17, v15
	scratch_store_b64 off, v[14:15], off offset:24
	v_cmpx_lt_u32_e32 2, v0
	s_cbranch_execz .LBB68_39
; %bb.38:
	scratch_load_b64 v[14:15], off, off offset:16
	v_mov_b32_e32 v2, v1
	scratch_store_b64 off, v[1:2], off offset:16
	s_wait_loadcnt 0x0
	ds_store_b64 v3, v[14:15]
.LBB68_39:
	s_wait_alu 0xfffe
	s_or_b32 exec_lo, exec_lo, s0
	s_wait_storecnt_dscnt 0x0
	s_barrier_signal -1
	s_barrier_wait -1
	global_inv scope:SCOPE_SE
	s_clause 0x1
	scratch_load_b128 v[14:17], off, off offset:24
	scratch_load_b64 v[22:23], off, off offset:16
	ds_load_2addr_b64 v[18:21], v1 offset0:9 offset1:10
	s_mov_b32 s0, exec_lo
	s_wait_loadcnt_dscnt 0x100
	v_mul_f32_e32 v2, v18, v15
	s_delay_alu instid0(VALU_DEP_1) | instskip(SKIP_2) | instid1(VALU_DEP_1)
	v_fmac_f32_e32 v2, v19, v14
	v_mul_f32_e32 v1, v19, v15
	v_mul_f32_e32 v15, v20, v17
	v_dual_fmac_f32 v15, v21, v16 :: v_dual_add_f32 v2, 0, v2
	v_mul_f32_e32 v17, v21, v17
	s_delay_alu instid0(VALU_DEP_4) | instskip(NEXT) | instid1(VALU_DEP_3)
	v_fma_f32 v1, v18, v14, -v1
	v_add_f32_e32 v2, v2, v15
	s_delay_alu instid0(VALU_DEP_3) | instskip(SKIP_1) | instid1(VALU_DEP_2)
	v_fma_f32 v14, v20, v16, -v17
	s_wait_loadcnt 0x0
	v_dual_add_f32 v1, 0, v1 :: v_dual_sub_f32 v2, v23, v2
	s_delay_alu instid0(VALU_DEP_1) | instskip(NEXT) | instid1(VALU_DEP_1)
	v_add_f32_e32 v1, v1, v14
	v_sub_f32_e32 v1, v22, v1
	scratch_store_b64 off, v[1:2], off offset:16
	v_cmpx_lt_u32_e32 1, v0
	s_cbranch_execz .LBB68_41
; %bb.40:
	scratch_load_b64 v[1:2], off, off offset:8
	v_mov_b32_e32 v14, 0
	s_delay_alu instid0(VALU_DEP_1)
	v_mov_b32_e32 v15, v14
	scratch_store_b64 off, v[14:15], off offset:8
	s_wait_loadcnt 0x0
	ds_store_b64 v3, v[1:2]
.LBB68_41:
	s_wait_alu 0xfffe
	s_or_b32 exec_lo, exec_lo, s0
	s_wait_storecnt_dscnt 0x0
	s_barrier_signal -1
	s_barrier_wait -1
	global_inv scope:SCOPE_SE
	s_clause 0x2
	scratch_load_b128 v[15:18], off, off offset:16
	scratch_load_b64 v[1:2], off, off offset:32
	scratch_load_b64 v[23:24], off, off offset:8
	v_mov_b32_e32 v14, 0
	ds_load_b128 v[19:22], v14 offset:64
	ds_load_b64 v[25:26], v14 offset:80
	s_mov_b32 s0, exec_lo
	s_wait_loadcnt_dscnt 0x201
	v_mul_f32_e32 v27, v20, v16
	s_wait_loadcnt_dscnt 0x100
	v_dual_mul_f32 v16, v19, v16 :: v_dual_mul_f32 v29, v25, v2
	v_mul_f32_e32 v2, v26, v2
	s_delay_alu instid0(VALU_DEP_3) | instskip(SKIP_1) | instid1(VALU_DEP_4)
	v_fma_f32 v19, v19, v15, -v27
	v_mul_f32_e32 v28, v21, v18
	v_dual_fmac_f32 v16, v20, v15 :: v_dual_fmac_f32 v29, v26, v1
	s_delay_alu instid0(VALU_DEP_4) | instskip(NEXT) | instid1(VALU_DEP_3)
	v_fma_f32 v1, v25, v1, -v2
	v_fmac_f32_e32 v28, v22, v17
	s_delay_alu instid0(VALU_DEP_3) | instskip(SKIP_1) | instid1(VALU_DEP_1)
	v_add_f32_e32 v16, 0, v16
	v_mul_f32_e32 v18, v22, v18
	v_fma_f32 v15, v21, v17, -v18
	v_add_f32_e32 v17, 0, v19
	s_delay_alu instid0(VALU_DEP_1) | instskip(NEXT) | instid1(VALU_DEP_1)
	v_add_f32_e32 v2, v17, v15
	v_add_f32_e32 v1, v2, v1
	;; [unrolled: 1-line block ×3, first 2 shown]
	s_wait_loadcnt 0x0
	s_delay_alu instid0(VALU_DEP_2) | instskip(NEXT) | instid1(VALU_DEP_2)
	v_sub_f32_e32 v1, v23, v1
	v_add_f32_e32 v2, v15, v29
	s_delay_alu instid0(VALU_DEP_1)
	v_sub_f32_e32 v2, v24, v2
	scratch_store_b64 off, v[1:2], off offset:8
	v_cmpx_ne_u32_e32 0, v0
	s_cbranch_execz .LBB68_43
; %bb.42:
	scratch_load_b64 v[0:1], off, off
	v_mov_b32_e32 v15, v14
	scratch_store_b64 off, v[14:15], off
	s_wait_loadcnt 0x0
	ds_store_b64 v3, v[0:1]
.LBB68_43:
	s_wait_alu 0xfffe
	s_or_b32 exec_lo, exec_lo, s0
	s_wait_storecnt_dscnt 0x0
	s_barrier_signal -1
	s_barrier_wait -1
	global_inv scope:SCOPE_SE
	s_clause 0x2
	scratch_load_b128 v[15:18], off, off offset:8
	scratch_load_b128 v[0:3], off, off offset:24
	scratch_load_b64 v[27:28], off, off
	ds_load_2addr_b64 v[19:22], v14 offset0:7 offset1:8
	ds_load_2addr_b64 v[23:26], v14 offset0:9 offset1:10
	s_and_b32 vcc_lo, exec_lo, s12
	s_wait_loadcnt_dscnt 0x201
	v_dual_mul_f32 v14, v19, v16 :: v_dual_mul_f32 v29, v21, v18
	s_wait_loadcnt_dscnt 0x100
	v_dual_mul_f32 v16, v20, v16 :: v_dual_mul_f32 v31, v25, v3
	v_mul_f32_e32 v18, v22, v18
	s_delay_alu instid0(VALU_DEP_3) | instskip(NEXT) | instid1(VALU_DEP_3)
	v_dual_fmac_f32 v14, v20, v15 :: v_dual_fmac_f32 v29, v22, v17
	v_fma_f32 v16, v19, v15, -v16
	v_mul_f32_e32 v15, v24, v1
	s_delay_alu instid0(VALU_DEP_4) | instskip(SKIP_1) | instid1(VALU_DEP_4)
	v_fma_f32 v17, v21, v17, -v18
	v_dual_mul_f32 v30, v23, v1 :: v_dual_mul_f32 v3, v26, v3
	v_dual_add_f32 v16, 0, v16 :: v_dual_fmac_f32 v31, v26, v2
	s_delay_alu instid0(VALU_DEP_4) | instskip(NEXT) | instid1(VALU_DEP_3)
	v_fma_f32 v15, v23, v0, -v15
	v_fmac_f32_e32 v30, v24, v0
	s_delay_alu instid0(VALU_DEP_4) | instskip(NEXT) | instid1(VALU_DEP_4)
	v_fma_f32 v2, v25, v2, -v3
	v_add_f32_e32 v16, v16, v17
	s_delay_alu instid0(VALU_DEP_1) | instskip(NEXT) | instid1(VALU_DEP_1)
	v_dual_add_f32 v14, 0, v14 :: v_dual_add_f32 v3, v16, v15
	v_add_f32_e32 v14, v14, v29
	s_delay_alu instid0(VALU_DEP_2) | instskip(NEXT) | instid1(VALU_DEP_2)
	v_add_f32_e32 v2, v3, v2
	v_add_f32_e32 v14, v14, v30
	s_wait_loadcnt 0x0
	s_delay_alu instid0(VALU_DEP_1) | instskip(NEXT) | instid1(VALU_DEP_1)
	v_dual_sub_f32 v2, v27, v2 :: v_dual_add_f32 v3, v14, v31
	v_sub_f32_e32 v3, v28, v3
	scratch_store_b64 off, v[2:3], off
	s_wait_alu 0xfffe
	s_cbranch_vccz .LBB68_52
; %bb.44:
	v_mov_b32_e32 v2, 0
	global_load_b32 v3, v2, s[2:3] offset:12
	s_wait_loadcnt 0x0
	v_cmp_ne_u32_e32 vcc_lo, 4, v3
	s_cbranch_vccz .LBB68_46
; %bb.45:
	v_lshlrev_b32_e32 v3, 3, v3
	scratch_load_b64 v[14:15], v3, off offset:-8
	s_wait_loadcnt 0x0
	scratch_store_b64 off, v[14:15], off offset:24
	scratch_store_b64 v3, v[0:1], off offset:-8
.LBB68_46:
	global_load_b32 v0, v2, s[2:3] offset:8
	s_wait_loadcnt 0x0
	v_cmp_eq_u32_e32 vcc_lo, 3, v0
	s_cbranch_vccnz .LBB68_48
; %bb.47:
	v_lshlrev_b32_e32 v0, 3, v0
	s_delay_alu instid0(VALU_DEP_1)
	v_mov_b32_e32 v14, v0
	scratch_load_b64 v[0:1], v14, off offset:-8
	scratch_load_b64 v[2:3], off, off offset:16
	s_wait_loadcnt 0x1
	scratch_store_b64 off, v[0:1], off offset:16
	s_wait_loadcnt 0x0
	scratch_store_b64 v14, v[2:3], off offset:-8
.LBB68_48:
	v_mov_b32_e32 v0, 0
	global_load_b32 v1, v0, s[2:3] offset:4
	s_wait_loadcnt 0x0
	v_cmp_eq_u32_e32 vcc_lo, 2, v1
	s_cbranch_vccnz .LBB68_50
; %bb.49:
	v_lshlrev_b32_e32 v1, 3, v1
	s_delay_alu instid0(VALU_DEP_1)
	v_mov_b32_e32 v3, v1
	scratch_load_b64 v[1:2], v3, off offset:-8
	scratch_load_b64 v[14:15], off, off offset:8
	s_wait_loadcnt 0x1
	scratch_store_b64 off, v[1:2], off offset:8
	s_wait_loadcnt 0x0
	scratch_store_b64 v3, v[14:15], off offset:-8
.LBB68_50:
	global_load_b32 v0, v0, s[2:3]
	s_wait_loadcnt 0x0
	v_cmp_eq_u32_e32 vcc_lo, 1, v0
	s_cbranch_vccnz .LBB68_52
; %bb.51:
	v_lshlrev_b32_e32 v0, 3, v0
	s_delay_alu instid0(VALU_DEP_1)
	v_mov_b32_e32 v14, v0
	scratch_load_b64 v[0:1], v14, off offset:-8
	scratch_load_b64 v[2:3], off, off
	s_wait_loadcnt 0x1
	scratch_store_b64 off, v[0:1], off
	s_wait_loadcnt 0x0
	scratch_store_b64 v14, v[2:3], off offset:-8
.LBB68_52:
	scratch_load_b64 v[0:1], off, off
	s_wait_loadcnt 0x0
	flat_store_b64 v[4:5], v[0:1]
	scratch_load_b64 v[0:1], off, off offset:8
	s_wait_loadcnt 0x0
	flat_store_b64 v[6:7], v[0:1]
	scratch_load_b64 v[0:1], off, off offset:16
	;; [unrolled: 3-line block ×4, first 2 shown]
	s_wait_loadcnt 0x0
	flat_store_b64 v[12:13], v[0:1]
	s_endpgm
	.section	.rodata,"a",@progbits
	.p2align	6, 0x0
	.amdhsa_kernel _ZN9rocsolver6v33100L18getri_kernel_smallILi5E19rocblas_complex_numIfEPKPS3_EEvT1_iilPiilS8_bb
		.amdhsa_group_segment_fixed_size 88
		.amdhsa_private_segment_fixed_size 48
		.amdhsa_kernarg_size 60
		.amdhsa_user_sgpr_count 2
		.amdhsa_user_sgpr_dispatch_ptr 0
		.amdhsa_user_sgpr_queue_ptr 0
		.amdhsa_user_sgpr_kernarg_segment_ptr 1
		.amdhsa_user_sgpr_dispatch_id 0
		.amdhsa_user_sgpr_private_segment_size 0
		.amdhsa_wavefront_size32 1
		.amdhsa_uses_dynamic_stack 0
		.amdhsa_enable_private_segment 1
		.amdhsa_system_sgpr_workgroup_id_x 1
		.amdhsa_system_sgpr_workgroup_id_y 0
		.amdhsa_system_sgpr_workgroup_id_z 0
		.amdhsa_system_sgpr_workgroup_info 0
		.amdhsa_system_vgpr_workitem_id 0
		.amdhsa_next_free_vgpr 32
		.amdhsa_next_free_sgpr 19
		.amdhsa_reserve_vcc 1
		.amdhsa_float_round_mode_32 0
		.amdhsa_float_round_mode_16_64 0
		.amdhsa_float_denorm_mode_32 3
		.amdhsa_float_denorm_mode_16_64 3
		.amdhsa_fp16_overflow 0
		.amdhsa_workgroup_processor_mode 1
		.amdhsa_memory_ordered 1
		.amdhsa_forward_progress 1
		.amdhsa_inst_pref_size 32
		.amdhsa_round_robin_scheduling 0
		.amdhsa_exception_fp_ieee_invalid_op 0
		.amdhsa_exception_fp_denorm_src 0
		.amdhsa_exception_fp_ieee_div_zero 0
		.amdhsa_exception_fp_ieee_overflow 0
		.amdhsa_exception_fp_ieee_underflow 0
		.amdhsa_exception_fp_ieee_inexact 0
		.amdhsa_exception_int_div_zero 0
	.end_amdhsa_kernel
	.section	.text._ZN9rocsolver6v33100L18getri_kernel_smallILi5E19rocblas_complex_numIfEPKPS3_EEvT1_iilPiilS8_bb,"axG",@progbits,_ZN9rocsolver6v33100L18getri_kernel_smallILi5E19rocblas_complex_numIfEPKPS3_EEvT1_iilPiilS8_bb,comdat
.Lfunc_end68:
	.size	_ZN9rocsolver6v33100L18getri_kernel_smallILi5E19rocblas_complex_numIfEPKPS3_EEvT1_iilPiilS8_bb, .Lfunc_end68-_ZN9rocsolver6v33100L18getri_kernel_smallILi5E19rocblas_complex_numIfEPKPS3_EEvT1_iilPiilS8_bb
                                        ; -- End function
	.set _ZN9rocsolver6v33100L18getri_kernel_smallILi5E19rocblas_complex_numIfEPKPS3_EEvT1_iilPiilS8_bb.num_vgpr, 32
	.set _ZN9rocsolver6v33100L18getri_kernel_smallILi5E19rocblas_complex_numIfEPKPS3_EEvT1_iilPiilS8_bb.num_agpr, 0
	.set _ZN9rocsolver6v33100L18getri_kernel_smallILi5E19rocblas_complex_numIfEPKPS3_EEvT1_iilPiilS8_bb.numbered_sgpr, 19
	.set _ZN9rocsolver6v33100L18getri_kernel_smallILi5E19rocblas_complex_numIfEPKPS3_EEvT1_iilPiilS8_bb.num_named_barrier, 0
	.set _ZN9rocsolver6v33100L18getri_kernel_smallILi5E19rocblas_complex_numIfEPKPS3_EEvT1_iilPiilS8_bb.private_seg_size, 48
	.set _ZN9rocsolver6v33100L18getri_kernel_smallILi5E19rocblas_complex_numIfEPKPS3_EEvT1_iilPiilS8_bb.uses_vcc, 1
	.set _ZN9rocsolver6v33100L18getri_kernel_smallILi5E19rocblas_complex_numIfEPKPS3_EEvT1_iilPiilS8_bb.uses_flat_scratch, 1
	.set _ZN9rocsolver6v33100L18getri_kernel_smallILi5E19rocblas_complex_numIfEPKPS3_EEvT1_iilPiilS8_bb.has_dyn_sized_stack, 0
	.set _ZN9rocsolver6v33100L18getri_kernel_smallILi5E19rocblas_complex_numIfEPKPS3_EEvT1_iilPiilS8_bb.has_recursion, 0
	.set _ZN9rocsolver6v33100L18getri_kernel_smallILi5E19rocblas_complex_numIfEPKPS3_EEvT1_iilPiilS8_bb.has_indirect_call, 0
	.section	.AMDGPU.csdata,"",@progbits
; Kernel info:
; codeLenInByte = 4012
; TotalNumSgprs: 21
; NumVgprs: 32
; ScratchSize: 48
; MemoryBound: 0
; FloatMode: 240
; IeeeMode: 1
; LDSByteSize: 88 bytes/workgroup (compile time only)
; SGPRBlocks: 0
; VGPRBlocks: 3
; NumSGPRsForWavesPerEU: 21
; NumVGPRsForWavesPerEU: 32
; Occupancy: 16
; WaveLimiterHint : 1
; COMPUTE_PGM_RSRC2:SCRATCH_EN: 1
; COMPUTE_PGM_RSRC2:USER_SGPR: 2
; COMPUTE_PGM_RSRC2:TRAP_HANDLER: 0
; COMPUTE_PGM_RSRC2:TGID_X_EN: 1
; COMPUTE_PGM_RSRC2:TGID_Y_EN: 0
; COMPUTE_PGM_RSRC2:TGID_Z_EN: 0
; COMPUTE_PGM_RSRC2:TIDIG_COMP_CNT: 0
	.section	.text._ZN9rocsolver6v33100L18getri_kernel_smallILi6E19rocblas_complex_numIfEPKPS3_EEvT1_iilPiilS8_bb,"axG",@progbits,_ZN9rocsolver6v33100L18getri_kernel_smallILi6E19rocblas_complex_numIfEPKPS3_EEvT1_iilPiilS8_bb,comdat
	.globl	_ZN9rocsolver6v33100L18getri_kernel_smallILi6E19rocblas_complex_numIfEPKPS3_EEvT1_iilPiilS8_bb ; -- Begin function _ZN9rocsolver6v33100L18getri_kernel_smallILi6E19rocblas_complex_numIfEPKPS3_EEvT1_iilPiilS8_bb
	.p2align	8
	.type	_ZN9rocsolver6v33100L18getri_kernel_smallILi6E19rocblas_complex_numIfEPKPS3_EEvT1_iilPiilS8_bb,@function
_ZN9rocsolver6v33100L18getri_kernel_smallILi6E19rocblas_complex_numIfEPKPS3_EEvT1_iilPiilS8_bb: ; @_ZN9rocsolver6v33100L18getri_kernel_smallILi6E19rocblas_complex_numIfEPKPS3_EEvT1_iilPiilS8_bb
; %bb.0:
	s_mov_b32 s2, exec_lo
	v_cmpx_gt_u32_e32 6, v0
	s_cbranch_execz .LBB69_38
; %bb.1:
	s_clause 0x1
	s_load_b32 s13, s[0:1], 0x38
	s_load_b64 s[2:3], s[0:1], 0x0
	s_mov_b32 s8, ttmp9
	s_load_b128 s[4:7], s[0:1], 0x28
	s_wait_kmcnt 0x0
	s_bitcmp1_b32 s13, 8
	s_cselect_b32 s12, -1, 0
	s_ashr_i32 s9, ttmp9, 31
	s_delay_alu instid0(SALU_CYCLE_1) | instskip(NEXT) | instid1(SALU_CYCLE_1)
	s_lshl_b64 s[10:11], s[8:9], 3
	s_add_nc_u64 s[2:3], s[2:3], s[10:11]
	s_load_b64 s[10:11], s[2:3], 0x0
	s_bfe_u32 s2, s13, 0x10008
	s_delay_alu instid0(SALU_CYCLE_1)
	s_cmp_eq_u32 s2, 0
                                        ; implicit-def: $sgpr2_sgpr3
	s_cbranch_scc1 .LBB69_3
; %bb.2:
	s_load_b96 s[16:18], s[0:1], 0x18
	s_mul_u64 s[2:3], s[4:5], s[8:9]
	s_delay_alu instid0(SALU_CYCLE_1)
	s_lshl_b64 s[2:3], s[2:3], 2
	s_wait_kmcnt 0x0
	s_ashr_i32 s5, s18, 31
	s_mov_b32 s4, s18
	s_add_nc_u64 s[2:3], s[16:17], s[2:3]
	s_lshl_b64 s[4:5], s[4:5], 2
	s_delay_alu instid0(SALU_CYCLE_1)
	s_add_nc_u64 s[2:3], s[2:3], s[4:5]
.LBB69_3:
	s_clause 0x1
	s_load_b64 s[4:5], s[0:1], 0x8
	s_load_b32 s13, s[0:1], 0x38
	v_lshlrev_b32_e32 v3, 3, v0
	s_wait_kmcnt 0x0
	s_ashr_i32 s1, s4, 31
	s_mov_b32 s0, s4
	v_add3_u32 v10, s5, s5, v0
	s_lshl_b64 s[0:1], s[0:1], 3
	s_delay_alu instid0(SALU_CYCLE_1)
	s_add_nc_u64 s[0:1], s[10:11], s[0:1]
	s_ashr_i32 s11, s5, 31
	v_add_co_u32 v4, s4, s0, v3
	s_wait_alu 0xf1ff
	v_add_co_ci_u32_e64 v5, null, s1, 0, s4
	s_mov_b32 s10, s5
	v_ashrrev_i32_e32 v11, 31, v10
	s_lshl_b64 s[10:11], s[10:11], 3
	flat_load_b64 v[1:2], v[4:5]
	v_add_co_u32 v6, vcc_lo, v4, s10
	s_delay_alu instid0(VALU_DEP_1) | instskip(SKIP_3) | instid1(VALU_DEP_2)
	v_add_co_ci_u32_e64 v7, null, s11, v5, vcc_lo
	v_lshlrev_b64_e32 v[8:9], 3, v[10:11]
	v_add_nc_u32_e32 v12, s5, v10
	s_bitcmp0_b32 s13, 0
	v_add_co_u32 v8, vcc_lo, s0, v8
	s_wait_alu 0xfffd
	s_delay_alu instid0(VALU_DEP_3) | instskip(SKIP_2) | instid1(VALU_DEP_2)
	v_add_co_ci_u32_e64 v9, null, s1, v9, vcc_lo
	v_ashrrev_i32_e32 v13, 31, v12
	v_add_nc_u32_e32 v14, s5, v12
	v_lshlrev_b64_e32 v[10:11], 3, v[12:13]
	s_delay_alu instid0(VALU_DEP_2) | instskip(NEXT) | instid1(VALU_DEP_2)
	v_ashrrev_i32_e32 v15, 31, v14
	v_add_co_u32 v10, vcc_lo, s0, v10
	s_wait_alu 0xfffd
	s_delay_alu instid0(VALU_DEP_3) | instskip(NEXT) | instid1(VALU_DEP_3)
	v_add_co_ci_u32_e64 v11, null, s1, v11, vcc_lo
	v_lshlrev_b64_e32 v[12:13], 3, v[14:15]
	v_add_nc_u32_e32 v14, s5, v14
	s_delay_alu instid0(VALU_DEP_2) | instskip(SKIP_1) | instid1(VALU_DEP_3)
	v_add_co_u32 v12, vcc_lo, s0, v12
	s_wait_alu 0xfffd
	v_add_co_ci_u32_e64 v13, null, s1, v13, vcc_lo
	s_delay_alu instid0(VALU_DEP_3) | instskip(NEXT) | instid1(VALU_DEP_1)
	v_ashrrev_i32_e32 v15, 31, v14
	v_lshlrev_b64_e32 v[14:15], 3, v[14:15]
	s_delay_alu instid0(VALU_DEP_1) | instskip(SKIP_1) | instid1(VALU_DEP_2)
	v_add_co_u32 v14, vcc_lo, s0, v14
	s_wait_alu 0xfffd
	v_add_co_ci_u32_e64 v15, null, s1, v15, vcc_lo
	s_mov_b32 s1, -1
	s_wait_loadcnt_dscnt 0x0
	scratch_store_b64 off, v[1:2], off
	flat_load_b64 v[1:2], v[6:7]
	s_wait_loadcnt_dscnt 0x0
	scratch_store_b64 off, v[1:2], off offset:8
	flat_load_b64 v[1:2], v[8:9]
	s_wait_loadcnt_dscnt 0x0
	scratch_store_b64 off, v[1:2], off offset:16
	;; [unrolled: 3-line block ×5, first 2 shown]
	s_cbranch_scc1 .LBB69_36
; %bb.4:
	v_cmp_eq_u32_e64 s0, 0, v0
	s_and_saveexec_b32 s1, s0
; %bb.5:
	v_mov_b32_e32 v1, 0
	ds_store_b32 v1, v1 offset:96
; %bb.6:
	s_wait_alu 0xfffe
	s_or_b32 exec_lo, exec_lo, s1
	s_wait_storecnt_dscnt 0x0
	s_barrier_signal -1
	s_barrier_wait -1
	global_inv scope:SCOPE_SE
	scratch_load_b64 v[1:2], v3, off
	s_wait_loadcnt 0x0
	v_cmp_eq_f32_e32 vcc_lo, 0, v1
	v_cmp_eq_f32_e64 s1, 0, v2
	s_and_b32 s1, vcc_lo, s1
	s_wait_alu 0xfffe
	s_and_saveexec_b32 s4, s1
	s_cbranch_execz .LBB69_10
; %bb.7:
	v_mov_b32_e32 v1, 0
	s_mov_b32 s5, 0
	ds_load_b32 v2, v1 offset:96
	s_wait_dscnt 0x0
	v_readfirstlane_b32 s1, v2
	v_add_nc_u32_e32 v2, 1, v0
	s_cmp_eq_u32 s1, 0
	s_delay_alu instid0(VALU_DEP_1)
	v_cmp_gt_i32_e32 vcc_lo, s1, v2
	s_cselect_b32 s10, -1, 0
	s_wait_alu 0xfffe
	s_or_b32 s10, s10, vcc_lo
	s_wait_alu 0xfffe
	s_and_b32 exec_lo, exec_lo, s10
	s_cbranch_execz .LBB69_10
; %bb.8:
	v_mov_b32_e32 v16, s1
.LBB69_9:                               ; =>This Inner Loop Header: Depth=1
	ds_cmpstore_rtn_b32 v16, v1, v2, v16 offset:96
	s_wait_dscnt 0x0
	v_cmp_ne_u32_e32 vcc_lo, 0, v16
	v_cmp_le_i32_e64 s1, v16, v2
	s_and_b32 s1, vcc_lo, s1
	s_wait_alu 0xfffe
	s_and_b32 s1, exec_lo, s1
	s_wait_alu 0xfffe
	s_or_b32 s5, s1, s5
	s_wait_alu 0xfffe
	s_and_not1_b32 exec_lo, exec_lo, s5
	s_cbranch_execnz .LBB69_9
.LBB69_10:
	s_wait_alu 0xfffe
	s_or_b32 exec_lo, exec_lo, s4
	v_mov_b32_e32 v1, 0
	s_barrier_signal -1
	s_barrier_wait -1
	global_inv scope:SCOPE_SE
	ds_load_b32 v2, v1 offset:96
	s_and_saveexec_b32 s1, s0
	s_cbranch_execz .LBB69_12
; %bb.11:
	s_lshl_b64 s[4:5], s[8:9], 2
	s_wait_alu 0xfffe
	s_add_nc_u64 s[4:5], s[6:7], s[4:5]
	s_wait_dscnt 0x0
	global_store_b32 v1, v2, s[4:5]
.LBB69_12:
	s_wait_alu 0xfffe
	s_or_b32 exec_lo, exec_lo, s1
	s_wait_dscnt 0x0
	v_cmp_ne_u32_e32 vcc_lo, 0, v2
	s_mov_b32 s1, 0
	s_cbranch_vccnz .LBB69_36
; %bb.13:
	v_mov_b32_e32 v20, v3
                                        ; implicit-def: $vgpr16
                                        ; implicit-def: $vgpr18
	scratch_load_b64 v[1:2], v20, off
	s_wait_loadcnt 0x0
	v_cmp_ngt_f32_e64 s1, |v1|, |v2|
	s_wait_alu 0xfffe
	s_and_saveexec_b32 s4, s1
	s_wait_alu 0xfffe
	s_xor_b32 s1, exec_lo, s4
	s_cbranch_execz .LBB69_15
; %bb.14:
	v_div_scale_f32 v16, null, v2, v2, v1
	v_div_scale_f32 v19, vcc_lo, v1, v2, v1
	s_delay_alu instid0(VALU_DEP_2) | instskip(NEXT) | instid1(TRANS32_DEP_1)
	v_rcp_f32_e32 v17, v16
	v_fma_f32 v18, -v16, v17, 1.0
	s_delay_alu instid0(VALU_DEP_1) | instskip(NEXT) | instid1(VALU_DEP_1)
	v_fmac_f32_e32 v17, v18, v17
	v_mul_f32_e32 v18, v19, v17
	s_delay_alu instid0(VALU_DEP_1) | instskip(NEXT) | instid1(VALU_DEP_1)
	v_fma_f32 v21, -v16, v18, v19
	v_fmac_f32_e32 v18, v21, v17
	s_delay_alu instid0(VALU_DEP_1) | instskip(SKIP_1) | instid1(VALU_DEP_1)
	v_fma_f32 v16, -v16, v18, v19
	s_wait_alu 0xfffd
	v_div_fmas_f32 v16, v16, v17, v18
	s_delay_alu instid0(VALU_DEP_1) | instskip(NEXT) | instid1(VALU_DEP_1)
	v_div_fixup_f32 v16, v16, v2, v1
	v_fmac_f32_e32 v2, v1, v16
	s_delay_alu instid0(VALU_DEP_1) | instskip(NEXT) | instid1(VALU_DEP_1)
	v_div_scale_f32 v1, null, v2, v2, 1.0
	v_rcp_f32_e32 v17, v1
	s_delay_alu instid0(TRANS32_DEP_1) | instskip(NEXT) | instid1(VALU_DEP_1)
	v_fma_f32 v18, -v1, v17, 1.0
	v_fmac_f32_e32 v17, v18, v17
	v_div_scale_f32 v18, vcc_lo, 1.0, v2, 1.0
	s_delay_alu instid0(VALU_DEP_1) | instskip(NEXT) | instid1(VALU_DEP_1)
	v_mul_f32_e32 v19, v18, v17
	v_fma_f32 v21, -v1, v19, v18
	s_delay_alu instid0(VALU_DEP_1) | instskip(NEXT) | instid1(VALU_DEP_1)
	v_fmac_f32_e32 v19, v21, v17
	v_fma_f32 v1, -v1, v19, v18
	s_wait_alu 0xfffd
	s_delay_alu instid0(VALU_DEP_1) | instskip(NEXT) | instid1(VALU_DEP_1)
	v_div_fmas_f32 v1, v1, v17, v19
	v_div_fixup_f32 v1, v1, v2, 1.0
	s_delay_alu instid0(VALU_DEP_1) | instskip(SKIP_1) | instid1(VALU_DEP_2)
	v_mul_f32_e32 v16, v16, v1
	v_xor_b32_e32 v17, 0x80000000, v1
                                        ; implicit-def: $vgpr1_vgpr2
	v_xor_b32_e32 v18, 0x80000000, v16
.LBB69_15:
	s_wait_alu 0xfffe
	s_and_not1_saveexec_b32 s1, s1
	s_cbranch_execz .LBB69_17
; %bb.16:
	v_div_scale_f32 v16, null, v1, v1, v2
	v_div_scale_f32 v19, vcc_lo, v2, v1, v2
	s_delay_alu instid0(VALU_DEP_2) | instskip(NEXT) | instid1(TRANS32_DEP_1)
	v_rcp_f32_e32 v17, v16
	v_fma_f32 v18, -v16, v17, 1.0
	s_delay_alu instid0(VALU_DEP_1) | instskip(NEXT) | instid1(VALU_DEP_1)
	v_fmac_f32_e32 v17, v18, v17
	v_mul_f32_e32 v18, v19, v17
	s_delay_alu instid0(VALU_DEP_1) | instskip(NEXT) | instid1(VALU_DEP_1)
	v_fma_f32 v21, -v16, v18, v19
	v_fmac_f32_e32 v18, v21, v17
	s_delay_alu instid0(VALU_DEP_1) | instskip(SKIP_1) | instid1(VALU_DEP_1)
	v_fma_f32 v16, -v16, v18, v19
	s_wait_alu 0xfffd
	v_div_fmas_f32 v16, v16, v17, v18
	s_delay_alu instid0(VALU_DEP_1) | instskip(NEXT) | instid1(VALU_DEP_1)
	v_div_fixup_f32 v17, v16, v1, v2
	v_fmac_f32_e32 v1, v2, v17
	s_delay_alu instid0(VALU_DEP_1) | instskip(SKIP_1) | instid1(VALU_DEP_2)
	v_div_scale_f32 v2, null, v1, v1, 1.0
	v_div_scale_f32 v19, vcc_lo, 1.0, v1, 1.0
	v_rcp_f32_e32 v16, v2
	s_delay_alu instid0(TRANS32_DEP_1) | instskip(NEXT) | instid1(VALU_DEP_1)
	v_fma_f32 v18, -v2, v16, 1.0
	v_fmac_f32_e32 v16, v18, v16
	s_delay_alu instid0(VALU_DEP_1) | instskip(NEXT) | instid1(VALU_DEP_1)
	v_mul_f32_e32 v18, v19, v16
	v_fma_f32 v21, -v2, v18, v19
	s_delay_alu instid0(VALU_DEP_1) | instskip(NEXT) | instid1(VALU_DEP_1)
	v_fmac_f32_e32 v18, v21, v16
	v_fma_f32 v2, -v2, v18, v19
	s_wait_alu 0xfffd
	s_delay_alu instid0(VALU_DEP_1) | instskip(NEXT) | instid1(VALU_DEP_1)
	v_div_fmas_f32 v2, v2, v16, v18
	v_div_fixup_f32 v16, v2, v1, 1.0
	s_delay_alu instid0(VALU_DEP_1)
	v_xor_b32_e32 v18, 0x80000000, v16
	v_mul_f32_e64 v17, v17, -v16
.LBB69_17:
	s_wait_alu 0xfffe
	s_or_b32 exec_lo, exec_lo, s1
	scratch_store_b64 v20, v[16:17], off
	scratch_load_b64 v[21:22], off, off offset:8
	v_xor_b32_e32 v19, 0x80000000, v17
	v_add_nc_u32_e32 v1, 48, v3
	s_wait_loadcnt 0x0
	ds_store_2addr_b64 v3, v[18:19], v[21:22] offset1:6
	s_wait_storecnt_dscnt 0x0
	s_barrier_signal -1
	s_barrier_wait -1
	global_inv scope:SCOPE_SE
	s_and_saveexec_b32 s1, s0
	s_cbranch_execz .LBB69_19
; %bb.18:
	scratch_load_b64 v[16:17], v20, off
	ds_load_b64 v[18:19], v1
	v_mov_b32_e32 v2, 0
	ds_load_b64 v[21:22], v2 offset:8
	s_wait_loadcnt_dscnt 0x1
	v_mul_f32_e32 v2, v18, v17
	v_mul_f32_e32 v17, v19, v17
	s_delay_alu instid0(VALU_DEP_2) | instskip(NEXT) | instid1(VALU_DEP_2)
	v_fmac_f32_e32 v2, v19, v16
	v_fma_f32 v16, v18, v16, -v17
	s_delay_alu instid0(VALU_DEP_2) | instskip(NEXT) | instid1(VALU_DEP_2)
	v_add_f32_e32 v2, 0, v2
	v_add_f32_e32 v16, 0, v16
	s_wait_dscnt 0x0
	s_delay_alu instid0(VALU_DEP_2) | instskip(NEXT) | instid1(VALU_DEP_2)
	v_mul_f32_e32 v18, v2, v22
	v_mul_f32_e32 v17, v16, v22
	s_delay_alu instid0(VALU_DEP_1) | instskip(NEXT) | instid1(VALU_DEP_3)
	v_fmac_f32_e32 v17, v2, v21
	v_fma_f32 v16, v16, v21, -v18
	scratch_store_b64 off, v[16:17], off offset:8
.LBB69_19:
	s_wait_alu 0xfffe
	s_or_b32 exec_lo, exec_lo, s1
	s_wait_loadcnt 0x0
	s_wait_storecnt 0x0
	s_barrier_signal -1
	s_barrier_wait -1
	global_inv scope:SCOPE_SE
	scratch_load_b64 v[16:17], off, off offset:16
	s_mov_b32 s1, exec_lo
	s_wait_loadcnt 0x0
	ds_store_b64 v1, v[16:17]
	s_wait_dscnt 0x0
	s_barrier_signal -1
	s_barrier_wait -1
	global_inv scope:SCOPE_SE
	v_cmpx_gt_u32_e32 2, v0
	s_cbranch_execz .LBB69_23
; %bb.20:
	scratch_load_b64 v[16:17], v20, off
	ds_load_b64 v[18:19], v1
	s_wait_loadcnt_dscnt 0x0
	v_mul_f32_e32 v2, v19, v17
	s_delay_alu instid0(VALU_DEP_1) | instskip(SKIP_1) | instid1(VALU_DEP_1)
	v_fma_f32 v2, v18, v16, -v2
	v_mul_f32_e32 v17, v18, v17
	v_dual_fmac_f32 v17, v19, v16 :: v_dual_add_f32 v16, 0, v2
	s_delay_alu instid0(VALU_DEP_1)
	v_add_f32_e32 v2, 0, v17
	s_and_saveexec_b32 s4, s0
	s_cbranch_execz .LBB69_22
; %bb.21:
	scratch_load_b64 v[17:18], off, off offset:8
	v_mov_b32_e32 v19, 0
	ds_load_b64 v[21:22], v19 offset:56
	s_wait_loadcnt_dscnt 0x0
	v_mul_f32_e32 v19, v21, v18
	v_mul_f32_e32 v18, v22, v18
	s_delay_alu instid0(VALU_DEP_2) | instskip(NEXT) | instid1(VALU_DEP_2)
	v_fmac_f32_e32 v19, v22, v17
	v_fma_f32 v17, v21, v17, -v18
	s_delay_alu instid0(VALU_DEP_2) | instskip(NEXT) | instid1(VALU_DEP_2)
	v_add_f32_e32 v2, v2, v19
	v_add_f32_e32 v16, v16, v17
.LBB69_22:
	s_wait_alu 0xfffe
	s_or_b32 exec_lo, exec_lo, s4
	v_mov_b32_e32 v17, 0
	ds_load_b64 v[17:18], v17 offset:16
	s_wait_dscnt 0x0
	v_mul_f32_e32 v21, v2, v18
	v_mul_f32_e32 v19, v16, v18
	s_delay_alu instid0(VALU_DEP_2) | instskip(NEXT) | instid1(VALU_DEP_2)
	v_fma_f32 v18, v16, v17, -v21
	v_fmac_f32_e32 v19, v2, v17
	scratch_store_b64 off, v[18:19], off offset:16
.LBB69_23:
	s_wait_alu 0xfffe
	s_or_b32 exec_lo, exec_lo, s1
	s_wait_loadcnt 0x0
	s_wait_storecnt 0x0
	s_barrier_signal -1
	s_barrier_wait -1
	global_inv scope:SCOPE_SE
	scratch_load_b64 v[16:17], off, off offset:24
	v_add_nc_u32_e32 v2, -1, v0
	s_mov_b32 s0, exec_lo
	s_wait_loadcnt 0x0
	ds_store_b64 v1, v[16:17]
	s_wait_dscnt 0x0
	s_barrier_signal -1
	s_barrier_wait -1
	global_inv scope:SCOPE_SE
	v_cmpx_gt_u32_e32 3, v0
	s_cbranch_execz .LBB69_27
; %bb.24:
	v_dual_mov_b32 v16, 0 :: v_dual_add_nc_u32 v17, -1, v0
	v_dual_mov_b32 v19, v3 :: v_dual_add_nc_u32 v18, 48, v3
	v_mov_b32_e32 v21, 0
	s_mov_b32 s1, 0
.LBB69_25:                              ; =>This Inner Loop Header: Depth=1
	scratch_load_b64 v[22:23], v19, off
	ds_load_b64 v[24:25], v18
	v_add_nc_u32_e32 v19, 8, v19
	v_add_nc_u32_e32 v17, 1, v17
	;; [unrolled: 1-line block ×3, first 2 shown]
	s_delay_alu instid0(VALU_DEP_2)
	v_cmp_lt_u32_e32 vcc_lo, 1, v17
	s_wait_alu 0xfffe
	s_or_b32 s1, vcc_lo, s1
	s_wait_loadcnt_dscnt 0x0
	v_mul_f32_e32 v26, v25, v23
	v_mul_f32_e32 v23, v24, v23
	s_delay_alu instid0(VALU_DEP_2) | instskip(NEXT) | instid1(VALU_DEP_2)
	v_fma_f32 v24, v24, v22, -v26
	v_fmac_f32_e32 v23, v25, v22
	s_delay_alu instid0(VALU_DEP_1)
	v_dual_add_f32 v21, v21, v24 :: v_dual_add_f32 v16, v16, v23
	s_wait_alu 0xfffe
	s_and_not1_b32 exec_lo, exec_lo, s1
	s_cbranch_execnz .LBB69_25
; %bb.26:
	s_or_b32 exec_lo, exec_lo, s1
	v_mov_b32_e32 v17, 0
	ds_load_b64 v[17:18], v17 offset:24
	s_wait_dscnt 0x0
	v_mul_f32_e32 v22, v16, v18
	v_mul_f32_e32 v19, v21, v18
	s_delay_alu instid0(VALU_DEP_2) | instskip(NEXT) | instid1(VALU_DEP_2)
	v_fma_f32 v18, v21, v17, -v22
	v_fmac_f32_e32 v19, v16, v17
	scratch_store_b64 off, v[18:19], off offset:24
.LBB69_27:
	s_wait_alu 0xfffe
	s_or_b32 exec_lo, exec_lo, s0
	s_wait_loadcnt 0x0
	s_wait_storecnt 0x0
	s_barrier_signal -1
	s_barrier_wait -1
	global_inv scope:SCOPE_SE
	scratch_load_b64 v[16:17], off, off offset:32
	s_mov_b32 s0, exec_lo
	s_wait_loadcnt 0x0
	ds_store_b64 v1, v[16:17]
	s_wait_dscnt 0x0
	s_barrier_signal -1
	s_barrier_wait -1
	global_inv scope:SCOPE_SE
	v_cmpx_gt_u32_e32 4, v0
	s_cbranch_execz .LBB69_31
; %bb.28:
	v_add_nc_u32_e32 v16, -1, v0
	v_dual_mov_b32 v18, v3 :: v_dual_add_nc_u32 v17, 48, v3
	v_mov_b32_e32 v3, 0
	v_mov_b32_e32 v19, 0
	s_mov_b32 s1, 0
.LBB69_29:                              ; =>This Inner Loop Header: Depth=1
	scratch_load_b64 v[21:22], v18, off
	ds_load_b64 v[23:24], v17
	v_add_nc_u32_e32 v18, 8, v18
	v_add_nc_u32_e32 v16, 1, v16
	;; [unrolled: 1-line block ×3, first 2 shown]
	s_delay_alu instid0(VALU_DEP_2)
	v_cmp_lt_u32_e32 vcc_lo, 2, v16
	s_wait_alu 0xfffe
	s_or_b32 s1, vcc_lo, s1
	s_wait_loadcnt_dscnt 0x0
	v_mul_f32_e32 v25, v24, v22
	v_mul_f32_e32 v22, v23, v22
	s_delay_alu instid0(VALU_DEP_2) | instskip(NEXT) | instid1(VALU_DEP_1)
	v_fma_f32 v23, v23, v21, -v25
	v_dual_fmac_f32 v22, v24, v21 :: v_dual_add_f32 v19, v19, v23
	s_delay_alu instid0(VALU_DEP_1)
	v_add_f32_e32 v3, v3, v22
	s_wait_alu 0xfffe
	s_and_not1_b32 exec_lo, exec_lo, s1
	s_cbranch_execnz .LBB69_29
; %bb.30:
	s_or_b32 exec_lo, exec_lo, s1
	v_mov_b32_e32 v16, 0
	ds_load_b64 v[16:17], v16 offset:32
	s_wait_dscnt 0x0
	v_mul_f32_e32 v21, v3, v17
	v_mul_f32_e32 v18, v19, v17
	s_delay_alu instid0(VALU_DEP_2) | instskip(NEXT) | instid1(VALU_DEP_2)
	v_fma_f32 v17, v19, v16, -v21
	v_fmac_f32_e32 v18, v3, v16
	scratch_store_b64 off, v[17:18], off offset:32
.LBB69_31:
	s_wait_alu 0xfffe
	s_or_b32 exec_lo, exec_lo, s0
	s_wait_loadcnt 0x0
	s_wait_storecnt 0x0
	s_barrier_signal -1
	s_barrier_wait -1
	global_inv scope:SCOPE_SE
	scratch_load_b64 v[16:17], off, off offset:40
	s_mov_b32 s0, exec_lo
	s_wait_loadcnt 0x0
	ds_store_b64 v1, v[16:17]
	s_wait_dscnt 0x0
	s_barrier_signal -1
	s_barrier_wait -1
	global_inv scope:SCOPE_SE
	v_cmpx_ne_u32_e32 5, v0
	s_cbranch_execz .LBB69_35
; %bb.32:
	v_dual_mov_b32 v3, 0 :: v_dual_mov_b32 v16, 0
	s_mov_b32 s1, 0
.LBB69_33:                              ; =>This Inner Loop Header: Depth=1
	scratch_load_b64 v[17:18], v20, off
	ds_load_b64 v[21:22], v1
	v_add_nc_u32_e32 v2, 1, v2
	v_add_nc_u32_e32 v1, 8, v1
	;; [unrolled: 1-line block ×3, first 2 shown]
	s_delay_alu instid0(VALU_DEP_3)
	v_cmp_lt_u32_e32 vcc_lo, 3, v2
	s_wait_alu 0xfffe
	s_or_b32 s1, vcc_lo, s1
	s_wait_loadcnt_dscnt 0x0
	v_mul_f32_e32 v19, v22, v18
	v_mul_f32_e32 v18, v21, v18
	s_delay_alu instid0(VALU_DEP_2) | instskip(NEXT) | instid1(VALU_DEP_2)
	v_fma_f32 v19, v21, v17, -v19
	v_fmac_f32_e32 v18, v22, v17
	s_delay_alu instid0(VALU_DEP_1)
	v_dual_add_f32 v16, v16, v19 :: v_dual_add_f32 v3, v3, v18
	s_wait_alu 0xfffe
	s_and_not1_b32 exec_lo, exec_lo, s1
	s_cbranch_execnz .LBB69_33
; %bb.34:
	s_or_b32 exec_lo, exec_lo, s1
	v_mov_b32_e32 v1, 0
	ds_load_b64 v[1:2], v1 offset:40
	s_wait_dscnt 0x0
	v_mul_f32_e32 v18, v3, v2
	v_mul_f32_e32 v17, v16, v2
	s_delay_alu instid0(VALU_DEP_2) | instskip(NEXT) | instid1(VALU_DEP_2)
	v_fma_f32 v16, v16, v1, -v18
	v_fmac_f32_e32 v17, v3, v1
	scratch_store_b64 off, v[16:17], off offset:40
.LBB69_35:
	s_wait_alu 0xfffe
	s_or_b32 exec_lo, exec_lo, s0
	s_mov_b32 s1, -1
	s_wait_loadcnt 0x0
	s_wait_storecnt 0x0
	s_barrier_signal -1
	s_barrier_wait -1
	global_inv scope:SCOPE_SE
.LBB69_36:
	s_wait_alu 0xfffe
	s_and_b32 vcc_lo, exec_lo, s1
	s_wait_alu 0xfffe
	s_cbranch_vccz .LBB69_38
; %bb.37:
	v_mov_b32_e32 v1, 0
	s_lshl_b64 s[0:1], s[8:9], 2
	s_wait_alu 0xfffe
	s_add_nc_u64 s[0:1], s[6:7], s[0:1]
	global_load_b32 v1, v1, s[0:1]
	s_wait_loadcnt 0x0
	v_cmp_ne_u32_e32 vcc_lo, 0, v1
	s_cbranch_vccz .LBB69_39
.LBB69_38:
	s_endpgm
.LBB69_39:
	v_lshl_add_u32 v3, v0, 3, 48
	s_mov_b32 s0, exec_lo
	v_cmpx_eq_u32_e32 5, v0
	s_cbranch_execz .LBB69_41
; %bb.40:
	scratch_load_b64 v[1:2], off, off offset:32
	v_mov_b32_e32 v16, 0
	s_delay_alu instid0(VALU_DEP_1)
	v_mov_b32_e32 v17, v16
	scratch_store_b64 off, v[16:17], off offset:32
	s_wait_loadcnt 0x0
	ds_store_b64 v3, v[1:2]
.LBB69_41:
	s_wait_alu 0xfffe
	s_or_b32 exec_lo, exec_lo, s0
	s_wait_storecnt_dscnt 0x0
	s_barrier_signal -1
	s_barrier_wait -1
	global_inv scope:SCOPE_SE
	s_clause 0x1
	scratch_load_b64 v[16:17], off, off offset:40
	scratch_load_b64 v[18:19], off, off offset:32
	v_mov_b32_e32 v1, 0
	s_mov_b32 s0, exec_lo
	ds_load_b64 v[20:21], v1 offset:88
	s_wait_loadcnt_dscnt 0x100
	v_mul_f32_e32 v2, v21, v17
	s_delay_alu instid0(VALU_DEP_1) | instskip(NEXT) | instid1(VALU_DEP_1)
	v_fma_f32 v2, v20, v16, -v2
	v_dual_mul_f32 v17, v20, v17 :: v_dual_add_f32 v2, 0, v2
	s_wait_loadcnt 0x0
	s_delay_alu instid0(VALU_DEP_1) | instskip(NEXT) | instid1(VALU_DEP_1)
	v_dual_fmac_f32 v17, v21, v16 :: v_dual_sub_f32 v16, v18, v2
	v_add_f32_e32 v17, 0, v17
	s_delay_alu instid0(VALU_DEP_1)
	v_sub_f32_e32 v17, v19, v17
	scratch_store_b64 off, v[16:17], off offset:32
	v_cmpx_lt_u32_e32 3, v0
	s_cbranch_execz .LBB69_43
; %bb.42:
	scratch_load_b64 v[16:17], off, off offset:24
	v_mov_b32_e32 v2, v1
	scratch_store_b64 off, v[1:2], off offset:24
	s_wait_loadcnt 0x0
	ds_store_b64 v3, v[16:17]
.LBB69_43:
	s_wait_alu 0xfffe
	s_or_b32 exec_lo, exec_lo, s0
	s_wait_storecnt_dscnt 0x0
	s_barrier_signal -1
	s_barrier_wait -1
	global_inv scope:SCOPE_SE
	s_clause 0x1
	scratch_load_b128 v[16:19], off, off offset:32
	scratch_load_b64 v[24:25], off, off offset:24
	ds_load_b128 v[20:23], v1 offset:80
	s_mov_b32 s0, exec_lo
	s_wait_loadcnt_dscnt 0x100
	v_mul_f32_e32 v2, v20, v17
	s_delay_alu instid0(VALU_DEP_1) | instskip(SKIP_2) | instid1(VALU_DEP_1)
	v_fmac_f32_e32 v2, v21, v16
	v_mul_f32_e32 v1, v21, v17
	v_mul_f32_e32 v17, v22, v19
	v_fmac_f32_e32 v17, v23, v18
	s_delay_alu instid0(VALU_DEP_4) | instskip(NEXT) | instid1(VALU_DEP_4)
	v_dual_add_f32 v2, 0, v2 :: v_dual_mul_f32 v19, v23, v19
	v_fma_f32 v1, v20, v16, -v1
	s_delay_alu instid0(VALU_DEP_2) | instskip(NEXT) | instid1(VALU_DEP_3)
	v_add_f32_e32 v2, v2, v17
	v_fma_f32 v16, v22, v18, -v19
	s_wait_loadcnt 0x0
	s_delay_alu instid0(VALU_DEP_2) | instskip(NEXT) | instid1(VALU_DEP_1)
	v_dual_add_f32 v1, 0, v1 :: v_dual_sub_f32 v2, v25, v2
	v_add_f32_e32 v1, v1, v16
	s_delay_alu instid0(VALU_DEP_1)
	v_sub_f32_e32 v1, v24, v1
	scratch_store_b64 off, v[1:2], off offset:24
	v_cmpx_lt_u32_e32 2, v0
	s_cbranch_execz .LBB69_45
; %bb.44:
	scratch_load_b64 v[1:2], off, off offset:16
	v_mov_b32_e32 v16, 0
	s_delay_alu instid0(VALU_DEP_1)
	v_mov_b32_e32 v17, v16
	scratch_store_b64 off, v[16:17], off offset:16
	s_wait_loadcnt 0x0
	ds_store_b64 v3, v[1:2]
.LBB69_45:
	s_wait_alu 0xfffe
	s_or_b32 exec_lo, exec_lo, s0
	s_wait_storecnt_dscnt 0x0
	s_barrier_signal -1
	s_barrier_wait -1
	global_inv scope:SCOPE_SE
	s_clause 0x2
	scratch_load_b128 v[16:19], off, off offset:24
	scratch_load_b64 v[24:25], off, off offset:40
	scratch_load_b64 v[26:27], off, off offset:16
	v_mov_b32_e32 v1, 0
	ds_load_2addr_b64 v[20:23], v1 offset0:9 offset1:10
	ds_load_b64 v[28:29], v1 offset:88
	s_mov_b32 s0, exec_lo
	s_wait_loadcnt_dscnt 0x201
	v_mul_f32_e32 v2, v21, v17
	v_dual_mul_f32 v17, v20, v17 :: v_dual_mul_f32 v30, v22, v19
	v_mul_f32_e32 v19, v23, v19
	s_wait_loadcnt_dscnt 0x100
	v_mul_f32_e32 v31, v28, v25
	v_fma_f32 v2, v20, v16, -v2
	v_fmac_f32_e32 v17, v21, v16
	v_mul_f32_e32 v16, v29, v25
	v_fmac_f32_e32 v30, v23, v18
	v_fma_f32 v18, v22, v18, -v19
	s_delay_alu instid0(VALU_DEP_4) | instskip(NEXT) | instid1(VALU_DEP_4)
	v_dual_add_f32 v2, 0, v2 :: v_dual_add_f32 v17, 0, v17
	v_fma_f32 v16, v28, v24, -v16
	s_delay_alu instid0(VALU_DEP_2) | instskip(NEXT) | instid1(VALU_DEP_1)
	v_add_f32_e32 v2, v2, v18
	v_dual_add_f32 v17, v17, v30 :: v_dual_add_f32 v2, v2, v16
	s_wait_loadcnt 0x0
	s_delay_alu instid0(VALU_DEP_1) | instskip(NEXT) | instid1(VALU_DEP_1)
	v_dual_fmac_f32 v31, v29, v24 :: v_dual_sub_f32 v16, v26, v2
	v_add_f32_e32 v17, v17, v31
	s_delay_alu instid0(VALU_DEP_1)
	v_sub_f32_e32 v17, v27, v17
	scratch_store_b64 off, v[16:17], off offset:16
	v_cmpx_lt_u32_e32 1, v0
	s_cbranch_execz .LBB69_47
; %bb.46:
	scratch_load_b64 v[16:17], off, off offset:8
	v_mov_b32_e32 v2, v1
	scratch_store_b64 off, v[1:2], off offset:8
	s_wait_loadcnt 0x0
	ds_store_b64 v3, v[16:17]
.LBB69_47:
	s_wait_alu 0xfffe
	s_or_b32 exec_lo, exec_lo, s0
	s_wait_storecnt_dscnt 0x0
	s_barrier_signal -1
	s_barrier_wait -1
	global_inv scope:SCOPE_SE
	s_clause 0x2
	scratch_load_b128 v[16:19], off, off offset:16
	scratch_load_b128 v[20:23], off, off offset:32
	scratch_load_b64 v[32:33], off, off offset:8
	ds_load_b128 v[24:27], v1 offset:64
	ds_load_b128 v[28:31], v1 offset:80
	s_mov_b32 s0, exec_lo
	s_wait_loadcnt_dscnt 0x201
	v_mul_f32_e32 v2, v25, v17
	s_wait_loadcnt_dscnt 0x100
	v_dual_mul_f32 v34, v28, v21 :: v_dual_mul_f32 v35, v30, v23
	s_delay_alu instid0(VALU_DEP_2) | instskip(SKIP_2) | instid1(VALU_DEP_4)
	v_fma_f32 v2, v24, v16, -v2
	v_mul_f32_e32 v1, v24, v17
	v_mul_f32_e32 v17, v26, v19
	v_dual_mul_f32 v19, v27, v19 :: v_dual_fmac_f32 v34, v29, v20
	s_delay_alu instid0(VALU_DEP_3) | instskip(NEXT) | instid1(VALU_DEP_3)
	v_dual_add_f32 v2, 0, v2 :: v_dual_fmac_f32 v1, v25, v16
	v_dual_mul_f32 v16, v29, v21 :: v_dual_fmac_f32 v17, v27, v18
	s_delay_alu instid0(VALU_DEP_3) | instskip(SKIP_1) | instid1(VALU_DEP_3)
	v_fma_f32 v18, v26, v18, -v19
	v_fmac_f32_e32 v35, v31, v22
	v_fma_f32 v16, v28, v20, -v16
	s_delay_alu instid0(VALU_DEP_3) | instskip(NEXT) | instid1(VALU_DEP_1)
	v_dual_add_f32 v2, v2, v18 :: v_dual_add_f32 v1, 0, v1
	v_dual_add_f32 v2, v2, v16 :: v_dual_mul_f32 v19, v31, v23
	s_delay_alu instid0(VALU_DEP_2) | instskip(NEXT) | instid1(VALU_DEP_2)
	v_add_f32_e32 v1, v1, v17
	v_fma_f32 v17, v30, v22, -v19
	s_delay_alu instid0(VALU_DEP_1) | instskip(SKIP_1) | instid1(VALU_DEP_1)
	v_dual_add_f32 v1, v1, v34 :: v_dual_add_f32 v2, v2, v17
	s_wait_loadcnt 0x0
	v_dual_add_f32 v16, v1, v35 :: v_dual_sub_f32 v1, v32, v2
	s_delay_alu instid0(VALU_DEP_1)
	v_sub_f32_e32 v2, v33, v16
	scratch_store_b64 off, v[1:2], off offset:8
	v_cmpx_ne_u32_e32 0, v0
	s_cbranch_execz .LBB69_49
; %bb.48:
	scratch_load_b64 v[0:1], off, off
	v_mov_b32_e32 v16, 0
	s_delay_alu instid0(VALU_DEP_1)
	v_mov_b32_e32 v17, v16
	scratch_store_b64 off, v[16:17], off
	s_wait_loadcnt 0x0
	ds_store_b64 v3, v[0:1]
.LBB69_49:
	s_wait_alu 0xfffe
	s_or_b32 exec_lo, exec_lo, s0
	s_wait_storecnt_dscnt 0x0
	s_barrier_signal -1
	s_barrier_wait -1
	global_inv scope:SCOPE_SE
	s_clause 0x3
	scratch_load_b128 v[17:20], off, off offset:8
	scratch_load_b128 v[0:3], off, off offset:24
	scratch_load_b64 v[29:30], off, off offset:40
	scratch_load_b64 v[31:32], off, off
	v_mov_b32_e32 v16, 0
	ds_load_2addr_b64 v[21:24], v16 offset0:7 offset1:8
	ds_load_2addr_b64 v[25:28], v16 offset0:9 offset1:10
	ds_load_b64 v[33:34], v16 offset:88
	s_and_b32 vcc_lo, exec_lo, s12
	s_wait_loadcnt_dscnt 0x302
	v_dual_mul_f32 v35, v21, v18 :: v_dual_mul_f32 v36, v23, v20
	s_wait_loadcnt_dscnt 0x201
	v_dual_mul_f32 v37, v25, v1 :: v_dual_mul_f32 v20, v24, v20
	v_mul_f32_e32 v1, v26, v1
	s_delay_alu instid0(VALU_DEP_3)
	v_fmac_f32_e32 v35, v22, v17
	v_mul_f32_e32 v18, v22, v18
	v_fmac_f32_e32 v36, v24, v19
	s_wait_loadcnt_dscnt 0x100
	v_dual_mul_f32 v38, v27, v3 :: v_dual_mul_f32 v39, v33, v30
	v_fmac_f32_e32 v37, v26, v0
	v_fma_f32 v18, v21, v17, -v18
	v_fma_f32 v17, v23, v19, -v20
	v_add_f32_e32 v19, 0, v35
	v_fma_f32 v0, v25, v0, -v1
	s_delay_alu instid0(VALU_DEP_4) | instskip(NEXT) | instid1(VALU_DEP_1)
	v_dual_fmac_f32 v39, v34, v29 :: v_dual_add_f32 v18, 0, v18
	v_dual_mul_f32 v20, v28, v3 :: v_dual_add_f32 v1, v18, v17
	s_delay_alu instid0(VALU_DEP_4) | instskip(SKIP_1) | instid1(VALU_DEP_3)
	v_dual_add_f32 v17, v19, v36 :: v_dual_mul_f32 v18, v34, v30
	v_fmac_f32_e32 v38, v28, v2
	v_fma_f32 v19, v27, v2, -v20
	s_delay_alu instid0(VALU_DEP_4) | instskip(NEXT) | instid1(VALU_DEP_4)
	v_add_f32_e32 v0, v1, v0
	v_add_f32_e32 v1, v17, v37
	v_fma_f32 v17, v33, v29, -v18
	s_delay_alu instid0(VALU_DEP_2) | instskip(NEXT) | instid1(VALU_DEP_1)
	v_dual_add_f32 v0, v0, v19 :: v_dual_add_f32 v1, v1, v38
	v_dual_add_f32 v0, v0, v17 :: v_dual_add_f32 v1, v1, v39
	s_wait_loadcnt 0x0
	s_delay_alu instid0(VALU_DEP_1)
	v_dual_sub_f32 v0, v31, v0 :: v_dual_sub_f32 v1, v32, v1
	scratch_store_b64 off, v[0:1], off
	s_wait_alu 0xfffe
	s_cbranch_vccz .LBB69_60
; %bb.50:
	global_load_b32 v0, v16, s[2:3] offset:16
	s_wait_loadcnt 0x0
	v_cmp_ne_u32_e32 vcc_lo, 5, v0
	s_cbranch_vccz .LBB69_52
; %bb.51:
	v_lshlrev_b32_e32 v0, 3, v0
	s_delay_alu instid0(VALU_DEP_1)
	v_mov_b32_e32 v16, v0
	scratch_load_b64 v[0:1], v16, off offset:-8
	s_wait_loadcnt 0x0
	scratch_store_b64 off, v[0:1], off offset:32
	scratch_store_b64 v16, v[2:3], off offset:-8
.LBB69_52:
	v_mov_b32_e32 v0, 0
	global_load_b32 v1, v0, s[2:3] offset:12
	s_wait_loadcnt 0x0
	v_cmp_eq_u32_e32 vcc_lo, 4, v1
	s_cbranch_vccnz .LBB69_54
; %bb.53:
	v_lshlrev_b32_e32 v1, 3, v1
	s_delay_alu instid0(VALU_DEP_1)
	v_mov_b32_e32 v3, v1
	scratch_load_b64 v[1:2], v3, off offset:-8
	scratch_load_b64 v[16:17], off, off offset:24
	s_wait_loadcnt 0x1
	scratch_store_b64 off, v[1:2], off offset:24
	s_wait_loadcnt 0x0
	scratch_store_b64 v3, v[16:17], off offset:-8
.LBB69_54:
	global_load_b32 v0, v0, s[2:3] offset:8
	s_wait_loadcnt 0x0
	v_cmp_eq_u32_e32 vcc_lo, 3, v0
	s_cbranch_vccnz .LBB69_56
; %bb.55:
	v_lshlrev_b32_e32 v0, 3, v0
	s_delay_alu instid0(VALU_DEP_1)
	v_mov_b32_e32 v16, v0
	scratch_load_b64 v[0:1], v16, off offset:-8
	scratch_load_b64 v[2:3], off, off offset:16
	s_wait_loadcnt 0x1
	scratch_store_b64 off, v[0:1], off offset:16
	s_wait_loadcnt 0x0
	scratch_store_b64 v16, v[2:3], off offset:-8
.LBB69_56:
	v_mov_b32_e32 v0, 0
	global_load_b32 v1, v0, s[2:3] offset:4
	s_wait_loadcnt 0x0
	v_cmp_eq_u32_e32 vcc_lo, 2, v1
	s_cbranch_vccnz .LBB69_58
; %bb.57:
	v_lshlrev_b32_e32 v1, 3, v1
	s_delay_alu instid0(VALU_DEP_1)
	v_mov_b32_e32 v3, v1
	scratch_load_b64 v[1:2], v3, off offset:-8
	scratch_load_b64 v[16:17], off, off offset:8
	s_wait_loadcnt 0x1
	scratch_store_b64 off, v[1:2], off offset:8
	s_wait_loadcnt 0x0
	scratch_store_b64 v3, v[16:17], off offset:-8
.LBB69_58:
	global_load_b32 v0, v0, s[2:3]
	s_wait_loadcnt 0x0
	v_cmp_eq_u32_e32 vcc_lo, 1, v0
	s_cbranch_vccnz .LBB69_60
; %bb.59:
	v_lshlrev_b32_e32 v0, 3, v0
	s_delay_alu instid0(VALU_DEP_1)
	v_mov_b32_e32 v16, v0
	scratch_load_b64 v[0:1], v16, off offset:-8
	scratch_load_b64 v[2:3], off, off
	s_wait_loadcnt 0x1
	scratch_store_b64 off, v[0:1], off
	s_wait_loadcnt 0x0
	scratch_store_b64 v16, v[2:3], off offset:-8
.LBB69_60:
	scratch_load_b64 v[0:1], off, off
	s_wait_loadcnt 0x0
	flat_store_b64 v[4:5], v[0:1]
	scratch_load_b64 v[0:1], off, off offset:8
	s_wait_loadcnt 0x0
	flat_store_b64 v[6:7], v[0:1]
	scratch_load_b64 v[0:1], off, off offset:16
	;; [unrolled: 3-line block ×5, first 2 shown]
	s_wait_loadcnt 0x0
	flat_store_b64 v[14:15], v[0:1]
	s_endpgm
	.section	.rodata,"a",@progbits
	.p2align	6, 0x0
	.amdhsa_kernel _ZN9rocsolver6v33100L18getri_kernel_smallILi6E19rocblas_complex_numIfEPKPS3_EEvT1_iilPiilS8_bb
		.amdhsa_group_segment_fixed_size 100
		.amdhsa_private_segment_fixed_size 64
		.amdhsa_kernarg_size 60
		.amdhsa_user_sgpr_count 2
		.amdhsa_user_sgpr_dispatch_ptr 0
		.amdhsa_user_sgpr_queue_ptr 0
		.amdhsa_user_sgpr_kernarg_segment_ptr 1
		.amdhsa_user_sgpr_dispatch_id 0
		.amdhsa_user_sgpr_private_segment_size 0
		.amdhsa_wavefront_size32 1
		.amdhsa_uses_dynamic_stack 0
		.amdhsa_enable_private_segment 1
		.amdhsa_system_sgpr_workgroup_id_x 1
		.amdhsa_system_sgpr_workgroup_id_y 0
		.amdhsa_system_sgpr_workgroup_id_z 0
		.amdhsa_system_sgpr_workgroup_info 0
		.amdhsa_system_vgpr_workitem_id 0
		.amdhsa_next_free_vgpr 40
		.amdhsa_next_free_sgpr 19
		.amdhsa_reserve_vcc 1
		.amdhsa_float_round_mode_32 0
		.amdhsa_float_round_mode_16_64 0
		.amdhsa_float_denorm_mode_32 3
		.amdhsa_float_denorm_mode_16_64 3
		.amdhsa_fp16_overflow 0
		.amdhsa_workgroup_processor_mode 1
		.amdhsa_memory_ordered 1
		.amdhsa_forward_progress 1
		.amdhsa_inst_pref_size 38
		.amdhsa_round_robin_scheduling 0
		.amdhsa_exception_fp_ieee_invalid_op 0
		.amdhsa_exception_fp_denorm_src 0
		.amdhsa_exception_fp_ieee_div_zero 0
		.amdhsa_exception_fp_ieee_overflow 0
		.amdhsa_exception_fp_ieee_underflow 0
		.amdhsa_exception_fp_ieee_inexact 0
		.amdhsa_exception_int_div_zero 0
	.end_amdhsa_kernel
	.section	.text._ZN9rocsolver6v33100L18getri_kernel_smallILi6E19rocblas_complex_numIfEPKPS3_EEvT1_iilPiilS8_bb,"axG",@progbits,_ZN9rocsolver6v33100L18getri_kernel_smallILi6E19rocblas_complex_numIfEPKPS3_EEvT1_iilPiilS8_bb,comdat
.Lfunc_end69:
	.size	_ZN9rocsolver6v33100L18getri_kernel_smallILi6E19rocblas_complex_numIfEPKPS3_EEvT1_iilPiilS8_bb, .Lfunc_end69-_ZN9rocsolver6v33100L18getri_kernel_smallILi6E19rocblas_complex_numIfEPKPS3_EEvT1_iilPiilS8_bb
                                        ; -- End function
	.set _ZN9rocsolver6v33100L18getri_kernel_smallILi6E19rocblas_complex_numIfEPKPS3_EEvT1_iilPiilS8_bb.num_vgpr, 40
	.set _ZN9rocsolver6v33100L18getri_kernel_smallILi6E19rocblas_complex_numIfEPKPS3_EEvT1_iilPiilS8_bb.num_agpr, 0
	.set _ZN9rocsolver6v33100L18getri_kernel_smallILi6E19rocblas_complex_numIfEPKPS3_EEvT1_iilPiilS8_bb.numbered_sgpr, 19
	.set _ZN9rocsolver6v33100L18getri_kernel_smallILi6E19rocblas_complex_numIfEPKPS3_EEvT1_iilPiilS8_bb.num_named_barrier, 0
	.set _ZN9rocsolver6v33100L18getri_kernel_smallILi6E19rocblas_complex_numIfEPKPS3_EEvT1_iilPiilS8_bb.private_seg_size, 64
	.set _ZN9rocsolver6v33100L18getri_kernel_smallILi6E19rocblas_complex_numIfEPKPS3_EEvT1_iilPiilS8_bb.uses_vcc, 1
	.set _ZN9rocsolver6v33100L18getri_kernel_smallILi6E19rocblas_complex_numIfEPKPS3_EEvT1_iilPiilS8_bb.uses_flat_scratch, 1
	.set _ZN9rocsolver6v33100L18getri_kernel_smallILi6E19rocblas_complex_numIfEPKPS3_EEvT1_iilPiilS8_bb.has_dyn_sized_stack, 0
	.set _ZN9rocsolver6v33100L18getri_kernel_smallILi6E19rocblas_complex_numIfEPKPS3_EEvT1_iilPiilS8_bb.has_recursion, 0
	.set _ZN9rocsolver6v33100L18getri_kernel_smallILi6E19rocblas_complex_numIfEPKPS3_EEvT1_iilPiilS8_bb.has_indirect_call, 0
	.section	.AMDGPU.csdata,"",@progbits
; Kernel info:
; codeLenInByte = 4852
; TotalNumSgprs: 21
; NumVgprs: 40
; ScratchSize: 64
; MemoryBound: 0
; FloatMode: 240
; IeeeMode: 1
; LDSByteSize: 100 bytes/workgroup (compile time only)
; SGPRBlocks: 0
; VGPRBlocks: 4
; NumSGPRsForWavesPerEU: 21
; NumVGPRsForWavesPerEU: 40
; Occupancy: 16
; WaveLimiterHint : 1
; COMPUTE_PGM_RSRC2:SCRATCH_EN: 1
; COMPUTE_PGM_RSRC2:USER_SGPR: 2
; COMPUTE_PGM_RSRC2:TRAP_HANDLER: 0
; COMPUTE_PGM_RSRC2:TGID_X_EN: 1
; COMPUTE_PGM_RSRC2:TGID_Y_EN: 0
; COMPUTE_PGM_RSRC2:TGID_Z_EN: 0
; COMPUTE_PGM_RSRC2:TIDIG_COMP_CNT: 0
	.section	.text._ZN9rocsolver6v33100L18getri_kernel_smallILi7E19rocblas_complex_numIfEPKPS3_EEvT1_iilPiilS8_bb,"axG",@progbits,_ZN9rocsolver6v33100L18getri_kernel_smallILi7E19rocblas_complex_numIfEPKPS3_EEvT1_iilPiilS8_bb,comdat
	.globl	_ZN9rocsolver6v33100L18getri_kernel_smallILi7E19rocblas_complex_numIfEPKPS3_EEvT1_iilPiilS8_bb ; -- Begin function _ZN9rocsolver6v33100L18getri_kernel_smallILi7E19rocblas_complex_numIfEPKPS3_EEvT1_iilPiilS8_bb
	.p2align	8
	.type	_ZN9rocsolver6v33100L18getri_kernel_smallILi7E19rocblas_complex_numIfEPKPS3_EEvT1_iilPiilS8_bb,@function
_ZN9rocsolver6v33100L18getri_kernel_smallILi7E19rocblas_complex_numIfEPKPS3_EEvT1_iilPiilS8_bb: ; @_ZN9rocsolver6v33100L18getri_kernel_smallILi7E19rocblas_complex_numIfEPKPS3_EEvT1_iilPiilS8_bb
; %bb.0:
	s_mov_b32 s2, exec_lo
	v_cmpx_gt_u32_e32 7, v0
	s_cbranch_execz .LBB70_42
; %bb.1:
	s_clause 0x1
	s_load_b32 s13, s[0:1], 0x38
	s_load_b64 s[2:3], s[0:1], 0x0
	s_mov_b32 s8, ttmp9
	s_load_b128 s[4:7], s[0:1], 0x28
	s_wait_kmcnt 0x0
	s_bitcmp1_b32 s13, 8
	s_cselect_b32 s12, -1, 0
	s_ashr_i32 s9, ttmp9, 31
	s_delay_alu instid0(SALU_CYCLE_1) | instskip(NEXT) | instid1(SALU_CYCLE_1)
	s_lshl_b64 s[10:11], s[8:9], 3
	s_add_nc_u64 s[2:3], s[2:3], s[10:11]
	s_load_b64 s[10:11], s[2:3], 0x0
	s_bfe_u32 s2, s13, 0x10008
	s_delay_alu instid0(SALU_CYCLE_1)
	s_cmp_eq_u32 s2, 0
                                        ; implicit-def: $sgpr2_sgpr3
	s_cbranch_scc1 .LBB70_3
; %bb.2:
	s_load_b96 s[16:18], s[0:1], 0x18
	s_mul_u64 s[2:3], s[4:5], s[8:9]
	s_delay_alu instid0(SALU_CYCLE_1)
	s_lshl_b64 s[2:3], s[2:3], 2
	s_wait_kmcnt 0x0
	s_ashr_i32 s5, s18, 31
	s_mov_b32 s4, s18
	s_add_nc_u64 s[2:3], s[16:17], s[2:3]
	s_lshl_b64 s[4:5], s[4:5], 2
	s_delay_alu instid0(SALU_CYCLE_1)
	s_add_nc_u64 s[2:3], s[2:3], s[4:5]
.LBB70_3:
	s_clause 0x1
	s_load_b64 s[4:5], s[0:1], 0x8
	s_load_b32 s13, s[0:1], 0x38
	v_lshlrev_b32_e32 v3, 3, v0
	s_wait_kmcnt 0x0
	s_ashr_i32 s1, s4, 31
	s_mov_b32 s0, s4
	v_add3_u32 v10, s5, s5, v0
	s_lshl_b64 s[0:1], s[0:1], 3
	s_delay_alu instid0(SALU_CYCLE_1)
	s_add_nc_u64 s[0:1], s[10:11], s[0:1]
	s_ashr_i32 s11, s5, 31
	v_add_co_u32 v4, s4, s0, v3
	s_wait_alu 0xf1ff
	v_add_co_ci_u32_e64 v5, null, s1, 0, s4
	s_mov_b32 s10, s5
	v_ashrrev_i32_e32 v11, 31, v10
	s_lshl_b64 s[10:11], s[10:11], 3
	flat_load_b64 v[1:2], v[4:5]
	v_add_co_u32 v6, vcc_lo, v4, s10
	s_delay_alu instid0(VALU_DEP_1) | instskip(SKIP_3) | instid1(VALU_DEP_2)
	v_add_co_ci_u32_e64 v7, null, s11, v5, vcc_lo
	v_lshlrev_b64_e32 v[8:9], 3, v[10:11]
	v_add_nc_u32_e32 v12, s5, v10
	s_bitcmp0_b32 s13, 0
	v_add_co_u32 v8, vcc_lo, s0, v8
	s_wait_alu 0xfffd
	s_delay_alu instid0(VALU_DEP_3) | instskip(SKIP_2) | instid1(VALU_DEP_2)
	v_add_co_ci_u32_e64 v9, null, s1, v9, vcc_lo
	v_ashrrev_i32_e32 v13, 31, v12
	v_add_nc_u32_e32 v14, s5, v12
	v_lshlrev_b64_e32 v[10:11], 3, v[12:13]
	s_delay_alu instid0(VALU_DEP_2) | instskip(SKIP_1) | instid1(VALU_DEP_3)
	v_ashrrev_i32_e32 v15, 31, v14
	v_add_nc_u32_e32 v16, s5, v14
	v_add_co_u32 v10, vcc_lo, s0, v10
	s_wait_alu 0xfffd
	s_delay_alu instid0(VALU_DEP_4) | instskip(SKIP_2) | instid1(VALU_DEP_2)
	v_add_co_ci_u32_e64 v11, null, s1, v11, vcc_lo
	v_lshlrev_b64_e32 v[12:13], 3, v[14:15]
	v_ashrrev_i32_e32 v17, 31, v16
	v_add_co_u32 v12, vcc_lo, s0, v12
	s_wait_alu 0xfffd
	s_delay_alu instid0(VALU_DEP_3) | instskip(NEXT) | instid1(VALU_DEP_3)
	v_add_co_ci_u32_e64 v13, null, s1, v13, vcc_lo
	v_lshlrev_b64_e32 v[14:15], 3, v[16:17]
	v_add_nc_u32_e32 v16, s5, v16
	s_delay_alu instid0(VALU_DEP_2) | instskip(SKIP_1) | instid1(VALU_DEP_3)
	v_add_co_u32 v14, vcc_lo, s0, v14
	s_wait_alu 0xfffd
	v_add_co_ci_u32_e64 v15, null, s1, v15, vcc_lo
	s_delay_alu instid0(VALU_DEP_3) | instskip(NEXT) | instid1(VALU_DEP_1)
	v_ashrrev_i32_e32 v17, 31, v16
	v_lshlrev_b64_e32 v[16:17], 3, v[16:17]
	s_delay_alu instid0(VALU_DEP_1) | instskip(SKIP_1) | instid1(VALU_DEP_2)
	v_add_co_u32 v16, vcc_lo, s0, v16
	s_wait_alu 0xfffd
	v_add_co_ci_u32_e64 v17, null, s1, v17, vcc_lo
	s_mov_b32 s1, -1
	s_wait_loadcnt_dscnt 0x0
	scratch_store_b64 off, v[1:2], off
	flat_load_b64 v[1:2], v[6:7]
	s_wait_loadcnt_dscnt 0x0
	scratch_store_b64 off, v[1:2], off offset:8
	flat_load_b64 v[1:2], v[8:9]
	s_wait_loadcnt_dscnt 0x0
	scratch_store_b64 off, v[1:2], off offset:16
	;; [unrolled: 3-line block ×6, first 2 shown]
	s_cbranch_scc1 .LBB70_40
; %bb.4:
	v_cmp_eq_u32_e64 s0, 0, v0
	s_and_saveexec_b32 s1, s0
; %bb.5:
	v_mov_b32_e32 v1, 0
	ds_store_b32 v1, v1 offset:56
; %bb.6:
	s_wait_alu 0xfffe
	s_or_b32 exec_lo, exec_lo, s1
	s_wait_storecnt_dscnt 0x0
	s_barrier_signal -1
	s_barrier_wait -1
	global_inv scope:SCOPE_SE
	scratch_load_b64 v[1:2], v3, off
	s_wait_loadcnt 0x0
	v_cmp_eq_f32_e32 vcc_lo, 0, v1
	v_cmp_eq_f32_e64 s1, 0, v2
	s_and_b32 s1, vcc_lo, s1
	s_wait_alu 0xfffe
	s_and_saveexec_b32 s4, s1
	s_cbranch_execz .LBB70_10
; %bb.7:
	v_mov_b32_e32 v1, 0
	s_mov_b32 s5, 0
	ds_load_b32 v2, v1 offset:56
	s_wait_dscnt 0x0
	v_readfirstlane_b32 s1, v2
	v_add_nc_u32_e32 v2, 1, v0
	s_cmp_eq_u32 s1, 0
	s_delay_alu instid0(VALU_DEP_1)
	v_cmp_gt_i32_e32 vcc_lo, s1, v2
	s_cselect_b32 s10, -1, 0
	s_wait_alu 0xfffe
	s_or_b32 s10, s10, vcc_lo
	s_wait_alu 0xfffe
	s_and_b32 exec_lo, exec_lo, s10
	s_cbranch_execz .LBB70_10
; %bb.8:
	v_mov_b32_e32 v18, s1
.LBB70_9:                               ; =>This Inner Loop Header: Depth=1
	ds_cmpstore_rtn_b32 v18, v1, v2, v18 offset:56
	s_wait_dscnt 0x0
	v_cmp_ne_u32_e32 vcc_lo, 0, v18
	v_cmp_le_i32_e64 s1, v18, v2
	s_and_b32 s1, vcc_lo, s1
	s_wait_alu 0xfffe
	s_and_b32 s1, exec_lo, s1
	s_wait_alu 0xfffe
	s_or_b32 s5, s1, s5
	s_wait_alu 0xfffe
	s_and_not1_b32 exec_lo, exec_lo, s5
	s_cbranch_execnz .LBB70_9
.LBB70_10:
	s_wait_alu 0xfffe
	s_or_b32 exec_lo, exec_lo, s4
	v_mov_b32_e32 v1, 0
	s_barrier_signal -1
	s_barrier_wait -1
	global_inv scope:SCOPE_SE
	ds_load_b32 v2, v1 offset:56
	s_and_saveexec_b32 s1, s0
	s_cbranch_execz .LBB70_12
; %bb.11:
	s_lshl_b64 s[4:5], s[8:9], 2
	s_wait_alu 0xfffe
	s_add_nc_u64 s[4:5], s[6:7], s[4:5]
	s_wait_dscnt 0x0
	global_store_b32 v1, v2, s[4:5]
.LBB70_12:
	s_wait_alu 0xfffe
	s_or_b32 exec_lo, exec_lo, s1
	s_wait_dscnt 0x0
	v_cmp_ne_u32_e32 vcc_lo, 0, v2
	s_mov_b32 s1, 0
	s_cbranch_vccnz .LBB70_40
; %bb.13:
	v_mov_b32_e32 v22, v3
                                        ; implicit-def: $vgpr18
                                        ; implicit-def: $vgpr20
	scratch_load_b64 v[1:2], v22, off
	s_wait_loadcnt 0x0
	v_cmp_ngt_f32_e64 s1, |v1|, |v2|
	s_wait_alu 0xfffe
	s_and_saveexec_b32 s4, s1
	s_wait_alu 0xfffe
	s_xor_b32 s1, exec_lo, s4
	s_cbranch_execz .LBB70_15
; %bb.14:
	v_div_scale_f32 v18, null, v2, v2, v1
	v_div_scale_f32 v21, vcc_lo, v1, v2, v1
	s_delay_alu instid0(VALU_DEP_2) | instskip(NEXT) | instid1(TRANS32_DEP_1)
	v_rcp_f32_e32 v19, v18
	v_fma_f32 v20, -v18, v19, 1.0
	s_delay_alu instid0(VALU_DEP_1) | instskip(NEXT) | instid1(VALU_DEP_1)
	v_fmac_f32_e32 v19, v20, v19
	v_mul_f32_e32 v20, v21, v19
	s_delay_alu instid0(VALU_DEP_1) | instskip(NEXT) | instid1(VALU_DEP_1)
	v_fma_f32 v23, -v18, v20, v21
	v_fmac_f32_e32 v20, v23, v19
	s_delay_alu instid0(VALU_DEP_1) | instskip(SKIP_1) | instid1(VALU_DEP_1)
	v_fma_f32 v18, -v18, v20, v21
	s_wait_alu 0xfffd
	v_div_fmas_f32 v18, v18, v19, v20
	s_delay_alu instid0(VALU_DEP_1) | instskip(NEXT) | instid1(VALU_DEP_1)
	v_div_fixup_f32 v18, v18, v2, v1
	v_fmac_f32_e32 v2, v1, v18
	s_delay_alu instid0(VALU_DEP_1) | instskip(NEXT) | instid1(VALU_DEP_1)
	v_div_scale_f32 v1, null, v2, v2, 1.0
	v_rcp_f32_e32 v19, v1
	s_delay_alu instid0(TRANS32_DEP_1) | instskip(NEXT) | instid1(VALU_DEP_1)
	v_fma_f32 v20, -v1, v19, 1.0
	v_fmac_f32_e32 v19, v20, v19
	v_div_scale_f32 v20, vcc_lo, 1.0, v2, 1.0
	s_delay_alu instid0(VALU_DEP_1) | instskip(NEXT) | instid1(VALU_DEP_1)
	v_mul_f32_e32 v21, v20, v19
	v_fma_f32 v23, -v1, v21, v20
	s_delay_alu instid0(VALU_DEP_1) | instskip(NEXT) | instid1(VALU_DEP_1)
	v_fmac_f32_e32 v21, v23, v19
	v_fma_f32 v1, -v1, v21, v20
	s_wait_alu 0xfffd
	s_delay_alu instid0(VALU_DEP_1) | instskip(NEXT) | instid1(VALU_DEP_1)
	v_div_fmas_f32 v1, v1, v19, v21
	v_div_fixup_f32 v1, v1, v2, 1.0
	s_delay_alu instid0(VALU_DEP_1) | instskip(SKIP_1) | instid1(VALU_DEP_2)
	v_mul_f32_e32 v18, v18, v1
	v_xor_b32_e32 v19, 0x80000000, v1
                                        ; implicit-def: $vgpr1_vgpr2
	v_xor_b32_e32 v20, 0x80000000, v18
.LBB70_15:
	s_wait_alu 0xfffe
	s_and_not1_saveexec_b32 s1, s1
	s_cbranch_execz .LBB70_17
; %bb.16:
	v_div_scale_f32 v18, null, v1, v1, v2
	v_div_scale_f32 v21, vcc_lo, v2, v1, v2
	s_delay_alu instid0(VALU_DEP_2) | instskip(NEXT) | instid1(TRANS32_DEP_1)
	v_rcp_f32_e32 v19, v18
	v_fma_f32 v20, -v18, v19, 1.0
	s_delay_alu instid0(VALU_DEP_1) | instskip(NEXT) | instid1(VALU_DEP_1)
	v_fmac_f32_e32 v19, v20, v19
	v_mul_f32_e32 v20, v21, v19
	s_delay_alu instid0(VALU_DEP_1) | instskip(NEXT) | instid1(VALU_DEP_1)
	v_fma_f32 v23, -v18, v20, v21
	v_fmac_f32_e32 v20, v23, v19
	s_delay_alu instid0(VALU_DEP_1) | instskip(SKIP_1) | instid1(VALU_DEP_1)
	v_fma_f32 v18, -v18, v20, v21
	s_wait_alu 0xfffd
	v_div_fmas_f32 v18, v18, v19, v20
	s_delay_alu instid0(VALU_DEP_1) | instskip(NEXT) | instid1(VALU_DEP_1)
	v_div_fixup_f32 v19, v18, v1, v2
	v_fmac_f32_e32 v1, v2, v19
	s_delay_alu instid0(VALU_DEP_1) | instskip(NEXT) | instid1(VALU_DEP_1)
	v_div_scale_f32 v2, null, v1, v1, 1.0
	v_rcp_f32_e32 v18, v2
	s_delay_alu instid0(TRANS32_DEP_1) | instskip(NEXT) | instid1(VALU_DEP_1)
	v_fma_f32 v20, -v2, v18, 1.0
	v_fmac_f32_e32 v18, v20, v18
	v_div_scale_f32 v21, vcc_lo, 1.0, v1, 1.0
	s_delay_alu instid0(VALU_DEP_1) | instskip(NEXT) | instid1(VALU_DEP_1)
	v_mul_f32_e32 v20, v21, v18
	v_fma_f32 v23, -v2, v20, v21
	s_delay_alu instid0(VALU_DEP_1) | instskip(NEXT) | instid1(VALU_DEP_1)
	v_fmac_f32_e32 v20, v23, v18
	v_fma_f32 v2, -v2, v20, v21
	s_wait_alu 0xfffd
	s_delay_alu instid0(VALU_DEP_1) | instskip(NEXT) | instid1(VALU_DEP_1)
	v_div_fmas_f32 v2, v2, v18, v20
	v_div_fixup_f32 v18, v2, v1, 1.0
	s_delay_alu instid0(VALU_DEP_1)
	v_xor_b32_e32 v20, 0x80000000, v18
	v_mul_f32_e64 v19, v19, -v18
.LBB70_17:
	s_wait_alu 0xfffe
	s_or_b32 exec_lo, exec_lo, s1
	scratch_store_b64 v22, v[18:19], off
	scratch_load_b64 v[23:24], off, off offset:8
	v_xor_b32_e32 v21, 0x80000000, v19
	v_add_nc_u32_e32 v1, 64, v3
	s_wait_loadcnt 0x0
	ds_store_2addr_b64 v3, v[20:21], v[23:24] offset1:8
	s_wait_storecnt_dscnt 0x0
	s_barrier_signal -1
	s_barrier_wait -1
	global_inv scope:SCOPE_SE
	s_and_saveexec_b32 s1, s0
	s_cbranch_execz .LBB70_19
; %bb.18:
	scratch_load_b64 v[18:19], v22, off
	ds_load_b64 v[20:21], v1
	v_mov_b32_e32 v2, 0
	ds_load_b64 v[23:24], v2 offset:8
	s_wait_loadcnt_dscnt 0x1
	v_mul_f32_e32 v2, v20, v19
	v_mul_f32_e32 v19, v21, v19
	s_delay_alu instid0(VALU_DEP_2) | instskip(NEXT) | instid1(VALU_DEP_2)
	v_fmac_f32_e32 v2, v21, v18
	v_fma_f32 v18, v20, v18, -v19
	s_delay_alu instid0(VALU_DEP_2) | instskip(NEXT) | instid1(VALU_DEP_2)
	v_add_f32_e32 v2, 0, v2
	v_add_f32_e32 v18, 0, v18
	s_wait_dscnt 0x0
	s_delay_alu instid0(VALU_DEP_2) | instskip(NEXT) | instid1(VALU_DEP_2)
	v_mul_f32_e32 v20, v2, v24
	v_mul_f32_e32 v19, v18, v24
	s_delay_alu instid0(VALU_DEP_1) | instskip(NEXT) | instid1(VALU_DEP_3)
	v_fmac_f32_e32 v19, v2, v23
	v_fma_f32 v18, v18, v23, -v20
	scratch_store_b64 off, v[18:19], off offset:8
.LBB70_19:
	s_wait_alu 0xfffe
	s_or_b32 exec_lo, exec_lo, s1
	s_wait_loadcnt 0x0
	s_wait_storecnt 0x0
	s_barrier_signal -1
	s_barrier_wait -1
	global_inv scope:SCOPE_SE
	scratch_load_b64 v[18:19], off, off offset:16
	s_mov_b32 s1, exec_lo
	s_wait_loadcnt 0x0
	ds_store_b64 v1, v[18:19]
	s_wait_dscnt 0x0
	s_barrier_signal -1
	s_barrier_wait -1
	global_inv scope:SCOPE_SE
	v_cmpx_gt_u32_e32 2, v0
	s_cbranch_execz .LBB70_23
; %bb.20:
	scratch_load_b64 v[18:19], v22, off
	ds_load_b64 v[20:21], v1
	s_wait_loadcnt_dscnt 0x0
	v_mul_f32_e32 v2, v21, v19
	s_delay_alu instid0(VALU_DEP_1) | instskip(SKIP_1) | instid1(VALU_DEP_1)
	v_fma_f32 v2, v20, v18, -v2
	v_mul_f32_e32 v19, v20, v19
	v_fmac_f32_e32 v19, v21, v18
	s_delay_alu instid0(VALU_DEP_3) | instskip(NEXT) | instid1(VALU_DEP_2)
	v_add_f32_e32 v18, 0, v2
	v_add_f32_e32 v2, 0, v19
	s_and_saveexec_b32 s4, s0
	s_cbranch_execz .LBB70_22
; %bb.21:
	scratch_load_b64 v[19:20], off, off offset:8
	v_mov_b32_e32 v21, 0
	ds_load_b64 v[23:24], v21 offset:72
	s_wait_loadcnt_dscnt 0x0
	v_mul_f32_e32 v21, v23, v20
	v_mul_f32_e32 v20, v24, v20
	s_delay_alu instid0(VALU_DEP_2) | instskip(NEXT) | instid1(VALU_DEP_2)
	v_fmac_f32_e32 v21, v24, v19
	v_fma_f32 v19, v23, v19, -v20
	s_delay_alu instid0(VALU_DEP_2) | instskip(NEXT) | instid1(VALU_DEP_2)
	v_add_f32_e32 v2, v2, v21
	v_add_f32_e32 v18, v18, v19
.LBB70_22:
	s_wait_alu 0xfffe
	s_or_b32 exec_lo, exec_lo, s4
	v_mov_b32_e32 v19, 0
	ds_load_b64 v[19:20], v19 offset:16
	s_wait_dscnt 0x0
	v_mul_f32_e32 v23, v2, v20
	v_mul_f32_e32 v21, v18, v20
	s_delay_alu instid0(VALU_DEP_2) | instskip(NEXT) | instid1(VALU_DEP_2)
	v_fma_f32 v20, v18, v19, -v23
	v_fmac_f32_e32 v21, v2, v19
	scratch_store_b64 off, v[20:21], off offset:16
.LBB70_23:
	s_wait_alu 0xfffe
	s_or_b32 exec_lo, exec_lo, s1
	s_wait_loadcnt 0x0
	s_wait_storecnt 0x0
	s_barrier_signal -1
	s_barrier_wait -1
	global_inv scope:SCOPE_SE
	scratch_load_b64 v[18:19], off, off offset:24
	v_add_nc_u32_e32 v2, -1, v0
	s_mov_b32 s0, exec_lo
	s_wait_loadcnt 0x0
	ds_store_b64 v1, v[18:19]
	s_wait_dscnt 0x0
	s_barrier_signal -1
	s_barrier_wait -1
	global_inv scope:SCOPE_SE
	v_cmpx_gt_u32_e32 3, v0
	s_cbranch_execz .LBB70_27
; %bb.24:
	v_dual_mov_b32 v18, 0 :: v_dual_add_nc_u32 v19, -1, v0
	v_dual_mov_b32 v21, v3 :: v_dual_add_nc_u32 v20, 64, v3
	v_mov_b32_e32 v23, 0
	s_mov_b32 s1, 0
.LBB70_25:                              ; =>This Inner Loop Header: Depth=1
	scratch_load_b64 v[24:25], v21, off
	ds_load_b64 v[26:27], v20
	v_add_nc_u32_e32 v21, 8, v21
	v_add_nc_u32_e32 v19, 1, v19
	;; [unrolled: 1-line block ×3, first 2 shown]
	s_delay_alu instid0(VALU_DEP_2)
	v_cmp_lt_u32_e32 vcc_lo, 1, v19
	s_wait_alu 0xfffe
	s_or_b32 s1, vcc_lo, s1
	s_wait_loadcnt_dscnt 0x0
	v_mul_f32_e32 v28, v27, v25
	v_mul_f32_e32 v25, v26, v25
	s_delay_alu instid0(VALU_DEP_2) | instskip(NEXT) | instid1(VALU_DEP_2)
	v_fma_f32 v26, v26, v24, -v28
	v_fmac_f32_e32 v25, v27, v24
	s_delay_alu instid0(VALU_DEP_1)
	v_dual_add_f32 v23, v23, v26 :: v_dual_add_f32 v18, v18, v25
	s_wait_alu 0xfffe
	s_and_not1_b32 exec_lo, exec_lo, s1
	s_cbranch_execnz .LBB70_25
; %bb.26:
	s_or_b32 exec_lo, exec_lo, s1
	v_mov_b32_e32 v19, 0
	ds_load_b64 v[19:20], v19 offset:24
	s_wait_dscnt 0x0
	v_mul_f32_e32 v24, v18, v20
	v_mul_f32_e32 v21, v23, v20
	s_delay_alu instid0(VALU_DEP_2) | instskip(NEXT) | instid1(VALU_DEP_2)
	v_fma_f32 v20, v23, v19, -v24
	v_fmac_f32_e32 v21, v18, v19
	scratch_store_b64 off, v[20:21], off offset:24
.LBB70_27:
	s_wait_alu 0xfffe
	s_or_b32 exec_lo, exec_lo, s0
	s_wait_loadcnt 0x0
	s_wait_storecnt 0x0
	s_barrier_signal -1
	s_barrier_wait -1
	global_inv scope:SCOPE_SE
	scratch_load_b64 v[18:19], off, off offset:32
	s_mov_b32 s0, exec_lo
	s_wait_loadcnt 0x0
	ds_store_b64 v1, v[18:19]
	s_wait_dscnt 0x0
	s_barrier_signal -1
	s_barrier_wait -1
	global_inv scope:SCOPE_SE
	v_cmpx_gt_u32_e32 4, v0
	s_cbranch_execz .LBB70_31
; %bb.28:
	v_dual_mov_b32 v18, 0 :: v_dual_add_nc_u32 v19, -1, v0
	v_dual_mov_b32 v21, v3 :: v_dual_add_nc_u32 v20, 64, v3
	v_mov_b32_e32 v23, 0
	s_mov_b32 s1, 0
.LBB70_29:                              ; =>This Inner Loop Header: Depth=1
	scratch_load_b64 v[24:25], v21, off
	ds_load_b64 v[26:27], v20
	v_add_nc_u32_e32 v21, 8, v21
	v_add_nc_u32_e32 v19, 1, v19
	;; [unrolled: 1-line block ×3, first 2 shown]
	s_delay_alu instid0(VALU_DEP_2)
	v_cmp_lt_u32_e32 vcc_lo, 2, v19
	s_wait_alu 0xfffe
	s_or_b32 s1, vcc_lo, s1
	s_wait_loadcnt_dscnt 0x0
	v_mul_f32_e32 v28, v27, v25
	v_mul_f32_e32 v25, v26, v25
	s_delay_alu instid0(VALU_DEP_2) | instskip(NEXT) | instid1(VALU_DEP_2)
	v_fma_f32 v26, v26, v24, -v28
	v_fmac_f32_e32 v25, v27, v24
	s_delay_alu instid0(VALU_DEP_1)
	v_dual_add_f32 v23, v23, v26 :: v_dual_add_f32 v18, v18, v25
	s_wait_alu 0xfffe
	s_and_not1_b32 exec_lo, exec_lo, s1
	s_cbranch_execnz .LBB70_29
; %bb.30:
	s_or_b32 exec_lo, exec_lo, s1
	v_mov_b32_e32 v19, 0
	ds_load_b64 v[19:20], v19 offset:32
	s_wait_dscnt 0x0
	v_mul_f32_e32 v24, v18, v20
	v_mul_f32_e32 v21, v23, v20
	s_delay_alu instid0(VALU_DEP_2) | instskip(NEXT) | instid1(VALU_DEP_2)
	v_fma_f32 v20, v23, v19, -v24
	v_fmac_f32_e32 v21, v18, v19
	scratch_store_b64 off, v[20:21], off offset:32
.LBB70_31:
	s_wait_alu 0xfffe
	s_or_b32 exec_lo, exec_lo, s0
	s_wait_loadcnt 0x0
	s_wait_storecnt 0x0
	s_barrier_signal -1
	s_barrier_wait -1
	global_inv scope:SCOPE_SE
	scratch_load_b64 v[18:19], off, off offset:40
	s_mov_b32 s0, exec_lo
	s_wait_loadcnt 0x0
	ds_store_b64 v1, v[18:19]
	s_wait_dscnt 0x0
	s_barrier_signal -1
	s_barrier_wait -1
	global_inv scope:SCOPE_SE
	v_cmpx_gt_u32_e32 5, v0
	s_cbranch_execz .LBB70_35
; %bb.32:
	v_add_nc_u32_e32 v18, -1, v0
	v_dual_mov_b32 v20, v3 :: v_dual_add_nc_u32 v19, 64, v3
	v_mov_b32_e32 v3, 0
	v_mov_b32_e32 v21, 0
	s_mov_b32 s1, 0
.LBB70_33:                              ; =>This Inner Loop Header: Depth=1
	scratch_load_b64 v[23:24], v20, off
	ds_load_b64 v[25:26], v19
	v_add_nc_u32_e32 v20, 8, v20
	v_add_nc_u32_e32 v18, 1, v18
	;; [unrolled: 1-line block ×3, first 2 shown]
	s_delay_alu instid0(VALU_DEP_2)
	v_cmp_lt_u32_e32 vcc_lo, 3, v18
	s_wait_alu 0xfffe
	s_or_b32 s1, vcc_lo, s1
	s_wait_loadcnt_dscnt 0x0
	v_mul_f32_e32 v27, v26, v24
	v_mul_f32_e32 v24, v25, v24
	s_delay_alu instid0(VALU_DEP_2) | instskip(NEXT) | instid1(VALU_DEP_1)
	v_fma_f32 v25, v25, v23, -v27
	v_dual_fmac_f32 v24, v26, v23 :: v_dual_add_f32 v21, v21, v25
	s_delay_alu instid0(VALU_DEP_1)
	v_add_f32_e32 v3, v3, v24
	s_wait_alu 0xfffe
	s_and_not1_b32 exec_lo, exec_lo, s1
	s_cbranch_execnz .LBB70_33
; %bb.34:
	s_or_b32 exec_lo, exec_lo, s1
	v_mov_b32_e32 v18, 0
	ds_load_b64 v[18:19], v18 offset:40
	s_wait_dscnt 0x0
	v_mul_f32_e32 v23, v3, v19
	v_mul_f32_e32 v20, v21, v19
	s_delay_alu instid0(VALU_DEP_2) | instskip(NEXT) | instid1(VALU_DEP_2)
	v_fma_f32 v19, v21, v18, -v23
	v_fmac_f32_e32 v20, v3, v18
	scratch_store_b64 off, v[19:20], off offset:40
.LBB70_35:
	s_wait_alu 0xfffe
	s_or_b32 exec_lo, exec_lo, s0
	s_wait_loadcnt 0x0
	s_wait_storecnt 0x0
	s_barrier_signal -1
	s_barrier_wait -1
	global_inv scope:SCOPE_SE
	scratch_load_b64 v[18:19], off, off offset:48
	s_mov_b32 s0, exec_lo
	s_wait_loadcnt 0x0
	ds_store_b64 v1, v[18:19]
	s_wait_dscnt 0x0
	s_barrier_signal -1
	s_barrier_wait -1
	global_inv scope:SCOPE_SE
	v_cmpx_ne_u32_e32 6, v0
	s_cbranch_execz .LBB70_39
; %bb.36:
	v_dual_mov_b32 v3, 0 :: v_dual_mov_b32 v18, 0
	s_mov_b32 s1, 0
.LBB70_37:                              ; =>This Inner Loop Header: Depth=1
	scratch_load_b64 v[19:20], v22, off
	ds_load_b64 v[23:24], v1
	v_add_nc_u32_e32 v2, 1, v2
	v_add_nc_u32_e32 v1, 8, v1
	s_delay_alu instid0(VALU_DEP_2)
	v_cmp_lt_u32_e32 vcc_lo, 4, v2
	s_wait_alu 0xfffe
	s_or_b32 s1, vcc_lo, s1
	s_wait_loadcnt_dscnt 0x0
	v_mul_f32_e32 v21, v24, v20
	v_mul_f32_e32 v20, v23, v20
	s_delay_alu instid0(VALU_DEP_2) | instskip(NEXT) | instid1(VALU_DEP_2)
	v_fma_f32 v21, v23, v19, -v21
	v_fmac_f32_e32 v20, v24, v19
	v_add_nc_u32_e32 v22, 8, v22
	s_delay_alu instid0(VALU_DEP_2)
	v_dual_add_f32 v18, v18, v21 :: v_dual_add_f32 v3, v3, v20
	s_wait_alu 0xfffe
	s_and_not1_b32 exec_lo, exec_lo, s1
	s_cbranch_execnz .LBB70_37
; %bb.38:
	s_or_b32 exec_lo, exec_lo, s1
	v_mov_b32_e32 v1, 0
	ds_load_b64 v[1:2], v1 offset:48
	s_wait_dscnt 0x0
	v_mul_f32_e32 v20, v3, v2
	v_mul_f32_e32 v19, v18, v2
	s_delay_alu instid0(VALU_DEP_2) | instskip(NEXT) | instid1(VALU_DEP_2)
	v_fma_f32 v18, v18, v1, -v20
	v_fmac_f32_e32 v19, v3, v1
	scratch_store_b64 off, v[18:19], off offset:48
.LBB70_39:
	s_wait_alu 0xfffe
	s_or_b32 exec_lo, exec_lo, s0
	s_mov_b32 s1, -1
	s_wait_loadcnt 0x0
	s_wait_storecnt 0x0
	s_barrier_signal -1
	s_barrier_wait -1
	global_inv scope:SCOPE_SE
.LBB70_40:
	s_wait_alu 0xfffe
	s_and_b32 vcc_lo, exec_lo, s1
	s_wait_alu 0xfffe
	s_cbranch_vccz .LBB70_42
; %bb.41:
	v_mov_b32_e32 v1, 0
	s_lshl_b64 s[0:1], s[8:9], 2
	s_wait_alu 0xfffe
	s_add_nc_u64 s[0:1], s[6:7], s[0:1]
	global_load_b32 v1, v1, s[0:1]
	s_wait_loadcnt 0x0
	v_cmp_ne_u32_e32 vcc_lo, 0, v1
	s_cbranch_vccz .LBB70_43
.LBB70_42:
	s_endpgm
.LBB70_43:
	v_lshl_add_u32 v3, v0, 3, 64
	s_mov_b32 s0, exec_lo
	v_cmpx_eq_u32_e32 6, v0
	s_cbranch_execz .LBB70_45
; %bb.44:
	scratch_load_b64 v[1:2], off, off offset:40
	v_mov_b32_e32 v18, 0
	s_delay_alu instid0(VALU_DEP_1)
	v_mov_b32_e32 v19, v18
	scratch_store_b64 off, v[18:19], off offset:40
	s_wait_loadcnt 0x0
	ds_store_b64 v3, v[1:2]
.LBB70_45:
	s_wait_alu 0xfffe
	s_or_b32 exec_lo, exec_lo, s0
	s_wait_storecnt_dscnt 0x0
	s_barrier_signal -1
	s_barrier_wait -1
	global_inv scope:SCOPE_SE
	s_clause 0x1
	scratch_load_b64 v[18:19], off, off offset:48
	scratch_load_b64 v[20:21], off, off offset:40
	v_mov_b32_e32 v1, 0
	s_mov_b32 s0, exec_lo
	ds_load_b64 v[22:23], v1 offset:112
	s_wait_loadcnt_dscnt 0x100
	v_mul_f32_e32 v2, v23, v19
	s_delay_alu instid0(VALU_DEP_1) | instskip(NEXT) | instid1(VALU_DEP_1)
	v_fma_f32 v2, v22, v18, -v2
	v_dual_mul_f32 v19, v22, v19 :: v_dual_add_f32 v2, 0, v2
	s_delay_alu instid0(VALU_DEP_1) | instskip(SKIP_1) | instid1(VALU_DEP_1)
	v_fmac_f32_e32 v19, v23, v18
	s_wait_loadcnt 0x0
	v_dual_sub_f32 v18, v20, v2 :: v_dual_add_f32 v19, 0, v19
	s_delay_alu instid0(VALU_DEP_1)
	v_sub_f32_e32 v19, v21, v19
	scratch_store_b64 off, v[18:19], off offset:40
	v_cmpx_lt_u32_e32 4, v0
	s_cbranch_execz .LBB70_47
; %bb.46:
	scratch_load_b64 v[18:19], off, off offset:32
	v_mov_b32_e32 v2, v1
	scratch_store_b64 off, v[1:2], off offset:32
	s_wait_loadcnt 0x0
	ds_store_b64 v3, v[18:19]
.LBB70_47:
	s_wait_alu 0xfffe
	s_or_b32 exec_lo, exec_lo, s0
	s_wait_storecnt_dscnt 0x0
	s_barrier_signal -1
	s_barrier_wait -1
	global_inv scope:SCOPE_SE
	s_clause 0x1
	scratch_load_b128 v[18:21], off, off offset:40
	scratch_load_b64 v[26:27], off, off offset:32
	ds_load_2addr_b64 v[22:25], v1 offset0:13 offset1:14
	s_mov_b32 s0, exec_lo
	s_wait_loadcnt_dscnt 0x100
	v_mul_f32_e32 v2, v22, v19
	s_delay_alu instid0(VALU_DEP_1) | instskip(SKIP_2) | instid1(VALU_DEP_1)
	v_fmac_f32_e32 v2, v23, v18
	v_mul_f32_e32 v1, v23, v19
	v_mul_f32_e32 v19, v24, v21
	v_dual_fmac_f32 v19, v25, v20 :: v_dual_add_f32 v2, 0, v2
	v_mul_f32_e32 v21, v25, v21
	s_delay_alu instid0(VALU_DEP_4) | instskip(NEXT) | instid1(VALU_DEP_3)
	v_fma_f32 v1, v22, v18, -v1
	v_add_f32_e32 v2, v2, v19
	s_delay_alu instid0(VALU_DEP_3) | instskip(SKIP_1) | instid1(VALU_DEP_2)
	v_fma_f32 v18, v24, v20, -v21
	s_wait_loadcnt 0x0
	v_dual_add_f32 v1, 0, v1 :: v_dual_sub_f32 v2, v27, v2
	s_delay_alu instid0(VALU_DEP_1) | instskip(NEXT) | instid1(VALU_DEP_1)
	v_add_f32_e32 v1, v1, v18
	v_sub_f32_e32 v1, v26, v1
	scratch_store_b64 off, v[1:2], off offset:32
	v_cmpx_lt_u32_e32 3, v0
	s_cbranch_execz .LBB70_49
; %bb.48:
	scratch_load_b64 v[1:2], off, off offset:24
	v_mov_b32_e32 v18, 0
	s_delay_alu instid0(VALU_DEP_1)
	v_mov_b32_e32 v19, v18
	scratch_store_b64 off, v[18:19], off offset:24
	s_wait_loadcnt 0x0
	ds_store_b64 v3, v[1:2]
.LBB70_49:
	s_wait_alu 0xfffe
	s_or_b32 exec_lo, exec_lo, s0
	s_wait_storecnt_dscnt 0x0
	s_barrier_signal -1
	s_barrier_wait -1
	global_inv scope:SCOPE_SE
	s_clause 0x2
	scratch_load_b128 v[18:21], off, off offset:32
	scratch_load_b64 v[26:27], off, off offset:48
	scratch_load_b64 v[28:29], off, off offset:24
	v_mov_b32_e32 v1, 0
	ds_load_b128 v[22:25], v1 offset:96
	ds_load_b64 v[30:31], v1 offset:112
	s_mov_b32 s0, exec_lo
	s_wait_loadcnt_dscnt 0x201
	v_mul_f32_e32 v2, v23, v19
	v_dual_mul_f32 v19, v22, v19 :: v_dual_mul_f32 v32, v24, v21
	v_mul_f32_e32 v21, v25, v21
	s_wait_loadcnt_dscnt 0x100
	v_mul_f32_e32 v33, v30, v27
	v_fma_f32 v2, v22, v18, -v2
	s_delay_alu instid0(VALU_DEP_2) | instskip(NEXT) | instid1(VALU_DEP_2)
	v_dual_fmac_f32 v32, v25, v20 :: v_dual_fmac_f32 v33, v31, v26
	v_add_f32_e32 v2, 0, v2
	v_fmac_f32_e32 v19, v23, v18
	v_mul_f32_e32 v18, v31, v27
	v_fma_f32 v20, v24, v20, -v21
	s_delay_alu instid0(VALU_DEP_2) | instskip(NEXT) | instid1(VALU_DEP_2)
	v_fma_f32 v18, v30, v26, -v18
	v_dual_add_f32 v2, v2, v20 :: v_dual_add_f32 v19, 0, v19
	s_delay_alu instid0(VALU_DEP_1) | instskip(SKIP_1) | instid1(VALU_DEP_1)
	v_dual_add_f32 v2, v2, v18 :: v_dual_add_f32 v19, v19, v32
	s_wait_loadcnt 0x0
	v_dual_sub_f32 v18, v28, v2 :: v_dual_add_f32 v19, v19, v33
	s_delay_alu instid0(VALU_DEP_1)
	v_sub_f32_e32 v19, v29, v19
	scratch_store_b64 off, v[18:19], off offset:24
	v_cmpx_lt_u32_e32 2, v0
	s_cbranch_execz .LBB70_51
; %bb.50:
	scratch_load_b64 v[18:19], off, off offset:16
	v_mov_b32_e32 v2, v1
	scratch_store_b64 off, v[1:2], off offset:16
	s_wait_loadcnt 0x0
	ds_store_b64 v3, v[18:19]
.LBB70_51:
	s_wait_alu 0xfffe
	s_or_b32 exec_lo, exec_lo, s0
	s_wait_storecnt_dscnt 0x0
	s_barrier_signal -1
	s_barrier_wait -1
	global_inv scope:SCOPE_SE
	s_clause 0x2
	scratch_load_b128 v[18:21], off, off offset:24
	scratch_load_b128 v[22:25], off, off offset:40
	scratch_load_b64 v[34:35], off, off offset:16
	ds_load_2addr_b64 v[26:29], v1 offset0:11 offset1:12
	ds_load_2addr_b64 v[30:33], v1 offset0:13 offset1:14
	s_mov_b32 s0, exec_lo
	s_wait_loadcnt_dscnt 0x201
	v_mul_f32_e32 v2, v27, v19
	s_wait_loadcnt_dscnt 0x100
	v_dual_mul_f32 v36, v30, v23 :: v_dual_mul_f32 v37, v32, v25
	s_delay_alu instid0(VALU_DEP_2) | instskip(SKIP_2) | instid1(VALU_DEP_4)
	v_fma_f32 v2, v26, v18, -v2
	v_mul_f32_e32 v1, v26, v19
	v_mul_f32_e32 v19, v28, v21
	v_dual_mul_f32 v21, v29, v21 :: v_dual_fmac_f32 v36, v31, v22
	s_delay_alu instid0(VALU_DEP_4) | instskip(NEXT) | instid1(VALU_DEP_4)
	v_add_f32_e32 v2, 0, v2
	v_fmac_f32_e32 v1, v27, v18
	s_delay_alu instid0(VALU_DEP_4) | instskip(NEXT) | instid1(VALU_DEP_4)
	v_dual_mul_f32 v18, v31, v23 :: v_dual_fmac_f32 v19, v29, v20
	v_fma_f32 v20, v28, v20, -v21
	v_fmac_f32_e32 v37, v33, v24
	s_delay_alu instid0(VALU_DEP_3) | instskip(NEXT) | instid1(VALU_DEP_3)
	v_fma_f32 v18, v30, v22, -v18
	v_dual_add_f32 v2, v2, v20 :: v_dual_add_f32 v1, 0, v1
	s_delay_alu instid0(VALU_DEP_1) | instskip(NEXT) | instid1(VALU_DEP_2)
	v_dual_add_f32 v2, v2, v18 :: v_dual_mul_f32 v21, v33, v25
	v_add_f32_e32 v1, v1, v19
	s_delay_alu instid0(VALU_DEP_2) | instskip(NEXT) | instid1(VALU_DEP_1)
	v_fma_f32 v19, v32, v24, -v21
	v_dual_add_f32 v1, v1, v36 :: v_dual_add_f32 v2, v2, v19
	s_wait_loadcnt 0x0
	s_delay_alu instid0(VALU_DEP_1) | instskip(NEXT) | instid1(VALU_DEP_1)
	v_dual_add_f32 v18, v1, v37 :: v_dual_sub_f32 v1, v34, v2
	v_sub_f32_e32 v2, v35, v18
	scratch_store_b64 off, v[1:2], off offset:16
	v_cmpx_lt_u32_e32 1, v0
	s_cbranch_execz .LBB70_53
; %bb.52:
	scratch_load_b64 v[1:2], off, off offset:8
	v_mov_b32_e32 v18, 0
	s_delay_alu instid0(VALU_DEP_1)
	v_mov_b32_e32 v19, v18
	scratch_store_b64 off, v[18:19], off offset:8
	s_wait_loadcnt 0x0
	ds_store_b64 v3, v[1:2]
.LBB70_53:
	s_wait_alu 0xfffe
	s_or_b32 exec_lo, exec_lo, s0
	s_wait_storecnt_dscnt 0x0
	s_barrier_signal -1
	s_barrier_wait -1
	global_inv scope:SCOPE_SE
	s_clause 0x3
	scratch_load_b128 v[19:22], off, off offset:16
	scratch_load_b128 v[23:26], off, off offset:32
	scratch_load_b64 v[1:2], off, off offset:48
	scratch_load_b64 v[35:36], off, off offset:8
	v_mov_b32_e32 v18, 0
	ds_load_b128 v[27:30], v18 offset:80
	ds_load_b128 v[31:34], v18 offset:96
	ds_load_b64 v[37:38], v18 offset:112
	s_mov_b32 s0, exec_lo
	s_wait_loadcnt_dscnt 0x302
	v_mul_f32_e32 v39, v27, v20
	s_wait_loadcnt_dscnt 0x100
	v_dual_mul_f32 v20, v28, v20 :: v_dual_mul_f32 v43, v37, v2
	v_dual_mul_f32 v40, v29, v22 :: v_dual_mul_f32 v41, v31, v24
	s_delay_alu instid0(VALU_DEP_3) | instskip(SKIP_1) | instid1(VALU_DEP_4)
	v_dual_mul_f32 v42, v33, v26 :: v_dual_fmac_f32 v39, v28, v19
	v_mul_f32_e32 v22, v30, v22
	v_fma_f32 v20, v27, v19, -v20
	s_delay_alu instid0(VALU_DEP_4) | instskip(SKIP_1) | instid1(VALU_DEP_4)
	v_dual_mul_f32 v19, v32, v24 :: v_dual_fmac_f32 v40, v30, v21
	v_fmac_f32_e32 v41, v32, v23
	v_fma_f32 v21, v29, v21, -v22
	s_delay_alu instid0(VALU_DEP_4) | instskip(SKIP_3) | instid1(VALU_DEP_4)
	v_dual_add_f32 v20, 0, v20 :: v_dual_fmac_f32 v43, v38, v1
	v_fmac_f32_e32 v42, v34, v25
	v_add_f32_e32 v22, 0, v39
	v_fma_f32 v19, v31, v23, -v19
	v_add_f32_e32 v20, v20, v21
	v_mul_f32_e32 v2, v38, v2
	s_delay_alu instid0(VALU_DEP_4) | instskip(NEXT) | instid1(VALU_DEP_3)
	v_add_f32_e32 v21, v22, v40
	v_dual_mul_f32 v24, v34, v26 :: v_dual_add_f32 v19, v20, v19
	s_delay_alu instid0(VALU_DEP_3) | instskip(NEXT) | instid1(VALU_DEP_3)
	v_fma_f32 v1, v37, v1, -v2
	v_add_f32_e32 v20, v21, v41
	s_delay_alu instid0(VALU_DEP_3) | instskip(NEXT) | instid1(VALU_DEP_1)
	v_fma_f32 v22, v33, v25, -v24
	v_add_f32_e32 v2, v19, v22
	s_delay_alu instid0(VALU_DEP_3) | instskip(NEXT) | instid1(VALU_DEP_1)
	v_add_f32_e32 v19, v20, v42
	v_dual_add_f32 v1, v2, v1 :: v_dual_add_f32 v2, v19, v43
	s_wait_loadcnt 0x0
	s_delay_alu instid0(VALU_DEP_1)
	v_dual_sub_f32 v1, v35, v1 :: v_dual_sub_f32 v2, v36, v2
	scratch_store_b64 off, v[1:2], off offset:8
	v_cmpx_ne_u32_e32 0, v0
	s_cbranch_execz .LBB70_55
; %bb.54:
	scratch_load_b64 v[0:1], off, off
	v_mov_b32_e32 v19, v18
	scratch_store_b64 off, v[18:19], off
	s_wait_loadcnt 0x0
	ds_store_b64 v3, v[0:1]
.LBB70_55:
	s_wait_alu 0xfffe
	s_or_b32 exec_lo, exec_lo, s0
	s_wait_storecnt_dscnt 0x0
	s_barrier_signal -1
	s_barrier_wait -1
	global_inv scope:SCOPE_SE
	s_clause 0x3
	scratch_load_b128 v[19:22], off, off offset:8
	scratch_load_b128 v[23:26], off, off offset:24
	;; [unrolled: 1-line block ×3, first 2 shown]
	scratch_load_b64 v[39:40], off, off
	ds_load_2addr_b64 v[27:30], v18 offset0:9 offset1:10
	ds_load_2addr_b64 v[31:34], v18 offset0:11 offset1:12
	;; [unrolled: 1-line block ×3, first 2 shown]
	s_and_b32 vcc_lo, exec_lo, s12
	s_wait_loadcnt_dscnt 0x302
	v_dual_mul_f32 v18, v27, v20 :: v_dual_mul_f32 v41, v29, v22
	s_wait_loadcnt_dscnt 0x100
	v_dual_mul_f32 v20, v28, v20 :: v_dual_mul_f32 v45, v37, v3
	v_mul_f32_e32 v22, v30, v22
	v_dual_mul_f32 v42, v31, v24 :: v_dual_mul_f32 v43, v33, v26
	s_delay_alu instid0(VALU_DEP_3)
	v_fma_f32 v20, v27, v19, -v20
	v_mul_f32_e32 v44, v35, v1
	v_dual_fmac_f32 v18, v28, v19 :: v_dual_fmac_f32 v41, v30, v21
	v_mul_f32_e32 v19, v32, v24
	v_fma_f32 v21, v29, v21, -v22
	v_dual_add_f32 v20, 0, v20 :: v_dual_fmac_f32 v43, v34, v25
	v_mul_f32_e32 v3, v38, v3
	s_delay_alu instid0(VALU_DEP_4) | instskip(SKIP_1) | instid1(VALU_DEP_4)
	v_fma_f32 v19, v31, v23, -v19
	v_dual_fmac_f32 v44, v36, v0 :: v_dual_fmac_f32 v45, v38, v2
	v_add_f32_e32 v20, v20, v21
	v_dual_mul_f32 v21, v36, v1 :: v_dual_add_f32 v18, 0, v18
	v_fma_f32 v2, v37, v2, -v3
	s_delay_alu instid0(VALU_DEP_3) | instskip(NEXT) | instid1(VALU_DEP_3)
	v_add_f32_e32 v19, v20, v19
	v_fma_f32 v20, v35, v0, -v21
	v_mul_f32_e32 v22, v34, v26
	v_add_f32_e32 v18, v18, v41
	s_delay_alu instid0(VALU_DEP_2) | instskip(NEXT) | instid1(VALU_DEP_1)
	v_fma_f32 v22, v33, v25, -v22
	v_dual_fmac_f32 v42, v32, v23 :: v_dual_add_f32 v19, v19, v22
	s_delay_alu instid0(VALU_DEP_1) | instskip(NEXT) | instid1(VALU_DEP_1)
	v_dual_add_f32 v18, v18, v42 :: v_dual_add_f32 v3, v19, v20
	v_add_f32_e32 v18, v18, v43
	s_delay_alu instid0(VALU_DEP_1) | instskip(NEXT) | instid1(VALU_DEP_1)
	v_add_f32_e32 v18, v18, v44
	v_dual_add_f32 v2, v3, v2 :: v_dual_add_f32 v3, v18, v45
	s_wait_loadcnt 0x0
	s_delay_alu instid0(VALU_DEP_1)
	v_dual_sub_f32 v2, v39, v2 :: v_dual_sub_f32 v3, v40, v3
	scratch_store_b64 off, v[2:3], off
	s_wait_alu 0xfffe
	s_cbranch_vccz .LBB70_68
; %bb.56:
	v_mov_b32_e32 v2, 0
	global_load_b32 v3, v2, s[2:3] offset:20
	s_wait_loadcnt 0x0
	v_cmp_ne_u32_e32 vcc_lo, 6, v3
	s_cbranch_vccz .LBB70_58
; %bb.57:
	v_lshlrev_b32_e32 v3, 3, v3
	scratch_load_b64 v[18:19], v3, off offset:-8
	s_wait_loadcnt 0x0
	scratch_store_b64 off, v[18:19], off offset:40
	scratch_store_b64 v3, v[0:1], off offset:-8
.LBB70_58:
	global_load_b32 v0, v2, s[2:3] offset:16
	s_wait_loadcnt 0x0
	v_cmp_eq_u32_e32 vcc_lo, 5, v0
	s_cbranch_vccnz .LBB70_60
; %bb.59:
	v_lshlrev_b32_e32 v0, 3, v0
	s_delay_alu instid0(VALU_DEP_1)
	v_mov_b32_e32 v18, v0
	scratch_load_b64 v[0:1], v18, off offset:-8
	scratch_load_b64 v[2:3], off, off offset:32
	s_wait_loadcnt 0x1
	scratch_store_b64 off, v[0:1], off offset:32
	s_wait_loadcnt 0x0
	scratch_store_b64 v18, v[2:3], off offset:-8
.LBB70_60:
	v_mov_b32_e32 v0, 0
	global_load_b32 v1, v0, s[2:3] offset:12
	s_wait_loadcnt 0x0
	v_cmp_eq_u32_e32 vcc_lo, 4, v1
	s_cbranch_vccnz .LBB70_62
; %bb.61:
	v_lshlrev_b32_e32 v1, 3, v1
	s_delay_alu instid0(VALU_DEP_1)
	v_mov_b32_e32 v3, v1
	scratch_load_b64 v[1:2], v3, off offset:-8
	scratch_load_b64 v[18:19], off, off offset:24
	s_wait_loadcnt 0x1
	scratch_store_b64 off, v[1:2], off offset:24
	s_wait_loadcnt 0x0
	scratch_store_b64 v3, v[18:19], off offset:-8
.LBB70_62:
	global_load_b32 v0, v0, s[2:3] offset:8
	s_wait_loadcnt 0x0
	v_cmp_eq_u32_e32 vcc_lo, 3, v0
	s_cbranch_vccnz .LBB70_64
; %bb.63:
	v_lshlrev_b32_e32 v0, 3, v0
	s_delay_alu instid0(VALU_DEP_1)
	v_mov_b32_e32 v18, v0
	scratch_load_b64 v[0:1], v18, off offset:-8
	scratch_load_b64 v[2:3], off, off offset:16
	s_wait_loadcnt 0x1
	scratch_store_b64 off, v[0:1], off offset:16
	s_wait_loadcnt 0x0
	scratch_store_b64 v18, v[2:3], off offset:-8
.LBB70_64:
	v_mov_b32_e32 v0, 0
	global_load_b32 v1, v0, s[2:3] offset:4
	s_wait_loadcnt 0x0
	v_cmp_eq_u32_e32 vcc_lo, 2, v1
	s_cbranch_vccnz .LBB70_66
; %bb.65:
	v_lshlrev_b32_e32 v1, 3, v1
	s_delay_alu instid0(VALU_DEP_1)
	v_mov_b32_e32 v3, v1
	scratch_load_b64 v[1:2], v3, off offset:-8
	scratch_load_b64 v[18:19], off, off offset:8
	s_wait_loadcnt 0x1
	scratch_store_b64 off, v[1:2], off offset:8
	s_wait_loadcnt 0x0
	scratch_store_b64 v3, v[18:19], off offset:-8
.LBB70_66:
	global_load_b32 v0, v0, s[2:3]
	s_wait_loadcnt 0x0
	v_cmp_eq_u32_e32 vcc_lo, 1, v0
	s_cbranch_vccnz .LBB70_68
; %bb.67:
	v_lshlrev_b32_e32 v0, 3, v0
	s_delay_alu instid0(VALU_DEP_1)
	v_mov_b32_e32 v18, v0
	scratch_load_b64 v[0:1], v18, off offset:-8
	scratch_load_b64 v[2:3], off, off
	s_wait_loadcnt 0x1
	scratch_store_b64 off, v[0:1], off
	s_wait_loadcnt 0x0
	scratch_store_b64 v18, v[2:3], off offset:-8
.LBB70_68:
	scratch_load_b64 v[0:1], off, off
	s_wait_loadcnt 0x0
	flat_store_b64 v[4:5], v[0:1]
	scratch_load_b64 v[0:1], off, off offset:8
	s_wait_loadcnt 0x0
	flat_store_b64 v[6:7], v[0:1]
	scratch_load_b64 v[0:1], off, off offset:16
	;; [unrolled: 3-line block ×6, first 2 shown]
	s_wait_loadcnt 0x0
	flat_store_b64 v[16:17], v[0:1]
	s_endpgm
	.section	.rodata,"a",@progbits
	.p2align	6, 0x0
	.amdhsa_kernel _ZN9rocsolver6v33100L18getri_kernel_smallILi7E19rocblas_complex_numIfEPKPS3_EEvT1_iilPiilS8_bb
		.amdhsa_group_segment_fixed_size 120
		.amdhsa_private_segment_fixed_size 64
		.amdhsa_kernarg_size 60
		.amdhsa_user_sgpr_count 2
		.amdhsa_user_sgpr_dispatch_ptr 0
		.amdhsa_user_sgpr_queue_ptr 0
		.amdhsa_user_sgpr_kernarg_segment_ptr 1
		.amdhsa_user_sgpr_dispatch_id 0
		.amdhsa_user_sgpr_private_segment_size 0
		.amdhsa_wavefront_size32 1
		.amdhsa_uses_dynamic_stack 0
		.amdhsa_enable_private_segment 1
		.amdhsa_system_sgpr_workgroup_id_x 1
		.amdhsa_system_sgpr_workgroup_id_y 0
		.amdhsa_system_sgpr_workgroup_id_z 0
		.amdhsa_system_sgpr_workgroup_info 0
		.amdhsa_system_vgpr_workitem_id 0
		.amdhsa_next_free_vgpr 46
		.amdhsa_next_free_sgpr 19
		.amdhsa_reserve_vcc 1
		.amdhsa_float_round_mode_32 0
		.amdhsa_float_round_mode_16_64 0
		.amdhsa_float_denorm_mode_32 3
		.amdhsa_float_denorm_mode_16_64 3
		.amdhsa_fp16_overflow 0
		.amdhsa_workgroup_processor_mode 1
		.amdhsa_memory_ordered 1
		.amdhsa_forward_progress 1
		.amdhsa_inst_pref_size 45
		.amdhsa_round_robin_scheduling 0
		.amdhsa_exception_fp_ieee_invalid_op 0
		.amdhsa_exception_fp_denorm_src 0
		.amdhsa_exception_fp_ieee_div_zero 0
		.amdhsa_exception_fp_ieee_overflow 0
		.amdhsa_exception_fp_ieee_underflow 0
		.amdhsa_exception_fp_ieee_inexact 0
		.amdhsa_exception_int_div_zero 0
	.end_amdhsa_kernel
	.section	.text._ZN9rocsolver6v33100L18getri_kernel_smallILi7E19rocblas_complex_numIfEPKPS3_EEvT1_iilPiilS8_bb,"axG",@progbits,_ZN9rocsolver6v33100L18getri_kernel_smallILi7E19rocblas_complex_numIfEPKPS3_EEvT1_iilPiilS8_bb,comdat
.Lfunc_end70:
	.size	_ZN9rocsolver6v33100L18getri_kernel_smallILi7E19rocblas_complex_numIfEPKPS3_EEvT1_iilPiilS8_bb, .Lfunc_end70-_ZN9rocsolver6v33100L18getri_kernel_smallILi7E19rocblas_complex_numIfEPKPS3_EEvT1_iilPiilS8_bb
                                        ; -- End function
	.set _ZN9rocsolver6v33100L18getri_kernel_smallILi7E19rocblas_complex_numIfEPKPS3_EEvT1_iilPiilS8_bb.num_vgpr, 46
	.set _ZN9rocsolver6v33100L18getri_kernel_smallILi7E19rocblas_complex_numIfEPKPS3_EEvT1_iilPiilS8_bb.num_agpr, 0
	.set _ZN9rocsolver6v33100L18getri_kernel_smallILi7E19rocblas_complex_numIfEPKPS3_EEvT1_iilPiilS8_bb.numbered_sgpr, 19
	.set _ZN9rocsolver6v33100L18getri_kernel_smallILi7E19rocblas_complex_numIfEPKPS3_EEvT1_iilPiilS8_bb.num_named_barrier, 0
	.set _ZN9rocsolver6v33100L18getri_kernel_smallILi7E19rocblas_complex_numIfEPKPS3_EEvT1_iilPiilS8_bb.private_seg_size, 64
	.set _ZN9rocsolver6v33100L18getri_kernel_smallILi7E19rocblas_complex_numIfEPKPS3_EEvT1_iilPiilS8_bb.uses_vcc, 1
	.set _ZN9rocsolver6v33100L18getri_kernel_smallILi7E19rocblas_complex_numIfEPKPS3_EEvT1_iilPiilS8_bb.uses_flat_scratch, 1
	.set _ZN9rocsolver6v33100L18getri_kernel_smallILi7E19rocblas_complex_numIfEPKPS3_EEvT1_iilPiilS8_bb.has_dyn_sized_stack, 0
	.set _ZN9rocsolver6v33100L18getri_kernel_smallILi7E19rocblas_complex_numIfEPKPS3_EEvT1_iilPiilS8_bb.has_recursion, 0
	.set _ZN9rocsolver6v33100L18getri_kernel_smallILi7E19rocblas_complex_numIfEPKPS3_EEvT1_iilPiilS8_bb.has_indirect_call, 0
	.section	.AMDGPU.csdata,"",@progbits
; Kernel info:
; codeLenInByte = 5696
; TotalNumSgprs: 21
; NumVgprs: 46
; ScratchSize: 64
; MemoryBound: 0
; FloatMode: 240
; IeeeMode: 1
; LDSByteSize: 120 bytes/workgroup (compile time only)
; SGPRBlocks: 0
; VGPRBlocks: 5
; NumSGPRsForWavesPerEU: 21
; NumVGPRsForWavesPerEU: 46
; Occupancy: 16
; WaveLimiterHint : 1
; COMPUTE_PGM_RSRC2:SCRATCH_EN: 1
; COMPUTE_PGM_RSRC2:USER_SGPR: 2
; COMPUTE_PGM_RSRC2:TRAP_HANDLER: 0
; COMPUTE_PGM_RSRC2:TGID_X_EN: 1
; COMPUTE_PGM_RSRC2:TGID_Y_EN: 0
; COMPUTE_PGM_RSRC2:TGID_Z_EN: 0
; COMPUTE_PGM_RSRC2:TIDIG_COMP_CNT: 0
	.section	.text._ZN9rocsolver6v33100L18getri_kernel_smallILi8E19rocblas_complex_numIfEPKPS3_EEvT1_iilPiilS8_bb,"axG",@progbits,_ZN9rocsolver6v33100L18getri_kernel_smallILi8E19rocblas_complex_numIfEPKPS3_EEvT1_iilPiilS8_bb,comdat
	.globl	_ZN9rocsolver6v33100L18getri_kernel_smallILi8E19rocblas_complex_numIfEPKPS3_EEvT1_iilPiilS8_bb ; -- Begin function _ZN9rocsolver6v33100L18getri_kernel_smallILi8E19rocblas_complex_numIfEPKPS3_EEvT1_iilPiilS8_bb
	.p2align	8
	.type	_ZN9rocsolver6v33100L18getri_kernel_smallILi8E19rocblas_complex_numIfEPKPS3_EEvT1_iilPiilS8_bb,@function
_ZN9rocsolver6v33100L18getri_kernel_smallILi8E19rocblas_complex_numIfEPKPS3_EEvT1_iilPiilS8_bb: ; @_ZN9rocsolver6v33100L18getri_kernel_smallILi8E19rocblas_complex_numIfEPKPS3_EEvT1_iilPiilS8_bb
; %bb.0:
	s_mov_b32 s2, exec_lo
	v_cmpx_gt_u32_e32 8, v0
	s_cbranch_execz .LBB71_46
; %bb.1:
	s_clause 0x1
	s_load_b32 s13, s[0:1], 0x38
	s_load_b64 s[2:3], s[0:1], 0x0
	s_mov_b32 s8, ttmp9
	s_load_b128 s[4:7], s[0:1], 0x28
	s_wait_kmcnt 0x0
	s_bitcmp1_b32 s13, 8
	s_cselect_b32 s12, -1, 0
	s_ashr_i32 s9, ttmp9, 31
	s_delay_alu instid0(SALU_CYCLE_1) | instskip(NEXT) | instid1(SALU_CYCLE_1)
	s_lshl_b64 s[10:11], s[8:9], 3
	s_add_nc_u64 s[2:3], s[2:3], s[10:11]
	s_load_b64 s[10:11], s[2:3], 0x0
	s_bfe_u32 s2, s13, 0x10008
	s_delay_alu instid0(SALU_CYCLE_1)
	s_cmp_eq_u32 s2, 0
                                        ; implicit-def: $sgpr2_sgpr3
	s_cbranch_scc1 .LBB71_3
; %bb.2:
	s_load_b96 s[16:18], s[0:1], 0x18
	s_mul_u64 s[2:3], s[4:5], s[8:9]
	s_delay_alu instid0(SALU_CYCLE_1)
	s_lshl_b64 s[2:3], s[2:3], 2
	s_wait_kmcnt 0x0
	s_ashr_i32 s5, s18, 31
	s_mov_b32 s4, s18
	s_add_nc_u64 s[2:3], s[16:17], s[2:3]
	s_lshl_b64 s[4:5], s[4:5], 2
	s_delay_alu instid0(SALU_CYCLE_1)
	s_add_nc_u64 s[2:3], s[2:3], s[4:5]
.LBB71_3:
	s_clause 0x1
	s_load_b64 s[4:5], s[0:1], 0x8
	s_load_b32 s13, s[0:1], 0x38
	v_lshlrev_b32_e32 v3, 3, v0
	s_wait_kmcnt 0x0
	s_ashr_i32 s1, s4, 31
	s_mov_b32 s0, s4
	v_add3_u32 v10, s5, s5, v0
	s_lshl_b64 s[0:1], s[0:1], 3
	s_delay_alu instid0(SALU_CYCLE_1)
	s_add_nc_u64 s[0:1], s[10:11], s[0:1]
	s_ashr_i32 s11, s5, 31
	v_add_co_u32 v4, s4, s0, v3
	s_wait_alu 0xf1ff
	v_add_co_ci_u32_e64 v5, null, s1, 0, s4
	s_mov_b32 s10, s5
	v_ashrrev_i32_e32 v11, 31, v10
	s_lshl_b64 s[10:11], s[10:11], 3
	flat_load_b64 v[1:2], v[4:5]
	v_add_co_u32 v6, vcc_lo, v4, s10
	s_delay_alu instid0(VALU_DEP_1) | instskip(SKIP_3) | instid1(VALU_DEP_2)
	v_add_co_ci_u32_e64 v7, null, s11, v5, vcc_lo
	v_lshlrev_b64_e32 v[8:9], 3, v[10:11]
	v_add_nc_u32_e32 v12, s5, v10
	s_bitcmp0_b32 s13, 0
	v_add_co_u32 v8, vcc_lo, s0, v8
	s_wait_alu 0xfffd
	s_delay_alu instid0(VALU_DEP_3) | instskip(SKIP_2) | instid1(VALU_DEP_2)
	v_add_co_ci_u32_e64 v9, null, s1, v9, vcc_lo
	v_ashrrev_i32_e32 v13, 31, v12
	v_add_nc_u32_e32 v14, s5, v12
	v_lshlrev_b64_e32 v[10:11], 3, v[12:13]
	s_delay_alu instid0(VALU_DEP_2) | instskip(SKIP_1) | instid1(VALU_DEP_3)
	v_ashrrev_i32_e32 v15, 31, v14
	v_add_nc_u32_e32 v16, s5, v14
	v_add_co_u32 v10, vcc_lo, s0, v10
	s_wait_alu 0xfffd
	s_delay_alu instid0(VALU_DEP_4) | instskip(SKIP_3) | instid1(VALU_DEP_3)
	v_add_co_ci_u32_e64 v11, null, s1, v11, vcc_lo
	v_lshlrev_b64_e32 v[12:13], 3, v[14:15]
	v_ashrrev_i32_e32 v17, 31, v16
	v_add_nc_u32_e32 v18, s5, v16
	v_add_co_u32 v12, vcc_lo, s0, v12
	s_wait_alu 0xfffd
	s_delay_alu instid0(VALU_DEP_4) | instskip(SKIP_2) | instid1(VALU_DEP_2)
	v_add_co_ci_u32_e64 v13, null, s1, v13, vcc_lo
	v_lshlrev_b64_e32 v[14:15], 3, v[16:17]
	v_ashrrev_i32_e32 v19, 31, v18
	v_add_co_u32 v14, vcc_lo, s0, v14
	s_wait_alu 0xfffd
	s_delay_alu instid0(VALU_DEP_3) | instskip(NEXT) | instid1(VALU_DEP_3)
	v_add_co_ci_u32_e64 v15, null, s1, v15, vcc_lo
	v_lshlrev_b64_e32 v[16:17], 3, v[18:19]
	v_add_nc_u32_e32 v18, s5, v18
	s_delay_alu instid0(VALU_DEP_2) | instskip(SKIP_1) | instid1(VALU_DEP_3)
	v_add_co_u32 v16, vcc_lo, s0, v16
	s_wait_alu 0xfffd
	v_add_co_ci_u32_e64 v17, null, s1, v17, vcc_lo
	s_delay_alu instid0(VALU_DEP_3) | instskip(NEXT) | instid1(VALU_DEP_1)
	v_ashrrev_i32_e32 v19, 31, v18
	v_lshlrev_b64_e32 v[18:19], 3, v[18:19]
	s_delay_alu instid0(VALU_DEP_1) | instskip(SKIP_1) | instid1(VALU_DEP_2)
	v_add_co_u32 v18, vcc_lo, s0, v18
	s_wait_alu 0xfffd
	v_add_co_ci_u32_e64 v19, null, s1, v19, vcc_lo
	s_mov_b32 s1, -1
	s_wait_loadcnt_dscnt 0x0
	scratch_store_b64 off, v[1:2], off
	flat_load_b64 v[1:2], v[6:7]
	s_wait_loadcnt_dscnt 0x0
	scratch_store_b64 off, v[1:2], off offset:8
	flat_load_b64 v[1:2], v[8:9]
	s_wait_loadcnt_dscnt 0x0
	scratch_store_b64 off, v[1:2], off offset:16
	;; [unrolled: 3-line block ×7, first 2 shown]
	s_cbranch_scc1 .LBB71_44
; %bb.4:
	v_cmp_eq_u32_e64 s0, 0, v0
	s_and_saveexec_b32 s1, s0
; %bb.5:
	v_mov_b32_e32 v1, 0
	ds_store_b32 v1, v1 offset:128
; %bb.6:
	s_wait_alu 0xfffe
	s_or_b32 exec_lo, exec_lo, s1
	s_wait_storecnt_dscnt 0x0
	s_barrier_signal -1
	s_barrier_wait -1
	global_inv scope:SCOPE_SE
	scratch_load_b64 v[1:2], v3, off
	s_wait_loadcnt 0x0
	v_cmp_eq_f32_e32 vcc_lo, 0, v1
	v_cmp_eq_f32_e64 s1, 0, v2
	s_and_b32 s1, vcc_lo, s1
	s_wait_alu 0xfffe
	s_and_saveexec_b32 s4, s1
	s_cbranch_execz .LBB71_10
; %bb.7:
	v_mov_b32_e32 v1, 0
	s_mov_b32 s5, 0
	ds_load_b32 v2, v1 offset:128
	s_wait_dscnt 0x0
	v_readfirstlane_b32 s1, v2
	v_add_nc_u32_e32 v2, 1, v0
	s_cmp_eq_u32 s1, 0
	s_delay_alu instid0(VALU_DEP_1)
	v_cmp_gt_i32_e32 vcc_lo, s1, v2
	s_cselect_b32 s10, -1, 0
	s_wait_alu 0xfffe
	s_or_b32 s10, s10, vcc_lo
	s_wait_alu 0xfffe
	s_and_b32 exec_lo, exec_lo, s10
	s_cbranch_execz .LBB71_10
; %bb.8:
	v_mov_b32_e32 v20, s1
.LBB71_9:                               ; =>This Inner Loop Header: Depth=1
	ds_cmpstore_rtn_b32 v20, v1, v2, v20 offset:128
	s_wait_dscnt 0x0
	v_cmp_ne_u32_e32 vcc_lo, 0, v20
	v_cmp_le_i32_e64 s1, v20, v2
	s_and_b32 s1, vcc_lo, s1
	s_wait_alu 0xfffe
	s_and_b32 s1, exec_lo, s1
	s_wait_alu 0xfffe
	s_or_b32 s5, s1, s5
	s_wait_alu 0xfffe
	s_and_not1_b32 exec_lo, exec_lo, s5
	s_cbranch_execnz .LBB71_9
.LBB71_10:
	s_wait_alu 0xfffe
	s_or_b32 exec_lo, exec_lo, s4
	v_mov_b32_e32 v1, 0
	s_barrier_signal -1
	s_barrier_wait -1
	global_inv scope:SCOPE_SE
	ds_load_b32 v2, v1 offset:128
	s_and_saveexec_b32 s1, s0
	s_cbranch_execz .LBB71_12
; %bb.11:
	s_lshl_b64 s[4:5], s[8:9], 2
	s_wait_alu 0xfffe
	s_add_nc_u64 s[4:5], s[6:7], s[4:5]
	s_wait_dscnt 0x0
	global_store_b32 v1, v2, s[4:5]
.LBB71_12:
	s_wait_alu 0xfffe
	s_or_b32 exec_lo, exec_lo, s1
	s_wait_dscnt 0x0
	v_cmp_ne_u32_e32 vcc_lo, 0, v2
	s_mov_b32 s1, 0
	s_cbranch_vccnz .LBB71_44
; %bb.13:
	v_mov_b32_e32 v24, v3
                                        ; implicit-def: $vgpr20
                                        ; implicit-def: $vgpr22
	scratch_load_b64 v[1:2], v24, off
	s_wait_loadcnt 0x0
	v_cmp_ngt_f32_e64 s1, |v1|, |v2|
	s_wait_alu 0xfffe
	s_and_saveexec_b32 s4, s1
	s_wait_alu 0xfffe
	s_xor_b32 s1, exec_lo, s4
	s_cbranch_execz .LBB71_15
; %bb.14:
	v_div_scale_f32 v20, null, v2, v2, v1
	v_div_scale_f32 v23, vcc_lo, v1, v2, v1
	s_delay_alu instid0(VALU_DEP_2) | instskip(NEXT) | instid1(TRANS32_DEP_1)
	v_rcp_f32_e32 v21, v20
	v_fma_f32 v22, -v20, v21, 1.0
	s_delay_alu instid0(VALU_DEP_1) | instskip(NEXT) | instid1(VALU_DEP_1)
	v_fmac_f32_e32 v21, v22, v21
	v_mul_f32_e32 v22, v23, v21
	s_delay_alu instid0(VALU_DEP_1) | instskip(NEXT) | instid1(VALU_DEP_1)
	v_fma_f32 v25, -v20, v22, v23
	v_fmac_f32_e32 v22, v25, v21
	s_delay_alu instid0(VALU_DEP_1) | instskip(SKIP_1) | instid1(VALU_DEP_1)
	v_fma_f32 v20, -v20, v22, v23
	s_wait_alu 0xfffd
	v_div_fmas_f32 v20, v20, v21, v22
	s_delay_alu instid0(VALU_DEP_1) | instskip(NEXT) | instid1(VALU_DEP_1)
	v_div_fixup_f32 v20, v20, v2, v1
	v_fmac_f32_e32 v2, v1, v20
	s_delay_alu instid0(VALU_DEP_1) | instskip(NEXT) | instid1(VALU_DEP_1)
	v_div_scale_f32 v1, null, v2, v2, 1.0
	v_rcp_f32_e32 v21, v1
	s_delay_alu instid0(TRANS32_DEP_1) | instskip(NEXT) | instid1(VALU_DEP_1)
	v_fma_f32 v22, -v1, v21, 1.0
	v_fmac_f32_e32 v21, v22, v21
	v_div_scale_f32 v22, vcc_lo, 1.0, v2, 1.0
	s_delay_alu instid0(VALU_DEP_1) | instskip(NEXT) | instid1(VALU_DEP_1)
	v_mul_f32_e32 v23, v22, v21
	v_fma_f32 v25, -v1, v23, v22
	s_delay_alu instid0(VALU_DEP_1) | instskip(NEXT) | instid1(VALU_DEP_1)
	v_fmac_f32_e32 v23, v25, v21
	v_fma_f32 v1, -v1, v23, v22
	s_wait_alu 0xfffd
	s_delay_alu instid0(VALU_DEP_1) | instskip(NEXT) | instid1(VALU_DEP_1)
	v_div_fmas_f32 v1, v1, v21, v23
	v_div_fixup_f32 v1, v1, v2, 1.0
	s_delay_alu instid0(VALU_DEP_1) | instskip(SKIP_1) | instid1(VALU_DEP_2)
	v_mul_f32_e32 v20, v20, v1
	v_xor_b32_e32 v21, 0x80000000, v1
                                        ; implicit-def: $vgpr1_vgpr2
	v_xor_b32_e32 v22, 0x80000000, v20
.LBB71_15:
	s_wait_alu 0xfffe
	s_and_not1_saveexec_b32 s1, s1
	s_cbranch_execz .LBB71_17
; %bb.16:
	v_div_scale_f32 v20, null, v1, v1, v2
	v_div_scale_f32 v23, vcc_lo, v2, v1, v2
	s_delay_alu instid0(VALU_DEP_2) | instskip(NEXT) | instid1(TRANS32_DEP_1)
	v_rcp_f32_e32 v21, v20
	v_fma_f32 v22, -v20, v21, 1.0
	s_delay_alu instid0(VALU_DEP_1) | instskip(NEXT) | instid1(VALU_DEP_1)
	v_fmac_f32_e32 v21, v22, v21
	v_mul_f32_e32 v22, v23, v21
	s_delay_alu instid0(VALU_DEP_1) | instskip(NEXT) | instid1(VALU_DEP_1)
	v_fma_f32 v25, -v20, v22, v23
	v_fmac_f32_e32 v22, v25, v21
	s_delay_alu instid0(VALU_DEP_1) | instskip(SKIP_1) | instid1(VALU_DEP_1)
	v_fma_f32 v20, -v20, v22, v23
	s_wait_alu 0xfffd
	v_div_fmas_f32 v20, v20, v21, v22
	s_delay_alu instid0(VALU_DEP_1) | instskip(NEXT) | instid1(VALU_DEP_1)
	v_div_fixup_f32 v21, v20, v1, v2
	v_fmac_f32_e32 v1, v2, v21
	s_delay_alu instid0(VALU_DEP_1) | instskip(SKIP_1) | instid1(VALU_DEP_2)
	v_div_scale_f32 v2, null, v1, v1, 1.0
	v_div_scale_f32 v23, vcc_lo, 1.0, v1, 1.0
	v_rcp_f32_e32 v20, v2
	s_delay_alu instid0(TRANS32_DEP_1) | instskip(NEXT) | instid1(VALU_DEP_1)
	v_fma_f32 v22, -v2, v20, 1.0
	v_fmac_f32_e32 v20, v22, v20
	s_delay_alu instid0(VALU_DEP_1) | instskip(NEXT) | instid1(VALU_DEP_1)
	v_mul_f32_e32 v22, v23, v20
	v_fma_f32 v25, -v2, v22, v23
	s_delay_alu instid0(VALU_DEP_1) | instskip(NEXT) | instid1(VALU_DEP_1)
	v_fmac_f32_e32 v22, v25, v20
	v_fma_f32 v2, -v2, v22, v23
	s_wait_alu 0xfffd
	s_delay_alu instid0(VALU_DEP_1) | instskip(NEXT) | instid1(VALU_DEP_1)
	v_div_fmas_f32 v2, v2, v20, v22
	v_div_fixup_f32 v20, v2, v1, 1.0
	s_delay_alu instid0(VALU_DEP_1)
	v_xor_b32_e32 v22, 0x80000000, v20
	v_mul_f32_e64 v21, v21, -v20
.LBB71_17:
	s_wait_alu 0xfffe
	s_or_b32 exec_lo, exec_lo, s1
	scratch_store_b64 v24, v[20:21], off
	scratch_load_b64 v[25:26], off, off offset:8
	v_xor_b32_e32 v23, 0x80000000, v21
	v_add_nc_u32_e32 v1, 64, v3
	s_wait_loadcnt 0x0
	ds_store_2addr_b64 v3, v[22:23], v[25:26] offset1:8
	s_wait_storecnt_dscnt 0x0
	s_barrier_signal -1
	s_barrier_wait -1
	global_inv scope:SCOPE_SE
	s_and_saveexec_b32 s1, s0
	s_cbranch_execz .LBB71_19
; %bb.18:
	scratch_load_b64 v[20:21], v24, off
	ds_load_b64 v[22:23], v1
	v_mov_b32_e32 v2, 0
	ds_load_b64 v[25:26], v2 offset:8
	s_wait_loadcnt_dscnt 0x1
	v_mul_f32_e32 v2, v22, v21
	v_mul_f32_e32 v21, v23, v21
	s_delay_alu instid0(VALU_DEP_2) | instskip(NEXT) | instid1(VALU_DEP_2)
	v_fmac_f32_e32 v2, v23, v20
	v_fma_f32 v20, v22, v20, -v21
	s_delay_alu instid0(VALU_DEP_2) | instskip(NEXT) | instid1(VALU_DEP_2)
	v_add_f32_e32 v2, 0, v2
	v_add_f32_e32 v20, 0, v20
	s_wait_dscnt 0x0
	s_delay_alu instid0(VALU_DEP_2) | instskip(NEXT) | instid1(VALU_DEP_2)
	v_mul_f32_e32 v22, v2, v26
	v_mul_f32_e32 v21, v20, v26
	s_delay_alu instid0(VALU_DEP_1) | instskip(NEXT) | instid1(VALU_DEP_3)
	v_fmac_f32_e32 v21, v2, v25
	v_fma_f32 v20, v20, v25, -v22
	scratch_store_b64 off, v[20:21], off offset:8
.LBB71_19:
	s_wait_alu 0xfffe
	s_or_b32 exec_lo, exec_lo, s1
	s_wait_loadcnt 0x0
	s_wait_storecnt 0x0
	s_barrier_signal -1
	s_barrier_wait -1
	global_inv scope:SCOPE_SE
	scratch_load_b64 v[20:21], off, off offset:16
	s_mov_b32 s1, exec_lo
	s_wait_loadcnt 0x0
	ds_store_b64 v1, v[20:21]
	s_wait_dscnt 0x0
	s_barrier_signal -1
	s_barrier_wait -1
	global_inv scope:SCOPE_SE
	v_cmpx_gt_u32_e32 2, v0
	s_cbranch_execz .LBB71_23
; %bb.20:
	scratch_load_b64 v[20:21], v24, off
	ds_load_b64 v[22:23], v1
	s_wait_loadcnt_dscnt 0x0
	v_mul_f32_e32 v2, v23, v21
	s_delay_alu instid0(VALU_DEP_1) | instskip(SKIP_1) | instid1(VALU_DEP_1)
	v_fma_f32 v2, v22, v20, -v2
	v_mul_f32_e32 v21, v22, v21
	v_dual_fmac_f32 v21, v23, v20 :: v_dual_add_f32 v20, 0, v2
	s_delay_alu instid0(VALU_DEP_1)
	v_add_f32_e32 v2, 0, v21
	s_and_saveexec_b32 s4, s0
	s_cbranch_execz .LBB71_22
; %bb.21:
	scratch_load_b64 v[21:22], off, off offset:8
	v_mov_b32_e32 v23, 0
	ds_load_b64 v[25:26], v23 offset:72
	s_wait_loadcnt_dscnt 0x0
	v_mul_f32_e32 v23, v25, v22
	v_mul_f32_e32 v22, v26, v22
	s_delay_alu instid0(VALU_DEP_2) | instskip(NEXT) | instid1(VALU_DEP_2)
	v_fmac_f32_e32 v23, v26, v21
	v_fma_f32 v21, v25, v21, -v22
	s_delay_alu instid0(VALU_DEP_2) | instskip(NEXT) | instid1(VALU_DEP_2)
	v_add_f32_e32 v2, v2, v23
	v_add_f32_e32 v20, v20, v21
.LBB71_22:
	s_wait_alu 0xfffe
	s_or_b32 exec_lo, exec_lo, s4
	v_mov_b32_e32 v21, 0
	ds_load_b64 v[21:22], v21 offset:16
	s_wait_dscnt 0x0
	v_mul_f32_e32 v25, v2, v22
	v_mul_f32_e32 v23, v20, v22
	s_delay_alu instid0(VALU_DEP_2) | instskip(NEXT) | instid1(VALU_DEP_2)
	v_fma_f32 v22, v20, v21, -v25
	v_fmac_f32_e32 v23, v2, v21
	scratch_store_b64 off, v[22:23], off offset:16
.LBB71_23:
	s_wait_alu 0xfffe
	s_or_b32 exec_lo, exec_lo, s1
	s_wait_loadcnt 0x0
	s_wait_storecnt 0x0
	s_barrier_signal -1
	s_barrier_wait -1
	global_inv scope:SCOPE_SE
	scratch_load_b64 v[20:21], off, off offset:24
	v_add_nc_u32_e32 v2, -1, v0
	s_mov_b32 s0, exec_lo
	s_wait_loadcnt 0x0
	ds_store_b64 v1, v[20:21]
	s_wait_dscnt 0x0
	s_barrier_signal -1
	s_barrier_wait -1
	global_inv scope:SCOPE_SE
	v_cmpx_gt_u32_e32 3, v0
	s_cbranch_execz .LBB71_27
; %bb.24:
	v_dual_mov_b32 v20, 0 :: v_dual_add_nc_u32 v21, -1, v0
	v_dual_mov_b32 v23, v3 :: v_dual_add_nc_u32 v22, 64, v3
	v_mov_b32_e32 v25, 0
	s_mov_b32 s1, 0
.LBB71_25:                              ; =>This Inner Loop Header: Depth=1
	scratch_load_b64 v[26:27], v23, off
	ds_load_b64 v[28:29], v22
	v_add_nc_u32_e32 v23, 8, v23
	v_add_nc_u32_e32 v21, 1, v21
	v_add_nc_u32_e32 v22, 8, v22
	s_delay_alu instid0(VALU_DEP_2)
	v_cmp_lt_u32_e32 vcc_lo, 1, v21
	s_wait_alu 0xfffe
	s_or_b32 s1, vcc_lo, s1
	s_wait_loadcnt_dscnt 0x0
	v_mul_f32_e32 v30, v29, v27
	v_mul_f32_e32 v27, v28, v27
	s_delay_alu instid0(VALU_DEP_2) | instskip(NEXT) | instid1(VALU_DEP_2)
	v_fma_f32 v28, v28, v26, -v30
	v_fmac_f32_e32 v27, v29, v26
	s_delay_alu instid0(VALU_DEP_1)
	v_dual_add_f32 v25, v25, v28 :: v_dual_add_f32 v20, v20, v27
	s_wait_alu 0xfffe
	s_and_not1_b32 exec_lo, exec_lo, s1
	s_cbranch_execnz .LBB71_25
; %bb.26:
	s_or_b32 exec_lo, exec_lo, s1
	v_mov_b32_e32 v21, 0
	ds_load_b64 v[21:22], v21 offset:24
	s_wait_dscnt 0x0
	v_mul_f32_e32 v26, v20, v22
	v_mul_f32_e32 v23, v25, v22
	s_delay_alu instid0(VALU_DEP_2) | instskip(NEXT) | instid1(VALU_DEP_2)
	v_fma_f32 v22, v25, v21, -v26
	v_fmac_f32_e32 v23, v20, v21
	scratch_store_b64 off, v[22:23], off offset:24
.LBB71_27:
	s_wait_alu 0xfffe
	s_or_b32 exec_lo, exec_lo, s0
	s_wait_loadcnt 0x0
	s_wait_storecnt 0x0
	s_barrier_signal -1
	s_barrier_wait -1
	global_inv scope:SCOPE_SE
	scratch_load_b64 v[20:21], off, off offset:32
	s_mov_b32 s0, exec_lo
	s_wait_loadcnt 0x0
	ds_store_b64 v1, v[20:21]
	s_wait_dscnt 0x0
	s_barrier_signal -1
	s_barrier_wait -1
	global_inv scope:SCOPE_SE
	v_cmpx_gt_u32_e32 4, v0
	s_cbranch_execz .LBB71_31
; %bb.28:
	v_dual_mov_b32 v20, 0 :: v_dual_add_nc_u32 v21, -1, v0
	v_dual_mov_b32 v23, v3 :: v_dual_add_nc_u32 v22, 64, v3
	v_mov_b32_e32 v25, 0
	s_mov_b32 s1, 0
.LBB71_29:                              ; =>This Inner Loop Header: Depth=1
	scratch_load_b64 v[26:27], v23, off
	ds_load_b64 v[28:29], v22
	v_add_nc_u32_e32 v23, 8, v23
	v_add_nc_u32_e32 v21, 1, v21
	v_add_nc_u32_e32 v22, 8, v22
	s_delay_alu instid0(VALU_DEP_2)
	v_cmp_lt_u32_e32 vcc_lo, 2, v21
	s_wait_alu 0xfffe
	s_or_b32 s1, vcc_lo, s1
	s_wait_loadcnt_dscnt 0x0
	v_mul_f32_e32 v30, v29, v27
	v_mul_f32_e32 v27, v28, v27
	s_delay_alu instid0(VALU_DEP_2) | instskip(NEXT) | instid1(VALU_DEP_2)
	v_fma_f32 v28, v28, v26, -v30
	v_fmac_f32_e32 v27, v29, v26
	s_delay_alu instid0(VALU_DEP_1)
	v_dual_add_f32 v25, v25, v28 :: v_dual_add_f32 v20, v20, v27
	s_wait_alu 0xfffe
	s_and_not1_b32 exec_lo, exec_lo, s1
	s_cbranch_execnz .LBB71_29
; %bb.30:
	s_or_b32 exec_lo, exec_lo, s1
	v_mov_b32_e32 v21, 0
	ds_load_b64 v[21:22], v21 offset:32
	s_wait_dscnt 0x0
	v_mul_f32_e32 v26, v20, v22
	v_mul_f32_e32 v23, v25, v22
	s_delay_alu instid0(VALU_DEP_2) | instskip(NEXT) | instid1(VALU_DEP_2)
	v_fma_f32 v22, v25, v21, -v26
	v_fmac_f32_e32 v23, v20, v21
	scratch_store_b64 off, v[22:23], off offset:32
.LBB71_31:
	s_wait_alu 0xfffe
	s_or_b32 exec_lo, exec_lo, s0
	s_wait_loadcnt 0x0
	s_wait_storecnt 0x0
	s_barrier_signal -1
	s_barrier_wait -1
	global_inv scope:SCOPE_SE
	scratch_load_b64 v[20:21], off, off offset:40
	;; [unrolled: 55-line block ×3, first 2 shown]
	s_mov_b32 s0, exec_lo
	s_wait_loadcnt 0x0
	ds_store_b64 v1, v[20:21]
	s_wait_dscnt 0x0
	s_barrier_signal -1
	s_barrier_wait -1
	global_inv scope:SCOPE_SE
	v_cmpx_gt_u32_e32 6, v0
	s_cbranch_execz .LBB71_39
; %bb.36:
	v_add_nc_u32_e32 v20, -1, v0
	v_dual_mov_b32 v22, v3 :: v_dual_add_nc_u32 v21, 64, v3
	v_mov_b32_e32 v3, 0
	v_mov_b32_e32 v23, 0
	s_mov_b32 s1, 0
.LBB71_37:                              ; =>This Inner Loop Header: Depth=1
	scratch_load_b64 v[25:26], v22, off
	ds_load_b64 v[27:28], v21
	v_add_nc_u32_e32 v22, 8, v22
	v_add_nc_u32_e32 v20, 1, v20
	;; [unrolled: 1-line block ×3, first 2 shown]
	s_delay_alu instid0(VALU_DEP_2)
	v_cmp_lt_u32_e32 vcc_lo, 4, v20
	s_wait_alu 0xfffe
	s_or_b32 s1, vcc_lo, s1
	s_wait_loadcnt_dscnt 0x0
	v_mul_f32_e32 v29, v28, v26
	v_mul_f32_e32 v26, v27, v26
	s_delay_alu instid0(VALU_DEP_2) | instskip(NEXT) | instid1(VALU_DEP_1)
	v_fma_f32 v27, v27, v25, -v29
	v_dual_fmac_f32 v26, v28, v25 :: v_dual_add_f32 v23, v23, v27
	s_delay_alu instid0(VALU_DEP_1)
	v_add_f32_e32 v3, v3, v26
	s_wait_alu 0xfffe
	s_and_not1_b32 exec_lo, exec_lo, s1
	s_cbranch_execnz .LBB71_37
; %bb.38:
	s_or_b32 exec_lo, exec_lo, s1
	v_mov_b32_e32 v20, 0
	ds_load_b64 v[20:21], v20 offset:48
	s_wait_dscnt 0x0
	v_mul_f32_e32 v25, v3, v21
	v_mul_f32_e32 v22, v23, v21
	s_delay_alu instid0(VALU_DEP_2) | instskip(NEXT) | instid1(VALU_DEP_2)
	v_fma_f32 v21, v23, v20, -v25
	v_fmac_f32_e32 v22, v3, v20
	scratch_store_b64 off, v[21:22], off offset:48
.LBB71_39:
	s_wait_alu 0xfffe
	s_or_b32 exec_lo, exec_lo, s0
	s_wait_loadcnt 0x0
	s_wait_storecnt 0x0
	s_barrier_signal -1
	s_barrier_wait -1
	global_inv scope:SCOPE_SE
	scratch_load_b64 v[20:21], off, off offset:56
	s_mov_b32 s0, exec_lo
	s_wait_loadcnt 0x0
	ds_store_b64 v1, v[20:21]
	s_wait_dscnt 0x0
	s_barrier_signal -1
	s_barrier_wait -1
	global_inv scope:SCOPE_SE
	v_cmpx_ne_u32_e32 7, v0
	s_cbranch_execz .LBB71_43
; %bb.40:
	v_dual_mov_b32 v3, 0 :: v_dual_mov_b32 v20, 0
	s_mov_b32 s1, 0
.LBB71_41:                              ; =>This Inner Loop Header: Depth=1
	scratch_load_b64 v[21:22], v24, off
	ds_load_b64 v[25:26], v1
	v_add_nc_u32_e32 v2, 1, v2
	v_add_nc_u32_e32 v1, 8, v1
	;; [unrolled: 1-line block ×3, first 2 shown]
	s_delay_alu instid0(VALU_DEP_3)
	v_cmp_lt_u32_e32 vcc_lo, 5, v2
	s_wait_alu 0xfffe
	s_or_b32 s1, vcc_lo, s1
	s_wait_loadcnt_dscnt 0x0
	v_mul_f32_e32 v23, v26, v22
	v_mul_f32_e32 v22, v25, v22
	s_delay_alu instid0(VALU_DEP_2) | instskip(NEXT) | instid1(VALU_DEP_2)
	v_fma_f32 v23, v25, v21, -v23
	v_fmac_f32_e32 v22, v26, v21
	s_delay_alu instid0(VALU_DEP_1)
	v_dual_add_f32 v20, v20, v23 :: v_dual_add_f32 v3, v3, v22
	s_wait_alu 0xfffe
	s_and_not1_b32 exec_lo, exec_lo, s1
	s_cbranch_execnz .LBB71_41
; %bb.42:
	s_or_b32 exec_lo, exec_lo, s1
	v_mov_b32_e32 v1, 0
	ds_load_b64 v[1:2], v1 offset:56
	s_wait_dscnt 0x0
	v_mul_f32_e32 v22, v3, v2
	v_mul_f32_e32 v21, v20, v2
	s_delay_alu instid0(VALU_DEP_2) | instskip(NEXT) | instid1(VALU_DEP_2)
	v_fma_f32 v20, v20, v1, -v22
	v_fmac_f32_e32 v21, v3, v1
	scratch_store_b64 off, v[20:21], off offset:56
.LBB71_43:
	s_wait_alu 0xfffe
	s_or_b32 exec_lo, exec_lo, s0
	s_mov_b32 s1, -1
	s_wait_loadcnt 0x0
	s_wait_storecnt 0x0
	s_barrier_signal -1
	s_barrier_wait -1
	global_inv scope:SCOPE_SE
.LBB71_44:
	s_wait_alu 0xfffe
	s_and_b32 vcc_lo, exec_lo, s1
	s_wait_alu 0xfffe
	s_cbranch_vccz .LBB71_46
; %bb.45:
	v_mov_b32_e32 v1, 0
	s_lshl_b64 s[0:1], s[8:9], 2
	s_wait_alu 0xfffe
	s_add_nc_u64 s[0:1], s[6:7], s[0:1]
	global_load_b32 v1, v1, s[0:1]
	s_wait_loadcnt 0x0
	v_cmp_ne_u32_e32 vcc_lo, 0, v1
	s_cbranch_vccz .LBB71_47
.LBB71_46:
	s_endpgm
.LBB71_47:
	v_lshl_add_u32 v3, v0, 3, 64
	s_mov_b32 s0, exec_lo
	v_cmpx_eq_u32_e32 7, v0
	s_cbranch_execz .LBB71_49
; %bb.48:
	scratch_load_b64 v[1:2], off, off offset:48
	v_mov_b32_e32 v20, 0
	s_delay_alu instid0(VALU_DEP_1)
	v_mov_b32_e32 v21, v20
	scratch_store_b64 off, v[20:21], off offset:48
	s_wait_loadcnt 0x0
	ds_store_b64 v3, v[1:2]
.LBB71_49:
	s_wait_alu 0xfffe
	s_or_b32 exec_lo, exec_lo, s0
	s_wait_storecnt_dscnt 0x0
	s_barrier_signal -1
	s_barrier_wait -1
	global_inv scope:SCOPE_SE
	s_clause 0x1
	scratch_load_b64 v[20:21], off, off offset:56
	scratch_load_b64 v[22:23], off, off offset:48
	v_mov_b32_e32 v1, 0
	s_mov_b32 s0, exec_lo
	ds_load_b64 v[24:25], v1 offset:120
	s_wait_loadcnt_dscnt 0x100
	v_mul_f32_e32 v2, v25, v21
	s_delay_alu instid0(VALU_DEP_1) | instskip(NEXT) | instid1(VALU_DEP_1)
	v_fma_f32 v2, v24, v20, -v2
	v_dual_mul_f32 v21, v24, v21 :: v_dual_add_f32 v2, 0, v2
	s_wait_loadcnt 0x0
	s_delay_alu instid0(VALU_DEP_1) | instskip(NEXT) | instid1(VALU_DEP_1)
	v_dual_fmac_f32 v21, v25, v20 :: v_dual_sub_f32 v20, v22, v2
	v_add_f32_e32 v21, 0, v21
	s_delay_alu instid0(VALU_DEP_1)
	v_sub_f32_e32 v21, v23, v21
	scratch_store_b64 off, v[20:21], off offset:48
	v_cmpx_lt_u32_e32 5, v0
	s_cbranch_execz .LBB71_51
; %bb.50:
	scratch_load_b64 v[20:21], off, off offset:40
	v_mov_b32_e32 v2, v1
	scratch_store_b64 off, v[1:2], off offset:40
	s_wait_loadcnt 0x0
	ds_store_b64 v3, v[20:21]
.LBB71_51:
	s_wait_alu 0xfffe
	s_or_b32 exec_lo, exec_lo, s0
	s_wait_storecnt_dscnt 0x0
	s_barrier_signal -1
	s_barrier_wait -1
	global_inv scope:SCOPE_SE
	s_clause 0x1
	scratch_load_b128 v[20:23], off, off offset:48
	scratch_load_b64 v[28:29], off, off offset:40
	ds_load_b128 v[24:27], v1 offset:112
	s_mov_b32 s0, exec_lo
	s_wait_loadcnt_dscnt 0x100
	v_mul_f32_e32 v2, v24, v21
	s_delay_alu instid0(VALU_DEP_1) | instskip(SKIP_2) | instid1(VALU_DEP_1)
	v_fmac_f32_e32 v2, v25, v20
	v_mul_f32_e32 v1, v25, v21
	v_mul_f32_e32 v21, v26, v23
	v_fmac_f32_e32 v21, v27, v22
	s_delay_alu instid0(VALU_DEP_4) | instskip(NEXT) | instid1(VALU_DEP_4)
	v_dual_add_f32 v2, 0, v2 :: v_dual_mul_f32 v23, v27, v23
	v_fma_f32 v1, v24, v20, -v1
	s_delay_alu instid0(VALU_DEP_2) | instskip(NEXT) | instid1(VALU_DEP_3)
	v_add_f32_e32 v2, v2, v21
	v_fma_f32 v20, v26, v22, -v23
	s_wait_loadcnt 0x0
	s_delay_alu instid0(VALU_DEP_2) | instskip(NEXT) | instid1(VALU_DEP_1)
	v_dual_add_f32 v1, 0, v1 :: v_dual_sub_f32 v2, v29, v2
	v_add_f32_e32 v1, v1, v20
	s_delay_alu instid0(VALU_DEP_1)
	v_sub_f32_e32 v1, v28, v1
	scratch_store_b64 off, v[1:2], off offset:40
	v_cmpx_lt_u32_e32 4, v0
	s_cbranch_execz .LBB71_53
; %bb.52:
	scratch_load_b64 v[1:2], off, off offset:32
	v_mov_b32_e32 v20, 0
	s_delay_alu instid0(VALU_DEP_1)
	v_mov_b32_e32 v21, v20
	scratch_store_b64 off, v[20:21], off offset:32
	s_wait_loadcnt 0x0
	ds_store_b64 v3, v[1:2]
.LBB71_53:
	s_wait_alu 0xfffe
	s_or_b32 exec_lo, exec_lo, s0
	s_wait_storecnt_dscnt 0x0
	s_barrier_signal -1
	s_barrier_wait -1
	global_inv scope:SCOPE_SE
	s_clause 0x2
	scratch_load_b128 v[20:23], off, off offset:40
	scratch_load_b64 v[28:29], off, off offset:56
	scratch_load_b64 v[30:31], off, off offset:32
	v_mov_b32_e32 v1, 0
	ds_load_2addr_b64 v[24:27], v1 offset0:13 offset1:14
	ds_load_b64 v[32:33], v1 offset:120
	s_mov_b32 s0, exec_lo
	s_wait_loadcnt_dscnt 0x201
	v_mul_f32_e32 v2, v25, v21
	v_dual_mul_f32 v21, v24, v21 :: v_dual_mul_f32 v34, v26, v23
	v_mul_f32_e32 v23, v27, v23
	s_wait_loadcnt_dscnt 0x100
	v_mul_f32_e32 v35, v32, v29
	v_fma_f32 v2, v24, v20, -v2
	v_fmac_f32_e32 v21, v25, v20
	v_mul_f32_e32 v20, v33, v29
	v_fmac_f32_e32 v34, v27, v22
	v_fma_f32 v22, v26, v22, -v23
	s_delay_alu instid0(VALU_DEP_4) | instskip(NEXT) | instid1(VALU_DEP_4)
	v_dual_add_f32 v2, 0, v2 :: v_dual_add_f32 v21, 0, v21
	v_fma_f32 v20, v32, v28, -v20
	s_delay_alu instid0(VALU_DEP_2) | instskip(NEXT) | instid1(VALU_DEP_1)
	v_add_f32_e32 v2, v2, v22
	v_dual_add_f32 v21, v21, v34 :: v_dual_add_f32 v2, v2, v20
	s_wait_loadcnt 0x0
	s_delay_alu instid0(VALU_DEP_1) | instskip(NEXT) | instid1(VALU_DEP_1)
	v_dual_fmac_f32 v35, v33, v28 :: v_dual_sub_f32 v20, v30, v2
	v_add_f32_e32 v21, v21, v35
	s_delay_alu instid0(VALU_DEP_1)
	v_sub_f32_e32 v21, v31, v21
	scratch_store_b64 off, v[20:21], off offset:32
	v_cmpx_lt_u32_e32 3, v0
	s_cbranch_execz .LBB71_55
; %bb.54:
	scratch_load_b64 v[20:21], off, off offset:24
	v_mov_b32_e32 v2, v1
	scratch_store_b64 off, v[1:2], off offset:24
	s_wait_loadcnt 0x0
	ds_store_b64 v3, v[20:21]
.LBB71_55:
	s_wait_alu 0xfffe
	s_or_b32 exec_lo, exec_lo, s0
	s_wait_storecnt_dscnt 0x0
	s_barrier_signal -1
	s_barrier_wait -1
	global_inv scope:SCOPE_SE
	s_clause 0x2
	scratch_load_b128 v[20:23], off, off offset:32
	scratch_load_b128 v[24:27], off, off offset:48
	scratch_load_b64 v[36:37], off, off offset:24
	ds_load_b128 v[28:31], v1 offset:96
	ds_load_b128 v[32:35], v1 offset:112
	s_mov_b32 s0, exec_lo
	s_wait_loadcnt_dscnt 0x201
	v_mul_f32_e32 v2, v29, v21
	s_wait_loadcnt_dscnt 0x100
	v_dual_mul_f32 v38, v32, v25 :: v_dual_mul_f32 v39, v34, v27
	s_delay_alu instid0(VALU_DEP_2) | instskip(SKIP_2) | instid1(VALU_DEP_4)
	v_fma_f32 v2, v28, v20, -v2
	v_mul_f32_e32 v1, v28, v21
	v_mul_f32_e32 v21, v30, v23
	v_dual_mul_f32 v23, v31, v23 :: v_dual_fmac_f32 v38, v33, v24
	s_delay_alu instid0(VALU_DEP_3) | instskip(NEXT) | instid1(VALU_DEP_3)
	v_dual_add_f32 v2, 0, v2 :: v_dual_fmac_f32 v1, v29, v20
	v_dual_mul_f32 v20, v33, v25 :: v_dual_fmac_f32 v21, v31, v22
	s_delay_alu instid0(VALU_DEP_3) | instskip(SKIP_1) | instid1(VALU_DEP_3)
	v_fma_f32 v22, v30, v22, -v23
	v_fmac_f32_e32 v39, v35, v26
	v_fma_f32 v20, v32, v24, -v20
	s_delay_alu instid0(VALU_DEP_3) | instskip(NEXT) | instid1(VALU_DEP_1)
	v_dual_add_f32 v2, v2, v22 :: v_dual_add_f32 v1, 0, v1
	v_dual_add_f32 v2, v2, v20 :: v_dual_mul_f32 v23, v35, v27
	s_delay_alu instid0(VALU_DEP_2) | instskip(NEXT) | instid1(VALU_DEP_2)
	v_add_f32_e32 v1, v1, v21
	v_fma_f32 v21, v34, v26, -v23
	s_delay_alu instid0(VALU_DEP_1) | instskip(SKIP_1) | instid1(VALU_DEP_1)
	v_dual_add_f32 v1, v1, v38 :: v_dual_add_f32 v2, v2, v21
	s_wait_loadcnt 0x0
	v_dual_add_f32 v20, v1, v39 :: v_dual_sub_f32 v1, v36, v2
	s_delay_alu instid0(VALU_DEP_1)
	v_sub_f32_e32 v2, v37, v20
	scratch_store_b64 off, v[1:2], off offset:24
	v_cmpx_lt_u32_e32 2, v0
	s_cbranch_execz .LBB71_57
; %bb.56:
	scratch_load_b64 v[1:2], off, off offset:16
	v_mov_b32_e32 v20, 0
	s_delay_alu instid0(VALU_DEP_1)
	v_mov_b32_e32 v21, v20
	scratch_store_b64 off, v[20:21], off offset:16
	s_wait_loadcnt 0x0
	ds_store_b64 v3, v[1:2]
.LBB71_57:
	s_wait_alu 0xfffe
	s_or_b32 exec_lo, exec_lo, s0
	s_wait_storecnt_dscnt 0x0
	s_barrier_signal -1
	s_barrier_wait -1
	global_inv scope:SCOPE_SE
	s_clause 0x3
	scratch_load_b128 v[20:23], off, off offset:24
	scratch_load_b128 v[24:27], off, off offset:40
	scratch_load_b64 v[36:37], off, off offset:56
	scratch_load_b64 v[38:39], off, off offset:16
	v_mov_b32_e32 v1, 0
	ds_load_2addr_b64 v[28:31], v1 offset0:11 offset1:12
	ds_load_2addr_b64 v[32:35], v1 offset0:13 offset1:14
	ds_load_b64 v[40:41], v1 offset:120
	s_mov_b32 s0, exec_lo
	s_wait_loadcnt_dscnt 0x302
	v_mul_f32_e32 v2, v28, v21
	v_dual_mul_f32 v42, v30, v23 :: v_dual_mul_f32 v21, v29, v21
	s_wait_loadcnt_dscnt 0x100
	v_mul_f32_e32 v45, v40, v37
	v_dual_mul_f32 v43, v32, v25 :: v_dual_mul_f32 v44, v34, v27
	v_dual_fmac_f32 v2, v29, v20 :: v_dual_mul_f32 v23, v31, v23
	v_fma_f32 v21, v28, v20, -v21
	v_fmac_f32_e32 v42, v31, v22
	v_mul_f32_e32 v20, v33, v25
	s_delay_alu instid0(VALU_DEP_4) | instskip(SKIP_3) | instid1(VALU_DEP_4)
	v_add_f32_e32 v2, 0, v2
	v_fma_f32 v22, v30, v22, -v23
	v_add_f32_e32 v21, 0, v21
	v_mul_f32_e32 v23, v35, v27
	v_dual_fmac_f32 v43, v33, v24 :: v_dual_add_f32 v2, v2, v42
	v_dual_fmac_f32 v44, v35, v26 :: v_dual_fmac_f32 v45, v41, v36
	s_delay_alu instid0(VALU_DEP_4) | instskip(SKIP_1) | instid1(VALU_DEP_4)
	v_add_f32_e32 v21, v21, v22
	v_fma_f32 v20, v32, v24, -v20
	v_add_f32_e32 v2, v2, v43
	v_fma_f32 v23, v34, v26, -v23
	s_delay_alu instid0(VALU_DEP_3) | instskip(NEXT) | instid1(VALU_DEP_3)
	v_add_f32_e32 v20, v21, v20
	v_add_f32_e32 v2, v2, v44
	s_delay_alu instid0(VALU_DEP_2) | instskip(NEXT) | instid1(VALU_DEP_2)
	v_add_f32_e32 v20, v20, v23
	v_add_f32_e32 v2, v2, v45
	v_mul_f32_e32 v22, v41, v37
	s_delay_alu instid0(VALU_DEP_1) | instskip(SKIP_1) | instid1(VALU_DEP_1)
	v_fma_f32 v21, v40, v36, -v22
	s_wait_loadcnt 0x0
	v_dual_add_f32 v20, v20, v21 :: v_dual_sub_f32 v21, v39, v2
	s_delay_alu instid0(VALU_DEP_1)
	v_sub_f32_e32 v20, v38, v20
	scratch_store_b64 off, v[20:21], off offset:16
	v_cmpx_lt_u32_e32 1, v0
	s_cbranch_execz .LBB71_59
; %bb.58:
	scratch_load_b64 v[20:21], off, off offset:8
	v_mov_b32_e32 v2, v1
	scratch_store_b64 off, v[1:2], off offset:8
	s_wait_loadcnt 0x0
	ds_store_b64 v3, v[20:21]
.LBB71_59:
	s_wait_alu 0xfffe
	s_or_b32 exec_lo, exec_lo, s0
	s_wait_storecnt_dscnt 0x0
	s_barrier_signal -1
	s_barrier_wait -1
	global_inv scope:SCOPE_SE
	s_clause 0x3
	scratch_load_b128 v[20:23], off, off offset:16
	scratch_load_b128 v[24:27], off, off offset:32
	;; [unrolled: 1-line block ×3, first 2 shown]
	scratch_load_b64 v[44:45], off, off offset:8
	ds_load_b128 v[32:35], v1 offset:80
	ds_load_b128 v[36:39], v1 offset:96
	;; [unrolled: 1-line block ×3, first 2 shown]
	s_mov_b32 s0, exec_lo
	s_wait_loadcnt_dscnt 0x302
	v_dual_mul_f32 v1, v32, v21 :: v_dual_mul_f32 v2, v34, v23
	v_mul_f32_e32 v21, v33, v21
	s_wait_loadcnt_dscnt 0x201
	v_dual_mul_f32 v23, v35, v23 :: v_dual_mul_f32 v46, v36, v25
	s_delay_alu instid0(VALU_DEP_3) | instskip(NEXT) | instid1(VALU_DEP_3)
	v_dual_mul_f32 v47, v38, v27 :: v_dual_fmac_f32 v2, v35, v22
	v_fma_f32 v21, v32, v20, -v21
	v_fmac_f32_e32 v1, v33, v20
	v_mul_f32_e32 v20, v37, v25
	v_fma_f32 v22, v34, v22, -v23
	v_mul_f32_e32 v23, v39, v27
	v_dual_add_f32 v21, 0, v21 :: v_dual_fmac_f32 v46, v37, v24
	s_delay_alu instid0(VALU_DEP_4) | instskip(SKIP_2) | instid1(VALU_DEP_3)
	v_fma_f32 v20, v36, v24, -v20
	s_wait_loadcnt_dscnt 0x100
	v_dual_mul_f32 v48, v40, v29 :: v_dual_mul_f32 v49, v42, v31
	v_add_f32_e32 v21, v21, v22
	v_fmac_f32_e32 v47, v39, v26
	v_fma_f32 v22, v38, v26, -v23
	s_delay_alu instid0(VALU_DEP_4) | instskip(NEXT) | instid1(VALU_DEP_4)
	v_dual_fmac_f32 v48, v41, v28 :: v_dual_fmac_f32 v49, v43, v30
	v_add_f32_e32 v20, v21, v20
	s_delay_alu instid0(VALU_DEP_1) | instskip(SKIP_1) | instid1(VALU_DEP_1)
	v_dual_add_f32 v20, v20, v22 :: v_dual_add_f32 v1, 0, v1
	v_mul_f32_e32 v21, v43, v31
	v_fma_f32 v21, v42, v30, -v21
	s_delay_alu instid0(VALU_DEP_3) | instskip(SKIP_1) | instid1(VALU_DEP_1)
	v_add_f32_e32 v1, v1, v2
	v_mul_f32_e32 v2, v41, v29
	v_fma_f32 v2, v40, v28, -v2
	s_delay_alu instid0(VALU_DEP_1) | instskip(NEXT) | instid1(VALU_DEP_1)
	v_add_f32_e32 v2, v20, v2
	v_dual_add_f32 v2, v2, v21 :: v_dual_add_f32 v1, v1, v46
	s_delay_alu instid0(VALU_DEP_1) | instskip(NEXT) | instid1(VALU_DEP_1)
	v_add_f32_e32 v1, v1, v47
	v_add_f32_e32 v1, v1, v48
	s_wait_loadcnt 0x0
	s_delay_alu instid0(VALU_DEP_1) | instskip(NEXT) | instid1(VALU_DEP_1)
	v_dual_add_f32 v20, v1, v49 :: v_dual_sub_f32 v1, v44, v2
	v_sub_f32_e32 v2, v45, v20
	scratch_store_b64 off, v[1:2], off offset:8
	v_cmpx_ne_u32_e32 0, v0
	s_cbranch_execz .LBB71_61
; %bb.60:
	scratch_load_b64 v[0:1], off, off
	v_mov_b32_e32 v20, 0
	s_delay_alu instid0(VALU_DEP_1)
	v_mov_b32_e32 v21, v20
	scratch_store_b64 off, v[20:21], off
	s_wait_loadcnt 0x0
	ds_store_b64 v3, v[0:1]
.LBB71_61:
	s_wait_alu 0xfffe
	s_or_b32 exec_lo, exec_lo, s0
	s_wait_storecnt_dscnt 0x0
	s_barrier_signal -1
	s_barrier_wait -1
	global_inv scope:SCOPE_SE
	s_clause 0x4
	scratch_load_b128 v[21:24], off, off offset:8
	scratch_load_b128 v[25:28], off, off offset:24
	;; [unrolled: 1-line block ×3, first 2 shown]
	scratch_load_b64 v[41:42], off, off offset:56
	scratch_load_b64 v[43:44], off, off
	v_mov_b32_e32 v20, 0
	ds_load_2addr_b64 v[29:32], v20 offset0:9 offset1:10
	ds_load_2addr_b64 v[33:36], v20 offset0:11 offset1:12
	;; [unrolled: 1-line block ×3, first 2 shown]
	ds_load_b64 v[45:46], v20 offset:120
	s_and_b32 vcc_lo, exec_lo, s12
	s_wait_loadcnt_dscnt 0x403
	v_dual_mul_f32 v47, v29, v22 :: v_dual_mul_f32 v48, v31, v24
	s_wait_loadcnt_dscnt 0x302
	v_dual_mul_f32 v49, v33, v26 :: v_dual_mul_f32 v24, v32, v24
	;; [unrolled: 2-line block ×3, first 2 shown]
	v_dual_fmac_f32 v47, v30, v21 :: v_dual_fmac_f32 v48, v32, v23
	s_delay_alu instid0(VALU_DEP_3) | instskip(SKIP_1) | instid1(VALU_DEP_4)
	v_fmac_f32_e32 v49, v34, v25
	v_fma_f32 v23, v31, v23, -v24
	v_dual_fmac_f32 v50, v36, v27 :: v_dual_fmac_f32 v51, v38, v0
	s_delay_alu instid0(VALU_DEP_4) | instskip(SKIP_4) | instid1(VALU_DEP_3)
	v_add_f32_e32 v24, 0, v47
	v_mul_f32_e32 v22, v30, v22
	s_wait_loadcnt_dscnt 0x100
	v_dual_mul_f32 v52, v39, v3 :: v_dual_mul_f32 v53, v45, v42
	v_mul_f32_e32 v1, v38, v1
	v_fma_f32 v22, v29, v21, -v22
	v_dual_mul_f32 v21, v34, v26 :: v_dual_mul_f32 v26, v36, v28
	s_delay_alu instid0(VALU_DEP_3) | instskip(SKIP_1) | instid1(VALU_DEP_4)
	v_fma_f32 v0, v37, v0, -v1
	v_dual_fmac_f32 v52, v40, v2 :: v_dual_fmac_f32 v53, v46, v41
	v_add_f32_e32 v22, 0, v22
	s_delay_alu instid0(VALU_DEP_4) | instskip(NEXT) | instid1(VALU_DEP_2)
	v_fma_f32 v21, v33, v25, -v21
	v_add_f32_e32 v22, v22, v23
	s_delay_alu instid0(VALU_DEP_1) | instskip(SKIP_2) | instid1(VALU_DEP_2)
	v_add_f32_e32 v21, v22, v21
	v_add_f32_e32 v23, v24, v48
	v_fma_f32 v24, v35, v27, -v26
	v_dual_add_f32 v22, v23, v49 :: v_dual_mul_f32 v23, v40, v3
	s_delay_alu instid0(VALU_DEP_2) | instskip(NEXT) | instid1(VALU_DEP_2)
	v_add_f32_e32 v1, v21, v24
	v_add_f32_e32 v21, v22, v50
	v_mul_f32_e32 v22, v46, v42
	s_delay_alu instid0(VALU_DEP_4) | instskip(NEXT) | instid1(VALU_DEP_4)
	v_fma_f32 v23, v39, v2, -v23
	v_add_f32_e32 v0, v1, v0
	s_delay_alu instid0(VALU_DEP_4) | instskip(NEXT) | instid1(VALU_DEP_4)
	v_add_f32_e32 v1, v21, v51
	v_fma_f32 v21, v45, v41, -v22
	s_delay_alu instid0(VALU_DEP_2) | instskip(NEXT) | instid1(VALU_DEP_1)
	v_dual_add_f32 v0, v0, v23 :: v_dual_add_f32 v1, v1, v52
	v_add_f32_e32 v0, v0, v21
	s_wait_loadcnt 0x0
	s_delay_alu instid0(VALU_DEP_1) | instskip(NEXT) | instid1(VALU_DEP_1)
	v_dual_add_f32 v1, v1, v53 :: v_dual_sub_f32 v0, v43, v0
	v_sub_f32_e32 v1, v44, v1
	scratch_store_b64 off, v[0:1], off
	s_wait_alu 0xfffe
	s_cbranch_vccz .LBB71_76
; %bb.62:
	global_load_b32 v0, v20, s[2:3] offset:24
	s_wait_loadcnt 0x0
	v_cmp_ne_u32_e32 vcc_lo, 7, v0
	s_cbranch_vccz .LBB71_64
; %bb.63:
	v_lshlrev_b32_e32 v0, 3, v0
	s_delay_alu instid0(VALU_DEP_1)
	v_mov_b32_e32 v20, v0
	scratch_load_b64 v[0:1], v20, off offset:-8
	s_wait_loadcnt 0x0
	scratch_store_b64 off, v[0:1], off offset:48
	scratch_store_b64 v20, v[2:3], off offset:-8
.LBB71_64:
	v_mov_b32_e32 v0, 0
	global_load_b32 v1, v0, s[2:3] offset:20
	s_wait_loadcnt 0x0
	v_cmp_eq_u32_e32 vcc_lo, 6, v1
	s_cbranch_vccnz .LBB71_66
; %bb.65:
	v_lshlrev_b32_e32 v1, 3, v1
	s_delay_alu instid0(VALU_DEP_1)
	v_mov_b32_e32 v3, v1
	scratch_load_b64 v[1:2], v3, off offset:-8
	scratch_load_b64 v[20:21], off, off offset:40
	s_wait_loadcnt 0x1
	scratch_store_b64 off, v[1:2], off offset:40
	s_wait_loadcnt 0x0
	scratch_store_b64 v3, v[20:21], off offset:-8
.LBB71_66:
	global_load_b32 v0, v0, s[2:3] offset:16
	s_wait_loadcnt 0x0
	v_cmp_eq_u32_e32 vcc_lo, 5, v0
	s_cbranch_vccnz .LBB71_68
; %bb.67:
	v_lshlrev_b32_e32 v0, 3, v0
	s_delay_alu instid0(VALU_DEP_1)
	v_mov_b32_e32 v20, v0
	scratch_load_b64 v[0:1], v20, off offset:-8
	scratch_load_b64 v[2:3], off, off offset:32
	s_wait_loadcnt 0x1
	scratch_store_b64 off, v[0:1], off offset:32
	s_wait_loadcnt 0x0
	scratch_store_b64 v20, v[2:3], off offset:-8
.LBB71_68:
	v_mov_b32_e32 v0, 0
	global_load_b32 v1, v0, s[2:3] offset:12
	s_wait_loadcnt 0x0
	v_cmp_eq_u32_e32 vcc_lo, 4, v1
	s_cbranch_vccnz .LBB71_70
; %bb.69:
	v_lshlrev_b32_e32 v1, 3, v1
	s_delay_alu instid0(VALU_DEP_1)
	v_mov_b32_e32 v3, v1
	scratch_load_b64 v[1:2], v3, off offset:-8
	scratch_load_b64 v[20:21], off, off offset:24
	s_wait_loadcnt 0x1
	scratch_store_b64 off, v[1:2], off offset:24
	s_wait_loadcnt 0x0
	scratch_store_b64 v3, v[20:21], off offset:-8
.LBB71_70:
	global_load_b32 v0, v0, s[2:3] offset:8
	s_wait_loadcnt 0x0
	v_cmp_eq_u32_e32 vcc_lo, 3, v0
	s_cbranch_vccnz .LBB71_72
; %bb.71:
	v_lshlrev_b32_e32 v0, 3, v0
	s_delay_alu instid0(VALU_DEP_1)
	v_mov_b32_e32 v20, v0
	scratch_load_b64 v[0:1], v20, off offset:-8
	scratch_load_b64 v[2:3], off, off offset:16
	s_wait_loadcnt 0x1
	scratch_store_b64 off, v[0:1], off offset:16
	s_wait_loadcnt 0x0
	scratch_store_b64 v20, v[2:3], off offset:-8
.LBB71_72:
	v_mov_b32_e32 v0, 0
	global_load_b32 v1, v0, s[2:3] offset:4
	s_wait_loadcnt 0x0
	v_cmp_eq_u32_e32 vcc_lo, 2, v1
	s_cbranch_vccnz .LBB71_74
; %bb.73:
	v_lshlrev_b32_e32 v1, 3, v1
	s_delay_alu instid0(VALU_DEP_1)
	v_mov_b32_e32 v3, v1
	scratch_load_b64 v[1:2], v3, off offset:-8
	scratch_load_b64 v[20:21], off, off offset:8
	s_wait_loadcnt 0x1
	scratch_store_b64 off, v[1:2], off offset:8
	s_wait_loadcnt 0x0
	scratch_store_b64 v3, v[20:21], off offset:-8
.LBB71_74:
	global_load_b32 v0, v0, s[2:3]
	s_wait_loadcnt 0x0
	v_cmp_eq_u32_e32 vcc_lo, 1, v0
	s_cbranch_vccnz .LBB71_76
; %bb.75:
	v_lshlrev_b32_e32 v0, 3, v0
	s_delay_alu instid0(VALU_DEP_1)
	v_mov_b32_e32 v20, v0
	scratch_load_b64 v[0:1], v20, off offset:-8
	scratch_load_b64 v[2:3], off, off
	s_wait_loadcnt 0x1
	scratch_store_b64 off, v[0:1], off
	s_wait_loadcnt 0x0
	scratch_store_b64 v20, v[2:3], off offset:-8
.LBB71_76:
	scratch_load_b64 v[0:1], off, off
	s_wait_loadcnt 0x0
	flat_store_b64 v[4:5], v[0:1]
	scratch_load_b64 v[0:1], off, off offset:8
	s_wait_loadcnt 0x0
	flat_store_b64 v[6:7], v[0:1]
	scratch_load_b64 v[0:1], off, off offset:16
	s_wait_loadcnt 0x0
	flat_store_b64 v[8:9], v[0:1]
	scratch_load_b64 v[0:1], off, off offset:24
	s_wait_loadcnt 0x0
	flat_store_b64 v[10:11], v[0:1]
	scratch_load_b64 v[0:1], off, off offset:32
	s_wait_loadcnt 0x0
	flat_store_b64 v[12:13], v[0:1]
	scratch_load_b64 v[0:1], off, off offset:40
	s_wait_loadcnt 0x0
	flat_store_b64 v[14:15], v[0:1]
	scratch_load_b64 v[0:1], off, off offset:48
	s_wait_loadcnt 0x0
	flat_store_b64 v[16:17], v[0:1]
	scratch_load_b64 v[0:1], off, off offset:56
	s_wait_loadcnt 0x0
	flat_store_b64 v[18:19], v[0:1]
	s_endpgm
	.section	.rodata,"a",@progbits
	.p2align	6, 0x0
	.amdhsa_kernel _ZN9rocsolver6v33100L18getri_kernel_smallILi8E19rocblas_complex_numIfEPKPS3_EEvT1_iilPiilS8_bb
		.amdhsa_group_segment_fixed_size 132
		.amdhsa_private_segment_fixed_size 80
		.amdhsa_kernarg_size 60
		.amdhsa_user_sgpr_count 2
		.amdhsa_user_sgpr_dispatch_ptr 0
		.amdhsa_user_sgpr_queue_ptr 0
		.amdhsa_user_sgpr_kernarg_segment_ptr 1
		.amdhsa_user_sgpr_dispatch_id 0
		.amdhsa_user_sgpr_private_segment_size 0
		.amdhsa_wavefront_size32 1
		.amdhsa_uses_dynamic_stack 0
		.amdhsa_enable_private_segment 1
		.amdhsa_system_sgpr_workgroup_id_x 1
		.amdhsa_system_sgpr_workgroup_id_y 0
		.amdhsa_system_sgpr_workgroup_id_z 0
		.amdhsa_system_sgpr_workgroup_info 0
		.amdhsa_system_vgpr_workitem_id 0
		.amdhsa_next_free_vgpr 54
		.amdhsa_next_free_sgpr 19
		.amdhsa_reserve_vcc 1
		.amdhsa_float_round_mode_32 0
		.amdhsa_float_round_mode_16_64 0
		.amdhsa_float_denorm_mode_32 3
		.amdhsa_float_denorm_mode_16_64 3
		.amdhsa_fp16_overflow 0
		.amdhsa_workgroup_processor_mode 1
		.amdhsa_memory_ordered 1
		.amdhsa_forward_progress 1
		.amdhsa_inst_pref_size 52
		.amdhsa_round_robin_scheduling 0
		.amdhsa_exception_fp_ieee_invalid_op 0
		.amdhsa_exception_fp_denorm_src 0
		.amdhsa_exception_fp_ieee_div_zero 0
		.amdhsa_exception_fp_ieee_overflow 0
		.amdhsa_exception_fp_ieee_underflow 0
		.amdhsa_exception_fp_ieee_inexact 0
		.amdhsa_exception_int_div_zero 0
	.end_amdhsa_kernel
	.section	.text._ZN9rocsolver6v33100L18getri_kernel_smallILi8E19rocblas_complex_numIfEPKPS3_EEvT1_iilPiilS8_bb,"axG",@progbits,_ZN9rocsolver6v33100L18getri_kernel_smallILi8E19rocblas_complex_numIfEPKPS3_EEvT1_iilPiilS8_bb,comdat
.Lfunc_end71:
	.size	_ZN9rocsolver6v33100L18getri_kernel_smallILi8E19rocblas_complex_numIfEPKPS3_EEvT1_iilPiilS8_bb, .Lfunc_end71-_ZN9rocsolver6v33100L18getri_kernel_smallILi8E19rocblas_complex_numIfEPKPS3_EEvT1_iilPiilS8_bb
                                        ; -- End function
	.set _ZN9rocsolver6v33100L18getri_kernel_smallILi8E19rocblas_complex_numIfEPKPS3_EEvT1_iilPiilS8_bb.num_vgpr, 54
	.set _ZN9rocsolver6v33100L18getri_kernel_smallILi8E19rocblas_complex_numIfEPKPS3_EEvT1_iilPiilS8_bb.num_agpr, 0
	.set _ZN9rocsolver6v33100L18getri_kernel_smallILi8E19rocblas_complex_numIfEPKPS3_EEvT1_iilPiilS8_bb.numbered_sgpr, 19
	.set _ZN9rocsolver6v33100L18getri_kernel_smallILi8E19rocblas_complex_numIfEPKPS3_EEvT1_iilPiilS8_bb.num_named_barrier, 0
	.set _ZN9rocsolver6v33100L18getri_kernel_smallILi8E19rocblas_complex_numIfEPKPS3_EEvT1_iilPiilS8_bb.private_seg_size, 80
	.set _ZN9rocsolver6v33100L18getri_kernel_smallILi8E19rocblas_complex_numIfEPKPS3_EEvT1_iilPiilS8_bb.uses_vcc, 1
	.set _ZN9rocsolver6v33100L18getri_kernel_smallILi8E19rocblas_complex_numIfEPKPS3_EEvT1_iilPiilS8_bb.uses_flat_scratch, 1
	.set _ZN9rocsolver6v33100L18getri_kernel_smallILi8E19rocblas_complex_numIfEPKPS3_EEvT1_iilPiilS8_bb.has_dyn_sized_stack, 0
	.set _ZN9rocsolver6v33100L18getri_kernel_smallILi8E19rocblas_complex_numIfEPKPS3_EEvT1_iilPiilS8_bb.has_recursion, 0
	.set _ZN9rocsolver6v33100L18getri_kernel_smallILi8E19rocblas_complex_numIfEPKPS3_EEvT1_iilPiilS8_bb.has_indirect_call, 0
	.section	.AMDGPU.csdata,"",@progbits
; Kernel info:
; codeLenInByte = 6636
; TotalNumSgprs: 21
; NumVgprs: 54
; ScratchSize: 80
; MemoryBound: 0
; FloatMode: 240
; IeeeMode: 1
; LDSByteSize: 132 bytes/workgroup (compile time only)
; SGPRBlocks: 0
; VGPRBlocks: 6
; NumSGPRsForWavesPerEU: 21
; NumVGPRsForWavesPerEU: 54
; Occupancy: 16
; WaveLimiterHint : 1
; COMPUTE_PGM_RSRC2:SCRATCH_EN: 1
; COMPUTE_PGM_RSRC2:USER_SGPR: 2
; COMPUTE_PGM_RSRC2:TRAP_HANDLER: 0
; COMPUTE_PGM_RSRC2:TGID_X_EN: 1
; COMPUTE_PGM_RSRC2:TGID_Y_EN: 0
; COMPUTE_PGM_RSRC2:TGID_Z_EN: 0
; COMPUTE_PGM_RSRC2:TIDIG_COMP_CNT: 0
	.section	.text._ZN9rocsolver6v33100L18getri_kernel_smallILi9E19rocblas_complex_numIfEPKPS3_EEvT1_iilPiilS8_bb,"axG",@progbits,_ZN9rocsolver6v33100L18getri_kernel_smallILi9E19rocblas_complex_numIfEPKPS3_EEvT1_iilPiilS8_bb,comdat
	.globl	_ZN9rocsolver6v33100L18getri_kernel_smallILi9E19rocblas_complex_numIfEPKPS3_EEvT1_iilPiilS8_bb ; -- Begin function _ZN9rocsolver6v33100L18getri_kernel_smallILi9E19rocblas_complex_numIfEPKPS3_EEvT1_iilPiilS8_bb
	.p2align	8
	.type	_ZN9rocsolver6v33100L18getri_kernel_smallILi9E19rocblas_complex_numIfEPKPS3_EEvT1_iilPiilS8_bb,@function
_ZN9rocsolver6v33100L18getri_kernel_smallILi9E19rocblas_complex_numIfEPKPS3_EEvT1_iilPiilS8_bb: ; @_ZN9rocsolver6v33100L18getri_kernel_smallILi9E19rocblas_complex_numIfEPKPS3_EEvT1_iilPiilS8_bb
; %bb.0:
	s_mov_b32 s2, exec_lo
	v_cmpx_gt_u32_e32 9, v0
	s_cbranch_execz .LBB72_50
; %bb.1:
	s_clause 0x1
	s_load_b32 s13, s[0:1], 0x38
	s_load_b64 s[2:3], s[0:1], 0x0
	s_mov_b32 s8, ttmp9
	s_load_b128 s[4:7], s[0:1], 0x28
	s_wait_kmcnt 0x0
	s_bitcmp1_b32 s13, 8
	s_cselect_b32 s12, -1, 0
	s_ashr_i32 s9, ttmp9, 31
	s_delay_alu instid0(SALU_CYCLE_1) | instskip(NEXT) | instid1(SALU_CYCLE_1)
	s_lshl_b64 s[10:11], s[8:9], 3
	s_add_nc_u64 s[2:3], s[2:3], s[10:11]
	s_load_b64 s[10:11], s[2:3], 0x0
	s_bfe_u32 s2, s13, 0x10008
	s_delay_alu instid0(SALU_CYCLE_1)
	s_cmp_eq_u32 s2, 0
                                        ; implicit-def: $sgpr2_sgpr3
	s_cbranch_scc1 .LBB72_3
; %bb.2:
	s_load_b96 s[16:18], s[0:1], 0x18
	s_mul_u64 s[2:3], s[4:5], s[8:9]
	s_delay_alu instid0(SALU_CYCLE_1)
	s_lshl_b64 s[2:3], s[2:3], 2
	s_wait_kmcnt 0x0
	s_ashr_i32 s5, s18, 31
	s_mov_b32 s4, s18
	s_add_nc_u64 s[2:3], s[16:17], s[2:3]
	s_lshl_b64 s[4:5], s[4:5], 2
	s_delay_alu instid0(SALU_CYCLE_1)
	s_add_nc_u64 s[2:3], s[2:3], s[4:5]
.LBB72_3:
	s_clause 0x1
	s_load_b64 s[4:5], s[0:1], 0x8
	s_load_b32 s13, s[0:1], 0x38
	v_lshlrev_b32_e32 v3, 3, v0
	s_wait_kmcnt 0x0
	s_ashr_i32 s1, s4, 31
	s_mov_b32 s0, s4
	v_add3_u32 v10, s5, s5, v0
	s_lshl_b64 s[0:1], s[0:1], 3
	s_delay_alu instid0(SALU_CYCLE_1)
	s_add_nc_u64 s[0:1], s[10:11], s[0:1]
	s_ashr_i32 s11, s5, 31
	v_add_co_u32 v4, s4, s0, v3
	s_wait_alu 0xf1ff
	v_add_co_ci_u32_e64 v5, null, s1, 0, s4
	s_mov_b32 s10, s5
	v_ashrrev_i32_e32 v11, 31, v10
	s_lshl_b64 s[10:11], s[10:11], 3
	flat_load_b64 v[1:2], v[4:5]
	v_add_co_u32 v6, vcc_lo, v4, s10
	s_delay_alu instid0(VALU_DEP_1) | instskip(SKIP_3) | instid1(VALU_DEP_2)
	v_add_co_ci_u32_e64 v7, null, s11, v5, vcc_lo
	v_lshlrev_b64_e32 v[8:9], 3, v[10:11]
	v_add_nc_u32_e32 v12, s5, v10
	s_bitcmp0_b32 s13, 0
	v_add_co_u32 v8, vcc_lo, s0, v8
	s_wait_alu 0xfffd
	s_delay_alu instid0(VALU_DEP_3) | instskip(SKIP_2) | instid1(VALU_DEP_2)
	v_add_co_ci_u32_e64 v9, null, s1, v9, vcc_lo
	v_ashrrev_i32_e32 v13, 31, v12
	v_add_nc_u32_e32 v14, s5, v12
	v_lshlrev_b64_e32 v[10:11], 3, v[12:13]
	s_delay_alu instid0(VALU_DEP_2) | instskip(SKIP_1) | instid1(VALU_DEP_3)
	v_ashrrev_i32_e32 v15, 31, v14
	v_add_nc_u32_e32 v16, s5, v14
	v_add_co_u32 v10, vcc_lo, s0, v10
	s_wait_alu 0xfffd
	s_delay_alu instid0(VALU_DEP_4) | instskip(SKIP_3) | instid1(VALU_DEP_3)
	v_add_co_ci_u32_e64 v11, null, s1, v11, vcc_lo
	v_lshlrev_b64_e32 v[12:13], 3, v[14:15]
	v_ashrrev_i32_e32 v17, 31, v16
	v_add_nc_u32_e32 v18, s5, v16
	v_add_co_u32 v12, vcc_lo, s0, v12
	s_wait_alu 0xfffd
	s_delay_alu instid0(VALU_DEP_4) | instskip(SKIP_3) | instid1(VALU_DEP_3)
	v_add_co_ci_u32_e64 v13, null, s1, v13, vcc_lo
	v_lshlrev_b64_e32 v[14:15], 3, v[16:17]
	v_ashrrev_i32_e32 v19, 31, v18
	v_add_nc_u32_e32 v20, s5, v18
	v_add_co_u32 v14, vcc_lo, s0, v14
	s_wait_alu 0xfffd
	s_delay_alu instid0(VALU_DEP_4) | instskip(SKIP_2) | instid1(VALU_DEP_2)
	v_add_co_ci_u32_e64 v15, null, s1, v15, vcc_lo
	v_lshlrev_b64_e32 v[16:17], 3, v[18:19]
	v_ashrrev_i32_e32 v21, 31, v20
	v_add_co_u32 v16, vcc_lo, s0, v16
	s_wait_alu 0xfffd
	s_delay_alu instid0(VALU_DEP_3) | instskip(NEXT) | instid1(VALU_DEP_3)
	v_add_co_ci_u32_e64 v17, null, s1, v17, vcc_lo
	v_lshlrev_b64_e32 v[18:19], 3, v[20:21]
	v_add_nc_u32_e32 v20, s5, v20
	s_delay_alu instid0(VALU_DEP_2) | instskip(SKIP_1) | instid1(VALU_DEP_3)
	v_add_co_u32 v18, vcc_lo, s0, v18
	s_wait_alu 0xfffd
	v_add_co_ci_u32_e64 v19, null, s1, v19, vcc_lo
	s_delay_alu instid0(VALU_DEP_3) | instskip(NEXT) | instid1(VALU_DEP_1)
	v_ashrrev_i32_e32 v21, 31, v20
	v_lshlrev_b64_e32 v[20:21], 3, v[20:21]
	s_delay_alu instid0(VALU_DEP_1) | instskip(SKIP_1) | instid1(VALU_DEP_2)
	v_add_co_u32 v20, vcc_lo, s0, v20
	s_wait_alu 0xfffd
	v_add_co_ci_u32_e64 v21, null, s1, v21, vcc_lo
	s_mov_b32 s1, -1
	s_wait_loadcnt_dscnt 0x0
	scratch_store_b64 off, v[1:2], off
	flat_load_b64 v[1:2], v[6:7]
	s_wait_loadcnt_dscnt 0x0
	scratch_store_b64 off, v[1:2], off offset:8
	flat_load_b64 v[1:2], v[8:9]
	s_wait_loadcnt_dscnt 0x0
	scratch_store_b64 off, v[1:2], off offset:16
	flat_load_b64 v[1:2], v[10:11]
	s_wait_loadcnt_dscnt 0x0
	scratch_store_b64 off, v[1:2], off offset:24
	flat_load_b64 v[1:2], v[12:13]
	s_wait_loadcnt_dscnt 0x0
	scratch_store_b64 off, v[1:2], off offset:32
	flat_load_b64 v[1:2], v[14:15]
	s_wait_loadcnt_dscnt 0x0
	scratch_store_b64 off, v[1:2], off offset:40
	flat_load_b64 v[1:2], v[16:17]
	s_wait_loadcnt_dscnt 0x0
	scratch_store_b64 off, v[1:2], off offset:48
	flat_load_b64 v[1:2], v[18:19]
	s_wait_loadcnt_dscnt 0x0
	scratch_store_b64 off, v[1:2], off offset:56
	flat_load_b64 v[1:2], v[20:21]
	s_wait_loadcnt_dscnt 0x0
	scratch_store_b64 off, v[1:2], off offset:64
	s_cbranch_scc1 .LBB72_48
; %bb.4:
	v_cmp_eq_u32_e64 s0, 0, v0
	s_and_saveexec_b32 s1, s0
; %bb.5:
	v_mov_b32_e32 v1, 0
	ds_store_b32 v1, v1 offset:72
; %bb.6:
	s_wait_alu 0xfffe
	s_or_b32 exec_lo, exec_lo, s1
	s_wait_storecnt_dscnt 0x0
	s_barrier_signal -1
	s_barrier_wait -1
	global_inv scope:SCOPE_SE
	scratch_load_b64 v[1:2], v3, off
	s_wait_loadcnt 0x0
	v_cmp_eq_f32_e32 vcc_lo, 0, v1
	v_cmp_eq_f32_e64 s1, 0, v2
	s_and_b32 s1, vcc_lo, s1
	s_wait_alu 0xfffe
	s_and_saveexec_b32 s4, s1
	s_cbranch_execz .LBB72_10
; %bb.7:
	v_mov_b32_e32 v1, 0
	s_mov_b32 s5, 0
	ds_load_b32 v2, v1 offset:72
	s_wait_dscnt 0x0
	v_readfirstlane_b32 s1, v2
	v_add_nc_u32_e32 v2, 1, v0
	s_cmp_eq_u32 s1, 0
	s_delay_alu instid0(VALU_DEP_1)
	v_cmp_gt_i32_e32 vcc_lo, s1, v2
	s_cselect_b32 s10, -1, 0
	s_wait_alu 0xfffe
	s_or_b32 s10, s10, vcc_lo
	s_wait_alu 0xfffe
	s_and_b32 exec_lo, exec_lo, s10
	s_cbranch_execz .LBB72_10
; %bb.8:
	v_mov_b32_e32 v22, s1
.LBB72_9:                               ; =>This Inner Loop Header: Depth=1
	ds_cmpstore_rtn_b32 v22, v1, v2, v22 offset:72
	s_wait_dscnt 0x0
	v_cmp_ne_u32_e32 vcc_lo, 0, v22
	v_cmp_le_i32_e64 s1, v22, v2
	s_and_b32 s1, vcc_lo, s1
	s_wait_alu 0xfffe
	s_and_b32 s1, exec_lo, s1
	s_wait_alu 0xfffe
	s_or_b32 s5, s1, s5
	s_wait_alu 0xfffe
	s_and_not1_b32 exec_lo, exec_lo, s5
	s_cbranch_execnz .LBB72_9
.LBB72_10:
	s_wait_alu 0xfffe
	s_or_b32 exec_lo, exec_lo, s4
	v_mov_b32_e32 v1, 0
	s_barrier_signal -1
	s_barrier_wait -1
	global_inv scope:SCOPE_SE
	ds_load_b32 v2, v1 offset:72
	s_and_saveexec_b32 s1, s0
	s_cbranch_execz .LBB72_12
; %bb.11:
	s_lshl_b64 s[4:5], s[8:9], 2
	s_wait_alu 0xfffe
	s_add_nc_u64 s[4:5], s[6:7], s[4:5]
	s_wait_dscnt 0x0
	global_store_b32 v1, v2, s[4:5]
.LBB72_12:
	s_wait_alu 0xfffe
	s_or_b32 exec_lo, exec_lo, s1
	s_wait_dscnt 0x0
	v_cmp_ne_u32_e32 vcc_lo, 0, v2
	s_mov_b32 s1, 0
	s_cbranch_vccnz .LBB72_48
; %bb.13:
	v_mov_b32_e32 v26, v3
                                        ; implicit-def: $vgpr22
                                        ; implicit-def: $vgpr24
	scratch_load_b64 v[1:2], v26, off
	s_wait_loadcnt 0x0
	v_cmp_ngt_f32_e64 s1, |v1|, |v2|
	s_wait_alu 0xfffe
	s_and_saveexec_b32 s4, s1
	s_wait_alu 0xfffe
	s_xor_b32 s1, exec_lo, s4
	s_cbranch_execz .LBB72_15
; %bb.14:
	v_div_scale_f32 v22, null, v2, v2, v1
	v_div_scale_f32 v25, vcc_lo, v1, v2, v1
	s_delay_alu instid0(VALU_DEP_2) | instskip(NEXT) | instid1(TRANS32_DEP_1)
	v_rcp_f32_e32 v23, v22
	v_fma_f32 v24, -v22, v23, 1.0
	s_delay_alu instid0(VALU_DEP_1) | instskip(NEXT) | instid1(VALU_DEP_1)
	v_fmac_f32_e32 v23, v24, v23
	v_mul_f32_e32 v24, v25, v23
	s_delay_alu instid0(VALU_DEP_1) | instskip(NEXT) | instid1(VALU_DEP_1)
	v_fma_f32 v27, -v22, v24, v25
	v_fmac_f32_e32 v24, v27, v23
	s_delay_alu instid0(VALU_DEP_1) | instskip(SKIP_1) | instid1(VALU_DEP_1)
	v_fma_f32 v22, -v22, v24, v25
	s_wait_alu 0xfffd
	v_div_fmas_f32 v22, v22, v23, v24
	s_delay_alu instid0(VALU_DEP_1) | instskip(NEXT) | instid1(VALU_DEP_1)
	v_div_fixup_f32 v22, v22, v2, v1
	v_fmac_f32_e32 v2, v1, v22
	s_delay_alu instid0(VALU_DEP_1) | instskip(NEXT) | instid1(VALU_DEP_1)
	v_div_scale_f32 v1, null, v2, v2, 1.0
	v_rcp_f32_e32 v23, v1
	s_delay_alu instid0(TRANS32_DEP_1) | instskip(NEXT) | instid1(VALU_DEP_1)
	v_fma_f32 v24, -v1, v23, 1.0
	v_fmac_f32_e32 v23, v24, v23
	v_div_scale_f32 v24, vcc_lo, 1.0, v2, 1.0
	s_delay_alu instid0(VALU_DEP_1) | instskip(NEXT) | instid1(VALU_DEP_1)
	v_mul_f32_e32 v25, v24, v23
	v_fma_f32 v27, -v1, v25, v24
	s_delay_alu instid0(VALU_DEP_1) | instskip(NEXT) | instid1(VALU_DEP_1)
	v_fmac_f32_e32 v25, v27, v23
	v_fma_f32 v1, -v1, v25, v24
	s_wait_alu 0xfffd
	s_delay_alu instid0(VALU_DEP_1) | instskip(NEXT) | instid1(VALU_DEP_1)
	v_div_fmas_f32 v1, v1, v23, v25
	v_div_fixup_f32 v1, v1, v2, 1.0
	s_delay_alu instid0(VALU_DEP_1) | instskip(SKIP_1) | instid1(VALU_DEP_2)
	v_mul_f32_e32 v22, v22, v1
	v_xor_b32_e32 v23, 0x80000000, v1
                                        ; implicit-def: $vgpr1_vgpr2
	v_xor_b32_e32 v24, 0x80000000, v22
.LBB72_15:
	s_wait_alu 0xfffe
	s_and_not1_saveexec_b32 s1, s1
	s_cbranch_execz .LBB72_17
; %bb.16:
	v_div_scale_f32 v22, null, v1, v1, v2
	v_div_scale_f32 v25, vcc_lo, v2, v1, v2
	s_delay_alu instid0(VALU_DEP_2) | instskip(NEXT) | instid1(TRANS32_DEP_1)
	v_rcp_f32_e32 v23, v22
	v_fma_f32 v24, -v22, v23, 1.0
	s_delay_alu instid0(VALU_DEP_1) | instskip(NEXT) | instid1(VALU_DEP_1)
	v_fmac_f32_e32 v23, v24, v23
	v_mul_f32_e32 v24, v25, v23
	s_delay_alu instid0(VALU_DEP_1) | instskip(NEXT) | instid1(VALU_DEP_1)
	v_fma_f32 v27, -v22, v24, v25
	v_fmac_f32_e32 v24, v27, v23
	s_delay_alu instid0(VALU_DEP_1) | instskip(SKIP_1) | instid1(VALU_DEP_1)
	v_fma_f32 v22, -v22, v24, v25
	s_wait_alu 0xfffd
	v_div_fmas_f32 v22, v22, v23, v24
	s_delay_alu instid0(VALU_DEP_1) | instskip(NEXT) | instid1(VALU_DEP_1)
	v_div_fixup_f32 v23, v22, v1, v2
	v_fmac_f32_e32 v1, v2, v23
	s_delay_alu instid0(VALU_DEP_1) | instskip(NEXT) | instid1(VALU_DEP_1)
	v_div_scale_f32 v2, null, v1, v1, 1.0
	v_rcp_f32_e32 v22, v2
	s_delay_alu instid0(TRANS32_DEP_1) | instskip(NEXT) | instid1(VALU_DEP_1)
	v_fma_f32 v24, -v2, v22, 1.0
	v_fmac_f32_e32 v22, v24, v22
	v_div_scale_f32 v25, vcc_lo, 1.0, v1, 1.0
	s_delay_alu instid0(VALU_DEP_1) | instskip(NEXT) | instid1(VALU_DEP_1)
	v_mul_f32_e32 v24, v25, v22
	v_fma_f32 v27, -v2, v24, v25
	s_delay_alu instid0(VALU_DEP_1) | instskip(NEXT) | instid1(VALU_DEP_1)
	v_fmac_f32_e32 v24, v27, v22
	v_fma_f32 v2, -v2, v24, v25
	s_wait_alu 0xfffd
	s_delay_alu instid0(VALU_DEP_1) | instskip(NEXT) | instid1(VALU_DEP_1)
	v_div_fmas_f32 v2, v2, v22, v24
	v_div_fixup_f32 v22, v2, v1, 1.0
	s_delay_alu instid0(VALU_DEP_1)
	v_xor_b32_e32 v24, 0x80000000, v22
	v_mul_f32_e64 v23, v23, -v22
.LBB72_17:
	s_wait_alu 0xfffe
	s_or_b32 exec_lo, exec_lo, s1
	scratch_store_b64 v26, v[22:23], off
	scratch_load_b64 v[27:28], off, off offset:8
	v_xor_b32_e32 v25, 0x80000000, v23
	v_add_nc_u32_e32 v1, 0x50, v3
	s_wait_loadcnt 0x0
	ds_store_2addr_b64 v3, v[24:25], v[27:28] offset1:10
	s_wait_storecnt_dscnt 0x0
	s_barrier_signal -1
	s_barrier_wait -1
	global_inv scope:SCOPE_SE
	s_and_saveexec_b32 s1, s0
	s_cbranch_execz .LBB72_19
; %bb.18:
	scratch_load_b64 v[22:23], v26, off
	ds_load_b64 v[24:25], v1
	v_mov_b32_e32 v2, 0
	ds_load_b64 v[27:28], v2 offset:8
	s_wait_loadcnt_dscnt 0x1
	v_mul_f32_e32 v2, v24, v23
	v_mul_f32_e32 v23, v25, v23
	s_delay_alu instid0(VALU_DEP_2) | instskip(NEXT) | instid1(VALU_DEP_2)
	v_fmac_f32_e32 v2, v25, v22
	v_fma_f32 v22, v24, v22, -v23
	s_delay_alu instid0(VALU_DEP_2) | instskip(NEXT) | instid1(VALU_DEP_2)
	v_add_f32_e32 v2, 0, v2
	v_add_f32_e32 v22, 0, v22
	s_wait_dscnt 0x0
	s_delay_alu instid0(VALU_DEP_2) | instskip(NEXT) | instid1(VALU_DEP_2)
	v_mul_f32_e32 v24, v2, v28
	v_mul_f32_e32 v23, v22, v28
	s_delay_alu instid0(VALU_DEP_1) | instskip(NEXT) | instid1(VALU_DEP_3)
	v_fmac_f32_e32 v23, v2, v27
	v_fma_f32 v22, v22, v27, -v24
	scratch_store_b64 off, v[22:23], off offset:8
.LBB72_19:
	s_wait_alu 0xfffe
	s_or_b32 exec_lo, exec_lo, s1
	s_wait_loadcnt 0x0
	s_wait_storecnt 0x0
	s_barrier_signal -1
	s_barrier_wait -1
	global_inv scope:SCOPE_SE
	scratch_load_b64 v[22:23], off, off offset:16
	s_mov_b32 s1, exec_lo
	s_wait_loadcnt 0x0
	ds_store_b64 v1, v[22:23]
	s_wait_dscnt 0x0
	s_barrier_signal -1
	s_barrier_wait -1
	global_inv scope:SCOPE_SE
	v_cmpx_gt_u32_e32 2, v0
	s_cbranch_execz .LBB72_23
; %bb.20:
	scratch_load_b64 v[22:23], v26, off
	ds_load_b64 v[24:25], v1
	s_wait_loadcnt_dscnt 0x0
	v_mul_f32_e32 v2, v25, v23
	s_delay_alu instid0(VALU_DEP_1) | instskip(SKIP_1) | instid1(VALU_DEP_1)
	v_fma_f32 v2, v24, v22, -v2
	v_mul_f32_e32 v23, v24, v23
	v_fmac_f32_e32 v23, v25, v22
	s_delay_alu instid0(VALU_DEP_3) | instskip(NEXT) | instid1(VALU_DEP_2)
	v_add_f32_e32 v22, 0, v2
	v_add_f32_e32 v2, 0, v23
	s_and_saveexec_b32 s4, s0
	s_cbranch_execz .LBB72_22
; %bb.21:
	scratch_load_b64 v[23:24], off, off offset:8
	v_mov_b32_e32 v25, 0
	ds_load_b64 v[27:28], v25 offset:88
	s_wait_loadcnt_dscnt 0x0
	v_mul_f32_e32 v25, v27, v24
	v_mul_f32_e32 v24, v28, v24
	s_delay_alu instid0(VALU_DEP_2) | instskip(NEXT) | instid1(VALU_DEP_2)
	v_fmac_f32_e32 v25, v28, v23
	v_fma_f32 v23, v27, v23, -v24
	s_delay_alu instid0(VALU_DEP_2) | instskip(NEXT) | instid1(VALU_DEP_2)
	v_add_f32_e32 v2, v2, v25
	v_add_f32_e32 v22, v22, v23
.LBB72_22:
	s_wait_alu 0xfffe
	s_or_b32 exec_lo, exec_lo, s4
	v_mov_b32_e32 v23, 0
	ds_load_b64 v[23:24], v23 offset:16
	s_wait_dscnt 0x0
	v_mul_f32_e32 v27, v2, v24
	v_mul_f32_e32 v25, v22, v24
	s_delay_alu instid0(VALU_DEP_2) | instskip(NEXT) | instid1(VALU_DEP_2)
	v_fma_f32 v24, v22, v23, -v27
	v_fmac_f32_e32 v25, v2, v23
	scratch_store_b64 off, v[24:25], off offset:16
.LBB72_23:
	s_wait_alu 0xfffe
	s_or_b32 exec_lo, exec_lo, s1
	s_wait_loadcnt 0x0
	s_wait_storecnt 0x0
	s_barrier_signal -1
	s_barrier_wait -1
	global_inv scope:SCOPE_SE
	scratch_load_b64 v[22:23], off, off offset:24
	v_add_nc_u32_e32 v2, -1, v0
	s_mov_b32 s0, exec_lo
	s_wait_loadcnt 0x0
	ds_store_b64 v1, v[22:23]
	s_wait_dscnt 0x0
	s_barrier_signal -1
	s_barrier_wait -1
	global_inv scope:SCOPE_SE
	v_cmpx_gt_u32_e32 3, v0
	s_cbranch_execz .LBB72_27
; %bb.24:
	v_dual_mov_b32 v22, 0 :: v_dual_add_nc_u32 v23, -1, v0
	v_dual_mov_b32 v25, v3 :: v_dual_add_nc_u32 v24, 0x50, v3
	v_mov_b32_e32 v27, 0
	s_mov_b32 s1, 0
.LBB72_25:                              ; =>This Inner Loop Header: Depth=1
	scratch_load_b64 v[28:29], v25, off
	ds_load_b64 v[30:31], v24
	v_add_nc_u32_e32 v25, 8, v25
	v_add_nc_u32_e32 v23, 1, v23
	v_add_nc_u32_e32 v24, 8, v24
	s_delay_alu instid0(VALU_DEP_2)
	v_cmp_lt_u32_e32 vcc_lo, 1, v23
	s_wait_alu 0xfffe
	s_or_b32 s1, vcc_lo, s1
	s_wait_loadcnt_dscnt 0x0
	v_mul_f32_e32 v32, v31, v29
	v_mul_f32_e32 v29, v30, v29
	s_delay_alu instid0(VALU_DEP_2) | instskip(NEXT) | instid1(VALU_DEP_2)
	v_fma_f32 v30, v30, v28, -v32
	v_fmac_f32_e32 v29, v31, v28
	s_delay_alu instid0(VALU_DEP_1)
	v_dual_add_f32 v27, v27, v30 :: v_dual_add_f32 v22, v22, v29
	s_wait_alu 0xfffe
	s_and_not1_b32 exec_lo, exec_lo, s1
	s_cbranch_execnz .LBB72_25
; %bb.26:
	s_or_b32 exec_lo, exec_lo, s1
	v_mov_b32_e32 v23, 0
	ds_load_b64 v[23:24], v23 offset:24
	s_wait_dscnt 0x0
	v_mul_f32_e32 v28, v22, v24
	v_mul_f32_e32 v25, v27, v24
	s_delay_alu instid0(VALU_DEP_2) | instskip(NEXT) | instid1(VALU_DEP_2)
	v_fma_f32 v24, v27, v23, -v28
	v_fmac_f32_e32 v25, v22, v23
	scratch_store_b64 off, v[24:25], off offset:24
.LBB72_27:
	s_wait_alu 0xfffe
	s_or_b32 exec_lo, exec_lo, s0
	s_wait_loadcnt 0x0
	s_wait_storecnt 0x0
	s_barrier_signal -1
	s_barrier_wait -1
	global_inv scope:SCOPE_SE
	scratch_load_b64 v[22:23], off, off offset:32
	s_mov_b32 s0, exec_lo
	s_wait_loadcnt 0x0
	ds_store_b64 v1, v[22:23]
	s_wait_dscnt 0x0
	s_barrier_signal -1
	s_barrier_wait -1
	global_inv scope:SCOPE_SE
	v_cmpx_gt_u32_e32 4, v0
	s_cbranch_execz .LBB72_31
; %bb.28:
	v_dual_mov_b32 v22, 0 :: v_dual_add_nc_u32 v23, -1, v0
	v_dual_mov_b32 v25, v3 :: v_dual_add_nc_u32 v24, 0x50, v3
	v_mov_b32_e32 v27, 0
	s_mov_b32 s1, 0
.LBB72_29:                              ; =>This Inner Loop Header: Depth=1
	scratch_load_b64 v[28:29], v25, off
	ds_load_b64 v[30:31], v24
	v_add_nc_u32_e32 v25, 8, v25
	v_add_nc_u32_e32 v23, 1, v23
	v_add_nc_u32_e32 v24, 8, v24
	s_delay_alu instid0(VALU_DEP_2)
	v_cmp_lt_u32_e32 vcc_lo, 2, v23
	s_wait_alu 0xfffe
	s_or_b32 s1, vcc_lo, s1
	s_wait_loadcnt_dscnt 0x0
	v_mul_f32_e32 v32, v31, v29
	v_mul_f32_e32 v29, v30, v29
	s_delay_alu instid0(VALU_DEP_2) | instskip(NEXT) | instid1(VALU_DEP_2)
	v_fma_f32 v30, v30, v28, -v32
	v_fmac_f32_e32 v29, v31, v28
	s_delay_alu instid0(VALU_DEP_1)
	v_dual_add_f32 v27, v27, v30 :: v_dual_add_f32 v22, v22, v29
	s_wait_alu 0xfffe
	s_and_not1_b32 exec_lo, exec_lo, s1
	s_cbranch_execnz .LBB72_29
; %bb.30:
	s_or_b32 exec_lo, exec_lo, s1
	v_mov_b32_e32 v23, 0
	ds_load_b64 v[23:24], v23 offset:32
	s_wait_dscnt 0x0
	v_mul_f32_e32 v28, v22, v24
	v_mul_f32_e32 v25, v27, v24
	s_delay_alu instid0(VALU_DEP_2) | instskip(NEXT) | instid1(VALU_DEP_2)
	v_fma_f32 v24, v27, v23, -v28
	v_fmac_f32_e32 v25, v22, v23
	scratch_store_b64 off, v[24:25], off offset:32
.LBB72_31:
	s_wait_alu 0xfffe
	s_or_b32 exec_lo, exec_lo, s0
	s_wait_loadcnt 0x0
	s_wait_storecnt 0x0
	s_barrier_signal -1
	s_barrier_wait -1
	global_inv scope:SCOPE_SE
	scratch_load_b64 v[22:23], off, off offset:40
	;; [unrolled: 55-line block ×4, first 2 shown]
	s_mov_b32 s0, exec_lo
	s_wait_loadcnt 0x0
	ds_store_b64 v1, v[22:23]
	s_wait_dscnt 0x0
	s_barrier_signal -1
	s_barrier_wait -1
	global_inv scope:SCOPE_SE
	v_cmpx_gt_u32_e32 7, v0
	s_cbranch_execz .LBB72_43
; %bb.40:
	v_add_nc_u32_e32 v22, -1, v0
	v_dual_mov_b32 v24, v3 :: v_dual_add_nc_u32 v23, 0x50, v3
	v_mov_b32_e32 v3, 0
	v_mov_b32_e32 v25, 0
	s_mov_b32 s1, 0
.LBB72_41:                              ; =>This Inner Loop Header: Depth=1
	scratch_load_b64 v[27:28], v24, off
	ds_load_b64 v[29:30], v23
	v_add_nc_u32_e32 v24, 8, v24
	v_add_nc_u32_e32 v22, 1, v22
	;; [unrolled: 1-line block ×3, first 2 shown]
	s_delay_alu instid0(VALU_DEP_2)
	v_cmp_lt_u32_e32 vcc_lo, 5, v22
	s_wait_alu 0xfffe
	s_or_b32 s1, vcc_lo, s1
	s_wait_loadcnt_dscnt 0x0
	v_mul_f32_e32 v31, v30, v28
	v_mul_f32_e32 v28, v29, v28
	s_delay_alu instid0(VALU_DEP_2) | instskip(NEXT) | instid1(VALU_DEP_1)
	v_fma_f32 v29, v29, v27, -v31
	v_dual_fmac_f32 v28, v30, v27 :: v_dual_add_f32 v25, v25, v29
	s_delay_alu instid0(VALU_DEP_1)
	v_add_f32_e32 v3, v3, v28
	s_wait_alu 0xfffe
	s_and_not1_b32 exec_lo, exec_lo, s1
	s_cbranch_execnz .LBB72_41
; %bb.42:
	s_or_b32 exec_lo, exec_lo, s1
	v_mov_b32_e32 v22, 0
	ds_load_b64 v[22:23], v22 offset:56
	s_wait_dscnt 0x0
	v_mul_f32_e32 v27, v3, v23
	v_mul_f32_e32 v24, v25, v23
	s_delay_alu instid0(VALU_DEP_2) | instskip(NEXT) | instid1(VALU_DEP_2)
	v_fma_f32 v23, v25, v22, -v27
	v_fmac_f32_e32 v24, v3, v22
	scratch_store_b64 off, v[23:24], off offset:56
.LBB72_43:
	s_wait_alu 0xfffe
	s_or_b32 exec_lo, exec_lo, s0
	s_wait_loadcnt 0x0
	s_wait_storecnt 0x0
	s_barrier_signal -1
	s_barrier_wait -1
	global_inv scope:SCOPE_SE
	scratch_load_b64 v[22:23], off, off offset:64
	s_mov_b32 s0, exec_lo
	s_wait_loadcnt 0x0
	ds_store_b64 v1, v[22:23]
	s_wait_dscnt 0x0
	s_barrier_signal -1
	s_barrier_wait -1
	global_inv scope:SCOPE_SE
	v_cmpx_ne_u32_e32 8, v0
	s_cbranch_execz .LBB72_47
; %bb.44:
	v_dual_mov_b32 v3, 0 :: v_dual_mov_b32 v22, 0
	s_mov_b32 s1, 0
.LBB72_45:                              ; =>This Inner Loop Header: Depth=1
	scratch_load_b64 v[23:24], v26, off
	ds_load_b64 v[27:28], v1
	v_add_nc_u32_e32 v2, 1, v2
	v_add_nc_u32_e32 v1, 8, v1
	s_delay_alu instid0(VALU_DEP_2)
	v_cmp_lt_u32_e32 vcc_lo, 6, v2
	s_wait_alu 0xfffe
	s_or_b32 s1, vcc_lo, s1
	s_wait_loadcnt_dscnt 0x0
	v_mul_f32_e32 v25, v28, v24
	v_mul_f32_e32 v24, v27, v24
	s_delay_alu instid0(VALU_DEP_2) | instskip(NEXT) | instid1(VALU_DEP_2)
	v_fma_f32 v25, v27, v23, -v25
	v_fmac_f32_e32 v24, v28, v23
	v_add_nc_u32_e32 v26, 8, v26
	s_delay_alu instid0(VALU_DEP_2)
	v_dual_add_f32 v22, v22, v25 :: v_dual_add_f32 v3, v3, v24
	s_wait_alu 0xfffe
	s_and_not1_b32 exec_lo, exec_lo, s1
	s_cbranch_execnz .LBB72_45
; %bb.46:
	s_or_b32 exec_lo, exec_lo, s1
	v_mov_b32_e32 v1, 0
	ds_load_b64 v[1:2], v1 offset:64
	s_wait_dscnt 0x0
	v_mul_f32_e32 v24, v3, v2
	v_mul_f32_e32 v23, v22, v2
	s_delay_alu instid0(VALU_DEP_2) | instskip(NEXT) | instid1(VALU_DEP_2)
	v_fma_f32 v22, v22, v1, -v24
	v_fmac_f32_e32 v23, v3, v1
	scratch_store_b64 off, v[22:23], off offset:64
.LBB72_47:
	s_wait_alu 0xfffe
	s_or_b32 exec_lo, exec_lo, s0
	s_mov_b32 s1, -1
	s_wait_loadcnt 0x0
	s_wait_storecnt 0x0
	s_barrier_signal -1
	s_barrier_wait -1
	global_inv scope:SCOPE_SE
.LBB72_48:
	s_wait_alu 0xfffe
	s_and_b32 vcc_lo, exec_lo, s1
	s_wait_alu 0xfffe
	s_cbranch_vccz .LBB72_50
; %bb.49:
	v_mov_b32_e32 v1, 0
	s_lshl_b64 s[0:1], s[8:9], 2
	s_wait_alu 0xfffe
	s_add_nc_u64 s[0:1], s[6:7], s[0:1]
	global_load_b32 v1, v1, s[0:1]
	s_wait_loadcnt 0x0
	v_cmp_ne_u32_e32 vcc_lo, 0, v1
	s_cbranch_vccz .LBB72_51
.LBB72_50:
	s_endpgm
.LBB72_51:
	v_lshl_add_u32 v3, v0, 3, 0x50
	s_mov_b32 s0, exec_lo
	v_cmpx_eq_u32_e32 8, v0
	s_cbranch_execz .LBB72_53
; %bb.52:
	scratch_load_b64 v[1:2], off, off offset:56
	v_mov_b32_e32 v22, 0
	s_delay_alu instid0(VALU_DEP_1)
	v_mov_b32_e32 v23, v22
	scratch_store_b64 off, v[22:23], off offset:56
	s_wait_loadcnt 0x0
	ds_store_b64 v3, v[1:2]
.LBB72_53:
	s_wait_alu 0xfffe
	s_or_b32 exec_lo, exec_lo, s0
	s_wait_storecnt_dscnt 0x0
	s_barrier_signal -1
	s_barrier_wait -1
	global_inv scope:SCOPE_SE
	s_clause 0x1
	scratch_load_b64 v[22:23], off, off offset:64
	scratch_load_b64 v[24:25], off, off offset:56
	v_mov_b32_e32 v1, 0
	s_mov_b32 s0, exec_lo
	ds_load_b64 v[26:27], v1 offset:144
	s_wait_loadcnt_dscnt 0x100
	v_mul_f32_e32 v2, v27, v23
	s_delay_alu instid0(VALU_DEP_1) | instskip(NEXT) | instid1(VALU_DEP_1)
	v_fma_f32 v2, v26, v22, -v2
	v_dual_mul_f32 v23, v26, v23 :: v_dual_add_f32 v2, 0, v2
	s_delay_alu instid0(VALU_DEP_1) | instskip(SKIP_1) | instid1(VALU_DEP_1)
	v_fmac_f32_e32 v23, v27, v22
	s_wait_loadcnt 0x0
	v_dual_sub_f32 v22, v24, v2 :: v_dual_add_f32 v23, 0, v23
	s_delay_alu instid0(VALU_DEP_1)
	v_sub_f32_e32 v23, v25, v23
	scratch_store_b64 off, v[22:23], off offset:56
	v_cmpx_lt_u32_e32 6, v0
	s_cbranch_execz .LBB72_55
; %bb.54:
	scratch_load_b64 v[22:23], off, off offset:48
	v_mov_b32_e32 v2, v1
	scratch_store_b64 off, v[1:2], off offset:48
	s_wait_loadcnt 0x0
	ds_store_b64 v3, v[22:23]
.LBB72_55:
	s_wait_alu 0xfffe
	s_or_b32 exec_lo, exec_lo, s0
	s_wait_storecnt_dscnt 0x0
	s_barrier_signal -1
	s_barrier_wait -1
	global_inv scope:SCOPE_SE
	s_clause 0x1
	scratch_load_b128 v[22:25], off, off offset:56
	scratch_load_b64 v[30:31], off, off offset:48
	ds_load_2addr_b64 v[26:29], v1 offset0:17 offset1:18
	s_mov_b32 s0, exec_lo
	s_wait_loadcnt_dscnt 0x100
	v_mul_f32_e32 v2, v26, v23
	s_delay_alu instid0(VALU_DEP_1) | instskip(SKIP_2) | instid1(VALU_DEP_1)
	v_fmac_f32_e32 v2, v27, v22
	v_mul_f32_e32 v1, v27, v23
	v_mul_f32_e32 v23, v28, v25
	v_dual_fmac_f32 v23, v29, v24 :: v_dual_add_f32 v2, 0, v2
	v_mul_f32_e32 v25, v29, v25
	s_delay_alu instid0(VALU_DEP_4) | instskip(NEXT) | instid1(VALU_DEP_3)
	v_fma_f32 v1, v26, v22, -v1
	v_add_f32_e32 v2, v2, v23
	s_delay_alu instid0(VALU_DEP_3) | instskip(SKIP_1) | instid1(VALU_DEP_2)
	v_fma_f32 v22, v28, v24, -v25
	s_wait_loadcnt 0x0
	v_dual_add_f32 v1, 0, v1 :: v_dual_sub_f32 v2, v31, v2
	s_delay_alu instid0(VALU_DEP_1) | instskip(NEXT) | instid1(VALU_DEP_1)
	v_add_f32_e32 v1, v1, v22
	v_sub_f32_e32 v1, v30, v1
	scratch_store_b64 off, v[1:2], off offset:48
	v_cmpx_lt_u32_e32 5, v0
	s_cbranch_execz .LBB72_57
; %bb.56:
	scratch_load_b64 v[1:2], off, off offset:40
	v_mov_b32_e32 v22, 0
	s_delay_alu instid0(VALU_DEP_1)
	v_mov_b32_e32 v23, v22
	scratch_store_b64 off, v[22:23], off offset:40
	s_wait_loadcnt 0x0
	ds_store_b64 v3, v[1:2]
.LBB72_57:
	s_wait_alu 0xfffe
	s_or_b32 exec_lo, exec_lo, s0
	s_wait_storecnt_dscnt 0x0
	s_barrier_signal -1
	s_barrier_wait -1
	global_inv scope:SCOPE_SE
	s_clause 0x2
	scratch_load_b128 v[22:25], off, off offset:48
	scratch_load_b64 v[30:31], off, off offset:64
	scratch_load_b64 v[32:33], off, off offset:40
	v_mov_b32_e32 v1, 0
	ds_load_b128 v[26:29], v1 offset:128
	ds_load_b64 v[34:35], v1 offset:144
	s_mov_b32 s0, exec_lo
	s_wait_loadcnt_dscnt 0x201
	v_mul_f32_e32 v2, v27, v23
	v_dual_mul_f32 v23, v26, v23 :: v_dual_mul_f32 v36, v28, v25
	v_mul_f32_e32 v25, v29, v25
	s_wait_loadcnt_dscnt 0x100
	v_mul_f32_e32 v37, v34, v31
	v_fma_f32 v2, v26, v22, -v2
	s_delay_alu instid0(VALU_DEP_2) | instskip(NEXT) | instid1(VALU_DEP_2)
	v_dual_fmac_f32 v36, v29, v24 :: v_dual_fmac_f32 v37, v35, v30
	v_add_f32_e32 v2, 0, v2
	v_fmac_f32_e32 v23, v27, v22
	v_mul_f32_e32 v22, v35, v31
	v_fma_f32 v24, v28, v24, -v25
	s_delay_alu instid0(VALU_DEP_2) | instskip(NEXT) | instid1(VALU_DEP_2)
	v_fma_f32 v22, v34, v30, -v22
	v_dual_add_f32 v2, v2, v24 :: v_dual_add_f32 v23, 0, v23
	s_delay_alu instid0(VALU_DEP_1) | instskip(SKIP_1) | instid1(VALU_DEP_1)
	v_dual_add_f32 v2, v2, v22 :: v_dual_add_f32 v23, v23, v36
	s_wait_loadcnt 0x0
	v_dual_sub_f32 v22, v32, v2 :: v_dual_add_f32 v23, v23, v37
	s_delay_alu instid0(VALU_DEP_1)
	v_sub_f32_e32 v23, v33, v23
	scratch_store_b64 off, v[22:23], off offset:40
	v_cmpx_lt_u32_e32 4, v0
	s_cbranch_execz .LBB72_59
; %bb.58:
	scratch_load_b64 v[22:23], off, off offset:32
	v_mov_b32_e32 v2, v1
	scratch_store_b64 off, v[1:2], off offset:32
	s_wait_loadcnt 0x0
	ds_store_b64 v3, v[22:23]
.LBB72_59:
	s_wait_alu 0xfffe
	s_or_b32 exec_lo, exec_lo, s0
	s_wait_storecnt_dscnt 0x0
	s_barrier_signal -1
	s_barrier_wait -1
	global_inv scope:SCOPE_SE
	s_clause 0x2
	scratch_load_b128 v[22:25], off, off offset:40
	scratch_load_b128 v[26:29], off, off offset:56
	scratch_load_b64 v[38:39], off, off offset:32
	ds_load_2addr_b64 v[30:33], v1 offset0:15 offset1:16
	ds_load_2addr_b64 v[34:37], v1 offset0:17 offset1:18
	s_mov_b32 s0, exec_lo
	s_wait_loadcnt_dscnt 0x201
	v_mul_f32_e32 v2, v31, v23
	s_wait_loadcnt_dscnt 0x100
	v_dual_mul_f32 v40, v34, v27 :: v_dual_mul_f32 v41, v36, v29
	s_delay_alu instid0(VALU_DEP_2) | instskip(SKIP_2) | instid1(VALU_DEP_4)
	v_fma_f32 v2, v30, v22, -v2
	v_mul_f32_e32 v1, v30, v23
	v_mul_f32_e32 v23, v32, v25
	v_dual_mul_f32 v25, v33, v25 :: v_dual_fmac_f32 v40, v35, v26
	s_delay_alu instid0(VALU_DEP_4) | instskip(NEXT) | instid1(VALU_DEP_4)
	v_add_f32_e32 v2, 0, v2
	v_fmac_f32_e32 v1, v31, v22
	s_delay_alu instid0(VALU_DEP_4) | instskip(NEXT) | instid1(VALU_DEP_4)
	v_dual_mul_f32 v22, v35, v27 :: v_dual_fmac_f32 v23, v33, v24
	v_fma_f32 v24, v32, v24, -v25
	v_fmac_f32_e32 v41, v37, v28
	s_delay_alu instid0(VALU_DEP_3) | instskip(NEXT) | instid1(VALU_DEP_3)
	v_fma_f32 v22, v34, v26, -v22
	v_dual_add_f32 v2, v2, v24 :: v_dual_add_f32 v1, 0, v1
	s_delay_alu instid0(VALU_DEP_1) | instskip(NEXT) | instid1(VALU_DEP_2)
	v_dual_add_f32 v2, v2, v22 :: v_dual_mul_f32 v25, v37, v29
	v_add_f32_e32 v1, v1, v23
	s_delay_alu instid0(VALU_DEP_2) | instskip(NEXT) | instid1(VALU_DEP_1)
	v_fma_f32 v23, v36, v28, -v25
	v_dual_add_f32 v1, v1, v40 :: v_dual_add_f32 v2, v2, v23
	s_wait_loadcnt 0x0
	s_delay_alu instid0(VALU_DEP_1) | instskip(NEXT) | instid1(VALU_DEP_1)
	v_dual_add_f32 v22, v1, v41 :: v_dual_sub_f32 v1, v38, v2
	v_sub_f32_e32 v2, v39, v22
	scratch_store_b64 off, v[1:2], off offset:32
	v_cmpx_lt_u32_e32 3, v0
	s_cbranch_execz .LBB72_61
; %bb.60:
	scratch_load_b64 v[1:2], off, off offset:24
	v_mov_b32_e32 v22, 0
	s_delay_alu instid0(VALU_DEP_1)
	v_mov_b32_e32 v23, v22
	scratch_store_b64 off, v[22:23], off offset:24
	s_wait_loadcnt 0x0
	ds_store_b64 v3, v[1:2]
.LBB72_61:
	s_wait_alu 0xfffe
	s_or_b32 exec_lo, exec_lo, s0
	s_wait_storecnt_dscnt 0x0
	s_barrier_signal -1
	s_barrier_wait -1
	global_inv scope:SCOPE_SE
	s_clause 0x3
	scratch_load_b128 v[22:25], off, off offset:32
	scratch_load_b128 v[26:29], off, off offset:48
	scratch_load_b64 v[38:39], off, off offset:64
	scratch_load_b64 v[40:41], off, off offset:24
	v_mov_b32_e32 v1, 0
	ds_load_b128 v[30:33], v1 offset:112
	ds_load_b128 v[34:37], v1 offset:128
	ds_load_b64 v[42:43], v1 offset:144
	s_mov_b32 s0, exec_lo
	s_wait_loadcnt_dscnt 0x302
	v_mul_f32_e32 v2, v30, v23
	v_dual_mul_f32 v44, v32, v25 :: v_dual_mul_f32 v23, v31, v23
	s_wait_loadcnt_dscnt 0x100
	v_mul_f32_e32 v47, v42, v39
	v_dual_mul_f32 v45, v34, v27 :: v_dual_mul_f32 v46, v36, v29
	v_dual_fmac_f32 v2, v31, v22 :: v_dual_mul_f32 v25, v33, v25
	v_fma_f32 v23, v30, v22, -v23
	v_fmac_f32_e32 v44, v33, v24
	v_mul_f32_e32 v22, v35, v27
	s_delay_alu instid0(VALU_DEP_4) | instskip(SKIP_3) | instid1(VALU_DEP_4)
	v_add_f32_e32 v2, 0, v2
	v_fma_f32 v24, v32, v24, -v25
	v_add_f32_e32 v23, 0, v23
	v_mul_f32_e32 v25, v37, v29
	v_dual_fmac_f32 v45, v35, v26 :: v_dual_add_f32 v2, v2, v44
	v_dual_fmac_f32 v46, v37, v28 :: v_dual_fmac_f32 v47, v43, v38
	s_delay_alu instid0(VALU_DEP_4) | instskip(SKIP_1) | instid1(VALU_DEP_4)
	v_add_f32_e32 v23, v23, v24
	v_fma_f32 v22, v34, v26, -v22
	v_add_f32_e32 v2, v2, v45
	v_fma_f32 v25, v36, v28, -v25
	s_delay_alu instid0(VALU_DEP_3) | instskip(NEXT) | instid1(VALU_DEP_3)
	v_add_f32_e32 v22, v23, v22
	v_add_f32_e32 v2, v2, v46
	s_delay_alu instid0(VALU_DEP_2) | instskip(NEXT) | instid1(VALU_DEP_2)
	v_add_f32_e32 v22, v22, v25
	v_add_f32_e32 v2, v2, v47
	v_mul_f32_e32 v24, v43, v39
	s_delay_alu instid0(VALU_DEP_1) | instskip(SKIP_1) | instid1(VALU_DEP_1)
	v_fma_f32 v23, v42, v38, -v24
	s_wait_loadcnt 0x0
	v_dual_add_f32 v22, v22, v23 :: v_dual_sub_f32 v23, v41, v2
	s_delay_alu instid0(VALU_DEP_1)
	v_sub_f32_e32 v22, v40, v22
	scratch_store_b64 off, v[22:23], off offset:24
	v_cmpx_lt_u32_e32 2, v0
	s_cbranch_execz .LBB72_63
; %bb.62:
	scratch_load_b64 v[22:23], off, off offset:16
	v_mov_b32_e32 v2, v1
	scratch_store_b64 off, v[1:2], off offset:16
	s_wait_loadcnt 0x0
	ds_store_b64 v3, v[22:23]
.LBB72_63:
	s_wait_alu 0xfffe
	s_or_b32 exec_lo, exec_lo, s0
	s_wait_storecnt_dscnt 0x0
	s_barrier_signal -1
	s_barrier_wait -1
	global_inv scope:SCOPE_SE
	s_clause 0x3
	scratch_load_b128 v[22:25], off, off offset:24
	scratch_load_b128 v[26:29], off, off offset:40
	;; [unrolled: 1-line block ×3, first 2 shown]
	scratch_load_b64 v[46:47], off, off offset:16
	ds_load_2addr_b64 v[34:37], v1 offset0:13 offset1:14
	ds_load_2addr_b64 v[38:41], v1 offset0:15 offset1:16
	;; [unrolled: 1-line block ×3, first 2 shown]
	s_mov_b32 s0, exec_lo
	s_wait_loadcnt_dscnt 0x302
	v_dual_mul_f32 v1, v34, v23 :: v_dual_mul_f32 v2, v36, v25
	v_mul_f32_e32 v23, v35, v23
	s_wait_loadcnt_dscnt 0x201
	v_dual_mul_f32 v25, v37, v25 :: v_dual_mul_f32 v48, v38, v27
	s_delay_alu instid0(VALU_DEP_3) | instskip(NEXT) | instid1(VALU_DEP_3)
	v_dual_mul_f32 v49, v40, v29 :: v_dual_fmac_f32 v2, v37, v24
	v_fma_f32 v23, v34, v22, -v23
	v_fmac_f32_e32 v1, v35, v22
	v_mul_f32_e32 v22, v39, v27
	v_fma_f32 v24, v36, v24, -v25
	s_delay_alu instid0(VALU_DEP_4)
	v_dual_fmac_f32 v48, v39, v26 :: v_dual_add_f32 v23, 0, v23
	s_wait_loadcnt_dscnt 0x100
	v_dual_mul_f32 v50, v42, v31 :: v_dual_mul_f32 v51, v44, v33
	v_fma_f32 v22, v38, v26, -v22
	v_fmac_f32_e32 v49, v41, v28
	v_add_f32_e32 v23, v23, v24
	s_delay_alu instid0(VALU_DEP_4) | instskip(NEXT) | instid1(VALU_DEP_2)
	v_dual_mul_f32 v25, v41, v29 :: v_dual_fmac_f32 v50, v43, v30
	v_dual_fmac_f32 v51, v45, v32 :: v_dual_add_f32 v22, v23, v22
	s_delay_alu instid0(VALU_DEP_2) | instskip(NEXT) | instid1(VALU_DEP_1)
	v_fma_f32 v24, v40, v28, -v25
	v_dual_mul_f32 v23, v45, v33 :: v_dual_add_f32 v22, v22, v24
	v_add_f32_e32 v1, 0, v1
	s_delay_alu instid0(VALU_DEP_2) | instskip(NEXT) | instid1(VALU_DEP_2)
	v_fma_f32 v23, v44, v32, -v23
	v_dual_add_f32 v1, v1, v2 :: v_dual_mul_f32 v2, v43, v31
	s_delay_alu instid0(VALU_DEP_1) | instskip(NEXT) | instid1(VALU_DEP_1)
	v_fma_f32 v2, v42, v30, -v2
	v_add_f32_e32 v2, v22, v2
	s_delay_alu instid0(VALU_DEP_1) | instskip(NEXT) | instid1(VALU_DEP_1)
	v_dual_add_f32 v2, v2, v23 :: v_dual_add_f32 v1, v1, v48
	v_add_f32_e32 v1, v1, v49
	s_delay_alu instid0(VALU_DEP_1) | instskip(SKIP_1) | instid1(VALU_DEP_1)
	v_add_f32_e32 v1, v1, v50
	s_wait_loadcnt 0x0
	v_dual_add_f32 v22, v1, v51 :: v_dual_sub_f32 v1, v46, v2
	s_delay_alu instid0(VALU_DEP_1)
	v_sub_f32_e32 v2, v47, v22
	scratch_store_b64 off, v[1:2], off offset:16
	v_cmpx_lt_u32_e32 1, v0
	s_cbranch_execz .LBB72_65
; %bb.64:
	scratch_load_b64 v[1:2], off, off offset:8
	v_mov_b32_e32 v22, 0
	s_delay_alu instid0(VALU_DEP_1)
	v_mov_b32_e32 v23, v22
	scratch_store_b64 off, v[22:23], off offset:8
	s_wait_loadcnt 0x0
	ds_store_b64 v3, v[1:2]
.LBB72_65:
	s_wait_alu 0xfffe
	s_or_b32 exec_lo, exec_lo, s0
	s_wait_storecnt_dscnt 0x0
	s_barrier_signal -1
	s_barrier_wait -1
	global_inv scope:SCOPE_SE
	s_clause 0x4
	scratch_load_b128 v[23:26], off, off offset:16
	scratch_load_b128 v[27:30], off, off offset:32
	scratch_load_b128 v[31:34], off, off offset:48
	scratch_load_b64 v[1:2], off, off offset:64
	scratch_load_b64 v[47:48], off, off offset:8
	v_mov_b32_e32 v22, 0
	ds_load_b128 v[35:38], v22 offset:96
	ds_load_b128 v[39:42], v22 offset:112
	;; [unrolled: 1-line block ×3, first 2 shown]
	ds_load_b64 v[49:50], v22 offset:144
	s_mov_b32 s0, exec_lo
	s_wait_loadcnt_dscnt 0x403
	v_mul_f32_e32 v51, v35, v24
	v_mul_f32_e32 v24, v36, v24
	s_wait_loadcnt_dscnt 0x302
	v_dual_mul_f32 v52, v37, v26 :: v_dual_mul_f32 v53, v39, v28
	s_wait_loadcnt_dscnt 0x201
	v_dual_mul_f32 v56, v45, v34 :: v_dual_fmac_f32 v51, v36, v23
	s_wait_loadcnt_dscnt 0x100
	v_mul_f32_e32 v57, v49, v2
	v_mul_f32_e32 v26, v38, v26
	v_fma_f32 v24, v35, v23, -v24
	v_dual_mul_f32 v23, v40, v28 :: v_dual_fmac_f32 v52, v38, v25
	v_fmac_f32_e32 v53, v40, v27
	s_delay_alu instid0(VALU_DEP_4) | instskip(NEXT) | instid1(VALU_DEP_4)
	v_fma_f32 v25, v37, v25, -v26
	v_add_f32_e32 v24, 0, v24
	v_dual_add_f32 v26, 0, v51 :: v_dual_fmac_f32 v57, v50, v1
	v_fma_f32 v23, v39, v27, -v23
	v_dual_mul_f32 v54, v41, v30 :: v_dual_mul_f32 v55, v43, v32
	s_delay_alu instid0(VALU_DEP_3) | instskip(SKIP_1) | instid1(VALU_DEP_3)
	v_dual_add_f32 v24, v24, v25 :: v_dual_add_f32 v25, v26, v52
	v_mul_f32_e32 v28, v42, v30
	v_dual_fmac_f32 v54, v42, v29 :: v_dual_fmac_f32 v55, v44, v31
	s_delay_alu instid0(VALU_DEP_3) | instskip(NEXT) | instid1(VALU_DEP_3)
	v_dual_add_f32 v23, v24, v23 :: v_dual_fmac_f32 v56, v46, v33
	v_fma_f32 v27, v41, v29, -v28
	v_mul_f32_e32 v26, v44, v32
	s_delay_alu instid0(VALU_DEP_2) | instskip(NEXT) | instid1(VALU_DEP_2)
	v_dual_mul_f32 v2, v50, v2 :: v_dual_add_f32 v23, v23, v27
	v_fma_f32 v26, v43, v31, -v26
	v_dual_add_f32 v24, v25, v53 :: v_dual_mul_f32 v25, v46, v34
	s_delay_alu instid0(VALU_DEP_3) | instskip(NEXT) | instid1(VALU_DEP_3)
	v_fma_f32 v1, v49, v1, -v2
	v_add_f32_e32 v23, v23, v26
	s_delay_alu instid0(VALU_DEP_3) | instskip(NEXT) | instid1(VALU_DEP_1)
	v_fma_f32 v25, v45, v33, -v25
	v_add_f32_e32 v2, v23, v25
	s_delay_alu instid0(VALU_DEP_1) | instskip(SKIP_1) | instid1(VALU_DEP_1)
	v_dual_add_f32 v24, v24, v54 :: v_dual_add_f32 v1, v2, v1
	s_wait_loadcnt 0x0
	v_dual_add_f32 v24, v24, v55 :: v_dual_sub_f32 v1, v47, v1
	s_delay_alu instid0(VALU_DEP_1) | instskip(NEXT) | instid1(VALU_DEP_1)
	v_add_f32_e32 v23, v24, v56
	v_add_f32_e32 v2, v23, v57
	s_delay_alu instid0(VALU_DEP_1)
	v_sub_f32_e32 v2, v48, v2
	scratch_store_b64 off, v[1:2], off offset:8
	v_cmpx_ne_u32_e32 0, v0
	s_cbranch_execz .LBB72_67
; %bb.66:
	scratch_load_b64 v[0:1], off, off
	v_mov_b32_e32 v23, v22
	scratch_store_b64 off, v[22:23], off
	s_wait_loadcnt 0x0
	ds_store_b64 v3, v[0:1]
.LBB72_67:
	s_wait_alu 0xfffe
	s_or_b32 exec_lo, exec_lo, s0
	s_wait_storecnt_dscnt 0x0
	s_barrier_signal -1
	s_barrier_wait -1
	global_inv scope:SCOPE_SE
	s_clause 0x4
	scratch_load_b128 v[23:26], off, off offset:8
	scratch_load_b128 v[27:30], off, off offset:24
	;; [unrolled: 1-line block ×4, first 2 shown]
	scratch_load_b64 v[51:52], off, off
	ds_load_2addr_b64 v[35:38], v22 offset0:11 offset1:12
	ds_load_2addr_b64 v[39:42], v22 offset0:13 offset1:14
	;; [unrolled: 1-line block ×4, first 2 shown]
	s_and_b32 vcc_lo, exec_lo, s12
	s_wait_loadcnt_dscnt 0x403
	v_dual_mul_f32 v22, v35, v24 :: v_dual_mul_f32 v53, v37, v26
	s_wait_loadcnt_dscnt 0x100
	v_dual_mul_f32 v24, v36, v24 :: v_dual_mul_f32 v59, v49, v3
	v_mul_f32_e32 v26, v38, v26
	v_dual_mul_f32 v54, v39, v28 :: v_dual_mul_f32 v55, v41, v30
	s_delay_alu instid0(VALU_DEP_3) | instskip(SKIP_1) | instid1(VALU_DEP_4)
	v_fma_f32 v24, v35, v23, -v24
	v_dual_fmac_f32 v22, v36, v23 :: v_dual_fmac_f32 v53, v38, v25
	v_fma_f32 v25, v37, v25, -v26
	v_dual_mul_f32 v58, v47, v1 :: v_dual_mul_f32 v23, v40, v28
	s_delay_alu instid0(VALU_DEP_4) | instskip(SKIP_1) | instid1(VALU_DEP_2)
	v_dual_add_f32 v24, 0, v24 :: v_dual_fmac_f32 v55, v42, v29
	v_dual_mul_f32 v3, v50, v3 :: v_dual_mul_f32 v56, v43, v32
	v_dual_mul_f32 v57, v45, v34 :: v_dual_add_f32 v24, v24, v25
	v_mul_f32_e32 v25, v44, v32
	v_fma_f32 v23, v39, v27, -v23
	v_add_f32_e32 v22, 0, v22
	s_delay_alu instid0(VALU_DEP_4) | instskip(NEXT) | instid1(VALU_DEP_4)
	v_dual_fmac_f32 v56, v44, v31 :: v_dual_fmac_f32 v57, v46, v33
	v_fma_f32 v25, v43, v31, -v25
	s_delay_alu instid0(VALU_DEP_4) | instskip(SKIP_3) | instid1(VALU_DEP_4)
	v_dual_mul_f32 v26, v42, v30 :: v_dual_add_f32 v23, v24, v23
	v_mul_f32_e32 v24, v46, v34
	v_fmac_f32_e32 v59, v50, v2
	v_fma_f32 v2, v49, v2, -v3
	v_fma_f32 v26, v41, v29, -v26
	v_fmac_f32_e32 v54, v40, v27
	v_fma_f32 v24, v45, v33, -v24
	s_delay_alu instid0(VALU_DEP_3) | instskip(SKIP_1) | instid1(VALU_DEP_2)
	v_dual_fmac_f32 v58, v48, v0 :: v_dual_add_f32 v23, v23, v26
	v_mul_f32_e32 v26, v48, v1
	v_add_f32_e32 v23, v23, v25
	v_add_f32_e32 v22, v22, v53
	s_delay_alu instid0(VALU_DEP_3) | instskip(NEXT) | instid1(VALU_DEP_2)
	v_fma_f32 v25, v47, v0, -v26
	v_dual_add_f32 v23, v23, v24 :: v_dual_add_f32 v22, v22, v54
	s_delay_alu instid0(VALU_DEP_1) | instskip(NEXT) | instid1(VALU_DEP_1)
	v_dual_add_f32 v3, v23, v25 :: v_dual_add_f32 v22, v22, v55
	v_add_f32_e32 v2, v3, v2
	s_delay_alu instid0(VALU_DEP_2) | instskip(SKIP_1) | instid1(VALU_DEP_2)
	v_add_f32_e32 v22, v22, v56
	s_wait_loadcnt 0x0
	v_sub_f32_e32 v2, v51, v2
	s_delay_alu instid0(VALU_DEP_2) | instskip(NEXT) | instid1(VALU_DEP_1)
	v_add_f32_e32 v22, v22, v57
	v_add_f32_e32 v22, v22, v58
	s_delay_alu instid0(VALU_DEP_1) | instskip(NEXT) | instid1(VALU_DEP_1)
	v_add_f32_e32 v3, v22, v59
	v_sub_f32_e32 v3, v52, v3
	scratch_store_b64 off, v[2:3], off
	s_wait_alu 0xfffe
	s_cbranch_vccz .LBB72_84
; %bb.68:
	v_mov_b32_e32 v2, 0
	global_load_b32 v3, v2, s[2:3] offset:28
	s_wait_loadcnt 0x0
	v_cmp_ne_u32_e32 vcc_lo, 8, v3
	s_cbranch_vccz .LBB72_70
; %bb.69:
	v_lshlrev_b32_e32 v3, 3, v3
	scratch_load_b64 v[22:23], v3, off offset:-8
	s_wait_loadcnt 0x0
	scratch_store_b64 off, v[22:23], off offset:56
	scratch_store_b64 v3, v[0:1], off offset:-8
.LBB72_70:
	global_load_b32 v0, v2, s[2:3] offset:24
	s_wait_loadcnt 0x0
	v_cmp_eq_u32_e32 vcc_lo, 7, v0
	s_cbranch_vccnz .LBB72_72
; %bb.71:
	v_lshlrev_b32_e32 v0, 3, v0
	s_delay_alu instid0(VALU_DEP_1)
	v_mov_b32_e32 v22, v0
	scratch_load_b64 v[0:1], v22, off offset:-8
	scratch_load_b64 v[2:3], off, off offset:48
	s_wait_loadcnt 0x1
	scratch_store_b64 off, v[0:1], off offset:48
	s_wait_loadcnt 0x0
	scratch_store_b64 v22, v[2:3], off offset:-8
.LBB72_72:
	v_mov_b32_e32 v0, 0
	global_load_b32 v1, v0, s[2:3] offset:20
	s_wait_loadcnt 0x0
	v_cmp_eq_u32_e32 vcc_lo, 6, v1
	s_cbranch_vccnz .LBB72_74
; %bb.73:
	v_lshlrev_b32_e32 v1, 3, v1
	s_delay_alu instid0(VALU_DEP_1)
	v_mov_b32_e32 v3, v1
	scratch_load_b64 v[1:2], v3, off offset:-8
	scratch_load_b64 v[22:23], off, off offset:40
	s_wait_loadcnt 0x1
	scratch_store_b64 off, v[1:2], off offset:40
	s_wait_loadcnt 0x0
	scratch_store_b64 v3, v[22:23], off offset:-8
.LBB72_74:
	global_load_b32 v0, v0, s[2:3] offset:16
	s_wait_loadcnt 0x0
	v_cmp_eq_u32_e32 vcc_lo, 5, v0
	s_cbranch_vccnz .LBB72_76
; %bb.75:
	v_lshlrev_b32_e32 v0, 3, v0
	s_delay_alu instid0(VALU_DEP_1)
	v_mov_b32_e32 v22, v0
	scratch_load_b64 v[0:1], v22, off offset:-8
	scratch_load_b64 v[2:3], off, off offset:32
	s_wait_loadcnt 0x1
	scratch_store_b64 off, v[0:1], off offset:32
	s_wait_loadcnt 0x0
	scratch_store_b64 v22, v[2:3], off offset:-8
.LBB72_76:
	v_mov_b32_e32 v0, 0
	global_load_b32 v1, v0, s[2:3] offset:12
	s_wait_loadcnt 0x0
	v_cmp_eq_u32_e32 vcc_lo, 4, v1
	s_cbranch_vccnz .LBB72_78
; %bb.77:
	v_lshlrev_b32_e32 v1, 3, v1
	s_delay_alu instid0(VALU_DEP_1)
	v_mov_b32_e32 v3, v1
	scratch_load_b64 v[1:2], v3, off offset:-8
	scratch_load_b64 v[22:23], off, off offset:24
	s_wait_loadcnt 0x1
	scratch_store_b64 off, v[1:2], off offset:24
	s_wait_loadcnt 0x0
	scratch_store_b64 v3, v[22:23], off offset:-8
.LBB72_78:
	;; [unrolled: 31-line block ×3, first 2 shown]
	global_load_b32 v0, v0, s[2:3]
	s_wait_loadcnt 0x0
	v_cmp_eq_u32_e32 vcc_lo, 1, v0
	s_cbranch_vccnz .LBB72_84
; %bb.83:
	v_lshlrev_b32_e32 v0, 3, v0
	s_delay_alu instid0(VALU_DEP_1)
	v_mov_b32_e32 v22, v0
	scratch_load_b64 v[0:1], v22, off offset:-8
	scratch_load_b64 v[2:3], off, off
	s_wait_loadcnt 0x1
	scratch_store_b64 off, v[0:1], off
	s_wait_loadcnt 0x0
	scratch_store_b64 v22, v[2:3], off offset:-8
.LBB72_84:
	scratch_load_b64 v[0:1], off, off
	s_wait_loadcnt 0x0
	flat_store_b64 v[4:5], v[0:1]
	scratch_load_b64 v[0:1], off, off offset:8
	s_wait_loadcnt 0x0
	flat_store_b64 v[6:7], v[0:1]
	scratch_load_b64 v[0:1], off, off offset:16
	;; [unrolled: 3-line block ×8, first 2 shown]
	s_wait_loadcnt 0x0
	flat_store_b64 v[20:21], v[0:1]
	s_endpgm
	.section	.rodata,"a",@progbits
	.p2align	6, 0x0
	.amdhsa_kernel _ZN9rocsolver6v33100L18getri_kernel_smallILi9E19rocblas_complex_numIfEPKPS3_EEvT1_iilPiilS8_bb
		.amdhsa_group_segment_fixed_size 152
		.amdhsa_private_segment_fixed_size 80
		.amdhsa_kernarg_size 60
		.amdhsa_user_sgpr_count 2
		.amdhsa_user_sgpr_dispatch_ptr 0
		.amdhsa_user_sgpr_queue_ptr 0
		.amdhsa_user_sgpr_kernarg_segment_ptr 1
		.amdhsa_user_sgpr_dispatch_id 0
		.amdhsa_user_sgpr_private_segment_size 0
		.amdhsa_wavefront_size32 1
		.amdhsa_uses_dynamic_stack 0
		.amdhsa_enable_private_segment 1
		.amdhsa_system_sgpr_workgroup_id_x 1
		.amdhsa_system_sgpr_workgroup_id_y 0
		.amdhsa_system_sgpr_workgroup_id_z 0
		.amdhsa_system_sgpr_workgroup_info 0
		.amdhsa_system_vgpr_workitem_id 0
		.amdhsa_next_free_vgpr 60
		.amdhsa_next_free_sgpr 19
		.amdhsa_reserve_vcc 1
		.amdhsa_float_round_mode_32 0
		.amdhsa_float_round_mode_16_64 0
		.amdhsa_float_denorm_mode_32 3
		.amdhsa_float_denorm_mode_16_64 3
		.amdhsa_fp16_overflow 0
		.amdhsa_workgroup_processor_mode 1
		.amdhsa_memory_ordered 1
		.amdhsa_forward_progress 1
		.amdhsa_inst_pref_size 60
		.amdhsa_round_robin_scheduling 0
		.amdhsa_exception_fp_ieee_invalid_op 0
		.amdhsa_exception_fp_denorm_src 0
		.amdhsa_exception_fp_ieee_div_zero 0
		.amdhsa_exception_fp_ieee_overflow 0
		.amdhsa_exception_fp_ieee_underflow 0
		.amdhsa_exception_fp_ieee_inexact 0
		.amdhsa_exception_int_div_zero 0
	.end_amdhsa_kernel
	.section	.text._ZN9rocsolver6v33100L18getri_kernel_smallILi9E19rocblas_complex_numIfEPKPS3_EEvT1_iilPiilS8_bb,"axG",@progbits,_ZN9rocsolver6v33100L18getri_kernel_smallILi9E19rocblas_complex_numIfEPKPS3_EEvT1_iilPiilS8_bb,comdat
.Lfunc_end72:
	.size	_ZN9rocsolver6v33100L18getri_kernel_smallILi9E19rocblas_complex_numIfEPKPS3_EEvT1_iilPiilS8_bb, .Lfunc_end72-_ZN9rocsolver6v33100L18getri_kernel_smallILi9E19rocblas_complex_numIfEPKPS3_EEvT1_iilPiilS8_bb
                                        ; -- End function
	.set _ZN9rocsolver6v33100L18getri_kernel_smallILi9E19rocblas_complex_numIfEPKPS3_EEvT1_iilPiilS8_bb.num_vgpr, 60
	.set _ZN9rocsolver6v33100L18getri_kernel_smallILi9E19rocblas_complex_numIfEPKPS3_EEvT1_iilPiilS8_bb.num_agpr, 0
	.set _ZN9rocsolver6v33100L18getri_kernel_smallILi9E19rocblas_complex_numIfEPKPS3_EEvT1_iilPiilS8_bb.numbered_sgpr, 19
	.set _ZN9rocsolver6v33100L18getri_kernel_smallILi9E19rocblas_complex_numIfEPKPS3_EEvT1_iilPiilS8_bb.num_named_barrier, 0
	.set _ZN9rocsolver6v33100L18getri_kernel_smallILi9E19rocblas_complex_numIfEPKPS3_EEvT1_iilPiilS8_bb.private_seg_size, 80
	.set _ZN9rocsolver6v33100L18getri_kernel_smallILi9E19rocblas_complex_numIfEPKPS3_EEvT1_iilPiilS8_bb.uses_vcc, 1
	.set _ZN9rocsolver6v33100L18getri_kernel_smallILi9E19rocblas_complex_numIfEPKPS3_EEvT1_iilPiilS8_bb.uses_flat_scratch, 1
	.set _ZN9rocsolver6v33100L18getri_kernel_smallILi9E19rocblas_complex_numIfEPKPS3_EEvT1_iilPiilS8_bb.has_dyn_sized_stack, 0
	.set _ZN9rocsolver6v33100L18getri_kernel_smallILi9E19rocblas_complex_numIfEPKPS3_EEvT1_iilPiilS8_bb.has_recursion, 0
	.set _ZN9rocsolver6v33100L18getri_kernel_smallILi9E19rocblas_complex_numIfEPKPS3_EEvT1_iilPiilS8_bb.has_indirect_call, 0
	.section	.AMDGPU.csdata,"",@progbits
; Kernel info:
; codeLenInByte = 7592
; TotalNumSgprs: 21
; NumVgprs: 60
; ScratchSize: 80
; MemoryBound: 0
; FloatMode: 240
; IeeeMode: 1
; LDSByteSize: 152 bytes/workgroup (compile time only)
; SGPRBlocks: 0
; VGPRBlocks: 7
; NumSGPRsForWavesPerEU: 21
; NumVGPRsForWavesPerEU: 60
; Occupancy: 16
; WaveLimiterHint : 1
; COMPUTE_PGM_RSRC2:SCRATCH_EN: 1
; COMPUTE_PGM_RSRC2:USER_SGPR: 2
; COMPUTE_PGM_RSRC2:TRAP_HANDLER: 0
; COMPUTE_PGM_RSRC2:TGID_X_EN: 1
; COMPUTE_PGM_RSRC2:TGID_Y_EN: 0
; COMPUTE_PGM_RSRC2:TGID_Z_EN: 0
; COMPUTE_PGM_RSRC2:TIDIG_COMP_CNT: 0
	.section	.text._ZN9rocsolver6v33100L18getri_kernel_smallILi10E19rocblas_complex_numIfEPKPS3_EEvT1_iilPiilS8_bb,"axG",@progbits,_ZN9rocsolver6v33100L18getri_kernel_smallILi10E19rocblas_complex_numIfEPKPS3_EEvT1_iilPiilS8_bb,comdat
	.globl	_ZN9rocsolver6v33100L18getri_kernel_smallILi10E19rocblas_complex_numIfEPKPS3_EEvT1_iilPiilS8_bb ; -- Begin function _ZN9rocsolver6v33100L18getri_kernel_smallILi10E19rocblas_complex_numIfEPKPS3_EEvT1_iilPiilS8_bb
	.p2align	8
	.type	_ZN9rocsolver6v33100L18getri_kernel_smallILi10E19rocblas_complex_numIfEPKPS3_EEvT1_iilPiilS8_bb,@function
_ZN9rocsolver6v33100L18getri_kernel_smallILi10E19rocblas_complex_numIfEPKPS3_EEvT1_iilPiilS8_bb: ; @_ZN9rocsolver6v33100L18getri_kernel_smallILi10E19rocblas_complex_numIfEPKPS3_EEvT1_iilPiilS8_bb
; %bb.0:
	s_mov_b32 s2, exec_lo
	v_cmpx_gt_u32_e32 10, v0
	s_cbranch_execz .LBB73_54
; %bb.1:
	s_clause 0x1
	s_load_b32 s13, s[0:1], 0x38
	s_load_b64 s[2:3], s[0:1], 0x0
	s_mov_b32 s8, ttmp9
	s_load_b128 s[4:7], s[0:1], 0x28
	s_wait_kmcnt 0x0
	s_bitcmp1_b32 s13, 8
	s_cselect_b32 s12, -1, 0
	s_ashr_i32 s9, ttmp9, 31
	s_delay_alu instid0(SALU_CYCLE_1) | instskip(NEXT) | instid1(SALU_CYCLE_1)
	s_lshl_b64 s[10:11], s[8:9], 3
	s_add_nc_u64 s[2:3], s[2:3], s[10:11]
	s_load_b64 s[10:11], s[2:3], 0x0
	s_bfe_u32 s2, s13, 0x10008
	s_delay_alu instid0(SALU_CYCLE_1)
	s_cmp_eq_u32 s2, 0
                                        ; implicit-def: $sgpr2_sgpr3
	s_cbranch_scc1 .LBB73_3
; %bb.2:
	s_load_b96 s[16:18], s[0:1], 0x18
	s_mul_u64 s[2:3], s[4:5], s[8:9]
	s_delay_alu instid0(SALU_CYCLE_1)
	s_lshl_b64 s[2:3], s[2:3], 2
	s_wait_kmcnt 0x0
	s_ashr_i32 s5, s18, 31
	s_mov_b32 s4, s18
	s_add_nc_u64 s[2:3], s[16:17], s[2:3]
	s_lshl_b64 s[4:5], s[4:5], 2
	s_delay_alu instid0(SALU_CYCLE_1)
	s_add_nc_u64 s[2:3], s[2:3], s[4:5]
.LBB73_3:
	s_clause 0x1
	s_load_b64 s[4:5], s[0:1], 0x8
	s_load_b32 s13, s[0:1], 0x38
	v_lshlrev_b32_e32 v3, 3, v0
	s_wait_kmcnt 0x0
	s_ashr_i32 s1, s4, 31
	s_mov_b32 s0, s4
	v_add3_u32 v10, s5, s5, v0
	s_lshl_b64 s[0:1], s[0:1], 3
	s_delay_alu instid0(SALU_CYCLE_1)
	s_add_nc_u64 s[0:1], s[10:11], s[0:1]
	s_ashr_i32 s11, s5, 31
	v_add_co_u32 v4, s4, s0, v3
	s_wait_alu 0xf1ff
	v_add_co_ci_u32_e64 v5, null, s1, 0, s4
	s_mov_b32 s10, s5
	v_ashrrev_i32_e32 v11, 31, v10
	s_lshl_b64 s[10:11], s[10:11], 3
	flat_load_b64 v[1:2], v[4:5]
	v_add_co_u32 v6, vcc_lo, v4, s10
	s_delay_alu instid0(VALU_DEP_1) | instskip(SKIP_3) | instid1(VALU_DEP_2)
	v_add_co_ci_u32_e64 v7, null, s11, v5, vcc_lo
	v_lshlrev_b64_e32 v[8:9], 3, v[10:11]
	v_add_nc_u32_e32 v12, s5, v10
	s_bitcmp0_b32 s13, 0
	v_add_co_u32 v8, vcc_lo, s0, v8
	s_wait_alu 0xfffd
	s_delay_alu instid0(VALU_DEP_3) | instskip(SKIP_2) | instid1(VALU_DEP_2)
	v_add_co_ci_u32_e64 v9, null, s1, v9, vcc_lo
	v_ashrrev_i32_e32 v13, 31, v12
	v_add_nc_u32_e32 v14, s5, v12
	v_lshlrev_b64_e32 v[10:11], 3, v[12:13]
	s_delay_alu instid0(VALU_DEP_2) | instskip(SKIP_1) | instid1(VALU_DEP_3)
	v_ashrrev_i32_e32 v15, 31, v14
	v_add_nc_u32_e32 v16, s5, v14
	v_add_co_u32 v10, vcc_lo, s0, v10
	s_wait_alu 0xfffd
	s_delay_alu instid0(VALU_DEP_4) | instskip(SKIP_3) | instid1(VALU_DEP_3)
	v_add_co_ci_u32_e64 v11, null, s1, v11, vcc_lo
	v_lshlrev_b64_e32 v[12:13], 3, v[14:15]
	v_ashrrev_i32_e32 v17, 31, v16
	v_add_nc_u32_e32 v18, s5, v16
	v_add_co_u32 v12, vcc_lo, s0, v12
	s_wait_alu 0xfffd
	s_delay_alu instid0(VALU_DEP_4) | instskip(SKIP_3) | instid1(VALU_DEP_3)
	v_add_co_ci_u32_e64 v13, null, s1, v13, vcc_lo
	v_lshlrev_b64_e32 v[14:15], 3, v[16:17]
	;; [unrolled: 7-line block ×3, first 2 shown]
	v_ashrrev_i32_e32 v21, 31, v20
	v_add_nc_u32_e32 v22, s5, v20
	v_add_co_u32 v16, vcc_lo, s0, v16
	s_wait_alu 0xfffd
	s_delay_alu instid0(VALU_DEP_4) | instskip(SKIP_2) | instid1(VALU_DEP_2)
	v_add_co_ci_u32_e64 v17, null, s1, v17, vcc_lo
	v_lshlrev_b64_e32 v[18:19], 3, v[20:21]
	v_ashrrev_i32_e32 v23, 31, v22
	v_add_co_u32 v18, vcc_lo, s0, v18
	s_wait_alu 0xfffd
	s_delay_alu instid0(VALU_DEP_3) | instskip(NEXT) | instid1(VALU_DEP_3)
	v_add_co_ci_u32_e64 v19, null, s1, v19, vcc_lo
	v_lshlrev_b64_e32 v[20:21], 3, v[22:23]
	v_add_nc_u32_e32 v22, s5, v22
	s_delay_alu instid0(VALU_DEP_2) | instskip(SKIP_1) | instid1(VALU_DEP_3)
	v_add_co_u32 v20, vcc_lo, s0, v20
	s_wait_alu 0xfffd
	v_add_co_ci_u32_e64 v21, null, s1, v21, vcc_lo
	s_delay_alu instid0(VALU_DEP_3) | instskip(NEXT) | instid1(VALU_DEP_1)
	v_ashrrev_i32_e32 v23, 31, v22
	v_lshlrev_b64_e32 v[22:23], 3, v[22:23]
	s_delay_alu instid0(VALU_DEP_1) | instskip(SKIP_1) | instid1(VALU_DEP_2)
	v_add_co_u32 v22, vcc_lo, s0, v22
	s_wait_alu 0xfffd
	v_add_co_ci_u32_e64 v23, null, s1, v23, vcc_lo
	s_mov_b32 s1, -1
	s_wait_loadcnt_dscnt 0x0
	scratch_store_b64 off, v[1:2], off
	flat_load_b64 v[1:2], v[6:7]
	s_wait_loadcnt_dscnt 0x0
	scratch_store_b64 off, v[1:2], off offset:8
	flat_load_b64 v[1:2], v[8:9]
	s_wait_loadcnt_dscnt 0x0
	scratch_store_b64 off, v[1:2], off offset:16
	;; [unrolled: 3-line block ×9, first 2 shown]
	s_cbranch_scc1 .LBB73_52
; %bb.4:
	v_cmp_eq_u32_e64 s0, 0, v0
	s_and_saveexec_b32 s1, s0
; %bb.5:
	v_mov_b32_e32 v1, 0
	ds_store_b32 v1, v1 offset:160
; %bb.6:
	s_wait_alu 0xfffe
	s_or_b32 exec_lo, exec_lo, s1
	s_wait_storecnt_dscnt 0x0
	s_barrier_signal -1
	s_barrier_wait -1
	global_inv scope:SCOPE_SE
	scratch_load_b64 v[1:2], v3, off
	s_wait_loadcnt 0x0
	v_cmp_eq_f32_e32 vcc_lo, 0, v1
	v_cmp_eq_f32_e64 s1, 0, v2
	s_and_b32 s1, vcc_lo, s1
	s_wait_alu 0xfffe
	s_and_saveexec_b32 s4, s1
	s_cbranch_execz .LBB73_10
; %bb.7:
	v_mov_b32_e32 v1, 0
	s_mov_b32 s5, 0
	ds_load_b32 v2, v1 offset:160
	s_wait_dscnt 0x0
	v_readfirstlane_b32 s1, v2
	v_add_nc_u32_e32 v2, 1, v0
	s_cmp_eq_u32 s1, 0
	s_delay_alu instid0(VALU_DEP_1)
	v_cmp_gt_i32_e32 vcc_lo, s1, v2
	s_cselect_b32 s10, -1, 0
	s_wait_alu 0xfffe
	s_or_b32 s10, s10, vcc_lo
	s_wait_alu 0xfffe
	s_and_b32 exec_lo, exec_lo, s10
	s_cbranch_execz .LBB73_10
; %bb.8:
	v_mov_b32_e32 v24, s1
.LBB73_9:                               ; =>This Inner Loop Header: Depth=1
	ds_cmpstore_rtn_b32 v24, v1, v2, v24 offset:160
	s_wait_dscnt 0x0
	v_cmp_ne_u32_e32 vcc_lo, 0, v24
	v_cmp_le_i32_e64 s1, v24, v2
	s_and_b32 s1, vcc_lo, s1
	s_wait_alu 0xfffe
	s_and_b32 s1, exec_lo, s1
	s_wait_alu 0xfffe
	s_or_b32 s5, s1, s5
	s_wait_alu 0xfffe
	s_and_not1_b32 exec_lo, exec_lo, s5
	s_cbranch_execnz .LBB73_9
.LBB73_10:
	s_wait_alu 0xfffe
	s_or_b32 exec_lo, exec_lo, s4
	v_mov_b32_e32 v1, 0
	s_barrier_signal -1
	s_barrier_wait -1
	global_inv scope:SCOPE_SE
	ds_load_b32 v2, v1 offset:160
	s_and_saveexec_b32 s1, s0
	s_cbranch_execz .LBB73_12
; %bb.11:
	s_lshl_b64 s[4:5], s[8:9], 2
	s_wait_alu 0xfffe
	s_add_nc_u64 s[4:5], s[6:7], s[4:5]
	s_wait_dscnt 0x0
	global_store_b32 v1, v2, s[4:5]
.LBB73_12:
	s_wait_alu 0xfffe
	s_or_b32 exec_lo, exec_lo, s1
	s_wait_dscnt 0x0
	v_cmp_ne_u32_e32 vcc_lo, 0, v2
	s_mov_b32 s1, 0
	s_cbranch_vccnz .LBB73_52
; %bb.13:
	v_mov_b32_e32 v28, v3
                                        ; implicit-def: $vgpr24
                                        ; implicit-def: $vgpr26
	scratch_load_b64 v[1:2], v28, off
	s_wait_loadcnt 0x0
	v_cmp_ngt_f32_e64 s1, |v1|, |v2|
	s_wait_alu 0xfffe
	s_and_saveexec_b32 s4, s1
	s_wait_alu 0xfffe
	s_xor_b32 s1, exec_lo, s4
	s_cbranch_execz .LBB73_15
; %bb.14:
	v_div_scale_f32 v24, null, v2, v2, v1
	v_div_scale_f32 v27, vcc_lo, v1, v2, v1
	s_delay_alu instid0(VALU_DEP_2) | instskip(NEXT) | instid1(TRANS32_DEP_1)
	v_rcp_f32_e32 v25, v24
	v_fma_f32 v26, -v24, v25, 1.0
	s_delay_alu instid0(VALU_DEP_1) | instskip(NEXT) | instid1(VALU_DEP_1)
	v_fmac_f32_e32 v25, v26, v25
	v_mul_f32_e32 v26, v27, v25
	s_delay_alu instid0(VALU_DEP_1) | instskip(NEXT) | instid1(VALU_DEP_1)
	v_fma_f32 v29, -v24, v26, v27
	v_fmac_f32_e32 v26, v29, v25
	s_delay_alu instid0(VALU_DEP_1) | instskip(SKIP_1) | instid1(VALU_DEP_1)
	v_fma_f32 v24, -v24, v26, v27
	s_wait_alu 0xfffd
	v_div_fmas_f32 v24, v24, v25, v26
	s_delay_alu instid0(VALU_DEP_1) | instskip(NEXT) | instid1(VALU_DEP_1)
	v_div_fixup_f32 v24, v24, v2, v1
	v_fmac_f32_e32 v2, v1, v24
	s_delay_alu instid0(VALU_DEP_1) | instskip(NEXT) | instid1(VALU_DEP_1)
	v_div_scale_f32 v1, null, v2, v2, 1.0
	v_rcp_f32_e32 v25, v1
	s_delay_alu instid0(TRANS32_DEP_1) | instskip(NEXT) | instid1(VALU_DEP_1)
	v_fma_f32 v26, -v1, v25, 1.0
	v_fmac_f32_e32 v25, v26, v25
	v_div_scale_f32 v26, vcc_lo, 1.0, v2, 1.0
	s_delay_alu instid0(VALU_DEP_1) | instskip(NEXT) | instid1(VALU_DEP_1)
	v_mul_f32_e32 v27, v26, v25
	v_fma_f32 v29, -v1, v27, v26
	s_delay_alu instid0(VALU_DEP_1) | instskip(NEXT) | instid1(VALU_DEP_1)
	v_fmac_f32_e32 v27, v29, v25
	v_fma_f32 v1, -v1, v27, v26
	s_wait_alu 0xfffd
	s_delay_alu instid0(VALU_DEP_1) | instskip(NEXT) | instid1(VALU_DEP_1)
	v_div_fmas_f32 v1, v1, v25, v27
	v_div_fixup_f32 v1, v1, v2, 1.0
	s_delay_alu instid0(VALU_DEP_1) | instskip(SKIP_1) | instid1(VALU_DEP_2)
	v_mul_f32_e32 v24, v24, v1
	v_xor_b32_e32 v25, 0x80000000, v1
                                        ; implicit-def: $vgpr1_vgpr2
	v_xor_b32_e32 v26, 0x80000000, v24
.LBB73_15:
	s_wait_alu 0xfffe
	s_and_not1_saveexec_b32 s1, s1
	s_cbranch_execz .LBB73_17
; %bb.16:
	v_div_scale_f32 v24, null, v1, v1, v2
	v_div_scale_f32 v27, vcc_lo, v2, v1, v2
	s_delay_alu instid0(VALU_DEP_2) | instskip(NEXT) | instid1(TRANS32_DEP_1)
	v_rcp_f32_e32 v25, v24
	v_fma_f32 v26, -v24, v25, 1.0
	s_delay_alu instid0(VALU_DEP_1) | instskip(NEXT) | instid1(VALU_DEP_1)
	v_fmac_f32_e32 v25, v26, v25
	v_mul_f32_e32 v26, v27, v25
	s_delay_alu instid0(VALU_DEP_1) | instskip(NEXT) | instid1(VALU_DEP_1)
	v_fma_f32 v29, -v24, v26, v27
	v_fmac_f32_e32 v26, v29, v25
	s_delay_alu instid0(VALU_DEP_1) | instskip(SKIP_1) | instid1(VALU_DEP_1)
	v_fma_f32 v24, -v24, v26, v27
	s_wait_alu 0xfffd
	v_div_fmas_f32 v24, v24, v25, v26
	s_delay_alu instid0(VALU_DEP_1) | instskip(NEXT) | instid1(VALU_DEP_1)
	v_div_fixup_f32 v25, v24, v1, v2
	v_fmac_f32_e32 v1, v2, v25
	s_delay_alu instid0(VALU_DEP_1) | instskip(SKIP_1) | instid1(VALU_DEP_2)
	v_div_scale_f32 v2, null, v1, v1, 1.0
	v_div_scale_f32 v27, vcc_lo, 1.0, v1, 1.0
	v_rcp_f32_e32 v24, v2
	s_delay_alu instid0(TRANS32_DEP_1) | instskip(NEXT) | instid1(VALU_DEP_1)
	v_fma_f32 v26, -v2, v24, 1.0
	v_fmac_f32_e32 v24, v26, v24
	s_delay_alu instid0(VALU_DEP_1) | instskip(NEXT) | instid1(VALU_DEP_1)
	v_mul_f32_e32 v26, v27, v24
	v_fma_f32 v29, -v2, v26, v27
	s_delay_alu instid0(VALU_DEP_1) | instskip(NEXT) | instid1(VALU_DEP_1)
	v_fmac_f32_e32 v26, v29, v24
	v_fma_f32 v2, -v2, v26, v27
	s_wait_alu 0xfffd
	s_delay_alu instid0(VALU_DEP_1) | instskip(NEXT) | instid1(VALU_DEP_1)
	v_div_fmas_f32 v2, v2, v24, v26
	v_div_fixup_f32 v24, v2, v1, 1.0
	s_delay_alu instid0(VALU_DEP_1)
	v_xor_b32_e32 v26, 0x80000000, v24
	v_mul_f32_e64 v25, v25, -v24
.LBB73_17:
	s_wait_alu 0xfffe
	s_or_b32 exec_lo, exec_lo, s1
	scratch_store_b64 v28, v[24:25], off
	scratch_load_b64 v[29:30], off, off offset:8
	v_xor_b32_e32 v27, 0x80000000, v25
	v_add_nc_u32_e32 v1, 0x50, v3
	s_wait_loadcnt 0x0
	ds_store_2addr_b64 v3, v[26:27], v[29:30] offset1:10
	s_wait_storecnt_dscnt 0x0
	s_barrier_signal -1
	s_barrier_wait -1
	global_inv scope:SCOPE_SE
	s_and_saveexec_b32 s1, s0
	s_cbranch_execz .LBB73_19
; %bb.18:
	scratch_load_b64 v[24:25], v28, off
	ds_load_b64 v[26:27], v1
	v_mov_b32_e32 v2, 0
	ds_load_b64 v[29:30], v2 offset:8
	s_wait_loadcnt_dscnt 0x1
	v_mul_f32_e32 v2, v26, v25
	v_mul_f32_e32 v25, v27, v25
	s_delay_alu instid0(VALU_DEP_2) | instskip(NEXT) | instid1(VALU_DEP_2)
	v_fmac_f32_e32 v2, v27, v24
	v_fma_f32 v24, v26, v24, -v25
	s_delay_alu instid0(VALU_DEP_2) | instskip(NEXT) | instid1(VALU_DEP_2)
	v_add_f32_e32 v2, 0, v2
	v_add_f32_e32 v24, 0, v24
	s_wait_dscnt 0x0
	s_delay_alu instid0(VALU_DEP_2) | instskip(NEXT) | instid1(VALU_DEP_2)
	v_mul_f32_e32 v26, v2, v30
	v_mul_f32_e32 v25, v24, v30
	s_delay_alu instid0(VALU_DEP_1) | instskip(NEXT) | instid1(VALU_DEP_3)
	v_fmac_f32_e32 v25, v2, v29
	v_fma_f32 v24, v24, v29, -v26
	scratch_store_b64 off, v[24:25], off offset:8
.LBB73_19:
	s_wait_alu 0xfffe
	s_or_b32 exec_lo, exec_lo, s1
	s_wait_loadcnt 0x0
	s_wait_storecnt 0x0
	s_barrier_signal -1
	s_barrier_wait -1
	global_inv scope:SCOPE_SE
	scratch_load_b64 v[24:25], off, off offset:16
	s_mov_b32 s1, exec_lo
	s_wait_loadcnt 0x0
	ds_store_b64 v1, v[24:25]
	s_wait_dscnt 0x0
	s_barrier_signal -1
	s_barrier_wait -1
	global_inv scope:SCOPE_SE
	v_cmpx_gt_u32_e32 2, v0
	s_cbranch_execz .LBB73_23
; %bb.20:
	scratch_load_b64 v[24:25], v28, off
	ds_load_b64 v[26:27], v1
	s_wait_loadcnt_dscnt 0x0
	v_mul_f32_e32 v2, v27, v25
	s_delay_alu instid0(VALU_DEP_1) | instskip(SKIP_1) | instid1(VALU_DEP_1)
	v_fma_f32 v2, v26, v24, -v2
	v_mul_f32_e32 v25, v26, v25
	v_dual_fmac_f32 v25, v27, v24 :: v_dual_add_f32 v24, 0, v2
	s_delay_alu instid0(VALU_DEP_1)
	v_add_f32_e32 v2, 0, v25
	s_and_saveexec_b32 s4, s0
	s_cbranch_execz .LBB73_22
; %bb.21:
	scratch_load_b64 v[25:26], off, off offset:8
	v_mov_b32_e32 v27, 0
	ds_load_b64 v[29:30], v27 offset:88
	s_wait_loadcnt_dscnt 0x0
	v_mul_f32_e32 v27, v29, v26
	v_mul_f32_e32 v26, v30, v26
	s_delay_alu instid0(VALU_DEP_2) | instskip(NEXT) | instid1(VALU_DEP_2)
	v_fmac_f32_e32 v27, v30, v25
	v_fma_f32 v25, v29, v25, -v26
	s_delay_alu instid0(VALU_DEP_2) | instskip(NEXT) | instid1(VALU_DEP_2)
	v_add_f32_e32 v2, v2, v27
	v_add_f32_e32 v24, v24, v25
.LBB73_22:
	s_wait_alu 0xfffe
	s_or_b32 exec_lo, exec_lo, s4
	v_mov_b32_e32 v25, 0
	ds_load_b64 v[25:26], v25 offset:16
	s_wait_dscnt 0x0
	v_mul_f32_e32 v29, v2, v26
	v_mul_f32_e32 v27, v24, v26
	s_delay_alu instid0(VALU_DEP_2) | instskip(NEXT) | instid1(VALU_DEP_2)
	v_fma_f32 v26, v24, v25, -v29
	v_fmac_f32_e32 v27, v2, v25
	scratch_store_b64 off, v[26:27], off offset:16
.LBB73_23:
	s_wait_alu 0xfffe
	s_or_b32 exec_lo, exec_lo, s1
	s_wait_loadcnt 0x0
	s_wait_storecnt 0x0
	s_barrier_signal -1
	s_barrier_wait -1
	global_inv scope:SCOPE_SE
	scratch_load_b64 v[24:25], off, off offset:24
	v_add_nc_u32_e32 v2, -1, v0
	s_mov_b32 s0, exec_lo
	s_wait_loadcnt 0x0
	ds_store_b64 v1, v[24:25]
	s_wait_dscnt 0x0
	s_barrier_signal -1
	s_barrier_wait -1
	global_inv scope:SCOPE_SE
	v_cmpx_gt_u32_e32 3, v0
	s_cbranch_execz .LBB73_27
; %bb.24:
	v_dual_mov_b32 v24, 0 :: v_dual_add_nc_u32 v25, -1, v0
	v_dual_mov_b32 v27, v3 :: v_dual_add_nc_u32 v26, 0x50, v3
	v_mov_b32_e32 v29, 0
	s_mov_b32 s1, 0
.LBB73_25:                              ; =>This Inner Loop Header: Depth=1
	scratch_load_b64 v[30:31], v27, off
	ds_load_b64 v[32:33], v26
	v_add_nc_u32_e32 v27, 8, v27
	v_add_nc_u32_e32 v25, 1, v25
	v_add_nc_u32_e32 v26, 8, v26
	s_delay_alu instid0(VALU_DEP_2)
	v_cmp_lt_u32_e32 vcc_lo, 1, v25
	s_wait_alu 0xfffe
	s_or_b32 s1, vcc_lo, s1
	s_wait_loadcnt_dscnt 0x0
	v_mul_f32_e32 v34, v33, v31
	v_mul_f32_e32 v31, v32, v31
	s_delay_alu instid0(VALU_DEP_2) | instskip(NEXT) | instid1(VALU_DEP_2)
	v_fma_f32 v32, v32, v30, -v34
	v_fmac_f32_e32 v31, v33, v30
	s_delay_alu instid0(VALU_DEP_1)
	v_dual_add_f32 v29, v29, v32 :: v_dual_add_f32 v24, v24, v31
	s_wait_alu 0xfffe
	s_and_not1_b32 exec_lo, exec_lo, s1
	s_cbranch_execnz .LBB73_25
; %bb.26:
	s_or_b32 exec_lo, exec_lo, s1
	v_mov_b32_e32 v25, 0
	ds_load_b64 v[25:26], v25 offset:24
	s_wait_dscnt 0x0
	v_mul_f32_e32 v30, v24, v26
	v_mul_f32_e32 v27, v29, v26
	s_delay_alu instid0(VALU_DEP_2) | instskip(NEXT) | instid1(VALU_DEP_2)
	v_fma_f32 v26, v29, v25, -v30
	v_fmac_f32_e32 v27, v24, v25
	scratch_store_b64 off, v[26:27], off offset:24
.LBB73_27:
	s_wait_alu 0xfffe
	s_or_b32 exec_lo, exec_lo, s0
	s_wait_loadcnt 0x0
	s_wait_storecnt 0x0
	s_barrier_signal -1
	s_barrier_wait -1
	global_inv scope:SCOPE_SE
	scratch_load_b64 v[24:25], off, off offset:32
	s_mov_b32 s0, exec_lo
	s_wait_loadcnt 0x0
	ds_store_b64 v1, v[24:25]
	s_wait_dscnt 0x0
	s_barrier_signal -1
	s_barrier_wait -1
	global_inv scope:SCOPE_SE
	v_cmpx_gt_u32_e32 4, v0
	s_cbranch_execz .LBB73_31
; %bb.28:
	v_dual_mov_b32 v24, 0 :: v_dual_add_nc_u32 v25, -1, v0
	v_dual_mov_b32 v27, v3 :: v_dual_add_nc_u32 v26, 0x50, v3
	v_mov_b32_e32 v29, 0
	s_mov_b32 s1, 0
.LBB73_29:                              ; =>This Inner Loop Header: Depth=1
	scratch_load_b64 v[30:31], v27, off
	ds_load_b64 v[32:33], v26
	v_add_nc_u32_e32 v27, 8, v27
	v_add_nc_u32_e32 v25, 1, v25
	v_add_nc_u32_e32 v26, 8, v26
	s_delay_alu instid0(VALU_DEP_2)
	v_cmp_lt_u32_e32 vcc_lo, 2, v25
	s_wait_alu 0xfffe
	s_or_b32 s1, vcc_lo, s1
	s_wait_loadcnt_dscnt 0x0
	v_mul_f32_e32 v34, v33, v31
	v_mul_f32_e32 v31, v32, v31
	s_delay_alu instid0(VALU_DEP_2) | instskip(NEXT) | instid1(VALU_DEP_2)
	v_fma_f32 v32, v32, v30, -v34
	v_fmac_f32_e32 v31, v33, v30
	s_delay_alu instid0(VALU_DEP_1)
	v_dual_add_f32 v29, v29, v32 :: v_dual_add_f32 v24, v24, v31
	s_wait_alu 0xfffe
	s_and_not1_b32 exec_lo, exec_lo, s1
	s_cbranch_execnz .LBB73_29
; %bb.30:
	s_or_b32 exec_lo, exec_lo, s1
	v_mov_b32_e32 v25, 0
	ds_load_b64 v[25:26], v25 offset:32
	s_wait_dscnt 0x0
	v_mul_f32_e32 v30, v24, v26
	v_mul_f32_e32 v27, v29, v26
	s_delay_alu instid0(VALU_DEP_2) | instskip(NEXT) | instid1(VALU_DEP_2)
	v_fma_f32 v26, v29, v25, -v30
	v_fmac_f32_e32 v27, v24, v25
	scratch_store_b64 off, v[26:27], off offset:32
.LBB73_31:
	s_wait_alu 0xfffe
	s_or_b32 exec_lo, exec_lo, s0
	s_wait_loadcnt 0x0
	s_wait_storecnt 0x0
	s_barrier_signal -1
	s_barrier_wait -1
	global_inv scope:SCOPE_SE
	scratch_load_b64 v[24:25], off, off offset:40
	;; [unrolled: 55-line block ×5, first 2 shown]
	s_mov_b32 s0, exec_lo
	s_wait_loadcnt 0x0
	ds_store_b64 v1, v[24:25]
	s_wait_dscnt 0x0
	s_barrier_signal -1
	s_barrier_wait -1
	global_inv scope:SCOPE_SE
	v_cmpx_gt_u32_e32 8, v0
	s_cbranch_execz .LBB73_47
; %bb.44:
	v_add_nc_u32_e32 v24, -1, v0
	v_dual_mov_b32 v26, v3 :: v_dual_add_nc_u32 v25, 0x50, v3
	v_mov_b32_e32 v3, 0
	v_mov_b32_e32 v27, 0
	s_mov_b32 s1, 0
.LBB73_45:                              ; =>This Inner Loop Header: Depth=1
	scratch_load_b64 v[29:30], v26, off
	ds_load_b64 v[31:32], v25
	v_add_nc_u32_e32 v26, 8, v26
	v_add_nc_u32_e32 v24, 1, v24
	;; [unrolled: 1-line block ×3, first 2 shown]
	s_delay_alu instid0(VALU_DEP_2)
	v_cmp_lt_u32_e32 vcc_lo, 6, v24
	s_wait_alu 0xfffe
	s_or_b32 s1, vcc_lo, s1
	s_wait_loadcnt_dscnt 0x0
	v_mul_f32_e32 v33, v32, v30
	v_mul_f32_e32 v30, v31, v30
	s_delay_alu instid0(VALU_DEP_2) | instskip(NEXT) | instid1(VALU_DEP_1)
	v_fma_f32 v31, v31, v29, -v33
	v_dual_fmac_f32 v30, v32, v29 :: v_dual_add_f32 v27, v27, v31
	s_delay_alu instid0(VALU_DEP_1)
	v_add_f32_e32 v3, v3, v30
	s_wait_alu 0xfffe
	s_and_not1_b32 exec_lo, exec_lo, s1
	s_cbranch_execnz .LBB73_45
; %bb.46:
	s_or_b32 exec_lo, exec_lo, s1
	v_mov_b32_e32 v24, 0
	ds_load_b64 v[24:25], v24 offset:64
	s_wait_dscnt 0x0
	v_mul_f32_e32 v29, v3, v25
	v_mul_f32_e32 v26, v27, v25
	s_delay_alu instid0(VALU_DEP_2) | instskip(NEXT) | instid1(VALU_DEP_2)
	v_fma_f32 v25, v27, v24, -v29
	v_fmac_f32_e32 v26, v3, v24
	scratch_store_b64 off, v[25:26], off offset:64
.LBB73_47:
	s_wait_alu 0xfffe
	s_or_b32 exec_lo, exec_lo, s0
	s_wait_loadcnt 0x0
	s_wait_storecnt 0x0
	s_barrier_signal -1
	s_barrier_wait -1
	global_inv scope:SCOPE_SE
	scratch_load_b64 v[24:25], off, off offset:72
	s_mov_b32 s0, exec_lo
	s_wait_loadcnt 0x0
	ds_store_b64 v1, v[24:25]
	s_wait_dscnt 0x0
	s_barrier_signal -1
	s_barrier_wait -1
	global_inv scope:SCOPE_SE
	v_cmpx_ne_u32_e32 9, v0
	s_cbranch_execz .LBB73_51
; %bb.48:
	v_dual_mov_b32 v3, 0 :: v_dual_mov_b32 v24, 0
	s_mov_b32 s1, 0
.LBB73_49:                              ; =>This Inner Loop Header: Depth=1
	scratch_load_b64 v[25:26], v28, off
	ds_load_b64 v[29:30], v1
	v_add_nc_u32_e32 v2, 1, v2
	v_add_nc_u32_e32 v1, 8, v1
	;; [unrolled: 1-line block ×3, first 2 shown]
	s_delay_alu instid0(VALU_DEP_3)
	v_cmp_lt_u32_e32 vcc_lo, 7, v2
	s_wait_alu 0xfffe
	s_or_b32 s1, vcc_lo, s1
	s_wait_loadcnt_dscnt 0x0
	v_mul_f32_e32 v27, v30, v26
	v_mul_f32_e32 v26, v29, v26
	s_delay_alu instid0(VALU_DEP_2) | instskip(NEXT) | instid1(VALU_DEP_2)
	v_fma_f32 v27, v29, v25, -v27
	v_fmac_f32_e32 v26, v30, v25
	s_delay_alu instid0(VALU_DEP_1)
	v_dual_add_f32 v24, v24, v27 :: v_dual_add_f32 v3, v3, v26
	s_wait_alu 0xfffe
	s_and_not1_b32 exec_lo, exec_lo, s1
	s_cbranch_execnz .LBB73_49
; %bb.50:
	s_or_b32 exec_lo, exec_lo, s1
	v_mov_b32_e32 v1, 0
	ds_load_b64 v[1:2], v1 offset:72
	s_wait_dscnt 0x0
	v_mul_f32_e32 v26, v3, v2
	v_mul_f32_e32 v25, v24, v2
	s_delay_alu instid0(VALU_DEP_2) | instskip(NEXT) | instid1(VALU_DEP_2)
	v_fma_f32 v24, v24, v1, -v26
	v_fmac_f32_e32 v25, v3, v1
	scratch_store_b64 off, v[24:25], off offset:72
.LBB73_51:
	s_wait_alu 0xfffe
	s_or_b32 exec_lo, exec_lo, s0
	s_mov_b32 s1, -1
	s_wait_loadcnt 0x0
	s_wait_storecnt 0x0
	s_barrier_signal -1
	s_barrier_wait -1
	global_inv scope:SCOPE_SE
.LBB73_52:
	s_wait_alu 0xfffe
	s_and_b32 vcc_lo, exec_lo, s1
	s_wait_alu 0xfffe
	s_cbranch_vccz .LBB73_54
; %bb.53:
	v_mov_b32_e32 v1, 0
	s_lshl_b64 s[0:1], s[8:9], 2
	s_wait_alu 0xfffe
	s_add_nc_u64 s[0:1], s[6:7], s[0:1]
	global_load_b32 v1, v1, s[0:1]
	s_wait_loadcnt 0x0
	v_cmp_ne_u32_e32 vcc_lo, 0, v1
	s_cbranch_vccz .LBB73_55
.LBB73_54:
	s_endpgm
.LBB73_55:
	v_lshl_add_u32 v3, v0, 3, 0x50
	s_mov_b32 s0, exec_lo
	v_cmpx_eq_u32_e32 9, v0
	s_cbranch_execz .LBB73_57
; %bb.56:
	scratch_load_b64 v[1:2], off, off offset:64
	v_mov_b32_e32 v24, 0
	s_delay_alu instid0(VALU_DEP_1)
	v_mov_b32_e32 v25, v24
	scratch_store_b64 off, v[24:25], off offset:64
	s_wait_loadcnt 0x0
	ds_store_b64 v3, v[1:2]
.LBB73_57:
	s_wait_alu 0xfffe
	s_or_b32 exec_lo, exec_lo, s0
	s_wait_storecnt_dscnt 0x0
	s_barrier_signal -1
	s_barrier_wait -1
	global_inv scope:SCOPE_SE
	s_clause 0x1
	scratch_load_b64 v[24:25], off, off offset:72
	scratch_load_b64 v[26:27], off, off offset:64
	v_mov_b32_e32 v1, 0
	s_mov_b32 s0, exec_lo
	ds_load_b64 v[28:29], v1 offset:152
	s_wait_loadcnt_dscnt 0x100
	v_mul_f32_e32 v2, v29, v25
	s_delay_alu instid0(VALU_DEP_1) | instskip(NEXT) | instid1(VALU_DEP_1)
	v_fma_f32 v2, v28, v24, -v2
	v_dual_mul_f32 v25, v28, v25 :: v_dual_add_f32 v2, 0, v2
	s_wait_loadcnt 0x0
	s_delay_alu instid0(VALU_DEP_1) | instskip(NEXT) | instid1(VALU_DEP_1)
	v_dual_fmac_f32 v25, v29, v24 :: v_dual_sub_f32 v24, v26, v2
	v_add_f32_e32 v25, 0, v25
	s_delay_alu instid0(VALU_DEP_1)
	v_sub_f32_e32 v25, v27, v25
	scratch_store_b64 off, v[24:25], off offset:64
	v_cmpx_lt_u32_e32 7, v0
	s_cbranch_execz .LBB73_59
; %bb.58:
	scratch_load_b64 v[24:25], off, off offset:56
	v_mov_b32_e32 v2, v1
	scratch_store_b64 off, v[1:2], off offset:56
	s_wait_loadcnt 0x0
	ds_store_b64 v3, v[24:25]
.LBB73_59:
	s_wait_alu 0xfffe
	s_or_b32 exec_lo, exec_lo, s0
	s_wait_storecnt_dscnt 0x0
	s_barrier_signal -1
	s_barrier_wait -1
	global_inv scope:SCOPE_SE
	s_clause 0x1
	scratch_load_b128 v[24:27], off, off offset:64
	scratch_load_b64 v[32:33], off, off offset:56
	ds_load_b128 v[28:31], v1 offset:144
	s_mov_b32 s0, exec_lo
	s_wait_loadcnt_dscnt 0x100
	v_mul_f32_e32 v2, v28, v25
	s_delay_alu instid0(VALU_DEP_1) | instskip(SKIP_2) | instid1(VALU_DEP_1)
	v_fmac_f32_e32 v2, v29, v24
	v_mul_f32_e32 v1, v29, v25
	v_mul_f32_e32 v25, v30, v27
	v_fmac_f32_e32 v25, v31, v26
	s_delay_alu instid0(VALU_DEP_4) | instskip(NEXT) | instid1(VALU_DEP_4)
	v_dual_add_f32 v2, 0, v2 :: v_dual_mul_f32 v27, v31, v27
	v_fma_f32 v1, v28, v24, -v1
	s_delay_alu instid0(VALU_DEP_2) | instskip(NEXT) | instid1(VALU_DEP_3)
	v_add_f32_e32 v2, v2, v25
	v_fma_f32 v24, v30, v26, -v27
	s_wait_loadcnt 0x0
	s_delay_alu instid0(VALU_DEP_2) | instskip(NEXT) | instid1(VALU_DEP_1)
	v_dual_add_f32 v1, 0, v1 :: v_dual_sub_f32 v2, v33, v2
	v_add_f32_e32 v1, v1, v24
	s_delay_alu instid0(VALU_DEP_1)
	v_sub_f32_e32 v1, v32, v1
	scratch_store_b64 off, v[1:2], off offset:56
	v_cmpx_lt_u32_e32 6, v0
	s_cbranch_execz .LBB73_61
; %bb.60:
	scratch_load_b64 v[1:2], off, off offset:48
	v_mov_b32_e32 v24, 0
	s_delay_alu instid0(VALU_DEP_1)
	v_mov_b32_e32 v25, v24
	scratch_store_b64 off, v[24:25], off offset:48
	s_wait_loadcnt 0x0
	ds_store_b64 v3, v[1:2]
.LBB73_61:
	s_wait_alu 0xfffe
	s_or_b32 exec_lo, exec_lo, s0
	s_wait_storecnt_dscnt 0x0
	s_barrier_signal -1
	s_barrier_wait -1
	global_inv scope:SCOPE_SE
	s_clause 0x2
	scratch_load_b128 v[24:27], off, off offset:56
	scratch_load_b64 v[32:33], off, off offset:72
	scratch_load_b64 v[34:35], off, off offset:48
	v_mov_b32_e32 v1, 0
	ds_load_2addr_b64 v[28:31], v1 offset0:17 offset1:18
	ds_load_b64 v[36:37], v1 offset:152
	s_mov_b32 s0, exec_lo
	s_wait_loadcnt_dscnt 0x201
	v_mul_f32_e32 v2, v29, v25
	v_dual_mul_f32 v25, v28, v25 :: v_dual_mul_f32 v38, v30, v27
	v_mul_f32_e32 v27, v31, v27
	s_wait_loadcnt_dscnt 0x100
	v_mul_f32_e32 v39, v36, v33
	v_fma_f32 v2, v28, v24, -v2
	v_fmac_f32_e32 v25, v29, v24
	v_mul_f32_e32 v24, v37, v33
	v_fmac_f32_e32 v38, v31, v26
	v_fma_f32 v26, v30, v26, -v27
	s_delay_alu instid0(VALU_DEP_4) | instskip(NEXT) | instid1(VALU_DEP_4)
	v_dual_add_f32 v2, 0, v2 :: v_dual_add_f32 v25, 0, v25
	v_fma_f32 v24, v36, v32, -v24
	s_delay_alu instid0(VALU_DEP_2) | instskip(NEXT) | instid1(VALU_DEP_1)
	v_add_f32_e32 v2, v2, v26
	v_dual_add_f32 v25, v25, v38 :: v_dual_add_f32 v2, v2, v24
	s_wait_loadcnt 0x0
	s_delay_alu instid0(VALU_DEP_1) | instskip(NEXT) | instid1(VALU_DEP_1)
	v_dual_fmac_f32 v39, v37, v32 :: v_dual_sub_f32 v24, v34, v2
	v_add_f32_e32 v25, v25, v39
	s_delay_alu instid0(VALU_DEP_1)
	v_sub_f32_e32 v25, v35, v25
	scratch_store_b64 off, v[24:25], off offset:48
	v_cmpx_lt_u32_e32 5, v0
	s_cbranch_execz .LBB73_63
; %bb.62:
	scratch_load_b64 v[24:25], off, off offset:40
	v_mov_b32_e32 v2, v1
	scratch_store_b64 off, v[1:2], off offset:40
	s_wait_loadcnt 0x0
	ds_store_b64 v3, v[24:25]
.LBB73_63:
	s_wait_alu 0xfffe
	s_or_b32 exec_lo, exec_lo, s0
	s_wait_storecnt_dscnt 0x0
	s_barrier_signal -1
	s_barrier_wait -1
	global_inv scope:SCOPE_SE
	s_clause 0x2
	scratch_load_b128 v[24:27], off, off offset:48
	scratch_load_b128 v[28:31], off, off offset:64
	scratch_load_b64 v[40:41], off, off offset:40
	ds_load_b128 v[32:35], v1 offset:128
	ds_load_b128 v[36:39], v1 offset:144
	s_mov_b32 s0, exec_lo
	s_wait_loadcnt_dscnt 0x201
	v_mul_f32_e32 v2, v33, v25
	s_wait_loadcnt_dscnt 0x100
	v_dual_mul_f32 v42, v36, v29 :: v_dual_mul_f32 v43, v38, v31
	s_delay_alu instid0(VALU_DEP_2) | instskip(SKIP_2) | instid1(VALU_DEP_4)
	v_fma_f32 v2, v32, v24, -v2
	v_mul_f32_e32 v1, v32, v25
	v_mul_f32_e32 v25, v34, v27
	v_dual_mul_f32 v27, v35, v27 :: v_dual_fmac_f32 v42, v37, v28
	s_delay_alu instid0(VALU_DEP_3) | instskip(NEXT) | instid1(VALU_DEP_3)
	v_dual_add_f32 v2, 0, v2 :: v_dual_fmac_f32 v1, v33, v24
	v_dual_mul_f32 v24, v37, v29 :: v_dual_fmac_f32 v25, v35, v26
	s_delay_alu instid0(VALU_DEP_3) | instskip(SKIP_1) | instid1(VALU_DEP_3)
	v_fma_f32 v26, v34, v26, -v27
	v_fmac_f32_e32 v43, v39, v30
	v_fma_f32 v24, v36, v28, -v24
	s_delay_alu instid0(VALU_DEP_3) | instskip(NEXT) | instid1(VALU_DEP_1)
	v_dual_add_f32 v2, v2, v26 :: v_dual_add_f32 v1, 0, v1
	v_dual_add_f32 v2, v2, v24 :: v_dual_mul_f32 v27, v39, v31
	s_delay_alu instid0(VALU_DEP_2) | instskip(NEXT) | instid1(VALU_DEP_2)
	v_add_f32_e32 v1, v1, v25
	v_fma_f32 v25, v38, v30, -v27
	s_delay_alu instid0(VALU_DEP_1) | instskip(SKIP_1) | instid1(VALU_DEP_1)
	v_dual_add_f32 v1, v1, v42 :: v_dual_add_f32 v2, v2, v25
	s_wait_loadcnt 0x0
	v_dual_add_f32 v24, v1, v43 :: v_dual_sub_f32 v1, v40, v2
	s_delay_alu instid0(VALU_DEP_1)
	v_sub_f32_e32 v2, v41, v24
	scratch_store_b64 off, v[1:2], off offset:40
	v_cmpx_lt_u32_e32 4, v0
	s_cbranch_execz .LBB73_65
; %bb.64:
	scratch_load_b64 v[1:2], off, off offset:32
	v_mov_b32_e32 v24, 0
	s_delay_alu instid0(VALU_DEP_1)
	v_mov_b32_e32 v25, v24
	scratch_store_b64 off, v[24:25], off offset:32
	s_wait_loadcnt 0x0
	ds_store_b64 v3, v[1:2]
.LBB73_65:
	s_wait_alu 0xfffe
	s_or_b32 exec_lo, exec_lo, s0
	s_wait_storecnt_dscnt 0x0
	s_barrier_signal -1
	s_barrier_wait -1
	global_inv scope:SCOPE_SE
	s_clause 0x3
	scratch_load_b128 v[24:27], off, off offset:40
	scratch_load_b128 v[28:31], off, off offset:56
	scratch_load_b64 v[40:41], off, off offset:72
	scratch_load_b64 v[42:43], off, off offset:32
	v_mov_b32_e32 v1, 0
	ds_load_2addr_b64 v[32:35], v1 offset0:15 offset1:16
	ds_load_2addr_b64 v[36:39], v1 offset0:17 offset1:18
	ds_load_b64 v[44:45], v1 offset:152
	s_mov_b32 s0, exec_lo
	s_wait_loadcnt_dscnt 0x302
	v_mul_f32_e32 v2, v32, v25
	v_dual_mul_f32 v46, v34, v27 :: v_dual_mul_f32 v25, v33, v25
	s_wait_loadcnt_dscnt 0x100
	v_mul_f32_e32 v49, v44, v41
	v_dual_mul_f32 v47, v36, v29 :: v_dual_mul_f32 v48, v38, v31
	v_dual_fmac_f32 v2, v33, v24 :: v_dual_mul_f32 v27, v35, v27
	v_fma_f32 v25, v32, v24, -v25
	v_fmac_f32_e32 v46, v35, v26
	v_mul_f32_e32 v24, v37, v29
	s_delay_alu instid0(VALU_DEP_4) | instskip(SKIP_3) | instid1(VALU_DEP_4)
	v_add_f32_e32 v2, 0, v2
	v_fma_f32 v26, v34, v26, -v27
	v_add_f32_e32 v25, 0, v25
	v_mul_f32_e32 v27, v39, v31
	v_dual_fmac_f32 v47, v37, v28 :: v_dual_add_f32 v2, v2, v46
	v_dual_fmac_f32 v48, v39, v30 :: v_dual_fmac_f32 v49, v45, v40
	s_delay_alu instid0(VALU_DEP_4) | instskip(SKIP_1) | instid1(VALU_DEP_4)
	v_add_f32_e32 v25, v25, v26
	v_fma_f32 v24, v36, v28, -v24
	v_add_f32_e32 v2, v2, v47
	v_fma_f32 v27, v38, v30, -v27
	s_delay_alu instid0(VALU_DEP_3) | instskip(NEXT) | instid1(VALU_DEP_3)
	v_add_f32_e32 v24, v25, v24
	v_add_f32_e32 v2, v2, v48
	s_delay_alu instid0(VALU_DEP_2) | instskip(NEXT) | instid1(VALU_DEP_2)
	v_add_f32_e32 v24, v24, v27
	v_add_f32_e32 v2, v2, v49
	v_mul_f32_e32 v26, v45, v41
	s_delay_alu instid0(VALU_DEP_1) | instskip(SKIP_1) | instid1(VALU_DEP_1)
	v_fma_f32 v25, v44, v40, -v26
	s_wait_loadcnt 0x0
	v_dual_add_f32 v24, v24, v25 :: v_dual_sub_f32 v25, v43, v2
	s_delay_alu instid0(VALU_DEP_1)
	v_sub_f32_e32 v24, v42, v24
	scratch_store_b64 off, v[24:25], off offset:32
	v_cmpx_lt_u32_e32 3, v0
	s_cbranch_execz .LBB73_67
; %bb.66:
	scratch_load_b64 v[24:25], off, off offset:24
	v_mov_b32_e32 v2, v1
	scratch_store_b64 off, v[1:2], off offset:24
	s_wait_loadcnt 0x0
	ds_store_b64 v3, v[24:25]
.LBB73_67:
	s_wait_alu 0xfffe
	s_or_b32 exec_lo, exec_lo, s0
	s_wait_storecnt_dscnt 0x0
	s_barrier_signal -1
	s_barrier_wait -1
	global_inv scope:SCOPE_SE
	s_clause 0x3
	scratch_load_b128 v[24:27], off, off offset:32
	scratch_load_b128 v[28:31], off, off offset:48
	;; [unrolled: 1-line block ×3, first 2 shown]
	scratch_load_b64 v[48:49], off, off offset:24
	ds_load_b128 v[36:39], v1 offset:112
	ds_load_b128 v[40:43], v1 offset:128
	ds_load_b128 v[44:47], v1 offset:144
	s_mov_b32 s0, exec_lo
	s_wait_loadcnt_dscnt 0x302
	v_dual_mul_f32 v1, v36, v25 :: v_dual_mul_f32 v2, v38, v27
	v_mul_f32_e32 v25, v37, v25
	s_wait_loadcnt_dscnt 0x201
	v_dual_mul_f32 v27, v39, v27 :: v_dual_mul_f32 v50, v40, v29
	s_delay_alu instid0(VALU_DEP_3) | instskip(NEXT) | instid1(VALU_DEP_3)
	v_dual_mul_f32 v51, v42, v31 :: v_dual_fmac_f32 v2, v39, v26
	v_fma_f32 v25, v36, v24, -v25
	v_fmac_f32_e32 v1, v37, v24
	v_mul_f32_e32 v24, v41, v29
	v_fma_f32 v26, v38, v26, -v27
	v_mul_f32_e32 v27, v43, v31
	v_dual_add_f32 v25, 0, v25 :: v_dual_fmac_f32 v50, v41, v28
	s_delay_alu instid0(VALU_DEP_4) | instskip(SKIP_2) | instid1(VALU_DEP_3)
	v_fma_f32 v24, v40, v28, -v24
	s_wait_loadcnt_dscnt 0x100
	v_dual_mul_f32 v52, v44, v33 :: v_dual_mul_f32 v53, v46, v35
	v_add_f32_e32 v25, v25, v26
	v_fmac_f32_e32 v51, v43, v30
	v_fma_f32 v26, v42, v30, -v27
	s_delay_alu instid0(VALU_DEP_4) | instskip(NEXT) | instid1(VALU_DEP_4)
	v_dual_fmac_f32 v52, v45, v32 :: v_dual_fmac_f32 v53, v47, v34
	v_add_f32_e32 v24, v25, v24
	s_delay_alu instid0(VALU_DEP_1) | instskip(SKIP_1) | instid1(VALU_DEP_1)
	v_dual_add_f32 v24, v24, v26 :: v_dual_add_f32 v1, 0, v1
	v_mul_f32_e32 v25, v47, v35
	v_fma_f32 v25, v46, v34, -v25
	s_delay_alu instid0(VALU_DEP_3) | instskip(SKIP_1) | instid1(VALU_DEP_1)
	v_add_f32_e32 v1, v1, v2
	v_mul_f32_e32 v2, v45, v33
	v_fma_f32 v2, v44, v32, -v2
	s_delay_alu instid0(VALU_DEP_1) | instskip(NEXT) | instid1(VALU_DEP_1)
	v_add_f32_e32 v2, v24, v2
	v_dual_add_f32 v2, v2, v25 :: v_dual_add_f32 v1, v1, v50
	s_delay_alu instid0(VALU_DEP_1) | instskip(NEXT) | instid1(VALU_DEP_1)
	v_add_f32_e32 v1, v1, v51
	v_add_f32_e32 v1, v1, v52
	s_wait_loadcnt 0x0
	s_delay_alu instid0(VALU_DEP_1) | instskip(NEXT) | instid1(VALU_DEP_1)
	v_dual_add_f32 v24, v1, v53 :: v_dual_sub_f32 v1, v48, v2
	v_sub_f32_e32 v2, v49, v24
	scratch_store_b64 off, v[1:2], off offset:24
	v_cmpx_lt_u32_e32 2, v0
	s_cbranch_execz .LBB73_69
; %bb.68:
	scratch_load_b64 v[1:2], off, off offset:16
	v_mov_b32_e32 v24, 0
	s_delay_alu instid0(VALU_DEP_1)
	v_mov_b32_e32 v25, v24
	scratch_store_b64 off, v[24:25], off offset:16
	s_wait_loadcnt 0x0
	ds_store_b64 v3, v[1:2]
.LBB73_69:
	s_wait_alu 0xfffe
	s_or_b32 exec_lo, exec_lo, s0
	s_wait_storecnt_dscnt 0x0
	s_barrier_signal -1
	s_barrier_wait -1
	global_inv scope:SCOPE_SE
	s_clause 0x4
	scratch_load_b128 v[24:27], off, off offset:24
	scratch_load_b128 v[28:31], off, off offset:40
	scratch_load_b128 v[32:35], off, off offset:56
	scratch_load_b64 v[48:49], off, off offset:72
	scratch_load_b64 v[50:51], off, off offset:16
	v_mov_b32_e32 v1, 0
	ds_load_2addr_b64 v[36:39], v1 offset0:13 offset1:14
	ds_load_2addr_b64 v[40:43], v1 offset0:15 offset1:16
	;; [unrolled: 1-line block ×3, first 2 shown]
	ds_load_b64 v[52:53], v1 offset:152
	s_mov_b32 s0, exec_lo
	s_wait_loadcnt_dscnt 0x403
	v_mul_f32_e32 v2, v36, v25
	s_wait_loadcnt_dscnt 0x302
	v_dual_mul_f32 v54, v38, v27 :: v_dual_mul_f32 v55, v40, v29
	v_dual_mul_f32 v56, v42, v31 :: v_dual_mul_f32 v25, v37, v25
	s_wait_loadcnt_dscnt 0x100
	v_dual_mul_f32 v59, v52, v49 :: v_dual_fmac_f32 v2, v37, v24
	v_mul_f32_e32 v27, v39, v27
	v_dual_mul_f32 v57, v44, v33 :: v_dual_mul_f32 v58, v46, v35
	v_fma_f32 v25, v36, v24, -v25
	v_fmac_f32_e32 v54, v39, v26
	v_add_f32_e32 v2, 0, v2
	v_mul_f32_e32 v24, v41, v29
	v_fma_f32 v26, v38, v26, -v27
	v_add_f32_e32 v25, 0, v25
	v_mul_f32_e32 v27, v43, v31
	v_dual_fmac_f32 v55, v41, v28 :: v_dual_add_f32 v2, v2, v54
	v_dual_fmac_f32 v56, v43, v30 :: v_dual_fmac_f32 v57, v45, v32
	s_delay_alu instid0(VALU_DEP_4) | instskip(SKIP_1) | instid1(VALU_DEP_4)
	v_add_f32_e32 v25, v25, v26
	v_dual_fmac_f32 v58, v47, v34 :: v_dual_fmac_f32 v59, v53, v48
	v_add_f32_e32 v2, v2, v55
	v_fma_f32 v24, v40, v28, -v24
	v_mul_f32_e32 v26, v45, v33
	v_fma_f32 v27, v42, v30, -v27
	s_delay_alu instid0(VALU_DEP_4) | instskip(NEXT) | instid1(VALU_DEP_1)
	v_add_f32_e32 v2, v2, v56
	v_add_f32_e32 v2, v2, v57
	s_delay_alu instid0(VALU_DEP_1) | instskip(NEXT) | instid1(VALU_DEP_1)
	v_add_f32_e32 v2, v2, v58
	v_add_f32_e32 v2, v2, v59
	v_dual_add_f32 v24, v25, v24 :: v_dual_mul_f32 v25, v47, v35
	v_fma_f32 v26, v44, v32, -v26
	s_delay_alu instid0(VALU_DEP_2) | instskip(NEXT) | instid1(VALU_DEP_3)
	v_dual_add_f32 v24, v24, v27 :: v_dual_mul_f32 v27, v53, v49
	v_fma_f32 v25, v46, v34, -v25
	s_delay_alu instid0(VALU_DEP_2) | instskip(NEXT) | instid1(VALU_DEP_3)
	v_add_f32_e32 v24, v24, v26
	v_fma_f32 v26, v52, v48, -v27
	s_wait_loadcnt 0x0
	s_delay_alu instid0(VALU_DEP_2) | instskip(NEXT) | instid1(VALU_DEP_1)
	v_dual_add_f32 v24, v24, v25 :: v_dual_sub_f32 v25, v51, v2
	v_add_f32_e32 v24, v24, v26
	s_delay_alu instid0(VALU_DEP_1)
	v_sub_f32_e32 v24, v50, v24
	scratch_store_b64 off, v[24:25], off offset:16
	v_cmpx_lt_u32_e32 1, v0
	s_cbranch_execz .LBB73_71
; %bb.70:
	scratch_load_b64 v[24:25], off, off offset:8
	v_mov_b32_e32 v2, v1
	scratch_store_b64 off, v[1:2], off offset:8
	s_wait_loadcnt 0x0
	ds_store_b64 v3, v[24:25]
.LBB73_71:
	s_wait_alu 0xfffe
	s_or_b32 exec_lo, exec_lo, s0
	s_wait_storecnt_dscnt 0x0
	s_barrier_signal -1
	s_barrier_wait -1
	global_inv scope:SCOPE_SE
	s_clause 0x4
	scratch_load_b128 v[24:27], off, off offset:16
	scratch_load_b128 v[28:31], off, off offset:32
	;; [unrolled: 1-line block ×4, first 2 shown]
	scratch_load_b64 v[56:57], off, off offset:8
	ds_load_b128 v[40:43], v1 offset:96
	ds_load_b128 v[44:47], v1 offset:112
	;; [unrolled: 1-line block ×4, first 2 shown]
	s_mov_b32 s0, exec_lo
	s_wait_loadcnt_dscnt 0x403
	v_dual_mul_f32 v1, v40, v25 :: v_dual_mul_f32 v2, v42, v27
	v_mul_f32_e32 v25, v41, v25
	s_wait_loadcnt_dscnt 0x302
	v_dual_mul_f32 v27, v43, v27 :: v_dual_mul_f32 v58, v44, v29
	s_delay_alu instid0(VALU_DEP_3) | instskip(NEXT) | instid1(VALU_DEP_3)
	v_dual_mul_f32 v59, v46, v31 :: v_dual_fmac_f32 v2, v43, v26
	v_fma_f32 v25, v40, v24, -v25
	v_fmac_f32_e32 v1, v41, v24
	v_mul_f32_e32 v24, v45, v29
	v_fma_f32 v26, v42, v26, -v27
	v_mul_f32_e32 v27, v47, v31
	v_dual_add_f32 v25, 0, v25 :: v_dual_fmac_f32 v58, v45, v28
	s_delay_alu instid0(VALU_DEP_4) | instskip(SKIP_2) | instid1(VALU_DEP_3)
	v_fma_f32 v24, v44, v28, -v24
	s_wait_loadcnt_dscnt 0x201
	v_dual_mul_f32 v60, v48, v33 :: v_dual_mul_f32 v61, v50, v35
	v_add_f32_e32 v25, v25, v26
	v_fmac_f32_e32 v59, v47, v30
	v_fma_f32 v26, v46, v30, -v27
	s_wait_loadcnt_dscnt 0x100
	v_dual_mul_f32 v62, v52, v37 :: v_dual_mul_f32 v63, v54, v39
	v_dual_add_f32 v24, v25, v24 :: v_dual_mul_f32 v25, v51, v35
	v_dual_fmac_f32 v60, v49, v32 :: v_dual_fmac_f32 v61, v51, v34
	s_delay_alu instid0(VALU_DEP_3) | instskip(NEXT) | instid1(VALU_DEP_3)
	v_fmac_f32_e32 v62, v53, v36
	v_dual_add_f32 v24, v24, v26 :: v_dual_add_f32 v1, 0, v1
	v_mul_f32_e32 v26, v53, v37
	v_fma_f32 v25, v50, v34, -v25
	v_fmac_f32_e32 v63, v55, v38
	s_delay_alu instid0(VALU_DEP_4) | instskip(SKIP_2) | instid1(VALU_DEP_2)
	v_add_f32_e32 v1, v1, v2
	v_mul_f32_e32 v2, v49, v33
	v_fma_f32 v26, v52, v36, -v26
	v_fma_f32 v2, v48, v32, -v2
	s_delay_alu instid0(VALU_DEP_1) | instskip(SKIP_1) | instid1(VALU_DEP_2)
	v_add_f32_e32 v2, v24, v2
	v_mul_f32_e32 v24, v55, v39
	v_add_f32_e32 v2, v2, v25
	s_delay_alu instid0(VALU_DEP_2) | instskip(NEXT) | instid1(VALU_DEP_2)
	v_fma_f32 v24, v54, v38, -v24
	v_add_f32_e32 v2, v2, v26
	s_delay_alu instid0(VALU_DEP_1) | instskip(NEXT) | instid1(VALU_DEP_1)
	v_dual_add_f32 v1, v1, v58 :: v_dual_add_f32 v2, v2, v24
	v_add_f32_e32 v1, v1, v59
	s_delay_alu instid0(VALU_DEP_1) | instskip(NEXT) | instid1(VALU_DEP_1)
	v_add_f32_e32 v1, v1, v60
	v_add_f32_e32 v1, v1, v61
	s_delay_alu instid0(VALU_DEP_1) | instskip(SKIP_1) | instid1(VALU_DEP_1)
	v_add_f32_e32 v1, v1, v62
	s_wait_loadcnt 0x0
	v_dual_add_f32 v24, v1, v63 :: v_dual_sub_f32 v1, v56, v2
	s_delay_alu instid0(VALU_DEP_1)
	v_sub_f32_e32 v2, v57, v24
	scratch_store_b64 off, v[1:2], off offset:8
	v_cmpx_ne_u32_e32 0, v0
	s_cbranch_execz .LBB73_73
; %bb.72:
	scratch_load_b64 v[0:1], off, off
	v_mov_b32_e32 v24, 0
	s_delay_alu instid0(VALU_DEP_1)
	v_mov_b32_e32 v25, v24
	scratch_store_b64 off, v[24:25], off
	s_wait_loadcnt 0x0
	ds_store_b64 v3, v[0:1]
.LBB73_73:
	s_wait_alu 0xfffe
	s_or_b32 exec_lo, exec_lo, s0
	s_wait_storecnt_dscnt 0x0
	s_barrier_signal -1
	s_barrier_wait -1
	global_inv scope:SCOPE_SE
	s_clause 0x5
	scratch_load_b128 v[25:28], off, off offset:8
	scratch_load_b128 v[29:32], off, off offset:24
	;; [unrolled: 1-line block ×4, first 2 shown]
	scratch_load_b64 v[53:54], off, off offset:72
	scratch_load_b64 v[55:56], off, off
	v_mov_b32_e32 v24, 0
	ds_load_2addr_b64 v[37:40], v24 offset0:11 offset1:12
	ds_load_2addr_b64 v[41:44], v24 offset0:13 offset1:14
	;; [unrolled: 1-line block ×4, first 2 shown]
	ds_load_b64 v[57:58], v24 offset:152
	s_and_b32 vcc_lo, exec_lo, s12
	s_wait_loadcnt_dscnt 0x504
	v_dual_mul_f32 v59, v37, v26 :: v_dual_mul_f32 v60, v39, v28
	s_wait_loadcnt_dscnt 0x403
	v_dual_mul_f32 v61, v41, v30 :: v_dual_mul_f32 v28, v40, v28
	;; [unrolled: 2-line block ×3, first 2 shown]
	v_dual_fmac_f32 v59, v38, v25 :: v_dual_fmac_f32 v60, v40, v27
	s_delay_alu instid0(VALU_DEP_3)
	v_fmac_f32_e32 v61, v42, v29
	v_fma_f32 v27, v39, v27, -v28
	s_wait_loadcnt_dscnt 0x201
	v_dual_mul_f32 v64, v47, v36 :: v_dual_mul_f32 v65, v49, v1
	v_add_f32_e32 v28, 0, v59
	v_mul_f32_e32 v26, v38, v26
	v_dual_fmac_f32 v62, v44, v31 :: v_dual_fmac_f32 v63, v46, v33
	s_wait_loadcnt_dscnt 0x100
	v_dual_mul_f32 v66, v51, v3 :: v_dual_mul_f32 v67, v57, v54
	s_delay_alu instid0(VALU_DEP_3) | instskip(SKIP_2) | instid1(VALU_DEP_3)
	v_fma_f32 v26, v37, v25, -v26
	v_dual_mul_f32 v25, v42, v30 :: v_dual_mul_f32 v30, v44, v32
	v_dual_mul_f32 v1, v50, v1 :: v_dual_fmac_f32 v64, v48, v35
	v_add_f32_e32 v26, 0, v26
	s_delay_alu instid0(VALU_DEP_3) | instskip(NEXT) | instid1(VALU_DEP_4)
	v_fma_f32 v25, v41, v29, -v25
	v_fma_f32 v29, v43, v31, -v30
	v_dual_fmac_f32 v66, v52, v2 :: v_dual_fmac_f32 v67, v58, v53
	s_delay_alu instid0(VALU_DEP_4) | instskip(SKIP_2) | instid1(VALU_DEP_3)
	v_add_f32_e32 v26, v26, v27
	v_fmac_f32_e32 v65, v50, v0
	v_fma_f32 v0, v49, v0, -v1
	v_add_f32_e32 v25, v26, v25
	v_add_f32_e32 v27, v28, v60
	s_delay_alu instid0(VALU_DEP_2) | instskip(NEXT) | instid1(VALU_DEP_2)
	v_add_f32_e32 v25, v25, v29
	v_dual_add_f32 v26, v27, v61 :: v_dual_mul_f32 v27, v48, v36
	s_delay_alu instid0(VALU_DEP_1) | instskip(SKIP_1) | instid1(VALU_DEP_1)
	v_fma_f32 v27, v47, v35, -v27
	v_mul_f32_e32 v28, v46, v34
	v_fma_f32 v28, v45, v33, -v28
	s_delay_alu instid0(VALU_DEP_1) | instskip(SKIP_1) | instid1(VALU_DEP_2)
	v_dual_add_f32 v25, v25, v28 :: v_dual_add_f32 v26, v26, v62
	v_mul_f32_e32 v28, v52, v3
	v_add_f32_e32 v1, v25, v27
	s_delay_alu instid0(VALU_DEP_3) | instskip(NEXT) | instid1(VALU_DEP_3)
	v_add_f32_e32 v26, v26, v63
	v_fma_f32 v27, v51, v2, -v28
	s_delay_alu instid0(VALU_DEP_3) | instskip(NEXT) | instid1(VALU_DEP_1)
	v_add_f32_e32 v0, v1, v0
	v_dual_add_f32 v25, v26, v64 :: v_dual_add_f32 v0, v0, v27
	s_delay_alu instid0(VALU_DEP_1) | instskip(NEXT) | instid1(VALU_DEP_1)
	v_add_f32_e32 v1, v25, v65
	v_add_f32_e32 v1, v1, v66
	s_delay_alu instid0(VALU_DEP_1) | instskip(NEXT) | instid1(VALU_DEP_1)
	v_dual_mul_f32 v26, v58, v54 :: v_dual_add_f32 v1, v1, v67
	v_fma_f32 v25, v57, v53, -v26
	s_wait_loadcnt 0x0
	s_delay_alu instid0(VALU_DEP_2) | instskip(NEXT) | instid1(VALU_DEP_2)
	v_sub_f32_e32 v1, v56, v1
	v_add_f32_e32 v0, v0, v25
	s_delay_alu instid0(VALU_DEP_1)
	v_sub_f32_e32 v0, v55, v0
	scratch_store_b64 off, v[0:1], off
	s_wait_alu 0xfffe
	s_cbranch_vccz .LBB73_92
; %bb.74:
	global_load_b32 v0, v24, s[2:3] offset:32
	s_wait_loadcnt 0x0
	v_cmp_ne_u32_e32 vcc_lo, 9, v0
	s_cbranch_vccz .LBB73_76
; %bb.75:
	v_lshlrev_b32_e32 v0, 3, v0
	s_delay_alu instid0(VALU_DEP_1)
	v_mov_b32_e32 v24, v0
	scratch_load_b64 v[0:1], v24, off offset:-8
	s_wait_loadcnt 0x0
	scratch_store_b64 off, v[0:1], off offset:64
	scratch_store_b64 v24, v[2:3], off offset:-8
.LBB73_76:
	v_mov_b32_e32 v0, 0
	global_load_b32 v1, v0, s[2:3] offset:28
	s_wait_loadcnt 0x0
	v_cmp_eq_u32_e32 vcc_lo, 8, v1
	s_cbranch_vccnz .LBB73_78
; %bb.77:
	v_lshlrev_b32_e32 v1, 3, v1
	s_delay_alu instid0(VALU_DEP_1)
	v_mov_b32_e32 v3, v1
	scratch_load_b64 v[1:2], v3, off offset:-8
	scratch_load_b64 v[24:25], off, off offset:56
	s_wait_loadcnt 0x1
	scratch_store_b64 off, v[1:2], off offset:56
	s_wait_loadcnt 0x0
	scratch_store_b64 v3, v[24:25], off offset:-8
.LBB73_78:
	global_load_b32 v0, v0, s[2:3] offset:24
	s_wait_loadcnt 0x0
	v_cmp_eq_u32_e32 vcc_lo, 7, v0
	s_cbranch_vccnz .LBB73_80
; %bb.79:
	v_lshlrev_b32_e32 v0, 3, v0
	s_delay_alu instid0(VALU_DEP_1)
	v_mov_b32_e32 v24, v0
	scratch_load_b64 v[0:1], v24, off offset:-8
	scratch_load_b64 v[2:3], off, off offset:48
	s_wait_loadcnt 0x1
	scratch_store_b64 off, v[0:1], off offset:48
	s_wait_loadcnt 0x0
	scratch_store_b64 v24, v[2:3], off offset:-8
.LBB73_80:
	v_mov_b32_e32 v0, 0
	global_load_b32 v1, v0, s[2:3] offset:20
	s_wait_loadcnt 0x0
	v_cmp_eq_u32_e32 vcc_lo, 6, v1
	s_cbranch_vccnz .LBB73_82
; %bb.81:
	v_lshlrev_b32_e32 v1, 3, v1
	s_delay_alu instid0(VALU_DEP_1)
	v_mov_b32_e32 v3, v1
	scratch_load_b64 v[1:2], v3, off offset:-8
	scratch_load_b64 v[24:25], off, off offset:40
	s_wait_loadcnt 0x1
	scratch_store_b64 off, v[1:2], off offset:40
	s_wait_loadcnt 0x0
	scratch_store_b64 v3, v[24:25], off offset:-8
.LBB73_82:
	global_load_b32 v0, v0, s[2:3] offset:16
	s_wait_loadcnt 0x0
	v_cmp_eq_u32_e32 vcc_lo, 5, v0
	s_cbranch_vccnz .LBB73_84
; %bb.83:
	v_lshlrev_b32_e32 v0, 3, v0
	s_delay_alu instid0(VALU_DEP_1)
	v_mov_b32_e32 v24, v0
	scratch_load_b64 v[0:1], v24, off offset:-8
	scratch_load_b64 v[2:3], off, off offset:32
	s_wait_loadcnt 0x1
	scratch_store_b64 off, v[0:1], off offset:32
	s_wait_loadcnt 0x0
	scratch_store_b64 v24, v[2:3], off offset:-8
.LBB73_84:
	;; [unrolled: 31-line block ×3, first 2 shown]
	v_mov_b32_e32 v0, 0
	global_load_b32 v1, v0, s[2:3] offset:4
	s_wait_loadcnt 0x0
	v_cmp_eq_u32_e32 vcc_lo, 2, v1
	s_cbranch_vccnz .LBB73_90
; %bb.89:
	v_lshlrev_b32_e32 v1, 3, v1
	s_delay_alu instid0(VALU_DEP_1)
	v_mov_b32_e32 v3, v1
	scratch_load_b64 v[1:2], v3, off offset:-8
	scratch_load_b64 v[24:25], off, off offset:8
	s_wait_loadcnt 0x1
	scratch_store_b64 off, v[1:2], off offset:8
	s_wait_loadcnt 0x0
	scratch_store_b64 v3, v[24:25], off offset:-8
.LBB73_90:
	global_load_b32 v0, v0, s[2:3]
	s_wait_loadcnt 0x0
	v_cmp_eq_u32_e32 vcc_lo, 1, v0
	s_cbranch_vccnz .LBB73_92
; %bb.91:
	v_lshlrev_b32_e32 v0, 3, v0
	s_delay_alu instid0(VALU_DEP_1)
	v_mov_b32_e32 v24, v0
	scratch_load_b64 v[0:1], v24, off offset:-8
	scratch_load_b64 v[2:3], off, off
	s_wait_loadcnt 0x1
	scratch_store_b64 off, v[0:1], off
	s_wait_loadcnt 0x0
	scratch_store_b64 v24, v[2:3], off offset:-8
.LBB73_92:
	scratch_load_b64 v[0:1], off, off
	s_wait_loadcnt 0x0
	flat_store_b64 v[4:5], v[0:1]
	scratch_load_b64 v[0:1], off, off offset:8
	s_wait_loadcnt 0x0
	flat_store_b64 v[6:7], v[0:1]
	scratch_load_b64 v[0:1], off, off offset:16
	;; [unrolled: 3-line block ×9, first 2 shown]
	s_wait_loadcnt 0x0
	flat_store_b64 v[22:23], v[0:1]
	s_endpgm
	.section	.rodata,"a",@progbits
	.p2align	6, 0x0
	.amdhsa_kernel _ZN9rocsolver6v33100L18getri_kernel_smallILi10E19rocblas_complex_numIfEPKPS3_EEvT1_iilPiilS8_bb
		.amdhsa_group_segment_fixed_size 164
		.amdhsa_private_segment_fixed_size 96
		.amdhsa_kernarg_size 60
		.amdhsa_user_sgpr_count 2
		.amdhsa_user_sgpr_dispatch_ptr 0
		.amdhsa_user_sgpr_queue_ptr 0
		.amdhsa_user_sgpr_kernarg_segment_ptr 1
		.amdhsa_user_sgpr_dispatch_id 0
		.amdhsa_user_sgpr_private_segment_size 0
		.amdhsa_wavefront_size32 1
		.amdhsa_uses_dynamic_stack 0
		.amdhsa_enable_private_segment 1
		.amdhsa_system_sgpr_workgroup_id_x 1
		.amdhsa_system_sgpr_workgroup_id_y 0
		.amdhsa_system_sgpr_workgroup_id_z 0
		.amdhsa_system_sgpr_workgroup_info 0
		.amdhsa_system_vgpr_workitem_id 0
		.amdhsa_next_free_vgpr 68
		.amdhsa_next_free_sgpr 19
		.amdhsa_reserve_vcc 1
		.amdhsa_float_round_mode_32 0
		.amdhsa_float_round_mode_16_64 0
		.amdhsa_float_denorm_mode_32 3
		.amdhsa_float_denorm_mode_16_64 3
		.amdhsa_fp16_overflow 0
		.amdhsa_workgroup_processor_mode 1
		.amdhsa_memory_ordered 1
		.amdhsa_forward_progress 1
		.amdhsa_inst_pref_size 68
		.amdhsa_round_robin_scheduling 0
		.amdhsa_exception_fp_ieee_invalid_op 0
		.amdhsa_exception_fp_denorm_src 0
		.amdhsa_exception_fp_ieee_div_zero 0
		.amdhsa_exception_fp_ieee_overflow 0
		.amdhsa_exception_fp_ieee_underflow 0
		.amdhsa_exception_fp_ieee_inexact 0
		.amdhsa_exception_int_div_zero 0
	.end_amdhsa_kernel
	.section	.text._ZN9rocsolver6v33100L18getri_kernel_smallILi10E19rocblas_complex_numIfEPKPS3_EEvT1_iilPiilS8_bb,"axG",@progbits,_ZN9rocsolver6v33100L18getri_kernel_smallILi10E19rocblas_complex_numIfEPKPS3_EEvT1_iilPiilS8_bb,comdat
.Lfunc_end73:
	.size	_ZN9rocsolver6v33100L18getri_kernel_smallILi10E19rocblas_complex_numIfEPKPS3_EEvT1_iilPiilS8_bb, .Lfunc_end73-_ZN9rocsolver6v33100L18getri_kernel_smallILi10E19rocblas_complex_numIfEPKPS3_EEvT1_iilPiilS8_bb
                                        ; -- End function
	.set _ZN9rocsolver6v33100L18getri_kernel_smallILi10E19rocblas_complex_numIfEPKPS3_EEvT1_iilPiilS8_bb.num_vgpr, 68
	.set _ZN9rocsolver6v33100L18getri_kernel_smallILi10E19rocblas_complex_numIfEPKPS3_EEvT1_iilPiilS8_bb.num_agpr, 0
	.set _ZN9rocsolver6v33100L18getri_kernel_smallILi10E19rocblas_complex_numIfEPKPS3_EEvT1_iilPiilS8_bb.numbered_sgpr, 19
	.set _ZN9rocsolver6v33100L18getri_kernel_smallILi10E19rocblas_complex_numIfEPKPS3_EEvT1_iilPiilS8_bb.num_named_barrier, 0
	.set _ZN9rocsolver6v33100L18getri_kernel_smallILi10E19rocblas_complex_numIfEPKPS3_EEvT1_iilPiilS8_bb.private_seg_size, 96
	.set _ZN9rocsolver6v33100L18getri_kernel_smallILi10E19rocblas_complex_numIfEPKPS3_EEvT1_iilPiilS8_bb.uses_vcc, 1
	.set _ZN9rocsolver6v33100L18getri_kernel_smallILi10E19rocblas_complex_numIfEPKPS3_EEvT1_iilPiilS8_bb.uses_flat_scratch, 1
	.set _ZN9rocsolver6v33100L18getri_kernel_smallILi10E19rocblas_complex_numIfEPKPS3_EEvT1_iilPiilS8_bb.has_dyn_sized_stack, 0
	.set _ZN9rocsolver6v33100L18getri_kernel_smallILi10E19rocblas_complex_numIfEPKPS3_EEvT1_iilPiilS8_bb.has_recursion, 0
	.set _ZN9rocsolver6v33100L18getri_kernel_smallILi10E19rocblas_complex_numIfEPKPS3_EEvT1_iilPiilS8_bb.has_indirect_call, 0
	.section	.AMDGPU.csdata,"",@progbits
; Kernel info:
; codeLenInByte = 8620
; TotalNumSgprs: 21
; NumVgprs: 68
; ScratchSize: 96
; MemoryBound: 0
; FloatMode: 240
; IeeeMode: 1
; LDSByteSize: 164 bytes/workgroup (compile time only)
; SGPRBlocks: 0
; VGPRBlocks: 8
; NumSGPRsForWavesPerEU: 21
; NumVGPRsForWavesPerEU: 68
; Occupancy: 16
; WaveLimiterHint : 1
; COMPUTE_PGM_RSRC2:SCRATCH_EN: 1
; COMPUTE_PGM_RSRC2:USER_SGPR: 2
; COMPUTE_PGM_RSRC2:TRAP_HANDLER: 0
; COMPUTE_PGM_RSRC2:TGID_X_EN: 1
; COMPUTE_PGM_RSRC2:TGID_Y_EN: 0
; COMPUTE_PGM_RSRC2:TGID_Z_EN: 0
; COMPUTE_PGM_RSRC2:TIDIG_COMP_CNT: 0
	.section	.text._ZN9rocsolver6v33100L18getri_kernel_smallILi11E19rocblas_complex_numIfEPKPS3_EEvT1_iilPiilS8_bb,"axG",@progbits,_ZN9rocsolver6v33100L18getri_kernel_smallILi11E19rocblas_complex_numIfEPKPS3_EEvT1_iilPiilS8_bb,comdat
	.globl	_ZN9rocsolver6v33100L18getri_kernel_smallILi11E19rocblas_complex_numIfEPKPS3_EEvT1_iilPiilS8_bb ; -- Begin function _ZN9rocsolver6v33100L18getri_kernel_smallILi11E19rocblas_complex_numIfEPKPS3_EEvT1_iilPiilS8_bb
	.p2align	8
	.type	_ZN9rocsolver6v33100L18getri_kernel_smallILi11E19rocblas_complex_numIfEPKPS3_EEvT1_iilPiilS8_bb,@function
_ZN9rocsolver6v33100L18getri_kernel_smallILi11E19rocblas_complex_numIfEPKPS3_EEvT1_iilPiilS8_bb: ; @_ZN9rocsolver6v33100L18getri_kernel_smallILi11E19rocblas_complex_numIfEPKPS3_EEvT1_iilPiilS8_bb
; %bb.0:
	s_mov_b32 s2, exec_lo
	v_cmpx_gt_u32_e32 11, v0
	s_cbranch_execz .LBB74_58
; %bb.1:
	s_clause 0x1
	s_load_b32 s13, s[0:1], 0x38
	s_load_b64 s[2:3], s[0:1], 0x0
	s_mov_b32 s8, ttmp9
	s_load_b128 s[4:7], s[0:1], 0x28
	s_wait_kmcnt 0x0
	s_bitcmp1_b32 s13, 8
	s_cselect_b32 s12, -1, 0
	s_ashr_i32 s9, ttmp9, 31
	s_delay_alu instid0(SALU_CYCLE_1) | instskip(NEXT) | instid1(SALU_CYCLE_1)
	s_lshl_b64 s[10:11], s[8:9], 3
	s_add_nc_u64 s[2:3], s[2:3], s[10:11]
	s_load_b64 s[10:11], s[2:3], 0x0
	s_bfe_u32 s2, s13, 0x10008
	s_delay_alu instid0(SALU_CYCLE_1)
	s_cmp_eq_u32 s2, 0
                                        ; implicit-def: $sgpr2_sgpr3
	s_cbranch_scc1 .LBB74_3
; %bb.2:
	s_load_b96 s[16:18], s[0:1], 0x18
	s_mul_u64 s[2:3], s[4:5], s[8:9]
	s_delay_alu instid0(SALU_CYCLE_1)
	s_lshl_b64 s[2:3], s[2:3], 2
	s_wait_kmcnt 0x0
	s_ashr_i32 s5, s18, 31
	s_mov_b32 s4, s18
	s_add_nc_u64 s[2:3], s[16:17], s[2:3]
	s_lshl_b64 s[4:5], s[4:5], 2
	s_delay_alu instid0(SALU_CYCLE_1)
	s_add_nc_u64 s[2:3], s[2:3], s[4:5]
.LBB74_3:
	s_clause 0x1
	s_load_b64 s[4:5], s[0:1], 0x8
	s_load_b32 s13, s[0:1], 0x38
	v_lshlrev_b32_e32 v3, 3, v0
	s_wait_kmcnt 0x0
	s_ashr_i32 s1, s4, 31
	s_mov_b32 s0, s4
	v_add3_u32 v10, s5, s5, v0
	s_lshl_b64 s[0:1], s[0:1], 3
	s_delay_alu instid0(SALU_CYCLE_1)
	s_add_nc_u64 s[0:1], s[10:11], s[0:1]
	s_ashr_i32 s11, s5, 31
	v_add_co_u32 v4, s4, s0, v3
	s_wait_alu 0xf1ff
	v_add_co_ci_u32_e64 v5, null, s1, 0, s4
	s_mov_b32 s10, s5
	v_ashrrev_i32_e32 v11, 31, v10
	s_lshl_b64 s[10:11], s[10:11], 3
	flat_load_b64 v[1:2], v[4:5]
	v_add_co_u32 v6, vcc_lo, v4, s10
	s_delay_alu instid0(VALU_DEP_1) | instskip(SKIP_3) | instid1(VALU_DEP_2)
	v_add_co_ci_u32_e64 v7, null, s11, v5, vcc_lo
	v_lshlrev_b64_e32 v[8:9], 3, v[10:11]
	v_add_nc_u32_e32 v12, s5, v10
	s_bitcmp0_b32 s13, 0
	v_add_co_u32 v8, vcc_lo, s0, v8
	s_wait_alu 0xfffd
	s_delay_alu instid0(VALU_DEP_3) | instskip(SKIP_2) | instid1(VALU_DEP_2)
	v_add_co_ci_u32_e64 v9, null, s1, v9, vcc_lo
	v_ashrrev_i32_e32 v13, 31, v12
	v_add_nc_u32_e32 v14, s5, v12
	v_lshlrev_b64_e32 v[10:11], 3, v[12:13]
	s_delay_alu instid0(VALU_DEP_2) | instskip(SKIP_1) | instid1(VALU_DEP_3)
	v_ashrrev_i32_e32 v15, 31, v14
	v_add_nc_u32_e32 v16, s5, v14
	v_add_co_u32 v10, vcc_lo, s0, v10
	s_wait_alu 0xfffd
	s_delay_alu instid0(VALU_DEP_4) | instskip(SKIP_3) | instid1(VALU_DEP_3)
	v_add_co_ci_u32_e64 v11, null, s1, v11, vcc_lo
	v_lshlrev_b64_e32 v[12:13], 3, v[14:15]
	v_ashrrev_i32_e32 v17, 31, v16
	v_add_nc_u32_e32 v18, s5, v16
	v_add_co_u32 v12, vcc_lo, s0, v12
	s_wait_alu 0xfffd
	s_delay_alu instid0(VALU_DEP_4) | instskip(SKIP_3) | instid1(VALU_DEP_3)
	v_add_co_ci_u32_e64 v13, null, s1, v13, vcc_lo
	v_lshlrev_b64_e32 v[14:15], 3, v[16:17]
	;; [unrolled: 7-line block ×4, first 2 shown]
	v_ashrrev_i32_e32 v23, 31, v22
	v_add_nc_u32_e32 v24, s5, v22
	v_add_co_u32 v18, vcc_lo, s0, v18
	s_wait_alu 0xfffd
	s_delay_alu instid0(VALU_DEP_4) | instskip(SKIP_2) | instid1(VALU_DEP_2)
	v_add_co_ci_u32_e64 v19, null, s1, v19, vcc_lo
	v_lshlrev_b64_e32 v[20:21], 3, v[22:23]
	v_ashrrev_i32_e32 v25, 31, v24
	v_add_co_u32 v20, vcc_lo, s0, v20
	s_wait_alu 0xfffd
	s_delay_alu instid0(VALU_DEP_3) | instskip(NEXT) | instid1(VALU_DEP_3)
	v_add_co_ci_u32_e64 v21, null, s1, v21, vcc_lo
	v_lshlrev_b64_e32 v[22:23], 3, v[24:25]
	v_add_nc_u32_e32 v24, s5, v24
	s_delay_alu instid0(VALU_DEP_2) | instskip(SKIP_1) | instid1(VALU_DEP_3)
	v_add_co_u32 v22, vcc_lo, s0, v22
	s_wait_alu 0xfffd
	v_add_co_ci_u32_e64 v23, null, s1, v23, vcc_lo
	s_delay_alu instid0(VALU_DEP_3) | instskip(NEXT) | instid1(VALU_DEP_1)
	v_ashrrev_i32_e32 v25, 31, v24
	v_lshlrev_b64_e32 v[24:25], 3, v[24:25]
	s_delay_alu instid0(VALU_DEP_1) | instskip(SKIP_1) | instid1(VALU_DEP_2)
	v_add_co_u32 v24, vcc_lo, s0, v24
	s_wait_alu 0xfffd
	v_add_co_ci_u32_e64 v25, null, s1, v25, vcc_lo
	s_mov_b32 s1, -1
	s_wait_loadcnt_dscnt 0x0
	scratch_store_b64 off, v[1:2], off
	flat_load_b64 v[1:2], v[6:7]
	s_wait_loadcnt_dscnt 0x0
	scratch_store_b64 off, v[1:2], off offset:8
	flat_load_b64 v[1:2], v[8:9]
	s_wait_loadcnt_dscnt 0x0
	scratch_store_b64 off, v[1:2], off offset:16
	flat_load_b64 v[1:2], v[10:11]
	s_wait_loadcnt_dscnt 0x0
	scratch_store_b64 off, v[1:2], off offset:24
	flat_load_b64 v[1:2], v[12:13]
	s_wait_loadcnt_dscnt 0x0
	scratch_store_b64 off, v[1:2], off offset:32
	flat_load_b64 v[1:2], v[14:15]
	s_wait_loadcnt_dscnt 0x0
	scratch_store_b64 off, v[1:2], off offset:40
	flat_load_b64 v[1:2], v[16:17]
	s_wait_loadcnt_dscnt 0x0
	scratch_store_b64 off, v[1:2], off offset:48
	flat_load_b64 v[1:2], v[18:19]
	s_wait_loadcnt_dscnt 0x0
	scratch_store_b64 off, v[1:2], off offset:56
	flat_load_b64 v[1:2], v[20:21]
	s_wait_loadcnt_dscnt 0x0
	scratch_store_b64 off, v[1:2], off offset:64
	flat_load_b64 v[1:2], v[22:23]
	s_wait_loadcnt_dscnt 0x0
	scratch_store_b64 off, v[1:2], off offset:72
	flat_load_b64 v[1:2], v[24:25]
	s_wait_loadcnt_dscnt 0x0
	scratch_store_b64 off, v[1:2], off offset:80
	s_cbranch_scc1 .LBB74_56
; %bb.4:
	v_cmp_eq_u32_e64 s0, 0, v0
	s_and_saveexec_b32 s1, s0
; %bb.5:
	v_mov_b32_e32 v1, 0
	ds_store_b32 v1, v1 offset:88
; %bb.6:
	s_wait_alu 0xfffe
	s_or_b32 exec_lo, exec_lo, s1
	s_wait_storecnt_dscnt 0x0
	s_barrier_signal -1
	s_barrier_wait -1
	global_inv scope:SCOPE_SE
	scratch_load_b64 v[1:2], v3, off
	s_wait_loadcnt 0x0
	v_cmp_eq_f32_e32 vcc_lo, 0, v1
	v_cmp_eq_f32_e64 s1, 0, v2
	s_and_b32 s1, vcc_lo, s1
	s_wait_alu 0xfffe
	s_and_saveexec_b32 s4, s1
	s_cbranch_execz .LBB74_10
; %bb.7:
	v_mov_b32_e32 v1, 0
	s_mov_b32 s5, 0
	ds_load_b32 v2, v1 offset:88
	s_wait_dscnt 0x0
	v_readfirstlane_b32 s1, v2
	v_add_nc_u32_e32 v2, 1, v0
	s_cmp_eq_u32 s1, 0
	s_delay_alu instid0(VALU_DEP_1)
	v_cmp_gt_i32_e32 vcc_lo, s1, v2
	s_cselect_b32 s10, -1, 0
	s_wait_alu 0xfffe
	s_or_b32 s10, s10, vcc_lo
	s_wait_alu 0xfffe
	s_and_b32 exec_lo, exec_lo, s10
	s_cbranch_execz .LBB74_10
; %bb.8:
	v_mov_b32_e32 v26, s1
.LBB74_9:                               ; =>This Inner Loop Header: Depth=1
	ds_cmpstore_rtn_b32 v26, v1, v2, v26 offset:88
	s_wait_dscnt 0x0
	v_cmp_ne_u32_e32 vcc_lo, 0, v26
	v_cmp_le_i32_e64 s1, v26, v2
	s_and_b32 s1, vcc_lo, s1
	s_wait_alu 0xfffe
	s_and_b32 s1, exec_lo, s1
	s_wait_alu 0xfffe
	s_or_b32 s5, s1, s5
	s_wait_alu 0xfffe
	s_and_not1_b32 exec_lo, exec_lo, s5
	s_cbranch_execnz .LBB74_9
.LBB74_10:
	s_wait_alu 0xfffe
	s_or_b32 exec_lo, exec_lo, s4
	v_mov_b32_e32 v1, 0
	s_barrier_signal -1
	s_barrier_wait -1
	global_inv scope:SCOPE_SE
	ds_load_b32 v2, v1 offset:88
	s_and_saveexec_b32 s1, s0
	s_cbranch_execz .LBB74_12
; %bb.11:
	s_lshl_b64 s[4:5], s[8:9], 2
	s_wait_alu 0xfffe
	s_add_nc_u64 s[4:5], s[6:7], s[4:5]
	s_wait_dscnt 0x0
	global_store_b32 v1, v2, s[4:5]
.LBB74_12:
	s_wait_alu 0xfffe
	s_or_b32 exec_lo, exec_lo, s1
	s_wait_dscnt 0x0
	v_cmp_ne_u32_e32 vcc_lo, 0, v2
	s_mov_b32 s1, 0
	s_cbranch_vccnz .LBB74_56
; %bb.13:
	v_mov_b32_e32 v30, v3
                                        ; implicit-def: $vgpr26
                                        ; implicit-def: $vgpr28
	scratch_load_b64 v[1:2], v30, off
	s_wait_loadcnt 0x0
	v_cmp_ngt_f32_e64 s1, |v1|, |v2|
	s_wait_alu 0xfffe
	s_and_saveexec_b32 s4, s1
	s_wait_alu 0xfffe
	s_xor_b32 s1, exec_lo, s4
	s_cbranch_execz .LBB74_15
; %bb.14:
	v_div_scale_f32 v26, null, v2, v2, v1
	v_div_scale_f32 v29, vcc_lo, v1, v2, v1
	s_delay_alu instid0(VALU_DEP_2) | instskip(NEXT) | instid1(TRANS32_DEP_1)
	v_rcp_f32_e32 v27, v26
	v_fma_f32 v28, -v26, v27, 1.0
	s_delay_alu instid0(VALU_DEP_1) | instskip(NEXT) | instid1(VALU_DEP_1)
	v_fmac_f32_e32 v27, v28, v27
	v_mul_f32_e32 v28, v29, v27
	s_delay_alu instid0(VALU_DEP_1) | instskip(NEXT) | instid1(VALU_DEP_1)
	v_fma_f32 v31, -v26, v28, v29
	v_fmac_f32_e32 v28, v31, v27
	s_delay_alu instid0(VALU_DEP_1) | instskip(SKIP_1) | instid1(VALU_DEP_1)
	v_fma_f32 v26, -v26, v28, v29
	s_wait_alu 0xfffd
	v_div_fmas_f32 v26, v26, v27, v28
	s_delay_alu instid0(VALU_DEP_1) | instskip(NEXT) | instid1(VALU_DEP_1)
	v_div_fixup_f32 v26, v26, v2, v1
	v_fmac_f32_e32 v2, v1, v26
	s_delay_alu instid0(VALU_DEP_1) | instskip(NEXT) | instid1(VALU_DEP_1)
	v_div_scale_f32 v1, null, v2, v2, 1.0
	v_rcp_f32_e32 v27, v1
	s_delay_alu instid0(TRANS32_DEP_1) | instskip(NEXT) | instid1(VALU_DEP_1)
	v_fma_f32 v28, -v1, v27, 1.0
	v_fmac_f32_e32 v27, v28, v27
	v_div_scale_f32 v28, vcc_lo, 1.0, v2, 1.0
	s_delay_alu instid0(VALU_DEP_1) | instskip(NEXT) | instid1(VALU_DEP_1)
	v_mul_f32_e32 v29, v28, v27
	v_fma_f32 v31, -v1, v29, v28
	s_delay_alu instid0(VALU_DEP_1) | instskip(NEXT) | instid1(VALU_DEP_1)
	v_fmac_f32_e32 v29, v31, v27
	v_fma_f32 v1, -v1, v29, v28
	s_wait_alu 0xfffd
	s_delay_alu instid0(VALU_DEP_1) | instskip(NEXT) | instid1(VALU_DEP_1)
	v_div_fmas_f32 v1, v1, v27, v29
	v_div_fixup_f32 v1, v1, v2, 1.0
	s_delay_alu instid0(VALU_DEP_1) | instskip(SKIP_1) | instid1(VALU_DEP_2)
	v_mul_f32_e32 v26, v26, v1
	v_xor_b32_e32 v27, 0x80000000, v1
                                        ; implicit-def: $vgpr1_vgpr2
	v_xor_b32_e32 v28, 0x80000000, v26
.LBB74_15:
	s_wait_alu 0xfffe
	s_and_not1_saveexec_b32 s1, s1
	s_cbranch_execz .LBB74_17
; %bb.16:
	v_div_scale_f32 v26, null, v1, v1, v2
	v_div_scale_f32 v29, vcc_lo, v2, v1, v2
	s_delay_alu instid0(VALU_DEP_2) | instskip(NEXT) | instid1(TRANS32_DEP_1)
	v_rcp_f32_e32 v27, v26
	v_fma_f32 v28, -v26, v27, 1.0
	s_delay_alu instid0(VALU_DEP_1) | instskip(NEXT) | instid1(VALU_DEP_1)
	v_fmac_f32_e32 v27, v28, v27
	v_mul_f32_e32 v28, v29, v27
	s_delay_alu instid0(VALU_DEP_1) | instskip(NEXT) | instid1(VALU_DEP_1)
	v_fma_f32 v31, -v26, v28, v29
	v_fmac_f32_e32 v28, v31, v27
	s_delay_alu instid0(VALU_DEP_1) | instskip(SKIP_1) | instid1(VALU_DEP_1)
	v_fma_f32 v26, -v26, v28, v29
	s_wait_alu 0xfffd
	v_div_fmas_f32 v26, v26, v27, v28
	s_delay_alu instid0(VALU_DEP_1) | instskip(NEXT) | instid1(VALU_DEP_1)
	v_div_fixup_f32 v27, v26, v1, v2
	v_fmac_f32_e32 v1, v2, v27
	s_delay_alu instid0(VALU_DEP_1) | instskip(NEXT) | instid1(VALU_DEP_1)
	v_div_scale_f32 v2, null, v1, v1, 1.0
	v_rcp_f32_e32 v26, v2
	s_delay_alu instid0(TRANS32_DEP_1) | instskip(NEXT) | instid1(VALU_DEP_1)
	v_fma_f32 v28, -v2, v26, 1.0
	v_fmac_f32_e32 v26, v28, v26
	v_div_scale_f32 v29, vcc_lo, 1.0, v1, 1.0
	s_delay_alu instid0(VALU_DEP_1) | instskip(NEXT) | instid1(VALU_DEP_1)
	v_mul_f32_e32 v28, v29, v26
	v_fma_f32 v31, -v2, v28, v29
	s_delay_alu instid0(VALU_DEP_1) | instskip(NEXT) | instid1(VALU_DEP_1)
	v_fmac_f32_e32 v28, v31, v26
	v_fma_f32 v2, -v2, v28, v29
	s_wait_alu 0xfffd
	s_delay_alu instid0(VALU_DEP_1) | instskip(NEXT) | instid1(VALU_DEP_1)
	v_div_fmas_f32 v2, v2, v26, v28
	v_div_fixup_f32 v26, v2, v1, 1.0
	s_delay_alu instid0(VALU_DEP_1)
	v_xor_b32_e32 v28, 0x80000000, v26
	v_mul_f32_e64 v27, v27, -v26
.LBB74_17:
	s_wait_alu 0xfffe
	s_or_b32 exec_lo, exec_lo, s1
	scratch_store_b64 v30, v[26:27], off
	scratch_load_b64 v[31:32], off, off offset:8
	v_xor_b32_e32 v29, 0x80000000, v27
	v_add_nc_u32_e32 v1, 0x60, v3
	s_wait_loadcnt 0x0
	ds_store_2addr_b64 v3, v[28:29], v[31:32] offset1:12
	s_wait_storecnt_dscnt 0x0
	s_barrier_signal -1
	s_barrier_wait -1
	global_inv scope:SCOPE_SE
	s_and_saveexec_b32 s1, s0
	s_cbranch_execz .LBB74_19
; %bb.18:
	scratch_load_b64 v[26:27], v30, off
	ds_load_b64 v[28:29], v1
	v_mov_b32_e32 v2, 0
	ds_load_b64 v[31:32], v2 offset:8
	s_wait_loadcnt_dscnt 0x1
	v_mul_f32_e32 v2, v28, v27
	v_mul_f32_e32 v27, v29, v27
	s_delay_alu instid0(VALU_DEP_2) | instskip(NEXT) | instid1(VALU_DEP_2)
	v_fmac_f32_e32 v2, v29, v26
	v_fma_f32 v26, v28, v26, -v27
	s_delay_alu instid0(VALU_DEP_2) | instskip(NEXT) | instid1(VALU_DEP_2)
	v_add_f32_e32 v2, 0, v2
	v_add_f32_e32 v26, 0, v26
	s_wait_dscnt 0x0
	s_delay_alu instid0(VALU_DEP_2) | instskip(NEXT) | instid1(VALU_DEP_2)
	v_mul_f32_e32 v28, v2, v32
	v_mul_f32_e32 v27, v26, v32
	s_delay_alu instid0(VALU_DEP_1) | instskip(NEXT) | instid1(VALU_DEP_3)
	v_fmac_f32_e32 v27, v2, v31
	v_fma_f32 v26, v26, v31, -v28
	scratch_store_b64 off, v[26:27], off offset:8
.LBB74_19:
	s_wait_alu 0xfffe
	s_or_b32 exec_lo, exec_lo, s1
	s_wait_loadcnt 0x0
	s_wait_storecnt 0x0
	s_barrier_signal -1
	s_barrier_wait -1
	global_inv scope:SCOPE_SE
	scratch_load_b64 v[26:27], off, off offset:16
	s_mov_b32 s1, exec_lo
	s_wait_loadcnt 0x0
	ds_store_b64 v1, v[26:27]
	s_wait_dscnt 0x0
	s_barrier_signal -1
	s_barrier_wait -1
	global_inv scope:SCOPE_SE
	v_cmpx_gt_u32_e32 2, v0
	s_cbranch_execz .LBB74_23
; %bb.20:
	scratch_load_b64 v[26:27], v30, off
	ds_load_b64 v[28:29], v1
	s_wait_loadcnt_dscnt 0x0
	v_mul_f32_e32 v2, v29, v27
	s_delay_alu instid0(VALU_DEP_1) | instskip(SKIP_1) | instid1(VALU_DEP_1)
	v_fma_f32 v2, v28, v26, -v2
	v_mul_f32_e32 v27, v28, v27
	v_fmac_f32_e32 v27, v29, v26
	s_delay_alu instid0(VALU_DEP_3) | instskip(NEXT) | instid1(VALU_DEP_2)
	v_add_f32_e32 v26, 0, v2
	v_add_f32_e32 v2, 0, v27
	s_and_saveexec_b32 s4, s0
	s_cbranch_execz .LBB74_22
; %bb.21:
	scratch_load_b64 v[27:28], off, off offset:8
	v_mov_b32_e32 v29, 0
	ds_load_b64 v[31:32], v29 offset:104
	s_wait_loadcnt_dscnt 0x0
	v_mul_f32_e32 v29, v31, v28
	v_mul_f32_e32 v28, v32, v28
	s_delay_alu instid0(VALU_DEP_2) | instskip(NEXT) | instid1(VALU_DEP_2)
	v_fmac_f32_e32 v29, v32, v27
	v_fma_f32 v27, v31, v27, -v28
	s_delay_alu instid0(VALU_DEP_2) | instskip(NEXT) | instid1(VALU_DEP_2)
	v_add_f32_e32 v2, v2, v29
	v_add_f32_e32 v26, v26, v27
.LBB74_22:
	s_wait_alu 0xfffe
	s_or_b32 exec_lo, exec_lo, s4
	v_mov_b32_e32 v27, 0
	ds_load_b64 v[27:28], v27 offset:16
	s_wait_dscnt 0x0
	v_mul_f32_e32 v31, v2, v28
	v_mul_f32_e32 v29, v26, v28
	s_delay_alu instid0(VALU_DEP_2) | instskip(NEXT) | instid1(VALU_DEP_2)
	v_fma_f32 v28, v26, v27, -v31
	v_fmac_f32_e32 v29, v2, v27
	scratch_store_b64 off, v[28:29], off offset:16
.LBB74_23:
	s_wait_alu 0xfffe
	s_or_b32 exec_lo, exec_lo, s1
	s_wait_loadcnt 0x0
	s_wait_storecnt 0x0
	s_barrier_signal -1
	s_barrier_wait -1
	global_inv scope:SCOPE_SE
	scratch_load_b64 v[26:27], off, off offset:24
	v_add_nc_u32_e32 v2, -1, v0
	s_mov_b32 s0, exec_lo
	s_wait_loadcnt 0x0
	ds_store_b64 v1, v[26:27]
	s_wait_dscnt 0x0
	s_barrier_signal -1
	s_barrier_wait -1
	global_inv scope:SCOPE_SE
	v_cmpx_gt_u32_e32 3, v0
	s_cbranch_execz .LBB74_27
; %bb.24:
	v_dual_mov_b32 v26, 0 :: v_dual_add_nc_u32 v27, -1, v0
	v_dual_mov_b32 v29, v3 :: v_dual_add_nc_u32 v28, 0x60, v3
	v_mov_b32_e32 v31, 0
	s_mov_b32 s1, 0
.LBB74_25:                              ; =>This Inner Loop Header: Depth=1
	scratch_load_b64 v[32:33], v29, off
	ds_load_b64 v[34:35], v28
	v_add_nc_u32_e32 v29, 8, v29
	v_add_nc_u32_e32 v27, 1, v27
	v_add_nc_u32_e32 v28, 8, v28
	s_delay_alu instid0(VALU_DEP_2)
	v_cmp_lt_u32_e32 vcc_lo, 1, v27
	s_wait_alu 0xfffe
	s_or_b32 s1, vcc_lo, s1
	s_wait_loadcnt_dscnt 0x0
	v_mul_f32_e32 v36, v35, v33
	v_mul_f32_e32 v33, v34, v33
	s_delay_alu instid0(VALU_DEP_2) | instskip(NEXT) | instid1(VALU_DEP_2)
	v_fma_f32 v34, v34, v32, -v36
	v_fmac_f32_e32 v33, v35, v32
	s_delay_alu instid0(VALU_DEP_1)
	v_dual_add_f32 v31, v31, v34 :: v_dual_add_f32 v26, v26, v33
	s_wait_alu 0xfffe
	s_and_not1_b32 exec_lo, exec_lo, s1
	s_cbranch_execnz .LBB74_25
; %bb.26:
	s_or_b32 exec_lo, exec_lo, s1
	v_mov_b32_e32 v27, 0
	ds_load_b64 v[27:28], v27 offset:24
	s_wait_dscnt 0x0
	v_mul_f32_e32 v32, v26, v28
	v_mul_f32_e32 v29, v31, v28
	s_delay_alu instid0(VALU_DEP_2) | instskip(NEXT) | instid1(VALU_DEP_2)
	v_fma_f32 v28, v31, v27, -v32
	v_fmac_f32_e32 v29, v26, v27
	scratch_store_b64 off, v[28:29], off offset:24
.LBB74_27:
	s_wait_alu 0xfffe
	s_or_b32 exec_lo, exec_lo, s0
	s_wait_loadcnt 0x0
	s_wait_storecnt 0x0
	s_barrier_signal -1
	s_barrier_wait -1
	global_inv scope:SCOPE_SE
	scratch_load_b64 v[26:27], off, off offset:32
	s_mov_b32 s0, exec_lo
	s_wait_loadcnt 0x0
	ds_store_b64 v1, v[26:27]
	s_wait_dscnt 0x0
	s_barrier_signal -1
	s_barrier_wait -1
	global_inv scope:SCOPE_SE
	v_cmpx_gt_u32_e32 4, v0
	s_cbranch_execz .LBB74_31
; %bb.28:
	v_dual_mov_b32 v26, 0 :: v_dual_add_nc_u32 v27, -1, v0
	v_dual_mov_b32 v29, v3 :: v_dual_add_nc_u32 v28, 0x60, v3
	v_mov_b32_e32 v31, 0
	s_mov_b32 s1, 0
.LBB74_29:                              ; =>This Inner Loop Header: Depth=1
	scratch_load_b64 v[32:33], v29, off
	ds_load_b64 v[34:35], v28
	v_add_nc_u32_e32 v29, 8, v29
	v_add_nc_u32_e32 v27, 1, v27
	v_add_nc_u32_e32 v28, 8, v28
	s_delay_alu instid0(VALU_DEP_2)
	v_cmp_lt_u32_e32 vcc_lo, 2, v27
	s_wait_alu 0xfffe
	s_or_b32 s1, vcc_lo, s1
	s_wait_loadcnt_dscnt 0x0
	v_mul_f32_e32 v36, v35, v33
	v_mul_f32_e32 v33, v34, v33
	s_delay_alu instid0(VALU_DEP_2) | instskip(NEXT) | instid1(VALU_DEP_2)
	v_fma_f32 v34, v34, v32, -v36
	v_fmac_f32_e32 v33, v35, v32
	s_delay_alu instid0(VALU_DEP_1)
	v_dual_add_f32 v31, v31, v34 :: v_dual_add_f32 v26, v26, v33
	s_wait_alu 0xfffe
	s_and_not1_b32 exec_lo, exec_lo, s1
	s_cbranch_execnz .LBB74_29
; %bb.30:
	s_or_b32 exec_lo, exec_lo, s1
	v_mov_b32_e32 v27, 0
	ds_load_b64 v[27:28], v27 offset:32
	s_wait_dscnt 0x0
	v_mul_f32_e32 v32, v26, v28
	v_mul_f32_e32 v29, v31, v28
	s_delay_alu instid0(VALU_DEP_2) | instskip(NEXT) | instid1(VALU_DEP_2)
	v_fma_f32 v28, v31, v27, -v32
	v_fmac_f32_e32 v29, v26, v27
	scratch_store_b64 off, v[28:29], off offset:32
.LBB74_31:
	s_wait_alu 0xfffe
	s_or_b32 exec_lo, exec_lo, s0
	s_wait_loadcnt 0x0
	s_wait_storecnt 0x0
	s_barrier_signal -1
	s_barrier_wait -1
	global_inv scope:SCOPE_SE
	scratch_load_b64 v[26:27], off, off offset:40
	;; [unrolled: 55-line block ×6, first 2 shown]
	s_mov_b32 s0, exec_lo
	s_wait_loadcnt 0x0
	ds_store_b64 v1, v[26:27]
	s_wait_dscnt 0x0
	s_barrier_signal -1
	s_barrier_wait -1
	global_inv scope:SCOPE_SE
	v_cmpx_gt_u32_e32 9, v0
	s_cbranch_execz .LBB74_51
; %bb.48:
	v_add_nc_u32_e32 v26, -1, v0
	v_dual_mov_b32 v28, v3 :: v_dual_add_nc_u32 v27, 0x60, v3
	v_mov_b32_e32 v3, 0
	v_mov_b32_e32 v29, 0
	s_mov_b32 s1, 0
.LBB74_49:                              ; =>This Inner Loop Header: Depth=1
	scratch_load_b64 v[31:32], v28, off
	ds_load_b64 v[33:34], v27
	v_add_nc_u32_e32 v28, 8, v28
	v_add_nc_u32_e32 v26, 1, v26
	;; [unrolled: 1-line block ×3, first 2 shown]
	s_delay_alu instid0(VALU_DEP_2)
	v_cmp_lt_u32_e32 vcc_lo, 7, v26
	s_wait_alu 0xfffe
	s_or_b32 s1, vcc_lo, s1
	s_wait_loadcnt_dscnt 0x0
	v_mul_f32_e32 v35, v34, v32
	v_mul_f32_e32 v32, v33, v32
	s_delay_alu instid0(VALU_DEP_2) | instskip(NEXT) | instid1(VALU_DEP_1)
	v_fma_f32 v33, v33, v31, -v35
	v_dual_fmac_f32 v32, v34, v31 :: v_dual_add_f32 v29, v29, v33
	s_delay_alu instid0(VALU_DEP_1)
	v_add_f32_e32 v3, v3, v32
	s_wait_alu 0xfffe
	s_and_not1_b32 exec_lo, exec_lo, s1
	s_cbranch_execnz .LBB74_49
; %bb.50:
	s_or_b32 exec_lo, exec_lo, s1
	v_mov_b32_e32 v26, 0
	ds_load_b64 v[26:27], v26 offset:72
	s_wait_dscnt 0x0
	v_mul_f32_e32 v31, v3, v27
	v_mul_f32_e32 v28, v29, v27
	s_delay_alu instid0(VALU_DEP_2) | instskip(NEXT) | instid1(VALU_DEP_2)
	v_fma_f32 v27, v29, v26, -v31
	v_fmac_f32_e32 v28, v3, v26
	scratch_store_b64 off, v[27:28], off offset:72
.LBB74_51:
	s_wait_alu 0xfffe
	s_or_b32 exec_lo, exec_lo, s0
	s_wait_loadcnt 0x0
	s_wait_storecnt 0x0
	s_barrier_signal -1
	s_barrier_wait -1
	global_inv scope:SCOPE_SE
	scratch_load_b64 v[26:27], off, off offset:80
	s_mov_b32 s0, exec_lo
	s_wait_loadcnt 0x0
	ds_store_b64 v1, v[26:27]
	s_wait_dscnt 0x0
	s_barrier_signal -1
	s_barrier_wait -1
	global_inv scope:SCOPE_SE
	v_cmpx_ne_u32_e32 10, v0
	s_cbranch_execz .LBB74_55
; %bb.52:
	v_dual_mov_b32 v3, 0 :: v_dual_mov_b32 v26, 0
	s_mov_b32 s1, 0
.LBB74_53:                              ; =>This Inner Loop Header: Depth=1
	scratch_load_b64 v[27:28], v30, off
	ds_load_b64 v[31:32], v1
	v_add_nc_u32_e32 v2, 1, v2
	v_add_nc_u32_e32 v1, 8, v1
	s_delay_alu instid0(VALU_DEP_2)
	v_cmp_lt_u32_e32 vcc_lo, 8, v2
	s_wait_alu 0xfffe
	s_or_b32 s1, vcc_lo, s1
	s_wait_loadcnt_dscnt 0x0
	v_mul_f32_e32 v29, v32, v28
	v_mul_f32_e32 v28, v31, v28
	s_delay_alu instid0(VALU_DEP_2) | instskip(NEXT) | instid1(VALU_DEP_2)
	v_fma_f32 v29, v31, v27, -v29
	v_fmac_f32_e32 v28, v32, v27
	v_add_nc_u32_e32 v30, 8, v30
	s_delay_alu instid0(VALU_DEP_2)
	v_dual_add_f32 v26, v26, v29 :: v_dual_add_f32 v3, v3, v28
	s_wait_alu 0xfffe
	s_and_not1_b32 exec_lo, exec_lo, s1
	s_cbranch_execnz .LBB74_53
; %bb.54:
	s_or_b32 exec_lo, exec_lo, s1
	v_mov_b32_e32 v1, 0
	ds_load_b64 v[1:2], v1 offset:80
	s_wait_dscnt 0x0
	v_mul_f32_e32 v28, v3, v2
	v_mul_f32_e32 v27, v26, v2
	s_delay_alu instid0(VALU_DEP_2) | instskip(NEXT) | instid1(VALU_DEP_2)
	v_fma_f32 v26, v26, v1, -v28
	v_fmac_f32_e32 v27, v3, v1
	scratch_store_b64 off, v[26:27], off offset:80
.LBB74_55:
	s_wait_alu 0xfffe
	s_or_b32 exec_lo, exec_lo, s0
	s_mov_b32 s1, -1
	s_wait_loadcnt 0x0
	s_wait_storecnt 0x0
	s_barrier_signal -1
	s_barrier_wait -1
	global_inv scope:SCOPE_SE
.LBB74_56:
	s_wait_alu 0xfffe
	s_and_b32 vcc_lo, exec_lo, s1
	s_wait_alu 0xfffe
	s_cbranch_vccz .LBB74_58
; %bb.57:
	v_mov_b32_e32 v1, 0
	s_lshl_b64 s[0:1], s[8:9], 2
	s_wait_alu 0xfffe
	s_add_nc_u64 s[0:1], s[6:7], s[0:1]
	global_load_b32 v1, v1, s[0:1]
	s_wait_loadcnt 0x0
	v_cmp_ne_u32_e32 vcc_lo, 0, v1
	s_cbranch_vccz .LBB74_59
.LBB74_58:
	s_endpgm
.LBB74_59:
	v_lshl_add_u32 v3, v0, 3, 0x60
	s_mov_b32 s0, exec_lo
	v_cmpx_eq_u32_e32 10, v0
	s_cbranch_execz .LBB74_61
; %bb.60:
	scratch_load_b64 v[1:2], off, off offset:72
	v_mov_b32_e32 v26, 0
	s_delay_alu instid0(VALU_DEP_1)
	v_mov_b32_e32 v27, v26
	scratch_store_b64 off, v[26:27], off offset:72
	s_wait_loadcnt 0x0
	ds_store_b64 v3, v[1:2]
.LBB74_61:
	s_wait_alu 0xfffe
	s_or_b32 exec_lo, exec_lo, s0
	s_wait_storecnt_dscnt 0x0
	s_barrier_signal -1
	s_barrier_wait -1
	global_inv scope:SCOPE_SE
	s_clause 0x1
	scratch_load_b64 v[26:27], off, off offset:80
	scratch_load_b64 v[28:29], off, off offset:72
	v_mov_b32_e32 v1, 0
	s_mov_b32 s0, exec_lo
	ds_load_b64 v[30:31], v1 offset:176
	s_wait_loadcnt_dscnt 0x100
	v_mul_f32_e32 v2, v31, v27
	s_delay_alu instid0(VALU_DEP_1) | instskip(NEXT) | instid1(VALU_DEP_1)
	v_fma_f32 v2, v30, v26, -v2
	v_dual_mul_f32 v27, v30, v27 :: v_dual_add_f32 v2, 0, v2
	s_delay_alu instid0(VALU_DEP_1) | instskip(SKIP_1) | instid1(VALU_DEP_1)
	v_fmac_f32_e32 v27, v31, v26
	s_wait_loadcnt 0x0
	v_dual_sub_f32 v26, v28, v2 :: v_dual_add_f32 v27, 0, v27
	s_delay_alu instid0(VALU_DEP_1)
	v_sub_f32_e32 v27, v29, v27
	scratch_store_b64 off, v[26:27], off offset:72
	v_cmpx_lt_u32_e32 8, v0
	s_cbranch_execz .LBB74_63
; %bb.62:
	scratch_load_b64 v[26:27], off, off offset:64
	v_mov_b32_e32 v2, v1
	scratch_store_b64 off, v[1:2], off offset:64
	s_wait_loadcnt 0x0
	ds_store_b64 v3, v[26:27]
.LBB74_63:
	s_wait_alu 0xfffe
	s_or_b32 exec_lo, exec_lo, s0
	s_wait_storecnt_dscnt 0x0
	s_barrier_signal -1
	s_barrier_wait -1
	global_inv scope:SCOPE_SE
	s_clause 0x1
	scratch_load_b128 v[26:29], off, off offset:72
	scratch_load_b64 v[34:35], off, off offset:64
	ds_load_2addr_b64 v[30:33], v1 offset0:21 offset1:22
	s_mov_b32 s0, exec_lo
	s_wait_loadcnt_dscnt 0x100
	v_mul_f32_e32 v2, v30, v27
	s_delay_alu instid0(VALU_DEP_1) | instskip(SKIP_2) | instid1(VALU_DEP_1)
	v_fmac_f32_e32 v2, v31, v26
	v_mul_f32_e32 v1, v31, v27
	v_mul_f32_e32 v27, v32, v29
	v_dual_fmac_f32 v27, v33, v28 :: v_dual_add_f32 v2, 0, v2
	v_mul_f32_e32 v29, v33, v29
	s_delay_alu instid0(VALU_DEP_4) | instskip(NEXT) | instid1(VALU_DEP_3)
	v_fma_f32 v1, v30, v26, -v1
	v_add_f32_e32 v2, v2, v27
	s_delay_alu instid0(VALU_DEP_3) | instskip(SKIP_1) | instid1(VALU_DEP_2)
	v_fma_f32 v26, v32, v28, -v29
	s_wait_loadcnt 0x0
	v_dual_add_f32 v1, 0, v1 :: v_dual_sub_f32 v2, v35, v2
	s_delay_alu instid0(VALU_DEP_1) | instskip(NEXT) | instid1(VALU_DEP_1)
	v_add_f32_e32 v1, v1, v26
	v_sub_f32_e32 v1, v34, v1
	scratch_store_b64 off, v[1:2], off offset:64
	v_cmpx_lt_u32_e32 7, v0
	s_cbranch_execz .LBB74_65
; %bb.64:
	scratch_load_b64 v[1:2], off, off offset:56
	v_mov_b32_e32 v26, 0
	s_delay_alu instid0(VALU_DEP_1)
	v_mov_b32_e32 v27, v26
	scratch_store_b64 off, v[26:27], off offset:56
	s_wait_loadcnt 0x0
	ds_store_b64 v3, v[1:2]
.LBB74_65:
	s_wait_alu 0xfffe
	s_or_b32 exec_lo, exec_lo, s0
	s_wait_storecnt_dscnt 0x0
	s_barrier_signal -1
	s_barrier_wait -1
	global_inv scope:SCOPE_SE
	s_clause 0x2
	scratch_load_b128 v[26:29], off, off offset:64
	scratch_load_b64 v[34:35], off, off offset:80
	scratch_load_b64 v[36:37], off, off offset:56
	v_mov_b32_e32 v1, 0
	ds_load_b128 v[30:33], v1 offset:160
	ds_load_b64 v[38:39], v1 offset:176
	s_mov_b32 s0, exec_lo
	s_wait_loadcnt_dscnt 0x201
	v_mul_f32_e32 v2, v31, v27
	v_dual_mul_f32 v27, v30, v27 :: v_dual_mul_f32 v40, v32, v29
	v_mul_f32_e32 v29, v33, v29
	s_wait_loadcnt_dscnt 0x100
	v_mul_f32_e32 v41, v38, v35
	v_fma_f32 v2, v30, v26, -v2
	s_delay_alu instid0(VALU_DEP_2) | instskip(NEXT) | instid1(VALU_DEP_2)
	v_dual_fmac_f32 v40, v33, v28 :: v_dual_fmac_f32 v41, v39, v34
	v_add_f32_e32 v2, 0, v2
	v_fmac_f32_e32 v27, v31, v26
	v_mul_f32_e32 v26, v39, v35
	v_fma_f32 v28, v32, v28, -v29
	s_delay_alu instid0(VALU_DEP_2) | instskip(NEXT) | instid1(VALU_DEP_2)
	v_fma_f32 v26, v38, v34, -v26
	v_dual_add_f32 v2, v2, v28 :: v_dual_add_f32 v27, 0, v27
	s_delay_alu instid0(VALU_DEP_1) | instskip(SKIP_1) | instid1(VALU_DEP_1)
	v_dual_add_f32 v2, v2, v26 :: v_dual_add_f32 v27, v27, v40
	s_wait_loadcnt 0x0
	v_dual_sub_f32 v26, v36, v2 :: v_dual_add_f32 v27, v27, v41
	s_delay_alu instid0(VALU_DEP_1)
	v_sub_f32_e32 v27, v37, v27
	scratch_store_b64 off, v[26:27], off offset:56
	v_cmpx_lt_u32_e32 6, v0
	s_cbranch_execz .LBB74_67
; %bb.66:
	scratch_load_b64 v[26:27], off, off offset:48
	v_mov_b32_e32 v2, v1
	scratch_store_b64 off, v[1:2], off offset:48
	s_wait_loadcnt 0x0
	ds_store_b64 v3, v[26:27]
.LBB74_67:
	s_wait_alu 0xfffe
	s_or_b32 exec_lo, exec_lo, s0
	s_wait_storecnt_dscnt 0x0
	s_barrier_signal -1
	s_barrier_wait -1
	global_inv scope:SCOPE_SE
	s_clause 0x2
	scratch_load_b128 v[26:29], off, off offset:56
	scratch_load_b128 v[30:33], off, off offset:72
	scratch_load_b64 v[42:43], off, off offset:48
	ds_load_2addr_b64 v[34:37], v1 offset0:19 offset1:20
	ds_load_2addr_b64 v[38:41], v1 offset0:21 offset1:22
	s_mov_b32 s0, exec_lo
	s_wait_loadcnt_dscnt 0x201
	v_mul_f32_e32 v2, v35, v27
	s_wait_loadcnt_dscnt 0x100
	v_dual_mul_f32 v44, v38, v31 :: v_dual_mul_f32 v45, v40, v33
	s_delay_alu instid0(VALU_DEP_2) | instskip(SKIP_2) | instid1(VALU_DEP_4)
	v_fma_f32 v2, v34, v26, -v2
	v_mul_f32_e32 v1, v34, v27
	v_mul_f32_e32 v27, v36, v29
	v_dual_mul_f32 v29, v37, v29 :: v_dual_fmac_f32 v44, v39, v30
	s_delay_alu instid0(VALU_DEP_4) | instskip(NEXT) | instid1(VALU_DEP_4)
	v_add_f32_e32 v2, 0, v2
	v_fmac_f32_e32 v1, v35, v26
	s_delay_alu instid0(VALU_DEP_4) | instskip(NEXT) | instid1(VALU_DEP_4)
	v_dual_mul_f32 v26, v39, v31 :: v_dual_fmac_f32 v27, v37, v28
	v_fma_f32 v28, v36, v28, -v29
	v_fmac_f32_e32 v45, v41, v32
	s_delay_alu instid0(VALU_DEP_3) | instskip(NEXT) | instid1(VALU_DEP_3)
	v_fma_f32 v26, v38, v30, -v26
	v_dual_add_f32 v2, v2, v28 :: v_dual_add_f32 v1, 0, v1
	s_delay_alu instid0(VALU_DEP_1) | instskip(NEXT) | instid1(VALU_DEP_2)
	v_dual_add_f32 v2, v2, v26 :: v_dual_mul_f32 v29, v41, v33
	v_add_f32_e32 v1, v1, v27
	s_delay_alu instid0(VALU_DEP_2) | instskip(NEXT) | instid1(VALU_DEP_1)
	v_fma_f32 v27, v40, v32, -v29
	v_dual_add_f32 v1, v1, v44 :: v_dual_add_f32 v2, v2, v27
	s_wait_loadcnt 0x0
	s_delay_alu instid0(VALU_DEP_1) | instskip(NEXT) | instid1(VALU_DEP_1)
	v_dual_add_f32 v26, v1, v45 :: v_dual_sub_f32 v1, v42, v2
	v_sub_f32_e32 v2, v43, v26
	scratch_store_b64 off, v[1:2], off offset:48
	v_cmpx_lt_u32_e32 5, v0
	s_cbranch_execz .LBB74_69
; %bb.68:
	scratch_load_b64 v[1:2], off, off offset:40
	v_mov_b32_e32 v26, 0
	s_delay_alu instid0(VALU_DEP_1)
	v_mov_b32_e32 v27, v26
	scratch_store_b64 off, v[26:27], off offset:40
	s_wait_loadcnt 0x0
	ds_store_b64 v3, v[1:2]
.LBB74_69:
	s_wait_alu 0xfffe
	s_or_b32 exec_lo, exec_lo, s0
	s_wait_storecnt_dscnt 0x0
	s_barrier_signal -1
	s_barrier_wait -1
	global_inv scope:SCOPE_SE
	s_clause 0x3
	scratch_load_b128 v[26:29], off, off offset:48
	scratch_load_b128 v[30:33], off, off offset:64
	scratch_load_b64 v[42:43], off, off offset:80
	scratch_load_b64 v[44:45], off, off offset:40
	v_mov_b32_e32 v1, 0
	ds_load_b128 v[34:37], v1 offset:144
	ds_load_b128 v[38:41], v1 offset:160
	ds_load_b64 v[46:47], v1 offset:176
	s_mov_b32 s0, exec_lo
	s_wait_loadcnt_dscnt 0x302
	v_mul_f32_e32 v2, v34, v27
	v_dual_mul_f32 v48, v36, v29 :: v_dual_mul_f32 v27, v35, v27
	s_wait_loadcnt_dscnt 0x100
	v_mul_f32_e32 v51, v46, v43
	v_dual_mul_f32 v49, v38, v31 :: v_dual_mul_f32 v50, v40, v33
	v_dual_fmac_f32 v2, v35, v26 :: v_dual_mul_f32 v29, v37, v29
	v_fma_f32 v27, v34, v26, -v27
	v_fmac_f32_e32 v48, v37, v28
	v_mul_f32_e32 v26, v39, v31
	s_delay_alu instid0(VALU_DEP_4) | instskip(SKIP_3) | instid1(VALU_DEP_4)
	v_add_f32_e32 v2, 0, v2
	v_fma_f32 v28, v36, v28, -v29
	v_add_f32_e32 v27, 0, v27
	v_mul_f32_e32 v29, v41, v33
	v_dual_fmac_f32 v49, v39, v30 :: v_dual_add_f32 v2, v2, v48
	v_dual_fmac_f32 v50, v41, v32 :: v_dual_fmac_f32 v51, v47, v42
	s_delay_alu instid0(VALU_DEP_4) | instskip(SKIP_1) | instid1(VALU_DEP_4)
	v_add_f32_e32 v27, v27, v28
	v_fma_f32 v26, v38, v30, -v26
	v_add_f32_e32 v2, v2, v49
	v_fma_f32 v29, v40, v32, -v29
	s_delay_alu instid0(VALU_DEP_3) | instskip(NEXT) | instid1(VALU_DEP_3)
	v_add_f32_e32 v26, v27, v26
	v_add_f32_e32 v2, v2, v50
	s_delay_alu instid0(VALU_DEP_2) | instskip(NEXT) | instid1(VALU_DEP_2)
	v_add_f32_e32 v26, v26, v29
	v_add_f32_e32 v2, v2, v51
	v_mul_f32_e32 v28, v47, v43
	s_delay_alu instid0(VALU_DEP_1) | instskip(SKIP_1) | instid1(VALU_DEP_1)
	v_fma_f32 v27, v46, v42, -v28
	s_wait_loadcnt 0x0
	v_dual_add_f32 v26, v26, v27 :: v_dual_sub_f32 v27, v45, v2
	s_delay_alu instid0(VALU_DEP_1)
	v_sub_f32_e32 v26, v44, v26
	scratch_store_b64 off, v[26:27], off offset:40
	v_cmpx_lt_u32_e32 4, v0
	s_cbranch_execz .LBB74_71
; %bb.70:
	scratch_load_b64 v[26:27], off, off offset:32
	v_mov_b32_e32 v2, v1
	scratch_store_b64 off, v[1:2], off offset:32
	s_wait_loadcnt 0x0
	ds_store_b64 v3, v[26:27]
.LBB74_71:
	s_wait_alu 0xfffe
	s_or_b32 exec_lo, exec_lo, s0
	s_wait_storecnt_dscnt 0x0
	s_barrier_signal -1
	s_barrier_wait -1
	global_inv scope:SCOPE_SE
	s_clause 0x3
	scratch_load_b128 v[26:29], off, off offset:40
	scratch_load_b128 v[30:33], off, off offset:56
	;; [unrolled: 1-line block ×3, first 2 shown]
	scratch_load_b64 v[50:51], off, off offset:32
	ds_load_2addr_b64 v[38:41], v1 offset0:17 offset1:18
	ds_load_2addr_b64 v[42:45], v1 offset0:19 offset1:20
	;; [unrolled: 1-line block ×3, first 2 shown]
	s_mov_b32 s0, exec_lo
	s_wait_loadcnt_dscnt 0x302
	v_dual_mul_f32 v1, v38, v27 :: v_dual_mul_f32 v2, v40, v29
	v_mul_f32_e32 v27, v39, v27
	s_wait_loadcnt_dscnt 0x201
	v_dual_mul_f32 v29, v41, v29 :: v_dual_mul_f32 v52, v42, v31
	s_delay_alu instid0(VALU_DEP_3) | instskip(NEXT) | instid1(VALU_DEP_3)
	v_dual_mul_f32 v53, v44, v33 :: v_dual_fmac_f32 v2, v41, v28
	v_fma_f32 v27, v38, v26, -v27
	v_fmac_f32_e32 v1, v39, v26
	v_mul_f32_e32 v26, v43, v31
	v_fma_f32 v28, v40, v28, -v29
	s_delay_alu instid0(VALU_DEP_4)
	v_dual_fmac_f32 v52, v43, v30 :: v_dual_add_f32 v27, 0, v27
	s_wait_loadcnt_dscnt 0x100
	v_dual_mul_f32 v54, v46, v35 :: v_dual_mul_f32 v55, v48, v37
	v_fma_f32 v26, v42, v30, -v26
	v_fmac_f32_e32 v53, v45, v32
	v_add_f32_e32 v27, v27, v28
	s_delay_alu instid0(VALU_DEP_4) | instskip(NEXT) | instid1(VALU_DEP_2)
	v_dual_mul_f32 v29, v45, v33 :: v_dual_fmac_f32 v54, v47, v34
	v_dual_fmac_f32 v55, v49, v36 :: v_dual_add_f32 v26, v27, v26
	s_delay_alu instid0(VALU_DEP_2) | instskip(NEXT) | instid1(VALU_DEP_1)
	v_fma_f32 v28, v44, v32, -v29
	v_dual_mul_f32 v27, v49, v37 :: v_dual_add_f32 v26, v26, v28
	v_add_f32_e32 v1, 0, v1
	s_delay_alu instid0(VALU_DEP_2) | instskip(NEXT) | instid1(VALU_DEP_2)
	v_fma_f32 v27, v48, v36, -v27
	v_dual_add_f32 v1, v1, v2 :: v_dual_mul_f32 v2, v47, v35
	s_delay_alu instid0(VALU_DEP_1) | instskip(NEXT) | instid1(VALU_DEP_1)
	v_fma_f32 v2, v46, v34, -v2
	v_add_f32_e32 v2, v26, v2
	s_delay_alu instid0(VALU_DEP_1) | instskip(NEXT) | instid1(VALU_DEP_1)
	v_dual_add_f32 v2, v2, v27 :: v_dual_add_f32 v1, v1, v52
	v_add_f32_e32 v1, v1, v53
	s_delay_alu instid0(VALU_DEP_1) | instskip(SKIP_1) | instid1(VALU_DEP_1)
	v_add_f32_e32 v1, v1, v54
	s_wait_loadcnt 0x0
	v_dual_add_f32 v26, v1, v55 :: v_dual_sub_f32 v1, v50, v2
	s_delay_alu instid0(VALU_DEP_1)
	v_sub_f32_e32 v2, v51, v26
	scratch_store_b64 off, v[1:2], off offset:32
	v_cmpx_lt_u32_e32 3, v0
	s_cbranch_execz .LBB74_73
; %bb.72:
	scratch_load_b64 v[1:2], off, off offset:24
	v_mov_b32_e32 v26, 0
	s_delay_alu instid0(VALU_DEP_1)
	v_mov_b32_e32 v27, v26
	scratch_store_b64 off, v[26:27], off offset:24
	s_wait_loadcnt 0x0
	ds_store_b64 v3, v[1:2]
.LBB74_73:
	s_wait_alu 0xfffe
	s_or_b32 exec_lo, exec_lo, s0
	s_wait_storecnt_dscnt 0x0
	s_barrier_signal -1
	s_barrier_wait -1
	global_inv scope:SCOPE_SE
	s_clause 0x4
	scratch_load_b128 v[26:29], off, off offset:32
	scratch_load_b128 v[30:33], off, off offset:48
	;; [unrolled: 1-line block ×3, first 2 shown]
	scratch_load_b64 v[50:51], off, off offset:80
	scratch_load_b64 v[52:53], off, off offset:24
	v_mov_b32_e32 v1, 0
	ds_load_b128 v[38:41], v1 offset:128
	ds_load_b128 v[42:45], v1 offset:144
	;; [unrolled: 1-line block ×3, first 2 shown]
	ds_load_b64 v[54:55], v1 offset:176
	s_mov_b32 s0, exec_lo
	s_wait_loadcnt_dscnt 0x403
	v_mul_f32_e32 v2, v38, v27
	s_wait_loadcnt_dscnt 0x302
	v_dual_mul_f32 v56, v40, v29 :: v_dual_mul_f32 v57, v42, v31
	v_dual_mul_f32 v58, v44, v33 :: v_dual_mul_f32 v27, v39, v27
	s_wait_loadcnt_dscnt 0x100
	v_dual_mul_f32 v61, v54, v51 :: v_dual_fmac_f32 v2, v39, v26
	v_mul_f32_e32 v29, v41, v29
	v_dual_mul_f32 v59, v46, v35 :: v_dual_mul_f32 v60, v48, v37
	v_fma_f32 v27, v38, v26, -v27
	v_fmac_f32_e32 v56, v41, v28
	v_add_f32_e32 v2, 0, v2
	v_mul_f32_e32 v26, v43, v31
	v_fma_f32 v28, v40, v28, -v29
	v_add_f32_e32 v27, 0, v27
	v_mul_f32_e32 v29, v45, v33
	v_dual_fmac_f32 v57, v43, v30 :: v_dual_add_f32 v2, v2, v56
	v_dual_fmac_f32 v58, v45, v32 :: v_dual_fmac_f32 v59, v47, v34
	s_delay_alu instid0(VALU_DEP_4) | instskip(SKIP_1) | instid1(VALU_DEP_4)
	v_add_f32_e32 v27, v27, v28
	v_fma_f32 v26, v42, v30, -v26
	v_add_f32_e32 v2, v2, v57
	v_mul_f32_e32 v28, v47, v35
	v_fma_f32 v29, v44, v32, -v29
	v_dual_fmac_f32 v60, v49, v36 :: v_dual_fmac_f32 v61, v55, v50
	s_delay_alu instid0(VALU_DEP_4) | instskip(SKIP_2) | instid1(VALU_DEP_3)
	v_add_f32_e32 v2, v2, v58
	v_dual_add_f32 v26, v27, v26 :: v_dual_mul_f32 v27, v49, v37
	v_fma_f32 v28, v46, v34, -v28
	v_add_f32_e32 v2, v2, v59
	s_delay_alu instid0(VALU_DEP_3) | instskip(NEXT) | instid1(VALU_DEP_4)
	v_dual_add_f32 v26, v26, v29 :: v_dual_mul_f32 v29, v55, v51
	v_fma_f32 v27, v48, v36, -v27
	s_delay_alu instid0(VALU_DEP_3) | instskip(NEXT) | instid1(VALU_DEP_1)
	v_add_f32_e32 v2, v2, v60
	v_add_f32_e32 v2, v2, v61
	s_delay_alu instid0(VALU_DEP_4) | instskip(SKIP_2) | instid1(VALU_DEP_2)
	v_add_f32_e32 v26, v26, v28
	v_fma_f32 v28, v54, v50, -v29
	s_wait_loadcnt 0x0
	v_dual_add_f32 v26, v26, v27 :: v_dual_sub_f32 v27, v53, v2
	s_delay_alu instid0(VALU_DEP_1) | instskip(NEXT) | instid1(VALU_DEP_1)
	v_add_f32_e32 v26, v26, v28
	v_sub_f32_e32 v26, v52, v26
	scratch_store_b64 off, v[26:27], off offset:24
	v_cmpx_lt_u32_e32 2, v0
	s_cbranch_execz .LBB74_75
; %bb.74:
	scratch_load_b64 v[26:27], off, off offset:16
	v_mov_b32_e32 v2, v1
	scratch_store_b64 off, v[1:2], off offset:16
	s_wait_loadcnt 0x0
	ds_store_b64 v3, v[26:27]
.LBB74_75:
	s_wait_alu 0xfffe
	s_or_b32 exec_lo, exec_lo, s0
	s_wait_storecnt_dscnt 0x0
	s_barrier_signal -1
	s_barrier_wait -1
	global_inv scope:SCOPE_SE
	s_clause 0x4
	scratch_load_b128 v[26:29], off, off offset:24
	scratch_load_b128 v[30:33], off, off offset:40
	;; [unrolled: 1-line block ×4, first 2 shown]
	scratch_load_b64 v[58:59], off, off offset:16
	ds_load_2addr_b64 v[42:45], v1 offset0:15 offset1:16
	ds_load_2addr_b64 v[46:49], v1 offset0:17 offset1:18
	;; [unrolled: 1-line block ×4, first 2 shown]
	s_mov_b32 s0, exec_lo
	s_wait_loadcnt_dscnt 0x403
	v_dual_mul_f32 v1, v42, v27 :: v_dual_mul_f32 v2, v44, v29
	v_mul_f32_e32 v27, v43, v27
	s_wait_loadcnt_dscnt 0x302
	v_dual_mul_f32 v29, v45, v29 :: v_dual_mul_f32 v60, v46, v31
	s_delay_alu instid0(VALU_DEP_3) | instskip(NEXT) | instid1(VALU_DEP_3)
	v_dual_mul_f32 v61, v48, v33 :: v_dual_fmac_f32 v2, v45, v28
	v_fma_f32 v27, v42, v26, -v27
	v_fmac_f32_e32 v1, v43, v26
	v_mul_f32_e32 v26, v47, v31
	v_fma_f32 v28, v44, v28, -v29
	s_delay_alu instid0(VALU_DEP_4)
	v_dual_fmac_f32 v60, v47, v30 :: v_dual_add_f32 v27, 0, v27
	s_wait_loadcnt_dscnt 0x201
	v_dual_mul_f32 v62, v50, v35 :: v_dual_mul_f32 v63, v52, v37
	v_fma_f32 v26, v46, v30, -v26
	s_wait_loadcnt_dscnt 0x100
	v_dual_mul_f32 v64, v54, v39 :: v_dual_mul_f32 v65, v56, v41
	v_add_f32_e32 v27, v27, v28
	v_mul_f32_e32 v29, v49, v33
	v_dual_fmac_f32 v61, v49, v32 :: v_dual_fmac_f32 v62, v51, v34
	s_delay_alu instid0(VALU_DEP_3) | instskip(NEXT) | instid1(VALU_DEP_3)
	v_dual_fmac_f32 v65, v57, v40 :: v_dual_add_f32 v26, v27, v26
	v_fma_f32 v28, v48, v32, -v29
	v_fmac_f32_e32 v64, v55, v38
	s_delay_alu instid0(VALU_DEP_2) | instskip(NEXT) | instid1(VALU_DEP_1)
	v_dual_add_f32 v26, v26, v28 :: v_dual_add_f32 v1, 0, v1
	v_dual_mul_f32 v28, v55, v39 :: v_dual_add_f32 v1, v1, v2
	v_mul_f32_e32 v2, v51, v35
	s_delay_alu instid0(VALU_DEP_2) | instskip(SKIP_1) | instid1(VALU_DEP_4)
	v_fma_f32 v28, v54, v38, -v28
	v_mul_f32_e32 v27, v53, v37
	v_add_f32_e32 v1, v1, v60
	s_delay_alu instid0(VALU_DEP_4) | instskip(NEXT) | instid1(VALU_DEP_3)
	v_fma_f32 v2, v50, v34, -v2
	v_fma_f32 v27, v52, v36, -v27
	s_delay_alu instid0(VALU_DEP_2) | instskip(SKIP_1) | instid1(VALU_DEP_2)
	v_dual_add_f32 v2, v26, v2 :: v_dual_add_f32 v1, v1, v61
	v_mul_f32_e32 v26, v57, v41
	v_dual_add_f32 v2, v2, v27 :: v_dual_add_f32 v1, v1, v62
	s_delay_alu instid0(VALU_DEP_2) | instskip(NEXT) | instid1(VALU_DEP_2)
	v_fma_f32 v26, v56, v40, -v26
	v_add_f32_e32 v2, v2, v28
	s_delay_alu instid0(VALU_DEP_1) | instskip(NEXT) | instid1(VALU_DEP_1)
	v_dual_fmac_f32 v63, v53, v36 :: v_dual_add_f32 v2, v2, v26
	v_add_f32_e32 v1, v1, v63
	s_delay_alu instid0(VALU_DEP_1) | instskip(SKIP_1) | instid1(VALU_DEP_1)
	v_add_f32_e32 v1, v1, v64
	s_wait_loadcnt 0x0
	v_dual_add_f32 v26, v1, v65 :: v_dual_sub_f32 v1, v58, v2
	s_delay_alu instid0(VALU_DEP_1)
	v_sub_f32_e32 v2, v59, v26
	scratch_store_b64 off, v[1:2], off offset:16
	v_cmpx_lt_u32_e32 1, v0
	s_cbranch_execz .LBB74_77
; %bb.76:
	scratch_load_b64 v[1:2], off, off offset:8
	v_mov_b32_e32 v26, 0
	s_delay_alu instid0(VALU_DEP_1)
	v_mov_b32_e32 v27, v26
	scratch_store_b64 off, v[26:27], off offset:8
	s_wait_loadcnt 0x0
	ds_store_b64 v3, v[1:2]
.LBB74_77:
	s_wait_alu 0xfffe
	s_or_b32 exec_lo, exec_lo, s0
	s_wait_storecnt_dscnt 0x0
	s_barrier_signal -1
	s_barrier_wait -1
	global_inv scope:SCOPE_SE
	s_clause 0x5
	scratch_load_b128 v[27:30], off, off offset:16
	scratch_load_b128 v[31:34], off, off offset:32
	;; [unrolled: 1-line block ×4, first 2 shown]
	scratch_load_b64 v[1:2], off, off offset:80
	scratch_load_b64 v[59:60], off, off offset:8
	v_mov_b32_e32 v26, 0
	ds_load_b128 v[43:46], v26 offset:112
	ds_load_b128 v[47:50], v26 offset:128
	;; [unrolled: 1-line block ×4, first 2 shown]
	ds_load_b64 v[61:62], v26 offset:176
	s_mov_b32 s0, exec_lo
	s_wait_loadcnt_dscnt 0x504
	v_mul_f32_e32 v63, v43, v28
	v_mul_f32_e32 v28, v44, v28
	s_wait_loadcnt_dscnt 0x403
	v_dual_mul_f32 v64, v45, v30 :: v_dual_mul_f32 v65, v47, v32
	s_wait_loadcnt_dscnt 0x100
	v_mul_f32_e32 v71, v61, v2
	v_mul_f32_e32 v30, v46, v30
	v_fma_f32 v28, v43, v27, -v28
	v_dual_mul_f32 v70, v57, v42 :: v_dual_fmac_f32 v63, v44, v27
	v_dual_mul_f32 v27, v48, v32 :: v_dual_fmac_f32 v64, v46, v29
	v_fmac_f32_e32 v65, v48, v31
	v_fma_f32 v29, v45, v29, -v30
	v_add_f32_e32 v28, 0, v28
	v_add_f32_e32 v30, 0, v63
	v_fma_f32 v27, v47, v31, -v27
	v_dual_mul_f32 v66, v49, v34 :: v_dual_mul_f32 v67, v51, v36
	s_delay_alu instid0(VALU_DEP_4) | instskip(SKIP_2) | instid1(VALU_DEP_4)
	v_add_f32_e32 v28, v28, v29
	v_mul_f32_e32 v32, v50, v34
	v_dual_mul_f32 v68, v53, v38 :: v_dual_mul_f32 v69, v55, v40
	v_dual_fmac_f32 v66, v50, v33 :: v_dual_fmac_f32 v67, v52, v35
	s_delay_alu instid0(VALU_DEP_4) | instskip(NEXT) | instid1(VALU_DEP_4)
	v_add_f32_e32 v27, v28, v27
	v_fma_f32 v31, v49, v33, -v32
	s_delay_alu instid0(VALU_DEP_4) | instskip(SKIP_1) | instid1(VALU_DEP_3)
	v_dual_fmac_f32 v68, v54, v37 :: v_dual_fmac_f32 v69, v56, v39
	v_mul_f32_e32 v2, v62, v2
	v_dual_fmac_f32 v70, v58, v41 :: v_dual_add_f32 v27, v27, v31
	v_mul_f32_e32 v31, v56, v40
	v_add_f32_e32 v29, v30, v64
	v_fmac_f32_e32 v71, v62, v1
	v_fma_f32 v1, v61, v1, -v2
	s_delay_alu instid0(VALU_DEP_4) | instskip(NEXT) | instid1(VALU_DEP_4)
	v_fma_f32 v31, v55, v39, -v31
	v_dual_add_f32 v28, v29, v65 :: v_dual_mul_f32 v29, v54, v38
	s_delay_alu instid0(VALU_DEP_1) | instskip(SKIP_1) | instid1(VALU_DEP_1)
	v_fma_f32 v29, v53, v37, -v29
	v_mul_f32_e32 v30, v52, v36
	v_fma_f32 v30, v51, v35, -v30
	s_delay_alu instid0(VALU_DEP_1) | instskip(NEXT) | instid1(VALU_DEP_1)
	v_add_f32_e32 v27, v27, v30
	v_dual_add_f32 v28, v28, v66 :: v_dual_add_f32 v27, v27, v29
	v_mul_f32_e32 v30, v58, v42
	s_delay_alu instid0(VALU_DEP_2) | instskip(NEXT) | instid1(VALU_DEP_3)
	v_add_f32_e32 v28, v28, v67
	v_add_f32_e32 v27, v27, v31
	s_delay_alu instid0(VALU_DEP_3) | instskip(NEXT) | instid1(VALU_DEP_1)
	v_fma_f32 v29, v57, v41, -v30
	v_add_f32_e32 v2, v27, v29
	s_delay_alu instid0(VALU_DEP_1) | instskip(NEXT) | instid1(VALU_DEP_1)
	v_dual_add_f32 v28, v28, v68 :: v_dual_add_f32 v1, v2, v1
	v_add_f32_e32 v28, v28, v69
	s_wait_loadcnt 0x0
	s_delay_alu instid0(VALU_DEP_2) | instskip(NEXT) | instid1(VALU_DEP_2)
	v_sub_f32_e32 v1, v59, v1
	v_add_f32_e32 v27, v28, v70
	s_delay_alu instid0(VALU_DEP_1) | instskip(NEXT) | instid1(VALU_DEP_1)
	v_add_f32_e32 v2, v27, v71
	v_sub_f32_e32 v2, v60, v2
	scratch_store_b64 off, v[1:2], off offset:8
	v_cmpx_ne_u32_e32 0, v0
	s_cbranch_execz .LBB74_79
; %bb.78:
	scratch_load_b64 v[0:1], off, off
	v_mov_b32_e32 v27, v26
	scratch_store_b64 off, v[26:27], off
	s_wait_loadcnt 0x0
	ds_store_b64 v3, v[0:1]
.LBB74_79:
	s_wait_alu 0xfffe
	s_or_b32 exec_lo, exec_lo, s0
	s_wait_storecnt_dscnt 0x0
	s_barrier_signal -1
	s_barrier_wait -1
	global_inv scope:SCOPE_SE
	s_clause 0x5
	scratch_load_b128 v[27:30], off, off offset:8
	scratch_load_b128 v[31:34], off, off offset:24
	;; [unrolled: 1-line block ×5, first 2 shown]
	scratch_load_b64 v[63:64], off, off
	ds_load_2addr_b64 v[43:46], v26 offset0:13 offset1:14
	ds_load_2addr_b64 v[47:50], v26 offset0:15 offset1:16
	;; [unrolled: 1-line block ×5, first 2 shown]
	s_and_b32 vcc_lo, exec_lo, s12
	s_wait_loadcnt_dscnt 0x504
	v_dual_mul_f32 v26, v43, v28 :: v_dual_mul_f32 v65, v45, v30
	v_mul_f32_e32 v28, v44, v28
	s_wait_loadcnt_dscnt 0x100
	v_dual_mul_f32 v30, v46, v30 :: v_dual_mul_f32 v73, v61, v3
	v_dual_mul_f32 v66, v47, v32 :: v_dual_mul_f32 v67, v49, v34
	s_delay_alu instid0(VALU_DEP_3) | instskip(SKIP_1) | instid1(VALU_DEP_4)
	v_fma_f32 v28, v43, v27, -v28
	v_dual_fmac_f32 v26, v44, v27 :: v_dual_fmac_f32 v65, v46, v29
	v_fma_f32 v29, v45, v29, -v30
	v_dual_mul_f32 v72, v59, v1 :: v_dual_mul_f32 v27, v48, v32
	s_delay_alu instid0(VALU_DEP_4) | instskip(SKIP_1) | instid1(VALU_DEP_3)
	v_dual_add_f32 v28, 0, v28 :: v_dual_fmac_f32 v67, v50, v33
	v_dual_mul_f32 v70, v55, v40 :: v_dual_mul_f32 v71, v57, v42
	v_fma_f32 v27, v47, v31, -v27
	s_delay_alu instid0(VALU_DEP_3) | instskip(SKIP_2) | instid1(VALU_DEP_3)
	v_add_f32_e32 v28, v28, v29
	v_dual_mul_f32 v29, v52, v36 :: v_dual_add_f32 v26, 0, v26
	v_dual_mul_f32 v68, v51, v36 :: v_dual_mul_f32 v69, v53, v38
	v_add_f32_e32 v27, v28, v27
	s_delay_alu instid0(VALU_DEP_3) | instskip(SKIP_4) | instid1(VALU_DEP_4)
	v_fma_f32 v29, v51, v35, -v29
	v_mul_f32_e32 v30, v50, v34
	v_mul_f32_e32 v28, v54, v38
	v_dual_fmac_f32 v71, v58, v41 :: v_dual_fmac_f32 v68, v52, v35
	v_fmac_f32_e32 v69, v54, v37
	v_fma_f32 v30, v49, v33, -v30
	v_fmac_f32_e32 v66, v48, v31
	v_fma_f32 v28, v53, v37, -v28
	v_dual_fmac_f32 v72, v60, v0 :: v_dual_fmac_f32 v73, v62, v2
	s_delay_alu instid0(VALU_DEP_4) | instskip(SKIP_1) | instid1(VALU_DEP_2)
	v_dual_add_f32 v27, v27, v30 :: v_dual_mul_f32 v30, v56, v40
	v_mul_f32_e32 v3, v62, v3
	v_add_f32_e32 v27, v27, v29
	v_add_f32_e32 v26, v26, v65
	v_mul_f32_e32 v29, v58, v42
	v_fma_f32 v30, v55, v39, -v30
	v_fma_f32 v2, v61, v2, -v3
	v_dual_add_f32 v27, v27, v28 :: v_dual_fmac_f32 v70, v56, v39
	v_mul_f32_e32 v28, v60, v1
	v_fma_f32 v29, v57, v41, -v29
	s_delay_alu instid0(VALU_DEP_3) | instskip(SKIP_1) | instid1(VALU_DEP_4)
	v_add_f32_e32 v27, v27, v30
	v_add_f32_e32 v26, v26, v66
	v_fma_f32 v28, v59, v0, -v28
	s_delay_alu instid0(VALU_DEP_2) | instskip(NEXT) | instid1(VALU_DEP_1)
	v_dual_add_f32 v27, v27, v29 :: v_dual_add_f32 v26, v26, v67
	v_add_f32_e32 v3, v27, v28
	s_delay_alu instid0(VALU_DEP_2) | instskip(NEXT) | instid1(VALU_DEP_1)
	v_add_f32_e32 v26, v26, v68
	v_add_f32_e32 v26, v26, v69
	s_delay_alu instid0(VALU_DEP_1) | instskip(NEXT) | instid1(VALU_DEP_1)
	v_add_f32_e32 v26, v26, v70
	v_add_f32_e32 v26, v26, v71
	s_delay_alu instid0(VALU_DEP_1) | instskip(NEXT) | instid1(VALU_DEP_1)
	v_add_f32_e32 v26, v26, v72
	v_dual_add_f32 v2, v3, v2 :: v_dual_add_f32 v3, v26, v73
	s_wait_loadcnt 0x0
	s_delay_alu instid0(VALU_DEP_1)
	v_dual_sub_f32 v2, v63, v2 :: v_dual_sub_f32 v3, v64, v3
	scratch_store_b64 off, v[2:3], off
	s_wait_alu 0xfffe
	s_cbranch_vccz .LBB74_100
; %bb.80:
	v_mov_b32_e32 v2, 0
	global_load_b32 v3, v2, s[2:3] offset:36
	s_wait_loadcnt 0x0
	v_cmp_ne_u32_e32 vcc_lo, 10, v3
	s_cbranch_vccz .LBB74_82
; %bb.81:
	v_lshlrev_b32_e32 v3, 3, v3
	scratch_load_b64 v[26:27], v3, off offset:-8
	s_wait_loadcnt 0x0
	scratch_store_b64 off, v[26:27], off offset:72
	scratch_store_b64 v3, v[0:1], off offset:-8
.LBB74_82:
	global_load_b32 v0, v2, s[2:3] offset:32
	s_wait_loadcnt 0x0
	v_cmp_eq_u32_e32 vcc_lo, 9, v0
	s_cbranch_vccnz .LBB74_84
; %bb.83:
	v_lshlrev_b32_e32 v0, 3, v0
	s_delay_alu instid0(VALU_DEP_1)
	v_mov_b32_e32 v26, v0
	scratch_load_b64 v[0:1], v26, off offset:-8
	scratch_load_b64 v[2:3], off, off offset:64
	s_wait_loadcnt 0x1
	scratch_store_b64 off, v[0:1], off offset:64
	s_wait_loadcnt 0x0
	scratch_store_b64 v26, v[2:3], off offset:-8
.LBB74_84:
	v_mov_b32_e32 v0, 0
	global_load_b32 v1, v0, s[2:3] offset:28
	s_wait_loadcnt 0x0
	v_cmp_eq_u32_e32 vcc_lo, 8, v1
	s_cbranch_vccnz .LBB74_86
; %bb.85:
	v_lshlrev_b32_e32 v1, 3, v1
	s_delay_alu instid0(VALU_DEP_1)
	v_mov_b32_e32 v3, v1
	scratch_load_b64 v[1:2], v3, off offset:-8
	scratch_load_b64 v[26:27], off, off offset:56
	s_wait_loadcnt 0x1
	scratch_store_b64 off, v[1:2], off offset:56
	s_wait_loadcnt 0x0
	scratch_store_b64 v3, v[26:27], off offset:-8
.LBB74_86:
	global_load_b32 v0, v0, s[2:3] offset:24
	s_wait_loadcnt 0x0
	v_cmp_eq_u32_e32 vcc_lo, 7, v0
	s_cbranch_vccnz .LBB74_88
; %bb.87:
	v_lshlrev_b32_e32 v0, 3, v0
	s_delay_alu instid0(VALU_DEP_1)
	v_mov_b32_e32 v26, v0
	scratch_load_b64 v[0:1], v26, off offset:-8
	scratch_load_b64 v[2:3], off, off offset:48
	s_wait_loadcnt 0x1
	scratch_store_b64 off, v[0:1], off offset:48
	s_wait_loadcnt 0x0
	scratch_store_b64 v26, v[2:3], off offset:-8
.LBB74_88:
	v_mov_b32_e32 v0, 0
	global_load_b32 v1, v0, s[2:3] offset:20
	s_wait_loadcnt 0x0
	v_cmp_eq_u32_e32 vcc_lo, 6, v1
	s_cbranch_vccnz .LBB74_90
; %bb.89:
	v_lshlrev_b32_e32 v1, 3, v1
	s_delay_alu instid0(VALU_DEP_1)
	v_mov_b32_e32 v3, v1
	scratch_load_b64 v[1:2], v3, off offset:-8
	scratch_load_b64 v[26:27], off, off offset:40
	s_wait_loadcnt 0x1
	scratch_store_b64 off, v[1:2], off offset:40
	s_wait_loadcnt 0x0
	scratch_store_b64 v3, v[26:27], off offset:-8
.LBB74_90:
	;; [unrolled: 31-line block ×4, first 2 shown]
	global_load_b32 v0, v0, s[2:3]
	s_wait_loadcnt 0x0
	v_cmp_eq_u32_e32 vcc_lo, 1, v0
	s_cbranch_vccnz .LBB74_100
; %bb.99:
	v_lshlrev_b32_e32 v0, 3, v0
	s_delay_alu instid0(VALU_DEP_1)
	v_mov_b32_e32 v26, v0
	scratch_load_b64 v[0:1], v26, off offset:-8
	scratch_load_b64 v[2:3], off, off
	s_wait_loadcnt 0x1
	scratch_store_b64 off, v[0:1], off
	s_wait_loadcnt 0x0
	scratch_store_b64 v26, v[2:3], off offset:-8
.LBB74_100:
	scratch_load_b64 v[0:1], off, off
	s_wait_loadcnt 0x0
	flat_store_b64 v[4:5], v[0:1]
	scratch_load_b64 v[0:1], off, off offset:8
	s_wait_loadcnt 0x0
	flat_store_b64 v[6:7], v[0:1]
	scratch_load_b64 v[0:1], off, off offset:16
	;; [unrolled: 3-line block ×10, first 2 shown]
	s_wait_loadcnt 0x0
	flat_store_b64 v[24:25], v[0:1]
	s_endpgm
	.section	.rodata,"a",@progbits
	.p2align	6, 0x0
	.amdhsa_kernel _ZN9rocsolver6v33100L18getri_kernel_smallILi11E19rocblas_complex_numIfEPKPS3_EEvT1_iilPiilS8_bb
		.amdhsa_group_segment_fixed_size 184
		.amdhsa_private_segment_fixed_size 96
		.amdhsa_kernarg_size 60
		.amdhsa_user_sgpr_count 2
		.amdhsa_user_sgpr_dispatch_ptr 0
		.amdhsa_user_sgpr_queue_ptr 0
		.amdhsa_user_sgpr_kernarg_segment_ptr 1
		.amdhsa_user_sgpr_dispatch_id 0
		.amdhsa_user_sgpr_private_segment_size 0
		.amdhsa_wavefront_size32 1
		.amdhsa_uses_dynamic_stack 0
		.amdhsa_enable_private_segment 1
		.amdhsa_system_sgpr_workgroup_id_x 1
		.amdhsa_system_sgpr_workgroup_id_y 0
		.amdhsa_system_sgpr_workgroup_id_z 0
		.amdhsa_system_sgpr_workgroup_info 0
		.amdhsa_system_vgpr_workitem_id 0
		.amdhsa_next_free_vgpr 74
		.amdhsa_next_free_sgpr 19
		.amdhsa_reserve_vcc 1
		.amdhsa_float_round_mode_32 0
		.amdhsa_float_round_mode_16_64 0
		.amdhsa_float_denorm_mode_32 3
		.amdhsa_float_denorm_mode_16_64 3
		.amdhsa_fp16_overflow 0
		.amdhsa_workgroup_processor_mode 1
		.amdhsa_memory_ordered 1
		.amdhsa_forward_progress 1
		.amdhsa_inst_pref_size 76
		.amdhsa_round_robin_scheduling 0
		.amdhsa_exception_fp_ieee_invalid_op 0
		.amdhsa_exception_fp_denorm_src 0
		.amdhsa_exception_fp_ieee_div_zero 0
		.amdhsa_exception_fp_ieee_overflow 0
		.amdhsa_exception_fp_ieee_underflow 0
		.amdhsa_exception_fp_ieee_inexact 0
		.amdhsa_exception_int_div_zero 0
	.end_amdhsa_kernel
	.section	.text._ZN9rocsolver6v33100L18getri_kernel_smallILi11E19rocblas_complex_numIfEPKPS3_EEvT1_iilPiilS8_bb,"axG",@progbits,_ZN9rocsolver6v33100L18getri_kernel_smallILi11E19rocblas_complex_numIfEPKPS3_EEvT1_iilPiilS8_bb,comdat
.Lfunc_end74:
	.size	_ZN9rocsolver6v33100L18getri_kernel_smallILi11E19rocblas_complex_numIfEPKPS3_EEvT1_iilPiilS8_bb, .Lfunc_end74-_ZN9rocsolver6v33100L18getri_kernel_smallILi11E19rocblas_complex_numIfEPKPS3_EEvT1_iilPiilS8_bb
                                        ; -- End function
	.set _ZN9rocsolver6v33100L18getri_kernel_smallILi11E19rocblas_complex_numIfEPKPS3_EEvT1_iilPiilS8_bb.num_vgpr, 74
	.set _ZN9rocsolver6v33100L18getri_kernel_smallILi11E19rocblas_complex_numIfEPKPS3_EEvT1_iilPiilS8_bb.num_agpr, 0
	.set _ZN9rocsolver6v33100L18getri_kernel_smallILi11E19rocblas_complex_numIfEPKPS3_EEvT1_iilPiilS8_bb.numbered_sgpr, 19
	.set _ZN9rocsolver6v33100L18getri_kernel_smallILi11E19rocblas_complex_numIfEPKPS3_EEvT1_iilPiilS8_bb.num_named_barrier, 0
	.set _ZN9rocsolver6v33100L18getri_kernel_smallILi11E19rocblas_complex_numIfEPKPS3_EEvT1_iilPiilS8_bb.private_seg_size, 96
	.set _ZN9rocsolver6v33100L18getri_kernel_smallILi11E19rocblas_complex_numIfEPKPS3_EEvT1_iilPiilS8_bb.uses_vcc, 1
	.set _ZN9rocsolver6v33100L18getri_kernel_smallILi11E19rocblas_complex_numIfEPKPS3_EEvT1_iilPiilS8_bb.uses_flat_scratch, 1
	.set _ZN9rocsolver6v33100L18getri_kernel_smallILi11E19rocblas_complex_numIfEPKPS3_EEvT1_iilPiilS8_bb.has_dyn_sized_stack, 0
	.set _ZN9rocsolver6v33100L18getri_kernel_smallILi11E19rocblas_complex_numIfEPKPS3_EEvT1_iilPiilS8_bb.has_recursion, 0
	.set _ZN9rocsolver6v33100L18getri_kernel_smallILi11E19rocblas_complex_numIfEPKPS3_EEvT1_iilPiilS8_bb.has_indirect_call, 0
	.section	.AMDGPU.csdata,"",@progbits
; Kernel info:
; codeLenInByte = 9620
; TotalNumSgprs: 21
; NumVgprs: 74
; ScratchSize: 96
; MemoryBound: 0
; FloatMode: 240
; IeeeMode: 1
; LDSByteSize: 184 bytes/workgroup (compile time only)
; SGPRBlocks: 0
; VGPRBlocks: 9
; NumSGPRsForWavesPerEU: 21
; NumVGPRsForWavesPerEU: 74
; Occupancy: 16
; WaveLimiterHint : 1
; COMPUTE_PGM_RSRC2:SCRATCH_EN: 1
; COMPUTE_PGM_RSRC2:USER_SGPR: 2
; COMPUTE_PGM_RSRC2:TRAP_HANDLER: 0
; COMPUTE_PGM_RSRC2:TGID_X_EN: 1
; COMPUTE_PGM_RSRC2:TGID_Y_EN: 0
; COMPUTE_PGM_RSRC2:TGID_Z_EN: 0
; COMPUTE_PGM_RSRC2:TIDIG_COMP_CNT: 0
	.section	.text._ZN9rocsolver6v33100L18getri_kernel_smallILi12E19rocblas_complex_numIfEPKPS3_EEvT1_iilPiilS8_bb,"axG",@progbits,_ZN9rocsolver6v33100L18getri_kernel_smallILi12E19rocblas_complex_numIfEPKPS3_EEvT1_iilPiilS8_bb,comdat
	.globl	_ZN9rocsolver6v33100L18getri_kernel_smallILi12E19rocblas_complex_numIfEPKPS3_EEvT1_iilPiilS8_bb ; -- Begin function _ZN9rocsolver6v33100L18getri_kernel_smallILi12E19rocblas_complex_numIfEPKPS3_EEvT1_iilPiilS8_bb
	.p2align	8
	.type	_ZN9rocsolver6v33100L18getri_kernel_smallILi12E19rocblas_complex_numIfEPKPS3_EEvT1_iilPiilS8_bb,@function
_ZN9rocsolver6v33100L18getri_kernel_smallILi12E19rocblas_complex_numIfEPKPS3_EEvT1_iilPiilS8_bb: ; @_ZN9rocsolver6v33100L18getri_kernel_smallILi12E19rocblas_complex_numIfEPKPS3_EEvT1_iilPiilS8_bb
; %bb.0:
	s_mov_b32 s2, exec_lo
	v_cmpx_gt_u32_e32 12, v0
	s_cbranch_execz .LBB75_62
; %bb.1:
	s_clause 0x1
	s_load_b32 s13, s[0:1], 0x38
	s_load_b64 s[2:3], s[0:1], 0x0
	s_mov_b32 s8, ttmp9
	s_load_b128 s[4:7], s[0:1], 0x28
	s_wait_kmcnt 0x0
	s_bitcmp1_b32 s13, 8
	s_cselect_b32 s12, -1, 0
	s_ashr_i32 s9, ttmp9, 31
	s_delay_alu instid0(SALU_CYCLE_1) | instskip(NEXT) | instid1(SALU_CYCLE_1)
	s_lshl_b64 s[10:11], s[8:9], 3
	s_add_nc_u64 s[2:3], s[2:3], s[10:11]
	s_load_b64 s[10:11], s[2:3], 0x0
	s_bfe_u32 s2, s13, 0x10008
	s_delay_alu instid0(SALU_CYCLE_1)
	s_cmp_eq_u32 s2, 0
                                        ; implicit-def: $sgpr2_sgpr3
	s_cbranch_scc1 .LBB75_3
; %bb.2:
	s_load_b96 s[16:18], s[0:1], 0x18
	s_mul_u64 s[2:3], s[4:5], s[8:9]
	s_delay_alu instid0(SALU_CYCLE_1)
	s_lshl_b64 s[2:3], s[2:3], 2
	s_wait_kmcnt 0x0
	s_ashr_i32 s5, s18, 31
	s_mov_b32 s4, s18
	s_add_nc_u64 s[2:3], s[16:17], s[2:3]
	s_lshl_b64 s[4:5], s[4:5], 2
	s_delay_alu instid0(SALU_CYCLE_1)
	s_add_nc_u64 s[2:3], s[2:3], s[4:5]
.LBB75_3:
	s_clause 0x1
	s_load_b64 s[4:5], s[0:1], 0x8
	s_load_b32 s13, s[0:1], 0x38
	v_lshlrev_b32_e32 v3, 3, v0
	s_wait_kmcnt 0x0
	s_ashr_i32 s1, s4, 31
	s_mov_b32 s0, s4
	v_add3_u32 v10, s5, s5, v0
	s_lshl_b64 s[0:1], s[0:1], 3
	s_delay_alu instid0(SALU_CYCLE_1)
	s_add_nc_u64 s[0:1], s[10:11], s[0:1]
	s_ashr_i32 s11, s5, 31
	v_add_co_u32 v4, s4, s0, v3
	s_wait_alu 0xf1ff
	v_add_co_ci_u32_e64 v5, null, s1, 0, s4
	s_mov_b32 s10, s5
	v_ashrrev_i32_e32 v11, 31, v10
	s_lshl_b64 s[10:11], s[10:11], 3
	flat_load_b64 v[1:2], v[4:5]
	v_add_co_u32 v6, vcc_lo, v4, s10
	s_delay_alu instid0(VALU_DEP_1) | instskip(SKIP_3) | instid1(VALU_DEP_2)
	v_add_co_ci_u32_e64 v7, null, s11, v5, vcc_lo
	v_lshlrev_b64_e32 v[8:9], 3, v[10:11]
	v_add_nc_u32_e32 v12, s5, v10
	s_bitcmp0_b32 s13, 0
	v_add_co_u32 v8, vcc_lo, s0, v8
	s_wait_alu 0xfffd
	s_delay_alu instid0(VALU_DEP_3) | instskip(SKIP_2) | instid1(VALU_DEP_2)
	v_add_co_ci_u32_e64 v9, null, s1, v9, vcc_lo
	v_ashrrev_i32_e32 v13, 31, v12
	v_add_nc_u32_e32 v14, s5, v12
	v_lshlrev_b64_e32 v[10:11], 3, v[12:13]
	s_delay_alu instid0(VALU_DEP_2) | instskip(SKIP_1) | instid1(VALU_DEP_3)
	v_ashrrev_i32_e32 v15, 31, v14
	v_add_nc_u32_e32 v16, s5, v14
	v_add_co_u32 v10, vcc_lo, s0, v10
	s_wait_alu 0xfffd
	s_delay_alu instid0(VALU_DEP_4) | instskip(SKIP_3) | instid1(VALU_DEP_3)
	v_add_co_ci_u32_e64 v11, null, s1, v11, vcc_lo
	v_lshlrev_b64_e32 v[12:13], 3, v[14:15]
	v_ashrrev_i32_e32 v17, 31, v16
	v_add_nc_u32_e32 v18, s5, v16
	v_add_co_u32 v12, vcc_lo, s0, v12
	s_wait_alu 0xfffd
	s_delay_alu instid0(VALU_DEP_4) | instskip(SKIP_3) | instid1(VALU_DEP_3)
	v_add_co_ci_u32_e64 v13, null, s1, v13, vcc_lo
	v_lshlrev_b64_e32 v[14:15], 3, v[16:17]
	;; [unrolled: 7-line block ×5, first 2 shown]
	v_ashrrev_i32_e32 v25, 31, v24
	v_add_nc_u32_e32 v26, s5, v24
	v_add_co_u32 v20, vcc_lo, s0, v20
	s_wait_alu 0xfffd
	s_delay_alu instid0(VALU_DEP_4) | instskip(SKIP_2) | instid1(VALU_DEP_2)
	v_add_co_ci_u32_e64 v21, null, s1, v21, vcc_lo
	v_lshlrev_b64_e32 v[22:23], 3, v[24:25]
	v_ashrrev_i32_e32 v27, 31, v26
	v_add_co_u32 v22, vcc_lo, s0, v22
	s_wait_alu 0xfffd
	s_delay_alu instid0(VALU_DEP_3) | instskip(NEXT) | instid1(VALU_DEP_3)
	v_add_co_ci_u32_e64 v23, null, s1, v23, vcc_lo
	v_lshlrev_b64_e32 v[24:25], 3, v[26:27]
	v_add_nc_u32_e32 v26, s5, v26
	s_delay_alu instid0(VALU_DEP_2) | instskip(SKIP_1) | instid1(VALU_DEP_3)
	v_add_co_u32 v24, vcc_lo, s0, v24
	s_wait_alu 0xfffd
	v_add_co_ci_u32_e64 v25, null, s1, v25, vcc_lo
	s_delay_alu instid0(VALU_DEP_3) | instskip(NEXT) | instid1(VALU_DEP_1)
	v_ashrrev_i32_e32 v27, 31, v26
	v_lshlrev_b64_e32 v[26:27], 3, v[26:27]
	s_delay_alu instid0(VALU_DEP_1) | instskip(SKIP_1) | instid1(VALU_DEP_2)
	v_add_co_u32 v26, vcc_lo, s0, v26
	s_wait_alu 0xfffd
	v_add_co_ci_u32_e64 v27, null, s1, v27, vcc_lo
	s_mov_b32 s1, -1
	s_wait_loadcnt_dscnt 0x0
	scratch_store_b64 off, v[1:2], off
	flat_load_b64 v[1:2], v[6:7]
	s_wait_loadcnt_dscnt 0x0
	scratch_store_b64 off, v[1:2], off offset:8
	flat_load_b64 v[1:2], v[8:9]
	s_wait_loadcnt_dscnt 0x0
	scratch_store_b64 off, v[1:2], off offset:16
	;; [unrolled: 3-line block ×11, first 2 shown]
	s_cbranch_scc1 .LBB75_60
; %bb.4:
	v_cmp_eq_u32_e64 s0, 0, v0
	s_and_saveexec_b32 s1, s0
; %bb.5:
	v_mov_b32_e32 v1, 0
	ds_store_b32 v1, v1 offset:192
; %bb.6:
	s_wait_alu 0xfffe
	s_or_b32 exec_lo, exec_lo, s1
	s_wait_storecnt_dscnt 0x0
	s_barrier_signal -1
	s_barrier_wait -1
	global_inv scope:SCOPE_SE
	scratch_load_b64 v[1:2], v3, off
	s_wait_loadcnt 0x0
	v_cmp_eq_f32_e32 vcc_lo, 0, v1
	v_cmp_eq_f32_e64 s1, 0, v2
	s_and_b32 s1, vcc_lo, s1
	s_wait_alu 0xfffe
	s_and_saveexec_b32 s4, s1
	s_cbranch_execz .LBB75_10
; %bb.7:
	v_mov_b32_e32 v1, 0
	s_mov_b32 s5, 0
	ds_load_b32 v2, v1 offset:192
	s_wait_dscnt 0x0
	v_readfirstlane_b32 s1, v2
	v_add_nc_u32_e32 v2, 1, v0
	s_cmp_eq_u32 s1, 0
	s_delay_alu instid0(VALU_DEP_1)
	v_cmp_gt_i32_e32 vcc_lo, s1, v2
	s_cselect_b32 s10, -1, 0
	s_wait_alu 0xfffe
	s_or_b32 s10, s10, vcc_lo
	s_wait_alu 0xfffe
	s_and_b32 exec_lo, exec_lo, s10
	s_cbranch_execz .LBB75_10
; %bb.8:
	v_mov_b32_e32 v28, s1
.LBB75_9:                               ; =>This Inner Loop Header: Depth=1
	ds_cmpstore_rtn_b32 v28, v1, v2, v28 offset:192
	s_wait_dscnt 0x0
	v_cmp_ne_u32_e32 vcc_lo, 0, v28
	v_cmp_le_i32_e64 s1, v28, v2
	s_and_b32 s1, vcc_lo, s1
	s_wait_alu 0xfffe
	s_and_b32 s1, exec_lo, s1
	s_wait_alu 0xfffe
	s_or_b32 s5, s1, s5
	s_wait_alu 0xfffe
	s_and_not1_b32 exec_lo, exec_lo, s5
	s_cbranch_execnz .LBB75_9
.LBB75_10:
	s_wait_alu 0xfffe
	s_or_b32 exec_lo, exec_lo, s4
	v_mov_b32_e32 v1, 0
	s_barrier_signal -1
	s_barrier_wait -1
	global_inv scope:SCOPE_SE
	ds_load_b32 v2, v1 offset:192
	s_and_saveexec_b32 s1, s0
	s_cbranch_execz .LBB75_12
; %bb.11:
	s_lshl_b64 s[4:5], s[8:9], 2
	s_wait_alu 0xfffe
	s_add_nc_u64 s[4:5], s[6:7], s[4:5]
	s_wait_dscnt 0x0
	global_store_b32 v1, v2, s[4:5]
.LBB75_12:
	s_wait_alu 0xfffe
	s_or_b32 exec_lo, exec_lo, s1
	s_wait_dscnt 0x0
	v_cmp_ne_u32_e32 vcc_lo, 0, v2
	s_mov_b32 s1, 0
	s_cbranch_vccnz .LBB75_60
; %bb.13:
	v_mov_b32_e32 v32, v3
                                        ; implicit-def: $vgpr28
                                        ; implicit-def: $vgpr30
	scratch_load_b64 v[1:2], v32, off
	s_wait_loadcnt 0x0
	v_cmp_ngt_f32_e64 s1, |v1|, |v2|
	s_wait_alu 0xfffe
	s_and_saveexec_b32 s4, s1
	s_wait_alu 0xfffe
	s_xor_b32 s1, exec_lo, s4
	s_cbranch_execz .LBB75_15
; %bb.14:
	v_div_scale_f32 v28, null, v2, v2, v1
	v_div_scale_f32 v31, vcc_lo, v1, v2, v1
	s_delay_alu instid0(VALU_DEP_2) | instskip(NEXT) | instid1(TRANS32_DEP_1)
	v_rcp_f32_e32 v29, v28
	v_fma_f32 v30, -v28, v29, 1.0
	s_delay_alu instid0(VALU_DEP_1) | instskip(NEXT) | instid1(VALU_DEP_1)
	v_fmac_f32_e32 v29, v30, v29
	v_mul_f32_e32 v30, v31, v29
	s_delay_alu instid0(VALU_DEP_1) | instskip(NEXT) | instid1(VALU_DEP_1)
	v_fma_f32 v33, -v28, v30, v31
	v_fmac_f32_e32 v30, v33, v29
	s_delay_alu instid0(VALU_DEP_1) | instskip(SKIP_1) | instid1(VALU_DEP_1)
	v_fma_f32 v28, -v28, v30, v31
	s_wait_alu 0xfffd
	v_div_fmas_f32 v28, v28, v29, v30
	s_delay_alu instid0(VALU_DEP_1) | instskip(NEXT) | instid1(VALU_DEP_1)
	v_div_fixup_f32 v28, v28, v2, v1
	v_fmac_f32_e32 v2, v1, v28
	s_delay_alu instid0(VALU_DEP_1) | instskip(NEXT) | instid1(VALU_DEP_1)
	v_div_scale_f32 v1, null, v2, v2, 1.0
	v_rcp_f32_e32 v29, v1
	s_delay_alu instid0(TRANS32_DEP_1) | instskip(NEXT) | instid1(VALU_DEP_1)
	v_fma_f32 v30, -v1, v29, 1.0
	v_fmac_f32_e32 v29, v30, v29
	v_div_scale_f32 v30, vcc_lo, 1.0, v2, 1.0
	s_delay_alu instid0(VALU_DEP_1) | instskip(NEXT) | instid1(VALU_DEP_1)
	v_mul_f32_e32 v31, v30, v29
	v_fma_f32 v33, -v1, v31, v30
	s_delay_alu instid0(VALU_DEP_1) | instskip(NEXT) | instid1(VALU_DEP_1)
	v_fmac_f32_e32 v31, v33, v29
	v_fma_f32 v1, -v1, v31, v30
	s_wait_alu 0xfffd
	s_delay_alu instid0(VALU_DEP_1) | instskip(NEXT) | instid1(VALU_DEP_1)
	v_div_fmas_f32 v1, v1, v29, v31
	v_div_fixup_f32 v1, v1, v2, 1.0
	s_delay_alu instid0(VALU_DEP_1) | instskip(SKIP_1) | instid1(VALU_DEP_2)
	v_mul_f32_e32 v28, v28, v1
	v_xor_b32_e32 v29, 0x80000000, v1
                                        ; implicit-def: $vgpr1_vgpr2
	v_xor_b32_e32 v30, 0x80000000, v28
.LBB75_15:
	s_wait_alu 0xfffe
	s_and_not1_saveexec_b32 s1, s1
	s_cbranch_execz .LBB75_17
; %bb.16:
	v_div_scale_f32 v28, null, v1, v1, v2
	v_div_scale_f32 v31, vcc_lo, v2, v1, v2
	s_delay_alu instid0(VALU_DEP_2) | instskip(NEXT) | instid1(TRANS32_DEP_1)
	v_rcp_f32_e32 v29, v28
	v_fma_f32 v30, -v28, v29, 1.0
	s_delay_alu instid0(VALU_DEP_1) | instskip(NEXT) | instid1(VALU_DEP_1)
	v_fmac_f32_e32 v29, v30, v29
	v_mul_f32_e32 v30, v31, v29
	s_delay_alu instid0(VALU_DEP_1) | instskip(NEXT) | instid1(VALU_DEP_1)
	v_fma_f32 v33, -v28, v30, v31
	v_fmac_f32_e32 v30, v33, v29
	s_delay_alu instid0(VALU_DEP_1) | instskip(SKIP_1) | instid1(VALU_DEP_1)
	v_fma_f32 v28, -v28, v30, v31
	s_wait_alu 0xfffd
	v_div_fmas_f32 v28, v28, v29, v30
	s_delay_alu instid0(VALU_DEP_1) | instskip(NEXT) | instid1(VALU_DEP_1)
	v_div_fixup_f32 v29, v28, v1, v2
	v_fmac_f32_e32 v1, v2, v29
	s_delay_alu instid0(VALU_DEP_1) | instskip(SKIP_1) | instid1(VALU_DEP_2)
	v_div_scale_f32 v2, null, v1, v1, 1.0
	v_div_scale_f32 v31, vcc_lo, 1.0, v1, 1.0
	v_rcp_f32_e32 v28, v2
	s_delay_alu instid0(TRANS32_DEP_1) | instskip(NEXT) | instid1(VALU_DEP_1)
	v_fma_f32 v30, -v2, v28, 1.0
	v_fmac_f32_e32 v28, v30, v28
	s_delay_alu instid0(VALU_DEP_1) | instskip(NEXT) | instid1(VALU_DEP_1)
	v_mul_f32_e32 v30, v31, v28
	v_fma_f32 v33, -v2, v30, v31
	s_delay_alu instid0(VALU_DEP_1) | instskip(NEXT) | instid1(VALU_DEP_1)
	v_fmac_f32_e32 v30, v33, v28
	v_fma_f32 v2, -v2, v30, v31
	s_wait_alu 0xfffd
	s_delay_alu instid0(VALU_DEP_1) | instskip(NEXT) | instid1(VALU_DEP_1)
	v_div_fmas_f32 v2, v2, v28, v30
	v_div_fixup_f32 v28, v2, v1, 1.0
	s_delay_alu instid0(VALU_DEP_1)
	v_xor_b32_e32 v30, 0x80000000, v28
	v_mul_f32_e64 v29, v29, -v28
.LBB75_17:
	s_wait_alu 0xfffe
	s_or_b32 exec_lo, exec_lo, s1
	scratch_store_b64 v32, v[28:29], off
	scratch_load_b64 v[33:34], off, off offset:8
	v_xor_b32_e32 v31, 0x80000000, v29
	v_add_nc_u32_e32 v1, 0x60, v3
	s_wait_loadcnt 0x0
	ds_store_2addr_b64 v3, v[30:31], v[33:34] offset1:12
	s_wait_storecnt_dscnt 0x0
	s_barrier_signal -1
	s_barrier_wait -1
	global_inv scope:SCOPE_SE
	s_and_saveexec_b32 s1, s0
	s_cbranch_execz .LBB75_19
; %bb.18:
	scratch_load_b64 v[28:29], v32, off
	ds_load_b64 v[30:31], v1
	v_mov_b32_e32 v2, 0
	ds_load_b64 v[33:34], v2 offset:8
	s_wait_loadcnt_dscnt 0x1
	v_mul_f32_e32 v2, v30, v29
	v_mul_f32_e32 v29, v31, v29
	s_delay_alu instid0(VALU_DEP_2) | instskip(NEXT) | instid1(VALU_DEP_2)
	v_fmac_f32_e32 v2, v31, v28
	v_fma_f32 v28, v30, v28, -v29
	s_delay_alu instid0(VALU_DEP_2) | instskip(NEXT) | instid1(VALU_DEP_2)
	v_add_f32_e32 v2, 0, v2
	v_add_f32_e32 v28, 0, v28
	s_wait_dscnt 0x0
	s_delay_alu instid0(VALU_DEP_2) | instskip(NEXT) | instid1(VALU_DEP_2)
	v_mul_f32_e32 v30, v2, v34
	v_mul_f32_e32 v29, v28, v34
	s_delay_alu instid0(VALU_DEP_1) | instskip(NEXT) | instid1(VALU_DEP_3)
	v_fmac_f32_e32 v29, v2, v33
	v_fma_f32 v28, v28, v33, -v30
	scratch_store_b64 off, v[28:29], off offset:8
.LBB75_19:
	s_wait_alu 0xfffe
	s_or_b32 exec_lo, exec_lo, s1
	s_wait_loadcnt 0x0
	s_wait_storecnt 0x0
	s_barrier_signal -1
	s_barrier_wait -1
	global_inv scope:SCOPE_SE
	scratch_load_b64 v[28:29], off, off offset:16
	s_mov_b32 s1, exec_lo
	s_wait_loadcnt 0x0
	ds_store_b64 v1, v[28:29]
	s_wait_dscnt 0x0
	s_barrier_signal -1
	s_barrier_wait -1
	global_inv scope:SCOPE_SE
	v_cmpx_gt_u32_e32 2, v0
	s_cbranch_execz .LBB75_23
; %bb.20:
	scratch_load_b64 v[28:29], v32, off
	ds_load_b64 v[30:31], v1
	s_wait_loadcnt_dscnt 0x0
	v_mul_f32_e32 v2, v31, v29
	s_delay_alu instid0(VALU_DEP_1) | instskip(SKIP_1) | instid1(VALU_DEP_1)
	v_fma_f32 v2, v30, v28, -v2
	v_mul_f32_e32 v29, v30, v29
	v_dual_fmac_f32 v29, v31, v28 :: v_dual_add_f32 v28, 0, v2
	s_delay_alu instid0(VALU_DEP_1)
	v_add_f32_e32 v2, 0, v29
	s_and_saveexec_b32 s4, s0
	s_cbranch_execz .LBB75_22
; %bb.21:
	scratch_load_b64 v[29:30], off, off offset:8
	v_mov_b32_e32 v31, 0
	ds_load_b64 v[33:34], v31 offset:104
	s_wait_loadcnt_dscnt 0x0
	v_mul_f32_e32 v31, v33, v30
	v_mul_f32_e32 v30, v34, v30
	s_delay_alu instid0(VALU_DEP_2) | instskip(NEXT) | instid1(VALU_DEP_2)
	v_fmac_f32_e32 v31, v34, v29
	v_fma_f32 v29, v33, v29, -v30
	s_delay_alu instid0(VALU_DEP_2) | instskip(NEXT) | instid1(VALU_DEP_2)
	v_add_f32_e32 v2, v2, v31
	v_add_f32_e32 v28, v28, v29
.LBB75_22:
	s_wait_alu 0xfffe
	s_or_b32 exec_lo, exec_lo, s4
	v_mov_b32_e32 v29, 0
	ds_load_b64 v[29:30], v29 offset:16
	s_wait_dscnt 0x0
	v_mul_f32_e32 v33, v2, v30
	v_mul_f32_e32 v31, v28, v30
	s_delay_alu instid0(VALU_DEP_2) | instskip(NEXT) | instid1(VALU_DEP_2)
	v_fma_f32 v30, v28, v29, -v33
	v_fmac_f32_e32 v31, v2, v29
	scratch_store_b64 off, v[30:31], off offset:16
.LBB75_23:
	s_wait_alu 0xfffe
	s_or_b32 exec_lo, exec_lo, s1
	s_wait_loadcnt 0x0
	s_wait_storecnt 0x0
	s_barrier_signal -1
	s_barrier_wait -1
	global_inv scope:SCOPE_SE
	scratch_load_b64 v[28:29], off, off offset:24
	v_add_nc_u32_e32 v2, -1, v0
	s_mov_b32 s0, exec_lo
	s_wait_loadcnt 0x0
	ds_store_b64 v1, v[28:29]
	s_wait_dscnt 0x0
	s_barrier_signal -1
	s_barrier_wait -1
	global_inv scope:SCOPE_SE
	v_cmpx_gt_u32_e32 3, v0
	s_cbranch_execz .LBB75_27
; %bb.24:
	v_dual_mov_b32 v28, 0 :: v_dual_add_nc_u32 v29, -1, v0
	v_dual_mov_b32 v31, v3 :: v_dual_add_nc_u32 v30, 0x60, v3
	v_mov_b32_e32 v33, 0
	s_mov_b32 s1, 0
.LBB75_25:                              ; =>This Inner Loop Header: Depth=1
	scratch_load_b64 v[34:35], v31, off
	ds_load_b64 v[36:37], v30
	v_add_nc_u32_e32 v31, 8, v31
	v_add_nc_u32_e32 v29, 1, v29
	v_add_nc_u32_e32 v30, 8, v30
	s_delay_alu instid0(VALU_DEP_2)
	v_cmp_lt_u32_e32 vcc_lo, 1, v29
	s_wait_alu 0xfffe
	s_or_b32 s1, vcc_lo, s1
	s_wait_loadcnt_dscnt 0x0
	v_mul_f32_e32 v38, v37, v35
	v_mul_f32_e32 v35, v36, v35
	s_delay_alu instid0(VALU_DEP_2) | instskip(NEXT) | instid1(VALU_DEP_2)
	v_fma_f32 v36, v36, v34, -v38
	v_fmac_f32_e32 v35, v37, v34
	s_delay_alu instid0(VALU_DEP_1)
	v_dual_add_f32 v33, v33, v36 :: v_dual_add_f32 v28, v28, v35
	s_wait_alu 0xfffe
	s_and_not1_b32 exec_lo, exec_lo, s1
	s_cbranch_execnz .LBB75_25
; %bb.26:
	s_or_b32 exec_lo, exec_lo, s1
	v_mov_b32_e32 v29, 0
	ds_load_b64 v[29:30], v29 offset:24
	s_wait_dscnt 0x0
	v_mul_f32_e32 v34, v28, v30
	v_mul_f32_e32 v31, v33, v30
	s_delay_alu instid0(VALU_DEP_2) | instskip(NEXT) | instid1(VALU_DEP_2)
	v_fma_f32 v30, v33, v29, -v34
	v_fmac_f32_e32 v31, v28, v29
	scratch_store_b64 off, v[30:31], off offset:24
.LBB75_27:
	s_wait_alu 0xfffe
	s_or_b32 exec_lo, exec_lo, s0
	s_wait_loadcnt 0x0
	s_wait_storecnt 0x0
	s_barrier_signal -1
	s_barrier_wait -1
	global_inv scope:SCOPE_SE
	scratch_load_b64 v[28:29], off, off offset:32
	s_mov_b32 s0, exec_lo
	s_wait_loadcnt 0x0
	ds_store_b64 v1, v[28:29]
	s_wait_dscnt 0x0
	s_barrier_signal -1
	s_barrier_wait -1
	global_inv scope:SCOPE_SE
	v_cmpx_gt_u32_e32 4, v0
	s_cbranch_execz .LBB75_31
; %bb.28:
	v_dual_mov_b32 v28, 0 :: v_dual_add_nc_u32 v29, -1, v0
	v_dual_mov_b32 v31, v3 :: v_dual_add_nc_u32 v30, 0x60, v3
	v_mov_b32_e32 v33, 0
	s_mov_b32 s1, 0
.LBB75_29:                              ; =>This Inner Loop Header: Depth=1
	scratch_load_b64 v[34:35], v31, off
	ds_load_b64 v[36:37], v30
	v_add_nc_u32_e32 v31, 8, v31
	v_add_nc_u32_e32 v29, 1, v29
	v_add_nc_u32_e32 v30, 8, v30
	s_delay_alu instid0(VALU_DEP_2)
	v_cmp_lt_u32_e32 vcc_lo, 2, v29
	s_wait_alu 0xfffe
	s_or_b32 s1, vcc_lo, s1
	s_wait_loadcnt_dscnt 0x0
	v_mul_f32_e32 v38, v37, v35
	v_mul_f32_e32 v35, v36, v35
	s_delay_alu instid0(VALU_DEP_2) | instskip(NEXT) | instid1(VALU_DEP_2)
	v_fma_f32 v36, v36, v34, -v38
	v_fmac_f32_e32 v35, v37, v34
	s_delay_alu instid0(VALU_DEP_1)
	v_dual_add_f32 v33, v33, v36 :: v_dual_add_f32 v28, v28, v35
	s_wait_alu 0xfffe
	s_and_not1_b32 exec_lo, exec_lo, s1
	s_cbranch_execnz .LBB75_29
; %bb.30:
	s_or_b32 exec_lo, exec_lo, s1
	v_mov_b32_e32 v29, 0
	ds_load_b64 v[29:30], v29 offset:32
	s_wait_dscnt 0x0
	v_mul_f32_e32 v34, v28, v30
	v_mul_f32_e32 v31, v33, v30
	s_delay_alu instid0(VALU_DEP_2) | instskip(NEXT) | instid1(VALU_DEP_2)
	v_fma_f32 v30, v33, v29, -v34
	v_fmac_f32_e32 v31, v28, v29
	scratch_store_b64 off, v[30:31], off offset:32
.LBB75_31:
	s_wait_alu 0xfffe
	s_or_b32 exec_lo, exec_lo, s0
	s_wait_loadcnt 0x0
	s_wait_storecnt 0x0
	s_barrier_signal -1
	s_barrier_wait -1
	global_inv scope:SCOPE_SE
	scratch_load_b64 v[28:29], off, off offset:40
	;; [unrolled: 55-line block ×7, first 2 shown]
	s_mov_b32 s0, exec_lo
	s_wait_loadcnt 0x0
	ds_store_b64 v1, v[28:29]
	s_wait_dscnt 0x0
	s_barrier_signal -1
	s_barrier_wait -1
	global_inv scope:SCOPE_SE
	v_cmpx_gt_u32_e32 10, v0
	s_cbranch_execz .LBB75_55
; %bb.52:
	v_add_nc_u32_e32 v28, -1, v0
	v_dual_mov_b32 v30, v3 :: v_dual_add_nc_u32 v29, 0x60, v3
	v_mov_b32_e32 v3, 0
	v_mov_b32_e32 v31, 0
	s_mov_b32 s1, 0
.LBB75_53:                              ; =>This Inner Loop Header: Depth=1
	scratch_load_b64 v[33:34], v30, off
	ds_load_b64 v[35:36], v29
	v_add_nc_u32_e32 v30, 8, v30
	v_add_nc_u32_e32 v28, 1, v28
	v_add_nc_u32_e32 v29, 8, v29
	s_delay_alu instid0(VALU_DEP_2)
	v_cmp_lt_u32_e32 vcc_lo, 8, v28
	s_wait_alu 0xfffe
	s_or_b32 s1, vcc_lo, s1
	s_wait_loadcnt_dscnt 0x0
	v_mul_f32_e32 v37, v36, v34
	v_mul_f32_e32 v34, v35, v34
	s_delay_alu instid0(VALU_DEP_2) | instskip(NEXT) | instid1(VALU_DEP_1)
	v_fma_f32 v35, v35, v33, -v37
	v_dual_fmac_f32 v34, v36, v33 :: v_dual_add_f32 v31, v31, v35
	s_delay_alu instid0(VALU_DEP_1)
	v_add_f32_e32 v3, v3, v34
	s_wait_alu 0xfffe
	s_and_not1_b32 exec_lo, exec_lo, s1
	s_cbranch_execnz .LBB75_53
; %bb.54:
	s_or_b32 exec_lo, exec_lo, s1
	v_mov_b32_e32 v28, 0
	ds_load_b64 v[28:29], v28 offset:80
	s_wait_dscnt 0x0
	v_mul_f32_e32 v33, v3, v29
	v_mul_f32_e32 v30, v31, v29
	s_delay_alu instid0(VALU_DEP_2) | instskip(NEXT) | instid1(VALU_DEP_2)
	v_fma_f32 v29, v31, v28, -v33
	v_fmac_f32_e32 v30, v3, v28
	scratch_store_b64 off, v[29:30], off offset:80
.LBB75_55:
	s_wait_alu 0xfffe
	s_or_b32 exec_lo, exec_lo, s0
	s_wait_loadcnt 0x0
	s_wait_storecnt 0x0
	s_barrier_signal -1
	s_barrier_wait -1
	global_inv scope:SCOPE_SE
	scratch_load_b64 v[28:29], off, off offset:88
	s_mov_b32 s0, exec_lo
	s_wait_loadcnt 0x0
	ds_store_b64 v1, v[28:29]
	s_wait_dscnt 0x0
	s_barrier_signal -1
	s_barrier_wait -1
	global_inv scope:SCOPE_SE
	v_cmpx_ne_u32_e32 11, v0
	s_cbranch_execz .LBB75_59
; %bb.56:
	v_dual_mov_b32 v3, 0 :: v_dual_mov_b32 v28, 0
	s_mov_b32 s1, 0
.LBB75_57:                              ; =>This Inner Loop Header: Depth=1
	scratch_load_b64 v[29:30], v32, off
	ds_load_b64 v[33:34], v1
	v_add_nc_u32_e32 v2, 1, v2
	v_add_nc_u32_e32 v1, 8, v1
	;; [unrolled: 1-line block ×3, first 2 shown]
	s_delay_alu instid0(VALU_DEP_3)
	v_cmp_lt_u32_e32 vcc_lo, 9, v2
	s_wait_alu 0xfffe
	s_or_b32 s1, vcc_lo, s1
	s_wait_loadcnt_dscnt 0x0
	v_mul_f32_e32 v31, v34, v30
	v_mul_f32_e32 v30, v33, v30
	s_delay_alu instid0(VALU_DEP_2) | instskip(NEXT) | instid1(VALU_DEP_2)
	v_fma_f32 v31, v33, v29, -v31
	v_fmac_f32_e32 v30, v34, v29
	s_delay_alu instid0(VALU_DEP_1)
	v_dual_add_f32 v28, v28, v31 :: v_dual_add_f32 v3, v3, v30
	s_wait_alu 0xfffe
	s_and_not1_b32 exec_lo, exec_lo, s1
	s_cbranch_execnz .LBB75_57
; %bb.58:
	s_or_b32 exec_lo, exec_lo, s1
	v_mov_b32_e32 v1, 0
	ds_load_b64 v[1:2], v1 offset:88
	s_wait_dscnt 0x0
	v_mul_f32_e32 v30, v3, v2
	v_mul_f32_e32 v29, v28, v2
	s_delay_alu instid0(VALU_DEP_2) | instskip(NEXT) | instid1(VALU_DEP_2)
	v_fma_f32 v28, v28, v1, -v30
	v_fmac_f32_e32 v29, v3, v1
	scratch_store_b64 off, v[28:29], off offset:88
.LBB75_59:
	s_wait_alu 0xfffe
	s_or_b32 exec_lo, exec_lo, s0
	s_mov_b32 s1, -1
	s_wait_loadcnt 0x0
	s_wait_storecnt 0x0
	s_barrier_signal -1
	s_barrier_wait -1
	global_inv scope:SCOPE_SE
.LBB75_60:
	s_wait_alu 0xfffe
	s_and_b32 vcc_lo, exec_lo, s1
	s_wait_alu 0xfffe
	s_cbranch_vccz .LBB75_62
; %bb.61:
	v_mov_b32_e32 v1, 0
	s_lshl_b64 s[0:1], s[8:9], 2
	s_wait_alu 0xfffe
	s_add_nc_u64 s[0:1], s[6:7], s[0:1]
	global_load_b32 v1, v1, s[0:1]
	s_wait_loadcnt 0x0
	v_cmp_ne_u32_e32 vcc_lo, 0, v1
	s_cbranch_vccz .LBB75_63
.LBB75_62:
	s_endpgm
.LBB75_63:
	v_lshl_add_u32 v3, v0, 3, 0x60
	s_mov_b32 s0, exec_lo
	v_cmpx_eq_u32_e32 11, v0
	s_cbranch_execz .LBB75_65
; %bb.64:
	scratch_load_b64 v[1:2], off, off offset:80
	v_mov_b32_e32 v28, 0
	s_delay_alu instid0(VALU_DEP_1)
	v_mov_b32_e32 v29, v28
	scratch_store_b64 off, v[28:29], off offset:80
	s_wait_loadcnt 0x0
	ds_store_b64 v3, v[1:2]
.LBB75_65:
	s_wait_alu 0xfffe
	s_or_b32 exec_lo, exec_lo, s0
	s_wait_storecnt_dscnt 0x0
	s_barrier_signal -1
	s_barrier_wait -1
	global_inv scope:SCOPE_SE
	s_clause 0x1
	scratch_load_b64 v[28:29], off, off offset:88
	scratch_load_b64 v[30:31], off, off offset:80
	v_mov_b32_e32 v1, 0
	s_mov_b32 s0, exec_lo
	ds_load_b64 v[32:33], v1 offset:184
	s_wait_loadcnt_dscnt 0x100
	v_mul_f32_e32 v2, v33, v29
	s_delay_alu instid0(VALU_DEP_1) | instskip(NEXT) | instid1(VALU_DEP_1)
	v_fma_f32 v2, v32, v28, -v2
	v_dual_mul_f32 v29, v32, v29 :: v_dual_add_f32 v2, 0, v2
	s_wait_loadcnt 0x0
	s_delay_alu instid0(VALU_DEP_1) | instskip(NEXT) | instid1(VALU_DEP_1)
	v_dual_fmac_f32 v29, v33, v28 :: v_dual_sub_f32 v28, v30, v2
	v_add_f32_e32 v29, 0, v29
	s_delay_alu instid0(VALU_DEP_1)
	v_sub_f32_e32 v29, v31, v29
	scratch_store_b64 off, v[28:29], off offset:80
	v_cmpx_lt_u32_e32 9, v0
	s_cbranch_execz .LBB75_67
; %bb.66:
	scratch_load_b64 v[28:29], off, off offset:72
	v_mov_b32_e32 v2, v1
	scratch_store_b64 off, v[1:2], off offset:72
	s_wait_loadcnt 0x0
	ds_store_b64 v3, v[28:29]
.LBB75_67:
	s_wait_alu 0xfffe
	s_or_b32 exec_lo, exec_lo, s0
	s_wait_storecnt_dscnt 0x0
	s_barrier_signal -1
	s_barrier_wait -1
	global_inv scope:SCOPE_SE
	s_clause 0x1
	scratch_load_b128 v[28:31], off, off offset:80
	scratch_load_b64 v[36:37], off, off offset:72
	ds_load_b128 v[32:35], v1 offset:176
	s_mov_b32 s0, exec_lo
	s_wait_loadcnt_dscnt 0x100
	v_mul_f32_e32 v2, v32, v29
	s_delay_alu instid0(VALU_DEP_1) | instskip(SKIP_2) | instid1(VALU_DEP_1)
	v_fmac_f32_e32 v2, v33, v28
	v_mul_f32_e32 v1, v33, v29
	v_mul_f32_e32 v29, v34, v31
	v_fmac_f32_e32 v29, v35, v30
	s_delay_alu instid0(VALU_DEP_4) | instskip(NEXT) | instid1(VALU_DEP_4)
	v_dual_add_f32 v2, 0, v2 :: v_dual_mul_f32 v31, v35, v31
	v_fma_f32 v1, v32, v28, -v1
	s_delay_alu instid0(VALU_DEP_2) | instskip(NEXT) | instid1(VALU_DEP_3)
	v_add_f32_e32 v2, v2, v29
	v_fma_f32 v28, v34, v30, -v31
	s_wait_loadcnt 0x0
	s_delay_alu instid0(VALU_DEP_2) | instskip(NEXT) | instid1(VALU_DEP_1)
	v_dual_add_f32 v1, 0, v1 :: v_dual_sub_f32 v2, v37, v2
	v_add_f32_e32 v1, v1, v28
	s_delay_alu instid0(VALU_DEP_1)
	v_sub_f32_e32 v1, v36, v1
	scratch_store_b64 off, v[1:2], off offset:72
	v_cmpx_lt_u32_e32 8, v0
	s_cbranch_execz .LBB75_69
; %bb.68:
	scratch_load_b64 v[1:2], off, off offset:64
	v_mov_b32_e32 v28, 0
	s_delay_alu instid0(VALU_DEP_1)
	v_mov_b32_e32 v29, v28
	scratch_store_b64 off, v[28:29], off offset:64
	s_wait_loadcnt 0x0
	ds_store_b64 v3, v[1:2]
.LBB75_69:
	s_wait_alu 0xfffe
	s_or_b32 exec_lo, exec_lo, s0
	s_wait_storecnt_dscnt 0x0
	s_barrier_signal -1
	s_barrier_wait -1
	global_inv scope:SCOPE_SE
	s_clause 0x2
	scratch_load_b128 v[28:31], off, off offset:72
	scratch_load_b64 v[36:37], off, off offset:88
	scratch_load_b64 v[38:39], off, off offset:64
	v_mov_b32_e32 v1, 0
	ds_load_2addr_b64 v[32:35], v1 offset0:21 offset1:22
	ds_load_b64 v[40:41], v1 offset:184
	s_mov_b32 s0, exec_lo
	s_wait_loadcnt_dscnt 0x201
	v_mul_f32_e32 v2, v33, v29
	v_dual_mul_f32 v29, v32, v29 :: v_dual_mul_f32 v42, v34, v31
	v_mul_f32_e32 v31, v35, v31
	s_wait_loadcnt_dscnt 0x100
	v_mul_f32_e32 v43, v40, v37
	v_fma_f32 v2, v32, v28, -v2
	v_fmac_f32_e32 v29, v33, v28
	v_mul_f32_e32 v28, v41, v37
	v_fmac_f32_e32 v42, v35, v30
	v_fma_f32 v30, v34, v30, -v31
	s_delay_alu instid0(VALU_DEP_4) | instskip(NEXT) | instid1(VALU_DEP_4)
	v_dual_add_f32 v2, 0, v2 :: v_dual_add_f32 v29, 0, v29
	v_fma_f32 v28, v40, v36, -v28
	s_delay_alu instid0(VALU_DEP_2) | instskip(NEXT) | instid1(VALU_DEP_1)
	v_add_f32_e32 v2, v2, v30
	v_dual_add_f32 v29, v29, v42 :: v_dual_add_f32 v2, v2, v28
	s_wait_loadcnt 0x0
	s_delay_alu instid0(VALU_DEP_1) | instskip(NEXT) | instid1(VALU_DEP_1)
	v_dual_fmac_f32 v43, v41, v36 :: v_dual_sub_f32 v28, v38, v2
	v_add_f32_e32 v29, v29, v43
	s_delay_alu instid0(VALU_DEP_1)
	v_sub_f32_e32 v29, v39, v29
	scratch_store_b64 off, v[28:29], off offset:64
	v_cmpx_lt_u32_e32 7, v0
	s_cbranch_execz .LBB75_71
; %bb.70:
	scratch_load_b64 v[28:29], off, off offset:56
	v_mov_b32_e32 v2, v1
	scratch_store_b64 off, v[1:2], off offset:56
	s_wait_loadcnt 0x0
	ds_store_b64 v3, v[28:29]
.LBB75_71:
	s_wait_alu 0xfffe
	s_or_b32 exec_lo, exec_lo, s0
	s_wait_storecnt_dscnt 0x0
	s_barrier_signal -1
	s_barrier_wait -1
	global_inv scope:SCOPE_SE
	s_clause 0x2
	scratch_load_b128 v[28:31], off, off offset:64
	scratch_load_b128 v[32:35], off, off offset:80
	scratch_load_b64 v[44:45], off, off offset:56
	ds_load_b128 v[36:39], v1 offset:160
	ds_load_b128 v[40:43], v1 offset:176
	s_mov_b32 s0, exec_lo
	s_wait_loadcnt_dscnt 0x201
	v_mul_f32_e32 v2, v37, v29
	s_wait_loadcnt_dscnt 0x100
	v_dual_mul_f32 v46, v40, v33 :: v_dual_mul_f32 v47, v42, v35
	s_delay_alu instid0(VALU_DEP_2) | instskip(SKIP_2) | instid1(VALU_DEP_4)
	v_fma_f32 v2, v36, v28, -v2
	v_mul_f32_e32 v1, v36, v29
	v_mul_f32_e32 v29, v38, v31
	v_dual_mul_f32 v31, v39, v31 :: v_dual_fmac_f32 v46, v41, v32
	s_delay_alu instid0(VALU_DEP_3) | instskip(NEXT) | instid1(VALU_DEP_3)
	v_dual_add_f32 v2, 0, v2 :: v_dual_fmac_f32 v1, v37, v28
	v_dual_mul_f32 v28, v41, v33 :: v_dual_fmac_f32 v29, v39, v30
	s_delay_alu instid0(VALU_DEP_3) | instskip(SKIP_1) | instid1(VALU_DEP_3)
	v_fma_f32 v30, v38, v30, -v31
	v_fmac_f32_e32 v47, v43, v34
	v_fma_f32 v28, v40, v32, -v28
	s_delay_alu instid0(VALU_DEP_3) | instskip(NEXT) | instid1(VALU_DEP_1)
	v_dual_add_f32 v2, v2, v30 :: v_dual_add_f32 v1, 0, v1
	v_dual_add_f32 v2, v2, v28 :: v_dual_mul_f32 v31, v43, v35
	s_delay_alu instid0(VALU_DEP_2) | instskip(NEXT) | instid1(VALU_DEP_2)
	v_add_f32_e32 v1, v1, v29
	v_fma_f32 v29, v42, v34, -v31
	s_delay_alu instid0(VALU_DEP_1) | instskip(SKIP_1) | instid1(VALU_DEP_1)
	v_dual_add_f32 v1, v1, v46 :: v_dual_add_f32 v2, v2, v29
	s_wait_loadcnt 0x0
	v_dual_add_f32 v28, v1, v47 :: v_dual_sub_f32 v1, v44, v2
	s_delay_alu instid0(VALU_DEP_1)
	v_sub_f32_e32 v2, v45, v28
	scratch_store_b64 off, v[1:2], off offset:56
	v_cmpx_lt_u32_e32 6, v0
	s_cbranch_execz .LBB75_73
; %bb.72:
	scratch_load_b64 v[1:2], off, off offset:48
	v_mov_b32_e32 v28, 0
	s_delay_alu instid0(VALU_DEP_1)
	v_mov_b32_e32 v29, v28
	scratch_store_b64 off, v[28:29], off offset:48
	s_wait_loadcnt 0x0
	ds_store_b64 v3, v[1:2]
.LBB75_73:
	s_wait_alu 0xfffe
	s_or_b32 exec_lo, exec_lo, s0
	s_wait_storecnt_dscnt 0x0
	s_barrier_signal -1
	s_barrier_wait -1
	global_inv scope:SCOPE_SE
	s_clause 0x3
	scratch_load_b128 v[28:31], off, off offset:56
	scratch_load_b128 v[32:35], off, off offset:72
	scratch_load_b64 v[44:45], off, off offset:88
	scratch_load_b64 v[46:47], off, off offset:48
	v_mov_b32_e32 v1, 0
	ds_load_2addr_b64 v[36:39], v1 offset0:19 offset1:20
	ds_load_2addr_b64 v[40:43], v1 offset0:21 offset1:22
	ds_load_b64 v[48:49], v1 offset:184
	s_mov_b32 s0, exec_lo
	s_wait_loadcnt_dscnt 0x302
	v_mul_f32_e32 v2, v36, v29
	v_dual_mul_f32 v50, v38, v31 :: v_dual_mul_f32 v29, v37, v29
	s_wait_loadcnt_dscnt 0x100
	v_mul_f32_e32 v53, v48, v45
	v_dual_mul_f32 v51, v40, v33 :: v_dual_mul_f32 v52, v42, v35
	v_dual_fmac_f32 v2, v37, v28 :: v_dual_mul_f32 v31, v39, v31
	v_fma_f32 v29, v36, v28, -v29
	v_fmac_f32_e32 v50, v39, v30
	v_mul_f32_e32 v28, v41, v33
	s_delay_alu instid0(VALU_DEP_4) | instskip(SKIP_3) | instid1(VALU_DEP_4)
	v_add_f32_e32 v2, 0, v2
	v_fma_f32 v30, v38, v30, -v31
	v_add_f32_e32 v29, 0, v29
	v_mul_f32_e32 v31, v43, v35
	v_dual_fmac_f32 v51, v41, v32 :: v_dual_add_f32 v2, v2, v50
	v_dual_fmac_f32 v52, v43, v34 :: v_dual_fmac_f32 v53, v49, v44
	s_delay_alu instid0(VALU_DEP_4) | instskip(SKIP_1) | instid1(VALU_DEP_4)
	v_add_f32_e32 v29, v29, v30
	v_fma_f32 v28, v40, v32, -v28
	v_add_f32_e32 v2, v2, v51
	v_fma_f32 v31, v42, v34, -v31
	s_delay_alu instid0(VALU_DEP_3) | instskip(NEXT) | instid1(VALU_DEP_3)
	v_add_f32_e32 v28, v29, v28
	v_add_f32_e32 v2, v2, v52
	s_delay_alu instid0(VALU_DEP_2) | instskip(NEXT) | instid1(VALU_DEP_2)
	v_add_f32_e32 v28, v28, v31
	v_add_f32_e32 v2, v2, v53
	v_mul_f32_e32 v30, v49, v45
	s_delay_alu instid0(VALU_DEP_1) | instskip(SKIP_1) | instid1(VALU_DEP_1)
	v_fma_f32 v29, v48, v44, -v30
	s_wait_loadcnt 0x0
	v_dual_add_f32 v28, v28, v29 :: v_dual_sub_f32 v29, v47, v2
	s_delay_alu instid0(VALU_DEP_1)
	v_sub_f32_e32 v28, v46, v28
	scratch_store_b64 off, v[28:29], off offset:48
	v_cmpx_lt_u32_e32 5, v0
	s_cbranch_execz .LBB75_75
; %bb.74:
	scratch_load_b64 v[28:29], off, off offset:40
	v_mov_b32_e32 v2, v1
	scratch_store_b64 off, v[1:2], off offset:40
	s_wait_loadcnt 0x0
	ds_store_b64 v3, v[28:29]
.LBB75_75:
	s_wait_alu 0xfffe
	s_or_b32 exec_lo, exec_lo, s0
	s_wait_storecnt_dscnt 0x0
	s_barrier_signal -1
	s_barrier_wait -1
	global_inv scope:SCOPE_SE
	s_clause 0x3
	scratch_load_b128 v[28:31], off, off offset:48
	scratch_load_b128 v[32:35], off, off offset:64
	scratch_load_b128 v[36:39], off, off offset:80
	scratch_load_b64 v[52:53], off, off offset:40
	ds_load_b128 v[40:43], v1 offset:144
	ds_load_b128 v[44:47], v1 offset:160
	;; [unrolled: 1-line block ×3, first 2 shown]
	s_mov_b32 s0, exec_lo
	s_wait_loadcnt_dscnt 0x302
	v_dual_mul_f32 v1, v40, v29 :: v_dual_mul_f32 v2, v42, v31
	v_mul_f32_e32 v29, v41, v29
	s_wait_loadcnt_dscnt 0x201
	v_dual_mul_f32 v31, v43, v31 :: v_dual_mul_f32 v54, v44, v33
	s_delay_alu instid0(VALU_DEP_3) | instskip(NEXT) | instid1(VALU_DEP_3)
	v_dual_mul_f32 v55, v46, v35 :: v_dual_fmac_f32 v2, v43, v30
	v_fma_f32 v29, v40, v28, -v29
	v_fmac_f32_e32 v1, v41, v28
	v_mul_f32_e32 v28, v45, v33
	v_fma_f32 v30, v42, v30, -v31
	v_mul_f32_e32 v31, v47, v35
	v_dual_add_f32 v29, 0, v29 :: v_dual_fmac_f32 v54, v45, v32
	s_delay_alu instid0(VALU_DEP_4) | instskip(SKIP_2) | instid1(VALU_DEP_3)
	v_fma_f32 v28, v44, v32, -v28
	s_wait_loadcnt_dscnt 0x100
	v_dual_mul_f32 v56, v48, v37 :: v_dual_mul_f32 v57, v50, v39
	v_add_f32_e32 v29, v29, v30
	v_fmac_f32_e32 v55, v47, v34
	v_fma_f32 v30, v46, v34, -v31
	s_delay_alu instid0(VALU_DEP_4) | instskip(NEXT) | instid1(VALU_DEP_4)
	v_dual_fmac_f32 v56, v49, v36 :: v_dual_fmac_f32 v57, v51, v38
	v_add_f32_e32 v28, v29, v28
	s_delay_alu instid0(VALU_DEP_1) | instskip(SKIP_1) | instid1(VALU_DEP_1)
	v_dual_add_f32 v28, v28, v30 :: v_dual_add_f32 v1, 0, v1
	v_mul_f32_e32 v29, v51, v39
	v_fma_f32 v29, v50, v38, -v29
	s_delay_alu instid0(VALU_DEP_3) | instskip(SKIP_1) | instid1(VALU_DEP_1)
	v_add_f32_e32 v1, v1, v2
	v_mul_f32_e32 v2, v49, v37
	v_fma_f32 v2, v48, v36, -v2
	s_delay_alu instid0(VALU_DEP_1) | instskip(NEXT) | instid1(VALU_DEP_1)
	v_add_f32_e32 v2, v28, v2
	v_dual_add_f32 v2, v2, v29 :: v_dual_add_f32 v1, v1, v54
	s_delay_alu instid0(VALU_DEP_1) | instskip(NEXT) | instid1(VALU_DEP_1)
	v_add_f32_e32 v1, v1, v55
	v_add_f32_e32 v1, v1, v56
	s_wait_loadcnt 0x0
	s_delay_alu instid0(VALU_DEP_1) | instskip(NEXT) | instid1(VALU_DEP_1)
	v_dual_add_f32 v28, v1, v57 :: v_dual_sub_f32 v1, v52, v2
	v_sub_f32_e32 v2, v53, v28
	scratch_store_b64 off, v[1:2], off offset:40
	v_cmpx_lt_u32_e32 4, v0
	s_cbranch_execz .LBB75_77
; %bb.76:
	scratch_load_b64 v[1:2], off, off offset:32
	v_mov_b32_e32 v28, 0
	s_delay_alu instid0(VALU_DEP_1)
	v_mov_b32_e32 v29, v28
	scratch_store_b64 off, v[28:29], off offset:32
	s_wait_loadcnt 0x0
	ds_store_b64 v3, v[1:2]
.LBB75_77:
	s_wait_alu 0xfffe
	s_or_b32 exec_lo, exec_lo, s0
	s_wait_storecnt_dscnt 0x0
	s_barrier_signal -1
	s_barrier_wait -1
	global_inv scope:SCOPE_SE
	s_clause 0x4
	scratch_load_b128 v[28:31], off, off offset:40
	scratch_load_b128 v[32:35], off, off offset:56
	;; [unrolled: 1-line block ×3, first 2 shown]
	scratch_load_b64 v[52:53], off, off offset:88
	scratch_load_b64 v[54:55], off, off offset:32
	v_mov_b32_e32 v1, 0
	ds_load_2addr_b64 v[40:43], v1 offset0:17 offset1:18
	ds_load_2addr_b64 v[44:47], v1 offset0:19 offset1:20
	ds_load_2addr_b64 v[48:51], v1 offset0:21 offset1:22
	ds_load_b64 v[56:57], v1 offset:184
	s_mov_b32 s0, exec_lo
	s_wait_loadcnt_dscnt 0x403
	v_mul_f32_e32 v2, v40, v29
	s_wait_loadcnt_dscnt 0x302
	v_dual_mul_f32 v58, v42, v31 :: v_dual_mul_f32 v59, v44, v33
	v_dual_mul_f32 v60, v46, v35 :: v_dual_mul_f32 v29, v41, v29
	s_wait_loadcnt_dscnt 0x100
	v_dual_mul_f32 v63, v56, v53 :: v_dual_fmac_f32 v2, v41, v28
	v_mul_f32_e32 v31, v43, v31
	v_dual_mul_f32 v61, v48, v37 :: v_dual_mul_f32 v62, v50, v39
	v_fma_f32 v29, v40, v28, -v29
	v_fmac_f32_e32 v58, v43, v30
	v_add_f32_e32 v2, 0, v2
	v_mul_f32_e32 v28, v45, v33
	v_fma_f32 v30, v42, v30, -v31
	v_add_f32_e32 v29, 0, v29
	v_mul_f32_e32 v31, v47, v35
	v_dual_fmac_f32 v59, v45, v32 :: v_dual_add_f32 v2, v2, v58
	v_dual_fmac_f32 v60, v47, v34 :: v_dual_fmac_f32 v61, v49, v36
	s_delay_alu instid0(VALU_DEP_4) | instskip(SKIP_1) | instid1(VALU_DEP_4)
	v_add_f32_e32 v29, v29, v30
	v_dual_fmac_f32 v62, v51, v38 :: v_dual_fmac_f32 v63, v57, v52
	v_add_f32_e32 v2, v2, v59
	v_fma_f32 v28, v44, v32, -v28
	v_mul_f32_e32 v30, v49, v37
	v_fma_f32 v31, v46, v34, -v31
	s_delay_alu instid0(VALU_DEP_4) | instskip(NEXT) | instid1(VALU_DEP_1)
	v_add_f32_e32 v2, v2, v60
	v_add_f32_e32 v2, v2, v61
	s_delay_alu instid0(VALU_DEP_1) | instskip(NEXT) | instid1(VALU_DEP_1)
	v_add_f32_e32 v2, v2, v62
	v_add_f32_e32 v2, v2, v63
	v_dual_add_f32 v28, v29, v28 :: v_dual_mul_f32 v29, v51, v39
	v_fma_f32 v30, v48, v36, -v30
	s_delay_alu instid0(VALU_DEP_2) | instskip(NEXT) | instid1(VALU_DEP_3)
	v_dual_add_f32 v28, v28, v31 :: v_dual_mul_f32 v31, v57, v53
	v_fma_f32 v29, v50, v38, -v29
	s_delay_alu instid0(VALU_DEP_2) | instskip(NEXT) | instid1(VALU_DEP_3)
	v_add_f32_e32 v28, v28, v30
	v_fma_f32 v30, v56, v52, -v31
	s_wait_loadcnt 0x0
	s_delay_alu instid0(VALU_DEP_2) | instskip(NEXT) | instid1(VALU_DEP_1)
	v_dual_add_f32 v28, v28, v29 :: v_dual_sub_f32 v29, v55, v2
	v_add_f32_e32 v28, v28, v30
	s_delay_alu instid0(VALU_DEP_1)
	v_sub_f32_e32 v28, v54, v28
	scratch_store_b64 off, v[28:29], off offset:32
	v_cmpx_lt_u32_e32 3, v0
	s_cbranch_execz .LBB75_79
; %bb.78:
	scratch_load_b64 v[28:29], off, off offset:24
	v_mov_b32_e32 v2, v1
	scratch_store_b64 off, v[1:2], off offset:24
	s_wait_loadcnt 0x0
	ds_store_b64 v3, v[28:29]
.LBB75_79:
	s_wait_alu 0xfffe
	s_or_b32 exec_lo, exec_lo, s0
	s_wait_storecnt_dscnt 0x0
	s_barrier_signal -1
	s_barrier_wait -1
	global_inv scope:SCOPE_SE
	s_clause 0x4
	scratch_load_b128 v[28:31], off, off offset:32
	scratch_load_b128 v[32:35], off, off offset:48
	;; [unrolled: 1-line block ×4, first 2 shown]
	scratch_load_b64 v[60:61], off, off offset:24
	ds_load_b128 v[44:47], v1 offset:128
	ds_load_b128 v[48:51], v1 offset:144
	ds_load_b128 v[52:55], v1 offset:160
	ds_load_b128 v[56:59], v1 offset:176
	s_mov_b32 s0, exec_lo
	s_wait_loadcnt_dscnt 0x403
	v_dual_mul_f32 v1, v44, v29 :: v_dual_mul_f32 v2, v46, v31
	v_mul_f32_e32 v29, v45, v29
	s_wait_loadcnt_dscnt 0x302
	v_dual_mul_f32 v31, v47, v31 :: v_dual_mul_f32 v62, v48, v33
	s_delay_alu instid0(VALU_DEP_3) | instskip(NEXT) | instid1(VALU_DEP_3)
	v_dual_mul_f32 v63, v50, v35 :: v_dual_fmac_f32 v2, v47, v30
	v_fma_f32 v29, v44, v28, -v29
	v_fmac_f32_e32 v1, v45, v28
	v_mul_f32_e32 v28, v49, v33
	v_fma_f32 v30, v46, v30, -v31
	v_mul_f32_e32 v31, v51, v35
	v_dual_add_f32 v29, 0, v29 :: v_dual_fmac_f32 v62, v49, v32
	s_delay_alu instid0(VALU_DEP_4) | instskip(SKIP_2) | instid1(VALU_DEP_3)
	v_fma_f32 v28, v48, v32, -v28
	s_wait_loadcnt_dscnt 0x201
	v_dual_mul_f32 v64, v52, v37 :: v_dual_mul_f32 v65, v54, v39
	v_add_f32_e32 v29, v29, v30
	v_fmac_f32_e32 v63, v51, v34
	v_fma_f32 v30, v50, v34, -v31
	s_wait_loadcnt_dscnt 0x100
	v_dual_mul_f32 v66, v56, v41 :: v_dual_mul_f32 v67, v58, v43
	v_dual_add_f32 v28, v29, v28 :: v_dual_mul_f32 v29, v55, v39
	v_dual_fmac_f32 v64, v53, v36 :: v_dual_fmac_f32 v65, v55, v38
	s_delay_alu instid0(VALU_DEP_3) | instskip(NEXT) | instid1(VALU_DEP_3)
	v_fmac_f32_e32 v66, v57, v40
	v_dual_add_f32 v28, v28, v30 :: v_dual_add_f32 v1, 0, v1
	v_mul_f32_e32 v30, v57, v41
	v_fma_f32 v29, v54, v38, -v29
	v_fmac_f32_e32 v67, v59, v42
	s_delay_alu instid0(VALU_DEP_4) | instskip(SKIP_2) | instid1(VALU_DEP_2)
	v_add_f32_e32 v1, v1, v2
	v_mul_f32_e32 v2, v53, v37
	v_fma_f32 v30, v56, v40, -v30
	v_fma_f32 v2, v52, v36, -v2
	s_delay_alu instid0(VALU_DEP_1) | instskip(SKIP_1) | instid1(VALU_DEP_2)
	v_add_f32_e32 v2, v28, v2
	v_mul_f32_e32 v28, v59, v43
	v_add_f32_e32 v2, v2, v29
	s_delay_alu instid0(VALU_DEP_2) | instskip(NEXT) | instid1(VALU_DEP_2)
	v_fma_f32 v28, v58, v42, -v28
	v_add_f32_e32 v2, v2, v30
	s_delay_alu instid0(VALU_DEP_1) | instskip(NEXT) | instid1(VALU_DEP_1)
	v_dual_add_f32 v1, v1, v62 :: v_dual_add_f32 v2, v2, v28
	v_add_f32_e32 v1, v1, v63
	s_delay_alu instid0(VALU_DEP_1) | instskip(NEXT) | instid1(VALU_DEP_1)
	v_add_f32_e32 v1, v1, v64
	v_add_f32_e32 v1, v1, v65
	s_delay_alu instid0(VALU_DEP_1) | instskip(SKIP_1) | instid1(VALU_DEP_1)
	v_add_f32_e32 v1, v1, v66
	s_wait_loadcnt 0x0
	v_dual_add_f32 v28, v1, v67 :: v_dual_sub_f32 v1, v60, v2
	s_delay_alu instid0(VALU_DEP_1)
	v_sub_f32_e32 v2, v61, v28
	scratch_store_b64 off, v[1:2], off offset:24
	v_cmpx_lt_u32_e32 2, v0
	s_cbranch_execz .LBB75_81
; %bb.80:
	scratch_load_b64 v[1:2], off, off offset:16
	v_mov_b32_e32 v28, 0
	s_delay_alu instid0(VALU_DEP_1)
	v_mov_b32_e32 v29, v28
	scratch_store_b64 off, v[28:29], off offset:16
	s_wait_loadcnt 0x0
	ds_store_b64 v3, v[1:2]
.LBB75_81:
	s_wait_alu 0xfffe
	s_or_b32 exec_lo, exec_lo, s0
	s_wait_storecnt_dscnt 0x0
	s_barrier_signal -1
	s_barrier_wait -1
	global_inv scope:SCOPE_SE
	s_clause 0x5
	scratch_load_b128 v[28:31], off, off offset:24
	scratch_load_b128 v[32:35], off, off offset:40
	;; [unrolled: 1-line block ×4, first 2 shown]
	scratch_load_b64 v[60:61], off, off offset:88
	scratch_load_b64 v[62:63], off, off offset:16
	v_mov_b32_e32 v1, 0
	ds_load_2addr_b64 v[44:47], v1 offset0:15 offset1:16
	ds_load_2addr_b64 v[48:51], v1 offset0:17 offset1:18
	;; [unrolled: 1-line block ×4, first 2 shown]
	ds_load_b64 v[64:65], v1 offset:184
	s_mov_b32 s0, exec_lo
	s_wait_loadcnt_dscnt 0x504
	v_mul_f32_e32 v2, v44, v29
	s_wait_loadcnt_dscnt 0x403
	v_dual_mul_f32 v66, v46, v31 :: v_dual_mul_f32 v67, v48, v33
	s_wait_loadcnt_dscnt 0x302
	v_dual_mul_f32 v70, v54, v39 :: v_dual_mul_f32 v29, v45, v29
	s_wait_loadcnt_dscnt 0x100
	v_dual_mul_f32 v73, v64, v61 :: v_dual_fmac_f32 v2, v45, v28
	v_mul_f32_e32 v31, v47, v31
	v_dual_mul_f32 v68, v50, v35 :: v_dual_mul_f32 v69, v52, v37
	v_fma_f32 v29, v44, v28, -v29
	v_fmac_f32_e32 v66, v47, v30
	v_add_f32_e32 v2, 0, v2
	v_mul_f32_e32 v28, v49, v33
	v_fma_f32 v30, v46, v30, -v31
	v_add_f32_e32 v29, 0, v29
	v_mul_f32_e32 v31, v51, v35
	v_dual_fmac_f32 v67, v49, v32 :: v_dual_add_f32 v2, v2, v66
	v_dual_fmac_f32 v68, v51, v34 :: v_dual_fmac_f32 v69, v53, v36
	s_delay_alu instid0(VALU_DEP_4) | instskip(SKIP_1) | instid1(VALU_DEP_4)
	v_add_f32_e32 v29, v29, v30
	v_dual_mul_f32 v71, v56, v41 :: v_dual_mul_f32 v72, v58, v43
	v_add_f32_e32 v2, v2, v67
	v_dual_fmac_f32 v70, v55, v38 :: v_dual_fmac_f32 v73, v65, v60
	s_delay_alu instid0(VALU_DEP_3) | instskip(NEXT) | instid1(VALU_DEP_3)
	v_dual_fmac_f32 v71, v57, v40 :: v_dual_fmac_f32 v72, v59, v42
	v_add_f32_e32 v2, v2, v68
	v_fma_f32 v28, v48, v32, -v28
	v_mul_f32_e32 v30, v53, v37
	v_fma_f32 v31, v50, v34, -v31
	s_delay_alu instid0(VALU_DEP_4) | instskip(NEXT) | instid1(VALU_DEP_1)
	v_add_f32_e32 v2, v2, v69
	v_add_f32_e32 v2, v2, v70
	s_delay_alu instid0(VALU_DEP_1) | instskip(NEXT) | instid1(VALU_DEP_1)
	v_add_f32_e32 v2, v2, v71
	v_add_f32_e32 v2, v2, v72
	s_delay_alu instid0(VALU_DEP_1) | instskip(SKIP_2) | instid1(VALU_DEP_2)
	v_add_f32_e32 v2, v2, v73
	v_dual_add_f32 v28, v29, v28 :: v_dual_mul_f32 v29, v55, v39
	v_fma_f32 v30, v52, v36, -v30
	v_dual_add_f32 v28, v28, v31 :: v_dual_mul_f32 v31, v57, v41
	s_delay_alu instid0(VALU_DEP_3) | instskip(NEXT) | instid1(VALU_DEP_2)
	v_fma_f32 v29, v54, v38, -v29
	v_add_f32_e32 v28, v28, v30
	v_mul_f32_e32 v30, v59, v43
	s_delay_alu instid0(VALU_DEP_4) | instskip(NEXT) | instid1(VALU_DEP_3)
	v_fma_f32 v31, v56, v40, -v31
	v_add_f32_e32 v28, v28, v29
	v_mul_f32_e32 v29, v65, v61
	s_delay_alu instid0(VALU_DEP_4) | instskip(NEXT) | instid1(VALU_DEP_3)
	v_fma_f32 v30, v58, v42, -v30
	v_add_f32_e32 v28, v28, v31
	s_delay_alu instid0(VALU_DEP_3) | instskip(NEXT) | instid1(VALU_DEP_2)
	v_fma_f32 v29, v64, v60, -v29
	v_add_f32_e32 v28, v28, v30
	s_wait_loadcnt 0x0
	s_delay_alu instid0(VALU_DEP_1) | instskip(NEXT) | instid1(VALU_DEP_1)
	v_dual_add_f32 v28, v28, v29 :: v_dual_sub_f32 v29, v63, v2
	v_sub_f32_e32 v28, v62, v28
	scratch_store_b64 off, v[28:29], off offset:16
	v_cmpx_lt_u32_e32 1, v0
	s_cbranch_execz .LBB75_83
; %bb.82:
	scratch_load_b64 v[28:29], off, off offset:8
	v_mov_b32_e32 v2, v1
	scratch_store_b64 off, v[1:2], off offset:8
	s_wait_loadcnt 0x0
	ds_store_b64 v3, v[28:29]
.LBB75_83:
	s_wait_alu 0xfffe
	s_or_b32 exec_lo, exec_lo, s0
	s_wait_storecnt_dscnt 0x0
	s_barrier_signal -1
	s_barrier_wait -1
	global_inv scope:SCOPE_SE
	s_clause 0x5
	scratch_load_b128 v[28:31], off, off offset:16
	scratch_load_b128 v[32:35], off, off offset:32
	;; [unrolled: 1-line block ×5, first 2 shown]
	scratch_load_b64 v[68:69], off, off offset:8
	ds_load_b128 v[48:51], v1 offset:112
	ds_load_b128 v[52:55], v1 offset:128
	;; [unrolled: 1-line block ×5, first 2 shown]
	s_mov_b32 s0, exec_lo
	s_wait_loadcnt_dscnt 0x504
	v_dual_mul_f32 v1, v48, v29 :: v_dual_mul_f32 v2, v50, v31
	v_mul_f32_e32 v29, v49, v29
	s_wait_loadcnt_dscnt 0x403
	v_dual_mul_f32 v31, v51, v31 :: v_dual_mul_f32 v70, v52, v33
	s_delay_alu instid0(VALU_DEP_3) | instskip(NEXT) | instid1(VALU_DEP_3)
	v_dual_mul_f32 v71, v54, v35 :: v_dual_fmac_f32 v2, v51, v30
	v_fma_f32 v29, v48, v28, -v29
	v_fmac_f32_e32 v1, v49, v28
	v_mul_f32_e32 v28, v53, v33
	v_fma_f32 v30, v50, v30, -v31
	v_mul_f32_e32 v31, v55, v35
	v_dual_add_f32 v29, 0, v29 :: v_dual_fmac_f32 v70, v53, v32
	s_delay_alu instid0(VALU_DEP_4) | instskip(SKIP_2) | instid1(VALU_DEP_3)
	v_fma_f32 v28, v52, v32, -v28
	s_wait_loadcnt_dscnt 0x302
	v_dual_mul_f32 v72, v56, v37 :: v_dual_mul_f32 v73, v58, v39
	v_add_f32_e32 v29, v29, v30
	v_fmac_f32_e32 v71, v55, v34
	v_fma_f32 v30, v54, v34, -v31
	s_wait_loadcnt_dscnt 0x201
	v_dual_mul_f32 v74, v60, v41 :: v_dual_mul_f32 v75, v62, v43
	v_dual_add_f32 v28, v29, v28 :: v_dual_mul_f32 v29, v59, v39
	v_fmac_f32_e32 v72, v57, v36
	s_wait_loadcnt_dscnt 0x100
	v_dual_mul_f32 v76, v64, v45 :: v_dual_mul_f32 v77, v66, v47
	s_delay_alu instid0(VALU_DEP_3) | instskip(SKIP_3) | instid1(VALU_DEP_4)
	v_dual_add_f32 v28, v28, v30 :: v_dual_add_f32 v1, 0, v1
	v_mul_f32_e32 v30, v61, v41
	v_fma_f32 v29, v58, v38, -v29
	v_dual_fmac_f32 v73, v59, v38 :: v_dual_fmac_f32 v74, v61, v40
	v_add_f32_e32 v1, v1, v2
	v_mul_f32_e32 v2, v57, v37
	v_fma_f32 v30, v60, v40, -v30
	v_dual_fmac_f32 v75, v63, v42 :: v_dual_fmac_f32 v76, v65, v44
	s_delay_alu instid0(VALU_DEP_3) | instskip(NEXT) | instid1(VALU_DEP_1)
	v_fma_f32 v2, v56, v36, -v2
	v_add_f32_e32 v2, v28, v2
	v_mul_f32_e32 v28, v63, v43
	s_delay_alu instid0(VALU_DEP_2) | instskip(SKIP_1) | instid1(VALU_DEP_3)
	v_dual_add_f32 v2, v2, v29 :: v_dual_add_f32 v1, v1, v70
	v_mul_f32_e32 v29, v65, v45
	v_fma_f32 v28, v62, v42, -v28
	s_delay_alu instid0(VALU_DEP_3) | instskip(SKIP_3) | instid1(VALU_DEP_4)
	v_add_f32_e32 v2, v2, v30
	v_mul_f32_e32 v30, v67, v47
	v_add_f32_e32 v1, v1, v71
	v_fma_f32 v29, v64, v44, -v29
	v_dual_add_f32 v2, v2, v28 :: v_dual_fmac_f32 v77, v67, v46
	s_delay_alu instid0(VALU_DEP_3) | instskip(SKIP_1) | instid1(VALU_DEP_3)
	v_add_f32_e32 v1, v1, v72
	v_fma_f32 v28, v66, v46, -v30
	v_add_f32_e32 v2, v2, v29
	s_delay_alu instid0(VALU_DEP_1) | instskip(NEXT) | instid1(VALU_DEP_1)
	v_dual_add_f32 v1, v1, v73 :: v_dual_add_f32 v2, v2, v28
	v_add_f32_e32 v1, v1, v74
	s_delay_alu instid0(VALU_DEP_1) | instskip(NEXT) | instid1(VALU_DEP_1)
	v_add_f32_e32 v1, v1, v75
	v_add_f32_e32 v1, v1, v76
	s_wait_loadcnt 0x0
	s_delay_alu instid0(VALU_DEP_1) | instskip(NEXT) | instid1(VALU_DEP_1)
	v_dual_add_f32 v28, v1, v77 :: v_dual_sub_f32 v1, v68, v2
	v_sub_f32_e32 v2, v69, v28
	scratch_store_b64 off, v[1:2], off offset:8
	v_cmpx_ne_u32_e32 0, v0
	s_cbranch_execz .LBB75_85
; %bb.84:
	scratch_load_b64 v[0:1], off, off
	v_mov_b32_e32 v28, 0
	s_delay_alu instid0(VALU_DEP_1)
	v_mov_b32_e32 v29, v28
	scratch_store_b64 off, v[28:29], off
	s_wait_loadcnt 0x0
	ds_store_b64 v3, v[0:1]
.LBB75_85:
	s_wait_alu 0xfffe
	s_or_b32 exec_lo, exec_lo, s0
	s_wait_storecnt_dscnt 0x0
	s_barrier_signal -1
	s_barrier_wait -1
	global_inv scope:SCOPE_SE
	s_clause 0x6
	scratch_load_b128 v[29:32], off, off offset:8
	scratch_load_b128 v[33:36], off, off offset:24
	;; [unrolled: 1-line block ×5, first 2 shown]
	scratch_load_b64 v[65:66], off, off offset:88
	scratch_load_b64 v[67:68], off, off
	v_mov_b32_e32 v28, 0
	ds_load_2addr_b64 v[45:48], v28 offset0:13 offset1:14
	ds_load_2addr_b64 v[49:52], v28 offset0:15 offset1:16
	;; [unrolled: 1-line block ×5, first 2 shown]
	ds_load_b64 v[69:70], v28 offset:184
	s_and_b32 vcc_lo, exec_lo, s12
	s_wait_loadcnt_dscnt 0x605
	v_dual_mul_f32 v71, v45, v30 :: v_dual_mul_f32 v72, v47, v32
	s_wait_loadcnt_dscnt 0x504
	v_dual_mul_f32 v73, v49, v34 :: v_dual_mul_f32 v32, v48, v32
	s_wait_loadcnt_dscnt 0x403
	v_dual_mul_f32 v74, v51, v36 :: v_dual_mul_f32 v75, v53, v38
	v_dual_fmac_f32 v71, v46, v29 :: v_dual_fmac_f32 v72, v48, v31
	s_delay_alu instid0(VALU_DEP_3) | instskip(SKIP_1) | instid1(VALU_DEP_4)
	v_fmac_f32_e32 v73, v50, v33
	v_fma_f32 v31, v47, v31, -v32
	v_dual_fmac_f32 v74, v52, v35 :: v_dual_fmac_f32 v75, v54, v37
	s_delay_alu instid0(VALU_DEP_4)
	v_add_f32_e32 v32, 0, v71
	v_mul_f32_e32 v30, v46, v30
	s_wait_loadcnt_dscnt 0x302
	v_dual_mul_f32 v76, v55, v40 :: v_dual_mul_f32 v77, v57, v42
	s_wait_loadcnt_dscnt 0x201
	v_dual_mul_f32 v78, v59, v44 :: v_dual_mul_f32 v79, v61, v1
	v_fma_f32 v30, v45, v29, -v30
	v_dual_mul_f32 v29, v50, v34 :: v_dual_mul_f32 v34, v52, v36
	v_dual_fmac_f32 v76, v56, v39 :: v_dual_fmac_f32 v77, v58, v41
	s_delay_alu instid0(VALU_DEP_3) | instskip(NEXT) | instid1(VALU_DEP_3)
	v_add_f32_e32 v30, 0, v30
	v_fma_f32 v29, v49, v33, -v29
	s_delay_alu instid0(VALU_DEP_4) | instskip(SKIP_1) | instid1(VALU_DEP_4)
	v_fma_f32 v33, v51, v35, -v34
	v_dual_fmac_f32 v78, v60, v43 :: v_dual_fmac_f32 v79, v62, v0
	v_add_f32_e32 v30, v30, v31
	s_wait_loadcnt_dscnt 0x100
	v_dual_mul_f32 v80, v63, v3 :: v_dual_mul_f32 v81, v69, v66
	v_mul_f32_e32 v1, v62, v1
	s_delay_alu instid0(VALU_DEP_3) | instskip(SKIP_1) | instid1(VALU_DEP_4)
	v_add_f32_e32 v29, v30, v29
	v_add_f32_e32 v31, v32, v72
	v_dual_fmac_f32 v80, v64, v2 :: v_dual_fmac_f32 v81, v70, v65
	s_delay_alu instid0(VALU_DEP_4) | instskip(NEXT) | instid1(VALU_DEP_4)
	v_fma_f32 v0, v61, v0, -v1
	v_add_f32_e32 v29, v29, v33
	s_delay_alu instid0(VALU_DEP_4) | instskip(SKIP_1) | instid1(VALU_DEP_2)
	v_dual_add_f32 v30, v31, v73 :: v_dual_mul_f32 v33, v58, v42
	v_mul_f32_e32 v31, v56, v40
	v_fma_f32 v33, v57, v41, -v33
	s_delay_alu instid0(VALU_DEP_2) | instskip(SKIP_1) | instid1(VALU_DEP_1)
	v_fma_f32 v31, v55, v39, -v31
	v_mul_f32_e32 v32, v54, v38
	v_fma_f32 v32, v53, v37, -v32
	s_delay_alu instid0(VALU_DEP_1) | instskip(NEXT) | instid1(VALU_DEP_1)
	v_dual_add_f32 v30, v30, v74 :: v_dual_add_f32 v29, v29, v32
	v_dual_mul_f32 v32, v60, v44 :: v_dual_add_f32 v29, v29, v31
	s_delay_alu instid0(VALU_DEP_2) | instskip(NEXT) | instid1(VALU_DEP_2)
	v_add_f32_e32 v30, v30, v75
	v_fma_f32 v31, v59, v43, -v32
	s_delay_alu instid0(VALU_DEP_2) | instskip(NEXT) | instid1(VALU_DEP_1)
	v_dual_add_f32 v29, v29, v33 :: v_dual_add_f32 v30, v30, v76
	v_dual_add_f32 v1, v29, v31 :: v_dual_add_f32 v30, v30, v77
	v_mul_f32_e32 v32, v64, v3
	s_delay_alu instid0(VALU_DEP_2) | instskip(NEXT) | instid1(VALU_DEP_2)
	v_dual_add_f32 v0, v1, v0 :: v_dual_add_f32 v29, v30, v78
	v_fma_f32 v31, v63, v2, -v32
	s_delay_alu instid0(VALU_DEP_2) | instskip(NEXT) | instid1(VALU_DEP_1)
	v_dual_add_f32 v1, v29, v79 :: v_dual_mul_f32 v30, v70, v66
	v_add_f32_e32 v1, v1, v80
	s_delay_alu instid0(VALU_DEP_2) | instskip(NEXT) | instid1(VALU_DEP_2)
	v_fma_f32 v29, v69, v65, -v30
	v_add_f32_e32 v1, v1, v81
	s_wait_loadcnt 0x0
	s_delay_alu instid0(VALU_DEP_1) | instskip(SKIP_1) | instid1(VALU_DEP_1)
	v_sub_f32_e32 v1, v68, v1
	v_add_f32_e32 v0, v0, v31
	v_add_f32_e32 v0, v0, v29
	s_delay_alu instid0(VALU_DEP_1)
	v_sub_f32_e32 v0, v67, v0
	scratch_store_b64 off, v[0:1], off
	s_wait_alu 0xfffe
	s_cbranch_vccz .LBB75_108
; %bb.86:
	global_load_b32 v0, v28, s[2:3] offset:40
	s_wait_loadcnt 0x0
	v_cmp_ne_u32_e32 vcc_lo, 11, v0
	s_cbranch_vccz .LBB75_88
; %bb.87:
	v_lshlrev_b32_e32 v0, 3, v0
	s_delay_alu instid0(VALU_DEP_1)
	v_mov_b32_e32 v28, v0
	scratch_load_b64 v[0:1], v28, off offset:-8
	s_wait_loadcnt 0x0
	scratch_store_b64 off, v[0:1], off offset:80
	scratch_store_b64 v28, v[2:3], off offset:-8
.LBB75_88:
	v_mov_b32_e32 v0, 0
	global_load_b32 v1, v0, s[2:3] offset:36
	s_wait_loadcnt 0x0
	v_cmp_eq_u32_e32 vcc_lo, 10, v1
	s_cbranch_vccnz .LBB75_90
; %bb.89:
	v_lshlrev_b32_e32 v1, 3, v1
	s_delay_alu instid0(VALU_DEP_1)
	v_mov_b32_e32 v3, v1
	scratch_load_b64 v[1:2], v3, off offset:-8
	scratch_load_b64 v[28:29], off, off offset:72
	s_wait_loadcnt 0x1
	scratch_store_b64 off, v[1:2], off offset:72
	s_wait_loadcnt 0x0
	scratch_store_b64 v3, v[28:29], off offset:-8
.LBB75_90:
	global_load_b32 v0, v0, s[2:3] offset:32
	s_wait_loadcnt 0x0
	v_cmp_eq_u32_e32 vcc_lo, 9, v0
	s_cbranch_vccnz .LBB75_92
; %bb.91:
	v_lshlrev_b32_e32 v0, 3, v0
	s_delay_alu instid0(VALU_DEP_1)
	v_mov_b32_e32 v28, v0
	scratch_load_b64 v[0:1], v28, off offset:-8
	scratch_load_b64 v[2:3], off, off offset:64
	s_wait_loadcnt 0x1
	scratch_store_b64 off, v[0:1], off offset:64
	s_wait_loadcnt 0x0
	scratch_store_b64 v28, v[2:3], off offset:-8
.LBB75_92:
	v_mov_b32_e32 v0, 0
	global_load_b32 v1, v0, s[2:3] offset:28
	s_wait_loadcnt 0x0
	v_cmp_eq_u32_e32 vcc_lo, 8, v1
	s_cbranch_vccnz .LBB75_94
; %bb.93:
	v_lshlrev_b32_e32 v1, 3, v1
	s_delay_alu instid0(VALU_DEP_1)
	v_mov_b32_e32 v3, v1
	scratch_load_b64 v[1:2], v3, off offset:-8
	scratch_load_b64 v[28:29], off, off offset:56
	s_wait_loadcnt 0x1
	scratch_store_b64 off, v[1:2], off offset:56
	s_wait_loadcnt 0x0
	scratch_store_b64 v3, v[28:29], off offset:-8
.LBB75_94:
	global_load_b32 v0, v0, s[2:3] offset:24
	s_wait_loadcnt 0x0
	v_cmp_eq_u32_e32 vcc_lo, 7, v0
	s_cbranch_vccnz .LBB75_96
; %bb.95:
	v_lshlrev_b32_e32 v0, 3, v0
	s_delay_alu instid0(VALU_DEP_1)
	v_mov_b32_e32 v28, v0
	scratch_load_b64 v[0:1], v28, off offset:-8
	scratch_load_b64 v[2:3], off, off offset:48
	s_wait_loadcnt 0x1
	scratch_store_b64 off, v[0:1], off offset:48
	s_wait_loadcnt 0x0
	scratch_store_b64 v28, v[2:3], off offset:-8
.LBB75_96:
	;; [unrolled: 31-line block ×4, first 2 shown]
	v_mov_b32_e32 v0, 0
	global_load_b32 v1, v0, s[2:3] offset:4
	s_wait_loadcnt 0x0
	v_cmp_eq_u32_e32 vcc_lo, 2, v1
	s_cbranch_vccnz .LBB75_106
; %bb.105:
	v_lshlrev_b32_e32 v1, 3, v1
	s_delay_alu instid0(VALU_DEP_1)
	v_mov_b32_e32 v3, v1
	scratch_load_b64 v[1:2], v3, off offset:-8
	scratch_load_b64 v[28:29], off, off offset:8
	s_wait_loadcnt 0x1
	scratch_store_b64 off, v[1:2], off offset:8
	s_wait_loadcnt 0x0
	scratch_store_b64 v3, v[28:29], off offset:-8
.LBB75_106:
	global_load_b32 v0, v0, s[2:3]
	s_wait_loadcnt 0x0
	v_cmp_eq_u32_e32 vcc_lo, 1, v0
	s_cbranch_vccnz .LBB75_108
; %bb.107:
	v_lshlrev_b32_e32 v0, 3, v0
	s_delay_alu instid0(VALU_DEP_1)
	v_mov_b32_e32 v28, v0
	scratch_load_b64 v[0:1], v28, off offset:-8
	scratch_load_b64 v[2:3], off, off
	s_wait_loadcnt 0x1
	scratch_store_b64 off, v[0:1], off
	s_wait_loadcnt 0x0
	scratch_store_b64 v28, v[2:3], off offset:-8
.LBB75_108:
	scratch_load_b64 v[0:1], off, off
	s_wait_loadcnt 0x0
	flat_store_b64 v[4:5], v[0:1]
	scratch_load_b64 v[0:1], off, off offset:8
	s_wait_loadcnt 0x0
	flat_store_b64 v[6:7], v[0:1]
	scratch_load_b64 v[0:1], off, off offset:16
	;; [unrolled: 3-line block ×11, first 2 shown]
	s_wait_loadcnt 0x0
	flat_store_b64 v[26:27], v[0:1]
	s_endpgm
	.section	.rodata,"a",@progbits
	.p2align	6, 0x0
	.amdhsa_kernel _ZN9rocsolver6v33100L18getri_kernel_smallILi12E19rocblas_complex_numIfEPKPS3_EEvT1_iilPiilS8_bb
		.amdhsa_group_segment_fixed_size 196
		.amdhsa_private_segment_fixed_size 112
		.amdhsa_kernarg_size 60
		.amdhsa_user_sgpr_count 2
		.amdhsa_user_sgpr_dispatch_ptr 0
		.amdhsa_user_sgpr_queue_ptr 0
		.amdhsa_user_sgpr_kernarg_segment_ptr 1
		.amdhsa_user_sgpr_dispatch_id 0
		.amdhsa_user_sgpr_private_segment_size 0
		.amdhsa_wavefront_size32 1
		.amdhsa_uses_dynamic_stack 0
		.amdhsa_enable_private_segment 1
		.amdhsa_system_sgpr_workgroup_id_x 1
		.amdhsa_system_sgpr_workgroup_id_y 0
		.amdhsa_system_sgpr_workgroup_id_z 0
		.amdhsa_system_sgpr_workgroup_info 0
		.amdhsa_system_vgpr_workitem_id 0
		.amdhsa_next_free_vgpr 82
		.amdhsa_next_free_sgpr 19
		.amdhsa_reserve_vcc 1
		.amdhsa_float_round_mode_32 0
		.amdhsa_float_round_mode_16_64 0
		.amdhsa_float_denorm_mode_32 3
		.amdhsa_float_denorm_mode_16_64 3
		.amdhsa_fp16_overflow 0
		.amdhsa_workgroup_processor_mode 1
		.amdhsa_memory_ordered 1
		.amdhsa_forward_progress 1
		.amdhsa_inst_pref_size 84
		.amdhsa_round_robin_scheduling 0
		.amdhsa_exception_fp_ieee_invalid_op 0
		.amdhsa_exception_fp_denorm_src 0
		.amdhsa_exception_fp_ieee_div_zero 0
		.amdhsa_exception_fp_ieee_overflow 0
		.amdhsa_exception_fp_ieee_underflow 0
		.amdhsa_exception_fp_ieee_inexact 0
		.amdhsa_exception_int_div_zero 0
	.end_amdhsa_kernel
	.section	.text._ZN9rocsolver6v33100L18getri_kernel_smallILi12E19rocblas_complex_numIfEPKPS3_EEvT1_iilPiilS8_bb,"axG",@progbits,_ZN9rocsolver6v33100L18getri_kernel_smallILi12E19rocblas_complex_numIfEPKPS3_EEvT1_iilPiilS8_bb,comdat
.Lfunc_end75:
	.size	_ZN9rocsolver6v33100L18getri_kernel_smallILi12E19rocblas_complex_numIfEPKPS3_EEvT1_iilPiilS8_bb, .Lfunc_end75-_ZN9rocsolver6v33100L18getri_kernel_smallILi12E19rocblas_complex_numIfEPKPS3_EEvT1_iilPiilS8_bb
                                        ; -- End function
	.set _ZN9rocsolver6v33100L18getri_kernel_smallILi12E19rocblas_complex_numIfEPKPS3_EEvT1_iilPiilS8_bb.num_vgpr, 82
	.set _ZN9rocsolver6v33100L18getri_kernel_smallILi12E19rocblas_complex_numIfEPKPS3_EEvT1_iilPiilS8_bb.num_agpr, 0
	.set _ZN9rocsolver6v33100L18getri_kernel_smallILi12E19rocblas_complex_numIfEPKPS3_EEvT1_iilPiilS8_bb.numbered_sgpr, 19
	.set _ZN9rocsolver6v33100L18getri_kernel_smallILi12E19rocblas_complex_numIfEPKPS3_EEvT1_iilPiilS8_bb.num_named_barrier, 0
	.set _ZN9rocsolver6v33100L18getri_kernel_smallILi12E19rocblas_complex_numIfEPKPS3_EEvT1_iilPiilS8_bb.private_seg_size, 112
	.set _ZN9rocsolver6v33100L18getri_kernel_smallILi12E19rocblas_complex_numIfEPKPS3_EEvT1_iilPiilS8_bb.uses_vcc, 1
	.set _ZN9rocsolver6v33100L18getri_kernel_smallILi12E19rocblas_complex_numIfEPKPS3_EEvT1_iilPiilS8_bb.uses_flat_scratch, 1
	.set _ZN9rocsolver6v33100L18getri_kernel_smallILi12E19rocblas_complex_numIfEPKPS3_EEvT1_iilPiilS8_bb.has_dyn_sized_stack, 0
	.set _ZN9rocsolver6v33100L18getri_kernel_smallILi12E19rocblas_complex_numIfEPKPS3_EEvT1_iilPiilS8_bb.has_recursion, 0
	.set _ZN9rocsolver6v33100L18getri_kernel_smallILi12E19rocblas_complex_numIfEPKPS3_EEvT1_iilPiilS8_bb.has_indirect_call, 0
	.section	.AMDGPU.csdata,"",@progbits
; Kernel info:
; codeLenInByte = 10752
; TotalNumSgprs: 21
; NumVgprs: 82
; ScratchSize: 112
; MemoryBound: 0
; FloatMode: 240
; IeeeMode: 1
; LDSByteSize: 196 bytes/workgroup (compile time only)
; SGPRBlocks: 0
; VGPRBlocks: 10
; NumSGPRsForWavesPerEU: 21
; NumVGPRsForWavesPerEU: 82
; Occupancy: 16
; WaveLimiterHint : 1
; COMPUTE_PGM_RSRC2:SCRATCH_EN: 1
; COMPUTE_PGM_RSRC2:USER_SGPR: 2
; COMPUTE_PGM_RSRC2:TRAP_HANDLER: 0
; COMPUTE_PGM_RSRC2:TGID_X_EN: 1
; COMPUTE_PGM_RSRC2:TGID_Y_EN: 0
; COMPUTE_PGM_RSRC2:TGID_Z_EN: 0
; COMPUTE_PGM_RSRC2:TIDIG_COMP_CNT: 0
	.section	.text._ZN9rocsolver6v33100L18getri_kernel_smallILi13E19rocblas_complex_numIfEPKPS3_EEvT1_iilPiilS8_bb,"axG",@progbits,_ZN9rocsolver6v33100L18getri_kernel_smallILi13E19rocblas_complex_numIfEPKPS3_EEvT1_iilPiilS8_bb,comdat
	.globl	_ZN9rocsolver6v33100L18getri_kernel_smallILi13E19rocblas_complex_numIfEPKPS3_EEvT1_iilPiilS8_bb ; -- Begin function _ZN9rocsolver6v33100L18getri_kernel_smallILi13E19rocblas_complex_numIfEPKPS3_EEvT1_iilPiilS8_bb
	.p2align	8
	.type	_ZN9rocsolver6v33100L18getri_kernel_smallILi13E19rocblas_complex_numIfEPKPS3_EEvT1_iilPiilS8_bb,@function
_ZN9rocsolver6v33100L18getri_kernel_smallILi13E19rocblas_complex_numIfEPKPS3_EEvT1_iilPiilS8_bb: ; @_ZN9rocsolver6v33100L18getri_kernel_smallILi13E19rocblas_complex_numIfEPKPS3_EEvT1_iilPiilS8_bb
; %bb.0:
	s_mov_b32 s2, exec_lo
	v_cmpx_gt_u32_e32 13, v0
	s_cbranch_execz .LBB76_66
; %bb.1:
	s_clause 0x1
	s_load_b32 s13, s[0:1], 0x38
	s_load_b64 s[2:3], s[0:1], 0x0
	s_mov_b32 s8, ttmp9
	s_load_b128 s[4:7], s[0:1], 0x28
	s_wait_kmcnt 0x0
	s_bitcmp1_b32 s13, 8
	s_cselect_b32 s12, -1, 0
	s_ashr_i32 s9, ttmp9, 31
	s_delay_alu instid0(SALU_CYCLE_1) | instskip(NEXT) | instid1(SALU_CYCLE_1)
	s_lshl_b64 s[10:11], s[8:9], 3
	s_add_nc_u64 s[2:3], s[2:3], s[10:11]
	s_load_b64 s[10:11], s[2:3], 0x0
	s_bfe_u32 s2, s13, 0x10008
	s_delay_alu instid0(SALU_CYCLE_1)
	s_cmp_eq_u32 s2, 0
                                        ; implicit-def: $sgpr2_sgpr3
	s_cbranch_scc1 .LBB76_3
; %bb.2:
	s_load_b96 s[16:18], s[0:1], 0x18
	s_mul_u64 s[2:3], s[4:5], s[8:9]
	s_delay_alu instid0(SALU_CYCLE_1)
	s_lshl_b64 s[2:3], s[2:3], 2
	s_wait_kmcnt 0x0
	s_ashr_i32 s5, s18, 31
	s_mov_b32 s4, s18
	s_add_nc_u64 s[2:3], s[16:17], s[2:3]
	s_lshl_b64 s[4:5], s[4:5], 2
	s_delay_alu instid0(SALU_CYCLE_1)
	s_add_nc_u64 s[2:3], s[2:3], s[4:5]
.LBB76_3:
	s_clause 0x1
	s_load_b64 s[4:5], s[0:1], 0x8
	s_load_b32 s13, s[0:1], 0x38
	v_lshlrev_b32_e32 v3, 3, v0
	s_wait_kmcnt 0x0
	s_ashr_i32 s1, s4, 31
	s_mov_b32 s0, s4
	v_add3_u32 v10, s5, s5, v0
	s_lshl_b64 s[0:1], s[0:1], 3
	s_delay_alu instid0(SALU_CYCLE_1)
	s_add_nc_u64 s[0:1], s[10:11], s[0:1]
	s_ashr_i32 s11, s5, 31
	v_add_co_u32 v4, s4, s0, v3
	s_wait_alu 0xf1ff
	v_add_co_ci_u32_e64 v5, null, s1, 0, s4
	s_mov_b32 s10, s5
	v_ashrrev_i32_e32 v11, 31, v10
	s_lshl_b64 s[10:11], s[10:11], 3
	flat_load_b64 v[1:2], v[4:5]
	v_add_co_u32 v6, vcc_lo, v4, s10
	s_delay_alu instid0(VALU_DEP_1) | instskip(SKIP_3) | instid1(VALU_DEP_2)
	v_add_co_ci_u32_e64 v7, null, s11, v5, vcc_lo
	v_lshlrev_b64_e32 v[8:9], 3, v[10:11]
	v_add_nc_u32_e32 v12, s5, v10
	s_bitcmp0_b32 s13, 0
	v_add_co_u32 v8, vcc_lo, s0, v8
	s_wait_alu 0xfffd
	s_delay_alu instid0(VALU_DEP_3) | instskip(SKIP_2) | instid1(VALU_DEP_2)
	v_add_co_ci_u32_e64 v9, null, s1, v9, vcc_lo
	v_ashrrev_i32_e32 v13, 31, v12
	v_add_nc_u32_e32 v14, s5, v12
	v_lshlrev_b64_e32 v[10:11], 3, v[12:13]
	s_delay_alu instid0(VALU_DEP_2) | instskip(SKIP_1) | instid1(VALU_DEP_3)
	v_ashrrev_i32_e32 v15, 31, v14
	v_add_nc_u32_e32 v16, s5, v14
	v_add_co_u32 v10, vcc_lo, s0, v10
	s_wait_alu 0xfffd
	s_delay_alu instid0(VALU_DEP_4) | instskip(SKIP_3) | instid1(VALU_DEP_3)
	v_add_co_ci_u32_e64 v11, null, s1, v11, vcc_lo
	v_lshlrev_b64_e32 v[12:13], 3, v[14:15]
	v_ashrrev_i32_e32 v17, 31, v16
	v_add_nc_u32_e32 v18, s5, v16
	v_add_co_u32 v12, vcc_lo, s0, v12
	s_wait_alu 0xfffd
	s_delay_alu instid0(VALU_DEP_4) | instskip(SKIP_3) | instid1(VALU_DEP_3)
	v_add_co_ci_u32_e64 v13, null, s1, v13, vcc_lo
	v_lshlrev_b64_e32 v[14:15], 3, v[16:17]
	;; [unrolled: 7-line block ×6, first 2 shown]
	v_ashrrev_i32_e32 v27, 31, v26
	v_add_nc_u32_e32 v28, s5, v26
	v_add_co_u32 v22, vcc_lo, s0, v22
	s_wait_alu 0xfffd
	s_delay_alu instid0(VALU_DEP_4) | instskip(SKIP_2) | instid1(VALU_DEP_2)
	v_add_co_ci_u32_e64 v23, null, s1, v23, vcc_lo
	v_lshlrev_b64_e32 v[24:25], 3, v[26:27]
	v_ashrrev_i32_e32 v29, 31, v28
	v_add_co_u32 v24, vcc_lo, s0, v24
	s_wait_alu 0xfffd
	s_delay_alu instid0(VALU_DEP_3) | instskip(NEXT) | instid1(VALU_DEP_3)
	v_add_co_ci_u32_e64 v25, null, s1, v25, vcc_lo
	v_lshlrev_b64_e32 v[26:27], 3, v[28:29]
	v_add_nc_u32_e32 v28, s5, v28
	s_delay_alu instid0(VALU_DEP_2) | instskip(SKIP_1) | instid1(VALU_DEP_3)
	v_add_co_u32 v26, vcc_lo, s0, v26
	s_wait_alu 0xfffd
	v_add_co_ci_u32_e64 v27, null, s1, v27, vcc_lo
	s_delay_alu instid0(VALU_DEP_3) | instskip(NEXT) | instid1(VALU_DEP_1)
	v_ashrrev_i32_e32 v29, 31, v28
	v_lshlrev_b64_e32 v[28:29], 3, v[28:29]
	s_delay_alu instid0(VALU_DEP_1) | instskip(SKIP_1) | instid1(VALU_DEP_2)
	v_add_co_u32 v28, vcc_lo, s0, v28
	s_wait_alu 0xfffd
	v_add_co_ci_u32_e64 v29, null, s1, v29, vcc_lo
	s_mov_b32 s1, -1
	s_wait_loadcnt_dscnt 0x0
	scratch_store_b64 off, v[1:2], off
	flat_load_b64 v[1:2], v[6:7]
	s_wait_loadcnt_dscnt 0x0
	scratch_store_b64 off, v[1:2], off offset:8
	flat_load_b64 v[1:2], v[8:9]
	s_wait_loadcnt_dscnt 0x0
	scratch_store_b64 off, v[1:2], off offset:16
	;; [unrolled: 3-line block ×12, first 2 shown]
	s_cbranch_scc1 .LBB76_64
; %bb.4:
	v_cmp_eq_u32_e64 s0, 0, v0
	s_and_saveexec_b32 s1, s0
; %bb.5:
	v_mov_b32_e32 v1, 0
	ds_store_b32 v1, v1 offset:104
; %bb.6:
	s_wait_alu 0xfffe
	s_or_b32 exec_lo, exec_lo, s1
	s_wait_storecnt_dscnt 0x0
	s_barrier_signal -1
	s_barrier_wait -1
	global_inv scope:SCOPE_SE
	scratch_load_b64 v[1:2], v3, off
	s_wait_loadcnt 0x0
	v_cmp_eq_f32_e32 vcc_lo, 0, v1
	v_cmp_eq_f32_e64 s1, 0, v2
	s_and_b32 s1, vcc_lo, s1
	s_wait_alu 0xfffe
	s_and_saveexec_b32 s4, s1
	s_cbranch_execz .LBB76_10
; %bb.7:
	v_mov_b32_e32 v1, 0
	s_mov_b32 s5, 0
	ds_load_b32 v2, v1 offset:104
	s_wait_dscnt 0x0
	v_readfirstlane_b32 s1, v2
	v_add_nc_u32_e32 v2, 1, v0
	s_cmp_eq_u32 s1, 0
	s_delay_alu instid0(VALU_DEP_1)
	v_cmp_gt_i32_e32 vcc_lo, s1, v2
	s_cselect_b32 s10, -1, 0
	s_wait_alu 0xfffe
	s_or_b32 s10, s10, vcc_lo
	s_wait_alu 0xfffe
	s_and_b32 exec_lo, exec_lo, s10
	s_cbranch_execz .LBB76_10
; %bb.8:
	v_mov_b32_e32 v30, s1
.LBB76_9:                               ; =>This Inner Loop Header: Depth=1
	ds_cmpstore_rtn_b32 v30, v1, v2, v30 offset:104
	s_wait_dscnt 0x0
	v_cmp_ne_u32_e32 vcc_lo, 0, v30
	v_cmp_le_i32_e64 s1, v30, v2
	s_and_b32 s1, vcc_lo, s1
	s_wait_alu 0xfffe
	s_and_b32 s1, exec_lo, s1
	s_wait_alu 0xfffe
	s_or_b32 s5, s1, s5
	s_wait_alu 0xfffe
	s_and_not1_b32 exec_lo, exec_lo, s5
	s_cbranch_execnz .LBB76_9
.LBB76_10:
	s_wait_alu 0xfffe
	s_or_b32 exec_lo, exec_lo, s4
	v_mov_b32_e32 v1, 0
	s_barrier_signal -1
	s_barrier_wait -1
	global_inv scope:SCOPE_SE
	ds_load_b32 v2, v1 offset:104
	s_and_saveexec_b32 s1, s0
	s_cbranch_execz .LBB76_12
; %bb.11:
	s_lshl_b64 s[4:5], s[8:9], 2
	s_wait_alu 0xfffe
	s_add_nc_u64 s[4:5], s[6:7], s[4:5]
	s_wait_dscnt 0x0
	global_store_b32 v1, v2, s[4:5]
.LBB76_12:
	s_wait_alu 0xfffe
	s_or_b32 exec_lo, exec_lo, s1
	s_wait_dscnt 0x0
	v_cmp_ne_u32_e32 vcc_lo, 0, v2
	s_mov_b32 s1, 0
	s_cbranch_vccnz .LBB76_64
; %bb.13:
	v_mov_b32_e32 v34, v3
                                        ; implicit-def: $vgpr30
                                        ; implicit-def: $vgpr32
	scratch_load_b64 v[1:2], v34, off
	s_wait_loadcnt 0x0
	v_cmp_ngt_f32_e64 s1, |v1|, |v2|
	s_wait_alu 0xfffe
	s_and_saveexec_b32 s4, s1
	s_wait_alu 0xfffe
	s_xor_b32 s1, exec_lo, s4
	s_cbranch_execz .LBB76_15
; %bb.14:
	v_div_scale_f32 v30, null, v2, v2, v1
	v_div_scale_f32 v33, vcc_lo, v1, v2, v1
	s_delay_alu instid0(VALU_DEP_2) | instskip(NEXT) | instid1(TRANS32_DEP_1)
	v_rcp_f32_e32 v31, v30
	v_fma_f32 v32, -v30, v31, 1.0
	s_delay_alu instid0(VALU_DEP_1) | instskip(NEXT) | instid1(VALU_DEP_1)
	v_fmac_f32_e32 v31, v32, v31
	v_mul_f32_e32 v32, v33, v31
	s_delay_alu instid0(VALU_DEP_1) | instskip(NEXT) | instid1(VALU_DEP_1)
	v_fma_f32 v35, -v30, v32, v33
	v_fmac_f32_e32 v32, v35, v31
	s_delay_alu instid0(VALU_DEP_1) | instskip(SKIP_1) | instid1(VALU_DEP_1)
	v_fma_f32 v30, -v30, v32, v33
	s_wait_alu 0xfffd
	v_div_fmas_f32 v30, v30, v31, v32
	s_delay_alu instid0(VALU_DEP_1) | instskip(NEXT) | instid1(VALU_DEP_1)
	v_div_fixup_f32 v30, v30, v2, v1
	v_fmac_f32_e32 v2, v1, v30
	s_delay_alu instid0(VALU_DEP_1) | instskip(NEXT) | instid1(VALU_DEP_1)
	v_div_scale_f32 v1, null, v2, v2, 1.0
	v_rcp_f32_e32 v31, v1
	s_delay_alu instid0(TRANS32_DEP_1) | instskip(NEXT) | instid1(VALU_DEP_1)
	v_fma_f32 v32, -v1, v31, 1.0
	v_fmac_f32_e32 v31, v32, v31
	v_div_scale_f32 v32, vcc_lo, 1.0, v2, 1.0
	s_delay_alu instid0(VALU_DEP_1) | instskip(NEXT) | instid1(VALU_DEP_1)
	v_mul_f32_e32 v33, v32, v31
	v_fma_f32 v35, -v1, v33, v32
	s_delay_alu instid0(VALU_DEP_1) | instskip(NEXT) | instid1(VALU_DEP_1)
	v_fmac_f32_e32 v33, v35, v31
	v_fma_f32 v1, -v1, v33, v32
	s_wait_alu 0xfffd
	s_delay_alu instid0(VALU_DEP_1) | instskip(NEXT) | instid1(VALU_DEP_1)
	v_div_fmas_f32 v1, v1, v31, v33
	v_div_fixup_f32 v1, v1, v2, 1.0
	s_delay_alu instid0(VALU_DEP_1) | instskip(SKIP_1) | instid1(VALU_DEP_2)
	v_mul_f32_e32 v30, v30, v1
	v_xor_b32_e32 v31, 0x80000000, v1
                                        ; implicit-def: $vgpr1_vgpr2
	v_xor_b32_e32 v32, 0x80000000, v30
.LBB76_15:
	s_wait_alu 0xfffe
	s_and_not1_saveexec_b32 s1, s1
	s_cbranch_execz .LBB76_17
; %bb.16:
	v_div_scale_f32 v30, null, v1, v1, v2
	v_div_scale_f32 v33, vcc_lo, v2, v1, v2
	s_delay_alu instid0(VALU_DEP_2) | instskip(NEXT) | instid1(TRANS32_DEP_1)
	v_rcp_f32_e32 v31, v30
	v_fma_f32 v32, -v30, v31, 1.0
	s_delay_alu instid0(VALU_DEP_1) | instskip(NEXT) | instid1(VALU_DEP_1)
	v_fmac_f32_e32 v31, v32, v31
	v_mul_f32_e32 v32, v33, v31
	s_delay_alu instid0(VALU_DEP_1) | instskip(NEXT) | instid1(VALU_DEP_1)
	v_fma_f32 v35, -v30, v32, v33
	v_fmac_f32_e32 v32, v35, v31
	s_delay_alu instid0(VALU_DEP_1) | instskip(SKIP_1) | instid1(VALU_DEP_1)
	v_fma_f32 v30, -v30, v32, v33
	s_wait_alu 0xfffd
	v_div_fmas_f32 v30, v30, v31, v32
	s_delay_alu instid0(VALU_DEP_1) | instskip(NEXT) | instid1(VALU_DEP_1)
	v_div_fixup_f32 v31, v30, v1, v2
	v_fmac_f32_e32 v1, v2, v31
	s_delay_alu instid0(VALU_DEP_1) | instskip(NEXT) | instid1(VALU_DEP_1)
	v_div_scale_f32 v2, null, v1, v1, 1.0
	v_rcp_f32_e32 v30, v2
	s_delay_alu instid0(TRANS32_DEP_1) | instskip(NEXT) | instid1(VALU_DEP_1)
	v_fma_f32 v32, -v2, v30, 1.0
	v_fmac_f32_e32 v30, v32, v30
	v_div_scale_f32 v33, vcc_lo, 1.0, v1, 1.0
	s_delay_alu instid0(VALU_DEP_1) | instskip(NEXT) | instid1(VALU_DEP_1)
	v_mul_f32_e32 v32, v33, v30
	v_fma_f32 v35, -v2, v32, v33
	s_delay_alu instid0(VALU_DEP_1) | instskip(NEXT) | instid1(VALU_DEP_1)
	v_fmac_f32_e32 v32, v35, v30
	v_fma_f32 v2, -v2, v32, v33
	s_wait_alu 0xfffd
	s_delay_alu instid0(VALU_DEP_1) | instskip(NEXT) | instid1(VALU_DEP_1)
	v_div_fmas_f32 v2, v2, v30, v32
	v_div_fixup_f32 v30, v2, v1, 1.0
	s_delay_alu instid0(VALU_DEP_1)
	v_xor_b32_e32 v32, 0x80000000, v30
	v_mul_f32_e64 v31, v31, -v30
.LBB76_17:
	s_wait_alu 0xfffe
	s_or_b32 exec_lo, exec_lo, s1
	scratch_store_b64 v34, v[30:31], off
	scratch_load_b64 v[35:36], off, off offset:8
	v_xor_b32_e32 v33, 0x80000000, v31
	v_add_nc_u32_e32 v1, 0x70, v3
	s_wait_loadcnt 0x0
	ds_store_2addr_b64 v3, v[32:33], v[35:36] offset1:14
	s_wait_storecnt_dscnt 0x0
	s_barrier_signal -1
	s_barrier_wait -1
	global_inv scope:SCOPE_SE
	s_and_saveexec_b32 s1, s0
	s_cbranch_execz .LBB76_19
; %bb.18:
	scratch_load_b64 v[30:31], v34, off
	ds_load_b64 v[32:33], v1
	v_mov_b32_e32 v2, 0
	ds_load_b64 v[35:36], v2 offset:8
	s_wait_loadcnt_dscnt 0x1
	v_mul_f32_e32 v2, v32, v31
	v_mul_f32_e32 v31, v33, v31
	s_delay_alu instid0(VALU_DEP_2) | instskip(NEXT) | instid1(VALU_DEP_2)
	v_fmac_f32_e32 v2, v33, v30
	v_fma_f32 v30, v32, v30, -v31
	s_delay_alu instid0(VALU_DEP_2) | instskip(NEXT) | instid1(VALU_DEP_2)
	v_add_f32_e32 v2, 0, v2
	v_add_f32_e32 v30, 0, v30
	s_wait_dscnt 0x0
	s_delay_alu instid0(VALU_DEP_2) | instskip(NEXT) | instid1(VALU_DEP_2)
	v_mul_f32_e32 v32, v2, v36
	v_mul_f32_e32 v31, v30, v36
	s_delay_alu instid0(VALU_DEP_1) | instskip(NEXT) | instid1(VALU_DEP_3)
	v_fmac_f32_e32 v31, v2, v35
	v_fma_f32 v30, v30, v35, -v32
	scratch_store_b64 off, v[30:31], off offset:8
.LBB76_19:
	s_wait_alu 0xfffe
	s_or_b32 exec_lo, exec_lo, s1
	s_wait_loadcnt 0x0
	s_wait_storecnt 0x0
	s_barrier_signal -1
	s_barrier_wait -1
	global_inv scope:SCOPE_SE
	scratch_load_b64 v[30:31], off, off offset:16
	s_mov_b32 s1, exec_lo
	s_wait_loadcnt 0x0
	ds_store_b64 v1, v[30:31]
	s_wait_dscnt 0x0
	s_barrier_signal -1
	s_barrier_wait -1
	global_inv scope:SCOPE_SE
	v_cmpx_gt_u32_e32 2, v0
	s_cbranch_execz .LBB76_23
; %bb.20:
	scratch_load_b64 v[30:31], v34, off
	ds_load_b64 v[32:33], v1
	s_wait_loadcnt_dscnt 0x0
	v_mul_f32_e32 v2, v33, v31
	s_delay_alu instid0(VALU_DEP_1) | instskip(SKIP_1) | instid1(VALU_DEP_1)
	v_fma_f32 v2, v32, v30, -v2
	v_mul_f32_e32 v31, v32, v31
	v_fmac_f32_e32 v31, v33, v30
	s_delay_alu instid0(VALU_DEP_3) | instskip(NEXT) | instid1(VALU_DEP_2)
	v_add_f32_e32 v30, 0, v2
	v_add_f32_e32 v2, 0, v31
	s_and_saveexec_b32 s4, s0
	s_cbranch_execz .LBB76_22
; %bb.21:
	scratch_load_b64 v[31:32], off, off offset:8
	v_mov_b32_e32 v33, 0
	ds_load_b64 v[35:36], v33 offset:120
	s_wait_loadcnt_dscnt 0x0
	v_mul_f32_e32 v33, v35, v32
	v_mul_f32_e32 v32, v36, v32
	s_delay_alu instid0(VALU_DEP_2) | instskip(NEXT) | instid1(VALU_DEP_2)
	v_fmac_f32_e32 v33, v36, v31
	v_fma_f32 v31, v35, v31, -v32
	s_delay_alu instid0(VALU_DEP_2) | instskip(NEXT) | instid1(VALU_DEP_2)
	v_add_f32_e32 v2, v2, v33
	v_add_f32_e32 v30, v30, v31
.LBB76_22:
	s_wait_alu 0xfffe
	s_or_b32 exec_lo, exec_lo, s4
	v_mov_b32_e32 v31, 0
	ds_load_b64 v[31:32], v31 offset:16
	s_wait_dscnt 0x0
	v_mul_f32_e32 v35, v2, v32
	v_mul_f32_e32 v33, v30, v32
	s_delay_alu instid0(VALU_DEP_2) | instskip(NEXT) | instid1(VALU_DEP_2)
	v_fma_f32 v32, v30, v31, -v35
	v_fmac_f32_e32 v33, v2, v31
	scratch_store_b64 off, v[32:33], off offset:16
.LBB76_23:
	s_wait_alu 0xfffe
	s_or_b32 exec_lo, exec_lo, s1
	s_wait_loadcnt 0x0
	s_wait_storecnt 0x0
	s_barrier_signal -1
	s_barrier_wait -1
	global_inv scope:SCOPE_SE
	scratch_load_b64 v[30:31], off, off offset:24
	v_add_nc_u32_e32 v2, -1, v0
	s_mov_b32 s0, exec_lo
	s_wait_loadcnt 0x0
	ds_store_b64 v1, v[30:31]
	s_wait_dscnt 0x0
	s_barrier_signal -1
	s_barrier_wait -1
	global_inv scope:SCOPE_SE
	v_cmpx_gt_u32_e32 3, v0
	s_cbranch_execz .LBB76_27
; %bb.24:
	v_dual_mov_b32 v30, 0 :: v_dual_add_nc_u32 v31, -1, v0
	v_dual_mov_b32 v33, v3 :: v_dual_add_nc_u32 v32, 0x70, v3
	v_mov_b32_e32 v35, 0
	s_mov_b32 s1, 0
.LBB76_25:                              ; =>This Inner Loop Header: Depth=1
	scratch_load_b64 v[36:37], v33, off
	ds_load_b64 v[38:39], v32
	v_add_nc_u32_e32 v33, 8, v33
	v_add_nc_u32_e32 v31, 1, v31
	v_add_nc_u32_e32 v32, 8, v32
	s_delay_alu instid0(VALU_DEP_2)
	v_cmp_lt_u32_e32 vcc_lo, 1, v31
	s_wait_alu 0xfffe
	s_or_b32 s1, vcc_lo, s1
	s_wait_loadcnt_dscnt 0x0
	v_mul_f32_e32 v40, v39, v37
	v_mul_f32_e32 v37, v38, v37
	s_delay_alu instid0(VALU_DEP_2) | instskip(NEXT) | instid1(VALU_DEP_2)
	v_fma_f32 v38, v38, v36, -v40
	v_fmac_f32_e32 v37, v39, v36
	s_delay_alu instid0(VALU_DEP_1)
	v_dual_add_f32 v35, v35, v38 :: v_dual_add_f32 v30, v30, v37
	s_wait_alu 0xfffe
	s_and_not1_b32 exec_lo, exec_lo, s1
	s_cbranch_execnz .LBB76_25
; %bb.26:
	s_or_b32 exec_lo, exec_lo, s1
	v_mov_b32_e32 v31, 0
	ds_load_b64 v[31:32], v31 offset:24
	s_wait_dscnt 0x0
	v_mul_f32_e32 v36, v30, v32
	v_mul_f32_e32 v33, v35, v32
	s_delay_alu instid0(VALU_DEP_2) | instskip(NEXT) | instid1(VALU_DEP_2)
	v_fma_f32 v32, v35, v31, -v36
	v_fmac_f32_e32 v33, v30, v31
	scratch_store_b64 off, v[32:33], off offset:24
.LBB76_27:
	s_wait_alu 0xfffe
	s_or_b32 exec_lo, exec_lo, s0
	s_wait_loadcnt 0x0
	s_wait_storecnt 0x0
	s_barrier_signal -1
	s_barrier_wait -1
	global_inv scope:SCOPE_SE
	scratch_load_b64 v[30:31], off, off offset:32
	s_mov_b32 s0, exec_lo
	s_wait_loadcnt 0x0
	ds_store_b64 v1, v[30:31]
	s_wait_dscnt 0x0
	s_barrier_signal -1
	s_barrier_wait -1
	global_inv scope:SCOPE_SE
	v_cmpx_gt_u32_e32 4, v0
	s_cbranch_execz .LBB76_31
; %bb.28:
	v_dual_mov_b32 v30, 0 :: v_dual_add_nc_u32 v31, -1, v0
	v_dual_mov_b32 v33, v3 :: v_dual_add_nc_u32 v32, 0x70, v3
	v_mov_b32_e32 v35, 0
	s_mov_b32 s1, 0
.LBB76_29:                              ; =>This Inner Loop Header: Depth=1
	scratch_load_b64 v[36:37], v33, off
	ds_load_b64 v[38:39], v32
	v_add_nc_u32_e32 v33, 8, v33
	v_add_nc_u32_e32 v31, 1, v31
	v_add_nc_u32_e32 v32, 8, v32
	s_delay_alu instid0(VALU_DEP_2)
	v_cmp_lt_u32_e32 vcc_lo, 2, v31
	s_wait_alu 0xfffe
	s_or_b32 s1, vcc_lo, s1
	s_wait_loadcnt_dscnt 0x0
	v_mul_f32_e32 v40, v39, v37
	v_mul_f32_e32 v37, v38, v37
	s_delay_alu instid0(VALU_DEP_2) | instskip(NEXT) | instid1(VALU_DEP_2)
	v_fma_f32 v38, v38, v36, -v40
	v_fmac_f32_e32 v37, v39, v36
	s_delay_alu instid0(VALU_DEP_1)
	v_dual_add_f32 v35, v35, v38 :: v_dual_add_f32 v30, v30, v37
	s_wait_alu 0xfffe
	s_and_not1_b32 exec_lo, exec_lo, s1
	s_cbranch_execnz .LBB76_29
; %bb.30:
	s_or_b32 exec_lo, exec_lo, s1
	v_mov_b32_e32 v31, 0
	ds_load_b64 v[31:32], v31 offset:32
	s_wait_dscnt 0x0
	v_mul_f32_e32 v36, v30, v32
	v_mul_f32_e32 v33, v35, v32
	s_delay_alu instid0(VALU_DEP_2) | instskip(NEXT) | instid1(VALU_DEP_2)
	v_fma_f32 v32, v35, v31, -v36
	v_fmac_f32_e32 v33, v30, v31
	scratch_store_b64 off, v[32:33], off offset:32
.LBB76_31:
	s_wait_alu 0xfffe
	s_or_b32 exec_lo, exec_lo, s0
	s_wait_loadcnt 0x0
	s_wait_storecnt 0x0
	s_barrier_signal -1
	s_barrier_wait -1
	global_inv scope:SCOPE_SE
	scratch_load_b64 v[30:31], off, off offset:40
	;; [unrolled: 55-line block ×8, first 2 shown]
	s_mov_b32 s0, exec_lo
	s_wait_loadcnt 0x0
	ds_store_b64 v1, v[30:31]
	s_wait_dscnt 0x0
	s_barrier_signal -1
	s_barrier_wait -1
	global_inv scope:SCOPE_SE
	v_cmpx_gt_u32_e32 11, v0
	s_cbranch_execz .LBB76_59
; %bb.56:
	v_add_nc_u32_e32 v30, -1, v0
	v_dual_mov_b32 v32, v3 :: v_dual_add_nc_u32 v31, 0x70, v3
	v_mov_b32_e32 v3, 0
	v_mov_b32_e32 v33, 0
	s_mov_b32 s1, 0
.LBB76_57:                              ; =>This Inner Loop Header: Depth=1
	scratch_load_b64 v[35:36], v32, off
	ds_load_b64 v[37:38], v31
	v_add_nc_u32_e32 v32, 8, v32
	v_add_nc_u32_e32 v30, 1, v30
	;; [unrolled: 1-line block ×3, first 2 shown]
	s_delay_alu instid0(VALU_DEP_2)
	v_cmp_lt_u32_e32 vcc_lo, 9, v30
	s_wait_alu 0xfffe
	s_or_b32 s1, vcc_lo, s1
	s_wait_loadcnt_dscnt 0x0
	v_mul_f32_e32 v39, v38, v36
	v_mul_f32_e32 v36, v37, v36
	s_delay_alu instid0(VALU_DEP_2) | instskip(NEXT) | instid1(VALU_DEP_1)
	v_fma_f32 v37, v37, v35, -v39
	v_dual_fmac_f32 v36, v38, v35 :: v_dual_add_f32 v33, v33, v37
	s_delay_alu instid0(VALU_DEP_1)
	v_add_f32_e32 v3, v3, v36
	s_wait_alu 0xfffe
	s_and_not1_b32 exec_lo, exec_lo, s1
	s_cbranch_execnz .LBB76_57
; %bb.58:
	s_or_b32 exec_lo, exec_lo, s1
	v_mov_b32_e32 v30, 0
	ds_load_b64 v[30:31], v30 offset:88
	s_wait_dscnt 0x0
	v_mul_f32_e32 v35, v3, v31
	v_mul_f32_e32 v32, v33, v31
	s_delay_alu instid0(VALU_DEP_2) | instskip(NEXT) | instid1(VALU_DEP_2)
	v_fma_f32 v31, v33, v30, -v35
	v_fmac_f32_e32 v32, v3, v30
	scratch_store_b64 off, v[31:32], off offset:88
.LBB76_59:
	s_wait_alu 0xfffe
	s_or_b32 exec_lo, exec_lo, s0
	s_wait_loadcnt 0x0
	s_wait_storecnt 0x0
	s_barrier_signal -1
	s_barrier_wait -1
	global_inv scope:SCOPE_SE
	scratch_load_b64 v[30:31], off, off offset:96
	s_mov_b32 s0, exec_lo
	s_wait_loadcnt 0x0
	ds_store_b64 v1, v[30:31]
	s_wait_dscnt 0x0
	s_barrier_signal -1
	s_barrier_wait -1
	global_inv scope:SCOPE_SE
	v_cmpx_ne_u32_e32 12, v0
	s_cbranch_execz .LBB76_63
; %bb.60:
	v_dual_mov_b32 v3, 0 :: v_dual_mov_b32 v30, 0
	s_mov_b32 s1, 0
.LBB76_61:                              ; =>This Inner Loop Header: Depth=1
	scratch_load_b64 v[31:32], v34, off
	ds_load_b64 v[35:36], v1
	v_add_nc_u32_e32 v2, 1, v2
	v_add_nc_u32_e32 v1, 8, v1
	s_delay_alu instid0(VALU_DEP_2)
	v_cmp_lt_u32_e32 vcc_lo, 10, v2
	s_wait_alu 0xfffe
	s_or_b32 s1, vcc_lo, s1
	s_wait_loadcnt_dscnt 0x0
	v_mul_f32_e32 v33, v36, v32
	v_mul_f32_e32 v32, v35, v32
	s_delay_alu instid0(VALU_DEP_2) | instskip(NEXT) | instid1(VALU_DEP_2)
	v_fma_f32 v33, v35, v31, -v33
	v_fmac_f32_e32 v32, v36, v31
	v_add_nc_u32_e32 v34, 8, v34
	s_delay_alu instid0(VALU_DEP_2)
	v_dual_add_f32 v30, v30, v33 :: v_dual_add_f32 v3, v3, v32
	s_wait_alu 0xfffe
	s_and_not1_b32 exec_lo, exec_lo, s1
	s_cbranch_execnz .LBB76_61
; %bb.62:
	s_or_b32 exec_lo, exec_lo, s1
	v_mov_b32_e32 v1, 0
	ds_load_b64 v[1:2], v1 offset:96
	s_wait_dscnt 0x0
	v_mul_f32_e32 v32, v3, v2
	v_mul_f32_e32 v31, v30, v2
	s_delay_alu instid0(VALU_DEP_2) | instskip(NEXT) | instid1(VALU_DEP_2)
	v_fma_f32 v30, v30, v1, -v32
	v_fmac_f32_e32 v31, v3, v1
	scratch_store_b64 off, v[30:31], off offset:96
.LBB76_63:
	s_wait_alu 0xfffe
	s_or_b32 exec_lo, exec_lo, s0
	s_mov_b32 s1, -1
	s_wait_loadcnt 0x0
	s_wait_storecnt 0x0
	s_barrier_signal -1
	s_barrier_wait -1
	global_inv scope:SCOPE_SE
.LBB76_64:
	s_wait_alu 0xfffe
	s_and_b32 vcc_lo, exec_lo, s1
	s_wait_alu 0xfffe
	s_cbranch_vccz .LBB76_66
; %bb.65:
	v_mov_b32_e32 v1, 0
	s_lshl_b64 s[0:1], s[8:9], 2
	s_wait_alu 0xfffe
	s_add_nc_u64 s[0:1], s[6:7], s[0:1]
	global_load_b32 v1, v1, s[0:1]
	s_wait_loadcnt 0x0
	v_cmp_ne_u32_e32 vcc_lo, 0, v1
	s_cbranch_vccz .LBB76_67
.LBB76_66:
	s_endpgm
.LBB76_67:
	v_lshl_add_u32 v3, v0, 3, 0x70
	s_mov_b32 s0, exec_lo
	v_cmpx_eq_u32_e32 12, v0
	s_cbranch_execz .LBB76_69
; %bb.68:
	scratch_load_b64 v[1:2], off, off offset:88
	v_mov_b32_e32 v30, 0
	s_delay_alu instid0(VALU_DEP_1)
	v_mov_b32_e32 v31, v30
	scratch_store_b64 off, v[30:31], off offset:88
	s_wait_loadcnt 0x0
	ds_store_b64 v3, v[1:2]
.LBB76_69:
	s_wait_alu 0xfffe
	s_or_b32 exec_lo, exec_lo, s0
	s_wait_storecnt_dscnt 0x0
	s_barrier_signal -1
	s_barrier_wait -1
	global_inv scope:SCOPE_SE
	s_clause 0x1
	scratch_load_b64 v[30:31], off, off offset:96
	scratch_load_b64 v[32:33], off, off offset:88
	v_mov_b32_e32 v1, 0
	s_mov_b32 s0, exec_lo
	ds_load_b64 v[34:35], v1 offset:208
	s_wait_loadcnt_dscnt 0x100
	v_mul_f32_e32 v2, v35, v31
	s_delay_alu instid0(VALU_DEP_1) | instskip(NEXT) | instid1(VALU_DEP_1)
	v_fma_f32 v2, v34, v30, -v2
	v_dual_mul_f32 v31, v34, v31 :: v_dual_add_f32 v2, 0, v2
	s_delay_alu instid0(VALU_DEP_1) | instskip(SKIP_1) | instid1(VALU_DEP_1)
	v_fmac_f32_e32 v31, v35, v30
	s_wait_loadcnt 0x0
	v_dual_sub_f32 v30, v32, v2 :: v_dual_add_f32 v31, 0, v31
	s_delay_alu instid0(VALU_DEP_1)
	v_sub_f32_e32 v31, v33, v31
	scratch_store_b64 off, v[30:31], off offset:88
	v_cmpx_lt_u32_e32 10, v0
	s_cbranch_execz .LBB76_71
; %bb.70:
	scratch_load_b64 v[30:31], off, off offset:80
	v_mov_b32_e32 v2, v1
	scratch_store_b64 off, v[1:2], off offset:80
	s_wait_loadcnt 0x0
	ds_store_b64 v3, v[30:31]
.LBB76_71:
	s_wait_alu 0xfffe
	s_or_b32 exec_lo, exec_lo, s0
	s_wait_storecnt_dscnt 0x0
	s_barrier_signal -1
	s_barrier_wait -1
	global_inv scope:SCOPE_SE
	s_clause 0x1
	scratch_load_b128 v[30:33], off, off offset:88
	scratch_load_b64 v[38:39], off, off offset:80
	ds_load_2addr_b64 v[34:37], v1 offset0:25 offset1:26
	s_mov_b32 s0, exec_lo
	s_wait_loadcnt_dscnt 0x100
	v_mul_f32_e32 v2, v34, v31
	s_delay_alu instid0(VALU_DEP_1) | instskip(SKIP_2) | instid1(VALU_DEP_1)
	v_fmac_f32_e32 v2, v35, v30
	v_mul_f32_e32 v1, v35, v31
	v_mul_f32_e32 v31, v36, v33
	v_dual_fmac_f32 v31, v37, v32 :: v_dual_add_f32 v2, 0, v2
	v_mul_f32_e32 v33, v37, v33
	s_delay_alu instid0(VALU_DEP_4) | instskip(NEXT) | instid1(VALU_DEP_3)
	v_fma_f32 v1, v34, v30, -v1
	v_add_f32_e32 v2, v2, v31
	s_delay_alu instid0(VALU_DEP_3) | instskip(SKIP_1) | instid1(VALU_DEP_2)
	v_fma_f32 v30, v36, v32, -v33
	s_wait_loadcnt 0x0
	v_dual_add_f32 v1, 0, v1 :: v_dual_sub_f32 v2, v39, v2
	s_delay_alu instid0(VALU_DEP_1) | instskip(NEXT) | instid1(VALU_DEP_1)
	v_add_f32_e32 v1, v1, v30
	v_sub_f32_e32 v1, v38, v1
	scratch_store_b64 off, v[1:2], off offset:80
	v_cmpx_lt_u32_e32 9, v0
	s_cbranch_execz .LBB76_73
; %bb.72:
	scratch_load_b64 v[1:2], off, off offset:72
	v_mov_b32_e32 v30, 0
	s_delay_alu instid0(VALU_DEP_1)
	v_mov_b32_e32 v31, v30
	scratch_store_b64 off, v[30:31], off offset:72
	s_wait_loadcnt 0x0
	ds_store_b64 v3, v[1:2]
.LBB76_73:
	s_wait_alu 0xfffe
	s_or_b32 exec_lo, exec_lo, s0
	s_wait_storecnt_dscnt 0x0
	s_barrier_signal -1
	s_barrier_wait -1
	global_inv scope:SCOPE_SE
	s_clause 0x2
	scratch_load_b128 v[30:33], off, off offset:80
	scratch_load_b64 v[38:39], off, off offset:96
	scratch_load_b64 v[40:41], off, off offset:72
	v_mov_b32_e32 v1, 0
	ds_load_b128 v[34:37], v1 offset:192
	ds_load_b64 v[42:43], v1 offset:208
	s_mov_b32 s0, exec_lo
	s_wait_loadcnt_dscnt 0x201
	v_mul_f32_e32 v2, v35, v31
	v_dual_mul_f32 v31, v34, v31 :: v_dual_mul_f32 v44, v36, v33
	v_mul_f32_e32 v33, v37, v33
	s_wait_loadcnt_dscnt 0x100
	v_mul_f32_e32 v45, v42, v39
	v_fma_f32 v2, v34, v30, -v2
	s_delay_alu instid0(VALU_DEP_2) | instskip(NEXT) | instid1(VALU_DEP_2)
	v_dual_fmac_f32 v44, v37, v32 :: v_dual_fmac_f32 v45, v43, v38
	v_add_f32_e32 v2, 0, v2
	v_fmac_f32_e32 v31, v35, v30
	v_mul_f32_e32 v30, v43, v39
	v_fma_f32 v32, v36, v32, -v33
	s_delay_alu instid0(VALU_DEP_2) | instskip(NEXT) | instid1(VALU_DEP_2)
	v_fma_f32 v30, v42, v38, -v30
	v_dual_add_f32 v2, v2, v32 :: v_dual_add_f32 v31, 0, v31
	s_delay_alu instid0(VALU_DEP_1) | instskip(SKIP_1) | instid1(VALU_DEP_1)
	v_dual_add_f32 v2, v2, v30 :: v_dual_add_f32 v31, v31, v44
	s_wait_loadcnt 0x0
	v_dual_sub_f32 v30, v40, v2 :: v_dual_add_f32 v31, v31, v45
	s_delay_alu instid0(VALU_DEP_1)
	v_sub_f32_e32 v31, v41, v31
	scratch_store_b64 off, v[30:31], off offset:72
	v_cmpx_lt_u32_e32 8, v0
	s_cbranch_execz .LBB76_75
; %bb.74:
	scratch_load_b64 v[30:31], off, off offset:64
	v_mov_b32_e32 v2, v1
	scratch_store_b64 off, v[1:2], off offset:64
	s_wait_loadcnt 0x0
	ds_store_b64 v3, v[30:31]
.LBB76_75:
	s_wait_alu 0xfffe
	s_or_b32 exec_lo, exec_lo, s0
	s_wait_storecnt_dscnt 0x0
	s_barrier_signal -1
	s_barrier_wait -1
	global_inv scope:SCOPE_SE
	s_clause 0x2
	scratch_load_b128 v[30:33], off, off offset:72
	scratch_load_b128 v[34:37], off, off offset:88
	scratch_load_b64 v[46:47], off, off offset:64
	ds_load_2addr_b64 v[38:41], v1 offset0:23 offset1:24
	ds_load_2addr_b64 v[42:45], v1 offset0:25 offset1:26
	s_mov_b32 s0, exec_lo
	s_wait_loadcnt_dscnt 0x201
	v_mul_f32_e32 v2, v39, v31
	s_wait_loadcnt_dscnt 0x100
	v_dual_mul_f32 v48, v42, v35 :: v_dual_mul_f32 v49, v44, v37
	s_delay_alu instid0(VALU_DEP_2) | instskip(SKIP_2) | instid1(VALU_DEP_4)
	v_fma_f32 v2, v38, v30, -v2
	v_mul_f32_e32 v1, v38, v31
	v_mul_f32_e32 v31, v40, v33
	v_dual_mul_f32 v33, v41, v33 :: v_dual_fmac_f32 v48, v43, v34
	s_delay_alu instid0(VALU_DEP_4) | instskip(NEXT) | instid1(VALU_DEP_4)
	v_add_f32_e32 v2, 0, v2
	v_fmac_f32_e32 v1, v39, v30
	s_delay_alu instid0(VALU_DEP_4) | instskip(NEXT) | instid1(VALU_DEP_4)
	v_dual_mul_f32 v30, v43, v35 :: v_dual_fmac_f32 v31, v41, v32
	v_fma_f32 v32, v40, v32, -v33
	v_fmac_f32_e32 v49, v45, v36
	s_delay_alu instid0(VALU_DEP_3) | instskip(NEXT) | instid1(VALU_DEP_3)
	v_fma_f32 v30, v42, v34, -v30
	v_dual_add_f32 v2, v2, v32 :: v_dual_add_f32 v1, 0, v1
	s_delay_alu instid0(VALU_DEP_1) | instskip(NEXT) | instid1(VALU_DEP_2)
	v_dual_add_f32 v2, v2, v30 :: v_dual_mul_f32 v33, v45, v37
	v_add_f32_e32 v1, v1, v31
	s_delay_alu instid0(VALU_DEP_2) | instskip(NEXT) | instid1(VALU_DEP_1)
	v_fma_f32 v31, v44, v36, -v33
	v_dual_add_f32 v1, v1, v48 :: v_dual_add_f32 v2, v2, v31
	s_wait_loadcnt 0x0
	s_delay_alu instid0(VALU_DEP_1) | instskip(NEXT) | instid1(VALU_DEP_1)
	v_dual_add_f32 v30, v1, v49 :: v_dual_sub_f32 v1, v46, v2
	v_sub_f32_e32 v2, v47, v30
	scratch_store_b64 off, v[1:2], off offset:64
	v_cmpx_lt_u32_e32 7, v0
	s_cbranch_execz .LBB76_77
; %bb.76:
	scratch_load_b64 v[1:2], off, off offset:56
	v_mov_b32_e32 v30, 0
	s_delay_alu instid0(VALU_DEP_1)
	v_mov_b32_e32 v31, v30
	scratch_store_b64 off, v[30:31], off offset:56
	s_wait_loadcnt 0x0
	ds_store_b64 v3, v[1:2]
.LBB76_77:
	s_wait_alu 0xfffe
	s_or_b32 exec_lo, exec_lo, s0
	s_wait_storecnt_dscnt 0x0
	s_barrier_signal -1
	s_barrier_wait -1
	global_inv scope:SCOPE_SE
	s_clause 0x3
	scratch_load_b128 v[30:33], off, off offset:64
	scratch_load_b128 v[34:37], off, off offset:80
	scratch_load_b64 v[46:47], off, off offset:96
	scratch_load_b64 v[48:49], off, off offset:56
	v_mov_b32_e32 v1, 0
	ds_load_b128 v[38:41], v1 offset:176
	ds_load_b128 v[42:45], v1 offset:192
	ds_load_b64 v[50:51], v1 offset:208
	s_mov_b32 s0, exec_lo
	s_wait_loadcnt_dscnt 0x302
	v_mul_f32_e32 v2, v38, v31
	v_dual_mul_f32 v52, v40, v33 :: v_dual_mul_f32 v31, v39, v31
	s_wait_loadcnt_dscnt 0x100
	v_mul_f32_e32 v55, v50, v47
	v_dual_mul_f32 v53, v42, v35 :: v_dual_mul_f32 v54, v44, v37
	v_dual_fmac_f32 v2, v39, v30 :: v_dual_mul_f32 v33, v41, v33
	v_fma_f32 v31, v38, v30, -v31
	v_fmac_f32_e32 v52, v41, v32
	v_mul_f32_e32 v30, v43, v35
	s_delay_alu instid0(VALU_DEP_4) | instskip(SKIP_3) | instid1(VALU_DEP_4)
	v_add_f32_e32 v2, 0, v2
	v_fma_f32 v32, v40, v32, -v33
	v_add_f32_e32 v31, 0, v31
	v_mul_f32_e32 v33, v45, v37
	v_dual_fmac_f32 v53, v43, v34 :: v_dual_add_f32 v2, v2, v52
	v_dual_fmac_f32 v54, v45, v36 :: v_dual_fmac_f32 v55, v51, v46
	s_delay_alu instid0(VALU_DEP_4) | instskip(SKIP_1) | instid1(VALU_DEP_4)
	v_add_f32_e32 v31, v31, v32
	v_fma_f32 v30, v42, v34, -v30
	v_add_f32_e32 v2, v2, v53
	v_fma_f32 v33, v44, v36, -v33
	s_delay_alu instid0(VALU_DEP_3) | instskip(NEXT) | instid1(VALU_DEP_3)
	v_add_f32_e32 v30, v31, v30
	v_add_f32_e32 v2, v2, v54
	s_delay_alu instid0(VALU_DEP_2) | instskip(NEXT) | instid1(VALU_DEP_2)
	v_add_f32_e32 v30, v30, v33
	v_add_f32_e32 v2, v2, v55
	v_mul_f32_e32 v32, v51, v47
	s_delay_alu instid0(VALU_DEP_1) | instskip(SKIP_1) | instid1(VALU_DEP_1)
	v_fma_f32 v31, v50, v46, -v32
	s_wait_loadcnt 0x0
	v_dual_add_f32 v30, v30, v31 :: v_dual_sub_f32 v31, v49, v2
	s_delay_alu instid0(VALU_DEP_1)
	v_sub_f32_e32 v30, v48, v30
	scratch_store_b64 off, v[30:31], off offset:56
	v_cmpx_lt_u32_e32 6, v0
	s_cbranch_execz .LBB76_79
; %bb.78:
	scratch_load_b64 v[30:31], off, off offset:48
	v_mov_b32_e32 v2, v1
	scratch_store_b64 off, v[1:2], off offset:48
	s_wait_loadcnt 0x0
	ds_store_b64 v3, v[30:31]
.LBB76_79:
	s_wait_alu 0xfffe
	s_or_b32 exec_lo, exec_lo, s0
	s_wait_storecnt_dscnt 0x0
	s_barrier_signal -1
	s_barrier_wait -1
	global_inv scope:SCOPE_SE
	s_clause 0x3
	scratch_load_b128 v[30:33], off, off offset:56
	scratch_load_b128 v[34:37], off, off offset:72
	;; [unrolled: 1-line block ×3, first 2 shown]
	scratch_load_b64 v[54:55], off, off offset:48
	ds_load_2addr_b64 v[42:45], v1 offset0:21 offset1:22
	ds_load_2addr_b64 v[46:49], v1 offset0:23 offset1:24
	;; [unrolled: 1-line block ×3, first 2 shown]
	s_mov_b32 s0, exec_lo
	s_wait_loadcnt_dscnt 0x302
	v_dual_mul_f32 v1, v42, v31 :: v_dual_mul_f32 v2, v44, v33
	v_mul_f32_e32 v31, v43, v31
	s_wait_loadcnt_dscnt 0x201
	v_dual_mul_f32 v33, v45, v33 :: v_dual_mul_f32 v56, v46, v35
	s_delay_alu instid0(VALU_DEP_3) | instskip(NEXT) | instid1(VALU_DEP_3)
	v_dual_mul_f32 v57, v48, v37 :: v_dual_fmac_f32 v2, v45, v32
	v_fma_f32 v31, v42, v30, -v31
	v_fmac_f32_e32 v1, v43, v30
	v_mul_f32_e32 v30, v47, v35
	v_fma_f32 v32, v44, v32, -v33
	s_delay_alu instid0(VALU_DEP_4)
	v_dual_fmac_f32 v56, v47, v34 :: v_dual_add_f32 v31, 0, v31
	s_wait_loadcnt_dscnt 0x100
	v_dual_mul_f32 v58, v50, v39 :: v_dual_mul_f32 v59, v52, v41
	v_fma_f32 v30, v46, v34, -v30
	v_fmac_f32_e32 v57, v49, v36
	v_add_f32_e32 v31, v31, v32
	s_delay_alu instid0(VALU_DEP_4) | instskip(NEXT) | instid1(VALU_DEP_2)
	v_dual_mul_f32 v33, v49, v37 :: v_dual_fmac_f32 v58, v51, v38
	v_dual_fmac_f32 v59, v53, v40 :: v_dual_add_f32 v30, v31, v30
	s_delay_alu instid0(VALU_DEP_2) | instskip(NEXT) | instid1(VALU_DEP_1)
	v_fma_f32 v32, v48, v36, -v33
	v_dual_mul_f32 v31, v53, v41 :: v_dual_add_f32 v30, v30, v32
	v_add_f32_e32 v1, 0, v1
	s_delay_alu instid0(VALU_DEP_2) | instskip(NEXT) | instid1(VALU_DEP_2)
	v_fma_f32 v31, v52, v40, -v31
	v_dual_add_f32 v1, v1, v2 :: v_dual_mul_f32 v2, v51, v39
	s_delay_alu instid0(VALU_DEP_1) | instskip(NEXT) | instid1(VALU_DEP_1)
	v_fma_f32 v2, v50, v38, -v2
	v_add_f32_e32 v2, v30, v2
	s_delay_alu instid0(VALU_DEP_1) | instskip(NEXT) | instid1(VALU_DEP_1)
	v_dual_add_f32 v2, v2, v31 :: v_dual_add_f32 v1, v1, v56
	v_add_f32_e32 v1, v1, v57
	s_delay_alu instid0(VALU_DEP_1) | instskip(SKIP_1) | instid1(VALU_DEP_1)
	v_add_f32_e32 v1, v1, v58
	s_wait_loadcnt 0x0
	v_dual_add_f32 v30, v1, v59 :: v_dual_sub_f32 v1, v54, v2
	s_delay_alu instid0(VALU_DEP_1)
	v_sub_f32_e32 v2, v55, v30
	scratch_store_b64 off, v[1:2], off offset:48
	v_cmpx_lt_u32_e32 5, v0
	s_cbranch_execz .LBB76_81
; %bb.80:
	scratch_load_b64 v[1:2], off, off offset:40
	v_mov_b32_e32 v30, 0
	s_delay_alu instid0(VALU_DEP_1)
	v_mov_b32_e32 v31, v30
	scratch_store_b64 off, v[30:31], off offset:40
	s_wait_loadcnt 0x0
	ds_store_b64 v3, v[1:2]
.LBB76_81:
	s_wait_alu 0xfffe
	s_or_b32 exec_lo, exec_lo, s0
	s_wait_storecnt_dscnt 0x0
	s_barrier_signal -1
	s_barrier_wait -1
	global_inv scope:SCOPE_SE
	s_clause 0x4
	scratch_load_b128 v[30:33], off, off offset:48
	scratch_load_b128 v[34:37], off, off offset:64
	;; [unrolled: 1-line block ×3, first 2 shown]
	scratch_load_b64 v[54:55], off, off offset:96
	scratch_load_b64 v[56:57], off, off offset:40
	v_mov_b32_e32 v1, 0
	ds_load_b128 v[42:45], v1 offset:160
	ds_load_b128 v[46:49], v1 offset:176
	ds_load_b128 v[50:53], v1 offset:192
	ds_load_b64 v[58:59], v1 offset:208
	s_mov_b32 s0, exec_lo
	s_wait_loadcnt_dscnt 0x403
	v_mul_f32_e32 v2, v42, v31
	s_wait_loadcnt_dscnt 0x302
	v_dual_mul_f32 v60, v44, v33 :: v_dual_mul_f32 v61, v46, v35
	v_dual_mul_f32 v62, v48, v37 :: v_dual_mul_f32 v31, v43, v31
	s_wait_loadcnt_dscnt 0x100
	v_dual_mul_f32 v65, v58, v55 :: v_dual_fmac_f32 v2, v43, v30
	v_mul_f32_e32 v33, v45, v33
	v_dual_mul_f32 v63, v50, v39 :: v_dual_mul_f32 v64, v52, v41
	v_fma_f32 v31, v42, v30, -v31
	v_fmac_f32_e32 v60, v45, v32
	v_add_f32_e32 v2, 0, v2
	v_mul_f32_e32 v30, v47, v35
	v_fma_f32 v32, v44, v32, -v33
	v_add_f32_e32 v31, 0, v31
	v_mul_f32_e32 v33, v49, v37
	v_dual_fmac_f32 v61, v47, v34 :: v_dual_add_f32 v2, v2, v60
	v_dual_fmac_f32 v62, v49, v36 :: v_dual_fmac_f32 v63, v51, v38
	s_delay_alu instid0(VALU_DEP_4) | instskip(SKIP_1) | instid1(VALU_DEP_4)
	v_add_f32_e32 v31, v31, v32
	v_fma_f32 v30, v46, v34, -v30
	v_add_f32_e32 v2, v2, v61
	v_mul_f32_e32 v32, v51, v39
	v_fma_f32 v33, v48, v36, -v33
	v_dual_fmac_f32 v64, v53, v40 :: v_dual_fmac_f32 v65, v59, v54
	s_delay_alu instid0(VALU_DEP_4) | instskip(SKIP_2) | instid1(VALU_DEP_3)
	v_add_f32_e32 v2, v2, v62
	v_dual_add_f32 v30, v31, v30 :: v_dual_mul_f32 v31, v53, v41
	v_fma_f32 v32, v50, v38, -v32
	v_add_f32_e32 v2, v2, v63
	s_delay_alu instid0(VALU_DEP_3) | instskip(NEXT) | instid1(VALU_DEP_4)
	v_dual_add_f32 v30, v30, v33 :: v_dual_mul_f32 v33, v59, v55
	v_fma_f32 v31, v52, v40, -v31
	s_delay_alu instid0(VALU_DEP_3) | instskip(NEXT) | instid1(VALU_DEP_1)
	v_add_f32_e32 v2, v2, v64
	v_add_f32_e32 v2, v2, v65
	s_delay_alu instid0(VALU_DEP_4) | instskip(SKIP_2) | instid1(VALU_DEP_2)
	v_add_f32_e32 v30, v30, v32
	v_fma_f32 v32, v58, v54, -v33
	s_wait_loadcnt 0x0
	v_dual_add_f32 v30, v30, v31 :: v_dual_sub_f32 v31, v57, v2
	s_delay_alu instid0(VALU_DEP_1) | instskip(NEXT) | instid1(VALU_DEP_1)
	v_add_f32_e32 v30, v30, v32
	v_sub_f32_e32 v30, v56, v30
	scratch_store_b64 off, v[30:31], off offset:40
	v_cmpx_lt_u32_e32 4, v0
	s_cbranch_execz .LBB76_83
; %bb.82:
	scratch_load_b64 v[30:31], off, off offset:32
	v_mov_b32_e32 v2, v1
	scratch_store_b64 off, v[1:2], off offset:32
	s_wait_loadcnt 0x0
	ds_store_b64 v3, v[30:31]
.LBB76_83:
	s_wait_alu 0xfffe
	s_or_b32 exec_lo, exec_lo, s0
	s_wait_storecnt_dscnt 0x0
	s_barrier_signal -1
	s_barrier_wait -1
	global_inv scope:SCOPE_SE
	s_clause 0x4
	scratch_load_b128 v[30:33], off, off offset:40
	scratch_load_b128 v[34:37], off, off offset:56
	;; [unrolled: 1-line block ×4, first 2 shown]
	scratch_load_b64 v[62:63], off, off offset:32
	ds_load_2addr_b64 v[46:49], v1 offset0:19 offset1:20
	ds_load_2addr_b64 v[50:53], v1 offset0:21 offset1:22
	;; [unrolled: 1-line block ×4, first 2 shown]
	s_mov_b32 s0, exec_lo
	s_wait_loadcnt_dscnt 0x403
	v_dual_mul_f32 v1, v46, v31 :: v_dual_mul_f32 v2, v48, v33
	v_mul_f32_e32 v31, v47, v31
	s_wait_loadcnt_dscnt 0x302
	v_dual_mul_f32 v33, v49, v33 :: v_dual_mul_f32 v64, v50, v35
	s_delay_alu instid0(VALU_DEP_3) | instskip(NEXT) | instid1(VALU_DEP_3)
	v_dual_mul_f32 v65, v52, v37 :: v_dual_fmac_f32 v2, v49, v32
	v_fma_f32 v31, v46, v30, -v31
	v_fmac_f32_e32 v1, v47, v30
	v_mul_f32_e32 v30, v51, v35
	v_fma_f32 v32, v48, v32, -v33
	s_delay_alu instid0(VALU_DEP_4)
	v_dual_fmac_f32 v64, v51, v34 :: v_dual_add_f32 v31, 0, v31
	s_wait_loadcnt_dscnt 0x201
	v_dual_mul_f32 v66, v54, v39 :: v_dual_mul_f32 v67, v56, v41
	v_fma_f32 v30, v50, v34, -v30
	s_wait_loadcnt_dscnt 0x100
	v_dual_mul_f32 v68, v58, v43 :: v_dual_mul_f32 v69, v60, v45
	v_add_f32_e32 v31, v31, v32
	v_mul_f32_e32 v33, v53, v37
	v_dual_fmac_f32 v65, v53, v36 :: v_dual_fmac_f32 v66, v55, v38
	s_delay_alu instid0(VALU_DEP_3) | instskip(NEXT) | instid1(VALU_DEP_3)
	v_dual_fmac_f32 v69, v61, v44 :: v_dual_add_f32 v30, v31, v30
	v_fma_f32 v32, v52, v36, -v33
	v_fmac_f32_e32 v68, v59, v42
	s_delay_alu instid0(VALU_DEP_2) | instskip(NEXT) | instid1(VALU_DEP_1)
	v_dual_add_f32 v30, v30, v32 :: v_dual_add_f32 v1, 0, v1
	v_dual_mul_f32 v32, v59, v43 :: v_dual_add_f32 v1, v1, v2
	v_mul_f32_e32 v2, v55, v39
	s_delay_alu instid0(VALU_DEP_2) | instskip(SKIP_1) | instid1(VALU_DEP_4)
	v_fma_f32 v32, v58, v42, -v32
	v_mul_f32_e32 v31, v57, v41
	v_add_f32_e32 v1, v1, v64
	s_delay_alu instid0(VALU_DEP_4) | instskip(NEXT) | instid1(VALU_DEP_3)
	v_fma_f32 v2, v54, v38, -v2
	v_fma_f32 v31, v56, v40, -v31
	s_delay_alu instid0(VALU_DEP_2) | instskip(SKIP_1) | instid1(VALU_DEP_2)
	v_dual_add_f32 v2, v30, v2 :: v_dual_add_f32 v1, v1, v65
	v_mul_f32_e32 v30, v61, v45
	v_dual_add_f32 v2, v2, v31 :: v_dual_add_f32 v1, v1, v66
	s_delay_alu instid0(VALU_DEP_2) | instskip(NEXT) | instid1(VALU_DEP_2)
	v_fma_f32 v30, v60, v44, -v30
	v_add_f32_e32 v2, v2, v32
	s_delay_alu instid0(VALU_DEP_1) | instskip(NEXT) | instid1(VALU_DEP_1)
	v_dual_fmac_f32 v67, v57, v40 :: v_dual_add_f32 v2, v2, v30
	v_add_f32_e32 v1, v1, v67
	s_delay_alu instid0(VALU_DEP_1) | instskip(SKIP_1) | instid1(VALU_DEP_1)
	v_add_f32_e32 v1, v1, v68
	s_wait_loadcnt 0x0
	v_dual_add_f32 v30, v1, v69 :: v_dual_sub_f32 v1, v62, v2
	s_delay_alu instid0(VALU_DEP_1)
	v_sub_f32_e32 v2, v63, v30
	scratch_store_b64 off, v[1:2], off offset:32
	v_cmpx_lt_u32_e32 3, v0
	s_cbranch_execz .LBB76_85
; %bb.84:
	scratch_load_b64 v[1:2], off, off offset:24
	v_mov_b32_e32 v30, 0
	s_delay_alu instid0(VALU_DEP_1)
	v_mov_b32_e32 v31, v30
	scratch_store_b64 off, v[30:31], off offset:24
	s_wait_loadcnt 0x0
	ds_store_b64 v3, v[1:2]
.LBB76_85:
	s_wait_alu 0xfffe
	s_or_b32 exec_lo, exec_lo, s0
	s_wait_storecnt_dscnt 0x0
	s_barrier_signal -1
	s_barrier_wait -1
	global_inv scope:SCOPE_SE
	s_clause 0x5
	scratch_load_b128 v[30:33], off, off offset:32
	scratch_load_b128 v[34:37], off, off offset:48
	;; [unrolled: 1-line block ×4, first 2 shown]
	scratch_load_b64 v[62:63], off, off offset:96
	scratch_load_b64 v[64:65], off, off offset:24
	v_mov_b32_e32 v1, 0
	ds_load_b128 v[46:49], v1 offset:144
	ds_load_b128 v[50:53], v1 offset:160
	ds_load_b128 v[54:57], v1 offset:176
	ds_load_b128 v[58:61], v1 offset:192
	ds_load_b64 v[66:67], v1 offset:208
	s_mov_b32 s0, exec_lo
	s_wait_loadcnt_dscnt 0x504
	v_mul_f32_e32 v2, v46, v31
	s_wait_loadcnt_dscnt 0x302
	v_dual_mul_f32 v31, v47, v31 :: v_dual_mul_f32 v72, v56, v41
	v_dual_mul_f32 v68, v48, v33 :: v_dual_mul_f32 v69, v50, v35
	s_wait_loadcnt_dscnt 0x100
	v_dual_mul_f32 v75, v66, v63 :: v_dual_fmac_f32 v2, v47, v30
	v_mul_f32_e32 v33, v49, v33
	v_fma_f32 v31, v46, v30, -v31
	v_mul_f32_e32 v30, v51, v35
	v_fmac_f32_e32 v68, v49, v32
	v_add_f32_e32 v2, 0, v2
	v_fma_f32 v32, v48, v32, -v33
	v_add_f32_e32 v31, 0, v31
	v_mul_f32_e32 v33, v53, v37
	s_delay_alu instid0(VALU_DEP_4) | instskip(SKIP_1) | instid1(VALU_DEP_4)
	v_dual_fmac_f32 v69, v51, v34 :: v_dual_add_f32 v2, v2, v68
	v_fma_f32 v30, v50, v34, -v30
	v_dual_add_f32 v31, v31, v32 :: v_dual_mul_f32 v70, v52, v37
	v_mul_f32_e32 v71, v54, v39
	v_mul_f32_e32 v32, v55, v39
	v_fma_f32 v33, v52, v36, -v33
	v_add_f32_e32 v2, v2, v69
	v_add_f32_e32 v30, v31, v30
	v_dual_fmac_f32 v70, v53, v36 :: v_dual_fmac_f32 v71, v55, v38
	v_mul_f32_e32 v31, v57, v41
	v_fma_f32 v32, v54, v38, -v32
	s_delay_alu instid0(VALU_DEP_4) | instskip(NEXT) | instid1(VALU_DEP_4)
	v_dual_add_f32 v30, v30, v33 :: v_dual_mul_f32 v33, v59, v43
	v_add_f32_e32 v2, v2, v70
	s_delay_alu instid0(VALU_DEP_4) | instskip(SKIP_1) | instid1(VALU_DEP_4)
	v_fma_f32 v31, v56, v40, -v31
	v_dual_mul_f32 v73, v58, v43 :: v_dual_mul_f32 v74, v60, v45
	v_dual_add_f32 v30, v30, v32 :: v_dual_fmac_f32 v75, v67, v62
	s_delay_alu instid0(VALU_DEP_2) | instskip(SKIP_1) | instid1(VALU_DEP_3)
	v_dual_fmac_f32 v72, v57, v40 :: v_dual_fmac_f32 v73, v59, v42
	v_mul_f32_e32 v32, v61, v45
	v_add_f32_e32 v30, v30, v31
	v_mul_f32_e32 v31, v67, v63
	v_add_f32_e32 v2, v2, v71
	v_fma_f32 v33, v58, v42, -v33
	v_fmac_f32_e32 v74, v61, v44
	v_fma_f32 v32, v60, v44, -v32
	v_fma_f32 v31, v66, v62, -v31
	v_add_f32_e32 v2, v2, v72
	v_add_f32_e32 v30, v30, v33
	s_delay_alu instid0(VALU_DEP_2) | instskip(NEXT) | instid1(VALU_DEP_2)
	v_add_f32_e32 v2, v2, v73
	v_add_f32_e32 v30, v30, v32
	s_delay_alu instid0(VALU_DEP_2) | instskip(NEXT) | instid1(VALU_DEP_2)
	v_add_f32_e32 v2, v2, v74
	v_add_f32_e32 v30, v30, v31
	s_delay_alu instid0(VALU_DEP_2) | instskip(SKIP_1) | instid1(VALU_DEP_2)
	v_add_f32_e32 v2, v2, v75
	s_wait_loadcnt 0x0
	v_sub_f32_e32 v30, v64, v30
	s_delay_alu instid0(VALU_DEP_2)
	v_sub_f32_e32 v31, v65, v2
	scratch_store_b64 off, v[30:31], off offset:24
	v_cmpx_lt_u32_e32 2, v0
	s_cbranch_execz .LBB76_87
; %bb.86:
	scratch_load_b64 v[30:31], off, off offset:16
	v_mov_b32_e32 v2, v1
	scratch_store_b64 off, v[1:2], off offset:16
	s_wait_loadcnt 0x0
	ds_store_b64 v3, v[30:31]
.LBB76_87:
	s_wait_alu 0xfffe
	s_or_b32 exec_lo, exec_lo, s0
	s_wait_storecnt_dscnt 0x0
	s_barrier_signal -1
	s_barrier_wait -1
	global_inv scope:SCOPE_SE
	s_clause 0x5
	scratch_load_b128 v[30:33], off, off offset:24
	scratch_load_b128 v[34:37], off, off offset:40
	;; [unrolled: 1-line block ×5, first 2 shown]
	scratch_load_b64 v[70:71], off, off offset:16
	ds_load_2addr_b64 v[50:53], v1 offset0:17 offset1:18
	ds_load_2addr_b64 v[54:57], v1 offset0:19 offset1:20
	;; [unrolled: 1-line block ×5, first 2 shown]
	s_mov_b32 s0, exec_lo
	s_wait_loadcnt_dscnt 0x504
	v_dual_mul_f32 v1, v50, v31 :: v_dual_mul_f32 v2, v52, v33
	v_mul_f32_e32 v31, v51, v31
	s_wait_loadcnt_dscnt 0x403
	v_dual_mul_f32 v33, v53, v33 :: v_dual_mul_f32 v72, v54, v35
	s_delay_alu instid0(VALU_DEP_3) | instskip(NEXT) | instid1(VALU_DEP_3)
	v_dual_mul_f32 v73, v56, v37 :: v_dual_fmac_f32 v2, v53, v32
	v_fma_f32 v31, v50, v30, -v31
	v_fmac_f32_e32 v1, v51, v30
	v_mul_f32_e32 v30, v55, v35
	v_fma_f32 v32, v52, v32, -v33
	s_delay_alu instid0(VALU_DEP_4)
	v_dual_fmac_f32 v72, v55, v34 :: v_dual_add_f32 v31, 0, v31
	s_wait_loadcnt_dscnt 0x302
	v_dual_mul_f32 v74, v58, v39 :: v_dual_mul_f32 v75, v60, v41
	v_fma_f32 v30, v54, v34, -v30
	s_wait_loadcnt_dscnt 0x201
	v_dual_mul_f32 v76, v62, v43 :: v_dual_mul_f32 v77, v64, v45
	v_add_f32_e32 v31, v31, v32
	v_mul_f32_e32 v33, v57, v37
	v_dual_fmac_f32 v73, v57, v36 :: v_dual_fmac_f32 v74, v59, v38
	s_wait_loadcnt_dscnt 0x100
	v_dual_mul_f32 v78, v66, v47 :: v_dual_mul_f32 v79, v68, v49
	v_add_f32_e32 v30, v31, v30
	v_fma_f32 v32, v56, v36, -v33
	s_delay_alu instid0(VALU_DEP_3) | instskip(NEXT) | instid1(VALU_DEP_4)
	v_dual_fmac_f32 v75, v61, v40 :: v_dual_fmac_f32 v78, v67, v46
	v_dual_fmac_f32 v79, v69, v48 :: v_dual_fmac_f32 v76, v63, v42
	s_delay_alu instid0(VALU_DEP_3) | instskip(NEXT) | instid1(VALU_DEP_1)
	v_dual_add_f32 v30, v30, v32 :: v_dual_add_f32 v1, 0, v1
	v_dual_mul_f32 v32, v63, v43 :: v_dual_add_f32 v1, v1, v2
	v_mul_f32_e32 v2, v59, v39
	s_delay_alu instid0(VALU_DEP_2) | instskip(SKIP_1) | instid1(VALU_DEP_4)
	v_fma_f32 v32, v62, v42, -v32
	v_mul_f32_e32 v31, v61, v41
	v_add_f32_e32 v1, v1, v72
	s_delay_alu instid0(VALU_DEP_4) | instskip(NEXT) | instid1(VALU_DEP_3)
	v_fma_f32 v2, v58, v38, -v2
	v_fma_f32 v31, v60, v40, -v31
	s_delay_alu instid0(VALU_DEP_2) | instskip(SKIP_1) | instid1(VALU_DEP_2)
	v_dual_add_f32 v2, v30, v2 :: v_dual_add_f32 v1, v1, v73
	v_mul_f32_e32 v30, v65, v45
	v_add_f32_e32 v2, v2, v31
	v_mul_f32_e32 v31, v67, v47
	s_delay_alu instid0(VALU_DEP_3) | instskip(NEXT) | instid1(VALU_DEP_3)
	v_fma_f32 v30, v64, v44, -v30
	v_add_f32_e32 v2, v2, v32
	v_fmac_f32_e32 v77, v65, v44
	v_mul_f32_e32 v32, v69, v49
	v_fma_f32 v31, v66, v46, -v31
	s_delay_alu instid0(VALU_DEP_4) | instskip(SKIP_1) | instid1(VALU_DEP_4)
	v_add_f32_e32 v2, v2, v30
	v_add_f32_e32 v1, v1, v74
	v_fma_f32 v30, v68, v48, -v32
	s_delay_alu instid0(VALU_DEP_3) | instskip(NEXT) | instid1(VALU_DEP_1)
	v_add_f32_e32 v2, v2, v31
	v_dual_add_f32 v1, v1, v75 :: v_dual_add_f32 v2, v2, v30
	s_delay_alu instid0(VALU_DEP_1) | instskip(NEXT) | instid1(VALU_DEP_1)
	v_add_f32_e32 v1, v1, v76
	v_add_f32_e32 v1, v1, v77
	s_delay_alu instid0(VALU_DEP_1) | instskip(SKIP_1) | instid1(VALU_DEP_1)
	v_add_f32_e32 v1, v1, v78
	s_wait_loadcnt 0x0
	v_dual_add_f32 v30, v1, v79 :: v_dual_sub_f32 v1, v70, v2
	s_delay_alu instid0(VALU_DEP_1)
	v_sub_f32_e32 v2, v71, v30
	scratch_store_b64 off, v[1:2], off offset:16
	v_cmpx_lt_u32_e32 1, v0
	s_cbranch_execz .LBB76_89
; %bb.88:
	scratch_load_b64 v[1:2], off, off offset:8
	v_mov_b32_e32 v30, 0
	s_delay_alu instid0(VALU_DEP_1)
	v_mov_b32_e32 v31, v30
	scratch_store_b64 off, v[30:31], off offset:8
	s_wait_loadcnt 0x0
	ds_store_b64 v3, v[1:2]
.LBB76_89:
	s_wait_alu 0xfffe
	s_or_b32 exec_lo, exec_lo, s0
	s_wait_storecnt_dscnt 0x0
	s_barrier_signal -1
	s_barrier_wait -1
	global_inv scope:SCOPE_SE
	s_clause 0x6
	scratch_load_b128 v[31:34], off, off offset:16
	scratch_load_b128 v[35:38], off, off offset:32
	;; [unrolled: 1-line block ×5, first 2 shown]
	scratch_load_b64 v[1:2], off, off offset:96
	scratch_load_b64 v[71:72], off, off offset:8
	v_mov_b32_e32 v30, 0
	ds_load_b128 v[51:54], v30 offset:128
	ds_load_b128 v[55:58], v30 offset:144
	ds_load_b128 v[59:62], v30 offset:160
	ds_load_b128 v[63:66], v30 offset:176
	ds_load_b128 v[67:70], v30 offset:192
	ds_load_b64 v[73:74], v30 offset:208
	s_mov_b32 s0, exec_lo
	s_wait_loadcnt_dscnt 0x605
	v_mul_f32_e32 v75, v51, v32
	v_mul_f32_e32 v32, v52, v32
	s_wait_loadcnt_dscnt 0x504
	v_dual_mul_f32 v76, v53, v34 :: v_dual_mul_f32 v77, v55, v36
	v_mul_f32_e32 v34, v54, v34
	s_wait_loadcnt_dscnt 0x100
	v_mul_f32_e32 v85, v73, v2
	v_fma_f32 v32, v51, v31, -v32
	v_dual_mul_f32 v84, v69, v50 :: v_dual_fmac_f32 v75, v52, v31
	v_dual_mul_f32 v31, v56, v36 :: v_dual_fmac_f32 v76, v54, v33
	v_fmac_f32_e32 v77, v56, v35
	v_fma_f32 v33, v53, v33, -v34
	v_add_f32_e32 v32, 0, v32
	v_add_f32_e32 v34, 0, v75
	v_fma_f32 v31, v55, v35, -v31
	v_dual_mul_f32 v78, v57, v38 :: v_dual_mul_f32 v79, v59, v40
	s_delay_alu instid0(VALU_DEP_4) | instskip(SKIP_2) | instid1(VALU_DEP_4)
	v_add_f32_e32 v32, v32, v33
	v_mul_f32_e32 v36, v58, v38
	v_dual_mul_f32 v80, v61, v42 :: v_dual_mul_f32 v81, v63, v44
	v_dual_fmac_f32 v78, v58, v37 :: v_dual_fmac_f32 v79, v60, v39
	s_delay_alu instid0(VALU_DEP_4) | instskip(NEXT) | instid1(VALU_DEP_4)
	v_add_f32_e32 v31, v32, v31
	v_fma_f32 v35, v57, v37, -v36
	v_dual_mul_f32 v82, v65, v46 :: v_dual_mul_f32 v83, v67, v48
	v_dual_fmac_f32 v80, v62, v41 :: v_dual_fmac_f32 v81, v64, v43
	s_delay_alu instid0(VALU_DEP_3) | instskip(SKIP_4) | instid1(VALU_DEP_4)
	v_add_f32_e32 v31, v31, v35
	v_mul_f32_e32 v35, v64, v44
	v_add_f32_e32 v33, v34, v76
	v_dual_fmac_f32 v83, v68, v47 :: v_dual_mul_f32 v2, v74, v2
	v_fmac_f32_e32 v84, v70, v49
	v_fma_f32 v35, v63, v43, -v35
	s_delay_alu instid0(VALU_DEP_4) | instskip(SKIP_2) | instid1(VALU_DEP_3)
	v_dual_add_f32 v32, v33, v77 :: v_dual_mul_f32 v33, v62, v42
	v_fmac_f32_e32 v85, v74, v1
	v_fma_f32 v1, v73, v1, -v2
	v_fma_f32 v33, v61, v41, -v33
	v_mul_f32_e32 v34, v60, v40
	s_delay_alu instid0(VALU_DEP_1) | instskip(NEXT) | instid1(VALU_DEP_1)
	v_fma_f32 v34, v59, v39, -v34
	v_add_f32_e32 v31, v31, v34
	v_add_f32_e32 v32, v32, v78
	s_delay_alu instid0(VALU_DEP_2) | instskip(NEXT) | instid1(VALU_DEP_2)
	v_dual_mul_f32 v34, v66, v46 :: v_dual_add_f32 v31, v31, v33
	v_add_f32_e32 v32, v32, v79
	v_dual_mul_f32 v33, v68, v48 :: v_dual_fmac_f32 v82, v66, v45
	s_delay_alu instid0(VALU_DEP_3) | instskip(NEXT) | instid1(VALU_DEP_4)
	v_fma_f32 v34, v65, v45, -v34
	v_add_f32_e32 v31, v31, v35
	s_delay_alu instid0(VALU_DEP_4) | instskip(NEXT) | instid1(VALU_DEP_4)
	v_dual_mul_f32 v35, v70, v50 :: v_dual_add_f32 v32, v32, v80
	v_fma_f32 v33, v67, v47, -v33
	s_delay_alu instid0(VALU_DEP_3) | instskip(NEXT) | instid1(VALU_DEP_3)
	v_add_f32_e32 v31, v31, v34
	v_fma_f32 v34, v69, v49, -v35
	s_delay_alu instid0(VALU_DEP_4) | instskip(NEXT) | instid1(VALU_DEP_1)
	v_add_f32_e32 v32, v32, v81
	v_dual_add_f32 v31, v31, v33 :: v_dual_add_f32 v32, v32, v82
	s_delay_alu instid0(VALU_DEP_1) | instskip(NEXT) | instid1(VALU_DEP_1)
	v_add_f32_e32 v32, v32, v83
	v_dual_add_f32 v2, v31, v34 :: v_dual_add_f32 v31, v32, v84
	s_delay_alu instid0(VALU_DEP_1) | instskip(NEXT) | instid1(VALU_DEP_2)
	v_add_f32_e32 v1, v2, v1
	v_add_f32_e32 v2, v31, v85
	s_wait_loadcnt 0x0
	s_delay_alu instid0(VALU_DEP_1)
	v_dual_sub_f32 v2, v72, v2 :: v_dual_sub_f32 v1, v71, v1
	scratch_store_b64 off, v[1:2], off offset:8
	v_cmpx_ne_u32_e32 0, v0
	s_cbranch_execz .LBB76_91
; %bb.90:
	scratch_load_b64 v[0:1], off, off
	v_mov_b32_e32 v31, v30
	scratch_store_b64 off, v[30:31], off
	s_wait_loadcnt 0x0
	ds_store_b64 v3, v[0:1]
.LBB76_91:
	s_wait_alu 0xfffe
	s_or_b32 exec_lo, exec_lo, s0
	s_wait_storecnt_dscnt 0x0
	s_barrier_signal -1
	s_barrier_wait -1
	global_inv scope:SCOPE_SE
	s_clause 0x6
	scratch_load_b128 v[31:34], off, off offset:8
	scratch_load_b128 v[35:38], off, off offset:24
	;; [unrolled: 1-line block ×6, first 2 shown]
	scratch_load_b64 v[75:76], off, off
	ds_load_2addr_b64 v[51:54], v30 offset0:15 offset1:16
	ds_load_2addr_b64 v[55:58], v30 offset0:17 offset1:18
	;; [unrolled: 1-line block ×6, first 2 shown]
	s_and_b32 vcc_lo, exec_lo, s12
	s_wait_loadcnt_dscnt 0x605
	v_dual_mul_f32 v30, v51, v32 :: v_dual_mul_f32 v77, v53, v34
	v_mul_f32_e32 v32, v52, v32
	v_mul_f32_e32 v34, v54, v34
	s_wait_loadcnt_dscnt 0x504
	v_dual_mul_f32 v78, v55, v36 :: v_dual_mul_f32 v79, v57, v38
	s_wait_loadcnt_dscnt 0x100
	v_mul_f32_e32 v87, v73, v3
	v_fma_f32 v32, v51, v31, -v32
	v_dual_fmac_f32 v30, v52, v31 :: v_dual_fmac_f32 v77, v54, v33
	v_fma_f32 v33, v53, v33, -v34
	v_dual_mul_f32 v86, v71, v1 :: v_dual_mul_f32 v31, v56, v36
	s_delay_alu instid0(VALU_DEP_4) | instskip(SKIP_1) | instid1(VALU_DEP_3)
	v_dual_add_f32 v32, 0, v32 :: v_dual_fmac_f32 v79, v58, v37
	v_dual_mul_f32 v82, v63, v44 :: v_dual_mul_f32 v83, v65, v46
	v_fma_f32 v31, v55, v35, -v31
	s_delay_alu instid0(VALU_DEP_3) | instskip(SKIP_2) | instid1(VALU_DEP_3)
	v_add_f32_e32 v32, v32, v33
	v_dual_mul_f32 v33, v60, v40 :: v_dual_add_f32 v30, 0, v30
	v_dual_mul_f32 v80, v59, v40 :: v_dual_mul_f32 v81, v61, v42
	v_add_f32_e32 v31, v32, v31
	s_delay_alu instid0(VALU_DEP_3) | instskip(SKIP_4) | instid1(VALU_DEP_4)
	v_fma_f32 v33, v59, v39, -v33
	v_mul_f32_e32 v34, v58, v38
	v_mul_f32_e32 v32, v62, v42
	v_dual_fmac_f32 v83, v66, v45 :: v_dual_mul_f32 v84, v67, v48
	v_mul_f32_e32 v85, v69, v50
	v_fma_f32 v34, v57, v37, -v34
	v_fmac_f32_e32 v78, v56, v35
	v_fma_f32 v32, v61, v41, -v32
	v_dual_fmac_f32 v80, v60, v39 :: v_dual_fmac_f32 v81, v62, v41
	s_delay_alu instid0(VALU_DEP_4) | instskip(SKIP_2) | instid1(VALU_DEP_3)
	v_dual_add_f32 v31, v31, v34 :: v_dual_mul_f32 v34, v64, v44
	v_fmac_f32_e32 v85, v70, v49
	v_dual_mul_f32 v3, v74, v3 :: v_dual_fmac_f32 v86, v72, v0
	v_add_f32_e32 v31, v31, v33
	v_add_f32_e32 v30, v30, v77
	v_mul_f32_e32 v33, v66, v46
	v_fma_f32 v34, v63, v43, -v34
	v_dual_fmac_f32 v84, v68, v47 :: v_dual_fmac_f32 v87, v74, v2
	v_dual_add_f32 v31, v31, v32 :: v_dual_fmac_f32 v82, v64, v43
	v_mul_f32_e32 v32, v68, v48
	v_fma_f32 v33, v65, v45, -v33
	v_fma_f32 v2, v73, v2, -v3
	s_delay_alu instid0(VALU_DEP_4) | instskip(SKIP_3) | instid1(VALU_DEP_3)
	v_add_f32_e32 v31, v31, v34
	v_add_f32_e32 v30, v30, v78
	v_mul_f32_e32 v34, v70, v50
	v_fma_f32 v32, v67, v47, -v32
	v_dual_add_f32 v31, v31, v33 :: v_dual_add_f32 v30, v30, v79
	v_mul_f32_e32 v33, v72, v1
	s_delay_alu instid0(VALU_DEP_4) | instskip(NEXT) | instid1(VALU_DEP_3)
	v_fma_f32 v34, v69, v49, -v34
	v_add_f32_e32 v31, v31, v32
	s_delay_alu instid0(VALU_DEP_4) | instskip(NEXT) | instid1(VALU_DEP_4)
	v_add_f32_e32 v30, v30, v80
	v_fma_f32 v32, v71, v0, -v33
	s_delay_alu instid0(VALU_DEP_2) | instskip(NEXT) | instid1(VALU_DEP_1)
	v_dual_add_f32 v31, v31, v34 :: v_dual_add_f32 v30, v30, v81
	v_dual_add_f32 v3, v31, v32 :: v_dual_add_f32 v30, v30, v82
	s_delay_alu instid0(VALU_DEP_1) | instskip(NEXT) | instid1(VALU_DEP_1)
	v_add_f32_e32 v30, v30, v83
	v_add_f32_e32 v30, v30, v84
	s_delay_alu instid0(VALU_DEP_1) | instskip(NEXT) | instid1(VALU_DEP_1)
	v_add_f32_e32 v30, v30, v85
	v_add_f32_e32 v30, v30, v86
	s_delay_alu instid0(VALU_DEP_1) | instskip(SKIP_1) | instid1(VALU_DEP_1)
	v_dual_add_f32 v2, v3, v2 :: v_dual_add_f32 v3, v30, v87
	s_wait_loadcnt 0x0
	v_dual_sub_f32 v2, v75, v2 :: v_dual_sub_f32 v3, v76, v3
	scratch_store_b64 off, v[2:3], off
	s_wait_alu 0xfffe
	s_cbranch_vccz .LBB76_116
; %bb.92:
	v_mov_b32_e32 v2, 0
	global_load_b32 v3, v2, s[2:3] offset:44
	s_wait_loadcnt 0x0
	v_cmp_ne_u32_e32 vcc_lo, 12, v3
	s_cbranch_vccz .LBB76_94
; %bb.93:
	v_lshlrev_b32_e32 v3, 3, v3
	scratch_load_b64 v[30:31], v3, off offset:-8
	s_wait_loadcnt 0x0
	scratch_store_b64 off, v[30:31], off offset:88
	scratch_store_b64 v3, v[0:1], off offset:-8
.LBB76_94:
	global_load_b32 v0, v2, s[2:3] offset:40
	s_wait_loadcnt 0x0
	v_cmp_eq_u32_e32 vcc_lo, 11, v0
	s_cbranch_vccnz .LBB76_96
; %bb.95:
	v_lshlrev_b32_e32 v0, 3, v0
	s_delay_alu instid0(VALU_DEP_1)
	v_mov_b32_e32 v30, v0
	scratch_load_b64 v[0:1], v30, off offset:-8
	scratch_load_b64 v[2:3], off, off offset:80
	s_wait_loadcnt 0x1
	scratch_store_b64 off, v[0:1], off offset:80
	s_wait_loadcnt 0x0
	scratch_store_b64 v30, v[2:3], off offset:-8
.LBB76_96:
	v_mov_b32_e32 v0, 0
	global_load_b32 v1, v0, s[2:3] offset:36
	s_wait_loadcnt 0x0
	v_cmp_eq_u32_e32 vcc_lo, 10, v1
	s_cbranch_vccnz .LBB76_98
; %bb.97:
	v_lshlrev_b32_e32 v1, 3, v1
	s_delay_alu instid0(VALU_DEP_1)
	v_mov_b32_e32 v3, v1
	scratch_load_b64 v[1:2], v3, off offset:-8
	scratch_load_b64 v[30:31], off, off offset:72
	s_wait_loadcnt 0x1
	scratch_store_b64 off, v[1:2], off offset:72
	s_wait_loadcnt 0x0
	scratch_store_b64 v3, v[30:31], off offset:-8
.LBB76_98:
	global_load_b32 v0, v0, s[2:3] offset:32
	s_wait_loadcnt 0x0
	v_cmp_eq_u32_e32 vcc_lo, 9, v0
	s_cbranch_vccnz .LBB76_100
; %bb.99:
	v_lshlrev_b32_e32 v0, 3, v0
	s_delay_alu instid0(VALU_DEP_1)
	v_mov_b32_e32 v30, v0
	scratch_load_b64 v[0:1], v30, off offset:-8
	scratch_load_b64 v[2:3], off, off offset:64
	s_wait_loadcnt 0x1
	scratch_store_b64 off, v[0:1], off offset:64
	s_wait_loadcnt 0x0
	scratch_store_b64 v30, v[2:3], off offset:-8
.LBB76_100:
	v_mov_b32_e32 v0, 0
	global_load_b32 v1, v0, s[2:3] offset:28
	s_wait_loadcnt 0x0
	v_cmp_eq_u32_e32 vcc_lo, 8, v1
	s_cbranch_vccnz .LBB76_102
; %bb.101:
	v_lshlrev_b32_e32 v1, 3, v1
	s_delay_alu instid0(VALU_DEP_1)
	v_mov_b32_e32 v3, v1
	scratch_load_b64 v[1:2], v3, off offset:-8
	scratch_load_b64 v[30:31], off, off offset:56
	s_wait_loadcnt 0x1
	scratch_store_b64 off, v[1:2], off offset:56
	s_wait_loadcnt 0x0
	scratch_store_b64 v3, v[30:31], off offset:-8
.LBB76_102:
	;; [unrolled: 31-line block ×5, first 2 shown]
	global_load_b32 v0, v0, s[2:3]
	s_wait_loadcnt 0x0
	v_cmp_eq_u32_e32 vcc_lo, 1, v0
	s_cbranch_vccnz .LBB76_116
; %bb.115:
	v_lshlrev_b32_e32 v0, 3, v0
	s_delay_alu instid0(VALU_DEP_1)
	v_mov_b32_e32 v30, v0
	scratch_load_b64 v[0:1], v30, off offset:-8
	scratch_load_b64 v[2:3], off, off
	s_wait_loadcnt 0x1
	scratch_store_b64 off, v[0:1], off
	s_wait_loadcnt 0x0
	scratch_store_b64 v30, v[2:3], off offset:-8
.LBB76_116:
	scratch_load_b64 v[0:1], off, off
	s_wait_loadcnt 0x0
	flat_store_b64 v[4:5], v[0:1]
	scratch_load_b64 v[0:1], off, off offset:8
	s_wait_loadcnt 0x0
	flat_store_b64 v[6:7], v[0:1]
	scratch_load_b64 v[0:1], off, off offset:16
	;; [unrolled: 3-line block ×12, first 2 shown]
	s_wait_loadcnt 0x0
	flat_store_b64 v[28:29], v[0:1]
	s_endpgm
	.section	.rodata,"a",@progbits
	.p2align	6, 0x0
	.amdhsa_kernel _ZN9rocsolver6v33100L18getri_kernel_smallILi13E19rocblas_complex_numIfEPKPS3_EEvT1_iilPiilS8_bb
		.amdhsa_group_segment_fixed_size 216
		.amdhsa_private_segment_fixed_size 112
		.amdhsa_kernarg_size 60
		.amdhsa_user_sgpr_count 2
		.amdhsa_user_sgpr_dispatch_ptr 0
		.amdhsa_user_sgpr_queue_ptr 0
		.amdhsa_user_sgpr_kernarg_segment_ptr 1
		.amdhsa_user_sgpr_dispatch_id 0
		.amdhsa_user_sgpr_private_segment_size 0
		.amdhsa_wavefront_size32 1
		.amdhsa_uses_dynamic_stack 0
		.amdhsa_enable_private_segment 1
		.amdhsa_system_sgpr_workgroup_id_x 1
		.amdhsa_system_sgpr_workgroup_id_y 0
		.amdhsa_system_sgpr_workgroup_id_z 0
		.amdhsa_system_sgpr_workgroup_info 0
		.amdhsa_system_vgpr_workitem_id 0
		.amdhsa_next_free_vgpr 88
		.amdhsa_next_free_sgpr 19
		.amdhsa_reserve_vcc 1
		.amdhsa_float_round_mode_32 0
		.amdhsa_float_round_mode_16_64 0
		.amdhsa_float_denorm_mode_32 3
		.amdhsa_float_denorm_mode_16_64 3
		.amdhsa_fp16_overflow 0
		.amdhsa_workgroup_processor_mode 1
		.amdhsa_memory_ordered 1
		.amdhsa_forward_progress 1
		.amdhsa_inst_pref_size 93
		.amdhsa_round_robin_scheduling 0
		.amdhsa_exception_fp_ieee_invalid_op 0
		.amdhsa_exception_fp_denorm_src 0
		.amdhsa_exception_fp_ieee_div_zero 0
		.amdhsa_exception_fp_ieee_overflow 0
		.amdhsa_exception_fp_ieee_underflow 0
		.amdhsa_exception_fp_ieee_inexact 0
		.amdhsa_exception_int_div_zero 0
	.end_amdhsa_kernel
	.section	.text._ZN9rocsolver6v33100L18getri_kernel_smallILi13E19rocblas_complex_numIfEPKPS3_EEvT1_iilPiilS8_bb,"axG",@progbits,_ZN9rocsolver6v33100L18getri_kernel_smallILi13E19rocblas_complex_numIfEPKPS3_EEvT1_iilPiilS8_bb,comdat
.Lfunc_end76:
	.size	_ZN9rocsolver6v33100L18getri_kernel_smallILi13E19rocblas_complex_numIfEPKPS3_EEvT1_iilPiilS8_bb, .Lfunc_end76-_ZN9rocsolver6v33100L18getri_kernel_smallILi13E19rocblas_complex_numIfEPKPS3_EEvT1_iilPiilS8_bb
                                        ; -- End function
	.set _ZN9rocsolver6v33100L18getri_kernel_smallILi13E19rocblas_complex_numIfEPKPS3_EEvT1_iilPiilS8_bb.num_vgpr, 88
	.set _ZN9rocsolver6v33100L18getri_kernel_smallILi13E19rocblas_complex_numIfEPKPS3_EEvT1_iilPiilS8_bb.num_agpr, 0
	.set _ZN9rocsolver6v33100L18getri_kernel_smallILi13E19rocblas_complex_numIfEPKPS3_EEvT1_iilPiilS8_bb.numbered_sgpr, 19
	.set _ZN9rocsolver6v33100L18getri_kernel_smallILi13E19rocblas_complex_numIfEPKPS3_EEvT1_iilPiilS8_bb.num_named_barrier, 0
	.set _ZN9rocsolver6v33100L18getri_kernel_smallILi13E19rocblas_complex_numIfEPKPS3_EEvT1_iilPiilS8_bb.private_seg_size, 112
	.set _ZN9rocsolver6v33100L18getri_kernel_smallILi13E19rocblas_complex_numIfEPKPS3_EEvT1_iilPiilS8_bb.uses_vcc, 1
	.set _ZN9rocsolver6v33100L18getri_kernel_smallILi13E19rocblas_complex_numIfEPKPS3_EEvT1_iilPiilS8_bb.uses_flat_scratch, 1
	.set _ZN9rocsolver6v33100L18getri_kernel_smallILi13E19rocblas_complex_numIfEPKPS3_EEvT1_iilPiilS8_bb.has_dyn_sized_stack, 0
	.set _ZN9rocsolver6v33100L18getri_kernel_smallILi13E19rocblas_complex_numIfEPKPS3_EEvT1_iilPiilS8_bb.has_recursion, 0
	.set _ZN9rocsolver6v33100L18getri_kernel_smallILi13E19rocblas_complex_numIfEPKPS3_EEvT1_iilPiilS8_bb.has_indirect_call, 0
	.section	.AMDGPU.csdata,"",@progbits
; Kernel info:
; codeLenInByte = 11824
; TotalNumSgprs: 21
; NumVgprs: 88
; ScratchSize: 112
; MemoryBound: 0
; FloatMode: 240
; IeeeMode: 1
; LDSByteSize: 216 bytes/workgroup (compile time only)
; SGPRBlocks: 0
; VGPRBlocks: 10
; NumSGPRsForWavesPerEU: 21
; NumVGPRsForWavesPerEU: 88
; Occupancy: 16
; WaveLimiterHint : 1
; COMPUTE_PGM_RSRC2:SCRATCH_EN: 1
; COMPUTE_PGM_RSRC2:USER_SGPR: 2
; COMPUTE_PGM_RSRC2:TRAP_HANDLER: 0
; COMPUTE_PGM_RSRC2:TGID_X_EN: 1
; COMPUTE_PGM_RSRC2:TGID_Y_EN: 0
; COMPUTE_PGM_RSRC2:TGID_Z_EN: 0
; COMPUTE_PGM_RSRC2:TIDIG_COMP_CNT: 0
	.section	.text._ZN9rocsolver6v33100L18getri_kernel_smallILi14E19rocblas_complex_numIfEPKPS3_EEvT1_iilPiilS8_bb,"axG",@progbits,_ZN9rocsolver6v33100L18getri_kernel_smallILi14E19rocblas_complex_numIfEPKPS3_EEvT1_iilPiilS8_bb,comdat
	.globl	_ZN9rocsolver6v33100L18getri_kernel_smallILi14E19rocblas_complex_numIfEPKPS3_EEvT1_iilPiilS8_bb ; -- Begin function _ZN9rocsolver6v33100L18getri_kernel_smallILi14E19rocblas_complex_numIfEPKPS3_EEvT1_iilPiilS8_bb
	.p2align	8
	.type	_ZN9rocsolver6v33100L18getri_kernel_smallILi14E19rocblas_complex_numIfEPKPS3_EEvT1_iilPiilS8_bb,@function
_ZN9rocsolver6v33100L18getri_kernel_smallILi14E19rocblas_complex_numIfEPKPS3_EEvT1_iilPiilS8_bb: ; @_ZN9rocsolver6v33100L18getri_kernel_smallILi14E19rocblas_complex_numIfEPKPS3_EEvT1_iilPiilS8_bb
; %bb.0:
	s_mov_b32 s2, exec_lo
	v_cmpx_gt_u32_e32 14, v0
	s_cbranch_execz .LBB77_70
; %bb.1:
	s_clause 0x1
	s_load_b32 s13, s[0:1], 0x38
	s_load_b64 s[2:3], s[0:1], 0x0
	s_mov_b32 s8, ttmp9
	s_load_b128 s[4:7], s[0:1], 0x28
	s_wait_kmcnt 0x0
	s_bitcmp1_b32 s13, 8
	s_cselect_b32 s12, -1, 0
	s_ashr_i32 s9, ttmp9, 31
	s_delay_alu instid0(SALU_CYCLE_1) | instskip(NEXT) | instid1(SALU_CYCLE_1)
	s_lshl_b64 s[10:11], s[8:9], 3
	s_add_nc_u64 s[2:3], s[2:3], s[10:11]
	s_load_b64 s[10:11], s[2:3], 0x0
	s_bfe_u32 s2, s13, 0x10008
	s_delay_alu instid0(SALU_CYCLE_1)
	s_cmp_eq_u32 s2, 0
                                        ; implicit-def: $sgpr2_sgpr3
	s_cbranch_scc1 .LBB77_3
; %bb.2:
	s_load_b96 s[16:18], s[0:1], 0x18
	s_mul_u64 s[2:3], s[4:5], s[8:9]
	s_delay_alu instid0(SALU_CYCLE_1)
	s_lshl_b64 s[2:3], s[2:3], 2
	s_wait_kmcnt 0x0
	s_ashr_i32 s5, s18, 31
	s_mov_b32 s4, s18
	s_add_nc_u64 s[2:3], s[16:17], s[2:3]
	s_lshl_b64 s[4:5], s[4:5], 2
	s_delay_alu instid0(SALU_CYCLE_1)
	s_add_nc_u64 s[2:3], s[2:3], s[4:5]
.LBB77_3:
	s_clause 0x1
	s_load_b64 s[4:5], s[0:1], 0x8
	s_load_b32 s13, s[0:1], 0x38
	v_lshlrev_b32_e32 v3, 3, v0
	s_wait_kmcnt 0x0
	s_ashr_i32 s1, s4, 31
	s_mov_b32 s0, s4
	v_add3_u32 v10, s5, s5, v0
	s_lshl_b64 s[0:1], s[0:1], 3
	s_delay_alu instid0(SALU_CYCLE_1)
	s_add_nc_u64 s[0:1], s[10:11], s[0:1]
	s_ashr_i32 s11, s5, 31
	v_add_co_u32 v4, s4, s0, v3
	s_wait_alu 0xf1ff
	v_add_co_ci_u32_e64 v5, null, s1, 0, s4
	s_mov_b32 s10, s5
	v_ashrrev_i32_e32 v11, 31, v10
	s_lshl_b64 s[10:11], s[10:11], 3
	flat_load_b64 v[1:2], v[4:5]
	v_add_co_u32 v6, vcc_lo, v4, s10
	s_delay_alu instid0(VALU_DEP_1) | instskip(SKIP_3) | instid1(VALU_DEP_2)
	v_add_co_ci_u32_e64 v7, null, s11, v5, vcc_lo
	v_lshlrev_b64_e32 v[8:9], 3, v[10:11]
	v_add_nc_u32_e32 v12, s5, v10
	s_bitcmp0_b32 s13, 0
	v_add_co_u32 v8, vcc_lo, s0, v8
	s_wait_alu 0xfffd
	s_delay_alu instid0(VALU_DEP_3) | instskip(SKIP_2) | instid1(VALU_DEP_2)
	v_add_co_ci_u32_e64 v9, null, s1, v9, vcc_lo
	v_ashrrev_i32_e32 v13, 31, v12
	v_add_nc_u32_e32 v14, s5, v12
	v_lshlrev_b64_e32 v[10:11], 3, v[12:13]
	s_delay_alu instid0(VALU_DEP_2) | instskip(SKIP_1) | instid1(VALU_DEP_3)
	v_ashrrev_i32_e32 v15, 31, v14
	v_add_nc_u32_e32 v16, s5, v14
	v_add_co_u32 v10, vcc_lo, s0, v10
	s_wait_alu 0xfffd
	s_delay_alu instid0(VALU_DEP_4) | instskip(SKIP_3) | instid1(VALU_DEP_3)
	v_add_co_ci_u32_e64 v11, null, s1, v11, vcc_lo
	v_lshlrev_b64_e32 v[12:13], 3, v[14:15]
	v_ashrrev_i32_e32 v17, 31, v16
	v_add_nc_u32_e32 v18, s5, v16
	v_add_co_u32 v12, vcc_lo, s0, v12
	s_wait_alu 0xfffd
	s_delay_alu instid0(VALU_DEP_4) | instskip(SKIP_3) | instid1(VALU_DEP_3)
	v_add_co_ci_u32_e64 v13, null, s1, v13, vcc_lo
	v_lshlrev_b64_e32 v[14:15], 3, v[16:17]
	;; [unrolled: 7-line block ×7, first 2 shown]
	v_ashrrev_i32_e32 v29, 31, v28
	v_add_nc_u32_e32 v30, s5, v28
	v_add_co_u32 v24, vcc_lo, s0, v24
	s_wait_alu 0xfffd
	s_delay_alu instid0(VALU_DEP_4) | instskip(SKIP_2) | instid1(VALU_DEP_2)
	v_add_co_ci_u32_e64 v25, null, s1, v25, vcc_lo
	v_lshlrev_b64_e32 v[26:27], 3, v[28:29]
	v_ashrrev_i32_e32 v31, 31, v30
	v_add_co_u32 v26, vcc_lo, s0, v26
	s_wait_alu 0xfffd
	s_delay_alu instid0(VALU_DEP_3) | instskip(NEXT) | instid1(VALU_DEP_3)
	v_add_co_ci_u32_e64 v27, null, s1, v27, vcc_lo
	v_lshlrev_b64_e32 v[28:29], 3, v[30:31]
	v_add_nc_u32_e32 v30, s5, v30
	s_delay_alu instid0(VALU_DEP_2) | instskip(SKIP_1) | instid1(VALU_DEP_3)
	v_add_co_u32 v28, vcc_lo, s0, v28
	s_wait_alu 0xfffd
	v_add_co_ci_u32_e64 v29, null, s1, v29, vcc_lo
	s_delay_alu instid0(VALU_DEP_3) | instskip(NEXT) | instid1(VALU_DEP_1)
	v_ashrrev_i32_e32 v31, 31, v30
	v_lshlrev_b64_e32 v[30:31], 3, v[30:31]
	s_delay_alu instid0(VALU_DEP_1) | instskip(SKIP_1) | instid1(VALU_DEP_2)
	v_add_co_u32 v30, vcc_lo, s0, v30
	s_wait_alu 0xfffd
	v_add_co_ci_u32_e64 v31, null, s1, v31, vcc_lo
	s_mov_b32 s1, -1
	s_wait_loadcnt_dscnt 0x0
	scratch_store_b64 off, v[1:2], off
	flat_load_b64 v[1:2], v[6:7]
	s_wait_loadcnt_dscnt 0x0
	scratch_store_b64 off, v[1:2], off offset:8
	flat_load_b64 v[1:2], v[8:9]
	s_wait_loadcnt_dscnt 0x0
	scratch_store_b64 off, v[1:2], off offset:16
	;; [unrolled: 3-line block ×13, first 2 shown]
	s_cbranch_scc1 .LBB77_68
; %bb.4:
	v_cmp_eq_u32_e64 s0, 0, v0
	s_and_saveexec_b32 s1, s0
; %bb.5:
	v_mov_b32_e32 v1, 0
	ds_store_b32 v1, v1 offset:224
; %bb.6:
	s_wait_alu 0xfffe
	s_or_b32 exec_lo, exec_lo, s1
	s_wait_storecnt_dscnt 0x0
	s_barrier_signal -1
	s_barrier_wait -1
	global_inv scope:SCOPE_SE
	scratch_load_b64 v[1:2], v3, off
	s_wait_loadcnt 0x0
	v_cmp_eq_f32_e32 vcc_lo, 0, v1
	v_cmp_eq_f32_e64 s1, 0, v2
	s_and_b32 s1, vcc_lo, s1
	s_wait_alu 0xfffe
	s_and_saveexec_b32 s4, s1
	s_cbranch_execz .LBB77_10
; %bb.7:
	v_mov_b32_e32 v1, 0
	s_mov_b32 s5, 0
	ds_load_b32 v2, v1 offset:224
	s_wait_dscnt 0x0
	v_readfirstlane_b32 s1, v2
	v_add_nc_u32_e32 v2, 1, v0
	s_cmp_eq_u32 s1, 0
	s_delay_alu instid0(VALU_DEP_1)
	v_cmp_gt_i32_e32 vcc_lo, s1, v2
	s_cselect_b32 s10, -1, 0
	s_wait_alu 0xfffe
	s_or_b32 s10, s10, vcc_lo
	s_wait_alu 0xfffe
	s_and_b32 exec_lo, exec_lo, s10
	s_cbranch_execz .LBB77_10
; %bb.8:
	v_mov_b32_e32 v32, s1
.LBB77_9:                               ; =>This Inner Loop Header: Depth=1
	ds_cmpstore_rtn_b32 v32, v1, v2, v32 offset:224
	s_wait_dscnt 0x0
	v_cmp_ne_u32_e32 vcc_lo, 0, v32
	v_cmp_le_i32_e64 s1, v32, v2
	s_and_b32 s1, vcc_lo, s1
	s_wait_alu 0xfffe
	s_and_b32 s1, exec_lo, s1
	s_wait_alu 0xfffe
	s_or_b32 s5, s1, s5
	s_wait_alu 0xfffe
	s_and_not1_b32 exec_lo, exec_lo, s5
	s_cbranch_execnz .LBB77_9
.LBB77_10:
	s_wait_alu 0xfffe
	s_or_b32 exec_lo, exec_lo, s4
	v_mov_b32_e32 v1, 0
	s_barrier_signal -1
	s_barrier_wait -1
	global_inv scope:SCOPE_SE
	ds_load_b32 v2, v1 offset:224
	s_and_saveexec_b32 s1, s0
	s_cbranch_execz .LBB77_12
; %bb.11:
	s_lshl_b64 s[4:5], s[8:9], 2
	s_wait_alu 0xfffe
	s_add_nc_u64 s[4:5], s[6:7], s[4:5]
	s_wait_dscnt 0x0
	global_store_b32 v1, v2, s[4:5]
.LBB77_12:
	s_wait_alu 0xfffe
	s_or_b32 exec_lo, exec_lo, s1
	s_wait_dscnt 0x0
	v_cmp_ne_u32_e32 vcc_lo, 0, v2
	s_mov_b32 s1, 0
	s_cbranch_vccnz .LBB77_68
; %bb.13:
	v_mov_b32_e32 v36, v3
                                        ; implicit-def: $vgpr32
                                        ; implicit-def: $vgpr34
	scratch_load_b64 v[1:2], v36, off
	s_wait_loadcnt 0x0
	v_cmp_ngt_f32_e64 s1, |v1|, |v2|
	s_wait_alu 0xfffe
	s_and_saveexec_b32 s4, s1
	s_wait_alu 0xfffe
	s_xor_b32 s1, exec_lo, s4
	s_cbranch_execz .LBB77_15
; %bb.14:
	v_div_scale_f32 v32, null, v2, v2, v1
	v_div_scale_f32 v35, vcc_lo, v1, v2, v1
	s_delay_alu instid0(VALU_DEP_2) | instskip(NEXT) | instid1(TRANS32_DEP_1)
	v_rcp_f32_e32 v33, v32
	v_fma_f32 v34, -v32, v33, 1.0
	s_delay_alu instid0(VALU_DEP_1) | instskip(NEXT) | instid1(VALU_DEP_1)
	v_fmac_f32_e32 v33, v34, v33
	v_mul_f32_e32 v34, v35, v33
	s_delay_alu instid0(VALU_DEP_1) | instskip(NEXT) | instid1(VALU_DEP_1)
	v_fma_f32 v37, -v32, v34, v35
	v_fmac_f32_e32 v34, v37, v33
	s_delay_alu instid0(VALU_DEP_1) | instskip(SKIP_1) | instid1(VALU_DEP_1)
	v_fma_f32 v32, -v32, v34, v35
	s_wait_alu 0xfffd
	v_div_fmas_f32 v32, v32, v33, v34
	s_delay_alu instid0(VALU_DEP_1) | instskip(NEXT) | instid1(VALU_DEP_1)
	v_div_fixup_f32 v32, v32, v2, v1
	v_fmac_f32_e32 v2, v1, v32
	s_delay_alu instid0(VALU_DEP_1) | instskip(NEXT) | instid1(VALU_DEP_1)
	v_div_scale_f32 v1, null, v2, v2, 1.0
	v_rcp_f32_e32 v33, v1
	s_delay_alu instid0(TRANS32_DEP_1) | instskip(NEXT) | instid1(VALU_DEP_1)
	v_fma_f32 v34, -v1, v33, 1.0
	v_fmac_f32_e32 v33, v34, v33
	v_div_scale_f32 v34, vcc_lo, 1.0, v2, 1.0
	s_delay_alu instid0(VALU_DEP_1) | instskip(NEXT) | instid1(VALU_DEP_1)
	v_mul_f32_e32 v35, v34, v33
	v_fma_f32 v37, -v1, v35, v34
	s_delay_alu instid0(VALU_DEP_1) | instskip(NEXT) | instid1(VALU_DEP_1)
	v_fmac_f32_e32 v35, v37, v33
	v_fma_f32 v1, -v1, v35, v34
	s_wait_alu 0xfffd
	s_delay_alu instid0(VALU_DEP_1) | instskip(NEXT) | instid1(VALU_DEP_1)
	v_div_fmas_f32 v1, v1, v33, v35
	v_div_fixup_f32 v1, v1, v2, 1.0
	s_delay_alu instid0(VALU_DEP_1) | instskip(SKIP_1) | instid1(VALU_DEP_2)
	v_mul_f32_e32 v32, v32, v1
	v_xor_b32_e32 v33, 0x80000000, v1
                                        ; implicit-def: $vgpr1_vgpr2
	v_xor_b32_e32 v34, 0x80000000, v32
.LBB77_15:
	s_wait_alu 0xfffe
	s_and_not1_saveexec_b32 s1, s1
	s_cbranch_execz .LBB77_17
; %bb.16:
	v_div_scale_f32 v32, null, v1, v1, v2
	v_div_scale_f32 v35, vcc_lo, v2, v1, v2
	s_delay_alu instid0(VALU_DEP_2) | instskip(NEXT) | instid1(TRANS32_DEP_1)
	v_rcp_f32_e32 v33, v32
	v_fma_f32 v34, -v32, v33, 1.0
	s_delay_alu instid0(VALU_DEP_1) | instskip(NEXT) | instid1(VALU_DEP_1)
	v_fmac_f32_e32 v33, v34, v33
	v_mul_f32_e32 v34, v35, v33
	s_delay_alu instid0(VALU_DEP_1) | instskip(NEXT) | instid1(VALU_DEP_1)
	v_fma_f32 v37, -v32, v34, v35
	v_fmac_f32_e32 v34, v37, v33
	s_delay_alu instid0(VALU_DEP_1) | instskip(SKIP_1) | instid1(VALU_DEP_1)
	v_fma_f32 v32, -v32, v34, v35
	s_wait_alu 0xfffd
	v_div_fmas_f32 v32, v32, v33, v34
	s_delay_alu instid0(VALU_DEP_1) | instskip(NEXT) | instid1(VALU_DEP_1)
	v_div_fixup_f32 v33, v32, v1, v2
	v_fmac_f32_e32 v1, v2, v33
	s_delay_alu instid0(VALU_DEP_1) | instskip(SKIP_1) | instid1(VALU_DEP_2)
	v_div_scale_f32 v2, null, v1, v1, 1.0
	v_div_scale_f32 v35, vcc_lo, 1.0, v1, 1.0
	v_rcp_f32_e32 v32, v2
	s_delay_alu instid0(TRANS32_DEP_1) | instskip(NEXT) | instid1(VALU_DEP_1)
	v_fma_f32 v34, -v2, v32, 1.0
	v_fmac_f32_e32 v32, v34, v32
	s_delay_alu instid0(VALU_DEP_1) | instskip(NEXT) | instid1(VALU_DEP_1)
	v_mul_f32_e32 v34, v35, v32
	v_fma_f32 v37, -v2, v34, v35
	s_delay_alu instid0(VALU_DEP_1) | instskip(NEXT) | instid1(VALU_DEP_1)
	v_fmac_f32_e32 v34, v37, v32
	v_fma_f32 v2, -v2, v34, v35
	s_wait_alu 0xfffd
	s_delay_alu instid0(VALU_DEP_1) | instskip(NEXT) | instid1(VALU_DEP_1)
	v_div_fmas_f32 v2, v2, v32, v34
	v_div_fixup_f32 v32, v2, v1, 1.0
	s_delay_alu instid0(VALU_DEP_1)
	v_xor_b32_e32 v34, 0x80000000, v32
	v_mul_f32_e64 v33, v33, -v32
.LBB77_17:
	s_wait_alu 0xfffe
	s_or_b32 exec_lo, exec_lo, s1
	scratch_store_b64 v36, v[32:33], off
	scratch_load_b64 v[37:38], off, off offset:8
	v_xor_b32_e32 v35, 0x80000000, v33
	v_add_nc_u32_e32 v1, 0x70, v3
	s_wait_loadcnt 0x0
	ds_store_2addr_b64 v3, v[34:35], v[37:38] offset1:14
	s_wait_storecnt_dscnt 0x0
	s_barrier_signal -1
	s_barrier_wait -1
	global_inv scope:SCOPE_SE
	s_and_saveexec_b32 s1, s0
	s_cbranch_execz .LBB77_19
; %bb.18:
	scratch_load_b64 v[32:33], v36, off
	ds_load_b64 v[34:35], v1
	v_mov_b32_e32 v2, 0
	ds_load_b64 v[37:38], v2 offset:8
	s_wait_loadcnt_dscnt 0x1
	v_mul_f32_e32 v2, v34, v33
	v_mul_f32_e32 v33, v35, v33
	s_delay_alu instid0(VALU_DEP_2) | instskip(NEXT) | instid1(VALU_DEP_2)
	v_fmac_f32_e32 v2, v35, v32
	v_fma_f32 v32, v34, v32, -v33
	s_delay_alu instid0(VALU_DEP_2) | instskip(NEXT) | instid1(VALU_DEP_2)
	v_add_f32_e32 v2, 0, v2
	v_add_f32_e32 v32, 0, v32
	s_wait_dscnt 0x0
	s_delay_alu instid0(VALU_DEP_2) | instskip(NEXT) | instid1(VALU_DEP_2)
	v_mul_f32_e32 v34, v2, v38
	v_mul_f32_e32 v33, v32, v38
	s_delay_alu instid0(VALU_DEP_1) | instskip(NEXT) | instid1(VALU_DEP_3)
	v_fmac_f32_e32 v33, v2, v37
	v_fma_f32 v32, v32, v37, -v34
	scratch_store_b64 off, v[32:33], off offset:8
.LBB77_19:
	s_wait_alu 0xfffe
	s_or_b32 exec_lo, exec_lo, s1
	s_wait_loadcnt 0x0
	s_wait_storecnt 0x0
	s_barrier_signal -1
	s_barrier_wait -1
	global_inv scope:SCOPE_SE
	scratch_load_b64 v[32:33], off, off offset:16
	s_mov_b32 s1, exec_lo
	s_wait_loadcnt 0x0
	ds_store_b64 v1, v[32:33]
	s_wait_dscnt 0x0
	s_barrier_signal -1
	s_barrier_wait -1
	global_inv scope:SCOPE_SE
	v_cmpx_gt_u32_e32 2, v0
	s_cbranch_execz .LBB77_23
; %bb.20:
	scratch_load_b64 v[32:33], v36, off
	ds_load_b64 v[34:35], v1
	s_wait_loadcnt_dscnt 0x0
	v_mul_f32_e32 v2, v35, v33
	s_delay_alu instid0(VALU_DEP_1) | instskip(SKIP_1) | instid1(VALU_DEP_1)
	v_fma_f32 v2, v34, v32, -v2
	v_mul_f32_e32 v33, v34, v33
	v_dual_fmac_f32 v33, v35, v32 :: v_dual_add_f32 v32, 0, v2
	s_delay_alu instid0(VALU_DEP_1)
	v_add_f32_e32 v2, 0, v33
	s_and_saveexec_b32 s4, s0
	s_cbranch_execz .LBB77_22
; %bb.21:
	scratch_load_b64 v[33:34], off, off offset:8
	v_mov_b32_e32 v35, 0
	ds_load_b64 v[37:38], v35 offset:120
	s_wait_loadcnt_dscnt 0x0
	v_mul_f32_e32 v35, v37, v34
	v_mul_f32_e32 v34, v38, v34
	s_delay_alu instid0(VALU_DEP_2) | instskip(NEXT) | instid1(VALU_DEP_2)
	v_fmac_f32_e32 v35, v38, v33
	v_fma_f32 v33, v37, v33, -v34
	s_delay_alu instid0(VALU_DEP_2) | instskip(NEXT) | instid1(VALU_DEP_2)
	v_add_f32_e32 v2, v2, v35
	v_add_f32_e32 v32, v32, v33
.LBB77_22:
	s_wait_alu 0xfffe
	s_or_b32 exec_lo, exec_lo, s4
	v_mov_b32_e32 v33, 0
	ds_load_b64 v[33:34], v33 offset:16
	s_wait_dscnt 0x0
	v_mul_f32_e32 v37, v2, v34
	v_mul_f32_e32 v35, v32, v34
	s_delay_alu instid0(VALU_DEP_2) | instskip(NEXT) | instid1(VALU_DEP_2)
	v_fma_f32 v34, v32, v33, -v37
	v_fmac_f32_e32 v35, v2, v33
	scratch_store_b64 off, v[34:35], off offset:16
.LBB77_23:
	s_wait_alu 0xfffe
	s_or_b32 exec_lo, exec_lo, s1
	s_wait_loadcnt 0x0
	s_wait_storecnt 0x0
	s_barrier_signal -1
	s_barrier_wait -1
	global_inv scope:SCOPE_SE
	scratch_load_b64 v[32:33], off, off offset:24
	v_add_nc_u32_e32 v2, -1, v0
	s_mov_b32 s0, exec_lo
	s_wait_loadcnt 0x0
	ds_store_b64 v1, v[32:33]
	s_wait_dscnt 0x0
	s_barrier_signal -1
	s_barrier_wait -1
	global_inv scope:SCOPE_SE
	v_cmpx_gt_u32_e32 3, v0
	s_cbranch_execz .LBB77_27
; %bb.24:
	v_dual_mov_b32 v32, 0 :: v_dual_add_nc_u32 v33, -1, v0
	v_dual_mov_b32 v35, v3 :: v_dual_add_nc_u32 v34, 0x70, v3
	v_mov_b32_e32 v37, 0
	s_mov_b32 s1, 0
.LBB77_25:                              ; =>This Inner Loop Header: Depth=1
	scratch_load_b64 v[38:39], v35, off
	ds_load_b64 v[40:41], v34
	v_add_nc_u32_e32 v35, 8, v35
	v_add_nc_u32_e32 v33, 1, v33
	v_add_nc_u32_e32 v34, 8, v34
	s_delay_alu instid0(VALU_DEP_2)
	v_cmp_lt_u32_e32 vcc_lo, 1, v33
	s_wait_alu 0xfffe
	s_or_b32 s1, vcc_lo, s1
	s_wait_loadcnt_dscnt 0x0
	v_mul_f32_e32 v42, v41, v39
	v_mul_f32_e32 v39, v40, v39
	s_delay_alu instid0(VALU_DEP_2) | instskip(NEXT) | instid1(VALU_DEP_2)
	v_fma_f32 v40, v40, v38, -v42
	v_fmac_f32_e32 v39, v41, v38
	s_delay_alu instid0(VALU_DEP_1)
	v_dual_add_f32 v37, v37, v40 :: v_dual_add_f32 v32, v32, v39
	s_wait_alu 0xfffe
	s_and_not1_b32 exec_lo, exec_lo, s1
	s_cbranch_execnz .LBB77_25
; %bb.26:
	s_or_b32 exec_lo, exec_lo, s1
	v_mov_b32_e32 v33, 0
	ds_load_b64 v[33:34], v33 offset:24
	s_wait_dscnt 0x0
	v_mul_f32_e32 v38, v32, v34
	v_mul_f32_e32 v35, v37, v34
	s_delay_alu instid0(VALU_DEP_2) | instskip(NEXT) | instid1(VALU_DEP_2)
	v_fma_f32 v34, v37, v33, -v38
	v_fmac_f32_e32 v35, v32, v33
	scratch_store_b64 off, v[34:35], off offset:24
.LBB77_27:
	s_wait_alu 0xfffe
	s_or_b32 exec_lo, exec_lo, s0
	s_wait_loadcnt 0x0
	s_wait_storecnt 0x0
	s_barrier_signal -1
	s_barrier_wait -1
	global_inv scope:SCOPE_SE
	scratch_load_b64 v[32:33], off, off offset:32
	s_mov_b32 s0, exec_lo
	s_wait_loadcnt 0x0
	ds_store_b64 v1, v[32:33]
	s_wait_dscnt 0x0
	s_barrier_signal -1
	s_barrier_wait -1
	global_inv scope:SCOPE_SE
	v_cmpx_gt_u32_e32 4, v0
	s_cbranch_execz .LBB77_31
; %bb.28:
	v_dual_mov_b32 v32, 0 :: v_dual_add_nc_u32 v33, -1, v0
	v_dual_mov_b32 v35, v3 :: v_dual_add_nc_u32 v34, 0x70, v3
	v_mov_b32_e32 v37, 0
	s_mov_b32 s1, 0
.LBB77_29:                              ; =>This Inner Loop Header: Depth=1
	scratch_load_b64 v[38:39], v35, off
	ds_load_b64 v[40:41], v34
	v_add_nc_u32_e32 v35, 8, v35
	v_add_nc_u32_e32 v33, 1, v33
	v_add_nc_u32_e32 v34, 8, v34
	s_delay_alu instid0(VALU_DEP_2)
	v_cmp_lt_u32_e32 vcc_lo, 2, v33
	s_wait_alu 0xfffe
	s_or_b32 s1, vcc_lo, s1
	s_wait_loadcnt_dscnt 0x0
	v_mul_f32_e32 v42, v41, v39
	v_mul_f32_e32 v39, v40, v39
	s_delay_alu instid0(VALU_DEP_2) | instskip(NEXT) | instid1(VALU_DEP_2)
	v_fma_f32 v40, v40, v38, -v42
	v_fmac_f32_e32 v39, v41, v38
	s_delay_alu instid0(VALU_DEP_1)
	v_dual_add_f32 v37, v37, v40 :: v_dual_add_f32 v32, v32, v39
	s_wait_alu 0xfffe
	s_and_not1_b32 exec_lo, exec_lo, s1
	s_cbranch_execnz .LBB77_29
; %bb.30:
	s_or_b32 exec_lo, exec_lo, s1
	v_mov_b32_e32 v33, 0
	ds_load_b64 v[33:34], v33 offset:32
	s_wait_dscnt 0x0
	v_mul_f32_e32 v38, v32, v34
	v_mul_f32_e32 v35, v37, v34
	s_delay_alu instid0(VALU_DEP_2) | instskip(NEXT) | instid1(VALU_DEP_2)
	v_fma_f32 v34, v37, v33, -v38
	v_fmac_f32_e32 v35, v32, v33
	scratch_store_b64 off, v[34:35], off offset:32
.LBB77_31:
	s_wait_alu 0xfffe
	s_or_b32 exec_lo, exec_lo, s0
	s_wait_loadcnt 0x0
	s_wait_storecnt 0x0
	s_barrier_signal -1
	s_barrier_wait -1
	global_inv scope:SCOPE_SE
	scratch_load_b64 v[32:33], off, off offset:40
	s_mov_b32 s0, exec_lo
	s_wait_loadcnt 0x0
	ds_store_b64 v1, v[32:33]
	s_wait_dscnt 0x0
	s_barrier_signal -1
	s_barrier_wait -1
	global_inv scope:SCOPE_SE
	v_cmpx_gt_u32_e32 5, v0
	s_cbranch_execz .LBB77_35
; %bb.32:
	v_dual_mov_b32 v32, 0 :: v_dual_add_nc_u32 v33, -1, v0
	v_dual_mov_b32 v35, v3 :: v_dual_add_nc_u32 v34, 0x70, v3
	v_mov_b32_e32 v37, 0
	s_mov_b32 s1, 0
.LBB77_33:                              ; =>This Inner Loop Header: Depth=1
	scratch_load_b64 v[38:39], v35, off
	ds_load_b64 v[40:41], v34
	v_add_nc_u32_e32 v35, 8, v35
	v_add_nc_u32_e32 v33, 1, v33
	v_add_nc_u32_e32 v34, 8, v34
	s_delay_alu instid0(VALU_DEP_2)
	v_cmp_lt_u32_e32 vcc_lo, 3, v33
	s_wait_alu 0xfffe
	s_or_b32 s1, vcc_lo, s1
	s_wait_loadcnt_dscnt 0x0
	v_mul_f32_e32 v42, v41, v39
	v_mul_f32_e32 v39, v40, v39
	s_delay_alu instid0(VALU_DEP_2) | instskip(NEXT) | instid1(VALU_DEP_2)
	v_fma_f32 v40, v40, v38, -v42
	v_fmac_f32_e32 v39, v41, v38
	s_delay_alu instid0(VALU_DEP_1)
	v_dual_add_f32 v37, v37, v40 :: v_dual_add_f32 v32, v32, v39
	s_wait_alu 0xfffe
	s_and_not1_b32 exec_lo, exec_lo, s1
	s_cbranch_execnz .LBB77_33
; %bb.34:
	s_or_b32 exec_lo, exec_lo, s1
	v_mov_b32_e32 v33, 0
	ds_load_b64 v[33:34], v33 offset:40
	s_wait_dscnt 0x0
	v_mul_f32_e32 v38, v32, v34
	v_mul_f32_e32 v35, v37, v34
	s_delay_alu instid0(VALU_DEP_2) | instskip(NEXT) | instid1(VALU_DEP_2)
	v_fma_f32 v34, v37, v33, -v38
	v_fmac_f32_e32 v35, v32, v33
	scratch_store_b64 off, v[34:35], off offset:40
.LBB77_35:
	s_wait_alu 0xfffe
	s_or_b32 exec_lo, exec_lo, s0
	s_wait_loadcnt 0x0
	s_wait_storecnt 0x0
	s_barrier_signal -1
	s_barrier_wait -1
	global_inv scope:SCOPE_SE
	scratch_load_b64 v[32:33], off, off offset:48
	s_mov_b32 s0, exec_lo
	s_wait_loadcnt 0x0
	ds_store_b64 v1, v[32:33]
	s_wait_dscnt 0x0
	s_barrier_signal -1
	s_barrier_wait -1
	global_inv scope:SCOPE_SE
	v_cmpx_gt_u32_e32 6, v0
	s_cbranch_execz .LBB77_39
; %bb.36:
	v_dual_mov_b32 v32, 0 :: v_dual_add_nc_u32 v33, -1, v0
	v_dual_mov_b32 v35, v3 :: v_dual_add_nc_u32 v34, 0x70, v3
	v_mov_b32_e32 v37, 0
	s_mov_b32 s1, 0
.LBB77_37:                              ; =>This Inner Loop Header: Depth=1
	scratch_load_b64 v[38:39], v35, off
	ds_load_b64 v[40:41], v34
	v_add_nc_u32_e32 v35, 8, v35
	v_add_nc_u32_e32 v33, 1, v33
	v_add_nc_u32_e32 v34, 8, v34
	s_delay_alu instid0(VALU_DEP_2)
	v_cmp_lt_u32_e32 vcc_lo, 4, v33
	s_wait_alu 0xfffe
	s_or_b32 s1, vcc_lo, s1
	s_wait_loadcnt_dscnt 0x0
	v_mul_f32_e32 v42, v41, v39
	v_mul_f32_e32 v39, v40, v39
	s_delay_alu instid0(VALU_DEP_2) | instskip(NEXT) | instid1(VALU_DEP_2)
	v_fma_f32 v40, v40, v38, -v42
	v_fmac_f32_e32 v39, v41, v38
	s_delay_alu instid0(VALU_DEP_1)
	v_dual_add_f32 v37, v37, v40 :: v_dual_add_f32 v32, v32, v39
	s_wait_alu 0xfffe
	s_and_not1_b32 exec_lo, exec_lo, s1
	s_cbranch_execnz .LBB77_37
; %bb.38:
	s_or_b32 exec_lo, exec_lo, s1
	v_mov_b32_e32 v33, 0
	ds_load_b64 v[33:34], v33 offset:48
	s_wait_dscnt 0x0
	v_mul_f32_e32 v38, v32, v34
	v_mul_f32_e32 v35, v37, v34
	s_delay_alu instid0(VALU_DEP_2) | instskip(NEXT) | instid1(VALU_DEP_2)
	v_fma_f32 v34, v37, v33, -v38
	v_fmac_f32_e32 v35, v32, v33
	scratch_store_b64 off, v[34:35], off offset:48
.LBB77_39:
	s_wait_alu 0xfffe
	s_or_b32 exec_lo, exec_lo, s0
	s_wait_loadcnt 0x0
	s_wait_storecnt 0x0
	s_barrier_signal -1
	s_barrier_wait -1
	global_inv scope:SCOPE_SE
	scratch_load_b64 v[32:33], off, off offset:56
	s_mov_b32 s0, exec_lo
	s_wait_loadcnt 0x0
	ds_store_b64 v1, v[32:33]
	s_wait_dscnt 0x0
	s_barrier_signal -1
	s_barrier_wait -1
	global_inv scope:SCOPE_SE
	v_cmpx_gt_u32_e32 7, v0
	s_cbranch_execz .LBB77_43
; %bb.40:
	v_dual_mov_b32 v32, 0 :: v_dual_add_nc_u32 v33, -1, v0
	v_dual_mov_b32 v35, v3 :: v_dual_add_nc_u32 v34, 0x70, v3
	v_mov_b32_e32 v37, 0
	s_mov_b32 s1, 0
.LBB77_41:                              ; =>This Inner Loop Header: Depth=1
	scratch_load_b64 v[38:39], v35, off
	ds_load_b64 v[40:41], v34
	v_add_nc_u32_e32 v35, 8, v35
	v_add_nc_u32_e32 v33, 1, v33
	v_add_nc_u32_e32 v34, 8, v34
	s_delay_alu instid0(VALU_DEP_2)
	v_cmp_lt_u32_e32 vcc_lo, 5, v33
	s_wait_alu 0xfffe
	s_or_b32 s1, vcc_lo, s1
	s_wait_loadcnt_dscnt 0x0
	v_mul_f32_e32 v42, v41, v39
	v_mul_f32_e32 v39, v40, v39
	s_delay_alu instid0(VALU_DEP_2) | instskip(NEXT) | instid1(VALU_DEP_2)
	v_fma_f32 v40, v40, v38, -v42
	v_fmac_f32_e32 v39, v41, v38
	s_delay_alu instid0(VALU_DEP_1)
	v_dual_add_f32 v37, v37, v40 :: v_dual_add_f32 v32, v32, v39
	s_wait_alu 0xfffe
	s_and_not1_b32 exec_lo, exec_lo, s1
	s_cbranch_execnz .LBB77_41
; %bb.42:
	s_or_b32 exec_lo, exec_lo, s1
	v_mov_b32_e32 v33, 0
	ds_load_b64 v[33:34], v33 offset:56
	s_wait_dscnt 0x0
	v_mul_f32_e32 v38, v32, v34
	v_mul_f32_e32 v35, v37, v34
	s_delay_alu instid0(VALU_DEP_2) | instskip(NEXT) | instid1(VALU_DEP_2)
	v_fma_f32 v34, v37, v33, -v38
	v_fmac_f32_e32 v35, v32, v33
	scratch_store_b64 off, v[34:35], off offset:56
.LBB77_43:
	s_wait_alu 0xfffe
	s_or_b32 exec_lo, exec_lo, s0
	s_wait_loadcnt 0x0
	s_wait_storecnt 0x0
	s_barrier_signal -1
	s_barrier_wait -1
	global_inv scope:SCOPE_SE
	scratch_load_b64 v[32:33], off, off offset:64
	s_mov_b32 s0, exec_lo
	s_wait_loadcnt 0x0
	ds_store_b64 v1, v[32:33]
	s_wait_dscnt 0x0
	s_barrier_signal -1
	s_barrier_wait -1
	global_inv scope:SCOPE_SE
	v_cmpx_gt_u32_e32 8, v0
	s_cbranch_execz .LBB77_47
; %bb.44:
	v_dual_mov_b32 v32, 0 :: v_dual_add_nc_u32 v33, -1, v0
	v_dual_mov_b32 v35, v3 :: v_dual_add_nc_u32 v34, 0x70, v3
	v_mov_b32_e32 v37, 0
	s_mov_b32 s1, 0
.LBB77_45:                              ; =>This Inner Loop Header: Depth=1
	scratch_load_b64 v[38:39], v35, off
	ds_load_b64 v[40:41], v34
	v_add_nc_u32_e32 v35, 8, v35
	v_add_nc_u32_e32 v33, 1, v33
	v_add_nc_u32_e32 v34, 8, v34
	s_delay_alu instid0(VALU_DEP_2)
	v_cmp_lt_u32_e32 vcc_lo, 6, v33
	s_wait_alu 0xfffe
	s_or_b32 s1, vcc_lo, s1
	s_wait_loadcnt_dscnt 0x0
	v_mul_f32_e32 v42, v41, v39
	v_mul_f32_e32 v39, v40, v39
	s_delay_alu instid0(VALU_DEP_2) | instskip(NEXT) | instid1(VALU_DEP_2)
	v_fma_f32 v40, v40, v38, -v42
	v_fmac_f32_e32 v39, v41, v38
	s_delay_alu instid0(VALU_DEP_1)
	v_dual_add_f32 v37, v37, v40 :: v_dual_add_f32 v32, v32, v39
	s_wait_alu 0xfffe
	s_and_not1_b32 exec_lo, exec_lo, s1
	s_cbranch_execnz .LBB77_45
; %bb.46:
	s_or_b32 exec_lo, exec_lo, s1
	v_mov_b32_e32 v33, 0
	ds_load_b64 v[33:34], v33 offset:64
	s_wait_dscnt 0x0
	v_mul_f32_e32 v38, v32, v34
	v_mul_f32_e32 v35, v37, v34
	s_delay_alu instid0(VALU_DEP_2) | instskip(NEXT) | instid1(VALU_DEP_2)
	v_fma_f32 v34, v37, v33, -v38
	v_fmac_f32_e32 v35, v32, v33
	scratch_store_b64 off, v[34:35], off offset:64
.LBB77_47:
	s_wait_alu 0xfffe
	s_or_b32 exec_lo, exec_lo, s0
	s_wait_loadcnt 0x0
	s_wait_storecnt 0x0
	s_barrier_signal -1
	s_barrier_wait -1
	global_inv scope:SCOPE_SE
	scratch_load_b64 v[32:33], off, off offset:72
	s_mov_b32 s0, exec_lo
	s_wait_loadcnt 0x0
	ds_store_b64 v1, v[32:33]
	s_wait_dscnt 0x0
	s_barrier_signal -1
	s_barrier_wait -1
	global_inv scope:SCOPE_SE
	v_cmpx_gt_u32_e32 9, v0
	s_cbranch_execz .LBB77_51
; %bb.48:
	v_dual_mov_b32 v32, 0 :: v_dual_add_nc_u32 v33, -1, v0
	v_dual_mov_b32 v35, v3 :: v_dual_add_nc_u32 v34, 0x70, v3
	v_mov_b32_e32 v37, 0
	s_mov_b32 s1, 0
.LBB77_49:                              ; =>This Inner Loop Header: Depth=1
	scratch_load_b64 v[38:39], v35, off
	ds_load_b64 v[40:41], v34
	v_add_nc_u32_e32 v35, 8, v35
	v_add_nc_u32_e32 v33, 1, v33
	v_add_nc_u32_e32 v34, 8, v34
	s_delay_alu instid0(VALU_DEP_2)
	v_cmp_lt_u32_e32 vcc_lo, 7, v33
	s_wait_alu 0xfffe
	s_or_b32 s1, vcc_lo, s1
	s_wait_loadcnt_dscnt 0x0
	v_mul_f32_e32 v42, v41, v39
	v_mul_f32_e32 v39, v40, v39
	s_delay_alu instid0(VALU_DEP_2) | instskip(NEXT) | instid1(VALU_DEP_2)
	v_fma_f32 v40, v40, v38, -v42
	v_fmac_f32_e32 v39, v41, v38
	s_delay_alu instid0(VALU_DEP_1)
	v_dual_add_f32 v37, v37, v40 :: v_dual_add_f32 v32, v32, v39
	s_wait_alu 0xfffe
	s_and_not1_b32 exec_lo, exec_lo, s1
	s_cbranch_execnz .LBB77_49
; %bb.50:
	s_or_b32 exec_lo, exec_lo, s1
	v_mov_b32_e32 v33, 0
	ds_load_b64 v[33:34], v33 offset:72
	s_wait_dscnt 0x0
	v_mul_f32_e32 v38, v32, v34
	v_mul_f32_e32 v35, v37, v34
	s_delay_alu instid0(VALU_DEP_2) | instskip(NEXT) | instid1(VALU_DEP_2)
	v_fma_f32 v34, v37, v33, -v38
	v_fmac_f32_e32 v35, v32, v33
	scratch_store_b64 off, v[34:35], off offset:72
.LBB77_51:
	s_wait_alu 0xfffe
	s_or_b32 exec_lo, exec_lo, s0
	s_wait_loadcnt 0x0
	s_wait_storecnt 0x0
	s_barrier_signal -1
	s_barrier_wait -1
	global_inv scope:SCOPE_SE
	scratch_load_b64 v[32:33], off, off offset:80
	s_mov_b32 s0, exec_lo
	s_wait_loadcnt 0x0
	ds_store_b64 v1, v[32:33]
	s_wait_dscnt 0x0
	s_barrier_signal -1
	s_barrier_wait -1
	global_inv scope:SCOPE_SE
	v_cmpx_gt_u32_e32 10, v0
	s_cbranch_execz .LBB77_55
; %bb.52:
	v_dual_mov_b32 v32, 0 :: v_dual_add_nc_u32 v33, -1, v0
	v_dual_mov_b32 v35, v3 :: v_dual_add_nc_u32 v34, 0x70, v3
	v_mov_b32_e32 v37, 0
	s_mov_b32 s1, 0
.LBB77_53:                              ; =>This Inner Loop Header: Depth=1
	scratch_load_b64 v[38:39], v35, off
	ds_load_b64 v[40:41], v34
	v_add_nc_u32_e32 v35, 8, v35
	v_add_nc_u32_e32 v33, 1, v33
	v_add_nc_u32_e32 v34, 8, v34
	s_delay_alu instid0(VALU_DEP_2)
	v_cmp_lt_u32_e32 vcc_lo, 8, v33
	s_wait_alu 0xfffe
	s_or_b32 s1, vcc_lo, s1
	s_wait_loadcnt_dscnt 0x0
	v_mul_f32_e32 v42, v41, v39
	v_mul_f32_e32 v39, v40, v39
	s_delay_alu instid0(VALU_DEP_2) | instskip(NEXT) | instid1(VALU_DEP_2)
	v_fma_f32 v40, v40, v38, -v42
	v_fmac_f32_e32 v39, v41, v38
	s_delay_alu instid0(VALU_DEP_1)
	v_dual_add_f32 v37, v37, v40 :: v_dual_add_f32 v32, v32, v39
	s_wait_alu 0xfffe
	s_and_not1_b32 exec_lo, exec_lo, s1
	s_cbranch_execnz .LBB77_53
; %bb.54:
	s_or_b32 exec_lo, exec_lo, s1
	v_mov_b32_e32 v33, 0
	ds_load_b64 v[33:34], v33 offset:80
	s_wait_dscnt 0x0
	v_mul_f32_e32 v38, v32, v34
	v_mul_f32_e32 v35, v37, v34
	s_delay_alu instid0(VALU_DEP_2) | instskip(NEXT) | instid1(VALU_DEP_2)
	v_fma_f32 v34, v37, v33, -v38
	v_fmac_f32_e32 v35, v32, v33
	scratch_store_b64 off, v[34:35], off offset:80
.LBB77_55:
	s_wait_alu 0xfffe
	s_or_b32 exec_lo, exec_lo, s0
	s_wait_loadcnt 0x0
	s_wait_storecnt 0x0
	s_barrier_signal -1
	s_barrier_wait -1
	global_inv scope:SCOPE_SE
	scratch_load_b64 v[32:33], off, off offset:88
	s_mov_b32 s0, exec_lo
	s_wait_loadcnt 0x0
	ds_store_b64 v1, v[32:33]
	s_wait_dscnt 0x0
	s_barrier_signal -1
	s_barrier_wait -1
	global_inv scope:SCOPE_SE
	v_cmpx_gt_u32_e32 11, v0
	s_cbranch_execz .LBB77_59
; %bb.56:
	v_dual_mov_b32 v32, 0 :: v_dual_add_nc_u32 v33, -1, v0
	v_dual_mov_b32 v35, v3 :: v_dual_add_nc_u32 v34, 0x70, v3
	v_mov_b32_e32 v37, 0
	s_mov_b32 s1, 0
.LBB77_57:                              ; =>This Inner Loop Header: Depth=1
	scratch_load_b64 v[38:39], v35, off
	ds_load_b64 v[40:41], v34
	v_add_nc_u32_e32 v35, 8, v35
	v_add_nc_u32_e32 v33, 1, v33
	v_add_nc_u32_e32 v34, 8, v34
	s_delay_alu instid0(VALU_DEP_2)
	v_cmp_lt_u32_e32 vcc_lo, 9, v33
	s_wait_alu 0xfffe
	s_or_b32 s1, vcc_lo, s1
	s_wait_loadcnt_dscnt 0x0
	v_mul_f32_e32 v42, v41, v39
	v_mul_f32_e32 v39, v40, v39
	s_delay_alu instid0(VALU_DEP_2) | instskip(NEXT) | instid1(VALU_DEP_2)
	v_fma_f32 v40, v40, v38, -v42
	v_fmac_f32_e32 v39, v41, v38
	s_delay_alu instid0(VALU_DEP_1)
	v_dual_add_f32 v37, v37, v40 :: v_dual_add_f32 v32, v32, v39
	s_wait_alu 0xfffe
	s_and_not1_b32 exec_lo, exec_lo, s1
	s_cbranch_execnz .LBB77_57
; %bb.58:
	s_or_b32 exec_lo, exec_lo, s1
	v_mov_b32_e32 v33, 0
	ds_load_b64 v[33:34], v33 offset:88
	s_wait_dscnt 0x0
	v_mul_f32_e32 v38, v32, v34
	v_mul_f32_e32 v35, v37, v34
	s_delay_alu instid0(VALU_DEP_2) | instskip(NEXT) | instid1(VALU_DEP_2)
	v_fma_f32 v34, v37, v33, -v38
	v_fmac_f32_e32 v35, v32, v33
	scratch_store_b64 off, v[34:35], off offset:88
.LBB77_59:
	s_wait_alu 0xfffe
	s_or_b32 exec_lo, exec_lo, s0
	s_wait_loadcnt 0x0
	s_wait_storecnt 0x0
	s_barrier_signal -1
	s_barrier_wait -1
	global_inv scope:SCOPE_SE
	scratch_load_b64 v[32:33], off, off offset:96
	s_mov_b32 s0, exec_lo
	s_wait_loadcnt 0x0
	ds_store_b64 v1, v[32:33]
	s_wait_dscnt 0x0
	s_barrier_signal -1
	s_barrier_wait -1
	global_inv scope:SCOPE_SE
	v_cmpx_gt_u32_e32 12, v0
	s_cbranch_execz .LBB77_63
; %bb.60:
	v_add_nc_u32_e32 v32, -1, v0
	v_dual_mov_b32 v34, v3 :: v_dual_add_nc_u32 v33, 0x70, v3
	v_mov_b32_e32 v3, 0
	v_mov_b32_e32 v35, 0
	s_mov_b32 s1, 0
.LBB77_61:                              ; =>This Inner Loop Header: Depth=1
	scratch_load_b64 v[37:38], v34, off
	ds_load_b64 v[39:40], v33
	v_add_nc_u32_e32 v34, 8, v34
	v_add_nc_u32_e32 v32, 1, v32
	v_add_nc_u32_e32 v33, 8, v33
	s_delay_alu instid0(VALU_DEP_2)
	v_cmp_lt_u32_e32 vcc_lo, 10, v32
	s_wait_alu 0xfffe
	s_or_b32 s1, vcc_lo, s1
	s_wait_loadcnt_dscnt 0x0
	v_mul_f32_e32 v41, v40, v38
	v_mul_f32_e32 v38, v39, v38
	s_delay_alu instid0(VALU_DEP_2) | instskip(NEXT) | instid1(VALU_DEP_1)
	v_fma_f32 v39, v39, v37, -v41
	v_dual_fmac_f32 v38, v40, v37 :: v_dual_add_f32 v35, v35, v39
	s_delay_alu instid0(VALU_DEP_1)
	v_add_f32_e32 v3, v3, v38
	s_wait_alu 0xfffe
	s_and_not1_b32 exec_lo, exec_lo, s1
	s_cbranch_execnz .LBB77_61
; %bb.62:
	s_or_b32 exec_lo, exec_lo, s1
	v_mov_b32_e32 v32, 0
	ds_load_b64 v[32:33], v32 offset:96
	s_wait_dscnt 0x0
	v_mul_f32_e32 v37, v3, v33
	v_mul_f32_e32 v34, v35, v33
	s_delay_alu instid0(VALU_DEP_2) | instskip(NEXT) | instid1(VALU_DEP_2)
	v_fma_f32 v33, v35, v32, -v37
	v_fmac_f32_e32 v34, v3, v32
	scratch_store_b64 off, v[33:34], off offset:96
.LBB77_63:
	s_wait_alu 0xfffe
	s_or_b32 exec_lo, exec_lo, s0
	s_wait_loadcnt 0x0
	s_wait_storecnt 0x0
	s_barrier_signal -1
	s_barrier_wait -1
	global_inv scope:SCOPE_SE
	scratch_load_b64 v[32:33], off, off offset:104
	s_mov_b32 s0, exec_lo
	s_wait_loadcnt 0x0
	ds_store_b64 v1, v[32:33]
	s_wait_dscnt 0x0
	s_barrier_signal -1
	s_barrier_wait -1
	global_inv scope:SCOPE_SE
	v_cmpx_ne_u32_e32 13, v0
	s_cbranch_execz .LBB77_67
; %bb.64:
	v_dual_mov_b32 v3, 0 :: v_dual_mov_b32 v32, 0
	s_mov_b32 s1, 0
.LBB77_65:                              ; =>This Inner Loop Header: Depth=1
	scratch_load_b64 v[33:34], v36, off
	ds_load_b64 v[37:38], v1
	v_add_nc_u32_e32 v2, 1, v2
	v_add_nc_u32_e32 v1, 8, v1
	;; [unrolled: 1-line block ×3, first 2 shown]
	s_delay_alu instid0(VALU_DEP_3)
	v_cmp_lt_u32_e32 vcc_lo, 11, v2
	s_wait_alu 0xfffe
	s_or_b32 s1, vcc_lo, s1
	s_wait_loadcnt_dscnt 0x0
	v_mul_f32_e32 v35, v38, v34
	v_mul_f32_e32 v34, v37, v34
	s_delay_alu instid0(VALU_DEP_2) | instskip(NEXT) | instid1(VALU_DEP_2)
	v_fma_f32 v35, v37, v33, -v35
	v_fmac_f32_e32 v34, v38, v33
	s_delay_alu instid0(VALU_DEP_1)
	v_dual_add_f32 v32, v32, v35 :: v_dual_add_f32 v3, v3, v34
	s_wait_alu 0xfffe
	s_and_not1_b32 exec_lo, exec_lo, s1
	s_cbranch_execnz .LBB77_65
; %bb.66:
	s_or_b32 exec_lo, exec_lo, s1
	v_mov_b32_e32 v1, 0
	ds_load_b64 v[1:2], v1 offset:104
	s_wait_dscnt 0x0
	v_mul_f32_e32 v34, v3, v2
	v_mul_f32_e32 v33, v32, v2
	s_delay_alu instid0(VALU_DEP_2) | instskip(NEXT) | instid1(VALU_DEP_2)
	v_fma_f32 v32, v32, v1, -v34
	v_fmac_f32_e32 v33, v3, v1
	scratch_store_b64 off, v[32:33], off offset:104
.LBB77_67:
	s_wait_alu 0xfffe
	s_or_b32 exec_lo, exec_lo, s0
	s_mov_b32 s1, -1
	s_wait_loadcnt 0x0
	s_wait_storecnt 0x0
	s_barrier_signal -1
	s_barrier_wait -1
	global_inv scope:SCOPE_SE
.LBB77_68:
	s_wait_alu 0xfffe
	s_and_b32 vcc_lo, exec_lo, s1
	s_wait_alu 0xfffe
	s_cbranch_vccz .LBB77_70
; %bb.69:
	v_mov_b32_e32 v1, 0
	s_lshl_b64 s[0:1], s[8:9], 2
	s_wait_alu 0xfffe
	s_add_nc_u64 s[0:1], s[6:7], s[0:1]
	global_load_b32 v1, v1, s[0:1]
	s_wait_loadcnt 0x0
	v_cmp_ne_u32_e32 vcc_lo, 0, v1
	s_cbranch_vccz .LBB77_71
.LBB77_70:
	s_endpgm
.LBB77_71:
	v_lshl_add_u32 v3, v0, 3, 0x70
	s_mov_b32 s0, exec_lo
	v_cmpx_eq_u32_e32 13, v0
	s_cbranch_execz .LBB77_73
; %bb.72:
	scratch_load_b64 v[1:2], off, off offset:96
	v_mov_b32_e32 v32, 0
	s_delay_alu instid0(VALU_DEP_1)
	v_mov_b32_e32 v33, v32
	scratch_store_b64 off, v[32:33], off offset:96
	s_wait_loadcnt 0x0
	ds_store_b64 v3, v[1:2]
.LBB77_73:
	s_wait_alu 0xfffe
	s_or_b32 exec_lo, exec_lo, s0
	s_wait_storecnt_dscnt 0x0
	s_barrier_signal -1
	s_barrier_wait -1
	global_inv scope:SCOPE_SE
	s_clause 0x1
	scratch_load_b64 v[32:33], off, off offset:104
	scratch_load_b64 v[34:35], off, off offset:96
	v_mov_b32_e32 v1, 0
	s_mov_b32 s0, exec_lo
	ds_load_b64 v[36:37], v1 offset:216
	s_wait_loadcnt_dscnt 0x100
	v_mul_f32_e32 v2, v37, v33
	s_delay_alu instid0(VALU_DEP_1) | instskip(NEXT) | instid1(VALU_DEP_1)
	v_fma_f32 v2, v36, v32, -v2
	v_dual_mul_f32 v33, v36, v33 :: v_dual_add_f32 v2, 0, v2
	s_wait_loadcnt 0x0
	s_delay_alu instid0(VALU_DEP_1) | instskip(NEXT) | instid1(VALU_DEP_1)
	v_dual_fmac_f32 v33, v37, v32 :: v_dual_sub_f32 v32, v34, v2
	v_add_f32_e32 v33, 0, v33
	s_delay_alu instid0(VALU_DEP_1)
	v_sub_f32_e32 v33, v35, v33
	scratch_store_b64 off, v[32:33], off offset:96
	v_cmpx_lt_u32_e32 11, v0
	s_cbranch_execz .LBB77_75
; %bb.74:
	scratch_load_b64 v[32:33], off, off offset:88
	v_mov_b32_e32 v2, v1
	scratch_store_b64 off, v[1:2], off offset:88
	s_wait_loadcnt 0x0
	ds_store_b64 v3, v[32:33]
.LBB77_75:
	s_wait_alu 0xfffe
	s_or_b32 exec_lo, exec_lo, s0
	s_wait_storecnt_dscnt 0x0
	s_barrier_signal -1
	s_barrier_wait -1
	global_inv scope:SCOPE_SE
	s_clause 0x1
	scratch_load_b128 v[32:35], off, off offset:96
	scratch_load_b64 v[40:41], off, off offset:88
	ds_load_b128 v[36:39], v1 offset:208
	s_mov_b32 s0, exec_lo
	s_wait_loadcnt_dscnt 0x100
	v_mul_f32_e32 v2, v36, v33
	s_delay_alu instid0(VALU_DEP_1) | instskip(SKIP_2) | instid1(VALU_DEP_1)
	v_fmac_f32_e32 v2, v37, v32
	v_mul_f32_e32 v1, v37, v33
	v_mul_f32_e32 v33, v38, v35
	v_fmac_f32_e32 v33, v39, v34
	s_delay_alu instid0(VALU_DEP_4) | instskip(NEXT) | instid1(VALU_DEP_4)
	v_dual_add_f32 v2, 0, v2 :: v_dual_mul_f32 v35, v39, v35
	v_fma_f32 v1, v36, v32, -v1
	s_delay_alu instid0(VALU_DEP_2) | instskip(NEXT) | instid1(VALU_DEP_3)
	v_add_f32_e32 v2, v2, v33
	v_fma_f32 v32, v38, v34, -v35
	s_wait_loadcnt 0x0
	s_delay_alu instid0(VALU_DEP_2) | instskip(NEXT) | instid1(VALU_DEP_1)
	v_dual_add_f32 v1, 0, v1 :: v_dual_sub_f32 v2, v41, v2
	v_add_f32_e32 v1, v1, v32
	s_delay_alu instid0(VALU_DEP_1)
	v_sub_f32_e32 v1, v40, v1
	scratch_store_b64 off, v[1:2], off offset:88
	v_cmpx_lt_u32_e32 10, v0
	s_cbranch_execz .LBB77_77
; %bb.76:
	scratch_load_b64 v[1:2], off, off offset:80
	v_mov_b32_e32 v32, 0
	s_delay_alu instid0(VALU_DEP_1)
	v_mov_b32_e32 v33, v32
	scratch_store_b64 off, v[32:33], off offset:80
	s_wait_loadcnt 0x0
	ds_store_b64 v3, v[1:2]
.LBB77_77:
	s_wait_alu 0xfffe
	s_or_b32 exec_lo, exec_lo, s0
	s_wait_storecnt_dscnt 0x0
	s_barrier_signal -1
	s_barrier_wait -1
	global_inv scope:SCOPE_SE
	s_clause 0x2
	scratch_load_b128 v[32:35], off, off offset:88
	scratch_load_b64 v[40:41], off, off offset:104
	scratch_load_b64 v[42:43], off, off offset:80
	v_mov_b32_e32 v1, 0
	ds_load_2addr_b64 v[36:39], v1 offset0:25 offset1:26
	ds_load_b64 v[44:45], v1 offset:216
	s_mov_b32 s0, exec_lo
	s_wait_loadcnt_dscnt 0x201
	v_mul_f32_e32 v2, v37, v33
	v_dual_mul_f32 v33, v36, v33 :: v_dual_mul_f32 v46, v38, v35
	v_mul_f32_e32 v35, v39, v35
	s_wait_loadcnt_dscnt 0x100
	v_mul_f32_e32 v47, v44, v41
	v_fma_f32 v2, v36, v32, -v2
	v_fmac_f32_e32 v33, v37, v32
	v_mul_f32_e32 v32, v45, v41
	v_fmac_f32_e32 v46, v39, v34
	v_fma_f32 v34, v38, v34, -v35
	s_delay_alu instid0(VALU_DEP_4) | instskip(NEXT) | instid1(VALU_DEP_4)
	v_dual_add_f32 v2, 0, v2 :: v_dual_add_f32 v33, 0, v33
	v_fma_f32 v32, v44, v40, -v32
	s_delay_alu instid0(VALU_DEP_2) | instskip(NEXT) | instid1(VALU_DEP_1)
	v_add_f32_e32 v2, v2, v34
	v_dual_add_f32 v33, v33, v46 :: v_dual_add_f32 v2, v2, v32
	s_wait_loadcnt 0x0
	s_delay_alu instid0(VALU_DEP_1) | instskip(NEXT) | instid1(VALU_DEP_1)
	v_dual_fmac_f32 v47, v45, v40 :: v_dual_sub_f32 v32, v42, v2
	v_add_f32_e32 v33, v33, v47
	s_delay_alu instid0(VALU_DEP_1)
	v_sub_f32_e32 v33, v43, v33
	scratch_store_b64 off, v[32:33], off offset:80
	v_cmpx_lt_u32_e32 9, v0
	s_cbranch_execz .LBB77_79
; %bb.78:
	scratch_load_b64 v[32:33], off, off offset:72
	v_mov_b32_e32 v2, v1
	scratch_store_b64 off, v[1:2], off offset:72
	s_wait_loadcnt 0x0
	ds_store_b64 v3, v[32:33]
.LBB77_79:
	s_wait_alu 0xfffe
	s_or_b32 exec_lo, exec_lo, s0
	s_wait_storecnt_dscnt 0x0
	s_barrier_signal -1
	s_barrier_wait -1
	global_inv scope:SCOPE_SE
	s_clause 0x2
	scratch_load_b128 v[32:35], off, off offset:80
	scratch_load_b128 v[36:39], off, off offset:96
	scratch_load_b64 v[48:49], off, off offset:72
	ds_load_b128 v[40:43], v1 offset:192
	ds_load_b128 v[44:47], v1 offset:208
	s_mov_b32 s0, exec_lo
	s_wait_loadcnt_dscnt 0x201
	v_mul_f32_e32 v2, v41, v33
	s_wait_loadcnt_dscnt 0x100
	v_dual_mul_f32 v50, v44, v37 :: v_dual_mul_f32 v51, v46, v39
	s_delay_alu instid0(VALU_DEP_2) | instskip(SKIP_2) | instid1(VALU_DEP_4)
	v_fma_f32 v2, v40, v32, -v2
	v_mul_f32_e32 v1, v40, v33
	v_mul_f32_e32 v33, v42, v35
	v_dual_mul_f32 v35, v43, v35 :: v_dual_fmac_f32 v50, v45, v36
	s_delay_alu instid0(VALU_DEP_3) | instskip(NEXT) | instid1(VALU_DEP_3)
	v_dual_add_f32 v2, 0, v2 :: v_dual_fmac_f32 v1, v41, v32
	v_dual_mul_f32 v32, v45, v37 :: v_dual_fmac_f32 v33, v43, v34
	s_delay_alu instid0(VALU_DEP_3) | instskip(SKIP_1) | instid1(VALU_DEP_3)
	v_fma_f32 v34, v42, v34, -v35
	v_fmac_f32_e32 v51, v47, v38
	v_fma_f32 v32, v44, v36, -v32
	s_delay_alu instid0(VALU_DEP_3) | instskip(NEXT) | instid1(VALU_DEP_1)
	v_dual_add_f32 v2, v2, v34 :: v_dual_add_f32 v1, 0, v1
	v_dual_add_f32 v2, v2, v32 :: v_dual_mul_f32 v35, v47, v39
	s_delay_alu instid0(VALU_DEP_2) | instskip(NEXT) | instid1(VALU_DEP_2)
	v_add_f32_e32 v1, v1, v33
	v_fma_f32 v33, v46, v38, -v35
	s_delay_alu instid0(VALU_DEP_1) | instskip(SKIP_1) | instid1(VALU_DEP_1)
	v_dual_add_f32 v1, v1, v50 :: v_dual_add_f32 v2, v2, v33
	s_wait_loadcnt 0x0
	v_dual_add_f32 v32, v1, v51 :: v_dual_sub_f32 v1, v48, v2
	s_delay_alu instid0(VALU_DEP_1)
	v_sub_f32_e32 v2, v49, v32
	scratch_store_b64 off, v[1:2], off offset:72
	v_cmpx_lt_u32_e32 8, v0
	s_cbranch_execz .LBB77_81
; %bb.80:
	scratch_load_b64 v[1:2], off, off offset:64
	v_mov_b32_e32 v32, 0
	s_delay_alu instid0(VALU_DEP_1)
	v_mov_b32_e32 v33, v32
	scratch_store_b64 off, v[32:33], off offset:64
	s_wait_loadcnt 0x0
	ds_store_b64 v3, v[1:2]
.LBB77_81:
	s_wait_alu 0xfffe
	s_or_b32 exec_lo, exec_lo, s0
	s_wait_storecnt_dscnt 0x0
	s_barrier_signal -1
	s_barrier_wait -1
	global_inv scope:SCOPE_SE
	s_clause 0x3
	scratch_load_b128 v[32:35], off, off offset:72
	scratch_load_b128 v[36:39], off, off offset:88
	scratch_load_b64 v[48:49], off, off offset:104
	scratch_load_b64 v[50:51], off, off offset:64
	v_mov_b32_e32 v1, 0
	ds_load_2addr_b64 v[40:43], v1 offset0:23 offset1:24
	ds_load_2addr_b64 v[44:47], v1 offset0:25 offset1:26
	ds_load_b64 v[52:53], v1 offset:216
	s_mov_b32 s0, exec_lo
	s_wait_loadcnt_dscnt 0x302
	v_mul_f32_e32 v2, v40, v33
	v_dual_mul_f32 v54, v42, v35 :: v_dual_mul_f32 v33, v41, v33
	s_wait_loadcnt_dscnt 0x100
	v_mul_f32_e32 v57, v52, v49
	v_dual_mul_f32 v55, v44, v37 :: v_dual_mul_f32 v56, v46, v39
	v_dual_fmac_f32 v2, v41, v32 :: v_dual_mul_f32 v35, v43, v35
	v_fma_f32 v33, v40, v32, -v33
	v_fmac_f32_e32 v54, v43, v34
	v_mul_f32_e32 v32, v45, v37
	s_delay_alu instid0(VALU_DEP_4) | instskip(SKIP_3) | instid1(VALU_DEP_4)
	v_add_f32_e32 v2, 0, v2
	v_fma_f32 v34, v42, v34, -v35
	v_add_f32_e32 v33, 0, v33
	v_mul_f32_e32 v35, v47, v39
	v_dual_fmac_f32 v55, v45, v36 :: v_dual_add_f32 v2, v2, v54
	v_dual_fmac_f32 v56, v47, v38 :: v_dual_fmac_f32 v57, v53, v48
	s_delay_alu instid0(VALU_DEP_4) | instskip(SKIP_1) | instid1(VALU_DEP_4)
	v_add_f32_e32 v33, v33, v34
	v_fma_f32 v32, v44, v36, -v32
	v_add_f32_e32 v2, v2, v55
	v_fma_f32 v35, v46, v38, -v35
	s_delay_alu instid0(VALU_DEP_3) | instskip(NEXT) | instid1(VALU_DEP_3)
	v_add_f32_e32 v32, v33, v32
	v_add_f32_e32 v2, v2, v56
	s_delay_alu instid0(VALU_DEP_2) | instskip(NEXT) | instid1(VALU_DEP_2)
	v_add_f32_e32 v32, v32, v35
	v_add_f32_e32 v2, v2, v57
	v_mul_f32_e32 v34, v53, v49
	s_delay_alu instid0(VALU_DEP_1) | instskip(SKIP_1) | instid1(VALU_DEP_1)
	v_fma_f32 v33, v52, v48, -v34
	s_wait_loadcnt 0x0
	v_dual_add_f32 v32, v32, v33 :: v_dual_sub_f32 v33, v51, v2
	s_delay_alu instid0(VALU_DEP_1)
	v_sub_f32_e32 v32, v50, v32
	scratch_store_b64 off, v[32:33], off offset:64
	v_cmpx_lt_u32_e32 7, v0
	s_cbranch_execz .LBB77_83
; %bb.82:
	scratch_load_b64 v[32:33], off, off offset:56
	v_mov_b32_e32 v2, v1
	scratch_store_b64 off, v[1:2], off offset:56
	s_wait_loadcnt 0x0
	ds_store_b64 v3, v[32:33]
.LBB77_83:
	s_wait_alu 0xfffe
	s_or_b32 exec_lo, exec_lo, s0
	s_wait_storecnt_dscnt 0x0
	s_barrier_signal -1
	s_barrier_wait -1
	global_inv scope:SCOPE_SE
	s_clause 0x3
	scratch_load_b128 v[32:35], off, off offset:64
	scratch_load_b128 v[36:39], off, off offset:80
	;; [unrolled: 1-line block ×3, first 2 shown]
	scratch_load_b64 v[56:57], off, off offset:56
	ds_load_b128 v[44:47], v1 offset:176
	ds_load_b128 v[48:51], v1 offset:192
	;; [unrolled: 1-line block ×3, first 2 shown]
	s_mov_b32 s0, exec_lo
	s_wait_loadcnt_dscnt 0x302
	v_dual_mul_f32 v1, v44, v33 :: v_dual_mul_f32 v2, v46, v35
	v_mul_f32_e32 v33, v45, v33
	s_wait_loadcnt_dscnt 0x201
	v_dual_mul_f32 v35, v47, v35 :: v_dual_mul_f32 v58, v48, v37
	s_delay_alu instid0(VALU_DEP_3) | instskip(NEXT) | instid1(VALU_DEP_3)
	v_dual_mul_f32 v59, v50, v39 :: v_dual_fmac_f32 v2, v47, v34
	v_fma_f32 v33, v44, v32, -v33
	v_fmac_f32_e32 v1, v45, v32
	v_mul_f32_e32 v32, v49, v37
	v_fma_f32 v34, v46, v34, -v35
	v_mul_f32_e32 v35, v51, v39
	v_dual_add_f32 v33, 0, v33 :: v_dual_fmac_f32 v58, v49, v36
	s_delay_alu instid0(VALU_DEP_4) | instskip(SKIP_2) | instid1(VALU_DEP_3)
	v_fma_f32 v32, v48, v36, -v32
	s_wait_loadcnt_dscnt 0x100
	v_dual_mul_f32 v60, v52, v41 :: v_dual_mul_f32 v61, v54, v43
	v_add_f32_e32 v33, v33, v34
	v_fmac_f32_e32 v59, v51, v38
	v_fma_f32 v34, v50, v38, -v35
	s_delay_alu instid0(VALU_DEP_4) | instskip(NEXT) | instid1(VALU_DEP_4)
	v_dual_fmac_f32 v60, v53, v40 :: v_dual_fmac_f32 v61, v55, v42
	v_add_f32_e32 v32, v33, v32
	s_delay_alu instid0(VALU_DEP_1) | instskip(SKIP_1) | instid1(VALU_DEP_1)
	v_dual_add_f32 v32, v32, v34 :: v_dual_add_f32 v1, 0, v1
	v_mul_f32_e32 v33, v55, v43
	v_fma_f32 v33, v54, v42, -v33
	s_delay_alu instid0(VALU_DEP_3) | instskip(SKIP_1) | instid1(VALU_DEP_1)
	v_add_f32_e32 v1, v1, v2
	v_mul_f32_e32 v2, v53, v41
	v_fma_f32 v2, v52, v40, -v2
	s_delay_alu instid0(VALU_DEP_1) | instskip(NEXT) | instid1(VALU_DEP_1)
	v_add_f32_e32 v2, v32, v2
	v_dual_add_f32 v2, v2, v33 :: v_dual_add_f32 v1, v1, v58
	s_delay_alu instid0(VALU_DEP_1) | instskip(NEXT) | instid1(VALU_DEP_1)
	v_add_f32_e32 v1, v1, v59
	v_add_f32_e32 v1, v1, v60
	s_wait_loadcnt 0x0
	s_delay_alu instid0(VALU_DEP_1) | instskip(NEXT) | instid1(VALU_DEP_1)
	v_dual_add_f32 v32, v1, v61 :: v_dual_sub_f32 v1, v56, v2
	v_sub_f32_e32 v2, v57, v32
	scratch_store_b64 off, v[1:2], off offset:56
	v_cmpx_lt_u32_e32 6, v0
	s_cbranch_execz .LBB77_85
; %bb.84:
	scratch_load_b64 v[1:2], off, off offset:48
	v_mov_b32_e32 v32, 0
	s_delay_alu instid0(VALU_DEP_1)
	v_mov_b32_e32 v33, v32
	scratch_store_b64 off, v[32:33], off offset:48
	s_wait_loadcnt 0x0
	ds_store_b64 v3, v[1:2]
.LBB77_85:
	s_wait_alu 0xfffe
	s_or_b32 exec_lo, exec_lo, s0
	s_wait_storecnt_dscnt 0x0
	s_barrier_signal -1
	s_barrier_wait -1
	global_inv scope:SCOPE_SE
	s_clause 0x4
	scratch_load_b128 v[32:35], off, off offset:56
	scratch_load_b128 v[36:39], off, off offset:72
	;; [unrolled: 1-line block ×3, first 2 shown]
	scratch_load_b64 v[56:57], off, off offset:104
	scratch_load_b64 v[58:59], off, off offset:48
	v_mov_b32_e32 v1, 0
	ds_load_2addr_b64 v[44:47], v1 offset0:21 offset1:22
	ds_load_2addr_b64 v[48:51], v1 offset0:23 offset1:24
	;; [unrolled: 1-line block ×3, first 2 shown]
	ds_load_b64 v[60:61], v1 offset:216
	s_mov_b32 s0, exec_lo
	s_wait_loadcnt_dscnt 0x403
	v_mul_f32_e32 v2, v44, v33
	s_wait_loadcnt_dscnt 0x302
	v_dual_mul_f32 v62, v46, v35 :: v_dual_mul_f32 v63, v48, v37
	v_dual_mul_f32 v64, v50, v39 :: v_dual_mul_f32 v33, v45, v33
	s_wait_loadcnt_dscnt 0x100
	v_dual_mul_f32 v67, v60, v57 :: v_dual_fmac_f32 v2, v45, v32
	v_mul_f32_e32 v35, v47, v35
	v_dual_mul_f32 v65, v52, v41 :: v_dual_mul_f32 v66, v54, v43
	v_fma_f32 v33, v44, v32, -v33
	v_fmac_f32_e32 v62, v47, v34
	v_add_f32_e32 v2, 0, v2
	v_mul_f32_e32 v32, v49, v37
	v_fma_f32 v34, v46, v34, -v35
	v_add_f32_e32 v33, 0, v33
	v_mul_f32_e32 v35, v51, v39
	v_dual_fmac_f32 v63, v49, v36 :: v_dual_add_f32 v2, v2, v62
	v_dual_fmac_f32 v64, v51, v38 :: v_dual_fmac_f32 v65, v53, v40
	s_delay_alu instid0(VALU_DEP_4) | instskip(SKIP_1) | instid1(VALU_DEP_4)
	v_add_f32_e32 v33, v33, v34
	v_dual_fmac_f32 v66, v55, v42 :: v_dual_fmac_f32 v67, v61, v56
	v_add_f32_e32 v2, v2, v63
	v_fma_f32 v32, v48, v36, -v32
	v_mul_f32_e32 v34, v53, v41
	v_fma_f32 v35, v50, v38, -v35
	s_delay_alu instid0(VALU_DEP_4) | instskip(NEXT) | instid1(VALU_DEP_1)
	v_add_f32_e32 v2, v2, v64
	v_add_f32_e32 v2, v2, v65
	s_delay_alu instid0(VALU_DEP_1) | instskip(NEXT) | instid1(VALU_DEP_1)
	v_add_f32_e32 v2, v2, v66
	v_add_f32_e32 v2, v2, v67
	v_dual_add_f32 v32, v33, v32 :: v_dual_mul_f32 v33, v55, v43
	v_fma_f32 v34, v52, v40, -v34
	s_delay_alu instid0(VALU_DEP_2) | instskip(NEXT) | instid1(VALU_DEP_3)
	v_dual_add_f32 v32, v32, v35 :: v_dual_mul_f32 v35, v61, v57
	v_fma_f32 v33, v54, v42, -v33
	s_delay_alu instid0(VALU_DEP_2) | instskip(NEXT) | instid1(VALU_DEP_3)
	v_add_f32_e32 v32, v32, v34
	v_fma_f32 v34, v60, v56, -v35
	s_wait_loadcnt 0x0
	s_delay_alu instid0(VALU_DEP_2) | instskip(NEXT) | instid1(VALU_DEP_1)
	v_dual_add_f32 v32, v32, v33 :: v_dual_sub_f32 v33, v59, v2
	v_add_f32_e32 v32, v32, v34
	s_delay_alu instid0(VALU_DEP_1)
	v_sub_f32_e32 v32, v58, v32
	scratch_store_b64 off, v[32:33], off offset:48
	v_cmpx_lt_u32_e32 5, v0
	s_cbranch_execz .LBB77_87
; %bb.86:
	scratch_load_b64 v[32:33], off, off offset:40
	v_mov_b32_e32 v2, v1
	scratch_store_b64 off, v[1:2], off offset:40
	s_wait_loadcnt 0x0
	ds_store_b64 v3, v[32:33]
.LBB77_87:
	s_wait_alu 0xfffe
	s_or_b32 exec_lo, exec_lo, s0
	s_wait_storecnt_dscnt 0x0
	s_barrier_signal -1
	s_barrier_wait -1
	global_inv scope:SCOPE_SE
	s_clause 0x4
	scratch_load_b128 v[32:35], off, off offset:48
	scratch_load_b128 v[36:39], off, off offset:64
	;; [unrolled: 1-line block ×4, first 2 shown]
	scratch_load_b64 v[64:65], off, off offset:40
	ds_load_b128 v[48:51], v1 offset:160
	ds_load_b128 v[52:55], v1 offset:176
	;; [unrolled: 1-line block ×4, first 2 shown]
	s_mov_b32 s0, exec_lo
	s_wait_loadcnt_dscnt 0x403
	v_dual_mul_f32 v1, v48, v33 :: v_dual_mul_f32 v2, v50, v35
	v_mul_f32_e32 v33, v49, v33
	s_wait_loadcnt_dscnt 0x302
	v_dual_mul_f32 v35, v51, v35 :: v_dual_mul_f32 v66, v52, v37
	s_delay_alu instid0(VALU_DEP_3) | instskip(NEXT) | instid1(VALU_DEP_3)
	v_dual_mul_f32 v67, v54, v39 :: v_dual_fmac_f32 v2, v51, v34
	v_fma_f32 v33, v48, v32, -v33
	v_fmac_f32_e32 v1, v49, v32
	v_mul_f32_e32 v32, v53, v37
	v_fma_f32 v34, v50, v34, -v35
	v_mul_f32_e32 v35, v55, v39
	v_dual_add_f32 v33, 0, v33 :: v_dual_fmac_f32 v66, v53, v36
	s_delay_alu instid0(VALU_DEP_4) | instskip(SKIP_2) | instid1(VALU_DEP_3)
	v_fma_f32 v32, v52, v36, -v32
	s_wait_loadcnt_dscnt 0x201
	v_dual_mul_f32 v68, v56, v41 :: v_dual_mul_f32 v69, v58, v43
	v_add_f32_e32 v33, v33, v34
	v_fmac_f32_e32 v67, v55, v38
	v_fma_f32 v34, v54, v38, -v35
	s_wait_loadcnt_dscnt 0x100
	v_dual_mul_f32 v70, v60, v45 :: v_dual_mul_f32 v71, v62, v47
	v_dual_add_f32 v32, v33, v32 :: v_dual_mul_f32 v33, v59, v43
	v_dual_fmac_f32 v68, v57, v40 :: v_dual_fmac_f32 v69, v59, v42
	s_delay_alu instid0(VALU_DEP_3) | instskip(NEXT) | instid1(VALU_DEP_3)
	v_fmac_f32_e32 v70, v61, v44
	v_dual_add_f32 v32, v32, v34 :: v_dual_add_f32 v1, 0, v1
	v_mul_f32_e32 v34, v61, v45
	v_fma_f32 v33, v58, v42, -v33
	v_fmac_f32_e32 v71, v63, v46
	s_delay_alu instid0(VALU_DEP_4) | instskip(SKIP_2) | instid1(VALU_DEP_2)
	v_add_f32_e32 v1, v1, v2
	v_mul_f32_e32 v2, v57, v41
	v_fma_f32 v34, v60, v44, -v34
	v_fma_f32 v2, v56, v40, -v2
	s_delay_alu instid0(VALU_DEP_1) | instskip(SKIP_1) | instid1(VALU_DEP_2)
	v_add_f32_e32 v2, v32, v2
	v_mul_f32_e32 v32, v63, v47
	v_add_f32_e32 v2, v2, v33
	s_delay_alu instid0(VALU_DEP_2) | instskip(NEXT) | instid1(VALU_DEP_2)
	v_fma_f32 v32, v62, v46, -v32
	v_add_f32_e32 v2, v2, v34
	s_delay_alu instid0(VALU_DEP_1) | instskip(NEXT) | instid1(VALU_DEP_1)
	v_dual_add_f32 v1, v1, v66 :: v_dual_add_f32 v2, v2, v32
	v_add_f32_e32 v1, v1, v67
	s_delay_alu instid0(VALU_DEP_1) | instskip(NEXT) | instid1(VALU_DEP_1)
	v_add_f32_e32 v1, v1, v68
	v_add_f32_e32 v1, v1, v69
	s_delay_alu instid0(VALU_DEP_1) | instskip(SKIP_1) | instid1(VALU_DEP_1)
	v_add_f32_e32 v1, v1, v70
	s_wait_loadcnt 0x0
	v_dual_add_f32 v32, v1, v71 :: v_dual_sub_f32 v1, v64, v2
	s_delay_alu instid0(VALU_DEP_1)
	v_sub_f32_e32 v2, v65, v32
	scratch_store_b64 off, v[1:2], off offset:40
	v_cmpx_lt_u32_e32 4, v0
	s_cbranch_execz .LBB77_89
; %bb.88:
	scratch_load_b64 v[1:2], off, off offset:32
	v_mov_b32_e32 v32, 0
	s_delay_alu instid0(VALU_DEP_1)
	v_mov_b32_e32 v33, v32
	scratch_store_b64 off, v[32:33], off offset:32
	s_wait_loadcnt 0x0
	ds_store_b64 v3, v[1:2]
.LBB77_89:
	s_wait_alu 0xfffe
	s_or_b32 exec_lo, exec_lo, s0
	s_wait_storecnt_dscnt 0x0
	s_barrier_signal -1
	s_barrier_wait -1
	global_inv scope:SCOPE_SE
	s_clause 0x5
	scratch_load_b128 v[32:35], off, off offset:40
	scratch_load_b128 v[36:39], off, off offset:56
	;; [unrolled: 1-line block ×4, first 2 shown]
	scratch_load_b64 v[64:65], off, off offset:104
	scratch_load_b64 v[66:67], off, off offset:32
	v_mov_b32_e32 v1, 0
	ds_load_2addr_b64 v[48:51], v1 offset0:19 offset1:20
	ds_load_2addr_b64 v[52:55], v1 offset0:21 offset1:22
	;; [unrolled: 1-line block ×4, first 2 shown]
	ds_load_b64 v[68:69], v1 offset:216
	s_mov_b32 s0, exec_lo
	s_wait_loadcnt_dscnt 0x504
	v_mul_f32_e32 v2, v48, v33
	s_wait_loadcnt_dscnt 0x403
	v_dual_mul_f32 v70, v50, v35 :: v_dual_mul_f32 v71, v52, v37
	s_wait_loadcnt_dscnt 0x302
	v_dual_mul_f32 v74, v58, v43 :: v_dual_mul_f32 v33, v49, v33
	s_wait_loadcnt_dscnt 0x100
	v_dual_mul_f32 v77, v68, v65 :: v_dual_fmac_f32 v2, v49, v32
	v_mul_f32_e32 v35, v51, v35
	v_dual_mul_f32 v72, v54, v39 :: v_dual_mul_f32 v73, v56, v41
	v_fma_f32 v33, v48, v32, -v33
	v_fmac_f32_e32 v70, v51, v34
	v_add_f32_e32 v2, 0, v2
	v_mul_f32_e32 v32, v53, v37
	v_fma_f32 v34, v50, v34, -v35
	v_add_f32_e32 v33, 0, v33
	v_mul_f32_e32 v35, v55, v39
	v_dual_fmac_f32 v71, v53, v36 :: v_dual_add_f32 v2, v2, v70
	v_dual_fmac_f32 v72, v55, v38 :: v_dual_fmac_f32 v73, v57, v40
	s_delay_alu instid0(VALU_DEP_4) | instskip(SKIP_1) | instid1(VALU_DEP_4)
	v_add_f32_e32 v33, v33, v34
	v_dual_mul_f32 v75, v60, v45 :: v_dual_mul_f32 v76, v62, v47
	v_add_f32_e32 v2, v2, v71
	v_dual_fmac_f32 v74, v59, v42 :: v_dual_fmac_f32 v77, v69, v64
	s_delay_alu instid0(VALU_DEP_3) | instskip(NEXT) | instid1(VALU_DEP_3)
	v_dual_fmac_f32 v75, v61, v44 :: v_dual_fmac_f32 v76, v63, v46
	v_add_f32_e32 v2, v2, v72
	v_fma_f32 v32, v52, v36, -v32
	v_mul_f32_e32 v34, v57, v41
	v_fma_f32 v35, v54, v38, -v35
	s_delay_alu instid0(VALU_DEP_4) | instskip(NEXT) | instid1(VALU_DEP_1)
	v_add_f32_e32 v2, v2, v73
	v_add_f32_e32 v2, v2, v74
	s_delay_alu instid0(VALU_DEP_1) | instskip(NEXT) | instid1(VALU_DEP_1)
	v_add_f32_e32 v2, v2, v75
	v_add_f32_e32 v2, v2, v76
	s_delay_alu instid0(VALU_DEP_1) | instskip(SKIP_2) | instid1(VALU_DEP_2)
	v_add_f32_e32 v2, v2, v77
	v_dual_add_f32 v32, v33, v32 :: v_dual_mul_f32 v33, v59, v43
	v_fma_f32 v34, v56, v40, -v34
	v_dual_add_f32 v32, v32, v35 :: v_dual_mul_f32 v35, v61, v45
	s_delay_alu instid0(VALU_DEP_3) | instskip(NEXT) | instid1(VALU_DEP_2)
	v_fma_f32 v33, v58, v42, -v33
	v_add_f32_e32 v32, v32, v34
	v_mul_f32_e32 v34, v63, v47
	s_delay_alu instid0(VALU_DEP_4) | instskip(NEXT) | instid1(VALU_DEP_3)
	v_fma_f32 v35, v60, v44, -v35
	v_add_f32_e32 v32, v32, v33
	v_mul_f32_e32 v33, v69, v65
	s_delay_alu instid0(VALU_DEP_4) | instskip(NEXT) | instid1(VALU_DEP_3)
	v_fma_f32 v34, v62, v46, -v34
	v_add_f32_e32 v32, v32, v35
	s_delay_alu instid0(VALU_DEP_3) | instskip(NEXT) | instid1(VALU_DEP_2)
	v_fma_f32 v33, v68, v64, -v33
	v_add_f32_e32 v32, v32, v34
	s_wait_loadcnt 0x0
	s_delay_alu instid0(VALU_DEP_1) | instskip(NEXT) | instid1(VALU_DEP_1)
	v_dual_add_f32 v32, v32, v33 :: v_dual_sub_f32 v33, v67, v2
	v_sub_f32_e32 v32, v66, v32
	scratch_store_b64 off, v[32:33], off offset:32
	v_cmpx_lt_u32_e32 3, v0
	s_cbranch_execz .LBB77_91
; %bb.90:
	scratch_load_b64 v[32:33], off, off offset:24
	v_mov_b32_e32 v2, v1
	scratch_store_b64 off, v[1:2], off offset:24
	s_wait_loadcnt 0x0
	ds_store_b64 v3, v[32:33]
.LBB77_91:
	s_wait_alu 0xfffe
	s_or_b32 exec_lo, exec_lo, s0
	s_wait_storecnt_dscnt 0x0
	s_barrier_signal -1
	s_barrier_wait -1
	global_inv scope:SCOPE_SE
	s_clause 0x5
	scratch_load_b128 v[32:35], off, off offset:32
	scratch_load_b128 v[36:39], off, off offset:48
	;; [unrolled: 1-line block ×5, first 2 shown]
	scratch_load_b64 v[72:73], off, off offset:24
	ds_load_b128 v[52:55], v1 offset:144
	ds_load_b128 v[56:59], v1 offset:160
	;; [unrolled: 1-line block ×5, first 2 shown]
	s_mov_b32 s0, exec_lo
	s_wait_loadcnt_dscnt 0x504
	v_dual_mul_f32 v1, v52, v33 :: v_dual_mul_f32 v2, v54, v35
	v_mul_f32_e32 v33, v53, v33
	s_wait_loadcnt_dscnt 0x403
	v_dual_mul_f32 v35, v55, v35 :: v_dual_mul_f32 v74, v56, v37
	s_delay_alu instid0(VALU_DEP_3) | instskip(NEXT) | instid1(VALU_DEP_3)
	v_dual_mul_f32 v75, v58, v39 :: v_dual_fmac_f32 v2, v55, v34
	v_fma_f32 v33, v52, v32, -v33
	v_fmac_f32_e32 v1, v53, v32
	v_mul_f32_e32 v32, v57, v37
	v_fma_f32 v34, v54, v34, -v35
	v_mul_f32_e32 v35, v59, v39
	v_dual_add_f32 v33, 0, v33 :: v_dual_fmac_f32 v74, v57, v36
	s_delay_alu instid0(VALU_DEP_4) | instskip(SKIP_2) | instid1(VALU_DEP_3)
	v_fma_f32 v32, v56, v36, -v32
	s_wait_loadcnt_dscnt 0x302
	v_dual_mul_f32 v76, v60, v41 :: v_dual_mul_f32 v77, v62, v43
	v_add_f32_e32 v33, v33, v34
	v_fmac_f32_e32 v75, v59, v38
	v_fma_f32 v34, v58, v38, -v35
	s_wait_loadcnt_dscnt 0x201
	v_dual_mul_f32 v78, v64, v45 :: v_dual_mul_f32 v79, v66, v47
	v_dual_add_f32 v32, v33, v32 :: v_dual_mul_f32 v33, v63, v43
	v_fmac_f32_e32 v76, v61, v40
	s_wait_loadcnt_dscnt 0x100
	v_dual_mul_f32 v80, v68, v49 :: v_dual_mul_f32 v81, v70, v51
	s_delay_alu instid0(VALU_DEP_3) | instskip(SKIP_3) | instid1(VALU_DEP_4)
	v_dual_add_f32 v32, v32, v34 :: v_dual_add_f32 v1, 0, v1
	v_mul_f32_e32 v34, v65, v45
	v_fma_f32 v33, v62, v42, -v33
	v_dual_fmac_f32 v77, v63, v42 :: v_dual_fmac_f32 v78, v65, v44
	v_add_f32_e32 v1, v1, v2
	v_mul_f32_e32 v2, v61, v41
	v_fma_f32 v34, v64, v44, -v34
	v_dual_fmac_f32 v79, v67, v46 :: v_dual_fmac_f32 v80, v69, v48
	s_delay_alu instid0(VALU_DEP_3) | instskip(NEXT) | instid1(VALU_DEP_1)
	v_fma_f32 v2, v60, v40, -v2
	v_add_f32_e32 v2, v32, v2
	v_mul_f32_e32 v32, v67, v47
	s_delay_alu instid0(VALU_DEP_2) | instskip(SKIP_1) | instid1(VALU_DEP_3)
	v_dual_add_f32 v2, v2, v33 :: v_dual_add_f32 v1, v1, v74
	v_mul_f32_e32 v33, v69, v49
	v_fma_f32 v32, v66, v46, -v32
	s_delay_alu instid0(VALU_DEP_3) | instskip(SKIP_3) | instid1(VALU_DEP_4)
	v_add_f32_e32 v2, v2, v34
	v_mul_f32_e32 v34, v71, v51
	v_add_f32_e32 v1, v1, v75
	v_fma_f32 v33, v68, v48, -v33
	v_dual_add_f32 v2, v2, v32 :: v_dual_fmac_f32 v81, v71, v50
	s_delay_alu instid0(VALU_DEP_3) | instskip(SKIP_1) | instid1(VALU_DEP_3)
	v_add_f32_e32 v1, v1, v76
	v_fma_f32 v32, v70, v50, -v34
	v_add_f32_e32 v2, v2, v33
	s_delay_alu instid0(VALU_DEP_1) | instskip(NEXT) | instid1(VALU_DEP_1)
	v_dual_add_f32 v1, v1, v77 :: v_dual_add_f32 v2, v2, v32
	v_add_f32_e32 v1, v1, v78
	s_delay_alu instid0(VALU_DEP_1) | instskip(NEXT) | instid1(VALU_DEP_1)
	v_add_f32_e32 v1, v1, v79
	v_add_f32_e32 v1, v1, v80
	s_wait_loadcnt 0x0
	s_delay_alu instid0(VALU_DEP_1) | instskip(NEXT) | instid1(VALU_DEP_1)
	v_dual_add_f32 v32, v1, v81 :: v_dual_sub_f32 v1, v72, v2
	v_sub_f32_e32 v2, v73, v32
	scratch_store_b64 off, v[1:2], off offset:24
	v_cmpx_lt_u32_e32 2, v0
	s_cbranch_execz .LBB77_93
; %bb.92:
	scratch_load_b64 v[1:2], off, off offset:16
	v_mov_b32_e32 v32, 0
	s_delay_alu instid0(VALU_DEP_1)
	v_mov_b32_e32 v33, v32
	scratch_store_b64 off, v[32:33], off offset:16
	s_wait_loadcnt 0x0
	ds_store_b64 v3, v[1:2]
.LBB77_93:
	s_wait_alu 0xfffe
	s_or_b32 exec_lo, exec_lo, s0
	s_wait_storecnt_dscnt 0x0
	s_barrier_signal -1
	s_barrier_wait -1
	global_inv scope:SCOPE_SE
	s_clause 0x6
	scratch_load_b128 v[32:35], off, off offset:24
	scratch_load_b128 v[36:39], off, off offset:40
	;; [unrolled: 1-line block ×5, first 2 shown]
	scratch_load_b64 v[72:73], off, off offset:104
	scratch_load_b64 v[74:75], off, off offset:16
	v_mov_b32_e32 v1, 0
	ds_load_2addr_b64 v[52:55], v1 offset0:17 offset1:18
	ds_load_2addr_b64 v[56:59], v1 offset0:19 offset1:20
	;; [unrolled: 1-line block ×5, first 2 shown]
	ds_load_b64 v[76:77], v1 offset:216
	s_mov_b32 s0, exec_lo
	s_wait_loadcnt_dscnt 0x605
	v_mul_f32_e32 v2, v52, v33
	v_dual_mul_f32 v33, v53, v33 :: v_dual_mul_f32 v78, v54, v35
	s_wait_loadcnt_dscnt 0x302
	v_dual_mul_f32 v79, v56, v37 :: v_dual_mul_f32 v84, v66, v47
	s_wait_loadcnt_dscnt 0x100
	v_dual_mul_f32 v87, v76, v73 :: v_dual_fmac_f32 v2, v53, v32
	v_mul_f32_e32 v35, v55, v35
	v_fma_f32 v33, v52, v32, -v33
	v_mul_f32_e32 v32, v57, v37
	v_fmac_f32_e32 v78, v55, v34
	v_add_f32_e32 v2, 0, v2
	v_fma_f32 v34, v54, v34, -v35
	v_add_f32_e32 v33, 0, v33
	v_mul_f32_e32 v35, v59, v39
	s_delay_alu instid0(VALU_DEP_4) | instskip(SKIP_1) | instid1(VALU_DEP_4)
	v_dual_fmac_f32 v79, v57, v36 :: v_dual_add_f32 v2, v2, v78
	v_fma_f32 v32, v56, v36, -v32
	v_dual_add_f32 v33, v33, v34 :: v_dual_mul_f32 v80, v58, v39
	v_mul_f32_e32 v81, v60, v41
	v_mul_f32_e32 v34, v61, v41
	v_fma_f32 v35, v58, v38, -v35
	v_add_f32_e32 v2, v2, v79
	v_add_f32_e32 v32, v33, v32
	v_dual_fmac_f32 v80, v59, v38 :: v_dual_fmac_f32 v81, v61, v40
	v_mul_f32_e32 v33, v63, v43
	v_fma_f32 v34, v60, v40, -v34
	s_delay_alu instid0(VALU_DEP_4) | instskip(SKIP_4) | instid1(VALU_DEP_3)
	v_dual_add_f32 v32, v32, v35 :: v_dual_mul_f32 v35, v65, v45
	v_dual_mul_f32 v82, v62, v43 :: v_dual_mul_f32 v83, v64, v45
	v_dual_mul_f32 v85, v68, v49 :: v_dual_mul_f32 v86, v70, v51
	v_add_f32_e32 v2, v2, v80
	v_fma_f32 v33, v62, v42, -v33
	v_dual_add_f32 v32, v32, v34 :: v_dual_fmac_f32 v85, v69, v48
	v_dual_fmac_f32 v82, v63, v42 :: v_dual_fmac_f32 v83, v65, v44
	v_mul_f32_e32 v34, v67, v47
	s_delay_alu instid0(VALU_DEP_3)
	v_add_f32_e32 v32, v32, v33
	v_mul_f32_e32 v33, v69, v49
	v_dual_add_f32 v2, v2, v81 :: v_dual_fmac_f32 v87, v77, v72
	v_fma_f32 v35, v64, v44, -v35
	v_fmac_f32_e32 v84, v67, v46
	v_fma_f32 v34, v66, v46, -v34
	s_delay_alu instid0(VALU_DEP_4)
	v_add_f32_e32 v2, v2, v82
	v_fma_f32 v33, v68, v48, -v33
	v_add_f32_e32 v32, v32, v35
	v_mul_f32_e32 v35, v71, v51
	v_fmac_f32_e32 v86, v71, v50
	v_add_f32_e32 v2, v2, v83
	s_delay_alu instid0(VALU_DEP_4) | instskip(SKIP_2) | instid1(VALU_DEP_4)
	v_add_f32_e32 v32, v32, v34
	v_mul_f32_e32 v34, v77, v73
	v_fma_f32 v35, v70, v50, -v35
	v_add_f32_e32 v2, v2, v84
	s_delay_alu instid0(VALU_DEP_4) | instskip(NEXT) | instid1(VALU_DEP_4)
	v_add_f32_e32 v32, v32, v33
	v_fma_f32 v33, v76, v72, -v34
	s_delay_alu instid0(VALU_DEP_3) | instskip(NEXT) | instid1(VALU_DEP_3)
	v_add_f32_e32 v2, v2, v85
	v_add_f32_e32 v32, v32, v35
	s_delay_alu instid0(VALU_DEP_2) | instskip(NEXT) | instid1(VALU_DEP_2)
	v_add_f32_e32 v2, v2, v86
	v_add_f32_e32 v32, v32, v33
	s_delay_alu instid0(VALU_DEP_2) | instskip(SKIP_1) | instid1(VALU_DEP_1)
	v_add_f32_e32 v2, v2, v87
	s_wait_loadcnt 0x0
	v_dual_sub_f32 v32, v74, v32 :: v_dual_sub_f32 v33, v75, v2
	scratch_store_b64 off, v[32:33], off offset:16
	v_cmpx_lt_u32_e32 1, v0
	s_cbranch_execz .LBB77_95
; %bb.94:
	scratch_load_b64 v[32:33], off, off offset:8
	v_mov_b32_e32 v2, v1
	scratch_store_b64 off, v[1:2], off offset:8
	s_wait_loadcnt 0x0
	ds_store_b64 v3, v[32:33]
.LBB77_95:
	s_wait_alu 0xfffe
	s_or_b32 exec_lo, exec_lo, s0
	s_wait_storecnt_dscnt 0x0
	s_barrier_signal -1
	s_barrier_wait -1
	global_inv scope:SCOPE_SE
	s_clause 0x6
	scratch_load_b128 v[32:35], off, off offset:16
	scratch_load_b128 v[36:39], off, off offset:32
	;; [unrolled: 1-line block ×6, first 2 shown]
	scratch_load_b64 v[80:81], off, off offset:8
	ds_load_b128 v[56:59], v1 offset:128
	ds_load_b128 v[60:63], v1 offset:144
	;; [unrolled: 1-line block ×6, first 2 shown]
	s_mov_b32 s0, exec_lo
	s_wait_loadcnt_dscnt 0x605
	v_dual_mul_f32 v1, v56, v33 :: v_dual_mul_f32 v2, v58, v35
	v_mul_f32_e32 v33, v57, v33
	s_wait_loadcnt_dscnt 0x504
	v_dual_mul_f32 v35, v59, v35 :: v_dual_mul_f32 v82, v60, v37
	s_delay_alu instid0(VALU_DEP_3) | instskip(NEXT) | instid1(VALU_DEP_3)
	v_dual_mul_f32 v83, v62, v39 :: v_dual_fmac_f32 v2, v59, v34
	v_fma_f32 v33, v56, v32, -v33
	v_fmac_f32_e32 v1, v57, v32
	v_mul_f32_e32 v32, v61, v37
	v_fma_f32 v34, v58, v34, -v35
	v_mul_f32_e32 v35, v63, v39
	v_dual_add_f32 v33, 0, v33 :: v_dual_fmac_f32 v82, v61, v36
	s_delay_alu instid0(VALU_DEP_4) | instskip(SKIP_2) | instid1(VALU_DEP_3)
	v_fma_f32 v32, v60, v36, -v32
	s_wait_loadcnt_dscnt 0x403
	v_dual_mul_f32 v84, v64, v41 :: v_dual_mul_f32 v85, v66, v43
	v_add_f32_e32 v33, v33, v34
	v_fmac_f32_e32 v83, v63, v38
	v_fma_f32 v34, v62, v38, -v35
	s_wait_loadcnt_dscnt 0x302
	v_dual_mul_f32 v86, v68, v45 :: v_dual_mul_f32 v87, v70, v47
	v_dual_add_f32 v32, v33, v32 :: v_dual_mul_f32 v33, v67, v43
	v_fmac_f32_e32 v84, v65, v40
	s_wait_loadcnt_dscnt 0x201
	v_dual_mul_f32 v88, v72, v49 :: v_dual_mul_f32 v89, v74, v51
	s_delay_alu instid0(VALU_DEP_3) | instskip(SKIP_3) | instid1(VALU_DEP_4)
	v_dual_add_f32 v32, v32, v34 :: v_dual_add_f32 v1, 0, v1
	v_mul_f32_e32 v34, v69, v45
	v_fma_f32 v33, v66, v42, -v33
	v_dual_fmac_f32 v85, v67, v42 :: v_dual_fmac_f32 v86, v69, v44
	v_add_f32_e32 v1, v1, v2
	v_mul_f32_e32 v2, v65, v41
	v_fma_f32 v34, v68, v44, -v34
	v_dual_fmac_f32 v87, v71, v46 :: v_dual_fmac_f32 v88, v73, v48
	s_wait_loadcnt_dscnt 0x100
	v_dual_mul_f32 v90, v76, v53 :: v_dual_mul_f32 v91, v78, v55
	v_fma_f32 v2, v64, v40, -v2
	s_delay_alu instid0(VALU_DEP_2) | instskip(NEXT) | instid1(VALU_DEP_3)
	v_dual_fmac_f32 v89, v75, v50 :: v_dual_fmac_f32 v90, v77, v52
	v_fmac_f32_e32 v91, v79, v54
	s_delay_alu instid0(VALU_DEP_3) | instskip(SKIP_1) | instid1(VALU_DEP_2)
	v_add_f32_e32 v2, v32, v2
	v_mul_f32_e32 v32, v71, v47
	v_dual_add_f32 v2, v2, v33 :: v_dual_add_f32 v1, v1, v82
	v_mul_f32_e32 v33, v73, v49
	s_delay_alu instid0(VALU_DEP_3) | instskip(NEXT) | instid1(VALU_DEP_3)
	v_fma_f32 v32, v70, v46, -v32
	v_add_f32_e32 v2, v2, v34
	v_mul_f32_e32 v34, v75, v51
	v_add_f32_e32 v1, v1, v83
	v_fma_f32 v33, v72, v48, -v33
	s_delay_alu instid0(VALU_DEP_4) | instskip(SKIP_1) | instid1(VALU_DEP_4)
	v_add_f32_e32 v2, v2, v32
	v_mul_f32_e32 v32, v77, v53
	v_add_f32_e32 v1, v1, v84
	v_fma_f32 v34, v74, v50, -v34
	s_delay_alu instid0(VALU_DEP_4) | instskip(NEXT) | instid1(VALU_DEP_3)
	v_dual_add_f32 v2, v2, v33 :: v_dual_mul_f32 v33, v79, v55
	v_add_f32_e32 v1, v1, v85
	v_fma_f32 v32, v76, v52, -v32
	s_delay_alu instid0(VALU_DEP_3) | instskip(NEXT) | instid1(VALU_DEP_4)
	v_add_f32_e32 v2, v2, v34
	v_fma_f32 v33, v78, v54, -v33
	s_delay_alu instid0(VALU_DEP_2) | instskip(NEXT) | instid1(VALU_DEP_1)
	v_dual_add_f32 v1, v1, v86 :: v_dual_add_f32 v2, v2, v32
	v_dual_add_f32 v1, v1, v87 :: v_dual_add_f32 v2, v2, v33
	s_delay_alu instid0(VALU_DEP_1) | instskip(NEXT) | instid1(VALU_DEP_1)
	v_add_f32_e32 v1, v1, v88
	v_add_f32_e32 v1, v1, v89
	s_delay_alu instid0(VALU_DEP_1) | instskip(SKIP_1) | instid1(VALU_DEP_1)
	v_add_f32_e32 v1, v1, v90
	s_wait_loadcnt 0x0
	v_dual_add_f32 v32, v1, v91 :: v_dual_sub_f32 v1, v80, v2
	s_delay_alu instid0(VALU_DEP_1)
	v_sub_f32_e32 v2, v81, v32
	scratch_store_b64 off, v[1:2], off offset:8
	v_cmpx_ne_u32_e32 0, v0
	s_cbranch_execz .LBB77_97
; %bb.96:
	scratch_load_b64 v[0:1], off, off
	v_mov_b32_e32 v32, 0
	s_delay_alu instid0(VALU_DEP_1)
	v_mov_b32_e32 v33, v32
	scratch_store_b64 off, v[32:33], off
	s_wait_loadcnt 0x0
	ds_store_b64 v3, v[0:1]
.LBB77_97:
	s_wait_alu 0xfffe
	s_or_b32 exec_lo, exec_lo, s0
	s_wait_storecnt_dscnt 0x0
	s_barrier_signal -1
	s_barrier_wait -1
	global_inv scope:SCOPE_SE
	s_clause 0x7
	scratch_load_b128 v[33:36], off, off offset:8
	scratch_load_b128 v[37:40], off, off offset:24
	;; [unrolled: 1-line block ×6, first 2 shown]
	scratch_load_b64 v[77:78], off, off offset:104
	scratch_load_b64 v[79:80], off, off
	v_mov_b32_e32 v32, 0
	ds_load_2addr_b64 v[53:56], v32 offset0:15 offset1:16
	ds_load_2addr_b64 v[57:60], v32 offset0:17 offset1:18
	;; [unrolled: 1-line block ×6, first 2 shown]
	ds_load_b64 v[81:82], v32 offset:216
	s_and_b32 vcc_lo, exec_lo, s12
	s_wait_loadcnt_dscnt 0x706
	v_dual_mul_f32 v83, v53, v34 :: v_dual_mul_f32 v84, v55, v36
	s_wait_loadcnt_dscnt 0x605
	v_dual_mul_f32 v85, v57, v38 :: v_dual_mul_f32 v36, v56, v36
	s_wait_loadcnt_dscnt 0x504
	v_dual_mul_f32 v86, v59, v40 :: v_dual_mul_f32 v87, v61, v42
	v_dual_fmac_f32 v83, v54, v33 :: v_dual_fmac_f32 v84, v56, v35
	s_delay_alu instid0(VALU_DEP_3) | instskip(SKIP_1) | instid1(VALU_DEP_4)
	v_fmac_f32_e32 v85, v58, v37
	v_fma_f32 v35, v55, v35, -v36
	v_dual_fmac_f32 v86, v60, v39 :: v_dual_fmac_f32 v87, v62, v41
	s_delay_alu instid0(VALU_DEP_4)
	v_add_f32_e32 v36, 0, v83
	v_mul_f32_e32 v34, v54, v34
	s_wait_loadcnt_dscnt 0x403
	v_dual_mul_f32 v88, v63, v44 :: v_dual_mul_f32 v89, v65, v46
	s_wait_loadcnt_dscnt 0x302
	v_dual_mul_f32 v90, v67, v48 :: v_dual_mul_f32 v91, v69, v50
	v_fma_f32 v34, v53, v33, -v34
	v_dual_mul_f32 v33, v58, v38 :: v_dual_mul_f32 v38, v60, v40
	v_dual_fmac_f32 v88, v64, v43 :: v_dual_fmac_f32 v89, v66, v45
	s_delay_alu instid0(VALU_DEP_3) | instskip(NEXT) | instid1(VALU_DEP_3)
	v_add_f32_e32 v34, 0, v34
	v_fma_f32 v33, v57, v37, -v33
	s_delay_alu instid0(VALU_DEP_4) | instskip(SKIP_1) | instid1(VALU_DEP_4)
	v_fma_f32 v37, v59, v39, -v38
	v_dual_fmac_f32 v90, v68, v47 :: v_dual_fmac_f32 v91, v70, v49
	v_add_f32_e32 v34, v34, v35
	s_wait_loadcnt_dscnt 0x201
	v_dual_mul_f32 v92, v71, v52 :: v_dual_mul_f32 v93, v73, v1
	v_dual_mul_f32 v1, v74, v1 :: v_dual_mul_f32 v94, v75, v3
	s_wait_loadcnt_dscnt 0x100
	v_mul_f32_e32 v95, v81, v78
	v_add_f32_e32 v33, v34, v33
	v_add_f32_e32 v35, v36, v84
	v_dual_fmac_f32 v92, v72, v51 :: v_dual_fmac_f32 v93, v74, v0
	s_delay_alu instid0(VALU_DEP_3) | instskip(NEXT) | instid1(VALU_DEP_3)
	v_dual_fmac_f32 v94, v76, v2 :: v_dual_add_f32 v33, v33, v37
	v_dual_add_f32 v34, v35, v85 :: v_dual_mul_f32 v37, v66, v46
	v_mul_f32_e32 v35, v64, v44
	v_fma_f32 v0, v73, v0, -v1
	v_fmac_f32_e32 v95, v82, v77
	s_delay_alu instid0(VALU_DEP_4) | instskip(NEXT) | instid1(VALU_DEP_4)
	v_fma_f32 v37, v65, v45, -v37
	v_fma_f32 v35, v63, v43, -v35
	v_mul_f32_e32 v36, v62, v42
	s_delay_alu instid0(VALU_DEP_1) | instskip(NEXT) | instid1(VALU_DEP_1)
	v_fma_f32 v36, v61, v41, -v36
	v_dual_add_f32 v34, v34, v86 :: v_dual_add_f32 v33, v33, v36
	s_delay_alu instid0(VALU_DEP_1) | instskip(NEXT) | instid1(VALU_DEP_2)
	v_dual_mul_f32 v36, v68, v48 :: v_dual_add_f32 v33, v33, v35
	v_add_f32_e32 v34, v34, v87
	v_mul_f32_e32 v35, v70, v50
	s_delay_alu instid0(VALU_DEP_3) | instskip(NEXT) | instid1(VALU_DEP_4)
	v_fma_f32 v36, v67, v47, -v36
	v_add_f32_e32 v33, v33, v37
	v_mul_f32_e32 v37, v72, v52
	s_delay_alu instid0(VALU_DEP_4) | instskip(NEXT) | instid1(VALU_DEP_3)
	v_fma_f32 v35, v69, v49, -v35
	v_add_f32_e32 v33, v33, v36
	v_add_f32_e32 v34, v34, v88
	s_delay_alu instid0(VALU_DEP_4) | instskip(NEXT) | instid1(VALU_DEP_2)
	v_fma_f32 v36, v71, v51, -v37
	v_dual_add_f32 v33, v33, v35 :: v_dual_add_f32 v34, v34, v89
	v_mul_f32_e32 v35, v76, v3
	s_delay_alu instid0(VALU_DEP_2) | instskip(NEXT) | instid1(VALU_DEP_1)
	v_dual_add_f32 v1, v33, v36 :: v_dual_add_f32 v34, v34, v90
	v_add_f32_e32 v0, v1, v0
	s_delay_alu instid0(VALU_DEP_2) | instskip(NEXT) | instid1(VALU_DEP_1)
	v_add_f32_e32 v34, v34, v91
	v_add_f32_e32 v33, v34, v92
	v_mul_f32_e32 v34, v82, v78
	v_fma_f32 v35, v75, v2, -v35
	s_delay_alu instid0(VALU_DEP_1) | instskip(NEXT) | instid1(VALU_DEP_3)
	v_dual_add_f32 v0, v0, v35 :: v_dual_add_f32 v1, v33, v93
	v_fma_f32 v33, v81, v77, -v34
	s_delay_alu instid0(VALU_DEP_1) | instskip(SKIP_1) | instid1(VALU_DEP_1)
	v_add_f32_e32 v0, v0, v33
	s_wait_loadcnt 0x0
	v_dual_sub_f32 v0, v79, v0 :: v_dual_add_f32 v1, v1, v94
	s_delay_alu instid0(VALU_DEP_1) | instskip(NEXT) | instid1(VALU_DEP_1)
	v_add_f32_e32 v1, v1, v95
	v_sub_f32_e32 v1, v80, v1
	scratch_store_b64 off, v[0:1], off
	s_wait_alu 0xfffe
	s_cbranch_vccz .LBB77_124
; %bb.98:
	global_load_b32 v0, v32, s[2:3] offset:48
	s_wait_loadcnt 0x0
	v_cmp_ne_u32_e32 vcc_lo, 13, v0
	s_cbranch_vccz .LBB77_100
; %bb.99:
	v_lshlrev_b32_e32 v0, 3, v0
	s_delay_alu instid0(VALU_DEP_1)
	v_mov_b32_e32 v32, v0
	scratch_load_b64 v[0:1], v32, off offset:-8
	s_wait_loadcnt 0x0
	scratch_store_b64 off, v[0:1], off offset:96
	scratch_store_b64 v32, v[2:3], off offset:-8
.LBB77_100:
	v_mov_b32_e32 v0, 0
	global_load_b32 v1, v0, s[2:3] offset:44
	s_wait_loadcnt 0x0
	v_cmp_eq_u32_e32 vcc_lo, 12, v1
	s_cbranch_vccnz .LBB77_102
; %bb.101:
	v_lshlrev_b32_e32 v1, 3, v1
	s_delay_alu instid0(VALU_DEP_1)
	v_mov_b32_e32 v3, v1
	scratch_load_b64 v[1:2], v3, off offset:-8
	scratch_load_b64 v[32:33], off, off offset:88
	s_wait_loadcnt 0x1
	scratch_store_b64 off, v[1:2], off offset:88
	s_wait_loadcnt 0x0
	scratch_store_b64 v3, v[32:33], off offset:-8
.LBB77_102:
	global_load_b32 v0, v0, s[2:3] offset:40
	s_wait_loadcnt 0x0
	v_cmp_eq_u32_e32 vcc_lo, 11, v0
	s_cbranch_vccnz .LBB77_104
; %bb.103:
	v_lshlrev_b32_e32 v0, 3, v0
	s_delay_alu instid0(VALU_DEP_1)
	v_mov_b32_e32 v32, v0
	scratch_load_b64 v[0:1], v32, off offset:-8
	scratch_load_b64 v[2:3], off, off offset:80
	s_wait_loadcnt 0x1
	scratch_store_b64 off, v[0:1], off offset:80
	s_wait_loadcnt 0x0
	scratch_store_b64 v32, v[2:3], off offset:-8
.LBB77_104:
	v_mov_b32_e32 v0, 0
	global_load_b32 v1, v0, s[2:3] offset:36
	s_wait_loadcnt 0x0
	v_cmp_eq_u32_e32 vcc_lo, 10, v1
	s_cbranch_vccnz .LBB77_106
; %bb.105:
	v_lshlrev_b32_e32 v1, 3, v1
	s_delay_alu instid0(VALU_DEP_1)
	v_mov_b32_e32 v3, v1
	scratch_load_b64 v[1:2], v3, off offset:-8
	scratch_load_b64 v[32:33], off, off offset:72
	s_wait_loadcnt 0x1
	scratch_store_b64 off, v[1:2], off offset:72
	s_wait_loadcnt 0x0
	scratch_store_b64 v3, v[32:33], off offset:-8
.LBB77_106:
	global_load_b32 v0, v0, s[2:3] offset:32
	s_wait_loadcnt 0x0
	v_cmp_eq_u32_e32 vcc_lo, 9, v0
	s_cbranch_vccnz .LBB77_108
; %bb.107:
	v_lshlrev_b32_e32 v0, 3, v0
	s_delay_alu instid0(VALU_DEP_1)
	v_mov_b32_e32 v32, v0
	scratch_load_b64 v[0:1], v32, off offset:-8
	scratch_load_b64 v[2:3], off, off offset:64
	s_wait_loadcnt 0x1
	scratch_store_b64 off, v[0:1], off offset:64
	s_wait_loadcnt 0x0
	scratch_store_b64 v32, v[2:3], off offset:-8
.LBB77_108:
	;; [unrolled: 31-line block ×5, first 2 shown]
	v_mov_b32_e32 v0, 0
	global_load_b32 v1, v0, s[2:3] offset:4
	s_wait_loadcnt 0x0
	v_cmp_eq_u32_e32 vcc_lo, 2, v1
	s_cbranch_vccnz .LBB77_122
; %bb.121:
	v_lshlrev_b32_e32 v1, 3, v1
	s_delay_alu instid0(VALU_DEP_1)
	v_mov_b32_e32 v3, v1
	scratch_load_b64 v[1:2], v3, off offset:-8
	scratch_load_b64 v[32:33], off, off offset:8
	s_wait_loadcnt 0x1
	scratch_store_b64 off, v[1:2], off offset:8
	s_wait_loadcnt 0x0
	scratch_store_b64 v3, v[32:33], off offset:-8
.LBB77_122:
	global_load_b32 v0, v0, s[2:3]
	s_wait_loadcnt 0x0
	v_cmp_eq_u32_e32 vcc_lo, 1, v0
	s_cbranch_vccnz .LBB77_124
; %bb.123:
	v_lshlrev_b32_e32 v0, 3, v0
	s_delay_alu instid0(VALU_DEP_1)
	v_mov_b32_e32 v32, v0
	scratch_load_b64 v[0:1], v32, off offset:-8
	scratch_load_b64 v[2:3], off, off
	s_wait_loadcnt 0x1
	scratch_store_b64 off, v[0:1], off
	s_wait_loadcnt 0x0
	scratch_store_b64 v32, v[2:3], off offset:-8
.LBB77_124:
	scratch_load_b64 v[0:1], off, off
	s_wait_loadcnt 0x0
	flat_store_b64 v[4:5], v[0:1]
	scratch_load_b64 v[0:1], off, off offset:8
	s_wait_loadcnt 0x0
	flat_store_b64 v[6:7], v[0:1]
	scratch_load_b64 v[0:1], off, off offset:16
	;; [unrolled: 3-line block ×13, first 2 shown]
	s_wait_loadcnt 0x0
	flat_store_b64 v[30:31], v[0:1]
	s_endpgm
	.section	.rodata,"a",@progbits
	.p2align	6, 0x0
	.amdhsa_kernel _ZN9rocsolver6v33100L18getri_kernel_smallILi14E19rocblas_complex_numIfEPKPS3_EEvT1_iilPiilS8_bb
		.amdhsa_group_segment_fixed_size 228
		.amdhsa_private_segment_fixed_size 128
		.amdhsa_kernarg_size 60
		.amdhsa_user_sgpr_count 2
		.amdhsa_user_sgpr_dispatch_ptr 0
		.amdhsa_user_sgpr_queue_ptr 0
		.amdhsa_user_sgpr_kernarg_segment_ptr 1
		.amdhsa_user_sgpr_dispatch_id 0
		.amdhsa_user_sgpr_private_segment_size 0
		.amdhsa_wavefront_size32 1
		.amdhsa_uses_dynamic_stack 0
		.amdhsa_enable_private_segment 1
		.amdhsa_system_sgpr_workgroup_id_x 1
		.amdhsa_system_sgpr_workgroup_id_y 0
		.amdhsa_system_sgpr_workgroup_id_z 0
		.amdhsa_system_sgpr_workgroup_info 0
		.amdhsa_system_vgpr_workitem_id 0
		.amdhsa_next_free_vgpr 96
		.amdhsa_next_free_sgpr 19
		.amdhsa_reserve_vcc 1
		.amdhsa_float_round_mode_32 0
		.amdhsa_float_round_mode_16_64 0
		.amdhsa_float_denorm_mode_32 3
		.amdhsa_float_denorm_mode_16_64 3
		.amdhsa_fp16_overflow 0
		.amdhsa_workgroup_processor_mode 1
		.amdhsa_memory_ordered 1
		.amdhsa_forward_progress 1
		.amdhsa_inst_pref_size 102
		.amdhsa_round_robin_scheduling 0
		.amdhsa_exception_fp_ieee_invalid_op 0
		.amdhsa_exception_fp_denorm_src 0
		.amdhsa_exception_fp_ieee_div_zero 0
		.amdhsa_exception_fp_ieee_overflow 0
		.amdhsa_exception_fp_ieee_underflow 0
		.amdhsa_exception_fp_ieee_inexact 0
		.amdhsa_exception_int_div_zero 0
	.end_amdhsa_kernel
	.section	.text._ZN9rocsolver6v33100L18getri_kernel_smallILi14E19rocblas_complex_numIfEPKPS3_EEvT1_iilPiilS8_bb,"axG",@progbits,_ZN9rocsolver6v33100L18getri_kernel_smallILi14E19rocblas_complex_numIfEPKPS3_EEvT1_iilPiilS8_bb,comdat
.Lfunc_end77:
	.size	_ZN9rocsolver6v33100L18getri_kernel_smallILi14E19rocblas_complex_numIfEPKPS3_EEvT1_iilPiilS8_bb, .Lfunc_end77-_ZN9rocsolver6v33100L18getri_kernel_smallILi14E19rocblas_complex_numIfEPKPS3_EEvT1_iilPiilS8_bb
                                        ; -- End function
	.set _ZN9rocsolver6v33100L18getri_kernel_smallILi14E19rocblas_complex_numIfEPKPS3_EEvT1_iilPiilS8_bb.num_vgpr, 96
	.set _ZN9rocsolver6v33100L18getri_kernel_smallILi14E19rocblas_complex_numIfEPKPS3_EEvT1_iilPiilS8_bb.num_agpr, 0
	.set _ZN9rocsolver6v33100L18getri_kernel_smallILi14E19rocblas_complex_numIfEPKPS3_EEvT1_iilPiilS8_bb.numbered_sgpr, 19
	.set _ZN9rocsolver6v33100L18getri_kernel_smallILi14E19rocblas_complex_numIfEPKPS3_EEvT1_iilPiilS8_bb.num_named_barrier, 0
	.set _ZN9rocsolver6v33100L18getri_kernel_smallILi14E19rocblas_complex_numIfEPKPS3_EEvT1_iilPiilS8_bb.private_seg_size, 128
	.set _ZN9rocsolver6v33100L18getri_kernel_smallILi14E19rocblas_complex_numIfEPKPS3_EEvT1_iilPiilS8_bb.uses_vcc, 1
	.set _ZN9rocsolver6v33100L18getri_kernel_smallILi14E19rocblas_complex_numIfEPKPS3_EEvT1_iilPiilS8_bb.uses_flat_scratch, 1
	.set _ZN9rocsolver6v33100L18getri_kernel_smallILi14E19rocblas_complex_numIfEPKPS3_EEvT1_iilPiilS8_bb.has_dyn_sized_stack, 0
	.set _ZN9rocsolver6v33100L18getri_kernel_smallILi14E19rocblas_complex_numIfEPKPS3_EEvT1_iilPiilS8_bb.has_recursion, 0
	.set _ZN9rocsolver6v33100L18getri_kernel_smallILi14E19rocblas_complex_numIfEPKPS3_EEvT1_iilPiilS8_bb.has_indirect_call, 0
	.section	.AMDGPU.csdata,"",@progbits
; Kernel info:
; codeLenInByte = 13032
; TotalNumSgprs: 21
; NumVgprs: 96
; ScratchSize: 128
; MemoryBound: 0
; FloatMode: 240
; IeeeMode: 1
; LDSByteSize: 228 bytes/workgroup (compile time only)
; SGPRBlocks: 0
; VGPRBlocks: 11
; NumSGPRsForWavesPerEU: 21
; NumVGPRsForWavesPerEU: 96
; Occupancy: 16
; WaveLimiterHint : 1
; COMPUTE_PGM_RSRC2:SCRATCH_EN: 1
; COMPUTE_PGM_RSRC2:USER_SGPR: 2
; COMPUTE_PGM_RSRC2:TRAP_HANDLER: 0
; COMPUTE_PGM_RSRC2:TGID_X_EN: 1
; COMPUTE_PGM_RSRC2:TGID_Y_EN: 0
; COMPUTE_PGM_RSRC2:TGID_Z_EN: 0
; COMPUTE_PGM_RSRC2:TIDIG_COMP_CNT: 0
	.section	.text._ZN9rocsolver6v33100L18getri_kernel_smallILi15E19rocblas_complex_numIfEPKPS3_EEvT1_iilPiilS8_bb,"axG",@progbits,_ZN9rocsolver6v33100L18getri_kernel_smallILi15E19rocblas_complex_numIfEPKPS3_EEvT1_iilPiilS8_bb,comdat
	.globl	_ZN9rocsolver6v33100L18getri_kernel_smallILi15E19rocblas_complex_numIfEPKPS3_EEvT1_iilPiilS8_bb ; -- Begin function _ZN9rocsolver6v33100L18getri_kernel_smallILi15E19rocblas_complex_numIfEPKPS3_EEvT1_iilPiilS8_bb
	.p2align	8
	.type	_ZN9rocsolver6v33100L18getri_kernel_smallILi15E19rocblas_complex_numIfEPKPS3_EEvT1_iilPiilS8_bb,@function
_ZN9rocsolver6v33100L18getri_kernel_smallILi15E19rocblas_complex_numIfEPKPS3_EEvT1_iilPiilS8_bb: ; @_ZN9rocsolver6v33100L18getri_kernel_smallILi15E19rocblas_complex_numIfEPKPS3_EEvT1_iilPiilS8_bb
; %bb.0:
	s_mov_b32 s2, exec_lo
	v_cmpx_gt_u32_e32 15, v0
	s_cbranch_execz .LBB78_74
; %bb.1:
	s_clause 0x1
	s_load_b32 s13, s[0:1], 0x38
	s_load_b64 s[2:3], s[0:1], 0x0
	s_mov_b32 s8, ttmp9
	s_load_b128 s[4:7], s[0:1], 0x28
	s_wait_kmcnt 0x0
	s_bitcmp1_b32 s13, 8
	s_cselect_b32 s12, -1, 0
	s_ashr_i32 s9, ttmp9, 31
	s_delay_alu instid0(SALU_CYCLE_1) | instskip(NEXT) | instid1(SALU_CYCLE_1)
	s_lshl_b64 s[10:11], s[8:9], 3
	s_add_nc_u64 s[2:3], s[2:3], s[10:11]
	s_load_b64 s[10:11], s[2:3], 0x0
	s_bfe_u32 s2, s13, 0x10008
	s_delay_alu instid0(SALU_CYCLE_1)
	s_cmp_eq_u32 s2, 0
                                        ; implicit-def: $sgpr2_sgpr3
	s_cbranch_scc1 .LBB78_3
; %bb.2:
	s_load_b96 s[16:18], s[0:1], 0x18
	s_mul_u64 s[2:3], s[4:5], s[8:9]
	s_delay_alu instid0(SALU_CYCLE_1)
	s_lshl_b64 s[2:3], s[2:3], 2
	s_wait_kmcnt 0x0
	s_ashr_i32 s5, s18, 31
	s_mov_b32 s4, s18
	s_add_nc_u64 s[2:3], s[16:17], s[2:3]
	s_lshl_b64 s[4:5], s[4:5], 2
	s_delay_alu instid0(SALU_CYCLE_1)
	s_add_nc_u64 s[2:3], s[2:3], s[4:5]
.LBB78_3:
	s_clause 0x1
	s_load_b64 s[4:5], s[0:1], 0x8
	s_load_b32 s13, s[0:1], 0x38
	v_lshlrev_b32_e32 v3, 3, v0
	s_wait_kmcnt 0x0
	s_ashr_i32 s1, s4, 31
	s_mov_b32 s0, s4
	v_add3_u32 v10, s5, s5, v0
	s_lshl_b64 s[0:1], s[0:1], 3
	s_delay_alu instid0(SALU_CYCLE_1)
	s_add_nc_u64 s[0:1], s[10:11], s[0:1]
	s_ashr_i32 s11, s5, 31
	v_add_co_u32 v4, s4, s0, v3
	s_wait_alu 0xf1ff
	v_add_co_ci_u32_e64 v5, null, s1, 0, s4
	s_mov_b32 s10, s5
	v_ashrrev_i32_e32 v11, 31, v10
	s_lshl_b64 s[10:11], s[10:11], 3
	flat_load_b64 v[1:2], v[4:5]
	v_add_co_u32 v6, vcc_lo, v4, s10
	s_delay_alu instid0(VALU_DEP_1) | instskip(SKIP_3) | instid1(VALU_DEP_2)
	v_add_co_ci_u32_e64 v7, null, s11, v5, vcc_lo
	v_lshlrev_b64_e32 v[8:9], 3, v[10:11]
	v_add_nc_u32_e32 v12, s5, v10
	s_bitcmp0_b32 s13, 0
	v_add_co_u32 v8, vcc_lo, s0, v8
	s_wait_alu 0xfffd
	s_delay_alu instid0(VALU_DEP_3) | instskip(SKIP_2) | instid1(VALU_DEP_2)
	v_add_co_ci_u32_e64 v9, null, s1, v9, vcc_lo
	v_ashrrev_i32_e32 v13, 31, v12
	v_add_nc_u32_e32 v14, s5, v12
	v_lshlrev_b64_e32 v[10:11], 3, v[12:13]
	s_delay_alu instid0(VALU_DEP_2) | instskip(SKIP_1) | instid1(VALU_DEP_3)
	v_ashrrev_i32_e32 v15, 31, v14
	v_add_nc_u32_e32 v16, s5, v14
	v_add_co_u32 v10, vcc_lo, s0, v10
	s_wait_alu 0xfffd
	s_delay_alu instid0(VALU_DEP_4) | instskip(SKIP_3) | instid1(VALU_DEP_3)
	v_add_co_ci_u32_e64 v11, null, s1, v11, vcc_lo
	v_lshlrev_b64_e32 v[12:13], 3, v[14:15]
	v_ashrrev_i32_e32 v17, 31, v16
	v_add_nc_u32_e32 v18, s5, v16
	v_add_co_u32 v12, vcc_lo, s0, v12
	s_wait_alu 0xfffd
	s_delay_alu instid0(VALU_DEP_4) | instskip(SKIP_3) | instid1(VALU_DEP_3)
	v_add_co_ci_u32_e64 v13, null, s1, v13, vcc_lo
	v_lshlrev_b64_e32 v[14:15], 3, v[16:17]
	;; [unrolled: 7-line block ×8, first 2 shown]
	v_ashrrev_i32_e32 v31, 31, v30
	v_add_nc_u32_e32 v32, s5, v30
	v_add_co_u32 v26, vcc_lo, s0, v26
	s_wait_alu 0xfffd
	s_delay_alu instid0(VALU_DEP_4) | instskip(SKIP_2) | instid1(VALU_DEP_2)
	v_add_co_ci_u32_e64 v27, null, s1, v27, vcc_lo
	v_lshlrev_b64_e32 v[28:29], 3, v[30:31]
	v_ashrrev_i32_e32 v33, 31, v32
	v_add_co_u32 v28, vcc_lo, s0, v28
	s_wait_alu 0xfffd
	s_delay_alu instid0(VALU_DEP_3) | instskip(NEXT) | instid1(VALU_DEP_3)
	v_add_co_ci_u32_e64 v29, null, s1, v29, vcc_lo
	v_lshlrev_b64_e32 v[30:31], 3, v[32:33]
	v_add_nc_u32_e32 v32, s5, v32
	s_delay_alu instid0(VALU_DEP_2) | instskip(SKIP_1) | instid1(VALU_DEP_3)
	v_add_co_u32 v30, vcc_lo, s0, v30
	s_wait_alu 0xfffd
	v_add_co_ci_u32_e64 v31, null, s1, v31, vcc_lo
	s_delay_alu instid0(VALU_DEP_3) | instskip(NEXT) | instid1(VALU_DEP_1)
	v_ashrrev_i32_e32 v33, 31, v32
	v_lshlrev_b64_e32 v[32:33], 3, v[32:33]
	s_delay_alu instid0(VALU_DEP_1) | instskip(SKIP_1) | instid1(VALU_DEP_2)
	v_add_co_u32 v32, vcc_lo, s0, v32
	s_wait_alu 0xfffd
	v_add_co_ci_u32_e64 v33, null, s1, v33, vcc_lo
	s_mov_b32 s1, -1
	s_wait_loadcnt_dscnt 0x0
	scratch_store_b64 off, v[1:2], off
	flat_load_b64 v[1:2], v[6:7]
	s_wait_loadcnt_dscnt 0x0
	scratch_store_b64 off, v[1:2], off offset:8
	flat_load_b64 v[1:2], v[8:9]
	s_wait_loadcnt_dscnt 0x0
	scratch_store_b64 off, v[1:2], off offset:16
	;; [unrolled: 3-line block ×14, first 2 shown]
	s_cbranch_scc1 .LBB78_72
; %bb.4:
	v_cmp_eq_u32_e64 s0, 0, v0
	s_and_saveexec_b32 s1, s0
; %bb.5:
	v_mov_b32_e32 v1, 0
	ds_store_b32 v1, v1 offset:120
; %bb.6:
	s_wait_alu 0xfffe
	s_or_b32 exec_lo, exec_lo, s1
	s_wait_storecnt_dscnt 0x0
	s_barrier_signal -1
	s_barrier_wait -1
	global_inv scope:SCOPE_SE
	scratch_load_b64 v[1:2], v3, off
	s_wait_loadcnt 0x0
	v_cmp_eq_f32_e32 vcc_lo, 0, v1
	v_cmp_eq_f32_e64 s1, 0, v2
	s_and_b32 s1, vcc_lo, s1
	s_wait_alu 0xfffe
	s_and_saveexec_b32 s4, s1
	s_cbranch_execz .LBB78_10
; %bb.7:
	v_mov_b32_e32 v1, 0
	s_mov_b32 s5, 0
	ds_load_b32 v2, v1 offset:120
	s_wait_dscnt 0x0
	v_readfirstlane_b32 s1, v2
	v_add_nc_u32_e32 v2, 1, v0
	s_cmp_eq_u32 s1, 0
	s_delay_alu instid0(VALU_DEP_1)
	v_cmp_gt_i32_e32 vcc_lo, s1, v2
	s_cselect_b32 s10, -1, 0
	s_wait_alu 0xfffe
	s_or_b32 s10, s10, vcc_lo
	s_wait_alu 0xfffe
	s_and_b32 exec_lo, exec_lo, s10
	s_cbranch_execz .LBB78_10
; %bb.8:
	v_mov_b32_e32 v34, s1
.LBB78_9:                               ; =>This Inner Loop Header: Depth=1
	ds_cmpstore_rtn_b32 v34, v1, v2, v34 offset:120
	s_wait_dscnt 0x0
	v_cmp_ne_u32_e32 vcc_lo, 0, v34
	v_cmp_le_i32_e64 s1, v34, v2
	s_and_b32 s1, vcc_lo, s1
	s_wait_alu 0xfffe
	s_and_b32 s1, exec_lo, s1
	s_wait_alu 0xfffe
	s_or_b32 s5, s1, s5
	s_wait_alu 0xfffe
	s_and_not1_b32 exec_lo, exec_lo, s5
	s_cbranch_execnz .LBB78_9
.LBB78_10:
	s_wait_alu 0xfffe
	s_or_b32 exec_lo, exec_lo, s4
	v_mov_b32_e32 v1, 0
	s_barrier_signal -1
	s_barrier_wait -1
	global_inv scope:SCOPE_SE
	ds_load_b32 v2, v1 offset:120
	s_and_saveexec_b32 s1, s0
	s_cbranch_execz .LBB78_12
; %bb.11:
	s_lshl_b64 s[4:5], s[8:9], 2
	s_wait_alu 0xfffe
	s_add_nc_u64 s[4:5], s[6:7], s[4:5]
	s_wait_dscnt 0x0
	global_store_b32 v1, v2, s[4:5]
.LBB78_12:
	s_wait_alu 0xfffe
	s_or_b32 exec_lo, exec_lo, s1
	s_wait_dscnt 0x0
	v_cmp_ne_u32_e32 vcc_lo, 0, v2
	s_mov_b32 s1, 0
	s_cbranch_vccnz .LBB78_72
; %bb.13:
	v_mov_b32_e32 v38, v3
                                        ; implicit-def: $vgpr34
                                        ; implicit-def: $vgpr36
	scratch_load_b64 v[1:2], v38, off
	s_wait_loadcnt 0x0
	v_cmp_ngt_f32_e64 s1, |v1|, |v2|
	s_wait_alu 0xfffe
	s_and_saveexec_b32 s4, s1
	s_wait_alu 0xfffe
	s_xor_b32 s1, exec_lo, s4
	s_cbranch_execz .LBB78_15
; %bb.14:
	v_div_scale_f32 v34, null, v2, v2, v1
	v_div_scale_f32 v37, vcc_lo, v1, v2, v1
	s_delay_alu instid0(VALU_DEP_2) | instskip(NEXT) | instid1(TRANS32_DEP_1)
	v_rcp_f32_e32 v35, v34
	v_fma_f32 v36, -v34, v35, 1.0
	s_delay_alu instid0(VALU_DEP_1) | instskip(NEXT) | instid1(VALU_DEP_1)
	v_fmac_f32_e32 v35, v36, v35
	v_mul_f32_e32 v36, v37, v35
	s_delay_alu instid0(VALU_DEP_1) | instskip(NEXT) | instid1(VALU_DEP_1)
	v_fma_f32 v39, -v34, v36, v37
	v_fmac_f32_e32 v36, v39, v35
	s_delay_alu instid0(VALU_DEP_1) | instskip(SKIP_1) | instid1(VALU_DEP_1)
	v_fma_f32 v34, -v34, v36, v37
	s_wait_alu 0xfffd
	v_div_fmas_f32 v34, v34, v35, v36
	s_delay_alu instid0(VALU_DEP_1) | instskip(NEXT) | instid1(VALU_DEP_1)
	v_div_fixup_f32 v34, v34, v2, v1
	v_fmac_f32_e32 v2, v1, v34
	s_delay_alu instid0(VALU_DEP_1) | instskip(NEXT) | instid1(VALU_DEP_1)
	v_div_scale_f32 v1, null, v2, v2, 1.0
	v_rcp_f32_e32 v35, v1
	s_delay_alu instid0(TRANS32_DEP_1) | instskip(NEXT) | instid1(VALU_DEP_1)
	v_fma_f32 v36, -v1, v35, 1.0
	v_fmac_f32_e32 v35, v36, v35
	v_div_scale_f32 v36, vcc_lo, 1.0, v2, 1.0
	s_delay_alu instid0(VALU_DEP_1) | instskip(NEXT) | instid1(VALU_DEP_1)
	v_mul_f32_e32 v37, v36, v35
	v_fma_f32 v39, -v1, v37, v36
	s_delay_alu instid0(VALU_DEP_1) | instskip(NEXT) | instid1(VALU_DEP_1)
	v_fmac_f32_e32 v37, v39, v35
	v_fma_f32 v1, -v1, v37, v36
	s_wait_alu 0xfffd
	s_delay_alu instid0(VALU_DEP_1) | instskip(NEXT) | instid1(VALU_DEP_1)
	v_div_fmas_f32 v1, v1, v35, v37
	v_div_fixup_f32 v1, v1, v2, 1.0
	s_delay_alu instid0(VALU_DEP_1) | instskip(SKIP_1) | instid1(VALU_DEP_2)
	v_mul_f32_e32 v34, v34, v1
	v_xor_b32_e32 v35, 0x80000000, v1
                                        ; implicit-def: $vgpr1_vgpr2
	v_xor_b32_e32 v36, 0x80000000, v34
.LBB78_15:
	s_wait_alu 0xfffe
	s_and_not1_saveexec_b32 s1, s1
	s_cbranch_execz .LBB78_17
; %bb.16:
	v_div_scale_f32 v34, null, v1, v1, v2
	v_div_scale_f32 v37, vcc_lo, v2, v1, v2
	s_delay_alu instid0(VALU_DEP_2) | instskip(NEXT) | instid1(TRANS32_DEP_1)
	v_rcp_f32_e32 v35, v34
	v_fma_f32 v36, -v34, v35, 1.0
	s_delay_alu instid0(VALU_DEP_1) | instskip(NEXT) | instid1(VALU_DEP_1)
	v_fmac_f32_e32 v35, v36, v35
	v_mul_f32_e32 v36, v37, v35
	s_delay_alu instid0(VALU_DEP_1) | instskip(NEXT) | instid1(VALU_DEP_1)
	v_fma_f32 v39, -v34, v36, v37
	v_fmac_f32_e32 v36, v39, v35
	s_delay_alu instid0(VALU_DEP_1) | instskip(SKIP_1) | instid1(VALU_DEP_1)
	v_fma_f32 v34, -v34, v36, v37
	s_wait_alu 0xfffd
	v_div_fmas_f32 v34, v34, v35, v36
	s_delay_alu instid0(VALU_DEP_1) | instskip(NEXT) | instid1(VALU_DEP_1)
	v_div_fixup_f32 v35, v34, v1, v2
	v_fmac_f32_e32 v1, v2, v35
	s_delay_alu instid0(VALU_DEP_1) | instskip(NEXT) | instid1(VALU_DEP_1)
	v_div_scale_f32 v2, null, v1, v1, 1.0
	v_rcp_f32_e32 v34, v2
	s_delay_alu instid0(TRANS32_DEP_1) | instskip(NEXT) | instid1(VALU_DEP_1)
	v_fma_f32 v36, -v2, v34, 1.0
	v_fmac_f32_e32 v34, v36, v34
	v_div_scale_f32 v37, vcc_lo, 1.0, v1, 1.0
	s_delay_alu instid0(VALU_DEP_1) | instskip(NEXT) | instid1(VALU_DEP_1)
	v_mul_f32_e32 v36, v37, v34
	v_fma_f32 v39, -v2, v36, v37
	s_delay_alu instid0(VALU_DEP_1) | instskip(NEXT) | instid1(VALU_DEP_1)
	v_fmac_f32_e32 v36, v39, v34
	v_fma_f32 v2, -v2, v36, v37
	s_wait_alu 0xfffd
	s_delay_alu instid0(VALU_DEP_1) | instskip(NEXT) | instid1(VALU_DEP_1)
	v_div_fmas_f32 v2, v2, v34, v36
	v_div_fixup_f32 v34, v2, v1, 1.0
	s_delay_alu instid0(VALU_DEP_1)
	v_xor_b32_e32 v36, 0x80000000, v34
	v_mul_f32_e64 v35, v35, -v34
.LBB78_17:
	s_wait_alu 0xfffe
	s_or_b32 exec_lo, exec_lo, s1
	scratch_store_b64 v38, v[34:35], off
	scratch_load_b64 v[39:40], off, off offset:8
	v_xor_b32_e32 v37, 0x80000000, v35
	v_add_nc_u32_e32 v1, 0x80, v3
	s_wait_loadcnt 0x0
	ds_store_2addr_b64 v3, v[36:37], v[39:40] offset1:16
	s_wait_storecnt_dscnt 0x0
	s_barrier_signal -1
	s_barrier_wait -1
	global_inv scope:SCOPE_SE
	s_and_saveexec_b32 s1, s0
	s_cbranch_execz .LBB78_19
; %bb.18:
	scratch_load_b64 v[34:35], v38, off
	ds_load_b64 v[36:37], v1
	v_mov_b32_e32 v2, 0
	ds_load_b64 v[39:40], v2 offset:8
	s_wait_loadcnt_dscnt 0x1
	v_mul_f32_e32 v2, v36, v35
	v_mul_f32_e32 v35, v37, v35
	s_delay_alu instid0(VALU_DEP_2) | instskip(NEXT) | instid1(VALU_DEP_2)
	v_fmac_f32_e32 v2, v37, v34
	v_fma_f32 v34, v36, v34, -v35
	s_delay_alu instid0(VALU_DEP_2) | instskip(NEXT) | instid1(VALU_DEP_2)
	v_add_f32_e32 v2, 0, v2
	v_add_f32_e32 v34, 0, v34
	s_wait_dscnt 0x0
	s_delay_alu instid0(VALU_DEP_2) | instskip(NEXT) | instid1(VALU_DEP_2)
	v_mul_f32_e32 v36, v2, v40
	v_mul_f32_e32 v35, v34, v40
	s_delay_alu instid0(VALU_DEP_1) | instskip(NEXT) | instid1(VALU_DEP_3)
	v_fmac_f32_e32 v35, v2, v39
	v_fma_f32 v34, v34, v39, -v36
	scratch_store_b64 off, v[34:35], off offset:8
.LBB78_19:
	s_wait_alu 0xfffe
	s_or_b32 exec_lo, exec_lo, s1
	s_wait_loadcnt 0x0
	s_wait_storecnt 0x0
	s_barrier_signal -1
	s_barrier_wait -1
	global_inv scope:SCOPE_SE
	scratch_load_b64 v[34:35], off, off offset:16
	s_mov_b32 s1, exec_lo
	s_wait_loadcnt 0x0
	ds_store_b64 v1, v[34:35]
	s_wait_dscnt 0x0
	s_barrier_signal -1
	s_barrier_wait -1
	global_inv scope:SCOPE_SE
	v_cmpx_gt_u32_e32 2, v0
	s_cbranch_execz .LBB78_23
; %bb.20:
	scratch_load_b64 v[34:35], v38, off
	ds_load_b64 v[36:37], v1
	s_wait_loadcnt_dscnt 0x0
	v_mul_f32_e32 v2, v37, v35
	s_delay_alu instid0(VALU_DEP_1) | instskip(SKIP_1) | instid1(VALU_DEP_1)
	v_fma_f32 v2, v36, v34, -v2
	v_mul_f32_e32 v35, v36, v35
	v_fmac_f32_e32 v35, v37, v34
	s_delay_alu instid0(VALU_DEP_3) | instskip(NEXT) | instid1(VALU_DEP_2)
	v_add_f32_e32 v34, 0, v2
	v_add_f32_e32 v2, 0, v35
	s_and_saveexec_b32 s4, s0
	s_cbranch_execz .LBB78_22
; %bb.21:
	scratch_load_b64 v[35:36], off, off offset:8
	v_mov_b32_e32 v37, 0
	ds_load_b64 v[39:40], v37 offset:136
	s_wait_loadcnt_dscnt 0x0
	v_mul_f32_e32 v37, v39, v36
	v_mul_f32_e32 v36, v40, v36
	s_delay_alu instid0(VALU_DEP_2) | instskip(NEXT) | instid1(VALU_DEP_2)
	v_fmac_f32_e32 v37, v40, v35
	v_fma_f32 v35, v39, v35, -v36
	s_delay_alu instid0(VALU_DEP_2) | instskip(NEXT) | instid1(VALU_DEP_2)
	v_add_f32_e32 v2, v2, v37
	v_add_f32_e32 v34, v34, v35
.LBB78_22:
	s_wait_alu 0xfffe
	s_or_b32 exec_lo, exec_lo, s4
	v_mov_b32_e32 v35, 0
	ds_load_b64 v[35:36], v35 offset:16
	s_wait_dscnt 0x0
	v_mul_f32_e32 v39, v2, v36
	v_mul_f32_e32 v37, v34, v36
	s_delay_alu instid0(VALU_DEP_2) | instskip(NEXT) | instid1(VALU_DEP_2)
	v_fma_f32 v36, v34, v35, -v39
	v_fmac_f32_e32 v37, v2, v35
	scratch_store_b64 off, v[36:37], off offset:16
.LBB78_23:
	s_wait_alu 0xfffe
	s_or_b32 exec_lo, exec_lo, s1
	s_wait_loadcnt 0x0
	s_wait_storecnt 0x0
	s_barrier_signal -1
	s_barrier_wait -1
	global_inv scope:SCOPE_SE
	scratch_load_b64 v[34:35], off, off offset:24
	v_add_nc_u32_e32 v2, -1, v0
	s_mov_b32 s0, exec_lo
	s_wait_loadcnt 0x0
	ds_store_b64 v1, v[34:35]
	s_wait_dscnt 0x0
	s_barrier_signal -1
	s_barrier_wait -1
	global_inv scope:SCOPE_SE
	v_cmpx_gt_u32_e32 3, v0
	s_cbranch_execz .LBB78_27
; %bb.24:
	v_dual_mov_b32 v34, 0 :: v_dual_add_nc_u32 v35, -1, v0
	v_dual_mov_b32 v37, v3 :: v_dual_add_nc_u32 v36, 0x80, v3
	v_mov_b32_e32 v39, 0
	s_mov_b32 s1, 0
.LBB78_25:                              ; =>This Inner Loop Header: Depth=1
	scratch_load_b64 v[40:41], v37, off
	ds_load_b64 v[42:43], v36
	v_add_nc_u32_e32 v37, 8, v37
	v_add_nc_u32_e32 v35, 1, v35
	v_add_nc_u32_e32 v36, 8, v36
	s_delay_alu instid0(VALU_DEP_2)
	v_cmp_lt_u32_e32 vcc_lo, 1, v35
	s_wait_alu 0xfffe
	s_or_b32 s1, vcc_lo, s1
	s_wait_loadcnt_dscnt 0x0
	v_mul_f32_e32 v44, v43, v41
	v_mul_f32_e32 v41, v42, v41
	s_delay_alu instid0(VALU_DEP_2) | instskip(NEXT) | instid1(VALU_DEP_2)
	v_fma_f32 v42, v42, v40, -v44
	v_fmac_f32_e32 v41, v43, v40
	s_delay_alu instid0(VALU_DEP_1)
	v_dual_add_f32 v39, v39, v42 :: v_dual_add_f32 v34, v34, v41
	s_wait_alu 0xfffe
	s_and_not1_b32 exec_lo, exec_lo, s1
	s_cbranch_execnz .LBB78_25
; %bb.26:
	s_or_b32 exec_lo, exec_lo, s1
	v_mov_b32_e32 v35, 0
	ds_load_b64 v[35:36], v35 offset:24
	s_wait_dscnt 0x0
	v_mul_f32_e32 v40, v34, v36
	v_mul_f32_e32 v37, v39, v36
	s_delay_alu instid0(VALU_DEP_2) | instskip(NEXT) | instid1(VALU_DEP_2)
	v_fma_f32 v36, v39, v35, -v40
	v_fmac_f32_e32 v37, v34, v35
	scratch_store_b64 off, v[36:37], off offset:24
.LBB78_27:
	s_wait_alu 0xfffe
	s_or_b32 exec_lo, exec_lo, s0
	s_wait_loadcnt 0x0
	s_wait_storecnt 0x0
	s_barrier_signal -1
	s_barrier_wait -1
	global_inv scope:SCOPE_SE
	scratch_load_b64 v[34:35], off, off offset:32
	s_mov_b32 s0, exec_lo
	s_wait_loadcnt 0x0
	ds_store_b64 v1, v[34:35]
	s_wait_dscnt 0x0
	s_barrier_signal -1
	s_barrier_wait -1
	global_inv scope:SCOPE_SE
	v_cmpx_gt_u32_e32 4, v0
	s_cbranch_execz .LBB78_31
; %bb.28:
	v_dual_mov_b32 v34, 0 :: v_dual_add_nc_u32 v35, -1, v0
	v_dual_mov_b32 v37, v3 :: v_dual_add_nc_u32 v36, 0x80, v3
	v_mov_b32_e32 v39, 0
	s_mov_b32 s1, 0
.LBB78_29:                              ; =>This Inner Loop Header: Depth=1
	scratch_load_b64 v[40:41], v37, off
	ds_load_b64 v[42:43], v36
	v_add_nc_u32_e32 v37, 8, v37
	v_add_nc_u32_e32 v35, 1, v35
	v_add_nc_u32_e32 v36, 8, v36
	s_delay_alu instid0(VALU_DEP_2)
	v_cmp_lt_u32_e32 vcc_lo, 2, v35
	s_wait_alu 0xfffe
	s_or_b32 s1, vcc_lo, s1
	s_wait_loadcnt_dscnt 0x0
	v_mul_f32_e32 v44, v43, v41
	v_mul_f32_e32 v41, v42, v41
	s_delay_alu instid0(VALU_DEP_2) | instskip(NEXT) | instid1(VALU_DEP_2)
	v_fma_f32 v42, v42, v40, -v44
	v_fmac_f32_e32 v41, v43, v40
	s_delay_alu instid0(VALU_DEP_1)
	v_dual_add_f32 v39, v39, v42 :: v_dual_add_f32 v34, v34, v41
	s_wait_alu 0xfffe
	s_and_not1_b32 exec_lo, exec_lo, s1
	s_cbranch_execnz .LBB78_29
; %bb.30:
	s_or_b32 exec_lo, exec_lo, s1
	v_mov_b32_e32 v35, 0
	ds_load_b64 v[35:36], v35 offset:32
	s_wait_dscnt 0x0
	v_mul_f32_e32 v40, v34, v36
	v_mul_f32_e32 v37, v39, v36
	s_delay_alu instid0(VALU_DEP_2) | instskip(NEXT) | instid1(VALU_DEP_2)
	v_fma_f32 v36, v39, v35, -v40
	v_fmac_f32_e32 v37, v34, v35
	scratch_store_b64 off, v[36:37], off offset:32
.LBB78_31:
	s_wait_alu 0xfffe
	s_or_b32 exec_lo, exec_lo, s0
	s_wait_loadcnt 0x0
	s_wait_storecnt 0x0
	s_barrier_signal -1
	s_barrier_wait -1
	global_inv scope:SCOPE_SE
	scratch_load_b64 v[34:35], off, off offset:40
	;; [unrolled: 55-line block ×10, first 2 shown]
	s_mov_b32 s0, exec_lo
	s_wait_loadcnt 0x0
	ds_store_b64 v1, v[34:35]
	s_wait_dscnt 0x0
	s_barrier_signal -1
	s_barrier_wait -1
	global_inv scope:SCOPE_SE
	v_cmpx_gt_u32_e32 13, v0
	s_cbranch_execz .LBB78_67
; %bb.64:
	v_add_nc_u32_e32 v34, -1, v0
	v_dual_mov_b32 v36, v3 :: v_dual_add_nc_u32 v35, 0x80, v3
	v_mov_b32_e32 v3, 0
	v_mov_b32_e32 v37, 0
	s_mov_b32 s1, 0
.LBB78_65:                              ; =>This Inner Loop Header: Depth=1
	scratch_load_b64 v[39:40], v36, off
	ds_load_b64 v[41:42], v35
	v_add_nc_u32_e32 v36, 8, v36
	v_add_nc_u32_e32 v34, 1, v34
	;; [unrolled: 1-line block ×3, first 2 shown]
	s_delay_alu instid0(VALU_DEP_2)
	v_cmp_lt_u32_e32 vcc_lo, 11, v34
	s_wait_alu 0xfffe
	s_or_b32 s1, vcc_lo, s1
	s_wait_loadcnt_dscnt 0x0
	v_mul_f32_e32 v43, v42, v40
	v_mul_f32_e32 v40, v41, v40
	s_delay_alu instid0(VALU_DEP_2) | instskip(NEXT) | instid1(VALU_DEP_1)
	v_fma_f32 v41, v41, v39, -v43
	v_dual_fmac_f32 v40, v42, v39 :: v_dual_add_f32 v37, v37, v41
	s_delay_alu instid0(VALU_DEP_1)
	v_add_f32_e32 v3, v3, v40
	s_wait_alu 0xfffe
	s_and_not1_b32 exec_lo, exec_lo, s1
	s_cbranch_execnz .LBB78_65
; %bb.66:
	s_or_b32 exec_lo, exec_lo, s1
	v_mov_b32_e32 v34, 0
	ds_load_b64 v[34:35], v34 offset:104
	s_wait_dscnt 0x0
	v_mul_f32_e32 v39, v3, v35
	v_mul_f32_e32 v36, v37, v35
	s_delay_alu instid0(VALU_DEP_2) | instskip(NEXT) | instid1(VALU_DEP_2)
	v_fma_f32 v35, v37, v34, -v39
	v_fmac_f32_e32 v36, v3, v34
	scratch_store_b64 off, v[35:36], off offset:104
.LBB78_67:
	s_wait_alu 0xfffe
	s_or_b32 exec_lo, exec_lo, s0
	s_wait_loadcnt 0x0
	s_wait_storecnt 0x0
	s_barrier_signal -1
	s_barrier_wait -1
	global_inv scope:SCOPE_SE
	scratch_load_b64 v[34:35], off, off offset:112
	s_mov_b32 s0, exec_lo
	s_wait_loadcnt 0x0
	ds_store_b64 v1, v[34:35]
	s_wait_dscnt 0x0
	s_barrier_signal -1
	s_barrier_wait -1
	global_inv scope:SCOPE_SE
	v_cmpx_ne_u32_e32 14, v0
	s_cbranch_execz .LBB78_71
; %bb.68:
	v_dual_mov_b32 v3, 0 :: v_dual_mov_b32 v34, 0
	s_mov_b32 s1, 0
.LBB78_69:                              ; =>This Inner Loop Header: Depth=1
	scratch_load_b64 v[35:36], v38, off
	ds_load_b64 v[39:40], v1
	v_add_nc_u32_e32 v2, 1, v2
	v_add_nc_u32_e32 v1, 8, v1
	s_delay_alu instid0(VALU_DEP_2)
	v_cmp_lt_u32_e32 vcc_lo, 12, v2
	s_wait_alu 0xfffe
	s_or_b32 s1, vcc_lo, s1
	s_wait_loadcnt_dscnt 0x0
	v_mul_f32_e32 v37, v40, v36
	v_mul_f32_e32 v36, v39, v36
	s_delay_alu instid0(VALU_DEP_2) | instskip(NEXT) | instid1(VALU_DEP_2)
	v_fma_f32 v37, v39, v35, -v37
	v_fmac_f32_e32 v36, v40, v35
	v_add_nc_u32_e32 v38, 8, v38
	s_delay_alu instid0(VALU_DEP_2)
	v_dual_add_f32 v34, v34, v37 :: v_dual_add_f32 v3, v3, v36
	s_wait_alu 0xfffe
	s_and_not1_b32 exec_lo, exec_lo, s1
	s_cbranch_execnz .LBB78_69
; %bb.70:
	s_or_b32 exec_lo, exec_lo, s1
	v_mov_b32_e32 v1, 0
	ds_load_b64 v[1:2], v1 offset:112
	s_wait_dscnt 0x0
	v_mul_f32_e32 v36, v3, v2
	v_mul_f32_e32 v35, v34, v2
	s_delay_alu instid0(VALU_DEP_2) | instskip(NEXT) | instid1(VALU_DEP_2)
	v_fma_f32 v34, v34, v1, -v36
	v_fmac_f32_e32 v35, v3, v1
	scratch_store_b64 off, v[34:35], off offset:112
.LBB78_71:
	s_wait_alu 0xfffe
	s_or_b32 exec_lo, exec_lo, s0
	s_mov_b32 s1, -1
	s_wait_loadcnt 0x0
	s_wait_storecnt 0x0
	s_barrier_signal -1
	s_barrier_wait -1
	global_inv scope:SCOPE_SE
.LBB78_72:
	s_wait_alu 0xfffe
	s_and_b32 vcc_lo, exec_lo, s1
	s_wait_alu 0xfffe
	s_cbranch_vccz .LBB78_74
; %bb.73:
	v_mov_b32_e32 v1, 0
	s_lshl_b64 s[0:1], s[8:9], 2
	s_wait_alu 0xfffe
	s_add_nc_u64 s[0:1], s[6:7], s[0:1]
	global_load_b32 v1, v1, s[0:1]
	s_wait_loadcnt 0x0
	v_cmp_ne_u32_e32 vcc_lo, 0, v1
	s_cbranch_vccz .LBB78_75
.LBB78_74:
	s_nop 0
	s_sendmsg sendmsg(MSG_DEALLOC_VGPRS)
	s_endpgm
.LBB78_75:
	v_lshl_add_u32 v3, v0, 3, 0x80
	s_mov_b32 s0, exec_lo
	v_cmpx_eq_u32_e32 14, v0
	s_cbranch_execz .LBB78_77
; %bb.76:
	scratch_load_b64 v[1:2], off, off offset:104
	v_mov_b32_e32 v34, 0
	s_delay_alu instid0(VALU_DEP_1)
	v_mov_b32_e32 v35, v34
	scratch_store_b64 off, v[34:35], off offset:104
	s_wait_loadcnt 0x0
	ds_store_b64 v3, v[1:2]
.LBB78_77:
	s_wait_alu 0xfffe
	s_or_b32 exec_lo, exec_lo, s0
	s_wait_storecnt_dscnt 0x0
	s_barrier_signal -1
	s_barrier_wait -1
	global_inv scope:SCOPE_SE
	s_clause 0x1
	scratch_load_b64 v[34:35], off, off offset:112
	scratch_load_b64 v[36:37], off, off offset:104
	v_mov_b32_e32 v1, 0
	s_mov_b32 s0, exec_lo
	ds_load_b64 v[38:39], v1 offset:240
	s_wait_loadcnt_dscnt 0x100
	v_mul_f32_e32 v2, v39, v35
	s_delay_alu instid0(VALU_DEP_1) | instskip(NEXT) | instid1(VALU_DEP_1)
	v_fma_f32 v2, v38, v34, -v2
	v_dual_mul_f32 v35, v38, v35 :: v_dual_add_f32 v2, 0, v2
	s_delay_alu instid0(VALU_DEP_1) | instskip(SKIP_1) | instid1(VALU_DEP_1)
	v_fmac_f32_e32 v35, v39, v34
	s_wait_loadcnt 0x0
	v_dual_sub_f32 v34, v36, v2 :: v_dual_add_f32 v35, 0, v35
	s_delay_alu instid0(VALU_DEP_1)
	v_sub_f32_e32 v35, v37, v35
	scratch_store_b64 off, v[34:35], off offset:104
	v_cmpx_lt_u32_e32 12, v0
	s_cbranch_execz .LBB78_79
; %bb.78:
	scratch_load_b64 v[34:35], off, off offset:96
	v_mov_b32_e32 v2, v1
	scratch_store_b64 off, v[1:2], off offset:96
	s_wait_loadcnt 0x0
	ds_store_b64 v3, v[34:35]
.LBB78_79:
	s_wait_alu 0xfffe
	s_or_b32 exec_lo, exec_lo, s0
	s_wait_storecnt_dscnt 0x0
	s_barrier_signal -1
	s_barrier_wait -1
	global_inv scope:SCOPE_SE
	s_clause 0x1
	scratch_load_b128 v[34:37], off, off offset:104
	scratch_load_b64 v[42:43], off, off offset:96
	ds_load_2addr_b64 v[38:41], v1 offset0:29 offset1:30
	s_mov_b32 s0, exec_lo
	s_wait_loadcnt_dscnt 0x100
	v_mul_f32_e32 v2, v38, v35
	s_delay_alu instid0(VALU_DEP_1) | instskip(SKIP_2) | instid1(VALU_DEP_1)
	v_fmac_f32_e32 v2, v39, v34
	v_mul_f32_e32 v1, v39, v35
	v_mul_f32_e32 v35, v40, v37
	v_dual_fmac_f32 v35, v41, v36 :: v_dual_add_f32 v2, 0, v2
	v_mul_f32_e32 v37, v41, v37
	s_delay_alu instid0(VALU_DEP_4) | instskip(NEXT) | instid1(VALU_DEP_3)
	v_fma_f32 v1, v38, v34, -v1
	v_add_f32_e32 v2, v2, v35
	s_delay_alu instid0(VALU_DEP_3) | instskip(SKIP_1) | instid1(VALU_DEP_2)
	v_fma_f32 v34, v40, v36, -v37
	s_wait_loadcnt 0x0
	v_dual_add_f32 v1, 0, v1 :: v_dual_sub_f32 v2, v43, v2
	s_delay_alu instid0(VALU_DEP_1) | instskip(NEXT) | instid1(VALU_DEP_1)
	v_add_f32_e32 v1, v1, v34
	v_sub_f32_e32 v1, v42, v1
	scratch_store_b64 off, v[1:2], off offset:96
	v_cmpx_lt_u32_e32 11, v0
	s_cbranch_execz .LBB78_81
; %bb.80:
	scratch_load_b64 v[1:2], off, off offset:88
	v_mov_b32_e32 v34, 0
	s_delay_alu instid0(VALU_DEP_1)
	v_mov_b32_e32 v35, v34
	scratch_store_b64 off, v[34:35], off offset:88
	s_wait_loadcnt 0x0
	ds_store_b64 v3, v[1:2]
.LBB78_81:
	s_wait_alu 0xfffe
	s_or_b32 exec_lo, exec_lo, s0
	s_wait_storecnt_dscnt 0x0
	s_barrier_signal -1
	s_barrier_wait -1
	global_inv scope:SCOPE_SE
	s_clause 0x2
	scratch_load_b128 v[34:37], off, off offset:96
	scratch_load_b64 v[42:43], off, off offset:112
	scratch_load_b64 v[44:45], off, off offset:88
	v_mov_b32_e32 v1, 0
	ds_load_b128 v[38:41], v1 offset:224
	ds_load_b64 v[46:47], v1 offset:240
	s_mov_b32 s0, exec_lo
	s_wait_loadcnt_dscnt 0x201
	v_mul_f32_e32 v2, v39, v35
	v_dual_mul_f32 v35, v38, v35 :: v_dual_mul_f32 v48, v40, v37
	v_mul_f32_e32 v37, v41, v37
	s_wait_loadcnt_dscnt 0x100
	v_mul_f32_e32 v49, v46, v43
	v_fma_f32 v2, v38, v34, -v2
	s_delay_alu instid0(VALU_DEP_2) | instskip(NEXT) | instid1(VALU_DEP_2)
	v_dual_fmac_f32 v48, v41, v36 :: v_dual_fmac_f32 v49, v47, v42
	v_add_f32_e32 v2, 0, v2
	v_fmac_f32_e32 v35, v39, v34
	v_mul_f32_e32 v34, v47, v43
	v_fma_f32 v36, v40, v36, -v37
	s_delay_alu instid0(VALU_DEP_2) | instskip(NEXT) | instid1(VALU_DEP_2)
	v_fma_f32 v34, v46, v42, -v34
	v_dual_add_f32 v2, v2, v36 :: v_dual_add_f32 v35, 0, v35
	s_delay_alu instid0(VALU_DEP_1) | instskip(SKIP_1) | instid1(VALU_DEP_1)
	v_dual_add_f32 v2, v2, v34 :: v_dual_add_f32 v35, v35, v48
	s_wait_loadcnt 0x0
	v_dual_sub_f32 v34, v44, v2 :: v_dual_add_f32 v35, v35, v49
	s_delay_alu instid0(VALU_DEP_1)
	v_sub_f32_e32 v35, v45, v35
	scratch_store_b64 off, v[34:35], off offset:88
	v_cmpx_lt_u32_e32 10, v0
	s_cbranch_execz .LBB78_83
; %bb.82:
	scratch_load_b64 v[34:35], off, off offset:80
	v_mov_b32_e32 v2, v1
	scratch_store_b64 off, v[1:2], off offset:80
	s_wait_loadcnt 0x0
	ds_store_b64 v3, v[34:35]
.LBB78_83:
	s_wait_alu 0xfffe
	s_or_b32 exec_lo, exec_lo, s0
	s_wait_storecnt_dscnt 0x0
	s_barrier_signal -1
	s_barrier_wait -1
	global_inv scope:SCOPE_SE
	s_clause 0x2
	scratch_load_b128 v[34:37], off, off offset:88
	scratch_load_b128 v[38:41], off, off offset:104
	scratch_load_b64 v[50:51], off, off offset:80
	ds_load_2addr_b64 v[42:45], v1 offset0:27 offset1:28
	ds_load_2addr_b64 v[46:49], v1 offset0:29 offset1:30
	s_mov_b32 s0, exec_lo
	s_wait_loadcnt_dscnt 0x201
	v_mul_f32_e32 v2, v43, v35
	s_wait_loadcnt_dscnt 0x100
	v_dual_mul_f32 v52, v46, v39 :: v_dual_mul_f32 v53, v48, v41
	s_delay_alu instid0(VALU_DEP_2) | instskip(SKIP_2) | instid1(VALU_DEP_4)
	v_fma_f32 v2, v42, v34, -v2
	v_mul_f32_e32 v1, v42, v35
	v_mul_f32_e32 v35, v44, v37
	v_dual_mul_f32 v37, v45, v37 :: v_dual_fmac_f32 v52, v47, v38
	s_delay_alu instid0(VALU_DEP_4) | instskip(NEXT) | instid1(VALU_DEP_4)
	v_add_f32_e32 v2, 0, v2
	v_fmac_f32_e32 v1, v43, v34
	s_delay_alu instid0(VALU_DEP_4) | instskip(NEXT) | instid1(VALU_DEP_4)
	v_dual_mul_f32 v34, v47, v39 :: v_dual_fmac_f32 v35, v45, v36
	v_fma_f32 v36, v44, v36, -v37
	v_fmac_f32_e32 v53, v49, v40
	s_delay_alu instid0(VALU_DEP_3) | instskip(NEXT) | instid1(VALU_DEP_3)
	v_fma_f32 v34, v46, v38, -v34
	v_dual_add_f32 v2, v2, v36 :: v_dual_add_f32 v1, 0, v1
	s_delay_alu instid0(VALU_DEP_1) | instskip(NEXT) | instid1(VALU_DEP_2)
	v_dual_add_f32 v2, v2, v34 :: v_dual_mul_f32 v37, v49, v41
	v_add_f32_e32 v1, v1, v35
	s_delay_alu instid0(VALU_DEP_2) | instskip(NEXT) | instid1(VALU_DEP_1)
	v_fma_f32 v35, v48, v40, -v37
	v_dual_add_f32 v1, v1, v52 :: v_dual_add_f32 v2, v2, v35
	s_wait_loadcnt 0x0
	s_delay_alu instid0(VALU_DEP_1) | instskip(NEXT) | instid1(VALU_DEP_1)
	v_dual_add_f32 v34, v1, v53 :: v_dual_sub_f32 v1, v50, v2
	v_sub_f32_e32 v2, v51, v34
	scratch_store_b64 off, v[1:2], off offset:80
	v_cmpx_lt_u32_e32 9, v0
	s_cbranch_execz .LBB78_85
; %bb.84:
	scratch_load_b64 v[1:2], off, off offset:72
	v_mov_b32_e32 v34, 0
	s_delay_alu instid0(VALU_DEP_1)
	v_mov_b32_e32 v35, v34
	scratch_store_b64 off, v[34:35], off offset:72
	s_wait_loadcnt 0x0
	ds_store_b64 v3, v[1:2]
.LBB78_85:
	s_wait_alu 0xfffe
	s_or_b32 exec_lo, exec_lo, s0
	s_wait_storecnt_dscnt 0x0
	s_barrier_signal -1
	s_barrier_wait -1
	global_inv scope:SCOPE_SE
	s_clause 0x3
	scratch_load_b128 v[34:37], off, off offset:80
	scratch_load_b128 v[38:41], off, off offset:96
	scratch_load_b64 v[50:51], off, off offset:112
	scratch_load_b64 v[52:53], off, off offset:72
	v_mov_b32_e32 v1, 0
	ds_load_b128 v[42:45], v1 offset:208
	ds_load_b128 v[46:49], v1 offset:224
	ds_load_b64 v[54:55], v1 offset:240
	s_mov_b32 s0, exec_lo
	s_wait_loadcnt_dscnt 0x302
	v_mul_f32_e32 v2, v42, v35
	v_dual_mul_f32 v56, v44, v37 :: v_dual_mul_f32 v35, v43, v35
	s_wait_loadcnt_dscnt 0x100
	v_mul_f32_e32 v59, v54, v51
	v_dual_mul_f32 v57, v46, v39 :: v_dual_mul_f32 v58, v48, v41
	v_dual_fmac_f32 v2, v43, v34 :: v_dual_mul_f32 v37, v45, v37
	v_fma_f32 v35, v42, v34, -v35
	v_fmac_f32_e32 v56, v45, v36
	v_mul_f32_e32 v34, v47, v39
	s_delay_alu instid0(VALU_DEP_4) | instskip(SKIP_3) | instid1(VALU_DEP_4)
	v_add_f32_e32 v2, 0, v2
	v_fma_f32 v36, v44, v36, -v37
	v_add_f32_e32 v35, 0, v35
	v_mul_f32_e32 v37, v49, v41
	v_dual_fmac_f32 v57, v47, v38 :: v_dual_add_f32 v2, v2, v56
	v_dual_fmac_f32 v58, v49, v40 :: v_dual_fmac_f32 v59, v55, v50
	s_delay_alu instid0(VALU_DEP_4) | instskip(SKIP_1) | instid1(VALU_DEP_4)
	v_add_f32_e32 v35, v35, v36
	v_fma_f32 v34, v46, v38, -v34
	v_add_f32_e32 v2, v2, v57
	v_fma_f32 v37, v48, v40, -v37
	s_delay_alu instid0(VALU_DEP_3) | instskip(NEXT) | instid1(VALU_DEP_3)
	v_add_f32_e32 v34, v35, v34
	v_add_f32_e32 v2, v2, v58
	s_delay_alu instid0(VALU_DEP_2) | instskip(NEXT) | instid1(VALU_DEP_2)
	v_add_f32_e32 v34, v34, v37
	v_add_f32_e32 v2, v2, v59
	v_mul_f32_e32 v36, v55, v51
	s_delay_alu instid0(VALU_DEP_1) | instskip(SKIP_1) | instid1(VALU_DEP_1)
	v_fma_f32 v35, v54, v50, -v36
	s_wait_loadcnt 0x0
	v_dual_add_f32 v34, v34, v35 :: v_dual_sub_f32 v35, v53, v2
	s_delay_alu instid0(VALU_DEP_1)
	v_sub_f32_e32 v34, v52, v34
	scratch_store_b64 off, v[34:35], off offset:72
	v_cmpx_lt_u32_e32 8, v0
	s_cbranch_execz .LBB78_87
; %bb.86:
	scratch_load_b64 v[34:35], off, off offset:64
	v_mov_b32_e32 v2, v1
	scratch_store_b64 off, v[1:2], off offset:64
	s_wait_loadcnt 0x0
	ds_store_b64 v3, v[34:35]
.LBB78_87:
	s_wait_alu 0xfffe
	s_or_b32 exec_lo, exec_lo, s0
	s_wait_storecnt_dscnt 0x0
	s_barrier_signal -1
	s_barrier_wait -1
	global_inv scope:SCOPE_SE
	s_clause 0x3
	scratch_load_b128 v[34:37], off, off offset:72
	scratch_load_b128 v[38:41], off, off offset:88
	;; [unrolled: 1-line block ×3, first 2 shown]
	scratch_load_b64 v[58:59], off, off offset:64
	ds_load_2addr_b64 v[46:49], v1 offset0:25 offset1:26
	ds_load_2addr_b64 v[50:53], v1 offset0:27 offset1:28
	;; [unrolled: 1-line block ×3, first 2 shown]
	s_mov_b32 s0, exec_lo
	s_wait_loadcnt_dscnt 0x302
	v_dual_mul_f32 v1, v46, v35 :: v_dual_mul_f32 v2, v48, v37
	v_mul_f32_e32 v35, v47, v35
	s_wait_loadcnt_dscnt 0x201
	v_dual_mul_f32 v37, v49, v37 :: v_dual_mul_f32 v60, v50, v39
	s_delay_alu instid0(VALU_DEP_3) | instskip(NEXT) | instid1(VALU_DEP_3)
	v_dual_mul_f32 v61, v52, v41 :: v_dual_fmac_f32 v2, v49, v36
	v_fma_f32 v35, v46, v34, -v35
	v_fmac_f32_e32 v1, v47, v34
	v_mul_f32_e32 v34, v51, v39
	v_fma_f32 v36, v48, v36, -v37
	s_delay_alu instid0(VALU_DEP_4)
	v_dual_fmac_f32 v60, v51, v38 :: v_dual_add_f32 v35, 0, v35
	s_wait_loadcnt_dscnt 0x100
	v_dual_mul_f32 v62, v54, v43 :: v_dual_mul_f32 v63, v56, v45
	v_fma_f32 v34, v50, v38, -v34
	v_fmac_f32_e32 v61, v53, v40
	v_add_f32_e32 v35, v35, v36
	s_delay_alu instid0(VALU_DEP_4) | instskip(NEXT) | instid1(VALU_DEP_2)
	v_dual_mul_f32 v37, v53, v41 :: v_dual_fmac_f32 v62, v55, v42
	v_dual_fmac_f32 v63, v57, v44 :: v_dual_add_f32 v34, v35, v34
	s_delay_alu instid0(VALU_DEP_2) | instskip(NEXT) | instid1(VALU_DEP_1)
	v_fma_f32 v36, v52, v40, -v37
	v_dual_mul_f32 v35, v57, v45 :: v_dual_add_f32 v34, v34, v36
	v_add_f32_e32 v1, 0, v1
	s_delay_alu instid0(VALU_DEP_2) | instskip(NEXT) | instid1(VALU_DEP_2)
	v_fma_f32 v35, v56, v44, -v35
	v_dual_add_f32 v1, v1, v2 :: v_dual_mul_f32 v2, v55, v43
	s_delay_alu instid0(VALU_DEP_1) | instskip(NEXT) | instid1(VALU_DEP_1)
	v_fma_f32 v2, v54, v42, -v2
	v_add_f32_e32 v2, v34, v2
	s_delay_alu instid0(VALU_DEP_1) | instskip(NEXT) | instid1(VALU_DEP_1)
	v_dual_add_f32 v2, v2, v35 :: v_dual_add_f32 v1, v1, v60
	v_add_f32_e32 v1, v1, v61
	s_delay_alu instid0(VALU_DEP_1) | instskip(SKIP_1) | instid1(VALU_DEP_1)
	v_add_f32_e32 v1, v1, v62
	s_wait_loadcnt 0x0
	v_dual_add_f32 v34, v1, v63 :: v_dual_sub_f32 v1, v58, v2
	s_delay_alu instid0(VALU_DEP_1)
	v_sub_f32_e32 v2, v59, v34
	scratch_store_b64 off, v[1:2], off offset:64
	v_cmpx_lt_u32_e32 7, v0
	s_cbranch_execz .LBB78_89
; %bb.88:
	scratch_load_b64 v[1:2], off, off offset:56
	v_mov_b32_e32 v34, 0
	s_delay_alu instid0(VALU_DEP_1)
	v_mov_b32_e32 v35, v34
	scratch_store_b64 off, v[34:35], off offset:56
	s_wait_loadcnt 0x0
	ds_store_b64 v3, v[1:2]
.LBB78_89:
	s_wait_alu 0xfffe
	s_or_b32 exec_lo, exec_lo, s0
	s_wait_storecnt_dscnt 0x0
	s_barrier_signal -1
	s_barrier_wait -1
	global_inv scope:SCOPE_SE
	s_clause 0x4
	scratch_load_b128 v[34:37], off, off offset:64
	scratch_load_b128 v[38:41], off, off offset:80
	;; [unrolled: 1-line block ×3, first 2 shown]
	scratch_load_b64 v[58:59], off, off offset:112
	scratch_load_b64 v[60:61], off, off offset:56
	v_mov_b32_e32 v1, 0
	ds_load_b128 v[46:49], v1 offset:192
	ds_load_b128 v[50:53], v1 offset:208
	;; [unrolled: 1-line block ×3, first 2 shown]
	ds_load_b64 v[62:63], v1 offset:240
	s_mov_b32 s0, exec_lo
	s_wait_loadcnt_dscnt 0x403
	v_mul_f32_e32 v2, v46, v35
	s_wait_loadcnt_dscnt 0x302
	v_dual_mul_f32 v64, v48, v37 :: v_dual_mul_f32 v65, v50, v39
	v_dual_mul_f32 v66, v52, v41 :: v_dual_mul_f32 v35, v47, v35
	s_wait_loadcnt_dscnt 0x100
	v_dual_mul_f32 v69, v62, v59 :: v_dual_fmac_f32 v2, v47, v34
	v_mul_f32_e32 v37, v49, v37
	v_dual_mul_f32 v67, v54, v43 :: v_dual_mul_f32 v68, v56, v45
	v_fma_f32 v35, v46, v34, -v35
	v_fmac_f32_e32 v64, v49, v36
	v_add_f32_e32 v2, 0, v2
	v_mul_f32_e32 v34, v51, v39
	v_fma_f32 v36, v48, v36, -v37
	v_add_f32_e32 v35, 0, v35
	v_mul_f32_e32 v37, v53, v41
	v_dual_fmac_f32 v65, v51, v38 :: v_dual_add_f32 v2, v2, v64
	v_dual_fmac_f32 v66, v53, v40 :: v_dual_fmac_f32 v67, v55, v42
	s_delay_alu instid0(VALU_DEP_4) | instskip(SKIP_1) | instid1(VALU_DEP_4)
	v_add_f32_e32 v35, v35, v36
	v_fma_f32 v34, v50, v38, -v34
	v_add_f32_e32 v2, v2, v65
	v_mul_f32_e32 v36, v55, v43
	v_fma_f32 v37, v52, v40, -v37
	v_dual_fmac_f32 v68, v57, v44 :: v_dual_fmac_f32 v69, v63, v58
	s_delay_alu instid0(VALU_DEP_4) | instskip(SKIP_2) | instid1(VALU_DEP_3)
	v_add_f32_e32 v2, v2, v66
	v_dual_add_f32 v34, v35, v34 :: v_dual_mul_f32 v35, v57, v45
	v_fma_f32 v36, v54, v42, -v36
	v_add_f32_e32 v2, v2, v67
	s_delay_alu instid0(VALU_DEP_3) | instskip(NEXT) | instid1(VALU_DEP_4)
	v_dual_add_f32 v34, v34, v37 :: v_dual_mul_f32 v37, v63, v59
	v_fma_f32 v35, v56, v44, -v35
	s_delay_alu instid0(VALU_DEP_3) | instskip(NEXT) | instid1(VALU_DEP_1)
	v_add_f32_e32 v2, v2, v68
	v_add_f32_e32 v2, v2, v69
	s_delay_alu instid0(VALU_DEP_4) | instskip(SKIP_2) | instid1(VALU_DEP_2)
	v_add_f32_e32 v34, v34, v36
	v_fma_f32 v36, v62, v58, -v37
	s_wait_loadcnt 0x0
	v_dual_add_f32 v34, v34, v35 :: v_dual_sub_f32 v35, v61, v2
	s_delay_alu instid0(VALU_DEP_1) | instskip(NEXT) | instid1(VALU_DEP_1)
	v_add_f32_e32 v34, v34, v36
	v_sub_f32_e32 v34, v60, v34
	scratch_store_b64 off, v[34:35], off offset:56
	v_cmpx_lt_u32_e32 6, v0
	s_cbranch_execz .LBB78_91
; %bb.90:
	scratch_load_b64 v[34:35], off, off offset:48
	v_mov_b32_e32 v2, v1
	scratch_store_b64 off, v[1:2], off offset:48
	s_wait_loadcnt 0x0
	ds_store_b64 v3, v[34:35]
.LBB78_91:
	s_wait_alu 0xfffe
	s_or_b32 exec_lo, exec_lo, s0
	s_wait_storecnt_dscnt 0x0
	s_barrier_signal -1
	s_barrier_wait -1
	global_inv scope:SCOPE_SE
	s_clause 0x4
	scratch_load_b128 v[34:37], off, off offset:56
	scratch_load_b128 v[38:41], off, off offset:72
	;; [unrolled: 1-line block ×4, first 2 shown]
	scratch_load_b64 v[66:67], off, off offset:48
	ds_load_2addr_b64 v[50:53], v1 offset0:23 offset1:24
	ds_load_2addr_b64 v[54:57], v1 offset0:25 offset1:26
	;; [unrolled: 1-line block ×4, first 2 shown]
	s_mov_b32 s0, exec_lo
	s_wait_loadcnt_dscnt 0x403
	v_dual_mul_f32 v1, v50, v35 :: v_dual_mul_f32 v2, v52, v37
	v_mul_f32_e32 v35, v51, v35
	s_wait_loadcnt_dscnt 0x302
	v_dual_mul_f32 v37, v53, v37 :: v_dual_mul_f32 v68, v54, v39
	s_delay_alu instid0(VALU_DEP_3) | instskip(NEXT) | instid1(VALU_DEP_3)
	v_dual_mul_f32 v69, v56, v41 :: v_dual_fmac_f32 v2, v53, v36
	v_fma_f32 v35, v50, v34, -v35
	v_fmac_f32_e32 v1, v51, v34
	v_mul_f32_e32 v34, v55, v39
	v_fma_f32 v36, v52, v36, -v37
	s_delay_alu instid0(VALU_DEP_4)
	v_dual_fmac_f32 v68, v55, v38 :: v_dual_add_f32 v35, 0, v35
	s_wait_loadcnt_dscnt 0x201
	v_dual_mul_f32 v70, v58, v43 :: v_dual_mul_f32 v71, v60, v45
	v_fma_f32 v34, v54, v38, -v34
	s_wait_loadcnt_dscnt 0x100
	v_dual_mul_f32 v72, v62, v47 :: v_dual_mul_f32 v73, v64, v49
	v_add_f32_e32 v35, v35, v36
	v_mul_f32_e32 v37, v57, v41
	v_dual_fmac_f32 v69, v57, v40 :: v_dual_fmac_f32 v70, v59, v42
	s_delay_alu instid0(VALU_DEP_3) | instskip(NEXT) | instid1(VALU_DEP_3)
	v_dual_fmac_f32 v73, v65, v48 :: v_dual_add_f32 v34, v35, v34
	v_fma_f32 v36, v56, v40, -v37
	v_fmac_f32_e32 v72, v63, v46
	s_delay_alu instid0(VALU_DEP_2) | instskip(NEXT) | instid1(VALU_DEP_1)
	v_dual_add_f32 v34, v34, v36 :: v_dual_add_f32 v1, 0, v1
	v_dual_mul_f32 v36, v63, v47 :: v_dual_add_f32 v1, v1, v2
	v_mul_f32_e32 v2, v59, v43
	s_delay_alu instid0(VALU_DEP_2) | instskip(SKIP_1) | instid1(VALU_DEP_4)
	v_fma_f32 v36, v62, v46, -v36
	v_mul_f32_e32 v35, v61, v45
	v_add_f32_e32 v1, v1, v68
	s_delay_alu instid0(VALU_DEP_4) | instskip(NEXT) | instid1(VALU_DEP_3)
	v_fma_f32 v2, v58, v42, -v2
	v_fma_f32 v35, v60, v44, -v35
	s_delay_alu instid0(VALU_DEP_2) | instskip(SKIP_1) | instid1(VALU_DEP_2)
	v_dual_add_f32 v2, v34, v2 :: v_dual_add_f32 v1, v1, v69
	v_mul_f32_e32 v34, v65, v49
	v_dual_add_f32 v2, v2, v35 :: v_dual_add_f32 v1, v1, v70
	s_delay_alu instid0(VALU_DEP_2) | instskip(NEXT) | instid1(VALU_DEP_2)
	v_fma_f32 v34, v64, v48, -v34
	v_add_f32_e32 v2, v2, v36
	s_delay_alu instid0(VALU_DEP_1) | instskip(NEXT) | instid1(VALU_DEP_1)
	v_dual_fmac_f32 v71, v61, v44 :: v_dual_add_f32 v2, v2, v34
	v_add_f32_e32 v1, v1, v71
	s_delay_alu instid0(VALU_DEP_1) | instskip(SKIP_1) | instid1(VALU_DEP_1)
	v_add_f32_e32 v1, v1, v72
	s_wait_loadcnt 0x0
	v_dual_add_f32 v34, v1, v73 :: v_dual_sub_f32 v1, v66, v2
	s_delay_alu instid0(VALU_DEP_1)
	v_sub_f32_e32 v2, v67, v34
	scratch_store_b64 off, v[1:2], off offset:48
	v_cmpx_lt_u32_e32 5, v0
	s_cbranch_execz .LBB78_93
; %bb.92:
	scratch_load_b64 v[1:2], off, off offset:40
	v_mov_b32_e32 v34, 0
	s_delay_alu instid0(VALU_DEP_1)
	v_mov_b32_e32 v35, v34
	scratch_store_b64 off, v[34:35], off offset:40
	s_wait_loadcnt 0x0
	ds_store_b64 v3, v[1:2]
.LBB78_93:
	s_wait_alu 0xfffe
	s_or_b32 exec_lo, exec_lo, s0
	s_wait_storecnt_dscnt 0x0
	s_barrier_signal -1
	s_barrier_wait -1
	global_inv scope:SCOPE_SE
	s_clause 0x5
	scratch_load_b128 v[34:37], off, off offset:48
	scratch_load_b128 v[38:41], off, off offset:64
	;; [unrolled: 1-line block ×4, first 2 shown]
	scratch_load_b64 v[66:67], off, off offset:112
	scratch_load_b64 v[68:69], off, off offset:40
	v_mov_b32_e32 v1, 0
	ds_load_b128 v[50:53], v1 offset:176
	ds_load_b128 v[54:57], v1 offset:192
	;; [unrolled: 1-line block ×4, first 2 shown]
	ds_load_b64 v[70:71], v1 offset:240
	s_mov_b32 s0, exec_lo
	s_wait_loadcnt_dscnt 0x504
	v_mul_f32_e32 v2, v50, v35
	s_wait_loadcnt_dscnt 0x302
	v_dual_mul_f32 v35, v51, v35 :: v_dual_mul_f32 v76, v60, v45
	v_dual_mul_f32 v72, v52, v37 :: v_dual_mul_f32 v73, v54, v39
	s_wait_loadcnt_dscnt 0x100
	v_dual_mul_f32 v79, v70, v67 :: v_dual_fmac_f32 v2, v51, v34
	v_mul_f32_e32 v37, v53, v37
	v_fma_f32 v35, v50, v34, -v35
	v_mul_f32_e32 v34, v55, v39
	v_fmac_f32_e32 v72, v53, v36
	v_add_f32_e32 v2, 0, v2
	v_fma_f32 v36, v52, v36, -v37
	v_add_f32_e32 v35, 0, v35
	v_mul_f32_e32 v37, v57, v41
	s_delay_alu instid0(VALU_DEP_4) | instskip(SKIP_1) | instid1(VALU_DEP_4)
	v_dual_fmac_f32 v73, v55, v38 :: v_dual_add_f32 v2, v2, v72
	v_fma_f32 v34, v54, v38, -v34
	v_dual_add_f32 v35, v35, v36 :: v_dual_mul_f32 v74, v56, v41
	v_mul_f32_e32 v75, v58, v43
	v_mul_f32_e32 v36, v59, v43
	v_fma_f32 v37, v56, v40, -v37
	v_add_f32_e32 v2, v2, v73
	v_add_f32_e32 v34, v35, v34
	v_dual_fmac_f32 v74, v57, v40 :: v_dual_fmac_f32 v75, v59, v42
	v_mul_f32_e32 v35, v61, v45
	v_fma_f32 v36, v58, v42, -v36
	s_delay_alu instid0(VALU_DEP_4) | instskip(NEXT) | instid1(VALU_DEP_4)
	v_dual_add_f32 v34, v34, v37 :: v_dual_mul_f32 v37, v63, v47
	v_add_f32_e32 v2, v2, v74
	s_delay_alu instid0(VALU_DEP_4) | instskip(SKIP_1) | instid1(VALU_DEP_4)
	v_fma_f32 v35, v60, v44, -v35
	v_dual_mul_f32 v77, v62, v47 :: v_dual_mul_f32 v78, v64, v49
	v_dual_add_f32 v34, v34, v36 :: v_dual_fmac_f32 v79, v71, v66
	s_delay_alu instid0(VALU_DEP_2) | instskip(SKIP_1) | instid1(VALU_DEP_3)
	v_dual_fmac_f32 v76, v61, v44 :: v_dual_fmac_f32 v77, v63, v46
	v_mul_f32_e32 v36, v65, v49
	v_add_f32_e32 v34, v34, v35
	v_mul_f32_e32 v35, v71, v67
	v_add_f32_e32 v2, v2, v75
	v_fma_f32 v37, v62, v46, -v37
	v_fmac_f32_e32 v78, v65, v48
	v_fma_f32 v36, v64, v48, -v36
	v_fma_f32 v35, v70, v66, -v35
	v_add_f32_e32 v2, v2, v76
	v_add_f32_e32 v34, v34, v37
	s_delay_alu instid0(VALU_DEP_2) | instskip(NEXT) | instid1(VALU_DEP_2)
	v_add_f32_e32 v2, v2, v77
	v_add_f32_e32 v34, v34, v36
	s_delay_alu instid0(VALU_DEP_2) | instskip(NEXT) | instid1(VALU_DEP_2)
	v_add_f32_e32 v2, v2, v78
	v_add_f32_e32 v34, v34, v35
	s_delay_alu instid0(VALU_DEP_2) | instskip(SKIP_1) | instid1(VALU_DEP_2)
	v_add_f32_e32 v2, v2, v79
	s_wait_loadcnt 0x0
	v_sub_f32_e32 v34, v68, v34
	s_delay_alu instid0(VALU_DEP_2)
	v_sub_f32_e32 v35, v69, v2
	scratch_store_b64 off, v[34:35], off offset:40
	v_cmpx_lt_u32_e32 4, v0
	s_cbranch_execz .LBB78_95
; %bb.94:
	scratch_load_b64 v[34:35], off, off offset:32
	v_mov_b32_e32 v2, v1
	scratch_store_b64 off, v[1:2], off offset:32
	s_wait_loadcnt 0x0
	ds_store_b64 v3, v[34:35]
.LBB78_95:
	s_wait_alu 0xfffe
	s_or_b32 exec_lo, exec_lo, s0
	s_wait_storecnt_dscnt 0x0
	s_barrier_signal -1
	s_barrier_wait -1
	global_inv scope:SCOPE_SE
	s_clause 0x5
	scratch_load_b128 v[34:37], off, off offset:40
	scratch_load_b128 v[38:41], off, off offset:56
	;; [unrolled: 1-line block ×5, first 2 shown]
	scratch_load_b64 v[74:75], off, off offset:32
	ds_load_2addr_b64 v[54:57], v1 offset0:21 offset1:22
	ds_load_2addr_b64 v[58:61], v1 offset0:23 offset1:24
	;; [unrolled: 1-line block ×5, first 2 shown]
	s_mov_b32 s0, exec_lo
	s_wait_loadcnt_dscnt 0x504
	v_dual_mul_f32 v1, v54, v35 :: v_dual_mul_f32 v2, v56, v37
	v_mul_f32_e32 v35, v55, v35
	s_wait_loadcnt_dscnt 0x403
	v_dual_mul_f32 v37, v57, v37 :: v_dual_mul_f32 v76, v58, v39
	s_delay_alu instid0(VALU_DEP_3) | instskip(NEXT) | instid1(VALU_DEP_3)
	v_dual_mul_f32 v77, v60, v41 :: v_dual_fmac_f32 v2, v57, v36
	v_fma_f32 v35, v54, v34, -v35
	v_fmac_f32_e32 v1, v55, v34
	v_mul_f32_e32 v34, v59, v39
	v_fma_f32 v36, v56, v36, -v37
	s_delay_alu instid0(VALU_DEP_4)
	v_dual_fmac_f32 v76, v59, v38 :: v_dual_add_f32 v35, 0, v35
	s_wait_loadcnt_dscnt 0x302
	v_dual_mul_f32 v78, v62, v43 :: v_dual_mul_f32 v79, v64, v45
	v_fma_f32 v34, v58, v38, -v34
	s_wait_loadcnt_dscnt 0x201
	v_dual_mul_f32 v80, v66, v47 :: v_dual_mul_f32 v81, v68, v49
	v_add_f32_e32 v35, v35, v36
	v_mul_f32_e32 v37, v61, v41
	v_dual_fmac_f32 v77, v61, v40 :: v_dual_fmac_f32 v78, v63, v42
	s_wait_loadcnt_dscnt 0x100
	v_dual_mul_f32 v82, v70, v51 :: v_dual_mul_f32 v83, v72, v53
	v_add_f32_e32 v34, v35, v34
	v_fma_f32 v36, v60, v40, -v37
	s_delay_alu instid0(VALU_DEP_3) | instskip(NEXT) | instid1(VALU_DEP_4)
	v_dual_fmac_f32 v79, v65, v44 :: v_dual_fmac_f32 v82, v71, v50
	v_dual_fmac_f32 v83, v73, v52 :: v_dual_fmac_f32 v80, v67, v46
	s_delay_alu instid0(VALU_DEP_3) | instskip(NEXT) | instid1(VALU_DEP_1)
	v_dual_add_f32 v34, v34, v36 :: v_dual_add_f32 v1, 0, v1
	v_dual_mul_f32 v36, v67, v47 :: v_dual_add_f32 v1, v1, v2
	v_mul_f32_e32 v2, v63, v43
	s_delay_alu instid0(VALU_DEP_2) | instskip(SKIP_1) | instid1(VALU_DEP_4)
	v_fma_f32 v36, v66, v46, -v36
	v_mul_f32_e32 v35, v65, v45
	v_add_f32_e32 v1, v1, v76
	s_delay_alu instid0(VALU_DEP_4) | instskip(NEXT) | instid1(VALU_DEP_3)
	v_fma_f32 v2, v62, v42, -v2
	v_fma_f32 v35, v64, v44, -v35
	s_delay_alu instid0(VALU_DEP_2) | instskip(SKIP_1) | instid1(VALU_DEP_2)
	v_dual_add_f32 v2, v34, v2 :: v_dual_add_f32 v1, v1, v77
	v_mul_f32_e32 v34, v69, v49
	v_add_f32_e32 v2, v2, v35
	v_mul_f32_e32 v35, v71, v51
	s_delay_alu instid0(VALU_DEP_3) | instskip(NEXT) | instid1(VALU_DEP_3)
	v_fma_f32 v34, v68, v48, -v34
	v_add_f32_e32 v2, v2, v36
	v_fmac_f32_e32 v81, v69, v48
	v_mul_f32_e32 v36, v73, v53
	v_fma_f32 v35, v70, v50, -v35
	s_delay_alu instid0(VALU_DEP_4) | instskip(SKIP_1) | instid1(VALU_DEP_4)
	v_add_f32_e32 v2, v2, v34
	v_add_f32_e32 v1, v1, v78
	v_fma_f32 v34, v72, v52, -v36
	s_delay_alu instid0(VALU_DEP_3) | instskip(NEXT) | instid1(VALU_DEP_1)
	v_add_f32_e32 v2, v2, v35
	v_dual_add_f32 v1, v1, v79 :: v_dual_add_f32 v2, v2, v34
	s_delay_alu instid0(VALU_DEP_1) | instskip(NEXT) | instid1(VALU_DEP_1)
	v_add_f32_e32 v1, v1, v80
	v_add_f32_e32 v1, v1, v81
	s_delay_alu instid0(VALU_DEP_1) | instskip(SKIP_1) | instid1(VALU_DEP_1)
	v_add_f32_e32 v1, v1, v82
	s_wait_loadcnt 0x0
	v_dual_add_f32 v34, v1, v83 :: v_dual_sub_f32 v1, v74, v2
	s_delay_alu instid0(VALU_DEP_1)
	v_sub_f32_e32 v2, v75, v34
	scratch_store_b64 off, v[1:2], off offset:32
	v_cmpx_lt_u32_e32 3, v0
	s_cbranch_execz .LBB78_97
; %bb.96:
	scratch_load_b64 v[1:2], off, off offset:24
	v_mov_b32_e32 v34, 0
	s_delay_alu instid0(VALU_DEP_1)
	v_mov_b32_e32 v35, v34
	scratch_store_b64 off, v[34:35], off offset:24
	s_wait_loadcnt 0x0
	ds_store_b64 v3, v[1:2]
.LBB78_97:
	s_wait_alu 0xfffe
	s_or_b32 exec_lo, exec_lo, s0
	s_wait_storecnt_dscnt 0x0
	s_barrier_signal -1
	s_barrier_wait -1
	global_inv scope:SCOPE_SE
	s_clause 0x6
	scratch_load_b128 v[34:37], off, off offset:32
	scratch_load_b128 v[38:41], off, off offset:48
	;; [unrolled: 1-line block ×5, first 2 shown]
	scratch_load_b64 v[74:75], off, off offset:112
	scratch_load_b64 v[76:77], off, off offset:24
	v_mov_b32_e32 v1, 0
	ds_load_b128 v[54:57], v1 offset:160
	ds_load_b128 v[58:61], v1 offset:176
	;; [unrolled: 1-line block ×5, first 2 shown]
	ds_load_b64 v[78:79], v1 offset:240
	s_mov_b32 s0, exec_lo
	s_wait_loadcnt_dscnt 0x605
	v_mul_f32_e32 v2, v54, v35
	v_dual_mul_f32 v35, v55, v35 :: v_dual_mul_f32 v80, v56, v37
	s_wait_loadcnt_dscnt 0x302
	v_dual_mul_f32 v81, v58, v39 :: v_dual_mul_f32 v86, v68, v49
	s_wait_loadcnt_dscnt 0x100
	v_dual_mul_f32 v89, v78, v75 :: v_dual_fmac_f32 v2, v55, v34
	v_mul_f32_e32 v37, v57, v37
	v_fma_f32 v35, v54, v34, -v35
	v_mul_f32_e32 v34, v59, v39
	v_fmac_f32_e32 v80, v57, v36
	v_add_f32_e32 v2, 0, v2
	v_fma_f32 v36, v56, v36, -v37
	v_add_f32_e32 v35, 0, v35
	v_mul_f32_e32 v37, v61, v41
	s_delay_alu instid0(VALU_DEP_4) | instskip(SKIP_1) | instid1(VALU_DEP_4)
	v_dual_fmac_f32 v81, v59, v38 :: v_dual_add_f32 v2, v2, v80
	v_fma_f32 v34, v58, v38, -v34
	v_dual_add_f32 v35, v35, v36 :: v_dual_mul_f32 v82, v60, v41
	v_mul_f32_e32 v83, v62, v43
	v_mul_f32_e32 v36, v63, v43
	v_fma_f32 v37, v60, v40, -v37
	v_add_f32_e32 v2, v2, v81
	v_add_f32_e32 v34, v35, v34
	v_dual_fmac_f32 v82, v61, v40 :: v_dual_fmac_f32 v83, v63, v42
	v_mul_f32_e32 v35, v65, v45
	v_fma_f32 v36, v62, v42, -v36
	s_delay_alu instid0(VALU_DEP_4) | instskip(SKIP_4) | instid1(VALU_DEP_3)
	v_dual_add_f32 v34, v34, v37 :: v_dual_mul_f32 v37, v67, v47
	v_dual_mul_f32 v84, v64, v45 :: v_dual_mul_f32 v85, v66, v47
	v_dual_mul_f32 v87, v70, v51 :: v_dual_mul_f32 v88, v72, v53
	v_add_f32_e32 v2, v2, v82
	v_fma_f32 v35, v64, v44, -v35
	v_dual_add_f32 v34, v34, v36 :: v_dual_fmac_f32 v87, v71, v50
	v_dual_fmac_f32 v84, v65, v44 :: v_dual_fmac_f32 v85, v67, v46
	v_mul_f32_e32 v36, v69, v49
	s_delay_alu instid0(VALU_DEP_3)
	v_add_f32_e32 v34, v34, v35
	v_mul_f32_e32 v35, v71, v51
	v_dual_add_f32 v2, v2, v83 :: v_dual_fmac_f32 v89, v79, v74
	v_fma_f32 v37, v66, v46, -v37
	v_fmac_f32_e32 v86, v69, v48
	v_fma_f32 v36, v68, v48, -v36
	s_delay_alu instid0(VALU_DEP_4)
	v_add_f32_e32 v2, v2, v84
	v_fma_f32 v35, v70, v50, -v35
	v_add_f32_e32 v34, v34, v37
	v_mul_f32_e32 v37, v73, v53
	v_fmac_f32_e32 v88, v73, v52
	v_add_f32_e32 v2, v2, v85
	s_delay_alu instid0(VALU_DEP_4) | instskip(SKIP_2) | instid1(VALU_DEP_4)
	v_add_f32_e32 v34, v34, v36
	v_mul_f32_e32 v36, v79, v75
	v_fma_f32 v37, v72, v52, -v37
	v_add_f32_e32 v2, v2, v86
	s_delay_alu instid0(VALU_DEP_4) | instskip(NEXT) | instid1(VALU_DEP_4)
	v_add_f32_e32 v34, v34, v35
	v_fma_f32 v35, v78, v74, -v36
	s_delay_alu instid0(VALU_DEP_3) | instskip(NEXT) | instid1(VALU_DEP_3)
	v_add_f32_e32 v2, v2, v87
	v_add_f32_e32 v34, v34, v37
	s_delay_alu instid0(VALU_DEP_2) | instskip(NEXT) | instid1(VALU_DEP_2)
	v_add_f32_e32 v2, v2, v88
	v_add_f32_e32 v34, v34, v35
	s_delay_alu instid0(VALU_DEP_2) | instskip(SKIP_1) | instid1(VALU_DEP_2)
	v_add_f32_e32 v2, v2, v89
	s_wait_loadcnt 0x0
	v_sub_f32_e32 v34, v76, v34
	s_delay_alu instid0(VALU_DEP_2)
	v_sub_f32_e32 v35, v77, v2
	scratch_store_b64 off, v[34:35], off offset:24
	v_cmpx_lt_u32_e32 2, v0
	s_cbranch_execz .LBB78_99
; %bb.98:
	scratch_load_b64 v[34:35], off, off offset:16
	v_mov_b32_e32 v2, v1
	scratch_store_b64 off, v[1:2], off offset:16
	s_wait_loadcnt 0x0
	ds_store_b64 v3, v[34:35]
.LBB78_99:
	s_wait_alu 0xfffe
	s_or_b32 exec_lo, exec_lo, s0
	s_wait_storecnt_dscnt 0x0
	s_barrier_signal -1
	s_barrier_wait -1
	global_inv scope:SCOPE_SE
	s_clause 0x6
	scratch_load_b128 v[34:37], off, off offset:24
	scratch_load_b128 v[38:41], off, off offset:40
	;; [unrolled: 1-line block ×6, first 2 shown]
	scratch_load_b64 v[82:83], off, off offset:16
	ds_load_2addr_b64 v[58:61], v1 offset0:19 offset1:20
	ds_load_2addr_b64 v[62:65], v1 offset0:21 offset1:22
	;; [unrolled: 1-line block ×6, first 2 shown]
	s_mov_b32 s0, exec_lo
	s_wait_loadcnt_dscnt 0x605
	v_dual_mul_f32 v1, v58, v35 :: v_dual_mul_f32 v2, v60, v37
	v_mul_f32_e32 v35, v59, v35
	s_wait_loadcnt_dscnt 0x504
	v_dual_mul_f32 v37, v61, v37 :: v_dual_mul_f32 v84, v62, v39
	s_delay_alu instid0(VALU_DEP_3) | instskip(NEXT) | instid1(VALU_DEP_3)
	v_dual_mul_f32 v85, v64, v41 :: v_dual_fmac_f32 v2, v61, v36
	v_fma_f32 v35, v58, v34, -v35
	v_fmac_f32_e32 v1, v59, v34
	v_mul_f32_e32 v34, v63, v39
	v_fma_f32 v36, v60, v36, -v37
	s_delay_alu instid0(VALU_DEP_4)
	v_dual_fmac_f32 v84, v63, v38 :: v_dual_add_f32 v35, 0, v35
	s_wait_loadcnt_dscnt 0x403
	v_dual_mul_f32 v86, v66, v43 :: v_dual_mul_f32 v87, v68, v45
	v_fma_f32 v34, v62, v38, -v34
	s_wait_loadcnt_dscnt 0x302
	v_dual_mul_f32 v88, v70, v47 :: v_dual_mul_f32 v89, v72, v49
	v_add_f32_e32 v35, v35, v36
	v_mul_f32_e32 v37, v65, v41
	v_dual_fmac_f32 v85, v65, v40 :: v_dual_fmac_f32 v86, v67, v42
	s_wait_loadcnt_dscnt 0x201
	v_dual_mul_f32 v90, v74, v51 :: v_dual_mul_f32 v91, v76, v53
	v_add_f32_e32 v34, v35, v34
	v_fma_f32 v36, v64, v40, -v37
	s_delay_alu instid0(VALU_DEP_3) | instskip(SKIP_2) | instid1(VALU_DEP_3)
	v_dual_fmac_f32 v87, v69, v44 :: v_dual_fmac_f32 v90, v75, v50
	s_wait_loadcnt_dscnt 0x100
	v_dual_mul_f32 v92, v78, v55 :: v_dual_mul_f32 v93, v80, v57
	v_dual_add_f32 v34, v34, v36 :: v_dual_add_f32 v1, 0, v1
	v_mul_f32_e32 v36, v71, v47
	s_delay_alu instid0(VALU_DEP_3) | instskip(NEXT) | instid1(VALU_DEP_4)
	v_dual_fmac_f32 v88, v71, v46 :: v_dual_fmac_f32 v93, v81, v56
	v_fmac_f32_e32 v92, v79, v54
	s_delay_alu instid0(VALU_DEP_4) | instskip(NEXT) | instid1(VALU_DEP_4)
	v_dual_add_f32 v1, v1, v2 :: v_dual_mul_f32 v2, v67, v43
	v_fma_f32 v36, v70, v46, -v36
	v_mul_f32_e32 v35, v69, v45
	s_delay_alu instid0(VALU_DEP_3) | instskip(NEXT) | instid1(VALU_DEP_4)
	v_add_f32_e32 v1, v1, v84
	v_fma_f32 v2, v66, v42, -v2
	s_delay_alu instid0(VALU_DEP_3) | instskip(NEXT) | instid1(VALU_DEP_2)
	v_fma_f32 v35, v68, v44, -v35
	v_dual_add_f32 v2, v34, v2 :: v_dual_add_f32 v1, v1, v85
	v_mul_f32_e32 v34, v73, v49
	s_delay_alu instid0(VALU_DEP_2) | instskip(SKIP_1) | instid1(VALU_DEP_3)
	v_dual_add_f32 v2, v2, v35 :: v_dual_add_f32 v1, v1, v86
	v_mul_f32_e32 v35, v75, v51
	v_fma_f32 v34, v72, v48, -v34
	s_delay_alu instid0(VALU_DEP_3) | instskip(SKIP_3) | instid1(VALU_DEP_4)
	v_add_f32_e32 v2, v2, v36
	v_fmac_f32_e32 v89, v73, v48
	v_mul_f32_e32 v36, v77, v53
	v_fma_f32 v35, v74, v50, -v35
	v_add_f32_e32 v2, v2, v34
	v_mul_f32_e32 v34, v79, v55
	v_add_f32_e32 v1, v1, v87
	v_fma_f32 v36, v76, v52, -v36
	s_delay_alu instid0(VALU_DEP_4) | instskip(NEXT) | instid1(VALU_DEP_3)
	v_dual_add_f32 v2, v2, v35 :: v_dual_mul_f32 v35, v81, v57
	v_add_f32_e32 v1, v1, v88
	v_fma_f32 v34, v78, v54, -v34
	s_delay_alu instid0(VALU_DEP_3) | instskip(SKIP_1) | instid1(VALU_DEP_4)
	v_add_f32_e32 v2, v2, v36
	v_fmac_f32_e32 v91, v77, v52
	v_add_f32_e32 v1, v1, v89
	v_fma_f32 v35, v80, v56, -v35
	s_delay_alu instid0(VALU_DEP_4) | instskip(NEXT) | instid1(VALU_DEP_1)
	v_add_f32_e32 v2, v2, v34
	v_dual_add_f32 v1, v1, v90 :: v_dual_add_f32 v2, v2, v35
	s_delay_alu instid0(VALU_DEP_1) | instskip(NEXT) | instid1(VALU_DEP_1)
	v_add_f32_e32 v1, v1, v91
	v_add_f32_e32 v1, v1, v92
	s_wait_loadcnt 0x0
	s_delay_alu instid0(VALU_DEP_1) | instskip(NEXT) | instid1(VALU_DEP_1)
	v_dual_add_f32 v34, v1, v93 :: v_dual_sub_f32 v1, v82, v2
	v_sub_f32_e32 v2, v83, v34
	scratch_store_b64 off, v[1:2], off offset:16
	v_cmpx_lt_u32_e32 1, v0
	s_cbranch_execz .LBB78_101
; %bb.100:
	scratch_load_b64 v[1:2], off, off offset:8
	v_mov_b32_e32 v34, 0
	s_delay_alu instid0(VALU_DEP_1)
	v_mov_b32_e32 v35, v34
	scratch_store_b64 off, v[34:35], off offset:8
	s_wait_loadcnt 0x0
	ds_store_b64 v3, v[1:2]
.LBB78_101:
	s_wait_alu 0xfffe
	s_or_b32 exec_lo, exec_lo, s0
	s_wait_storecnt_dscnt 0x0
	s_barrier_signal -1
	s_barrier_wait -1
	global_inv scope:SCOPE_SE
	s_clause 0x7
	scratch_load_b128 v[35:38], off, off offset:16
	scratch_load_b128 v[39:42], off, off offset:32
	;; [unrolled: 1-line block ×6, first 2 shown]
	scratch_load_b64 v[1:2], off, off offset:112
	scratch_load_b64 v[83:84], off, off offset:8
	v_mov_b32_e32 v34, 0
	ds_load_b128 v[59:62], v34 offset:144
	ds_load_b128 v[63:66], v34 offset:160
	;; [unrolled: 1-line block ×6, first 2 shown]
	ds_load_b64 v[85:86], v34 offset:240
	s_mov_b32 s0, exec_lo
	s_wait_loadcnt_dscnt 0x706
	v_mul_f32_e32 v87, v59, v36
	v_mul_f32_e32 v36, v60, v36
	s_wait_loadcnt_dscnt 0x605
	v_dual_mul_f32 v88, v61, v38 :: v_dual_mul_f32 v89, v63, v40
	v_mul_f32_e32 v38, v62, v38
	s_wait_loadcnt_dscnt 0x201
	v_dual_mul_f32 v98, v81, v58 :: v_dual_fmac_f32 v87, v60, v35
	s_wait_loadcnt_dscnt 0x100
	v_mul_f32_e32 v99, v85, v2
	v_fma_f32 v36, v59, v35, -v36
	v_dual_mul_f32 v35, v64, v40 :: v_dual_fmac_f32 v88, v62, v37
	v_fmac_f32_e32 v89, v64, v39
	v_fma_f32 v37, v61, v37, -v38
	s_delay_alu instid0(VALU_DEP_4) | instskip(SKIP_3) | instid1(VALU_DEP_4)
	v_add_f32_e32 v36, 0, v36
	v_add_f32_e32 v38, 0, v87
	v_fma_f32 v35, v63, v39, -v35
	v_dual_mul_f32 v90, v65, v42 :: v_dual_mul_f32 v91, v67, v44
	v_add_f32_e32 v36, v36, v37
	v_mul_f32_e32 v40, v66, v42
	v_dual_mul_f32 v92, v69, v46 :: v_dual_mul_f32 v93, v71, v48
	s_delay_alu instid0(VALU_DEP_4) | instskip(NEXT) | instid1(VALU_DEP_4)
	v_dual_fmac_f32 v90, v66, v41 :: v_dual_fmac_f32 v91, v68, v43
	v_add_f32_e32 v35, v36, v35
	s_delay_alu instid0(VALU_DEP_4) | instskip(SKIP_2) | instid1(VALU_DEP_3)
	v_fma_f32 v39, v65, v41, -v40
	v_dual_mul_f32 v94, v73, v50 :: v_dual_mul_f32 v95, v75, v52
	v_dual_fmac_f32 v92, v70, v45 :: v_dual_fmac_f32 v93, v72, v47
	v_add_f32_e32 v35, v35, v39
	v_mul_f32_e32 v39, v72, v48
	v_dual_add_f32 v37, v38, v88 :: v_dual_mul_f32 v96, v77, v54
	v_mul_f32_e32 v97, v79, v56
	v_fmac_f32_e32 v95, v76, v51
	s_delay_alu instid0(VALU_DEP_4) | instskip(NEXT) | instid1(VALU_DEP_4)
	v_fma_f32 v39, v71, v47, -v39
	v_dual_add_f32 v36, v37, v89 :: v_dual_mul_f32 v37, v70, v46
	s_delay_alu instid0(VALU_DEP_4) | instskip(SKIP_2) | instid1(VALU_DEP_4)
	v_dual_fmac_f32 v96, v78, v53 :: v_dual_fmac_f32 v97, v80, v55
	v_mul_f32_e32 v2, v86, v2
	v_fmac_f32_e32 v98, v82, v57
	v_fma_f32 v37, v69, v45, -v37
	v_dual_mul_f32 v38, v68, v44 :: v_dual_fmac_f32 v99, v86, v1
	s_delay_alu instid0(VALU_DEP_4) | instskip(NEXT) | instid1(VALU_DEP_2)
	v_fma_f32 v1, v85, v1, -v2
	v_fma_f32 v38, v67, v43, -v38
	s_delay_alu instid0(VALU_DEP_1) | instskip(SKIP_1) | instid1(VALU_DEP_2)
	v_add_f32_e32 v35, v35, v38
	v_add_f32_e32 v36, v36, v90
	v_dual_mul_f32 v38, v74, v50 :: v_dual_add_f32 v35, v35, v37
	s_delay_alu instid0(VALU_DEP_2) | instskip(SKIP_1) | instid1(VALU_DEP_3)
	v_add_f32_e32 v36, v36, v91
	v_dual_mul_f32 v37, v76, v52 :: v_dual_fmac_f32 v94, v74, v49
	v_fma_f32 v38, v73, v49, -v38
	s_delay_alu instid0(VALU_DEP_4) | instskip(NEXT) | instid1(VALU_DEP_4)
	v_add_f32_e32 v35, v35, v39
	v_dual_mul_f32 v39, v78, v54 :: v_dual_add_f32 v36, v36, v92
	s_delay_alu instid0(VALU_DEP_4) | instskip(NEXT) | instid1(VALU_DEP_3)
	v_fma_f32 v37, v75, v51, -v37
	v_dual_add_f32 v35, v35, v38 :: v_dual_mul_f32 v38, v80, v56
	s_delay_alu instid0(VALU_DEP_3) | instskip(NEXT) | instid1(VALU_DEP_4)
	v_add_f32_e32 v36, v36, v93
	v_fma_f32 v39, v77, v53, -v39
	s_delay_alu instid0(VALU_DEP_3) | instskip(SKIP_1) | instid1(VALU_DEP_4)
	v_add_f32_e32 v35, v35, v37
	v_mul_f32_e32 v37, v82, v58
	v_add_f32_e32 v36, v36, v94
	v_fma_f32 v38, v79, v55, -v38
	s_delay_alu instid0(VALU_DEP_4) | instskip(NEXT) | instid1(VALU_DEP_4)
	v_add_f32_e32 v35, v35, v39
	v_fma_f32 v37, v81, v57, -v37
	s_delay_alu instid0(VALU_DEP_2) | instskip(NEXT) | instid1(VALU_DEP_1)
	v_dual_add_f32 v36, v36, v95 :: v_dual_add_f32 v35, v35, v38
	v_add_f32_e32 v36, v36, v96
	s_delay_alu instid0(VALU_DEP_1) | instskip(NEXT) | instid1(VALU_DEP_1)
	v_add_f32_e32 v36, v36, v97
	v_dual_add_f32 v2, v35, v37 :: v_dual_add_f32 v35, v36, v98
	s_delay_alu instid0(VALU_DEP_1) | instskip(SKIP_1) | instid1(VALU_DEP_1)
	v_dual_add_f32 v1, v2, v1 :: v_dual_add_f32 v2, v35, v99
	s_wait_loadcnt 0x0
	v_dual_sub_f32 v1, v83, v1 :: v_dual_sub_f32 v2, v84, v2
	scratch_store_b64 off, v[1:2], off offset:8
	v_cmpx_ne_u32_e32 0, v0
	s_cbranch_execz .LBB78_103
; %bb.102:
	scratch_load_b64 v[0:1], off, off
	v_mov_b32_e32 v35, v34
	scratch_store_b64 off, v[34:35], off
	s_wait_loadcnt 0x0
	ds_store_b64 v3, v[0:1]
.LBB78_103:
	s_wait_alu 0xfffe
	s_or_b32 exec_lo, exec_lo, s0
	s_wait_storecnt_dscnt 0x0
	s_barrier_signal -1
	s_barrier_wait -1
	global_inv scope:SCOPE_SE
	s_clause 0x7
	scratch_load_b128 v[35:38], off, off offset:8
	scratch_load_b128 v[39:42], off, off offset:24
	;; [unrolled: 1-line block ×7, first 2 shown]
	scratch_load_b64 v[87:88], off, off
	ds_load_2addr_b64 v[59:62], v34 offset0:17 offset1:18
	ds_load_2addr_b64 v[63:66], v34 offset0:19 offset1:20
	;; [unrolled: 1-line block ×7, first 2 shown]
	s_and_b32 vcc_lo, exec_lo, s12
	s_wait_loadcnt_dscnt 0x706
	v_dual_mul_f32 v34, v59, v36 :: v_dual_mul_f32 v89, v61, v38
	v_mul_f32_e32 v36, v60, v36
	v_mul_f32_e32 v38, v62, v38
	s_wait_loadcnt_dscnt 0x605
	v_dual_mul_f32 v90, v63, v40 :: v_dual_mul_f32 v91, v65, v42
	s_wait_loadcnt_dscnt 0x100
	v_mul_f32_e32 v101, v85, v3
	v_fma_f32 v36, v59, v35, -v36
	v_dual_fmac_f32 v34, v60, v35 :: v_dual_fmac_f32 v89, v62, v37
	v_fma_f32 v37, v61, v37, -v38
	v_dual_mul_f32 v100, v83, v1 :: v_dual_mul_f32 v35, v64, v40
	s_delay_alu instid0(VALU_DEP_4) | instskip(SKIP_1) | instid1(VALU_DEP_3)
	v_dual_add_f32 v36, 0, v36 :: v_dual_fmac_f32 v91, v66, v41
	v_dual_mul_f32 v94, v71, v48 :: v_dual_mul_f32 v95, v73, v50
	v_fma_f32 v35, v63, v39, -v35
	s_delay_alu instid0(VALU_DEP_3) | instskip(SKIP_2) | instid1(VALU_DEP_3)
	v_add_f32_e32 v36, v36, v37
	v_dual_mul_f32 v37, v68, v44 :: v_dual_add_f32 v34, 0, v34
	v_dual_mul_f32 v96, v75, v52 :: v_dual_mul_f32 v97, v77, v54
	v_add_f32_e32 v35, v36, v35
	s_delay_alu instid0(VALU_DEP_3) | instskip(SKIP_4) | instid1(VALU_DEP_4)
	v_fma_f32 v37, v67, v43, -v37
	v_mul_f32_e32 v38, v66, v42
	v_mul_f32_e32 v36, v70, v46
	v_dual_fmac_f32 v95, v74, v49 :: v_dual_mul_f32 v92, v67, v44
	v_mul_f32_e32 v93, v69, v46
	v_fma_f32 v38, v65, v41, -v38
	v_fmac_f32_e32 v90, v64, v39
	v_fma_f32 v36, v69, v45, -v36
	s_delay_alu instid0(VALU_DEP_4) | instskip(NEXT) | instid1(VALU_DEP_4)
	v_dual_fmac_f32 v92, v68, v43 :: v_dual_fmac_f32 v93, v70, v45
	v_dual_add_f32 v35, v35, v38 :: v_dual_mul_f32 v38, v72, v48
	v_dual_fmac_f32 v97, v78, v53 :: v_dual_mul_f32 v98, v79, v56
	v_mul_f32_e32 v99, v81, v58
	s_delay_alu instid0(VALU_DEP_3)
	v_add_f32_e32 v35, v35, v37
	v_add_f32_e32 v34, v34, v89
	v_mul_f32_e32 v37, v74, v50
	v_fma_f32 v38, v71, v47, -v38
	v_dual_fmac_f32 v96, v76, v51 :: v_dual_fmac_f32 v99, v82, v57
	v_dual_add_f32 v35, v35, v36 :: v_dual_fmac_f32 v94, v72, v47
	s_delay_alu instid0(VALU_DEP_4) | instskip(SKIP_2) | instid1(VALU_DEP_4)
	v_fma_f32 v37, v73, v49, -v37
	v_mul_f32_e32 v36, v76, v52
	v_dual_fmac_f32 v98, v80, v55 :: v_dual_fmac_f32 v101, v86, v2
	v_add_f32_e32 v35, v35, v38
	v_add_f32_e32 v34, v34, v90
	s_delay_alu instid0(VALU_DEP_4) | instskip(SKIP_1) | instid1(VALU_DEP_4)
	v_fma_f32 v36, v75, v51, -v36
	v_dual_fmac_f32 v100, v84, v0 :: v_dual_mul_f32 v3, v86, v3
	v_add_f32_e32 v35, v35, v37
	s_delay_alu instid0(VALU_DEP_4) | instskip(NEXT) | instid1(VALU_DEP_3)
	v_dual_mul_f32 v37, v80, v56 :: v_dual_add_f32 v34, v34, v91
	v_fma_f32 v2, v85, v2, -v3
	s_delay_alu instid0(VALU_DEP_3) | instskip(NEXT) | instid1(VALU_DEP_3)
	v_add_f32_e32 v35, v35, v36
	v_fma_f32 v37, v79, v55, -v37
	v_mul_f32_e32 v38, v78, v54
	v_mul_f32_e32 v36, v82, v58
	s_delay_alu instid0(VALU_DEP_2) | instskip(SKIP_1) | instid1(VALU_DEP_3)
	v_fma_f32 v38, v77, v53, -v38
	v_add_f32_e32 v34, v34, v92
	v_fma_f32 v36, v81, v57, -v36
	s_delay_alu instid0(VALU_DEP_3) | instskip(NEXT) | instid1(VALU_DEP_1)
	v_dual_add_f32 v35, v35, v38 :: v_dual_mul_f32 v38, v84, v1
	v_add_f32_e32 v35, v35, v37
	s_delay_alu instid0(VALU_DEP_4) | instskip(NEXT) | instid1(VALU_DEP_3)
	v_add_f32_e32 v34, v34, v93
	v_fma_f32 v37, v83, v0, -v38
	s_delay_alu instid0(VALU_DEP_2) | instskip(NEXT) | instid1(VALU_DEP_1)
	v_dual_add_f32 v35, v35, v36 :: v_dual_add_f32 v34, v34, v94
	v_dual_add_f32 v3, v35, v37 :: v_dual_add_f32 v34, v34, v95
	s_delay_alu instid0(VALU_DEP_1) | instskip(NEXT) | instid1(VALU_DEP_2)
	v_add_f32_e32 v2, v3, v2
	v_add_f32_e32 v34, v34, v96
	s_wait_loadcnt 0x0
	s_delay_alu instid0(VALU_DEP_2) | instskip(NEXT) | instid1(VALU_DEP_2)
	v_sub_f32_e32 v2, v87, v2
	v_add_f32_e32 v34, v34, v97
	s_delay_alu instid0(VALU_DEP_1) | instskip(NEXT) | instid1(VALU_DEP_1)
	v_add_f32_e32 v34, v34, v98
	v_add_f32_e32 v34, v34, v99
	s_delay_alu instid0(VALU_DEP_1) | instskip(NEXT) | instid1(VALU_DEP_1)
	v_add_f32_e32 v34, v34, v100
	v_add_f32_e32 v3, v34, v101
	s_delay_alu instid0(VALU_DEP_1)
	v_sub_f32_e32 v3, v88, v3
	scratch_store_b64 off, v[2:3], off
	s_wait_alu 0xfffe
	s_cbranch_vccz .LBB78_132
; %bb.104:
	v_mov_b32_e32 v2, 0
	global_load_b32 v3, v2, s[2:3] offset:52
	s_wait_loadcnt 0x0
	v_cmp_ne_u32_e32 vcc_lo, 14, v3
	s_cbranch_vccz .LBB78_106
; %bb.105:
	v_lshlrev_b32_e32 v3, 3, v3
	scratch_load_b64 v[34:35], v3, off offset:-8
	s_wait_loadcnt 0x0
	scratch_store_b64 off, v[34:35], off offset:104
	scratch_store_b64 v3, v[0:1], off offset:-8
.LBB78_106:
	global_load_b32 v0, v2, s[2:3] offset:48
	s_wait_loadcnt 0x0
	v_cmp_eq_u32_e32 vcc_lo, 13, v0
	s_cbranch_vccnz .LBB78_108
; %bb.107:
	v_lshlrev_b32_e32 v0, 3, v0
	s_delay_alu instid0(VALU_DEP_1)
	v_mov_b32_e32 v34, v0
	scratch_load_b64 v[0:1], v34, off offset:-8
	scratch_load_b64 v[2:3], off, off offset:96
	s_wait_loadcnt 0x1
	scratch_store_b64 off, v[0:1], off offset:96
	s_wait_loadcnt 0x0
	scratch_store_b64 v34, v[2:3], off offset:-8
.LBB78_108:
	v_mov_b32_e32 v0, 0
	global_load_b32 v1, v0, s[2:3] offset:44
	s_wait_loadcnt 0x0
	v_cmp_eq_u32_e32 vcc_lo, 12, v1
	s_cbranch_vccnz .LBB78_110
; %bb.109:
	v_lshlrev_b32_e32 v1, 3, v1
	s_delay_alu instid0(VALU_DEP_1)
	v_mov_b32_e32 v3, v1
	scratch_load_b64 v[1:2], v3, off offset:-8
	scratch_load_b64 v[34:35], off, off offset:88
	s_wait_loadcnt 0x1
	scratch_store_b64 off, v[1:2], off offset:88
	s_wait_loadcnt 0x0
	scratch_store_b64 v3, v[34:35], off offset:-8
.LBB78_110:
	global_load_b32 v0, v0, s[2:3] offset:40
	s_wait_loadcnt 0x0
	v_cmp_eq_u32_e32 vcc_lo, 11, v0
	s_cbranch_vccnz .LBB78_112
; %bb.111:
	v_lshlrev_b32_e32 v0, 3, v0
	s_delay_alu instid0(VALU_DEP_1)
	v_mov_b32_e32 v34, v0
	scratch_load_b64 v[0:1], v34, off offset:-8
	scratch_load_b64 v[2:3], off, off offset:80
	s_wait_loadcnt 0x1
	scratch_store_b64 off, v[0:1], off offset:80
	s_wait_loadcnt 0x0
	scratch_store_b64 v34, v[2:3], off offset:-8
.LBB78_112:
	v_mov_b32_e32 v0, 0
	global_load_b32 v1, v0, s[2:3] offset:36
	s_wait_loadcnt 0x0
	v_cmp_eq_u32_e32 vcc_lo, 10, v1
	s_cbranch_vccnz .LBB78_114
; %bb.113:
	v_lshlrev_b32_e32 v1, 3, v1
	s_delay_alu instid0(VALU_DEP_1)
	v_mov_b32_e32 v3, v1
	scratch_load_b64 v[1:2], v3, off offset:-8
	scratch_load_b64 v[34:35], off, off offset:72
	s_wait_loadcnt 0x1
	scratch_store_b64 off, v[1:2], off offset:72
	s_wait_loadcnt 0x0
	scratch_store_b64 v3, v[34:35], off offset:-8
.LBB78_114:
	;; [unrolled: 31-line block ×6, first 2 shown]
	global_load_b32 v0, v0, s[2:3]
	s_wait_loadcnt 0x0
	v_cmp_eq_u32_e32 vcc_lo, 1, v0
	s_cbranch_vccnz .LBB78_132
; %bb.131:
	v_lshlrev_b32_e32 v0, 3, v0
	s_delay_alu instid0(VALU_DEP_1)
	v_mov_b32_e32 v34, v0
	scratch_load_b64 v[0:1], v34, off offset:-8
	scratch_load_b64 v[2:3], off, off
	s_wait_loadcnt 0x1
	scratch_store_b64 off, v[0:1], off
	s_wait_loadcnt 0x0
	scratch_store_b64 v34, v[2:3], off offset:-8
.LBB78_132:
	scratch_load_b64 v[0:1], off, off
	s_wait_loadcnt 0x0
	flat_store_b64 v[4:5], v[0:1]
	scratch_load_b64 v[0:1], off, off offset:8
	s_wait_loadcnt 0x0
	flat_store_b64 v[6:7], v[0:1]
	scratch_load_b64 v[0:1], off, off offset:16
	;; [unrolled: 3-line block ×14, first 2 shown]
	s_wait_loadcnt 0x0
	flat_store_b64 v[32:33], v[0:1]
	s_nop 0
	s_sendmsg sendmsg(MSG_DEALLOC_VGPRS)
	s_endpgm
	.section	.rodata,"a",@progbits
	.p2align	6, 0x0
	.amdhsa_kernel _ZN9rocsolver6v33100L18getri_kernel_smallILi15E19rocblas_complex_numIfEPKPS3_EEvT1_iilPiilS8_bb
		.amdhsa_group_segment_fixed_size 248
		.amdhsa_private_segment_fixed_size 128
		.amdhsa_kernarg_size 60
		.amdhsa_user_sgpr_count 2
		.amdhsa_user_sgpr_dispatch_ptr 0
		.amdhsa_user_sgpr_queue_ptr 0
		.amdhsa_user_sgpr_kernarg_segment_ptr 1
		.amdhsa_user_sgpr_dispatch_id 0
		.amdhsa_user_sgpr_private_segment_size 0
		.amdhsa_wavefront_size32 1
		.amdhsa_uses_dynamic_stack 0
		.amdhsa_enable_private_segment 1
		.amdhsa_system_sgpr_workgroup_id_x 1
		.amdhsa_system_sgpr_workgroup_id_y 0
		.amdhsa_system_sgpr_workgroup_id_z 0
		.amdhsa_system_sgpr_workgroup_info 0
		.amdhsa_system_vgpr_workitem_id 0
		.amdhsa_next_free_vgpr 102
		.amdhsa_next_free_sgpr 19
		.amdhsa_reserve_vcc 1
		.amdhsa_float_round_mode_32 0
		.amdhsa_float_round_mode_16_64 0
		.amdhsa_float_denorm_mode_32 3
		.amdhsa_float_denorm_mode_16_64 3
		.amdhsa_fp16_overflow 0
		.amdhsa_workgroup_processor_mode 1
		.amdhsa_memory_ordered 1
		.amdhsa_forward_progress 1
		.amdhsa_inst_pref_size 112
		.amdhsa_round_robin_scheduling 0
		.amdhsa_exception_fp_ieee_invalid_op 0
		.amdhsa_exception_fp_denorm_src 0
		.amdhsa_exception_fp_ieee_div_zero 0
		.amdhsa_exception_fp_ieee_overflow 0
		.amdhsa_exception_fp_ieee_underflow 0
		.amdhsa_exception_fp_ieee_inexact 0
		.amdhsa_exception_int_div_zero 0
	.end_amdhsa_kernel
	.section	.text._ZN9rocsolver6v33100L18getri_kernel_smallILi15E19rocblas_complex_numIfEPKPS3_EEvT1_iilPiilS8_bb,"axG",@progbits,_ZN9rocsolver6v33100L18getri_kernel_smallILi15E19rocblas_complex_numIfEPKPS3_EEvT1_iilPiilS8_bb,comdat
.Lfunc_end78:
	.size	_ZN9rocsolver6v33100L18getri_kernel_smallILi15E19rocblas_complex_numIfEPKPS3_EEvT1_iilPiilS8_bb, .Lfunc_end78-_ZN9rocsolver6v33100L18getri_kernel_smallILi15E19rocblas_complex_numIfEPKPS3_EEvT1_iilPiilS8_bb
                                        ; -- End function
	.set _ZN9rocsolver6v33100L18getri_kernel_smallILi15E19rocblas_complex_numIfEPKPS3_EEvT1_iilPiilS8_bb.num_vgpr, 102
	.set _ZN9rocsolver6v33100L18getri_kernel_smallILi15E19rocblas_complex_numIfEPKPS3_EEvT1_iilPiilS8_bb.num_agpr, 0
	.set _ZN9rocsolver6v33100L18getri_kernel_smallILi15E19rocblas_complex_numIfEPKPS3_EEvT1_iilPiilS8_bb.numbered_sgpr, 19
	.set _ZN9rocsolver6v33100L18getri_kernel_smallILi15E19rocblas_complex_numIfEPKPS3_EEvT1_iilPiilS8_bb.num_named_barrier, 0
	.set _ZN9rocsolver6v33100L18getri_kernel_smallILi15E19rocblas_complex_numIfEPKPS3_EEvT1_iilPiilS8_bb.private_seg_size, 128
	.set _ZN9rocsolver6v33100L18getri_kernel_smallILi15E19rocblas_complex_numIfEPKPS3_EEvT1_iilPiilS8_bb.uses_vcc, 1
	.set _ZN9rocsolver6v33100L18getri_kernel_smallILi15E19rocblas_complex_numIfEPKPS3_EEvT1_iilPiilS8_bb.uses_flat_scratch, 1
	.set _ZN9rocsolver6v33100L18getri_kernel_smallILi15E19rocblas_complex_numIfEPKPS3_EEvT1_iilPiilS8_bb.has_dyn_sized_stack, 0
	.set _ZN9rocsolver6v33100L18getri_kernel_smallILi15E19rocblas_complex_numIfEPKPS3_EEvT1_iilPiilS8_bb.has_recursion, 0
	.set _ZN9rocsolver6v33100L18getri_kernel_smallILi15E19rocblas_complex_numIfEPKPS3_EEvT1_iilPiilS8_bb.has_indirect_call, 0
	.section	.AMDGPU.csdata,"",@progbits
; Kernel info:
; codeLenInByte = 14244
; TotalNumSgprs: 21
; NumVgprs: 102
; ScratchSize: 128
; MemoryBound: 0
; FloatMode: 240
; IeeeMode: 1
; LDSByteSize: 248 bytes/workgroup (compile time only)
; SGPRBlocks: 0
; VGPRBlocks: 12
; NumSGPRsForWavesPerEU: 21
; NumVGPRsForWavesPerEU: 102
; Occupancy: 12
; WaveLimiterHint : 1
; COMPUTE_PGM_RSRC2:SCRATCH_EN: 1
; COMPUTE_PGM_RSRC2:USER_SGPR: 2
; COMPUTE_PGM_RSRC2:TRAP_HANDLER: 0
; COMPUTE_PGM_RSRC2:TGID_X_EN: 1
; COMPUTE_PGM_RSRC2:TGID_Y_EN: 0
; COMPUTE_PGM_RSRC2:TGID_Z_EN: 0
; COMPUTE_PGM_RSRC2:TIDIG_COMP_CNT: 0
	.section	.text._ZN9rocsolver6v33100L18getri_kernel_smallILi16E19rocblas_complex_numIfEPKPS3_EEvT1_iilPiilS8_bb,"axG",@progbits,_ZN9rocsolver6v33100L18getri_kernel_smallILi16E19rocblas_complex_numIfEPKPS3_EEvT1_iilPiilS8_bb,comdat
	.globl	_ZN9rocsolver6v33100L18getri_kernel_smallILi16E19rocblas_complex_numIfEPKPS3_EEvT1_iilPiilS8_bb ; -- Begin function _ZN9rocsolver6v33100L18getri_kernel_smallILi16E19rocblas_complex_numIfEPKPS3_EEvT1_iilPiilS8_bb
	.p2align	8
	.type	_ZN9rocsolver6v33100L18getri_kernel_smallILi16E19rocblas_complex_numIfEPKPS3_EEvT1_iilPiilS8_bb,@function
_ZN9rocsolver6v33100L18getri_kernel_smallILi16E19rocblas_complex_numIfEPKPS3_EEvT1_iilPiilS8_bb: ; @_ZN9rocsolver6v33100L18getri_kernel_smallILi16E19rocblas_complex_numIfEPKPS3_EEvT1_iilPiilS8_bb
; %bb.0:
	s_mov_b32 s2, exec_lo
	v_cmpx_gt_u32_e32 16, v0
	s_cbranch_execz .LBB79_78
; %bb.1:
	s_clause 0x1
	s_load_b32 s13, s[0:1], 0x38
	s_load_b64 s[2:3], s[0:1], 0x0
	s_mov_b32 s8, ttmp9
	s_load_b128 s[4:7], s[0:1], 0x28
	s_wait_kmcnt 0x0
	s_bitcmp1_b32 s13, 8
	s_cselect_b32 s12, -1, 0
	s_ashr_i32 s9, ttmp9, 31
	s_delay_alu instid0(SALU_CYCLE_1) | instskip(NEXT) | instid1(SALU_CYCLE_1)
	s_lshl_b64 s[10:11], s[8:9], 3
	s_add_nc_u64 s[2:3], s[2:3], s[10:11]
	s_load_b64 s[10:11], s[2:3], 0x0
	s_bfe_u32 s2, s13, 0x10008
	s_delay_alu instid0(SALU_CYCLE_1)
	s_cmp_eq_u32 s2, 0
                                        ; implicit-def: $sgpr2_sgpr3
	s_cbranch_scc1 .LBB79_3
; %bb.2:
	s_load_b96 s[16:18], s[0:1], 0x18
	s_mul_u64 s[2:3], s[4:5], s[8:9]
	s_delay_alu instid0(SALU_CYCLE_1)
	s_lshl_b64 s[2:3], s[2:3], 2
	s_wait_kmcnt 0x0
	s_ashr_i32 s5, s18, 31
	s_mov_b32 s4, s18
	s_add_nc_u64 s[2:3], s[16:17], s[2:3]
	s_lshl_b64 s[4:5], s[4:5], 2
	s_delay_alu instid0(SALU_CYCLE_1)
	s_add_nc_u64 s[2:3], s[2:3], s[4:5]
.LBB79_3:
	s_clause 0x1
	s_load_b64 s[4:5], s[0:1], 0x8
	s_load_b32 s13, s[0:1], 0x38
	v_lshlrev_b32_e32 v3, 3, v0
	s_wait_kmcnt 0x0
	s_ashr_i32 s1, s4, 31
	s_mov_b32 s0, s4
	v_add3_u32 v10, s5, s5, v0
	s_lshl_b64 s[0:1], s[0:1], 3
	s_delay_alu instid0(SALU_CYCLE_1)
	s_add_nc_u64 s[0:1], s[10:11], s[0:1]
	s_ashr_i32 s11, s5, 31
	v_add_co_u32 v4, s4, s0, v3
	s_wait_alu 0xf1ff
	v_add_co_ci_u32_e64 v5, null, s1, 0, s4
	s_mov_b32 s10, s5
	v_ashrrev_i32_e32 v11, 31, v10
	s_lshl_b64 s[10:11], s[10:11], 3
	flat_load_b64 v[1:2], v[4:5]
	v_add_co_u32 v6, vcc_lo, v4, s10
	s_delay_alu instid0(VALU_DEP_1) | instskip(SKIP_3) | instid1(VALU_DEP_2)
	v_add_co_ci_u32_e64 v7, null, s11, v5, vcc_lo
	v_lshlrev_b64_e32 v[8:9], 3, v[10:11]
	v_add_nc_u32_e32 v12, s5, v10
	s_bitcmp0_b32 s13, 0
	v_add_co_u32 v8, vcc_lo, s0, v8
	s_wait_alu 0xfffd
	s_delay_alu instid0(VALU_DEP_3) | instskip(SKIP_2) | instid1(VALU_DEP_2)
	v_add_co_ci_u32_e64 v9, null, s1, v9, vcc_lo
	v_ashrrev_i32_e32 v13, 31, v12
	v_add_nc_u32_e32 v14, s5, v12
	v_lshlrev_b64_e32 v[10:11], 3, v[12:13]
	s_delay_alu instid0(VALU_DEP_2) | instskip(SKIP_1) | instid1(VALU_DEP_3)
	v_ashrrev_i32_e32 v15, 31, v14
	v_add_nc_u32_e32 v16, s5, v14
	v_add_co_u32 v10, vcc_lo, s0, v10
	s_wait_alu 0xfffd
	s_delay_alu instid0(VALU_DEP_4) | instskip(SKIP_3) | instid1(VALU_DEP_3)
	v_add_co_ci_u32_e64 v11, null, s1, v11, vcc_lo
	v_lshlrev_b64_e32 v[12:13], 3, v[14:15]
	v_ashrrev_i32_e32 v17, 31, v16
	v_add_nc_u32_e32 v18, s5, v16
	v_add_co_u32 v12, vcc_lo, s0, v12
	s_wait_alu 0xfffd
	s_delay_alu instid0(VALU_DEP_4) | instskip(SKIP_3) | instid1(VALU_DEP_3)
	v_add_co_ci_u32_e64 v13, null, s1, v13, vcc_lo
	v_lshlrev_b64_e32 v[14:15], 3, v[16:17]
	v_ashrrev_i32_e32 v19, 31, v18
	v_add_nc_u32_e32 v20, s5, v18
	v_add_co_u32 v14, vcc_lo, s0, v14
	s_wait_alu 0xfffd
	s_delay_alu instid0(VALU_DEP_4) | instskip(SKIP_3) | instid1(VALU_DEP_3)
	v_add_co_ci_u32_e64 v15, null, s1, v15, vcc_lo
	v_lshlrev_b64_e32 v[16:17], 3, v[18:19]
	v_ashrrev_i32_e32 v21, 31, v20
	v_add_nc_u32_e32 v22, s5, v20
	v_add_co_u32 v16, vcc_lo, s0, v16
	s_wait_alu 0xfffd
	s_delay_alu instid0(VALU_DEP_4) | instskip(SKIP_3) | instid1(VALU_DEP_3)
	v_add_co_ci_u32_e64 v17, null, s1, v17, vcc_lo
	v_lshlrev_b64_e32 v[18:19], 3, v[20:21]
	v_ashrrev_i32_e32 v23, 31, v22
	v_add_nc_u32_e32 v24, s5, v22
	v_add_co_u32 v18, vcc_lo, s0, v18
	s_wait_alu 0xfffd
	s_delay_alu instid0(VALU_DEP_4) | instskip(SKIP_3) | instid1(VALU_DEP_3)
	v_add_co_ci_u32_e64 v19, null, s1, v19, vcc_lo
	v_lshlrev_b64_e32 v[20:21], 3, v[22:23]
	v_ashrrev_i32_e32 v25, 31, v24
	v_add_nc_u32_e32 v26, s5, v24
	v_add_co_u32 v20, vcc_lo, s0, v20
	s_wait_alu 0xfffd
	s_delay_alu instid0(VALU_DEP_4) | instskip(SKIP_3) | instid1(VALU_DEP_3)
	v_add_co_ci_u32_e64 v21, null, s1, v21, vcc_lo
	v_lshlrev_b64_e32 v[22:23], 3, v[24:25]
	v_ashrrev_i32_e32 v27, 31, v26
	v_add_nc_u32_e32 v28, s5, v26
	v_add_co_u32 v22, vcc_lo, s0, v22
	s_wait_alu 0xfffd
	s_delay_alu instid0(VALU_DEP_4) | instskip(SKIP_3) | instid1(VALU_DEP_3)
	v_add_co_ci_u32_e64 v23, null, s1, v23, vcc_lo
	v_lshlrev_b64_e32 v[24:25], 3, v[26:27]
	v_ashrrev_i32_e32 v29, 31, v28
	v_add_nc_u32_e32 v30, s5, v28
	v_add_co_u32 v24, vcc_lo, s0, v24
	s_wait_alu 0xfffd
	s_delay_alu instid0(VALU_DEP_4) | instskip(SKIP_3) | instid1(VALU_DEP_3)
	v_add_co_ci_u32_e64 v25, null, s1, v25, vcc_lo
	v_lshlrev_b64_e32 v[26:27], 3, v[28:29]
	v_ashrrev_i32_e32 v31, 31, v30
	v_add_nc_u32_e32 v32, s5, v30
	v_add_co_u32 v26, vcc_lo, s0, v26
	s_wait_alu 0xfffd
	s_delay_alu instid0(VALU_DEP_4) | instskip(SKIP_3) | instid1(VALU_DEP_3)
	v_add_co_ci_u32_e64 v27, null, s1, v27, vcc_lo
	v_lshlrev_b64_e32 v[28:29], 3, v[30:31]
	v_ashrrev_i32_e32 v33, 31, v32
	v_add_nc_u32_e32 v34, s5, v32
	v_add_co_u32 v28, vcc_lo, s0, v28
	s_wait_alu 0xfffd
	s_delay_alu instid0(VALU_DEP_4) | instskip(SKIP_2) | instid1(VALU_DEP_2)
	v_add_co_ci_u32_e64 v29, null, s1, v29, vcc_lo
	v_lshlrev_b64_e32 v[30:31], 3, v[32:33]
	v_ashrrev_i32_e32 v35, 31, v34
	v_add_co_u32 v30, vcc_lo, s0, v30
	s_wait_alu 0xfffd
	s_delay_alu instid0(VALU_DEP_3) | instskip(NEXT) | instid1(VALU_DEP_3)
	v_add_co_ci_u32_e64 v31, null, s1, v31, vcc_lo
	v_lshlrev_b64_e32 v[32:33], 3, v[34:35]
	v_add_nc_u32_e32 v34, s5, v34
	s_delay_alu instid0(VALU_DEP_2) | instskip(SKIP_1) | instid1(VALU_DEP_3)
	v_add_co_u32 v32, vcc_lo, s0, v32
	s_wait_alu 0xfffd
	v_add_co_ci_u32_e64 v33, null, s1, v33, vcc_lo
	s_delay_alu instid0(VALU_DEP_3) | instskip(NEXT) | instid1(VALU_DEP_1)
	v_ashrrev_i32_e32 v35, 31, v34
	v_lshlrev_b64_e32 v[34:35], 3, v[34:35]
	s_delay_alu instid0(VALU_DEP_1) | instskip(SKIP_1) | instid1(VALU_DEP_2)
	v_add_co_u32 v34, vcc_lo, s0, v34
	s_wait_alu 0xfffd
	v_add_co_ci_u32_e64 v35, null, s1, v35, vcc_lo
	s_mov_b32 s1, -1
	s_wait_loadcnt_dscnt 0x0
	scratch_store_b64 off, v[1:2], off
	flat_load_b64 v[1:2], v[6:7]
	s_wait_loadcnt_dscnt 0x0
	scratch_store_b64 off, v[1:2], off offset:8
	flat_load_b64 v[1:2], v[8:9]
	s_wait_loadcnt_dscnt 0x0
	scratch_store_b64 off, v[1:2], off offset:16
	;; [unrolled: 3-line block ×15, first 2 shown]
	s_cbranch_scc1 .LBB79_76
; %bb.4:
	v_cmp_eq_u32_e64 s0, 0, v0
	s_and_saveexec_b32 s1, s0
; %bb.5:
	v_mov_b32_e32 v1, 0
	ds_store_b32 v1, v1 offset:256
; %bb.6:
	s_wait_alu 0xfffe
	s_or_b32 exec_lo, exec_lo, s1
	s_wait_storecnt_dscnt 0x0
	s_barrier_signal -1
	s_barrier_wait -1
	global_inv scope:SCOPE_SE
	scratch_load_b64 v[1:2], v3, off
	s_wait_loadcnt 0x0
	v_cmp_eq_f32_e32 vcc_lo, 0, v1
	v_cmp_eq_f32_e64 s1, 0, v2
	s_and_b32 s1, vcc_lo, s1
	s_wait_alu 0xfffe
	s_and_saveexec_b32 s4, s1
	s_cbranch_execz .LBB79_10
; %bb.7:
	v_mov_b32_e32 v1, 0
	s_mov_b32 s5, 0
	ds_load_b32 v2, v1 offset:256
	s_wait_dscnt 0x0
	v_readfirstlane_b32 s1, v2
	v_add_nc_u32_e32 v2, 1, v0
	s_cmp_eq_u32 s1, 0
	s_delay_alu instid0(VALU_DEP_1)
	v_cmp_gt_i32_e32 vcc_lo, s1, v2
	s_cselect_b32 s10, -1, 0
	s_wait_alu 0xfffe
	s_or_b32 s10, s10, vcc_lo
	s_wait_alu 0xfffe
	s_and_b32 exec_lo, exec_lo, s10
	s_cbranch_execz .LBB79_10
; %bb.8:
	v_mov_b32_e32 v36, s1
.LBB79_9:                               ; =>This Inner Loop Header: Depth=1
	ds_cmpstore_rtn_b32 v36, v1, v2, v36 offset:256
	s_wait_dscnt 0x0
	v_cmp_ne_u32_e32 vcc_lo, 0, v36
	v_cmp_le_i32_e64 s1, v36, v2
	s_and_b32 s1, vcc_lo, s1
	s_wait_alu 0xfffe
	s_and_b32 s1, exec_lo, s1
	s_wait_alu 0xfffe
	s_or_b32 s5, s1, s5
	s_wait_alu 0xfffe
	s_and_not1_b32 exec_lo, exec_lo, s5
	s_cbranch_execnz .LBB79_9
.LBB79_10:
	s_wait_alu 0xfffe
	s_or_b32 exec_lo, exec_lo, s4
	v_mov_b32_e32 v1, 0
	s_barrier_signal -1
	s_barrier_wait -1
	global_inv scope:SCOPE_SE
	ds_load_b32 v2, v1 offset:256
	s_and_saveexec_b32 s1, s0
	s_cbranch_execz .LBB79_12
; %bb.11:
	s_lshl_b64 s[4:5], s[8:9], 2
	s_wait_alu 0xfffe
	s_add_nc_u64 s[4:5], s[6:7], s[4:5]
	s_wait_dscnt 0x0
	global_store_b32 v1, v2, s[4:5]
.LBB79_12:
	s_wait_alu 0xfffe
	s_or_b32 exec_lo, exec_lo, s1
	s_wait_dscnt 0x0
	v_cmp_ne_u32_e32 vcc_lo, 0, v2
	s_mov_b32 s1, 0
	s_cbranch_vccnz .LBB79_76
; %bb.13:
	v_mov_b32_e32 v40, v3
                                        ; implicit-def: $vgpr36
                                        ; implicit-def: $vgpr38
	scratch_load_b64 v[1:2], v40, off
	s_wait_loadcnt 0x0
	v_cmp_ngt_f32_e64 s1, |v1|, |v2|
	s_wait_alu 0xfffe
	s_and_saveexec_b32 s4, s1
	s_wait_alu 0xfffe
	s_xor_b32 s1, exec_lo, s4
	s_cbranch_execz .LBB79_15
; %bb.14:
	v_div_scale_f32 v36, null, v2, v2, v1
	v_div_scale_f32 v39, vcc_lo, v1, v2, v1
	s_delay_alu instid0(VALU_DEP_2) | instskip(NEXT) | instid1(TRANS32_DEP_1)
	v_rcp_f32_e32 v37, v36
	v_fma_f32 v38, -v36, v37, 1.0
	s_delay_alu instid0(VALU_DEP_1) | instskip(NEXT) | instid1(VALU_DEP_1)
	v_fmac_f32_e32 v37, v38, v37
	v_mul_f32_e32 v38, v39, v37
	s_delay_alu instid0(VALU_DEP_1) | instskip(NEXT) | instid1(VALU_DEP_1)
	v_fma_f32 v41, -v36, v38, v39
	v_fmac_f32_e32 v38, v41, v37
	s_delay_alu instid0(VALU_DEP_1) | instskip(SKIP_1) | instid1(VALU_DEP_1)
	v_fma_f32 v36, -v36, v38, v39
	s_wait_alu 0xfffd
	v_div_fmas_f32 v36, v36, v37, v38
	s_delay_alu instid0(VALU_DEP_1) | instskip(NEXT) | instid1(VALU_DEP_1)
	v_div_fixup_f32 v36, v36, v2, v1
	v_fmac_f32_e32 v2, v1, v36
	s_delay_alu instid0(VALU_DEP_1) | instskip(NEXT) | instid1(VALU_DEP_1)
	v_div_scale_f32 v1, null, v2, v2, 1.0
	v_rcp_f32_e32 v37, v1
	s_delay_alu instid0(TRANS32_DEP_1) | instskip(NEXT) | instid1(VALU_DEP_1)
	v_fma_f32 v38, -v1, v37, 1.0
	v_fmac_f32_e32 v37, v38, v37
	v_div_scale_f32 v38, vcc_lo, 1.0, v2, 1.0
	s_delay_alu instid0(VALU_DEP_1) | instskip(NEXT) | instid1(VALU_DEP_1)
	v_mul_f32_e32 v39, v38, v37
	v_fma_f32 v41, -v1, v39, v38
	s_delay_alu instid0(VALU_DEP_1) | instskip(NEXT) | instid1(VALU_DEP_1)
	v_fmac_f32_e32 v39, v41, v37
	v_fma_f32 v1, -v1, v39, v38
	s_wait_alu 0xfffd
	s_delay_alu instid0(VALU_DEP_1) | instskip(NEXT) | instid1(VALU_DEP_1)
	v_div_fmas_f32 v1, v1, v37, v39
	v_div_fixup_f32 v1, v1, v2, 1.0
	s_delay_alu instid0(VALU_DEP_1) | instskip(SKIP_1) | instid1(VALU_DEP_2)
	v_mul_f32_e32 v36, v36, v1
	v_xor_b32_e32 v37, 0x80000000, v1
                                        ; implicit-def: $vgpr1_vgpr2
	v_xor_b32_e32 v38, 0x80000000, v36
.LBB79_15:
	s_wait_alu 0xfffe
	s_and_not1_saveexec_b32 s1, s1
	s_cbranch_execz .LBB79_17
; %bb.16:
	v_div_scale_f32 v36, null, v1, v1, v2
	v_div_scale_f32 v39, vcc_lo, v2, v1, v2
	s_delay_alu instid0(VALU_DEP_2) | instskip(NEXT) | instid1(TRANS32_DEP_1)
	v_rcp_f32_e32 v37, v36
	v_fma_f32 v38, -v36, v37, 1.0
	s_delay_alu instid0(VALU_DEP_1) | instskip(NEXT) | instid1(VALU_DEP_1)
	v_fmac_f32_e32 v37, v38, v37
	v_mul_f32_e32 v38, v39, v37
	s_delay_alu instid0(VALU_DEP_1) | instskip(NEXT) | instid1(VALU_DEP_1)
	v_fma_f32 v41, -v36, v38, v39
	v_fmac_f32_e32 v38, v41, v37
	s_delay_alu instid0(VALU_DEP_1) | instskip(SKIP_1) | instid1(VALU_DEP_1)
	v_fma_f32 v36, -v36, v38, v39
	s_wait_alu 0xfffd
	v_div_fmas_f32 v36, v36, v37, v38
	s_delay_alu instid0(VALU_DEP_1) | instskip(NEXT) | instid1(VALU_DEP_1)
	v_div_fixup_f32 v37, v36, v1, v2
	v_fmac_f32_e32 v1, v2, v37
	s_delay_alu instid0(VALU_DEP_1) | instskip(SKIP_1) | instid1(VALU_DEP_2)
	v_div_scale_f32 v2, null, v1, v1, 1.0
	v_div_scale_f32 v39, vcc_lo, 1.0, v1, 1.0
	v_rcp_f32_e32 v36, v2
	s_delay_alu instid0(TRANS32_DEP_1) | instskip(NEXT) | instid1(VALU_DEP_1)
	v_fma_f32 v38, -v2, v36, 1.0
	v_fmac_f32_e32 v36, v38, v36
	s_delay_alu instid0(VALU_DEP_1) | instskip(NEXT) | instid1(VALU_DEP_1)
	v_mul_f32_e32 v38, v39, v36
	v_fma_f32 v41, -v2, v38, v39
	s_delay_alu instid0(VALU_DEP_1) | instskip(NEXT) | instid1(VALU_DEP_1)
	v_fmac_f32_e32 v38, v41, v36
	v_fma_f32 v2, -v2, v38, v39
	s_wait_alu 0xfffd
	s_delay_alu instid0(VALU_DEP_1) | instskip(NEXT) | instid1(VALU_DEP_1)
	v_div_fmas_f32 v2, v2, v36, v38
	v_div_fixup_f32 v36, v2, v1, 1.0
	s_delay_alu instid0(VALU_DEP_1)
	v_xor_b32_e32 v38, 0x80000000, v36
	v_mul_f32_e64 v37, v37, -v36
.LBB79_17:
	s_wait_alu 0xfffe
	s_or_b32 exec_lo, exec_lo, s1
	scratch_store_b64 v40, v[36:37], off
	scratch_load_b64 v[41:42], off, off offset:8
	v_xor_b32_e32 v39, 0x80000000, v37
	v_add_nc_u32_e32 v1, 0x80, v3
	s_wait_loadcnt 0x0
	ds_store_2addr_b64 v3, v[38:39], v[41:42] offset1:16
	s_wait_storecnt_dscnt 0x0
	s_barrier_signal -1
	s_barrier_wait -1
	global_inv scope:SCOPE_SE
	s_and_saveexec_b32 s1, s0
	s_cbranch_execz .LBB79_19
; %bb.18:
	scratch_load_b64 v[36:37], v40, off
	ds_load_b64 v[38:39], v1
	v_mov_b32_e32 v2, 0
	ds_load_b64 v[41:42], v2 offset:8
	s_wait_loadcnt_dscnt 0x1
	v_mul_f32_e32 v2, v38, v37
	v_mul_f32_e32 v37, v39, v37
	s_delay_alu instid0(VALU_DEP_2) | instskip(NEXT) | instid1(VALU_DEP_2)
	v_fmac_f32_e32 v2, v39, v36
	v_fma_f32 v36, v38, v36, -v37
	s_delay_alu instid0(VALU_DEP_2) | instskip(NEXT) | instid1(VALU_DEP_2)
	v_add_f32_e32 v2, 0, v2
	v_add_f32_e32 v36, 0, v36
	s_wait_dscnt 0x0
	s_delay_alu instid0(VALU_DEP_2) | instskip(NEXT) | instid1(VALU_DEP_2)
	v_mul_f32_e32 v38, v2, v42
	v_mul_f32_e32 v37, v36, v42
	s_delay_alu instid0(VALU_DEP_1) | instskip(NEXT) | instid1(VALU_DEP_3)
	v_fmac_f32_e32 v37, v2, v41
	v_fma_f32 v36, v36, v41, -v38
	scratch_store_b64 off, v[36:37], off offset:8
.LBB79_19:
	s_wait_alu 0xfffe
	s_or_b32 exec_lo, exec_lo, s1
	s_wait_loadcnt 0x0
	s_wait_storecnt 0x0
	s_barrier_signal -1
	s_barrier_wait -1
	global_inv scope:SCOPE_SE
	scratch_load_b64 v[36:37], off, off offset:16
	s_mov_b32 s1, exec_lo
	s_wait_loadcnt 0x0
	ds_store_b64 v1, v[36:37]
	s_wait_dscnt 0x0
	s_barrier_signal -1
	s_barrier_wait -1
	global_inv scope:SCOPE_SE
	v_cmpx_gt_u32_e32 2, v0
	s_cbranch_execz .LBB79_23
; %bb.20:
	scratch_load_b64 v[36:37], v40, off
	ds_load_b64 v[38:39], v1
	s_wait_loadcnt_dscnt 0x0
	v_mul_f32_e32 v2, v39, v37
	s_delay_alu instid0(VALU_DEP_1) | instskip(SKIP_1) | instid1(VALU_DEP_1)
	v_fma_f32 v2, v38, v36, -v2
	v_mul_f32_e32 v37, v38, v37
	v_dual_fmac_f32 v37, v39, v36 :: v_dual_add_f32 v36, 0, v2
	s_delay_alu instid0(VALU_DEP_1)
	v_add_f32_e32 v2, 0, v37
	s_and_saveexec_b32 s4, s0
	s_cbranch_execz .LBB79_22
; %bb.21:
	scratch_load_b64 v[37:38], off, off offset:8
	v_mov_b32_e32 v39, 0
	ds_load_b64 v[41:42], v39 offset:136
	s_wait_loadcnt_dscnt 0x0
	v_mul_f32_e32 v39, v41, v38
	v_mul_f32_e32 v38, v42, v38
	s_delay_alu instid0(VALU_DEP_2) | instskip(NEXT) | instid1(VALU_DEP_2)
	v_fmac_f32_e32 v39, v42, v37
	v_fma_f32 v37, v41, v37, -v38
	s_delay_alu instid0(VALU_DEP_2) | instskip(NEXT) | instid1(VALU_DEP_2)
	v_add_f32_e32 v2, v2, v39
	v_add_f32_e32 v36, v36, v37
.LBB79_22:
	s_wait_alu 0xfffe
	s_or_b32 exec_lo, exec_lo, s4
	v_mov_b32_e32 v37, 0
	ds_load_b64 v[37:38], v37 offset:16
	s_wait_dscnt 0x0
	v_mul_f32_e32 v41, v2, v38
	v_mul_f32_e32 v39, v36, v38
	s_delay_alu instid0(VALU_DEP_2) | instskip(NEXT) | instid1(VALU_DEP_2)
	v_fma_f32 v38, v36, v37, -v41
	v_fmac_f32_e32 v39, v2, v37
	scratch_store_b64 off, v[38:39], off offset:16
.LBB79_23:
	s_wait_alu 0xfffe
	s_or_b32 exec_lo, exec_lo, s1
	s_wait_loadcnt 0x0
	s_wait_storecnt 0x0
	s_barrier_signal -1
	s_barrier_wait -1
	global_inv scope:SCOPE_SE
	scratch_load_b64 v[36:37], off, off offset:24
	v_add_nc_u32_e32 v2, -1, v0
	s_mov_b32 s0, exec_lo
	s_wait_loadcnt 0x0
	ds_store_b64 v1, v[36:37]
	s_wait_dscnt 0x0
	s_barrier_signal -1
	s_barrier_wait -1
	global_inv scope:SCOPE_SE
	v_cmpx_gt_u32_e32 3, v0
	s_cbranch_execz .LBB79_27
; %bb.24:
	v_dual_mov_b32 v36, 0 :: v_dual_add_nc_u32 v37, -1, v0
	v_dual_mov_b32 v39, v3 :: v_dual_add_nc_u32 v38, 0x80, v3
	v_mov_b32_e32 v41, 0
	s_mov_b32 s1, 0
.LBB79_25:                              ; =>This Inner Loop Header: Depth=1
	scratch_load_b64 v[42:43], v39, off
	ds_load_b64 v[44:45], v38
	v_add_nc_u32_e32 v39, 8, v39
	v_add_nc_u32_e32 v37, 1, v37
	v_add_nc_u32_e32 v38, 8, v38
	s_delay_alu instid0(VALU_DEP_2)
	v_cmp_lt_u32_e32 vcc_lo, 1, v37
	s_wait_alu 0xfffe
	s_or_b32 s1, vcc_lo, s1
	s_wait_loadcnt_dscnt 0x0
	v_mul_f32_e32 v46, v45, v43
	v_mul_f32_e32 v43, v44, v43
	s_delay_alu instid0(VALU_DEP_2) | instskip(NEXT) | instid1(VALU_DEP_2)
	v_fma_f32 v44, v44, v42, -v46
	v_fmac_f32_e32 v43, v45, v42
	s_delay_alu instid0(VALU_DEP_1)
	v_dual_add_f32 v41, v41, v44 :: v_dual_add_f32 v36, v36, v43
	s_wait_alu 0xfffe
	s_and_not1_b32 exec_lo, exec_lo, s1
	s_cbranch_execnz .LBB79_25
; %bb.26:
	s_or_b32 exec_lo, exec_lo, s1
	v_mov_b32_e32 v37, 0
	ds_load_b64 v[37:38], v37 offset:24
	s_wait_dscnt 0x0
	v_mul_f32_e32 v42, v36, v38
	v_mul_f32_e32 v39, v41, v38
	s_delay_alu instid0(VALU_DEP_2) | instskip(NEXT) | instid1(VALU_DEP_2)
	v_fma_f32 v38, v41, v37, -v42
	v_fmac_f32_e32 v39, v36, v37
	scratch_store_b64 off, v[38:39], off offset:24
.LBB79_27:
	s_wait_alu 0xfffe
	s_or_b32 exec_lo, exec_lo, s0
	s_wait_loadcnt 0x0
	s_wait_storecnt 0x0
	s_barrier_signal -1
	s_barrier_wait -1
	global_inv scope:SCOPE_SE
	scratch_load_b64 v[36:37], off, off offset:32
	s_mov_b32 s0, exec_lo
	s_wait_loadcnt 0x0
	ds_store_b64 v1, v[36:37]
	s_wait_dscnt 0x0
	s_barrier_signal -1
	s_barrier_wait -1
	global_inv scope:SCOPE_SE
	v_cmpx_gt_u32_e32 4, v0
	s_cbranch_execz .LBB79_31
; %bb.28:
	v_dual_mov_b32 v36, 0 :: v_dual_add_nc_u32 v37, -1, v0
	v_dual_mov_b32 v39, v3 :: v_dual_add_nc_u32 v38, 0x80, v3
	v_mov_b32_e32 v41, 0
	s_mov_b32 s1, 0
.LBB79_29:                              ; =>This Inner Loop Header: Depth=1
	scratch_load_b64 v[42:43], v39, off
	ds_load_b64 v[44:45], v38
	v_add_nc_u32_e32 v39, 8, v39
	v_add_nc_u32_e32 v37, 1, v37
	v_add_nc_u32_e32 v38, 8, v38
	s_delay_alu instid0(VALU_DEP_2)
	v_cmp_lt_u32_e32 vcc_lo, 2, v37
	s_wait_alu 0xfffe
	s_or_b32 s1, vcc_lo, s1
	s_wait_loadcnt_dscnt 0x0
	v_mul_f32_e32 v46, v45, v43
	v_mul_f32_e32 v43, v44, v43
	s_delay_alu instid0(VALU_DEP_2) | instskip(NEXT) | instid1(VALU_DEP_2)
	v_fma_f32 v44, v44, v42, -v46
	v_fmac_f32_e32 v43, v45, v42
	s_delay_alu instid0(VALU_DEP_1)
	v_dual_add_f32 v41, v41, v44 :: v_dual_add_f32 v36, v36, v43
	s_wait_alu 0xfffe
	s_and_not1_b32 exec_lo, exec_lo, s1
	s_cbranch_execnz .LBB79_29
; %bb.30:
	s_or_b32 exec_lo, exec_lo, s1
	v_mov_b32_e32 v37, 0
	ds_load_b64 v[37:38], v37 offset:32
	s_wait_dscnt 0x0
	v_mul_f32_e32 v42, v36, v38
	v_mul_f32_e32 v39, v41, v38
	s_delay_alu instid0(VALU_DEP_2) | instskip(NEXT) | instid1(VALU_DEP_2)
	v_fma_f32 v38, v41, v37, -v42
	v_fmac_f32_e32 v39, v36, v37
	scratch_store_b64 off, v[38:39], off offset:32
.LBB79_31:
	s_wait_alu 0xfffe
	s_or_b32 exec_lo, exec_lo, s0
	s_wait_loadcnt 0x0
	s_wait_storecnt 0x0
	s_barrier_signal -1
	s_barrier_wait -1
	global_inv scope:SCOPE_SE
	scratch_load_b64 v[36:37], off, off offset:40
	;; [unrolled: 55-line block ×11, first 2 shown]
	s_mov_b32 s0, exec_lo
	s_wait_loadcnt 0x0
	ds_store_b64 v1, v[36:37]
	s_wait_dscnt 0x0
	s_barrier_signal -1
	s_barrier_wait -1
	global_inv scope:SCOPE_SE
	v_cmpx_gt_u32_e32 14, v0
	s_cbranch_execz .LBB79_71
; %bb.68:
	v_add_nc_u32_e32 v36, -1, v0
	v_dual_mov_b32 v38, v3 :: v_dual_add_nc_u32 v37, 0x80, v3
	v_mov_b32_e32 v3, 0
	v_mov_b32_e32 v39, 0
	s_mov_b32 s1, 0
.LBB79_69:                              ; =>This Inner Loop Header: Depth=1
	scratch_load_b64 v[41:42], v38, off
	ds_load_b64 v[43:44], v37
	v_add_nc_u32_e32 v38, 8, v38
	v_add_nc_u32_e32 v36, 1, v36
	;; [unrolled: 1-line block ×3, first 2 shown]
	s_delay_alu instid0(VALU_DEP_2)
	v_cmp_lt_u32_e32 vcc_lo, 12, v36
	s_wait_alu 0xfffe
	s_or_b32 s1, vcc_lo, s1
	s_wait_loadcnt_dscnt 0x0
	v_mul_f32_e32 v45, v44, v42
	v_mul_f32_e32 v42, v43, v42
	s_delay_alu instid0(VALU_DEP_2) | instskip(NEXT) | instid1(VALU_DEP_1)
	v_fma_f32 v43, v43, v41, -v45
	v_dual_fmac_f32 v42, v44, v41 :: v_dual_add_f32 v39, v39, v43
	s_delay_alu instid0(VALU_DEP_1)
	v_add_f32_e32 v3, v3, v42
	s_wait_alu 0xfffe
	s_and_not1_b32 exec_lo, exec_lo, s1
	s_cbranch_execnz .LBB79_69
; %bb.70:
	s_or_b32 exec_lo, exec_lo, s1
	v_mov_b32_e32 v36, 0
	ds_load_b64 v[36:37], v36 offset:112
	s_wait_dscnt 0x0
	v_mul_f32_e32 v41, v3, v37
	v_mul_f32_e32 v38, v39, v37
	s_delay_alu instid0(VALU_DEP_2) | instskip(NEXT) | instid1(VALU_DEP_2)
	v_fma_f32 v37, v39, v36, -v41
	v_fmac_f32_e32 v38, v3, v36
	scratch_store_b64 off, v[37:38], off offset:112
.LBB79_71:
	s_wait_alu 0xfffe
	s_or_b32 exec_lo, exec_lo, s0
	s_wait_loadcnt 0x0
	s_wait_storecnt 0x0
	s_barrier_signal -1
	s_barrier_wait -1
	global_inv scope:SCOPE_SE
	scratch_load_b64 v[36:37], off, off offset:120
	s_mov_b32 s0, exec_lo
	s_wait_loadcnt 0x0
	ds_store_b64 v1, v[36:37]
	s_wait_dscnt 0x0
	s_barrier_signal -1
	s_barrier_wait -1
	global_inv scope:SCOPE_SE
	v_cmpx_ne_u32_e32 15, v0
	s_cbranch_execz .LBB79_75
; %bb.72:
	v_dual_mov_b32 v3, 0 :: v_dual_mov_b32 v36, 0
	s_mov_b32 s1, 0
.LBB79_73:                              ; =>This Inner Loop Header: Depth=1
	scratch_load_b64 v[37:38], v40, off
	ds_load_b64 v[41:42], v1
	v_add_nc_u32_e32 v2, 1, v2
	v_add_nc_u32_e32 v1, 8, v1
	;; [unrolled: 1-line block ×3, first 2 shown]
	s_delay_alu instid0(VALU_DEP_3)
	v_cmp_lt_u32_e32 vcc_lo, 13, v2
	s_wait_alu 0xfffe
	s_or_b32 s1, vcc_lo, s1
	s_wait_loadcnt_dscnt 0x0
	v_mul_f32_e32 v39, v42, v38
	v_mul_f32_e32 v38, v41, v38
	s_delay_alu instid0(VALU_DEP_2) | instskip(NEXT) | instid1(VALU_DEP_2)
	v_fma_f32 v39, v41, v37, -v39
	v_fmac_f32_e32 v38, v42, v37
	s_delay_alu instid0(VALU_DEP_1)
	v_dual_add_f32 v36, v36, v39 :: v_dual_add_f32 v3, v3, v38
	s_wait_alu 0xfffe
	s_and_not1_b32 exec_lo, exec_lo, s1
	s_cbranch_execnz .LBB79_73
; %bb.74:
	s_or_b32 exec_lo, exec_lo, s1
	v_mov_b32_e32 v1, 0
	ds_load_b64 v[1:2], v1 offset:120
	s_wait_dscnt 0x0
	v_mul_f32_e32 v38, v3, v2
	v_mul_f32_e32 v37, v36, v2
	s_delay_alu instid0(VALU_DEP_2) | instskip(NEXT) | instid1(VALU_DEP_2)
	v_fma_f32 v36, v36, v1, -v38
	v_fmac_f32_e32 v37, v3, v1
	scratch_store_b64 off, v[36:37], off offset:120
.LBB79_75:
	s_wait_alu 0xfffe
	s_or_b32 exec_lo, exec_lo, s0
	s_mov_b32 s1, -1
	s_wait_loadcnt 0x0
	s_wait_storecnt 0x0
	s_barrier_signal -1
	s_barrier_wait -1
	global_inv scope:SCOPE_SE
.LBB79_76:
	s_wait_alu 0xfffe
	s_and_b32 vcc_lo, exec_lo, s1
	s_wait_alu 0xfffe
	s_cbranch_vccz .LBB79_78
; %bb.77:
	v_mov_b32_e32 v1, 0
	s_lshl_b64 s[0:1], s[8:9], 2
	s_wait_alu 0xfffe
	s_add_nc_u64 s[0:1], s[6:7], s[0:1]
	global_load_b32 v1, v1, s[0:1]
	s_wait_loadcnt 0x0
	v_cmp_ne_u32_e32 vcc_lo, 0, v1
	s_cbranch_vccz .LBB79_79
.LBB79_78:
	s_nop 0
	s_sendmsg sendmsg(MSG_DEALLOC_VGPRS)
	s_endpgm
.LBB79_79:
	v_lshl_add_u32 v3, v0, 3, 0x80
	s_mov_b32 s0, exec_lo
	v_cmpx_eq_u32_e32 15, v0
	s_cbranch_execz .LBB79_81
; %bb.80:
	scratch_load_b64 v[1:2], off, off offset:112
	v_mov_b32_e32 v36, 0
	s_delay_alu instid0(VALU_DEP_1)
	v_mov_b32_e32 v37, v36
	scratch_store_b64 off, v[36:37], off offset:112
	s_wait_loadcnt 0x0
	ds_store_b64 v3, v[1:2]
.LBB79_81:
	s_wait_alu 0xfffe
	s_or_b32 exec_lo, exec_lo, s0
	s_wait_storecnt_dscnt 0x0
	s_barrier_signal -1
	s_barrier_wait -1
	global_inv scope:SCOPE_SE
	s_clause 0x1
	scratch_load_b64 v[36:37], off, off offset:120
	scratch_load_b64 v[38:39], off, off offset:112
	v_mov_b32_e32 v1, 0
	s_mov_b32 s0, exec_lo
	ds_load_b64 v[40:41], v1 offset:248
	s_wait_loadcnt_dscnt 0x100
	v_mul_f32_e32 v2, v41, v37
	s_delay_alu instid0(VALU_DEP_1) | instskip(NEXT) | instid1(VALU_DEP_1)
	v_fma_f32 v2, v40, v36, -v2
	v_dual_mul_f32 v37, v40, v37 :: v_dual_add_f32 v2, 0, v2
	s_wait_loadcnt 0x0
	s_delay_alu instid0(VALU_DEP_1) | instskip(NEXT) | instid1(VALU_DEP_1)
	v_dual_fmac_f32 v37, v41, v36 :: v_dual_sub_f32 v36, v38, v2
	v_add_f32_e32 v37, 0, v37
	s_delay_alu instid0(VALU_DEP_1)
	v_sub_f32_e32 v37, v39, v37
	scratch_store_b64 off, v[36:37], off offset:112
	v_cmpx_lt_u32_e32 13, v0
	s_cbranch_execz .LBB79_83
; %bb.82:
	scratch_load_b64 v[36:37], off, off offset:104
	v_mov_b32_e32 v2, v1
	scratch_store_b64 off, v[1:2], off offset:104
	s_wait_loadcnt 0x0
	ds_store_b64 v3, v[36:37]
.LBB79_83:
	s_wait_alu 0xfffe
	s_or_b32 exec_lo, exec_lo, s0
	s_wait_storecnt_dscnt 0x0
	s_barrier_signal -1
	s_barrier_wait -1
	global_inv scope:SCOPE_SE
	s_clause 0x1
	scratch_load_b128 v[36:39], off, off offset:112
	scratch_load_b64 v[44:45], off, off offset:104
	ds_load_b128 v[40:43], v1 offset:240
	s_mov_b32 s0, exec_lo
	s_wait_loadcnt_dscnt 0x100
	v_mul_f32_e32 v2, v40, v37
	s_delay_alu instid0(VALU_DEP_1) | instskip(SKIP_2) | instid1(VALU_DEP_1)
	v_fmac_f32_e32 v2, v41, v36
	v_mul_f32_e32 v1, v41, v37
	v_mul_f32_e32 v37, v42, v39
	v_fmac_f32_e32 v37, v43, v38
	s_delay_alu instid0(VALU_DEP_4) | instskip(NEXT) | instid1(VALU_DEP_4)
	v_dual_add_f32 v2, 0, v2 :: v_dual_mul_f32 v39, v43, v39
	v_fma_f32 v1, v40, v36, -v1
	s_delay_alu instid0(VALU_DEP_2) | instskip(NEXT) | instid1(VALU_DEP_3)
	v_add_f32_e32 v2, v2, v37
	v_fma_f32 v36, v42, v38, -v39
	s_wait_loadcnt 0x0
	s_delay_alu instid0(VALU_DEP_2) | instskip(NEXT) | instid1(VALU_DEP_1)
	v_dual_add_f32 v1, 0, v1 :: v_dual_sub_f32 v2, v45, v2
	v_add_f32_e32 v1, v1, v36
	s_delay_alu instid0(VALU_DEP_1)
	v_sub_f32_e32 v1, v44, v1
	scratch_store_b64 off, v[1:2], off offset:104
	v_cmpx_lt_u32_e32 12, v0
	s_cbranch_execz .LBB79_85
; %bb.84:
	scratch_load_b64 v[1:2], off, off offset:96
	v_mov_b32_e32 v36, 0
	s_delay_alu instid0(VALU_DEP_1)
	v_mov_b32_e32 v37, v36
	scratch_store_b64 off, v[36:37], off offset:96
	s_wait_loadcnt 0x0
	ds_store_b64 v3, v[1:2]
.LBB79_85:
	s_wait_alu 0xfffe
	s_or_b32 exec_lo, exec_lo, s0
	s_wait_storecnt_dscnt 0x0
	s_barrier_signal -1
	s_barrier_wait -1
	global_inv scope:SCOPE_SE
	s_clause 0x2
	scratch_load_b128 v[36:39], off, off offset:104
	scratch_load_b64 v[44:45], off, off offset:120
	scratch_load_b64 v[46:47], off, off offset:96
	v_mov_b32_e32 v1, 0
	ds_load_2addr_b64 v[40:43], v1 offset0:29 offset1:30
	ds_load_b64 v[48:49], v1 offset:248
	s_mov_b32 s0, exec_lo
	s_wait_loadcnt_dscnt 0x201
	v_mul_f32_e32 v2, v41, v37
	v_dual_mul_f32 v37, v40, v37 :: v_dual_mul_f32 v50, v42, v39
	v_mul_f32_e32 v39, v43, v39
	s_wait_loadcnt_dscnt 0x100
	v_mul_f32_e32 v51, v48, v45
	v_fma_f32 v2, v40, v36, -v2
	v_fmac_f32_e32 v37, v41, v36
	v_mul_f32_e32 v36, v49, v45
	v_fmac_f32_e32 v50, v43, v38
	v_fma_f32 v38, v42, v38, -v39
	s_delay_alu instid0(VALU_DEP_4) | instskip(NEXT) | instid1(VALU_DEP_4)
	v_dual_add_f32 v2, 0, v2 :: v_dual_add_f32 v37, 0, v37
	v_fma_f32 v36, v48, v44, -v36
	s_delay_alu instid0(VALU_DEP_2) | instskip(NEXT) | instid1(VALU_DEP_1)
	v_add_f32_e32 v2, v2, v38
	v_dual_add_f32 v37, v37, v50 :: v_dual_add_f32 v2, v2, v36
	s_wait_loadcnt 0x0
	s_delay_alu instid0(VALU_DEP_1) | instskip(NEXT) | instid1(VALU_DEP_1)
	v_dual_fmac_f32 v51, v49, v44 :: v_dual_sub_f32 v36, v46, v2
	v_add_f32_e32 v37, v37, v51
	s_delay_alu instid0(VALU_DEP_1)
	v_sub_f32_e32 v37, v47, v37
	scratch_store_b64 off, v[36:37], off offset:96
	v_cmpx_lt_u32_e32 11, v0
	s_cbranch_execz .LBB79_87
; %bb.86:
	scratch_load_b64 v[36:37], off, off offset:88
	v_mov_b32_e32 v2, v1
	scratch_store_b64 off, v[1:2], off offset:88
	s_wait_loadcnt 0x0
	ds_store_b64 v3, v[36:37]
.LBB79_87:
	s_wait_alu 0xfffe
	s_or_b32 exec_lo, exec_lo, s0
	s_wait_storecnt_dscnt 0x0
	s_barrier_signal -1
	s_barrier_wait -1
	global_inv scope:SCOPE_SE
	s_clause 0x2
	scratch_load_b128 v[36:39], off, off offset:96
	scratch_load_b128 v[40:43], off, off offset:112
	scratch_load_b64 v[52:53], off, off offset:88
	ds_load_b128 v[44:47], v1 offset:224
	ds_load_b128 v[48:51], v1 offset:240
	s_mov_b32 s0, exec_lo
	s_wait_loadcnt_dscnt 0x201
	v_mul_f32_e32 v2, v45, v37
	s_wait_loadcnt_dscnt 0x100
	v_dual_mul_f32 v54, v48, v41 :: v_dual_mul_f32 v55, v50, v43
	s_delay_alu instid0(VALU_DEP_2) | instskip(SKIP_2) | instid1(VALU_DEP_4)
	v_fma_f32 v2, v44, v36, -v2
	v_mul_f32_e32 v1, v44, v37
	v_mul_f32_e32 v37, v46, v39
	v_dual_mul_f32 v39, v47, v39 :: v_dual_fmac_f32 v54, v49, v40
	s_delay_alu instid0(VALU_DEP_3) | instskip(NEXT) | instid1(VALU_DEP_3)
	v_dual_add_f32 v2, 0, v2 :: v_dual_fmac_f32 v1, v45, v36
	v_dual_mul_f32 v36, v49, v41 :: v_dual_fmac_f32 v37, v47, v38
	s_delay_alu instid0(VALU_DEP_3) | instskip(SKIP_1) | instid1(VALU_DEP_3)
	v_fma_f32 v38, v46, v38, -v39
	v_fmac_f32_e32 v55, v51, v42
	v_fma_f32 v36, v48, v40, -v36
	s_delay_alu instid0(VALU_DEP_3) | instskip(NEXT) | instid1(VALU_DEP_1)
	v_dual_add_f32 v2, v2, v38 :: v_dual_add_f32 v1, 0, v1
	v_dual_add_f32 v2, v2, v36 :: v_dual_mul_f32 v39, v51, v43
	s_delay_alu instid0(VALU_DEP_2) | instskip(NEXT) | instid1(VALU_DEP_2)
	v_add_f32_e32 v1, v1, v37
	v_fma_f32 v37, v50, v42, -v39
	s_delay_alu instid0(VALU_DEP_1) | instskip(SKIP_1) | instid1(VALU_DEP_1)
	v_dual_add_f32 v1, v1, v54 :: v_dual_add_f32 v2, v2, v37
	s_wait_loadcnt 0x0
	v_dual_add_f32 v36, v1, v55 :: v_dual_sub_f32 v1, v52, v2
	s_delay_alu instid0(VALU_DEP_1)
	v_sub_f32_e32 v2, v53, v36
	scratch_store_b64 off, v[1:2], off offset:88
	v_cmpx_lt_u32_e32 10, v0
	s_cbranch_execz .LBB79_89
; %bb.88:
	scratch_load_b64 v[1:2], off, off offset:80
	v_mov_b32_e32 v36, 0
	s_delay_alu instid0(VALU_DEP_1)
	v_mov_b32_e32 v37, v36
	scratch_store_b64 off, v[36:37], off offset:80
	s_wait_loadcnt 0x0
	ds_store_b64 v3, v[1:2]
.LBB79_89:
	s_wait_alu 0xfffe
	s_or_b32 exec_lo, exec_lo, s0
	s_wait_storecnt_dscnt 0x0
	s_barrier_signal -1
	s_barrier_wait -1
	global_inv scope:SCOPE_SE
	s_clause 0x3
	scratch_load_b128 v[36:39], off, off offset:88
	scratch_load_b128 v[40:43], off, off offset:104
	scratch_load_b64 v[52:53], off, off offset:120
	scratch_load_b64 v[54:55], off, off offset:80
	v_mov_b32_e32 v1, 0
	ds_load_2addr_b64 v[44:47], v1 offset0:27 offset1:28
	ds_load_2addr_b64 v[48:51], v1 offset0:29 offset1:30
	ds_load_b64 v[56:57], v1 offset:248
	s_mov_b32 s0, exec_lo
	s_wait_loadcnt_dscnt 0x302
	v_mul_f32_e32 v2, v44, v37
	v_dual_mul_f32 v58, v46, v39 :: v_dual_mul_f32 v37, v45, v37
	s_wait_loadcnt_dscnt 0x100
	v_mul_f32_e32 v61, v56, v53
	v_dual_mul_f32 v59, v48, v41 :: v_dual_mul_f32 v60, v50, v43
	v_dual_fmac_f32 v2, v45, v36 :: v_dual_mul_f32 v39, v47, v39
	v_fma_f32 v37, v44, v36, -v37
	v_fmac_f32_e32 v58, v47, v38
	v_mul_f32_e32 v36, v49, v41
	s_delay_alu instid0(VALU_DEP_4) | instskip(SKIP_3) | instid1(VALU_DEP_4)
	v_add_f32_e32 v2, 0, v2
	v_fma_f32 v38, v46, v38, -v39
	v_add_f32_e32 v37, 0, v37
	v_mul_f32_e32 v39, v51, v43
	v_dual_fmac_f32 v59, v49, v40 :: v_dual_add_f32 v2, v2, v58
	v_dual_fmac_f32 v60, v51, v42 :: v_dual_fmac_f32 v61, v57, v52
	s_delay_alu instid0(VALU_DEP_4) | instskip(SKIP_1) | instid1(VALU_DEP_4)
	v_add_f32_e32 v37, v37, v38
	v_fma_f32 v36, v48, v40, -v36
	v_add_f32_e32 v2, v2, v59
	v_fma_f32 v39, v50, v42, -v39
	s_delay_alu instid0(VALU_DEP_3) | instskip(NEXT) | instid1(VALU_DEP_3)
	v_add_f32_e32 v36, v37, v36
	v_add_f32_e32 v2, v2, v60
	s_delay_alu instid0(VALU_DEP_2) | instskip(NEXT) | instid1(VALU_DEP_2)
	v_add_f32_e32 v36, v36, v39
	v_add_f32_e32 v2, v2, v61
	v_mul_f32_e32 v38, v57, v53
	s_delay_alu instid0(VALU_DEP_1) | instskip(SKIP_1) | instid1(VALU_DEP_1)
	v_fma_f32 v37, v56, v52, -v38
	s_wait_loadcnt 0x0
	v_dual_add_f32 v36, v36, v37 :: v_dual_sub_f32 v37, v55, v2
	s_delay_alu instid0(VALU_DEP_1)
	v_sub_f32_e32 v36, v54, v36
	scratch_store_b64 off, v[36:37], off offset:80
	v_cmpx_lt_u32_e32 9, v0
	s_cbranch_execz .LBB79_91
; %bb.90:
	scratch_load_b64 v[36:37], off, off offset:72
	v_mov_b32_e32 v2, v1
	scratch_store_b64 off, v[1:2], off offset:72
	s_wait_loadcnt 0x0
	ds_store_b64 v3, v[36:37]
.LBB79_91:
	s_wait_alu 0xfffe
	s_or_b32 exec_lo, exec_lo, s0
	s_wait_storecnt_dscnt 0x0
	s_barrier_signal -1
	s_barrier_wait -1
	global_inv scope:SCOPE_SE
	s_clause 0x3
	scratch_load_b128 v[36:39], off, off offset:80
	scratch_load_b128 v[40:43], off, off offset:96
	;; [unrolled: 1-line block ×3, first 2 shown]
	scratch_load_b64 v[60:61], off, off offset:72
	ds_load_b128 v[48:51], v1 offset:208
	ds_load_b128 v[52:55], v1 offset:224
	ds_load_b128 v[56:59], v1 offset:240
	s_mov_b32 s0, exec_lo
	s_wait_loadcnt_dscnt 0x302
	v_dual_mul_f32 v1, v48, v37 :: v_dual_mul_f32 v2, v50, v39
	v_mul_f32_e32 v37, v49, v37
	s_wait_loadcnt_dscnt 0x201
	v_dual_mul_f32 v39, v51, v39 :: v_dual_mul_f32 v62, v52, v41
	s_delay_alu instid0(VALU_DEP_3) | instskip(NEXT) | instid1(VALU_DEP_3)
	v_dual_mul_f32 v63, v54, v43 :: v_dual_fmac_f32 v2, v51, v38
	v_fma_f32 v37, v48, v36, -v37
	v_fmac_f32_e32 v1, v49, v36
	v_mul_f32_e32 v36, v53, v41
	v_fma_f32 v38, v50, v38, -v39
	v_mul_f32_e32 v39, v55, v43
	v_dual_add_f32 v37, 0, v37 :: v_dual_fmac_f32 v62, v53, v40
	s_delay_alu instid0(VALU_DEP_4) | instskip(SKIP_2) | instid1(VALU_DEP_3)
	v_fma_f32 v36, v52, v40, -v36
	s_wait_loadcnt_dscnt 0x100
	v_dual_mul_f32 v64, v56, v45 :: v_dual_mul_f32 v65, v58, v47
	v_add_f32_e32 v37, v37, v38
	v_fmac_f32_e32 v63, v55, v42
	v_fma_f32 v38, v54, v42, -v39
	s_delay_alu instid0(VALU_DEP_4) | instskip(NEXT) | instid1(VALU_DEP_4)
	v_dual_fmac_f32 v64, v57, v44 :: v_dual_fmac_f32 v65, v59, v46
	v_add_f32_e32 v36, v37, v36
	s_delay_alu instid0(VALU_DEP_1) | instskip(SKIP_1) | instid1(VALU_DEP_1)
	v_dual_add_f32 v36, v36, v38 :: v_dual_add_f32 v1, 0, v1
	v_mul_f32_e32 v37, v59, v47
	v_fma_f32 v37, v58, v46, -v37
	s_delay_alu instid0(VALU_DEP_3) | instskip(SKIP_1) | instid1(VALU_DEP_1)
	v_add_f32_e32 v1, v1, v2
	v_mul_f32_e32 v2, v57, v45
	v_fma_f32 v2, v56, v44, -v2
	s_delay_alu instid0(VALU_DEP_1) | instskip(NEXT) | instid1(VALU_DEP_1)
	v_add_f32_e32 v2, v36, v2
	v_dual_add_f32 v2, v2, v37 :: v_dual_add_f32 v1, v1, v62
	s_delay_alu instid0(VALU_DEP_1) | instskip(NEXT) | instid1(VALU_DEP_1)
	v_add_f32_e32 v1, v1, v63
	v_add_f32_e32 v1, v1, v64
	s_wait_loadcnt 0x0
	s_delay_alu instid0(VALU_DEP_1) | instskip(NEXT) | instid1(VALU_DEP_1)
	v_dual_add_f32 v36, v1, v65 :: v_dual_sub_f32 v1, v60, v2
	v_sub_f32_e32 v2, v61, v36
	scratch_store_b64 off, v[1:2], off offset:72
	v_cmpx_lt_u32_e32 8, v0
	s_cbranch_execz .LBB79_93
; %bb.92:
	scratch_load_b64 v[1:2], off, off offset:64
	v_mov_b32_e32 v36, 0
	s_delay_alu instid0(VALU_DEP_1)
	v_mov_b32_e32 v37, v36
	scratch_store_b64 off, v[36:37], off offset:64
	s_wait_loadcnt 0x0
	ds_store_b64 v3, v[1:2]
.LBB79_93:
	s_wait_alu 0xfffe
	s_or_b32 exec_lo, exec_lo, s0
	s_wait_storecnt_dscnt 0x0
	s_barrier_signal -1
	s_barrier_wait -1
	global_inv scope:SCOPE_SE
	s_clause 0x4
	scratch_load_b128 v[36:39], off, off offset:72
	scratch_load_b128 v[40:43], off, off offset:88
	;; [unrolled: 1-line block ×3, first 2 shown]
	scratch_load_b64 v[60:61], off, off offset:120
	scratch_load_b64 v[62:63], off, off offset:64
	v_mov_b32_e32 v1, 0
	ds_load_2addr_b64 v[48:51], v1 offset0:25 offset1:26
	ds_load_2addr_b64 v[52:55], v1 offset0:27 offset1:28
	;; [unrolled: 1-line block ×3, first 2 shown]
	ds_load_b64 v[64:65], v1 offset:248
	s_mov_b32 s0, exec_lo
	s_wait_loadcnt_dscnt 0x403
	v_mul_f32_e32 v2, v48, v37
	s_wait_loadcnt_dscnt 0x302
	v_dual_mul_f32 v66, v50, v39 :: v_dual_mul_f32 v67, v52, v41
	v_dual_mul_f32 v68, v54, v43 :: v_dual_mul_f32 v37, v49, v37
	s_wait_loadcnt_dscnt 0x100
	v_dual_mul_f32 v71, v64, v61 :: v_dual_fmac_f32 v2, v49, v36
	v_mul_f32_e32 v39, v51, v39
	v_dual_mul_f32 v69, v56, v45 :: v_dual_mul_f32 v70, v58, v47
	v_fma_f32 v37, v48, v36, -v37
	v_fmac_f32_e32 v66, v51, v38
	v_add_f32_e32 v2, 0, v2
	v_mul_f32_e32 v36, v53, v41
	v_fma_f32 v38, v50, v38, -v39
	v_add_f32_e32 v37, 0, v37
	v_mul_f32_e32 v39, v55, v43
	v_dual_fmac_f32 v67, v53, v40 :: v_dual_add_f32 v2, v2, v66
	v_dual_fmac_f32 v68, v55, v42 :: v_dual_fmac_f32 v69, v57, v44
	s_delay_alu instid0(VALU_DEP_4) | instskip(SKIP_1) | instid1(VALU_DEP_4)
	v_add_f32_e32 v37, v37, v38
	v_dual_fmac_f32 v70, v59, v46 :: v_dual_fmac_f32 v71, v65, v60
	v_add_f32_e32 v2, v2, v67
	v_fma_f32 v36, v52, v40, -v36
	v_mul_f32_e32 v38, v57, v45
	v_fma_f32 v39, v54, v42, -v39
	s_delay_alu instid0(VALU_DEP_4) | instskip(NEXT) | instid1(VALU_DEP_1)
	v_add_f32_e32 v2, v2, v68
	v_add_f32_e32 v2, v2, v69
	s_delay_alu instid0(VALU_DEP_1) | instskip(NEXT) | instid1(VALU_DEP_1)
	v_add_f32_e32 v2, v2, v70
	v_add_f32_e32 v2, v2, v71
	v_dual_add_f32 v36, v37, v36 :: v_dual_mul_f32 v37, v59, v47
	v_fma_f32 v38, v56, v44, -v38
	s_delay_alu instid0(VALU_DEP_2) | instskip(NEXT) | instid1(VALU_DEP_3)
	v_dual_add_f32 v36, v36, v39 :: v_dual_mul_f32 v39, v65, v61
	v_fma_f32 v37, v58, v46, -v37
	s_delay_alu instid0(VALU_DEP_2) | instskip(NEXT) | instid1(VALU_DEP_3)
	v_add_f32_e32 v36, v36, v38
	v_fma_f32 v38, v64, v60, -v39
	s_wait_loadcnt 0x0
	s_delay_alu instid0(VALU_DEP_2) | instskip(NEXT) | instid1(VALU_DEP_1)
	v_dual_add_f32 v36, v36, v37 :: v_dual_sub_f32 v37, v63, v2
	v_add_f32_e32 v36, v36, v38
	s_delay_alu instid0(VALU_DEP_1)
	v_sub_f32_e32 v36, v62, v36
	scratch_store_b64 off, v[36:37], off offset:64
	v_cmpx_lt_u32_e32 7, v0
	s_cbranch_execz .LBB79_95
; %bb.94:
	scratch_load_b64 v[36:37], off, off offset:56
	v_mov_b32_e32 v2, v1
	scratch_store_b64 off, v[1:2], off offset:56
	s_wait_loadcnt 0x0
	ds_store_b64 v3, v[36:37]
.LBB79_95:
	s_wait_alu 0xfffe
	s_or_b32 exec_lo, exec_lo, s0
	s_wait_storecnt_dscnt 0x0
	s_barrier_signal -1
	s_barrier_wait -1
	global_inv scope:SCOPE_SE
	s_clause 0x4
	scratch_load_b128 v[36:39], off, off offset:64
	scratch_load_b128 v[40:43], off, off offset:80
	;; [unrolled: 1-line block ×4, first 2 shown]
	scratch_load_b64 v[68:69], off, off offset:56
	ds_load_b128 v[52:55], v1 offset:192
	ds_load_b128 v[56:59], v1 offset:208
	;; [unrolled: 1-line block ×4, first 2 shown]
	s_mov_b32 s0, exec_lo
	s_wait_loadcnt_dscnt 0x403
	v_dual_mul_f32 v1, v52, v37 :: v_dual_mul_f32 v2, v54, v39
	v_mul_f32_e32 v37, v53, v37
	s_wait_loadcnt_dscnt 0x302
	v_dual_mul_f32 v39, v55, v39 :: v_dual_mul_f32 v70, v56, v41
	s_delay_alu instid0(VALU_DEP_3) | instskip(NEXT) | instid1(VALU_DEP_3)
	v_dual_mul_f32 v71, v58, v43 :: v_dual_fmac_f32 v2, v55, v38
	v_fma_f32 v37, v52, v36, -v37
	v_fmac_f32_e32 v1, v53, v36
	v_mul_f32_e32 v36, v57, v41
	v_fma_f32 v38, v54, v38, -v39
	v_mul_f32_e32 v39, v59, v43
	v_dual_add_f32 v37, 0, v37 :: v_dual_fmac_f32 v70, v57, v40
	s_delay_alu instid0(VALU_DEP_4) | instskip(SKIP_2) | instid1(VALU_DEP_3)
	v_fma_f32 v36, v56, v40, -v36
	s_wait_loadcnt_dscnt 0x201
	v_dual_mul_f32 v72, v60, v45 :: v_dual_mul_f32 v73, v62, v47
	v_add_f32_e32 v37, v37, v38
	v_fmac_f32_e32 v71, v59, v42
	v_fma_f32 v38, v58, v42, -v39
	s_wait_loadcnt_dscnt 0x100
	v_dual_mul_f32 v74, v64, v49 :: v_dual_mul_f32 v75, v66, v51
	v_dual_add_f32 v36, v37, v36 :: v_dual_mul_f32 v37, v63, v47
	v_dual_fmac_f32 v72, v61, v44 :: v_dual_fmac_f32 v73, v63, v46
	s_delay_alu instid0(VALU_DEP_3) | instskip(NEXT) | instid1(VALU_DEP_3)
	v_fmac_f32_e32 v74, v65, v48
	v_dual_add_f32 v36, v36, v38 :: v_dual_add_f32 v1, 0, v1
	v_mul_f32_e32 v38, v65, v49
	v_fma_f32 v37, v62, v46, -v37
	v_fmac_f32_e32 v75, v67, v50
	s_delay_alu instid0(VALU_DEP_4) | instskip(SKIP_2) | instid1(VALU_DEP_2)
	v_add_f32_e32 v1, v1, v2
	v_mul_f32_e32 v2, v61, v45
	v_fma_f32 v38, v64, v48, -v38
	v_fma_f32 v2, v60, v44, -v2
	s_delay_alu instid0(VALU_DEP_1) | instskip(SKIP_1) | instid1(VALU_DEP_2)
	v_add_f32_e32 v2, v36, v2
	v_mul_f32_e32 v36, v67, v51
	v_add_f32_e32 v2, v2, v37
	s_delay_alu instid0(VALU_DEP_2) | instskip(NEXT) | instid1(VALU_DEP_2)
	v_fma_f32 v36, v66, v50, -v36
	v_add_f32_e32 v2, v2, v38
	s_delay_alu instid0(VALU_DEP_1) | instskip(NEXT) | instid1(VALU_DEP_1)
	v_dual_add_f32 v1, v1, v70 :: v_dual_add_f32 v2, v2, v36
	v_add_f32_e32 v1, v1, v71
	s_delay_alu instid0(VALU_DEP_1) | instskip(NEXT) | instid1(VALU_DEP_1)
	v_add_f32_e32 v1, v1, v72
	v_add_f32_e32 v1, v1, v73
	s_delay_alu instid0(VALU_DEP_1) | instskip(SKIP_1) | instid1(VALU_DEP_1)
	v_add_f32_e32 v1, v1, v74
	s_wait_loadcnt 0x0
	v_dual_add_f32 v36, v1, v75 :: v_dual_sub_f32 v1, v68, v2
	s_delay_alu instid0(VALU_DEP_1)
	v_sub_f32_e32 v2, v69, v36
	scratch_store_b64 off, v[1:2], off offset:56
	v_cmpx_lt_u32_e32 6, v0
	s_cbranch_execz .LBB79_97
; %bb.96:
	scratch_load_b64 v[1:2], off, off offset:48
	v_mov_b32_e32 v36, 0
	s_delay_alu instid0(VALU_DEP_1)
	v_mov_b32_e32 v37, v36
	scratch_store_b64 off, v[36:37], off offset:48
	s_wait_loadcnt 0x0
	ds_store_b64 v3, v[1:2]
.LBB79_97:
	s_wait_alu 0xfffe
	s_or_b32 exec_lo, exec_lo, s0
	s_wait_storecnt_dscnt 0x0
	s_barrier_signal -1
	s_barrier_wait -1
	global_inv scope:SCOPE_SE
	s_clause 0x5
	scratch_load_b128 v[36:39], off, off offset:56
	scratch_load_b128 v[40:43], off, off offset:72
	;; [unrolled: 1-line block ×4, first 2 shown]
	scratch_load_b64 v[68:69], off, off offset:120
	scratch_load_b64 v[70:71], off, off offset:48
	v_mov_b32_e32 v1, 0
	ds_load_2addr_b64 v[52:55], v1 offset0:23 offset1:24
	ds_load_2addr_b64 v[56:59], v1 offset0:25 offset1:26
	;; [unrolled: 1-line block ×4, first 2 shown]
	ds_load_b64 v[72:73], v1 offset:248
	s_mov_b32 s0, exec_lo
	s_wait_loadcnt_dscnt 0x504
	v_mul_f32_e32 v2, v52, v37
	s_wait_loadcnt_dscnt 0x403
	v_dual_mul_f32 v74, v54, v39 :: v_dual_mul_f32 v75, v56, v41
	s_wait_loadcnt_dscnt 0x302
	v_dual_mul_f32 v78, v62, v47 :: v_dual_mul_f32 v37, v53, v37
	s_wait_loadcnt_dscnt 0x100
	v_dual_mul_f32 v81, v72, v69 :: v_dual_fmac_f32 v2, v53, v36
	v_mul_f32_e32 v39, v55, v39
	v_dual_mul_f32 v76, v58, v43 :: v_dual_mul_f32 v77, v60, v45
	v_fma_f32 v37, v52, v36, -v37
	v_fmac_f32_e32 v74, v55, v38
	v_add_f32_e32 v2, 0, v2
	v_mul_f32_e32 v36, v57, v41
	v_fma_f32 v38, v54, v38, -v39
	v_add_f32_e32 v37, 0, v37
	v_mul_f32_e32 v39, v59, v43
	v_dual_fmac_f32 v75, v57, v40 :: v_dual_add_f32 v2, v2, v74
	v_dual_fmac_f32 v76, v59, v42 :: v_dual_fmac_f32 v77, v61, v44
	s_delay_alu instid0(VALU_DEP_4) | instskip(SKIP_1) | instid1(VALU_DEP_4)
	v_add_f32_e32 v37, v37, v38
	v_dual_mul_f32 v79, v64, v49 :: v_dual_mul_f32 v80, v66, v51
	v_add_f32_e32 v2, v2, v75
	v_dual_fmac_f32 v78, v63, v46 :: v_dual_fmac_f32 v81, v73, v68
	s_delay_alu instid0(VALU_DEP_3) | instskip(NEXT) | instid1(VALU_DEP_3)
	v_dual_fmac_f32 v79, v65, v48 :: v_dual_fmac_f32 v80, v67, v50
	v_add_f32_e32 v2, v2, v76
	v_fma_f32 v36, v56, v40, -v36
	v_mul_f32_e32 v38, v61, v45
	v_fma_f32 v39, v58, v42, -v39
	s_delay_alu instid0(VALU_DEP_4) | instskip(NEXT) | instid1(VALU_DEP_1)
	v_add_f32_e32 v2, v2, v77
	v_add_f32_e32 v2, v2, v78
	s_delay_alu instid0(VALU_DEP_1) | instskip(NEXT) | instid1(VALU_DEP_1)
	v_add_f32_e32 v2, v2, v79
	v_add_f32_e32 v2, v2, v80
	s_delay_alu instid0(VALU_DEP_1) | instskip(SKIP_2) | instid1(VALU_DEP_2)
	v_add_f32_e32 v2, v2, v81
	v_dual_add_f32 v36, v37, v36 :: v_dual_mul_f32 v37, v63, v47
	v_fma_f32 v38, v60, v44, -v38
	v_dual_add_f32 v36, v36, v39 :: v_dual_mul_f32 v39, v65, v49
	s_delay_alu instid0(VALU_DEP_3) | instskip(NEXT) | instid1(VALU_DEP_2)
	v_fma_f32 v37, v62, v46, -v37
	v_add_f32_e32 v36, v36, v38
	v_mul_f32_e32 v38, v67, v51
	s_delay_alu instid0(VALU_DEP_4) | instskip(NEXT) | instid1(VALU_DEP_3)
	v_fma_f32 v39, v64, v48, -v39
	v_add_f32_e32 v36, v36, v37
	v_mul_f32_e32 v37, v73, v69
	s_delay_alu instid0(VALU_DEP_4) | instskip(NEXT) | instid1(VALU_DEP_3)
	v_fma_f32 v38, v66, v50, -v38
	v_add_f32_e32 v36, v36, v39
	s_delay_alu instid0(VALU_DEP_3) | instskip(NEXT) | instid1(VALU_DEP_2)
	v_fma_f32 v37, v72, v68, -v37
	v_add_f32_e32 v36, v36, v38
	s_wait_loadcnt 0x0
	s_delay_alu instid0(VALU_DEP_1) | instskip(NEXT) | instid1(VALU_DEP_1)
	v_dual_add_f32 v36, v36, v37 :: v_dual_sub_f32 v37, v71, v2
	v_sub_f32_e32 v36, v70, v36
	scratch_store_b64 off, v[36:37], off offset:48
	v_cmpx_lt_u32_e32 5, v0
	s_cbranch_execz .LBB79_99
; %bb.98:
	scratch_load_b64 v[36:37], off, off offset:40
	v_mov_b32_e32 v2, v1
	scratch_store_b64 off, v[1:2], off offset:40
	s_wait_loadcnt 0x0
	ds_store_b64 v3, v[36:37]
.LBB79_99:
	s_wait_alu 0xfffe
	s_or_b32 exec_lo, exec_lo, s0
	s_wait_storecnt_dscnt 0x0
	s_barrier_signal -1
	s_barrier_wait -1
	global_inv scope:SCOPE_SE
	s_clause 0x5
	scratch_load_b128 v[36:39], off, off offset:48
	scratch_load_b128 v[40:43], off, off offset:64
	;; [unrolled: 1-line block ×5, first 2 shown]
	scratch_load_b64 v[76:77], off, off offset:40
	ds_load_b128 v[56:59], v1 offset:176
	ds_load_b128 v[60:63], v1 offset:192
	;; [unrolled: 1-line block ×5, first 2 shown]
	s_mov_b32 s0, exec_lo
	s_wait_loadcnt_dscnt 0x504
	v_dual_mul_f32 v1, v56, v37 :: v_dual_mul_f32 v2, v58, v39
	v_mul_f32_e32 v37, v57, v37
	s_wait_loadcnt_dscnt 0x403
	v_dual_mul_f32 v39, v59, v39 :: v_dual_mul_f32 v78, v60, v41
	s_delay_alu instid0(VALU_DEP_3) | instskip(NEXT) | instid1(VALU_DEP_3)
	v_dual_mul_f32 v79, v62, v43 :: v_dual_fmac_f32 v2, v59, v38
	v_fma_f32 v37, v56, v36, -v37
	v_fmac_f32_e32 v1, v57, v36
	v_mul_f32_e32 v36, v61, v41
	v_fma_f32 v38, v58, v38, -v39
	v_mul_f32_e32 v39, v63, v43
	v_dual_add_f32 v37, 0, v37 :: v_dual_fmac_f32 v78, v61, v40
	s_delay_alu instid0(VALU_DEP_4) | instskip(SKIP_2) | instid1(VALU_DEP_3)
	v_fma_f32 v36, v60, v40, -v36
	s_wait_loadcnt_dscnt 0x302
	v_dual_mul_f32 v80, v64, v45 :: v_dual_mul_f32 v81, v66, v47
	v_add_f32_e32 v37, v37, v38
	v_fmac_f32_e32 v79, v63, v42
	v_fma_f32 v38, v62, v42, -v39
	s_wait_loadcnt_dscnt 0x201
	v_dual_mul_f32 v82, v68, v49 :: v_dual_mul_f32 v83, v70, v51
	v_dual_add_f32 v36, v37, v36 :: v_dual_mul_f32 v37, v67, v47
	v_fmac_f32_e32 v80, v65, v44
	s_wait_loadcnt_dscnt 0x100
	v_dual_mul_f32 v84, v72, v53 :: v_dual_mul_f32 v85, v74, v55
	s_delay_alu instid0(VALU_DEP_3) | instskip(SKIP_3) | instid1(VALU_DEP_4)
	v_dual_add_f32 v36, v36, v38 :: v_dual_add_f32 v1, 0, v1
	v_mul_f32_e32 v38, v69, v49
	v_fma_f32 v37, v66, v46, -v37
	v_dual_fmac_f32 v81, v67, v46 :: v_dual_fmac_f32 v82, v69, v48
	v_add_f32_e32 v1, v1, v2
	v_mul_f32_e32 v2, v65, v45
	v_fma_f32 v38, v68, v48, -v38
	v_dual_fmac_f32 v83, v71, v50 :: v_dual_fmac_f32 v84, v73, v52
	s_delay_alu instid0(VALU_DEP_3) | instskip(NEXT) | instid1(VALU_DEP_1)
	v_fma_f32 v2, v64, v44, -v2
	v_add_f32_e32 v2, v36, v2
	v_mul_f32_e32 v36, v71, v51
	s_delay_alu instid0(VALU_DEP_2) | instskip(SKIP_1) | instid1(VALU_DEP_3)
	v_dual_add_f32 v2, v2, v37 :: v_dual_add_f32 v1, v1, v78
	v_mul_f32_e32 v37, v73, v53
	v_fma_f32 v36, v70, v50, -v36
	s_delay_alu instid0(VALU_DEP_3) | instskip(SKIP_3) | instid1(VALU_DEP_4)
	v_add_f32_e32 v2, v2, v38
	v_mul_f32_e32 v38, v75, v55
	v_add_f32_e32 v1, v1, v79
	v_fma_f32 v37, v72, v52, -v37
	v_dual_add_f32 v2, v2, v36 :: v_dual_fmac_f32 v85, v75, v54
	s_delay_alu instid0(VALU_DEP_3) | instskip(SKIP_1) | instid1(VALU_DEP_3)
	v_add_f32_e32 v1, v1, v80
	v_fma_f32 v36, v74, v54, -v38
	v_add_f32_e32 v2, v2, v37
	s_delay_alu instid0(VALU_DEP_1) | instskip(NEXT) | instid1(VALU_DEP_1)
	v_dual_add_f32 v1, v1, v81 :: v_dual_add_f32 v2, v2, v36
	v_add_f32_e32 v1, v1, v82
	s_delay_alu instid0(VALU_DEP_1) | instskip(NEXT) | instid1(VALU_DEP_1)
	v_add_f32_e32 v1, v1, v83
	v_add_f32_e32 v1, v1, v84
	s_wait_loadcnt 0x0
	s_delay_alu instid0(VALU_DEP_1) | instskip(NEXT) | instid1(VALU_DEP_1)
	v_dual_add_f32 v36, v1, v85 :: v_dual_sub_f32 v1, v76, v2
	v_sub_f32_e32 v2, v77, v36
	scratch_store_b64 off, v[1:2], off offset:40
	v_cmpx_lt_u32_e32 4, v0
	s_cbranch_execz .LBB79_101
; %bb.100:
	scratch_load_b64 v[1:2], off, off offset:32
	v_mov_b32_e32 v36, 0
	s_delay_alu instid0(VALU_DEP_1)
	v_mov_b32_e32 v37, v36
	scratch_store_b64 off, v[36:37], off offset:32
	s_wait_loadcnt 0x0
	ds_store_b64 v3, v[1:2]
.LBB79_101:
	s_wait_alu 0xfffe
	s_or_b32 exec_lo, exec_lo, s0
	s_wait_storecnt_dscnt 0x0
	s_barrier_signal -1
	s_barrier_wait -1
	global_inv scope:SCOPE_SE
	s_clause 0x6
	scratch_load_b128 v[36:39], off, off offset:40
	scratch_load_b128 v[40:43], off, off offset:56
	;; [unrolled: 1-line block ×5, first 2 shown]
	scratch_load_b64 v[76:77], off, off offset:120
	scratch_load_b64 v[78:79], off, off offset:32
	v_mov_b32_e32 v1, 0
	ds_load_2addr_b64 v[56:59], v1 offset0:21 offset1:22
	ds_load_2addr_b64 v[60:63], v1 offset0:23 offset1:24
	;; [unrolled: 1-line block ×5, first 2 shown]
	ds_load_b64 v[80:81], v1 offset:248
	s_mov_b32 s0, exec_lo
	s_wait_loadcnt_dscnt 0x605
	v_mul_f32_e32 v2, v56, v37
	v_dual_mul_f32 v37, v57, v37 :: v_dual_mul_f32 v82, v58, v39
	s_wait_loadcnt_dscnt 0x302
	v_dual_mul_f32 v83, v60, v41 :: v_dual_mul_f32 v88, v70, v51
	s_wait_loadcnt_dscnt 0x100
	v_dual_mul_f32 v91, v80, v77 :: v_dual_fmac_f32 v2, v57, v36
	v_mul_f32_e32 v39, v59, v39
	v_fma_f32 v37, v56, v36, -v37
	v_mul_f32_e32 v36, v61, v41
	v_fmac_f32_e32 v82, v59, v38
	v_add_f32_e32 v2, 0, v2
	v_fma_f32 v38, v58, v38, -v39
	v_add_f32_e32 v37, 0, v37
	v_mul_f32_e32 v39, v63, v43
	s_delay_alu instid0(VALU_DEP_4) | instskip(SKIP_1) | instid1(VALU_DEP_4)
	v_dual_fmac_f32 v83, v61, v40 :: v_dual_add_f32 v2, v2, v82
	v_fma_f32 v36, v60, v40, -v36
	v_dual_add_f32 v37, v37, v38 :: v_dual_mul_f32 v84, v62, v43
	v_mul_f32_e32 v85, v64, v45
	v_mul_f32_e32 v38, v65, v45
	v_fma_f32 v39, v62, v42, -v39
	v_add_f32_e32 v2, v2, v83
	v_add_f32_e32 v36, v37, v36
	v_dual_fmac_f32 v84, v63, v42 :: v_dual_fmac_f32 v85, v65, v44
	v_mul_f32_e32 v37, v67, v47
	v_fma_f32 v38, v64, v44, -v38
	s_delay_alu instid0(VALU_DEP_4) | instskip(SKIP_4) | instid1(VALU_DEP_3)
	v_dual_add_f32 v36, v36, v39 :: v_dual_mul_f32 v39, v69, v49
	v_dual_mul_f32 v86, v66, v47 :: v_dual_mul_f32 v87, v68, v49
	v_dual_mul_f32 v89, v72, v53 :: v_dual_mul_f32 v90, v74, v55
	v_add_f32_e32 v2, v2, v84
	v_fma_f32 v37, v66, v46, -v37
	v_dual_add_f32 v36, v36, v38 :: v_dual_fmac_f32 v89, v73, v52
	v_dual_fmac_f32 v86, v67, v46 :: v_dual_fmac_f32 v87, v69, v48
	v_mul_f32_e32 v38, v71, v51
	s_delay_alu instid0(VALU_DEP_3)
	v_add_f32_e32 v36, v36, v37
	v_mul_f32_e32 v37, v73, v53
	v_dual_add_f32 v2, v2, v85 :: v_dual_fmac_f32 v91, v81, v76
	v_fma_f32 v39, v68, v48, -v39
	v_fmac_f32_e32 v88, v71, v50
	v_fma_f32 v38, v70, v50, -v38
	s_delay_alu instid0(VALU_DEP_4)
	v_add_f32_e32 v2, v2, v86
	v_fma_f32 v37, v72, v52, -v37
	v_add_f32_e32 v36, v36, v39
	v_mul_f32_e32 v39, v75, v55
	v_fmac_f32_e32 v90, v75, v54
	v_add_f32_e32 v2, v2, v87
	s_delay_alu instid0(VALU_DEP_4) | instskip(SKIP_2) | instid1(VALU_DEP_4)
	v_add_f32_e32 v36, v36, v38
	v_mul_f32_e32 v38, v81, v77
	v_fma_f32 v39, v74, v54, -v39
	v_add_f32_e32 v2, v2, v88
	s_delay_alu instid0(VALU_DEP_4) | instskip(NEXT) | instid1(VALU_DEP_4)
	v_add_f32_e32 v36, v36, v37
	v_fma_f32 v37, v80, v76, -v38
	s_delay_alu instid0(VALU_DEP_3) | instskip(NEXT) | instid1(VALU_DEP_3)
	v_add_f32_e32 v2, v2, v89
	v_add_f32_e32 v36, v36, v39
	s_delay_alu instid0(VALU_DEP_2) | instskip(NEXT) | instid1(VALU_DEP_2)
	v_add_f32_e32 v2, v2, v90
	v_add_f32_e32 v36, v36, v37
	s_delay_alu instid0(VALU_DEP_2) | instskip(SKIP_1) | instid1(VALU_DEP_1)
	v_add_f32_e32 v2, v2, v91
	s_wait_loadcnt 0x0
	v_dual_sub_f32 v36, v78, v36 :: v_dual_sub_f32 v37, v79, v2
	scratch_store_b64 off, v[36:37], off offset:32
	v_cmpx_lt_u32_e32 3, v0
	s_cbranch_execz .LBB79_103
; %bb.102:
	scratch_load_b64 v[36:37], off, off offset:24
	v_mov_b32_e32 v2, v1
	scratch_store_b64 off, v[1:2], off offset:24
	s_wait_loadcnt 0x0
	ds_store_b64 v3, v[36:37]
.LBB79_103:
	s_wait_alu 0xfffe
	s_or_b32 exec_lo, exec_lo, s0
	s_wait_storecnt_dscnt 0x0
	s_barrier_signal -1
	s_barrier_wait -1
	global_inv scope:SCOPE_SE
	s_clause 0x6
	scratch_load_b128 v[36:39], off, off offset:32
	scratch_load_b128 v[40:43], off, off offset:48
	;; [unrolled: 1-line block ×6, first 2 shown]
	scratch_load_b64 v[84:85], off, off offset:24
	ds_load_b128 v[60:63], v1 offset:160
	ds_load_b128 v[64:67], v1 offset:176
	;; [unrolled: 1-line block ×6, first 2 shown]
	s_mov_b32 s0, exec_lo
	s_wait_loadcnt_dscnt 0x605
	v_dual_mul_f32 v1, v60, v37 :: v_dual_mul_f32 v2, v62, v39
	v_mul_f32_e32 v37, v61, v37
	s_wait_loadcnt_dscnt 0x504
	v_dual_mul_f32 v39, v63, v39 :: v_dual_mul_f32 v86, v64, v41
	s_delay_alu instid0(VALU_DEP_3) | instskip(NEXT) | instid1(VALU_DEP_3)
	v_dual_mul_f32 v87, v66, v43 :: v_dual_fmac_f32 v2, v63, v38
	v_fma_f32 v37, v60, v36, -v37
	v_fmac_f32_e32 v1, v61, v36
	v_mul_f32_e32 v36, v65, v41
	v_fma_f32 v38, v62, v38, -v39
	v_mul_f32_e32 v39, v67, v43
	v_dual_add_f32 v37, 0, v37 :: v_dual_fmac_f32 v86, v65, v40
	s_delay_alu instid0(VALU_DEP_4) | instskip(SKIP_2) | instid1(VALU_DEP_3)
	v_fma_f32 v36, v64, v40, -v36
	s_wait_loadcnt_dscnt 0x403
	v_dual_mul_f32 v88, v68, v45 :: v_dual_mul_f32 v89, v70, v47
	v_add_f32_e32 v37, v37, v38
	v_fmac_f32_e32 v87, v67, v42
	v_fma_f32 v38, v66, v42, -v39
	s_wait_loadcnt_dscnt 0x302
	v_dual_mul_f32 v90, v72, v49 :: v_dual_mul_f32 v91, v74, v51
	v_dual_add_f32 v36, v37, v36 :: v_dual_mul_f32 v37, v71, v47
	v_fmac_f32_e32 v88, v69, v44
	s_wait_loadcnt_dscnt 0x201
	v_dual_mul_f32 v92, v76, v53 :: v_dual_mul_f32 v93, v78, v55
	s_delay_alu instid0(VALU_DEP_3) | instskip(SKIP_3) | instid1(VALU_DEP_4)
	v_dual_add_f32 v36, v36, v38 :: v_dual_add_f32 v1, 0, v1
	v_mul_f32_e32 v38, v73, v49
	v_fma_f32 v37, v70, v46, -v37
	v_dual_fmac_f32 v89, v71, v46 :: v_dual_fmac_f32 v90, v73, v48
	v_add_f32_e32 v1, v1, v2
	v_mul_f32_e32 v2, v69, v45
	v_fma_f32 v38, v72, v48, -v38
	v_dual_fmac_f32 v91, v75, v50 :: v_dual_fmac_f32 v92, v77, v52
	s_wait_loadcnt_dscnt 0x100
	v_dual_mul_f32 v94, v80, v57 :: v_dual_mul_f32 v95, v82, v59
	v_fma_f32 v2, v68, v44, -v2
	s_delay_alu instid0(VALU_DEP_2) | instskip(NEXT) | instid1(VALU_DEP_3)
	v_dual_fmac_f32 v93, v79, v54 :: v_dual_fmac_f32 v94, v81, v56
	v_fmac_f32_e32 v95, v83, v58
	s_delay_alu instid0(VALU_DEP_3) | instskip(SKIP_1) | instid1(VALU_DEP_2)
	v_add_f32_e32 v2, v36, v2
	v_mul_f32_e32 v36, v75, v51
	v_dual_add_f32 v2, v2, v37 :: v_dual_add_f32 v1, v1, v86
	v_mul_f32_e32 v37, v77, v53
	s_delay_alu instid0(VALU_DEP_3) | instskip(NEXT) | instid1(VALU_DEP_3)
	v_fma_f32 v36, v74, v50, -v36
	v_add_f32_e32 v2, v2, v38
	v_mul_f32_e32 v38, v79, v55
	v_add_f32_e32 v1, v1, v87
	v_fma_f32 v37, v76, v52, -v37
	s_delay_alu instid0(VALU_DEP_4) | instskip(SKIP_1) | instid1(VALU_DEP_4)
	v_add_f32_e32 v2, v2, v36
	v_mul_f32_e32 v36, v81, v57
	v_add_f32_e32 v1, v1, v88
	v_fma_f32 v38, v78, v54, -v38
	s_delay_alu instid0(VALU_DEP_4) | instskip(NEXT) | instid1(VALU_DEP_3)
	v_dual_add_f32 v2, v2, v37 :: v_dual_mul_f32 v37, v83, v59
	v_add_f32_e32 v1, v1, v89
	v_fma_f32 v36, v80, v56, -v36
	s_delay_alu instid0(VALU_DEP_3) | instskip(NEXT) | instid1(VALU_DEP_4)
	v_add_f32_e32 v2, v2, v38
	v_fma_f32 v37, v82, v58, -v37
	s_delay_alu instid0(VALU_DEP_2) | instskip(NEXT) | instid1(VALU_DEP_1)
	v_dual_add_f32 v1, v1, v90 :: v_dual_add_f32 v2, v2, v36
	v_dual_add_f32 v1, v1, v91 :: v_dual_add_f32 v2, v2, v37
	s_delay_alu instid0(VALU_DEP_1) | instskip(NEXT) | instid1(VALU_DEP_1)
	v_add_f32_e32 v1, v1, v92
	v_add_f32_e32 v1, v1, v93
	s_delay_alu instid0(VALU_DEP_1) | instskip(SKIP_1) | instid1(VALU_DEP_1)
	v_add_f32_e32 v1, v1, v94
	s_wait_loadcnt 0x0
	v_dual_add_f32 v36, v1, v95 :: v_dual_sub_f32 v1, v84, v2
	s_delay_alu instid0(VALU_DEP_1)
	v_sub_f32_e32 v2, v85, v36
	scratch_store_b64 off, v[1:2], off offset:24
	v_cmpx_lt_u32_e32 2, v0
	s_cbranch_execz .LBB79_105
; %bb.104:
	scratch_load_b64 v[1:2], off, off offset:16
	v_mov_b32_e32 v36, 0
	s_delay_alu instid0(VALU_DEP_1)
	v_mov_b32_e32 v37, v36
	scratch_store_b64 off, v[36:37], off offset:16
	s_wait_loadcnt 0x0
	ds_store_b64 v3, v[1:2]
.LBB79_105:
	s_wait_alu 0xfffe
	s_or_b32 exec_lo, exec_lo, s0
	s_wait_storecnt_dscnt 0x0
	s_barrier_signal -1
	s_barrier_wait -1
	global_inv scope:SCOPE_SE
	s_clause 0x7
	scratch_load_b128 v[36:39], off, off offset:24
	scratch_load_b128 v[40:43], off, off offset:40
	;; [unrolled: 1-line block ×6, first 2 shown]
	scratch_load_b64 v[84:85], off, off offset:120
	scratch_load_b64 v[86:87], off, off offset:16
	v_mov_b32_e32 v1, 0
	ds_load_2addr_b64 v[60:63], v1 offset0:19 offset1:20
	ds_load_2addr_b64 v[64:67], v1 offset0:21 offset1:22
	;; [unrolled: 1-line block ×6, first 2 shown]
	ds_load_b64 v[88:89], v1 offset:248
	s_mov_b32 s0, exec_lo
	s_wait_loadcnt_dscnt 0x706
	v_mul_f32_e32 v2, v60, v37
	v_dual_mul_f32 v37, v61, v37 :: v_dual_mul_f32 v90, v62, v39
	s_wait_loadcnt_dscnt 0x302
	v_dual_mul_f32 v91, v64, v41 :: v_dual_mul_f32 v98, v78, v55
	v_mul_f32_e32 v39, v63, v39
	s_wait_loadcnt_dscnt 0x100
	v_dual_mul_f32 v101, v88, v85 :: v_dual_fmac_f32 v2, v61, v36
	v_fma_f32 v37, v60, v36, -v37
	v_mul_f32_e32 v36, v65, v41
	v_fmac_f32_e32 v90, v63, v38
	v_fma_f32 v38, v62, v38, -v39
	v_dual_add_f32 v2, 0, v2 :: v_dual_mul_f32 v39, v67, v43
	v_add_f32_e32 v37, 0, v37
	v_fmac_f32_e32 v91, v65, v40
	v_fma_f32 v36, v64, v40, -v36
	s_delay_alu instid0(VALU_DEP_4)
	v_add_f32_e32 v2, v2, v90
	v_fma_f32 v39, v66, v42, -v39
	v_add_f32_e32 v37, v37, v38
	v_mul_f32_e32 v38, v69, v45
	v_dual_mul_f32 v92, v66, v43 :: v_dual_mul_f32 v93, v68, v45
	v_add_f32_e32 v2, v2, v91
	s_delay_alu instid0(VALU_DEP_4) | instskip(NEXT) | instid1(VALU_DEP_4)
	v_dual_add_f32 v36, v37, v36 :: v_dual_mul_f32 v37, v71, v47
	v_fma_f32 v38, v68, v44, -v38
	v_dual_mul_f32 v96, v74, v51 :: v_dual_mul_f32 v97, v76, v53
	s_delay_alu instid0(VALU_DEP_3) | instskip(NEXT) | instid1(VALU_DEP_4)
	v_dual_add_f32 v36, v36, v39 :: v_dual_mul_f32 v39, v73, v49
	v_fma_f32 v37, v70, v46, -v37
	v_dual_mul_f32 v99, v80, v57 :: v_dual_mul_f32 v100, v82, v59
	s_delay_alu instid0(VALU_DEP_3) | instskip(SKIP_1) | instid1(VALU_DEP_3)
	v_dual_add_f32 v36, v36, v38 :: v_dual_fmac_f32 v97, v77, v52
	v_dual_fmac_f32 v92, v67, v42 :: v_dual_fmac_f32 v93, v69, v44
	v_dual_mul_f32 v38, v75, v51 :: v_dual_fmac_f32 v99, v81, v56
	v_fma_f32 v39, v72, v48, -v39
	s_delay_alu instid0(VALU_DEP_4) | instskip(SKIP_3) | instid1(VALU_DEP_4)
	v_dual_add_f32 v36, v36, v37 :: v_dual_fmac_f32 v101, v89, v84
	v_dual_mul_f32 v94, v70, v47 :: v_dual_mul_f32 v95, v72, v49
	v_dual_add_f32 v2, v2, v92 :: v_dual_mul_f32 v37, v77, v53
	v_fma_f32 v38, v74, v50, -v38
	v_add_f32_e32 v36, v36, v39
	s_delay_alu instid0(VALU_DEP_4) | instskip(NEXT) | instid1(VALU_DEP_4)
	v_dual_fmac_f32 v94, v71, v46 :: v_dual_fmac_f32 v95, v73, v48
	v_dual_add_f32 v2, v2, v93 :: v_dual_mul_f32 v39, v79, v55
	v_fma_f32 v37, v76, v52, -v37
	s_delay_alu instid0(VALU_DEP_4)
	v_add_f32_e32 v36, v36, v38
	v_fmac_f32_e32 v96, v75, v50
	v_mul_f32_e32 v38, v81, v57
	v_fma_f32 v39, v78, v54, -v39
	v_fmac_f32_e32 v98, v79, v54
	v_dual_add_f32 v36, v36, v37 :: v_dual_mul_f32 v37, v83, v59
	v_add_f32_e32 v2, v2, v94
	v_fma_f32 v38, v80, v56, -v38
	v_fmac_f32_e32 v100, v83, v58
	s_delay_alu instid0(VALU_DEP_4) | instskip(NEXT) | instid1(VALU_DEP_4)
	v_dual_add_f32 v36, v36, v39 :: v_dual_mul_f32 v39, v89, v85
	v_add_f32_e32 v2, v2, v95
	v_fma_f32 v37, v82, v58, -v37
	s_delay_alu instid0(VALU_DEP_3) | instskip(NEXT) | instid1(VALU_DEP_4)
	v_add_f32_e32 v36, v36, v38
	v_fma_f32 v38, v88, v84, -v39
	s_delay_alu instid0(VALU_DEP_4) | instskip(NEXT) | instid1(VALU_DEP_3)
	v_add_f32_e32 v2, v2, v96
	v_add_f32_e32 v36, v36, v37
	s_delay_alu instid0(VALU_DEP_2) | instskip(NEXT) | instid1(VALU_DEP_2)
	v_add_f32_e32 v2, v2, v97
	v_add_f32_e32 v36, v36, v38
	s_delay_alu instid0(VALU_DEP_2) | instskip(SKIP_1) | instid1(VALU_DEP_2)
	v_add_f32_e32 v2, v2, v98
	s_wait_loadcnt 0x0
	v_sub_f32_e32 v36, v86, v36
	s_delay_alu instid0(VALU_DEP_2) | instskip(NEXT) | instid1(VALU_DEP_1)
	v_add_f32_e32 v2, v2, v99
	v_add_f32_e32 v2, v2, v100
	s_delay_alu instid0(VALU_DEP_1) | instskip(NEXT) | instid1(VALU_DEP_1)
	v_add_f32_e32 v2, v2, v101
	v_sub_f32_e32 v37, v87, v2
	scratch_store_b64 off, v[36:37], off offset:16
	v_cmpx_lt_u32_e32 1, v0
	s_cbranch_execz .LBB79_107
; %bb.106:
	scratch_load_b64 v[36:37], off, off offset:8
	v_mov_b32_e32 v2, v1
	scratch_store_b64 off, v[1:2], off offset:8
	s_wait_loadcnt 0x0
	ds_store_b64 v3, v[36:37]
.LBB79_107:
	s_wait_alu 0xfffe
	s_or_b32 exec_lo, exec_lo, s0
	s_wait_storecnt_dscnt 0x0
	s_barrier_signal -1
	s_barrier_wait -1
	global_inv scope:SCOPE_SE
	s_clause 0x7
	scratch_load_b128 v[36:39], off, off offset:16
	scratch_load_b128 v[40:43], off, off offset:32
	;; [unrolled: 1-line block ×7, first 2 shown]
	scratch_load_b64 v[92:93], off, off offset:8
	ds_load_b128 v[64:67], v1 offset:144
	ds_load_b128 v[68:71], v1 offset:160
	;; [unrolled: 1-line block ×7, first 2 shown]
	s_mov_b32 s0, exec_lo
	s_wait_loadcnt_dscnt 0x706
	v_dual_mul_f32 v1, v64, v37 :: v_dual_mul_f32 v2, v66, v39
	v_mul_f32_e32 v37, v65, v37
	s_wait_loadcnt_dscnt 0x605
	v_dual_mul_f32 v39, v67, v39 :: v_dual_mul_f32 v94, v68, v41
	s_delay_alu instid0(VALU_DEP_3) | instskip(NEXT) | instid1(VALU_DEP_3)
	v_dual_mul_f32 v95, v70, v43 :: v_dual_fmac_f32 v2, v67, v38
	v_fma_f32 v37, v64, v36, -v37
	v_fmac_f32_e32 v1, v65, v36
	v_mul_f32_e32 v36, v69, v41
	v_fma_f32 v38, v66, v38, -v39
	v_mul_f32_e32 v39, v71, v43
	v_dual_add_f32 v37, 0, v37 :: v_dual_fmac_f32 v94, v69, v40
	s_delay_alu instid0(VALU_DEP_4) | instskip(SKIP_2) | instid1(VALU_DEP_3)
	v_fma_f32 v36, v68, v40, -v36
	s_wait_loadcnt_dscnt 0x504
	v_dual_mul_f32 v96, v72, v45 :: v_dual_mul_f32 v97, v74, v47
	v_add_f32_e32 v37, v37, v38
	v_fmac_f32_e32 v95, v71, v42
	v_fma_f32 v38, v70, v42, -v39
	s_wait_loadcnt_dscnt 0x403
	v_dual_mul_f32 v98, v76, v49 :: v_dual_mul_f32 v99, v78, v51
	v_dual_add_f32 v36, v37, v36 :: v_dual_mul_f32 v37, v75, v47
	v_fmac_f32_e32 v96, v73, v44
	s_wait_loadcnt_dscnt 0x302
	v_dual_mul_f32 v100, v80, v53 :: v_dual_mul_f32 v101, v82, v55
	s_delay_alu instid0(VALU_DEP_3) | instskip(SKIP_3) | instid1(VALU_DEP_4)
	v_dual_add_f32 v36, v36, v38 :: v_dual_add_f32 v1, 0, v1
	v_mul_f32_e32 v38, v77, v49
	v_fma_f32 v37, v74, v46, -v37
	v_dual_fmac_f32 v97, v75, v46 :: v_dual_fmac_f32 v98, v77, v48
	v_add_f32_e32 v1, v1, v2
	v_mul_f32_e32 v2, v73, v45
	v_fma_f32 v38, v76, v48, -v38
	v_dual_fmac_f32 v99, v79, v50 :: v_dual_fmac_f32 v100, v81, v52
	s_wait_loadcnt_dscnt 0x201
	v_dual_mul_f32 v102, v84, v57 :: v_dual_mul_f32 v103, v86, v59
	v_fma_f32 v2, v72, v44, -v2
	s_wait_loadcnt_dscnt 0x100
	v_dual_mul_f32 v104, v88, v61 :: v_dual_mul_f32 v105, v90, v63
	s_delay_alu instid0(VALU_DEP_3) | instskip(NEXT) | instid1(VALU_DEP_3)
	v_dual_fmac_f32 v101, v83, v54 :: v_dual_fmac_f32 v102, v85, v56
	v_add_f32_e32 v2, v36, v2
	v_mul_f32_e32 v36, v79, v51
	s_delay_alu instid0(VALU_DEP_4) | instskip(NEXT) | instid1(VALU_DEP_3)
	v_dual_fmac_f32 v104, v89, v60 :: v_dual_fmac_f32 v105, v91, v62
	v_dual_fmac_f32 v103, v87, v58 :: v_dual_add_f32 v2, v2, v37
	v_add_f32_e32 v1, v1, v94
	v_mul_f32_e32 v37, v81, v53
	v_fma_f32 v36, v78, v50, -v36
	s_delay_alu instid0(VALU_DEP_4) | instskip(SKIP_3) | instid1(VALU_DEP_4)
	v_add_f32_e32 v2, v2, v38
	v_mul_f32_e32 v38, v83, v55
	v_add_f32_e32 v1, v1, v95
	v_fma_f32 v37, v80, v52, -v37
	v_add_f32_e32 v2, v2, v36
	v_mul_f32_e32 v36, v85, v57
	s_delay_alu instid0(VALU_DEP_4) | instskip(SKIP_1) | instid1(VALU_DEP_4)
	v_add_f32_e32 v1, v1, v96
	v_fma_f32 v38, v82, v54, -v38
	v_dual_add_f32 v2, v2, v37 :: v_dual_mul_f32 v37, v87, v59
	s_delay_alu instid0(VALU_DEP_3) | instskip(SKIP_1) | instid1(VALU_DEP_3)
	v_add_f32_e32 v1, v1, v97
	v_fma_f32 v36, v84, v56, -v36
	v_add_f32_e32 v2, v2, v38
	s_delay_alu instid0(VALU_DEP_4) | instskip(NEXT) | instid1(VALU_DEP_4)
	v_fma_f32 v37, v86, v58, -v37
	v_add_f32_e32 v1, v1, v98
	v_mul_f32_e32 v38, v89, v61
	s_delay_alu instid0(VALU_DEP_4) | instskip(SKIP_1) | instid1(VALU_DEP_4)
	v_add_f32_e32 v2, v2, v36
	v_mul_f32_e32 v36, v91, v63
	v_add_f32_e32 v1, v1, v99
	s_delay_alu instid0(VALU_DEP_4) | instskip(NEXT) | instid1(VALU_DEP_4)
	v_fma_f32 v38, v88, v60, -v38
	v_add_f32_e32 v2, v2, v37
	s_delay_alu instid0(VALU_DEP_4) | instskip(NEXT) | instid1(VALU_DEP_2)
	v_fma_f32 v36, v90, v62, -v36
	v_dual_add_f32 v1, v1, v100 :: v_dual_add_f32 v2, v2, v38
	s_delay_alu instid0(VALU_DEP_1) | instskip(NEXT) | instid1(VALU_DEP_1)
	v_dual_add_f32 v1, v1, v101 :: v_dual_add_f32 v2, v2, v36
	v_add_f32_e32 v1, v1, v102
	s_delay_alu instid0(VALU_DEP_1) | instskip(NEXT) | instid1(VALU_DEP_1)
	v_add_f32_e32 v1, v1, v103
	v_add_f32_e32 v1, v1, v104
	s_wait_loadcnt 0x0
	s_delay_alu instid0(VALU_DEP_1) | instskip(NEXT) | instid1(VALU_DEP_1)
	v_dual_add_f32 v36, v1, v105 :: v_dual_sub_f32 v1, v92, v2
	v_sub_f32_e32 v2, v93, v36
	scratch_store_b64 off, v[1:2], off offset:8
	v_cmpx_ne_u32_e32 0, v0
	s_cbranch_execz .LBB79_109
; %bb.108:
	scratch_load_b64 v[0:1], off, off
	v_mov_b32_e32 v36, 0
	s_delay_alu instid0(VALU_DEP_1)
	v_mov_b32_e32 v37, v36
	scratch_store_b64 off, v[36:37], off
	s_wait_loadcnt 0x0
	ds_store_b64 v3, v[0:1]
.LBB79_109:
	s_wait_alu 0xfffe
	s_or_b32 exec_lo, exec_lo, s0
	s_wait_storecnt_dscnt 0x0
	s_barrier_signal -1
	s_barrier_wait -1
	global_inv scope:SCOPE_SE
	s_clause 0x8
	scratch_load_b128 v[37:40], off, off offset:8
	scratch_load_b128 v[41:44], off, off offset:24
	scratch_load_b128 v[45:48], off, off offset:40
	scratch_load_b128 v[49:52], off, off offset:56
	scratch_load_b128 v[53:56], off, off offset:72
	scratch_load_b128 v[57:60], off, off offset:88
	scratch_load_b128 v[0:3], off, off offset:104
	scratch_load_b64 v[89:90], off, off offset:120
	scratch_load_b64 v[91:92], off, off
	v_mov_b32_e32 v36, 0
	ds_load_2addr_b64 v[61:64], v36 offset0:17 offset1:18
	ds_load_2addr_b64 v[65:68], v36 offset0:19 offset1:20
	;; [unrolled: 1-line block ×7, first 2 shown]
	ds_load_b64 v[93:94], v36 offset:248
	s_and_b32 vcc_lo, exec_lo, s12
	s_wait_loadcnt_dscnt 0x807
	v_dual_mul_f32 v95, v61, v38 :: v_dual_mul_f32 v96, v63, v40
	s_wait_loadcnt_dscnt 0x706
	v_dual_mul_f32 v97, v65, v42 :: v_dual_mul_f32 v40, v64, v40
	;; [unrolled: 2-line block ×3, first 2 shown]
	v_dual_fmac_f32 v95, v62, v37 :: v_dual_fmac_f32 v96, v64, v39
	s_delay_alu instid0(VALU_DEP_3) | instskip(SKIP_1) | instid1(VALU_DEP_4)
	v_fmac_f32_e32 v97, v66, v41
	v_fma_f32 v39, v63, v39, -v40
	v_dual_fmac_f32 v98, v68, v43 :: v_dual_fmac_f32 v99, v70, v45
	s_delay_alu instid0(VALU_DEP_4)
	v_add_f32_e32 v40, 0, v95
	v_mul_f32_e32 v38, v62, v38
	s_wait_loadcnt_dscnt 0x504
	v_dual_mul_f32 v100, v71, v48 :: v_dual_mul_f32 v101, v73, v50
	s_wait_loadcnt_dscnt 0x403
	v_dual_mul_f32 v102, v75, v52 :: v_dual_mul_f32 v103, v77, v54
	v_fma_f32 v38, v61, v37, -v38
	v_dual_mul_f32 v37, v66, v42 :: v_dual_mul_f32 v42, v68, v44
	v_dual_fmac_f32 v100, v72, v47 :: v_dual_fmac_f32 v101, v74, v49
	s_delay_alu instid0(VALU_DEP_3) | instskip(NEXT) | instid1(VALU_DEP_3)
	v_add_f32_e32 v38, 0, v38
	v_fma_f32 v37, v65, v41, -v37
	s_delay_alu instid0(VALU_DEP_4) | instskip(SKIP_1) | instid1(VALU_DEP_4)
	v_fma_f32 v41, v67, v43, -v42
	v_dual_fmac_f32 v102, v76, v51 :: v_dual_fmac_f32 v103, v78, v53
	v_add_f32_e32 v38, v38, v39
	s_wait_loadcnt_dscnt 0x302
	v_dual_mul_f32 v104, v79, v56 :: v_dual_mul_f32 v105, v81, v58
	s_wait_loadcnt_dscnt 0x201
	v_dual_mul_f32 v106, v83, v60 :: v_dual_mul_f32 v107, v85, v1
	v_add_f32_e32 v37, v38, v37
	v_add_f32_e32 v39, v40, v96
	v_dual_fmac_f32 v104, v80, v55 :: v_dual_fmac_f32 v105, v82, v57
	s_delay_alu instid0(VALU_DEP_4) | instskip(NEXT) | instid1(VALU_DEP_3)
	v_dual_mul_f32 v1, v86, v1 :: v_dual_fmac_f32 v106, v84, v59
	v_dual_add_f32 v38, v39, v97 :: v_dual_mul_f32 v39, v72, v48
	v_add_f32_e32 v37, v37, v41
	v_dual_mul_f32 v41, v74, v50 :: v_dual_mul_f32 v108, v87, v3
	s_wait_loadcnt_dscnt 0x100
	v_mul_f32_e32 v109, v93, v90
	v_fma_f32 v39, v71, v47, -v39
	v_mul_f32_e32 v40, v70, v46
	v_fma_f32 v41, v73, v49, -v41
	s_delay_alu instid0(VALU_DEP_4) | instskip(SKIP_1) | instid1(VALU_DEP_4)
	v_dual_fmac_f32 v108, v88, v2 :: v_dual_fmac_f32 v109, v94, v89
	v_fmac_f32_e32 v107, v86, v0
	v_fma_f32 v40, v69, v45, -v40
	v_add_f32_e32 v38, v38, v98
	v_fma_f32 v0, v85, v0, -v1
	s_delay_alu instid0(VALU_DEP_3) | instskip(NEXT) | instid1(VALU_DEP_1)
	v_add_f32_e32 v37, v37, v40
	v_dual_mul_f32 v40, v76, v52 :: v_dual_add_f32 v37, v37, v39
	s_delay_alu instid0(VALU_DEP_4) | instskip(SKIP_1) | instid1(VALU_DEP_3)
	v_add_f32_e32 v38, v38, v99
	v_mul_f32_e32 v39, v78, v54
	v_fma_f32 v40, v75, v51, -v40
	s_delay_alu instid0(VALU_DEP_4) | instskip(SKIP_1) | instid1(VALU_DEP_4)
	v_add_f32_e32 v37, v37, v41
	v_mul_f32_e32 v41, v80, v56
	v_fma_f32 v39, v77, v53, -v39
	s_delay_alu instid0(VALU_DEP_3) | instskip(SKIP_3) | instid1(VALU_DEP_3)
	v_add_f32_e32 v37, v37, v40
	v_add_f32_e32 v38, v38, v100
	v_mul_f32_e32 v40, v82, v58
	v_fma_f32 v41, v79, v55, -v41
	v_dual_add_f32 v37, v37, v39 :: v_dual_add_f32 v38, v38, v101
	v_mul_f32_e32 v39, v84, v60
	s_delay_alu instid0(VALU_DEP_4) | instskip(NEXT) | instid1(VALU_DEP_3)
	v_fma_f32 v40, v81, v57, -v40
	v_dual_add_f32 v37, v37, v41 :: v_dual_add_f32 v38, v38, v102
	s_delay_alu instid0(VALU_DEP_3) | instskip(NEXT) | instid1(VALU_DEP_2)
	v_fma_f32 v39, v83, v59, -v39
	v_dual_add_f32 v37, v37, v40 :: v_dual_add_f32 v38, v38, v103
	v_mul_f32_e32 v40, v88, v3
	s_delay_alu instid0(VALU_DEP_2) | instskip(NEXT) | instid1(VALU_DEP_2)
	v_dual_add_f32 v1, v37, v39 :: v_dual_add_f32 v38, v38, v104
	v_fma_f32 v39, v87, v2, -v40
	s_delay_alu instid0(VALU_DEP_2) | instskip(NEXT) | instid1(VALU_DEP_3)
	v_add_f32_e32 v0, v1, v0
	v_add_f32_e32 v38, v38, v105
	s_delay_alu instid0(VALU_DEP_1) | instskip(NEXT) | instid1(VALU_DEP_1)
	v_add_f32_e32 v37, v38, v106
	v_dual_mul_f32 v38, v94, v90 :: v_dual_add_f32 v1, v37, v107
	s_delay_alu instid0(VALU_DEP_1) | instskip(NEXT) | instid1(VALU_DEP_2)
	v_fma_f32 v37, v93, v89, -v38
	v_dual_add_f32 v0, v0, v39 :: v_dual_add_f32 v1, v1, v108
	s_delay_alu instid0(VALU_DEP_1) | instskip(SKIP_1) | instid1(VALU_DEP_1)
	v_add_f32_e32 v0, v0, v37
	s_wait_loadcnt 0x0
	v_dual_add_f32 v1, v1, v109 :: v_dual_sub_f32 v0, v91, v0
	s_delay_alu instid0(VALU_DEP_1)
	v_sub_f32_e32 v1, v92, v1
	scratch_store_b64 off, v[0:1], off
	s_wait_alu 0xfffe
	s_cbranch_vccz .LBB79_140
; %bb.110:
	global_load_b32 v0, v36, s[2:3] offset:56
	s_wait_loadcnt 0x0
	v_cmp_ne_u32_e32 vcc_lo, 15, v0
	s_cbranch_vccz .LBB79_112
; %bb.111:
	v_lshlrev_b32_e32 v0, 3, v0
	s_delay_alu instid0(VALU_DEP_1)
	v_mov_b32_e32 v36, v0
	scratch_load_b64 v[0:1], v36, off offset:-8
	s_wait_loadcnt 0x0
	scratch_store_b64 off, v[0:1], off offset:112
	scratch_store_b64 v36, v[2:3], off offset:-8
.LBB79_112:
	v_mov_b32_e32 v0, 0
	global_load_b32 v1, v0, s[2:3] offset:52
	s_wait_loadcnt 0x0
	v_cmp_eq_u32_e32 vcc_lo, 14, v1
	s_cbranch_vccnz .LBB79_114
; %bb.113:
	v_lshlrev_b32_e32 v1, 3, v1
	s_delay_alu instid0(VALU_DEP_1)
	v_mov_b32_e32 v3, v1
	scratch_load_b64 v[1:2], v3, off offset:-8
	scratch_load_b64 v[36:37], off, off offset:104
	s_wait_loadcnt 0x1
	scratch_store_b64 off, v[1:2], off offset:104
	s_wait_loadcnt 0x0
	scratch_store_b64 v3, v[36:37], off offset:-8
.LBB79_114:
	global_load_b32 v0, v0, s[2:3] offset:48
	s_wait_loadcnt 0x0
	v_cmp_eq_u32_e32 vcc_lo, 13, v0
	s_cbranch_vccnz .LBB79_116
; %bb.115:
	v_lshlrev_b32_e32 v0, 3, v0
	s_delay_alu instid0(VALU_DEP_1)
	v_mov_b32_e32 v36, v0
	scratch_load_b64 v[0:1], v36, off offset:-8
	scratch_load_b64 v[2:3], off, off offset:96
	s_wait_loadcnt 0x1
	scratch_store_b64 off, v[0:1], off offset:96
	s_wait_loadcnt 0x0
	scratch_store_b64 v36, v[2:3], off offset:-8
.LBB79_116:
	v_mov_b32_e32 v0, 0
	global_load_b32 v1, v0, s[2:3] offset:44
	s_wait_loadcnt 0x0
	v_cmp_eq_u32_e32 vcc_lo, 12, v1
	s_cbranch_vccnz .LBB79_118
; %bb.117:
	v_lshlrev_b32_e32 v1, 3, v1
	s_delay_alu instid0(VALU_DEP_1)
	v_mov_b32_e32 v3, v1
	scratch_load_b64 v[1:2], v3, off offset:-8
	scratch_load_b64 v[36:37], off, off offset:88
	s_wait_loadcnt 0x1
	scratch_store_b64 off, v[1:2], off offset:88
	s_wait_loadcnt 0x0
	scratch_store_b64 v3, v[36:37], off offset:-8
.LBB79_118:
	global_load_b32 v0, v0, s[2:3] offset:40
	s_wait_loadcnt 0x0
	v_cmp_eq_u32_e32 vcc_lo, 11, v0
	s_cbranch_vccnz .LBB79_120
; %bb.119:
	v_lshlrev_b32_e32 v0, 3, v0
	s_delay_alu instid0(VALU_DEP_1)
	v_mov_b32_e32 v36, v0
	scratch_load_b64 v[0:1], v36, off offset:-8
	scratch_load_b64 v[2:3], off, off offset:80
	s_wait_loadcnt 0x1
	scratch_store_b64 off, v[0:1], off offset:80
	s_wait_loadcnt 0x0
	scratch_store_b64 v36, v[2:3], off offset:-8
.LBB79_120:
	;; [unrolled: 31-line block ×6, first 2 shown]
	v_mov_b32_e32 v0, 0
	global_load_b32 v1, v0, s[2:3] offset:4
	s_wait_loadcnt 0x0
	v_cmp_eq_u32_e32 vcc_lo, 2, v1
	s_cbranch_vccnz .LBB79_138
; %bb.137:
	v_lshlrev_b32_e32 v1, 3, v1
	s_delay_alu instid0(VALU_DEP_1)
	v_mov_b32_e32 v3, v1
	scratch_load_b64 v[1:2], v3, off offset:-8
	scratch_load_b64 v[36:37], off, off offset:8
	s_wait_loadcnt 0x1
	scratch_store_b64 off, v[1:2], off offset:8
	s_wait_loadcnt 0x0
	scratch_store_b64 v3, v[36:37], off offset:-8
.LBB79_138:
	global_load_b32 v0, v0, s[2:3]
	s_wait_loadcnt 0x0
	v_cmp_eq_u32_e32 vcc_lo, 1, v0
	s_cbranch_vccnz .LBB79_140
; %bb.139:
	v_lshlrev_b32_e32 v0, 3, v0
	s_delay_alu instid0(VALU_DEP_1)
	v_mov_b32_e32 v36, v0
	scratch_load_b64 v[0:1], v36, off offset:-8
	scratch_load_b64 v[2:3], off, off
	s_wait_loadcnt 0x1
	scratch_store_b64 off, v[0:1], off
	s_wait_loadcnt 0x0
	scratch_store_b64 v36, v[2:3], off offset:-8
.LBB79_140:
	scratch_load_b64 v[0:1], off, off
	s_wait_loadcnt 0x0
	flat_store_b64 v[4:5], v[0:1]
	scratch_load_b64 v[0:1], off, off offset:8
	s_wait_loadcnt 0x0
	flat_store_b64 v[6:7], v[0:1]
	scratch_load_b64 v[0:1], off, off offset:16
	;; [unrolled: 3-line block ×15, first 2 shown]
	s_wait_loadcnt 0x0
	flat_store_b64 v[34:35], v[0:1]
	s_nop 0
	s_sendmsg sendmsg(MSG_DEALLOC_VGPRS)
	s_endpgm
	.section	.rodata,"a",@progbits
	.p2align	6, 0x0
	.amdhsa_kernel _ZN9rocsolver6v33100L18getri_kernel_smallILi16E19rocblas_complex_numIfEPKPS3_EEvT1_iilPiilS8_bb
		.amdhsa_group_segment_fixed_size 260
		.amdhsa_private_segment_fixed_size 144
		.amdhsa_kernarg_size 60
		.amdhsa_user_sgpr_count 2
		.amdhsa_user_sgpr_dispatch_ptr 0
		.amdhsa_user_sgpr_queue_ptr 0
		.amdhsa_user_sgpr_kernarg_segment_ptr 1
		.amdhsa_user_sgpr_dispatch_id 0
		.amdhsa_user_sgpr_private_segment_size 0
		.amdhsa_wavefront_size32 1
		.amdhsa_uses_dynamic_stack 0
		.amdhsa_enable_private_segment 1
		.amdhsa_system_sgpr_workgroup_id_x 1
		.amdhsa_system_sgpr_workgroup_id_y 0
		.amdhsa_system_sgpr_workgroup_id_z 0
		.amdhsa_system_sgpr_workgroup_info 0
		.amdhsa_system_vgpr_workitem_id 0
		.amdhsa_next_free_vgpr 110
		.amdhsa_next_free_sgpr 19
		.amdhsa_reserve_vcc 1
		.amdhsa_float_round_mode_32 0
		.amdhsa_float_round_mode_16_64 0
		.amdhsa_float_denorm_mode_32 3
		.amdhsa_float_denorm_mode_16_64 3
		.amdhsa_fp16_overflow 0
		.amdhsa_workgroup_processor_mode 1
		.amdhsa_memory_ordered 1
		.amdhsa_forward_progress 1
		.amdhsa_inst_pref_size 122
		.amdhsa_round_robin_scheduling 0
		.amdhsa_exception_fp_ieee_invalid_op 0
		.amdhsa_exception_fp_denorm_src 0
		.amdhsa_exception_fp_ieee_div_zero 0
		.amdhsa_exception_fp_ieee_overflow 0
		.amdhsa_exception_fp_ieee_underflow 0
		.amdhsa_exception_fp_ieee_inexact 0
		.amdhsa_exception_int_div_zero 0
	.end_amdhsa_kernel
	.section	.text._ZN9rocsolver6v33100L18getri_kernel_smallILi16E19rocblas_complex_numIfEPKPS3_EEvT1_iilPiilS8_bb,"axG",@progbits,_ZN9rocsolver6v33100L18getri_kernel_smallILi16E19rocblas_complex_numIfEPKPS3_EEvT1_iilPiilS8_bb,comdat
.Lfunc_end79:
	.size	_ZN9rocsolver6v33100L18getri_kernel_smallILi16E19rocblas_complex_numIfEPKPS3_EEvT1_iilPiilS8_bb, .Lfunc_end79-_ZN9rocsolver6v33100L18getri_kernel_smallILi16E19rocblas_complex_numIfEPKPS3_EEvT1_iilPiilS8_bb
                                        ; -- End function
	.set _ZN9rocsolver6v33100L18getri_kernel_smallILi16E19rocblas_complex_numIfEPKPS3_EEvT1_iilPiilS8_bb.num_vgpr, 110
	.set _ZN9rocsolver6v33100L18getri_kernel_smallILi16E19rocblas_complex_numIfEPKPS3_EEvT1_iilPiilS8_bb.num_agpr, 0
	.set _ZN9rocsolver6v33100L18getri_kernel_smallILi16E19rocblas_complex_numIfEPKPS3_EEvT1_iilPiilS8_bb.numbered_sgpr, 19
	.set _ZN9rocsolver6v33100L18getri_kernel_smallILi16E19rocblas_complex_numIfEPKPS3_EEvT1_iilPiilS8_bb.num_named_barrier, 0
	.set _ZN9rocsolver6v33100L18getri_kernel_smallILi16E19rocblas_complex_numIfEPKPS3_EEvT1_iilPiilS8_bb.private_seg_size, 144
	.set _ZN9rocsolver6v33100L18getri_kernel_smallILi16E19rocblas_complex_numIfEPKPS3_EEvT1_iilPiilS8_bb.uses_vcc, 1
	.set _ZN9rocsolver6v33100L18getri_kernel_smallILi16E19rocblas_complex_numIfEPKPS3_EEvT1_iilPiilS8_bb.uses_flat_scratch, 1
	.set _ZN9rocsolver6v33100L18getri_kernel_smallILi16E19rocblas_complex_numIfEPKPS3_EEvT1_iilPiilS8_bb.has_dyn_sized_stack, 0
	.set _ZN9rocsolver6v33100L18getri_kernel_smallILi16E19rocblas_complex_numIfEPKPS3_EEvT1_iilPiilS8_bb.has_recursion, 0
	.set _ZN9rocsolver6v33100L18getri_kernel_smallILi16E19rocblas_complex_numIfEPKPS3_EEvT1_iilPiilS8_bb.has_indirect_call, 0
	.section	.AMDGPU.csdata,"",@progbits
; Kernel info:
; codeLenInByte = 15520
; TotalNumSgprs: 21
; NumVgprs: 110
; ScratchSize: 144
; MemoryBound: 0
; FloatMode: 240
; IeeeMode: 1
; LDSByteSize: 260 bytes/workgroup (compile time only)
; SGPRBlocks: 0
; VGPRBlocks: 13
; NumSGPRsForWavesPerEU: 21
; NumVGPRsForWavesPerEU: 110
; Occupancy: 12
; WaveLimiterHint : 1
; COMPUTE_PGM_RSRC2:SCRATCH_EN: 1
; COMPUTE_PGM_RSRC2:USER_SGPR: 2
; COMPUTE_PGM_RSRC2:TRAP_HANDLER: 0
; COMPUTE_PGM_RSRC2:TGID_X_EN: 1
; COMPUTE_PGM_RSRC2:TGID_Y_EN: 0
; COMPUTE_PGM_RSRC2:TGID_Z_EN: 0
; COMPUTE_PGM_RSRC2:TIDIG_COMP_CNT: 0
	.section	.text._ZN9rocsolver6v33100L18getri_kernel_smallILi17E19rocblas_complex_numIfEPKPS3_EEvT1_iilPiilS8_bb,"axG",@progbits,_ZN9rocsolver6v33100L18getri_kernel_smallILi17E19rocblas_complex_numIfEPKPS3_EEvT1_iilPiilS8_bb,comdat
	.globl	_ZN9rocsolver6v33100L18getri_kernel_smallILi17E19rocblas_complex_numIfEPKPS3_EEvT1_iilPiilS8_bb ; -- Begin function _ZN9rocsolver6v33100L18getri_kernel_smallILi17E19rocblas_complex_numIfEPKPS3_EEvT1_iilPiilS8_bb
	.p2align	8
	.type	_ZN9rocsolver6v33100L18getri_kernel_smallILi17E19rocblas_complex_numIfEPKPS3_EEvT1_iilPiilS8_bb,@function
_ZN9rocsolver6v33100L18getri_kernel_smallILi17E19rocblas_complex_numIfEPKPS3_EEvT1_iilPiilS8_bb: ; @_ZN9rocsolver6v33100L18getri_kernel_smallILi17E19rocblas_complex_numIfEPKPS3_EEvT1_iilPiilS8_bb
; %bb.0:
	s_mov_b32 s2, exec_lo
	v_cmpx_gt_u32_e32 17, v0
	s_cbranch_execz .LBB80_82
; %bb.1:
	s_clause 0x1
	s_load_b32 s13, s[0:1], 0x38
	s_load_b64 s[2:3], s[0:1], 0x0
	s_mov_b32 s8, ttmp9
	s_load_b128 s[4:7], s[0:1], 0x28
	s_wait_kmcnt 0x0
	s_bitcmp1_b32 s13, 8
	s_cselect_b32 s12, -1, 0
	s_ashr_i32 s9, ttmp9, 31
	s_delay_alu instid0(SALU_CYCLE_1) | instskip(NEXT) | instid1(SALU_CYCLE_1)
	s_lshl_b64 s[10:11], s[8:9], 3
	s_add_nc_u64 s[2:3], s[2:3], s[10:11]
	s_load_b64 s[10:11], s[2:3], 0x0
	s_bfe_u32 s2, s13, 0x10008
	s_delay_alu instid0(SALU_CYCLE_1)
	s_cmp_eq_u32 s2, 0
                                        ; implicit-def: $sgpr2_sgpr3
	s_cbranch_scc1 .LBB80_3
; %bb.2:
	s_load_b96 s[16:18], s[0:1], 0x18
	s_mul_u64 s[2:3], s[4:5], s[8:9]
	s_delay_alu instid0(SALU_CYCLE_1)
	s_lshl_b64 s[2:3], s[2:3], 2
	s_wait_kmcnt 0x0
	s_ashr_i32 s5, s18, 31
	s_mov_b32 s4, s18
	s_add_nc_u64 s[2:3], s[16:17], s[2:3]
	s_lshl_b64 s[4:5], s[4:5], 2
	s_delay_alu instid0(SALU_CYCLE_1)
	s_add_nc_u64 s[2:3], s[2:3], s[4:5]
.LBB80_3:
	s_clause 0x1
	s_load_b64 s[4:5], s[0:1], 0x8
	s_load_b32 s13, s[0:1], 0x38
	v_lshlrev_b32_e32 v3, 3, v0
	s_wait_kmcnt 0x0
	s_ashr_i32 s1, s4, 31
	s_mov_b32 s0, s4
	v_add3_u32 v10, s5, s5, v0
	s_lshl_b64 s[0:1], s[0:1], 3
	s_delay_alu instid0(SALU_CYCLE_1)
	s_add_nc_u64 s[0:1], s[10:11], s[0:1]
	s_ashr_i32 s11, s5, 31
	v_add_co_u32 v4, s4, s0, v3
	s_wait_alu 0xf1ff
	v_add_co_ci_u32_e64 v5, null, s1, 0, s4
	s_mov_b32 s10, s5
	v_ashrrev_i32_e32 v11, 31, v10
	s_lshl_b64 s[10:11], s[10:11], 3
	flat_load_b64 v[1:2], v[4:5]
	v_add_co_u32 v6, vcc_lo, v4, s10
	s_delay_alu instid0(VALU_DEP_1) | instskip(SKIP_3) | instid1(VALU_DEP_2)
	v_add_co_ci_u32_e64 v7, null, s11, v5, vcc_lo
	v_lshlrev_b64_e32 v[8:9], 3, v[10:11]
	v_add_nc_u32_e32 v12, s5, v10
	s_bitcmp0_b32 s13, 0
	v_add_co_u32 v8, vcc_lo, s0, v8
	s_wait_alu 0xfffd
	s_delay_alu instid0(VALU_DEP_3) | instskip(SKIP_2) | instid1(VALU_DEP_2)
	v_add_co_ci_u32_e64 v9, null, s1, v9, vcc_lo
	v_ashrrev_i32_e32 v13, 31, v12
	v_add_nc_u32_e32 v14, s5, v12
	v_lshlrev_b64_e32 v[10:11], 3, v[12:13]
	s_delay_alu instid0(VALU_DEP_2) | instskip(SKIP_1) | instid1(VALU_DEP_3)
	v_ashrrev_i32_e32 v15, 31, v14
	v_add_nc_u32_e32 v16, s5, v14
	v_add_co_u32 v10, vcc_lo, s0, v10
	s_wait_alu 0xfffd
	s_delay_alu instid0(VALU_DEP_4) | instskip(SKIP_3) | instid1(VALU_DEP_3)
	v_add_co_ci_u32_e64 v11, null, s1, v11, vcc_lo
	v_lshlrev_b64_e32 v[12:13], 3, v[14:15]
	v_ashrrev_i32_e32 v17, 31, v16
	v_add_nc_u32_e32 v18, s5, v16
	v_add_co_u32 v12, vcc_lo, s0, v12
	s_wait_alu 0xfffd
	s_delay_alu instid0(VALU_DEP_4) | instskip(SKIP_3) | instid1(VALU_DEP_3)
	v_add_co_ci_u32_e64 v13, null, s1, v13, vcc_lo
	v_lshlrev_b64_e32 v[14:15], 3, v[16:17]
	;; [unrolled: 7-line block ×10, first 2 shown]
	v_ashrrev_i32_e32 v35, 31, v34
	v_add_nc_u32_e32 v36, s5, v34
	v_add_co_u32 v30, vcc_lo, s0, v30
	s_wait_alu 0xfffd
	s_delay_alu instid0(VALU_DEP_4) | instskip(SKIP_2) | instid1(VALU_DEP_2)
	v_add_co_ci_u32_e64 v31, null, s1, v31, vcc_lo
	v_lshlrev_b64_e32 v[32:33], 3, v[34:35]
	v_ashrrev_i32_e32 v37, 31, v36
	v_add_co_u32 v32, vcc_lo, s0, v32
	s_wait_alu 0xfffd
	s_delay_alu instid0(VALU_DEP_3) | instskip(NEXT) | instid1(VALU_DEP_3)
	v_add_co_ci_u32_e64 v33, null, s1, v33, vcc_lo
	v_lshlrev_b64_e32 v[34:35], 3, v[36:37]
	v_add_nc_u32_e32 v36, s5, v36
	s_delay_alu instid0(VALU_DEP_2) | instskip(SKIP_1) | instid1(VALU_DEP_3)
	v_add_co_u32 v34, vcc_lo, s0, v34
	s_wait_alu 0xfffd
	v_add_co_ci_u32_e64 v35, null, s1, v35, vcc_lo
	s_delay_alu instid0(VALU_DEP_3) | instskip(NEXT) | instid1(VALU_DEP_1)
	v_ashrrev_i32_e32 v37, 31, v36
	v_lshlrev_b64_e32 v[36:37], 3, v[36:37]
	s_delay_alu instid0(VALU_DEP_1) | instskip(SKIP_1) | instid1(VALU_DEP_2)
	v_add_co_u32 v36, vcc_lo, s0, v36
	s_wait_alu 0xfffd
	v_add_co_ci_u32_e64 v37, null, s1, v37, vcc_lo
	s_mov_b32 s1, -1
	s_wait_loadcnt_dscnt 0x0
	scratch_store_b64 off, v[1:2], off
	flat_load_b64 v[1:2], v[6:7]
	s_wait_loadcnt_dscnt 0x0
	scratch_store_b64 off, v[1:2], off offset:8
	flat_load_b64 v[1:2], v[8:9]
	s_wait_loadcnt_dscnt 0x0
	scratch_store_b64 off, v[1:2], off offset:16
	;; [unrolled: 3-line block ×16, first 2 shown]
	s_cbranch_scc1 .LBB80_80
; %bb.4:
	v_cmp_eq_u32_e64 s0, 0, v0
	s_and_saveexec_b32 s1, s0
; %bb.5:
	v_mov_b32_e32 v1, 0
	ds_store_b32 v1, v1 offset:136
; %bb.6:
	s_wait_alu 0xfffe
	s_or_b32 exec_lo, exec_lo, s1
	s_wait_storecnt_dscnt 0x0
	s_barrier_signal -1
	s_barrier_wait -1
	global_inv scope:SCOPE_SE
	scratch_load_b64 v[1:2], v3, off
	s_wait_loadcnt 0x0
	v_cmp_eq_f32_e32 vcc_lo, 0, v1
	v_cmp_eq_f32_e64 s1, 0, v2
	s_and_b32 s1, vcc_lo, s1
	s_wait_alu 0xfffe
	s_and_saveexec_b32 s4, s1
	s_cbranch_execz .LBB80_10
; %bb.7:
	v_mov_b32_e32 v1, 0
	s_mov_b32 s5, 0
	ds_load_b32 v2, v1 offset:136
	s_wait_dscnt 0x0
	v_readfirstlane_b32 s1, v2
	v_add_nc_u32_e32 v2, 1, v0
	s_cmp_eq_u32 s1, 0
	s_delay_alu instid0(VALU_DEP_1)
	v_cmp_gt_i32_e32 vcc_lo, s1, v2
	s_cselect_b32 s10, -1, 0
	s_wait_alu 0xfffe
	s_or_b32 s10, s10, vcc_lo
	s_wait_alu 0xfffe
	s_and_b32 exec_lo, exec_lo, s10
	s_cbranch_execz .LBB80_10
; %bb.8:
	v_mov_b32_e32 v38, s1
.LBB80_9:                               ; =>This Inner Loop Header: Depth=1
	ds_cmpstore_rtn_b32 v38, v1, v2, v38 offset:136
	s_wait_dscnt 0x0
	v_cmp_ne_u32_e32 vcc_lo, 0, v38
	v_cmp_le_i32_e64 s1, v38, v2
	s_and_b32 s1, vcc_lo, s1
	s_wait_alu 0xfffe
	s_and_b32 s1, exec_lo, s1
	s_wait_alu 0xfffe
	s_or_b32 s5, s1, s5
	s_wait_alu 0xfffe
	s_and_not1_b32 exec_lo, exec_lo, s5
	s_cbranch_execnz .LBB80_9
.LBB80_10:
	s_wait_alu 0xfffe
	s_or_b32 exec_lo, exec_lo, s4
	v_mov_b32_e32 v1, 0
	s_barrier_signal -1
	s_barrier_wait -1
	global_inv scope:SCOPE_SE
	ds_load_b32 v2, v1 offset:136
	s_and_saveexec_b32 s1, s0
	s_cbranch_execz .LBB80_12
; %bb.11:
	s_lshl_b64 s[4:5], s[8:9], 2
	s_wait_alu 0xfffe
	s_add_nc_u64 s[4:5], s[6:7], s[4:5]
	s_wait_dscnt 0x0
	global_store_b32 v1, v2, s[4:5]
.LBB80_12:
	s_wait_alu 0xfffe
	s_or_b32 exec_lo, exec_lo, s1
	s_wait_dscnt 0x0
	v_cmp_ne_u32_e32 vcc_lo, 0, v2
	s_mov_b32 s1, 0
	s_cbranch_vccnz .LBB80_80
; %bb.13:
	v_mov_b32_e32 v42, v3
                                        ; implicit-def: $vgpr38
                                        ; implicit-def: $vgpr40
	scratch_load_b64 v[1:2], v42, off
	s_wait_loadcnt 0x0
	v_cmp_ngt_f32_e64 s1, |v1|, |v2|
	s_wait_alu 0xfffe
	s_and_saveexec_b32 s4, s1
	s_wait_alu 0xfffe
	s_xor_b32 s1, exec_lo, s4
	s_cbranch_execz .LBB80_15
; %bb.14:
	v_div_scale_f32 v38, null, v2, v2, v1
	v_div_scale_f32 v41, vcc_lo, v1, v2, v1
	s_delay_alu instid0(VALU_DEP_2) | instskip(NEXT) | instid1(TRANS32_DEP_1)
	v_rcp_f32_e32 v39, v38
	v_fma_f32 v40, -v38, v39, 1.0
	s_delay_alu instid0(VALU_DEP_1) | instskip(NEXT) | instid1(VALU_DEP_1)
	v_fmac_f32_e32 v39, v40, v39
	v_mul_f32_e32 v40, v41, v39
	s_delay_alu instid0(VALU_DEP_1) | instskip(NEXT) | instid1(VALU_DEP_1)
	v_fma_f32 v43, -v38, v40, v41
	v_fmac_f32_e32 v40, v43, v39
	s_delay_alu instid0(VALU_DEP_1) | instskip(SKIP_1) | instid1(VALU_DEP_1)
	v_fma_f32 v38, -v38, v40, v41
	s_wait_alu 0xfffd
	v_div_fmas_f32 v38, v38, v39, v40
	s_delay_alu instid0(VALU_DEP_1) | instskip(NEXT) | instid1(VALU_DEP_1)
	v_div_fixup_f32 v38, v38, v2, v1
	v_fmac_f32_e32 v2, v1, v38
	s_delay_alu instid0(VALU_DEP_1) | instskip(NEXT) | instid1(VALU_DEP_1)
	v_div_scale_f32 v1, null, v2, v2, 1.0
	v_rcp_f32_e32 v39, v1
	s_delay_alu instid0(TRANS32_DEP_1) | instskip(NEXT) | instid1(VALU_DEP_1)
	v_fma_f32 v40, -v1, v39, 1.0
	v_fmac_f32_e32 v39, v40, v39
	v_div_scale_f32 v40, vcc_lo, 1.0, v2, 1.0
	s_delay_alu instid0(VALU_DEP_1) | instskip(NEXT) | instid1(VALU_DEP_1)
	v_mul_f32_e32 v41, v40, v39
	v_fma_f32 v43, -v1, v41, v40
	s_delay_alu instid0(VALU_DEP_1) | instskip(NEXT) | instid1(VALU_DEP_1)
	v_fmac_f32_e32 v41, v43, v39
	v_fma_f32 v1, -v1, v41, v40
	s_wait_alu 0xfffd
	s_delay_alu instid0(VALU_DEP_1) | instskip(NEXT) | instid1(VALU_DEP_1)
	v_div_fmas_f32 v1, v1, v39, v41
	v_div_fixup_f32 v1, v1, v2, 1.0
	s_delay_alu instid0(VALU_DEP_1) | instskip(SKIP_1) | instid1(VALU_DEP_2)
	v_mul_f32_e32 v38, v38, v1
	v_xor_b32_e32 v39, 0x80000000, v1
                                        ; implicit-def: $vgpr1_vgpr2
	v_xor_b32_e32 v40, 0x80000000, v38
.LBB80_15:
	s_wait_alu 0xfffe
	s_and_not1_saveexec_b32 s1, s1
	s_cbranch_execz .LBB80_17
; %bb.16:
	v_div_scale_f32 v38, null, v1, v1, v2
	v_div_scale_f32 v41, vcc_lo, v2, v1, v2
	s_delay_alu instid0(VALU_DEP_2) | instskip(NEXT) | instid1(TRANS32_DEP_1)
	v_rcp_f32_e32 v39, v38
	v_fma_f32 v40, -v38, v39, 1.0
	s_delay_alu instid0(VALU_DEP_1) | instskip(NEXT) | instid1(VALU_DEP_1)
	v_fmac_f32_e32 v39, v40, v39
	v_mul_f32_e32 v40, v41, v39
	s_delay_alu instid0(VALU_DEP_1) | instskip(NEXT) | instid1(VALU_DEP_1)
	v_fma_f32 v43, -v38, v40, v41
	v_fmac_f32_e32 v40, v43, v39
	s_delay_alu instid0(VALU_DEP_1) | instskip(SKIP_1) | instid1(VALU_DEP_1)
	v_fma_f32 v38, -v38, v40, v41
	s_wait_alu 0xfffd
	v_div_fmas_f32 v38, v38, v39, v40
	s_delay_alu instid0(VALU_DEP_1) | instskip(NEXT) | instid1(VALU_DEP_1)
	v_div_fixup_f32 v39, v38, v1, v2
	v_fmac_f32_e32 v1, v2, v39
	s_delay_alu instid0(VALU_DEP_1) | instskip(NEXT) | instid1(VALU_DEP_1)
	v_div_scale_f32 v2, null, v1, v1, 1.0
	v_rcp_f32_e32 v38, v2
	s_delay_alu instid0(TRANS32_DEP_1) | instskip(NEXT) | instid1(VALU_DEP_1)
	v_fma_f32 v40, -v2, v38, 1.0
	v_fmac_f32_e32 v38, v40, v38
	v_div_scale_f32 v41, vcc_lo, 1.0, v1, 1.0
	s_delay_alu instid0(VALU_DEP_1) | instskip(NEXT) | instid1(VALU_DEP_1)
	v_mul_f32_e32 v40, v41, v38
	v_fma_f32 v43, -v2, v40, v41
	s_delay_alu instid0(VALU_DEP_1) | instskip(NEXT) | instid1(VALU_DEP_1)
	v_fmac_f32_e32 v40, v43, v38
	v_fma_f32 v2, -v2, v40, v41
	s_wait_alu 0xfffd
	s_delay_alu instid0(VALU_DEP_1) | instskip(NEXT) | instid1(VALU_DEP_1)
	v_div_fmas_f32 v2, v2, v38, v40
	v_div_fixup_f32 v38, v2, v1, 1.0
	s_delay_alu instid0(VALU_DEP_1)
	v_xor_b32_e32 v40, 0x80000000, v38
	v_mul_f32_e64 v39, v39, -v38
.LBB80_17:
	s_wait_alu 0xfffe
	s_or_b32 exec_lo, exec_lo, s1
	scratch_store_b64 v42, v[38:39], off
	scratch_load_b64 v[43:44], off, off offset:8
	v_xor_b32_e32 v41, 0x80000000, v39
	v_add_nc_u32_e32 v1, 0x90, v3
	s_wait_loadcnt 0x0
	ds_store_2addr_b64 v3, v[40:41], v[43:44] offset1:18
	s_wait_storecnt_dscnt 0x0
	s_barrier_signal -1
	s_barrier_wait -1
	global_inv scope:SCOPE_SE
	s_and_saveexec_b32 s1, s0
	s_cbranch_execz .LBB80_19
; %bb.18:
	scratch_load_b64 v[38:39], v42, off
	ds_load_b64 v[40:41], v1
	v_mov_b32_e32 v2, 0
	ds_load_b64 v[43:44], v2 offset:8
	s_wait_loadcnt_dscnt 0x1
	v_mul_f32_e32 v2, v40, v39
	v_mul_f32_e32 v39, v41, v39
	s_delay_alu instid0(VALU_DEP_2) | instskip(NEXT) | instid1(VALU_DEP_2)
	v_fmac_f32_e32 v2, v41, v38
	v_fma_f32 v38, v40, v38, -v39
	s_delay_alu instid0(VALU_DEP_2) | instskip(NEXT) | instid1(VALU_DEP_2)
	v_add_f32_e32 v2, 0, v2
	v_add_f32_e32 v38, 0, v38
	s_wait_dscnt 0x0
	s_delay_alu instid0(VALU_DEP_2) | instskip(NEXT) | instid1(VALU_DEP_2)
	v_mul_f32_e32 v40, v2, v44
	v_mul_f32_e32 v39, v38, v44
	s_delay_alu instid0(VALU_DEP_1) | instskip(NEXT) | instid1(VALU_DEP_3)
	v_fmac_f32_e32 v39, v2, v43
	v_fma_f32 v38, v38, v43, -v40
	scratch_store_b64 off, v[38:39], off offset:8
.LBB80_19:
	s_wait_alu 0xfffe
	s_or_b32 exec_lo, exec_lo, s1
	s_wait_loadcnt 0x0
	s_wait_storecnt 0x0
	s_barrier_signal -1
	s_barrier_wait -1
	global_inv scope:SCOPE_SE
	scratch_load_b64 v[38:39], off, off offset:16
	s_mov_b32 s1, exec_lo
	s_wait_loadcnt 0x0
	ds_store_b64 v1, v[38:39]
	s_wait_dscnt 0x0
	s_barrier_signal -1
	s_barrier_wait -1
	global_inv scope:SCOPE_SE
	v_cmpx_gt_u32_e32 2, v0
	s_cbranch_execz .LBB80_23
; %bb.20:
	scratch_load_b64 v[38:39], v42, off
	ds_load_b64 v[40:41], v1
	s_wait_loadcnt_dscnt 0x0
	v_mul_f32_e32 v2, v41, v39
	s_delay_alu instid0(VALU_DEP_1) | instskip(SKIP_1) | instid1(VALU_DEP_1)
	v_fma_f32 v2, v40, v38, -v2
	v_mul_f32_e32 v39, v40, v39
	v_fmac_f32_e32 v39, v41, v38
	s_delay_alu instid0(VALU_DEP_3) | instskip(NEXT) | instid1(VALU_DEP_2)
	v_add_f32_e32 v38, 0, v2
	v_add_f32_e32 v2, 0, v39
	s_and_saveexec_b32 s4, s0
	s_cbranch_execz .LBB80_22
; %bb.21:
	scratch_load_b64 v[39:40], off, off offset:8
	v_mov_b32_e32 v41, 0
	ds_load_b64 v[43:44], v41 offset:152
	s_wait_loadcnt_dscnt 0x0
	v_mul_f32_e32 v41, v43, v40
	v_mul_f32_e32 v40, v44, v40
	s_delay_alu instid0(VALU_DEP_2) | instskip(NEXT) | instid1(VALU_DEP_2)
	v_fmac_f32_e32 v41, v44, v39
	v_fma_f32 v39, v43, v39, -v40
	s_delay_alu instid0(VALU_DEP_2) | instskip(NEXT) | instid1(VALU_DEP_2)
	v_add_f32_e32 v2, v2, v41
	v_add_f32_e32 v38, v38, v39
.LBB80_22:
	s_wait_alu 0xfffe
	s_or_b32 exec_lo, exec_lo, s4
	v_mov_b32_e32 v39, 0
	ds_load_b64 v[39:40], v39 offset:16
	s_wait_dscnt 0x0
	v_mul_f32_e32 v43, v2, v40
	v_mul_f32_e32 v41, v38, v40
	s_delay_alu instid0(VALU_DEP_2) | instskip(NEXT) | instid1(VALU_DEP_2)
	v_fma_f32 v40, v38, v39, -v43
	v_fmac_f32_e32 v41, v2, v39
	scratch_store_b64 off, v[40:41], off offset:16
.LBB80_23:
	s_wait_alu 0xfffe
	s_or_b32 exec_lo, exec_lo, s1
	s_wait_loadcnt 0x0
	s_wait_storecnt 0x0
	s_barrier_signal -1
	s_barrier_wait -1
	global_inv scope:SCOPE_SE
	scratch_load_b64 v[38:39], off, off offset:24
	v_add_nc_u32_e32 v2, -1, v0
	s_mov_b32 s0, exec_lo
	s_wait_loadcnt 0x0
	ds_store_b64 v1, v[38:39]
	s_wait_dscnt 0x0
	s_barrier_signal -1
	s_barrier_wait -1
	global_inv scope:SCOPE_SE
	v_cmpx_gt_u32_e32 3, v0
	s_cbranch_execz .LBB80_27
; %bb.24:
	v_dual_mov_b32 v38, 0 :: v_dual_add_nc_u32 v39, -1, v0
	v_dual_mov_b32 v41, v3 :: v_dual_add_nc_u32 v40, 0x90, v3
	v_mov_b32_e32 v43, 0
	s_mov_b32 s1, 0
.LBB80_25:                              ; =>This Inner Loop Header: Depth=1
	scratch_load_b64 v[44:45], v41, off
	ds_load_b64 v[46:47], v40
	v_add_nc_u32_e32 v41, 8, v41
	v_add_nc_u32_e32 v39, 1, v39
	v_add_nc_u32_e32 v40, 8, v40
	s_delay_alu instid0(VALU_DEP_2)
	v_cmp_lt_u32_e32 vcc_lo, 1, v39
	s_wait_alu 0xfffe
	s_or_b32 s1, vcc_lo, s1
	s_wait_loadcnt_dscnt 0x0
	v_mul_f32_e32 v48, v47, v45
	v_mul_f32_e32 v45, v46, v45
	s_delay_alu instid0(VALU_DEP_2) | instskip(NEXT) | instid1(VALU_DEP_2)
	v_fma_f32 v46, v46, v44, -v48
	v_fmac_f32_e32 v45, v47, v44
	s_delay_alu instid0(VALU_DEP_1)
	v_dual_add_f32 v43, v43, v46 :: v_dual_add_f32 v38, v38, v45
	s_wait_alu 0xfffe
	s_and_not1_b32 exec_lo, exec_lo, s1
	s_cbranch_execnz .LBB80_25
; %bb.26:
	s_or_b32 exec_lo, exec_lo, s1
	v_mov_b32_e32 v39, 0
	ds_load_b64 v[39:40], v39 offset:24
	s_wait_dscnt 0x0
	v_mul_f32_e32 v44, v38, v40
	v_mul_f32_e32 v41, v43, v40
	s_delay_alu instid0(VALU_DEP_2) | instskip(NEXT) | instid1(VALU_DEP_2)
	v_fma_f32 v40, v43, v39, -v44
	v_fmac_f32_e32 v41, v38, v39
	scratch_store_b64 off, v[40:41], off offset:24
.LBB80_27:
	s_wait_alu 0xfffe
	s_or_b32 exec_lo, exec_lo, s0
	s_wait_loadcnt 0x0
	s_wait_storecnt 0x0
	s_barrier_signal -1
	s_barrier_wait -1
	global_inv scope:SCOPE_SE
	scratch_load_b64 v[38:39], off, off offset:32
	s_mov_b32 s0, exec_lo
	s_wait_loadcnt 0x0
	ds_store_b64 v1, v[38:39]
	s_wait_dscnt 0x0
	s_barrier_signal -1
	s_barrier_wait -1
	global_inv scope:SCOPE_SE
	v_cmpx_gt_u32_e32 4, v0
	s_cbranch_execz .LBB80_31
; %bb.28:
	v_dual_mov_b32 v38, 0 :: v_dual_add_nc_u32 v39, -1, v0
	v_dual_mov_b32 v41, v3 :: v_dual_add_nc_u32 v40, 0x90, v3
	v_mov_b32_e32 v43, 0
	s_mov_b32 s1, 0
.LBB80_29:                              ; =>This Inner Loop Header: Depth=1
	scratch_load_b64 v[44:45], v41, off
	ds_load_b64 v[46:47], v40
	v_add_nc_u32_e32 v41, 8, v41
	v_add_nc_u32_e32 v39, 1, v39
	v_add_nc_u32_e32 v40, 8, v40
	s_delay_alu instid0(VALU_DEP_2)
	v_cmp_lt_u32_e32 vcc_lo, 2, v39
	s_wait_alu 0xfffe
	s_or_b32 s1, vcc_lo, s1
	s_wait_loadcnt_dscnt 0x0
	v_mul_f32_e32 v48, v47, v45
	v_mul_f32_e32 v45, v46, v45
	s_delay_alu instid0(VALU_DEP_2) | instskip(NEXT) | instid1(VALU_DEP_2)
	v_fma_f32 v46, v46, v44, -v48
	v_fmac_f32_e32 v45, v47, v44
	s_delay_alu instid0(VALU_DEP_1)
	v_dual_add_f32 v43, v43, v46 :: v_dual_add_f32 v38, v38, v45
	s_wait_alu 0xfffe
	s_and_not1_b32 exec_lo, exec_lo, s1
	s_cbranch_execnz .LBB80_29
; %bb.30:
	s_or_b32 exec_lo, exec_lo, s1
	v_mov_b32_e32 v39, 0
	ds_load_b64 v[39:40], v39 offset:32
	s_wait_dscnt 0x0
	v_mul_f32_e32 v44, v38, v40
	v_mul_f32_e32 v41, v43, v40
	s_delay_alu instid0(VALU_DEP_2) | instskip(NEXT) | instid1(VALU_DEP_2)
	v_fma_f32 v40, v43, v39, -v44
	v_fmac_f32_e32 v41, v38, v39
	scratch_store_b64 off, v[40:41], off offset:32
.LBB80_31:
	s_wait_alu 0xfffe
	s_or_b32 exec_lo, exec_lo, s0
	s_wait_loadcnt 0x0
	s_wait_storecnt 0x0
	s_barrier_signal -1
	s_barrier_wait -1
	global_inv scope:SCOPE_SE
	scratch_load_b64 v[38:39], off, off offset:40
	;; [unrolled: 55-line block ×12, first 2 shown]
	s_mov_b32 s0, exec_lo
	s_wait_loadcnt 0x0
	ds_store_b64 v1, v[38:39]
	s_wait_dscnt 0x0
	s_barrier_signal -1
	s_barrier_wait -1
	global_inv scope:SCOPE_SE
	v_cmpx_gt_u32_e32 15, v0
	s_cbranch_execz .LBB80_75
; %bb.72:
	v_add_nc_u32_e32 v38, -1, v0
	v_dual_mov_b32 v40, v3 :: v_dual_add_nc_u32 v39, 0x90, v3
	v_mov_b32_e32 v3, 0
	v_mov_b32_e32 v41, 0
	s_mov_b32 s1, 0
.LBB80_73:                              ; =>This Inner Loop Header: Depth=1
	scratch_load_b64 v[43:44], v40, off
	ds_load_b64 v[45:46], v39
	v_add_nc_u32_e32 v40, 8, v40
	v_add_nc_u32_e32 v38, 1, v38
	;; [unrolled: 1-line block ×3, first 2 shown]
	s_delay_alu instid0(VALU_DEP_2)
	v_cmp_lt_u32_e32 vcc_lo, 13, v38
	s_wait_alu 0xfffe
	s_or_b32 s1, vcc_lo, s1
	s_wait_loadcnt_dscnt 0x0
	v_mul_f32_e32 v47, v46, v44
	v_mul_f32_e32 v44, v45, v44
	s_delay_alu instid0(VALU_DEP_2) | instskip(NEXT) | instid1(VALU_DEP_1)
	v_fma_f32 v45, v45, v43, -v47
	v_dual_fmac_f32 v44, v46, v43 :: v_dual_add_f32 v41, v41, v45
	s_delay_alu instid0(VALU_DEP_1)
	v_add_f32_e32 v3, v3, v44
	s_wait_alu 0xfffe
	s_and_not1_b32 exec_lo, exec_lo, s1
	s_cbranch_execnz .LBB80_73
; %bb.74:
	s_or_b32 exec_lo, exec_lo, s1
	v_mov_b32_e32 v38, 0
	ds_load_b64 v[38:39], v38 offset:120
	s_wait_dscnt 0x0
	v_mul_f32_e32 v43, v3, v39
	v_mul_f32_e32 v40, v41, v39
	s_delay_alu instid0(VALU_DEP_2) | instskip(NEXT) | instid1(VALU_DEP_2)
	v_fma_f32 v39, v41, v38, -v43
	v_fmac_f32_e32 v40, v3, v38
	scratch_store_b64 off, v[39:40], off offset:120
.LBB80_75:
	s_wait_alu 0xfffe
	s_or_b32 exec_lo, exec_lo, s0
	s_wait_loadcnt 0x0
	s_wait_storecnt 0x0
	s_barrier_signal -1
	s_barrier_wait -1
	global_inv scope:SCOPE_SE
	scratch_load_b64 v[38:39], off, off offset:128
	s_mov_b32 s0, exec_lo
	s_wait_loadcnt 0x0
	ds_store_b64 v1, v[38:39]
	s_wait_dscnt 0x0
	s_barrier_signal -1
	s_barrier_wait -1
	global_inv scope:SCOPE_SE
	v_cmpx_ne_u32_e32 16, v0
	s_cbranch_execz .LBB80_79
; %bb.76:
	v_dual_mov_b32 v3, 0 :: v_dual_mov_b32 v38, 0
	s_mov_b32 s1, 0
.LBB80_77:                              ; =>This Inner Loop Header: Depth=1
	scratch_load_b64 v[39:40], v42, off
	ds_load_b64 v[43:44], v1
	v_add_nc_u32_e32 v2, 1, v2
	v_add_nc_u32_e32 v1, 8, v1
	s_delay_alu instid0(VALU_DEP_2)
	v_cmp_lt_u32_e32 vcc_lo, 14, v2
	s_wait_alu 0xfffe
	s_or_b32 s1, vcc_lo, s1
	s_wait_loadcnt_dscnt 0x0
	v_mul_f32_e32 v41, v44, v40
	v_mul_f32_e32 v40, v43, v40
	s_delay_alu instid0(VALU_DEP_2) | instskip(NEXT) | instid1(VALU_DEP_2)
	v_fma_f32 v41, v43, v39, -v41
	v_fmac_f32_e32 v40, v44, v39
	v_add_nc_u32_e32 v42, 8, v42
	s_delay_alu instid0(VALU_DEP_2)
	v_dual_add_f32 v38, v38, v41 :: v_dual_add_f32 v3, v3, v40
	s_wait_alu 0xfffe
	s_and_not1_b32 exec_lo, exec_lo, s1
	s_cbranch_execnz .LBB80_77
; %bb.78:
	s_or_b32 exec_lo, exec_lo, s1
	v_mov_b32_e32 v1, 0
	ds_load_b64 v[1:2], v1 offset:128
	s_wait_dscnt 0x0
	v_mul_f32_e32 v40, v3, v2
	v_mul_f32_e32 v39, v38, v2
	s_delay_alu instid0(VALU_DEP_2) | instskip(NEXT) | instid1(VALU_DEP_2)
	v_fma_f32 v38, v38, v1, -v40
	v_fmac_f32_e32 v39, v3, v1
	scratch_store_b64 off, v[38:39], off offset:128
.LBB80_79:
	s_wait_alu 0xfffe
	s_or_b32 exec_lo, exec_lo, s0
	s_mov_b32 s1, -1
	s_wait_loadcnt 0x0
	s_wait_storecnt 0x0
	s_barrier_signal -1
	s_barrier_wait -1
	global_inv scope:SCOPE_SE
.LBB80_80:
	s_wait_alu 0xfffe
	s_and_b32 vcc_lo, exec_lo, s1
	s_wait_alu 0xfffe
	s_cbranch_vccz .LBB80_82
; %bb.81:
	v_mov_b32_e32 v1, 0
	s_lshl_b64 s[0:1], s[8:9], 2
	s_wait_alu 0xfffe
	s_add_nc_u64 s[0:1], s[6:7], s[0:1]
	global_load_b32 v1, v1, s[0:1]
	s_wait_loadcnt 0x0
	v_cmp_ne_u32_e32 vcc_lo, 0, v1
	s_cbranch_vccz .LBB80_83
.LBB80_82:
	s_nop 0
	s_sendmsg sendmsg(MSG_DEALLOC_VGPRS)
	s_endpgm
.LBB80_83:
	v_lshl_add_u32 v3, v0, 3, 0x90
	s_mov_b32 s0, exec_lo
	v_cmpx_eq_u32_e32 16, v0
	s_cbranch_execz .LBB80_85
; %bb.84:
	scratch_load_b64 v[1:2], off, off offset:120
	v_mov_b32_e32 v38, 0
	s_delay_alu instid0(VALU_DEP_1)
	v_mov_b32_e32 v39, v38
	scratch_store_b64 off, v[38:39], off offset:120
	s_wait_loadcnt 0x0
	ds_store_b64 v3, v[1:2]
.LBB80_85:
	s_wait_alu 0xfffe
	s_or_b32 exec_lo, exec_lo, s0
	s_wait_storecnt_dscnt 0x0
	s_barrier_signal -1
	s_barrier_wait -1
	global_inv scope:SCOPE_SE
	s_clause 0x1
	scratch_load_b64 v[38:39], off, off offset:128
	scratch_load_b64 v[40:41], off, off offset:120
	v_mov_b32_e32 v1, 0
	s_mov_b32 s0, exec_lo
	ds_load_b64 v[42:43], v1 offset:272
	s_wait_loadcnt_dscnt 0x100
	v_mul_f32_e32 v2, v43, v39
	s_delay_alu instid0(VALU_DEP_1) | instskip(NEXT) | instid1(VALU_DEP_1)
	v_fma_f32 v2, v42, v38, -v2
	v_dual_mul_f32 v39, v42, v39 :: v_dual_add_f32 v2, 0, v2
	s_delay_alu instid0(VALU_DEP_1) | instskip(SKIP_1) | instid1(VALU_DEP_1)
	v_fmac_f32_e32 v39, v43, v38
	s_wait_loadcnt 0x0
	v_dual_sub_f32 v38, v40, v2 :: v_dual_add_f32 v39, 0, v39
	s_delay_alu instid0(VALU_DEP_1)
	v_sub_f32_e32 v39, v41, v39
	scratch_store_b64 off, v[38:39], off offset:120
	v_cmpx_lt_u32_e32 14, v0
	s_cbranch_execz .LBB80_87
; %bb.86:
	scratch_load_b64 v[38:39], off, off offset:112
	v_mov_b32_e32 v2, v1
	scratch_store_b64 off, v[1:2], off offset:112
	s_wait_loadcnt 0x0
	ds_store_b64 v3, v[38:39]
.LBB80_87:
	s_wait_alu 0xfffe
	s_or_b32 exec_lo, exec_lo, s0
	s_wait_storecnt_dscnt 0x0
	s_barrier_signal -1
	s_barrier_wait -1
	global_inv scope:SCOPE_SE
	s_clause 0x1
	scratch_load_b128 v[38:41], off, off offset:120
	scratch_load_b64 v[46:47], off, off offset:112
	ds_load_2addr_b64 v[42:45], v1 offset0:33 offset1:34
	s_mov_b32 s0, exec_lo
	s_wait_loadcnt_dscnt 0x100
	v_mul_f32_e32 v2, v42, v39
	s_delay_alu instid0(VALU_DEP_1) | instskip(SKIP_2) | instid1(VALU_DEP_1)
	v_fmac_f32_e32 v2, v43, v38
	v_mul_f32_e32 v1, v43, v39
	v_mul_f32_e32 v39, v44, v41
	v_dual_fmac_f32 v39, v45, v40 :: v_dual_add_f32 v2, 0, v2
	v_mul_f32_e32 v41, v45, v41
	s_delay_alu instid0(VALU_DEP_4) | instskip(NEXT) | instid1(VALU_DEP_3)
	v_fma_f32 v1, v42, v38, -v1
	v_add_f32_e32 v2, v2, v39
	s_delay_alu instid0(VALU_DEP_3) | instskip(SKIP_1) | instid1(VALU_DEP_2)
	v_fma_f32 v38, v44, v40, -v41
	s_wait_loadcnt 0x0
	v_dual_add_f32 v1, 0, v1 :: v_dual_sub_f32 v2, v47, v2
	s_delay_alu instid0(VALU_DEP_1) | instskip(NEXT) | instid1(VALU_DEP_1)
	v_add_f32_e32 v1, v1, v38
	v_sub_f32_e32 v1, v46, v1
	scratch_store_b64 off, v[1:2], off offset:112
	v_cmpx_lt_u32_e32 13, v0
	s_cbranch_execz .LBB80_89
; %bb.88:
	scratch_load_b64 v[1:2], off, off offset:104
	v_mov_b32_e32 v38, 0
	s_delay_alu instid0(VALU_DEP_1)
	v_mov_b32_e32 v39, v38
	scratch_store_b64 off, v[38:39], off offset:104
	s_wait_loadcnt 0x0
	ds_store_b64 v3, v[1:2]
.LBB80_89:
	s_wait_alu 0xfffe
	s_or_b32 exec_lo, exec_lo, s0
	s_wait_storecnt_dscnt 0x0
	s_barrier_signal -1
	s_barrier_wait -1
	global_inv scope:SCOPE_SE
	s_clause 0x2
	scratch_load_b128 v[38:41], off, off offset:112
	scratch_load_b64 v[46:47], off, off offset:128
	scratch_load_b64 v[48:49], off, off offset:104
	v_mov_b32_e32 v1, 0
	ds_load_b128 v[42:45], v1 offset:256
	ds_load_b64 v[50:51], v1 offset:272
	s_mov_b32 s0, exec_lo
	s_wait_loadcnt_dscnt 0x201
	v_mul_f32_e32 v2, v43, v39
	v_dual_mul_f32 v39, v42, v39 :: v_dual_mul_f32 v52, v44, v41
	v_mul_f32_e32 v41, v45, v41
	s_wait_loadcnt_dscnt 0x100
	v_mul_f32_e32 v53, v50, v47
	v_fma_f32 v2, v42, v38, -v2
	s_delay_alu instid0(VALU_DEP_2) | instskip(NEXT) | instid1(VALU_DEP_2)
	v_dual_fmac_f32 v52, v45, v40 :: v_dual_fmac_f32 v53, v51, v46
	v_add_f32_e32 v2, 0, v2
	v_fmac_f32_e32 v39, v43, v38
	v_mul_f32_e32 v38, v51, v47
	v_fma_f32 v40, v44, v40, -v41
	s_delay_alu instid0(VALU_DEP_2) | instskip(NEXT) | instid1(VALU_DEP_2)
	v_fma_f32 v38, v50, v46, -v38
	v_dual_add_f32 v2, v2, v40 :: v_dual_add_f32 v39, 0, v39
	s_delay_alu instid0(VALU_DEP_1) | instskip(SKIP_1) | instid1(VALU_DEP_1)
	v_dual_add_f32 v2, v2, v38 :: v_dual_add_f32 v39, v39, v52
	s_wait_loadcnt 0x0
	v_dual_sub_f32 v38, v48, v2 :: v_dual_add_f32 v39, v39, v53
	s_delay_alu instid0(VALU_DEP_1)
	v_sub_f32_e32 v39, v49, v39
	scratch_store_b64 off, v[38:39], off offset:104
	v_cmpx_lt_u32_e32 12, v0
	s_cbranch_execz .LBB80_91
; %bb.90:
	scratch_load_b64 v[38:39], off, off offset:96
	v_mov_b32_e32 v2, v1
	scratch_store_b64 off, v[1:2], off offset:96
	s_wait_loadcnt 0x0
	ds_store_b64 v3, v[38:39]
.LBB80_91:
	s_wait_alu 0xfffe
	s_or_b32 exec_lo, exec_lo, s0
	s_wait_storecnt_dscnt 0x0
	s_barrier_signal -1
	s_barrier_wait -1
	global_inv scope:SCOPE_SE
	s_clause 0x2
	scratch_load_b128 v[38:41], off, off offset:104
	scratch_load_b128 v[42:45], off, off offset:120
	scratch_load_b64 v[54:55], off, off offset:96
	ds_load_2addr_b64 v[46:49], v1 offset0:31 offset1:32
	ds_load_2addr_b64 v[50:53], v1 offset0:33 offset1:34
	s_mov_b32 s0, exec_lo
	s_wait_loadcnt_dscnt 0x201
	v_mul_f32_e32 v2, v47, v39
	s_wait_loadcnt_dscnt 0x100
	v_dual_mul_f32 v56, v50, v43 :: v_dual_mul_f32 v57, v52, v45
	s_delay_alu instid0(VALU_DEP_2) | instskip(SKIP_2) | instid1(VALU_DEP_4)
	v_fma_f32 v2, v46, v38, -v2
	v_mul_f32_e32 v1, v46, v39
	v_mul_f32_e32 v39, v48, v41
	v_dual_mul_f32 v41, v49, v41 :: v_dual_fmac_f32 v56, v51, v42
	s_delay_alu instid0(VALU_DEP_4) | instskip(NEXT) | instid1(VALU_DEP_4)
	v_add_f32_e32 v2, 0, v2
	v_fmac_f32_e32 v1, v47, v38
	s_delay_alu instid0(VALU_DEP_4) | instskip(NEXT) | instid1(VALU_DEP_4)
	v_dual_mul_f32 v38, v51, v43 :: v_dual_fmac_f32 v39, v49, v40
	v_fma_f32 v40, v48, v40, -v41
	v_fmac_f32_e32 v57, v53, v44
	s_delay_alu instid0(VALU_DEP_3) | instskip(NEXT) | instid1(VALU_DEP_3)
	v_fma_f32 v38, v50, v42, -v38
	v_dual_add_f32 v2, v2, v40 :: v_dual_add_f32 v1, 0, v1
	s_delay_alu instid0(VALU_DEP_1) | instskip(NEXT) | instid1(VALU_DEP_2)
	v_dual_add_f32 v2, v2, v38 :: v_dual_mul_f32 v41, v53, v45
	v_add_f32_e32 v1, v1, v39
	s_delay_alu instid0(VALU_DEP_2) | instskip(NEXT) | instid1(VALU_DEP_1)
	v_fma_f32 v39, v52, v44, -v41
	v_dual_add_f32 v1, v1, v56 :: v_dual_add_f32 v2, v2, v39
	s_wait_loadcnt 0x0
	s_delay_alu instid0(VALU_DEP_1) | instskip(NEXT) | instid1(VALU_DEP_1)
	v_dual_add_f32 v38, v1, v57 :: v_dual_sub_f32 v1, v54, v2
	v_sub_f32_e32 v2, v55, v38
	scratch_store_b64 off, v[1:2], off offset:96
	v_cmpx_lt_u32_e32 11, v0
	s_cbranch_execz .LBB80_93
; %bb.92:
	scratch_load_b64 v[1:2], off, off offset:88
	v_mov_b32_e32 v38, 0
	s_delay_alu instid0(VALU_DEP_1)
	v_mov_b32_e32 v39, v38
	scratch_store_b64 off, v[38:39], off offset:88
	s_wait_loadcnt 0x0
	ds_store_b64 v3, v[1:2]
.LBB80_93:
	s_wait_alu 0xfffe
	s_or_b32 exec_lo, exec_lo, s0
	s_wait_storecnt_dscnt 0x0
	s_barrier_signal -1
	s_barrier_wait -1
	global_inv scope:SCOPE_SE
	s_clause 0x3
	scratch_load_b128 v[38:41], off, off offset:96
	scratch_load_b128 v[42:45], off, off offset:112
	scratch_load_b64 v[54:55], off, off offset:128
	scratch_load_b64 v[56:57], off, off offset:88
	v_mov_b32_e32 v1, 0
	ds_load_b128 v[46:49], v1 offset:240
	ds_load_b128 v[50:53], v1 offset:256
	ds_load_b64 v[58:59], v1 offset:272
	s_mov_b32 s0, exec_lo
	s_wait_loadcnt_dscnt 0x302
	v_mul_f32_e32 v2, v46, v39
	v_dual_mul_f32 v60, v48, v41 :: v_dual_mul_f32 v39, v47, v39
	s_wait_loadcnt_dscnt 0x100
	v_mul_f32_e32 v63, v58, v55
	v_dual_mul_f32 v61, v50, v43 :: v_dual_mul_f32 v62, v52, v45
	v_dual_fmac_f32 v2, v47, v38 :: v_dual_mul_f32 v41, v49, v41
	v_fma_f32 v39, v46, v38, -v39
	v_fmac_f32_e32 v60, v49, v40
	v_mul_f32_e32 v38, v51, v43
	s_delay_alu instid0(VALU_DEP_4) | instskip(SKIP_3) | instid1(VALU_DEP_4)
	v_add_f32_e32 v2, 0, v2
	v_fma_f32 v40, v48, v40, -v41
	v_add_f32_e32 v39, 0, v39
	v_mul_f32_e32 v41, v53, v45
	v_dual_fmac_f32 v61, v51, v42 :: v_dual_add_f32 v2, v2, v60
	v_dual_fmac_f32 v62, v53, v44 :: v_dual_fmac_f32 v63, v59, v54
	s_delay_alu instid0(VALU_DEP_4) | instskip(SKIP_1) | instid1(VALU_DEP_4)
	v_add_f32_e32 v39, v39, v40
	v_fma_f32 v38, v50, v42, -v38
	v_add_f32_e32 v2, v2, v61
	v_fma_f32 v41, v52, v44, -v41
	s_delay_alu instid0(VALU_DEP_3) | instskip(NEXT) | instid1(VALU_DEP_3)
	v_add_f32_e32 v38, v39, v38
	v_add_f32_e32 v2, v2, v62
	s_delay_alu instid0(VALU_DEP_2) | instskip(NEXT) | instid1(VALU_DEP_2)
	v_add_f32_e32 v38, v38, v41
	v_add_f32_e32 v2, v2, v63
	v_mul_f32_e32 v40, v59, v55
	s_delay_alu instid0(VALU_DEP_1) | instskip(SKIP_1) | instid1(VALU_DEP_1)
	v_fma_f32 v39, v58, v54, -v40
	s_wait_loadcnt 0x0
	v_dual_add_f32 v38, v38, v39 :: v_dual_sub_f32 v39, v57, v2
	s_delay_alu instid0(VALU_DEP_1)
	v_sub_f32_e32 v38, v56, v38
	scratch_store_b64 off, v[38:39], off offset:88
	v_cmpx_lt_u32_e32 10, v0
	s_cbranch_execz .LBB80_95
; %bb.94:
	scratch_load_b64 v[38:39], off, off offset:80
	v_mov_b32_e32 v2, v1
	scratch_store_b64 off, v[1:2], off offset:80
	s_wait_loadcnt 0x0
	ds_store_b64 v3, v[38:39]
.LBB80_95:
	s_wait_alu 0xfffe
	s_or_b32 exec_lo, exec_lo, s0
	s_wait_storecnt_dscnt 0x0
	s_barrier_signal -1
	s_barrier_wait -1
	global_inv scope:SCOPE_SE
	s_clause 0x3
	scratch_load_b128 v[38:41], off, off offset:88
	scratch_load_b128 v[42:45], off, off offset:104
	;; [unrolled: 1-line block ×3, first 2 shown]
	scratch_load_b64 v[62:63], off, off offset:80
	ds_load_2addr_b64 v[50:53], v1 offset0:29 offset1:30
	ds_load_2addr_b64 v[54:57], v1 offset0:31 offset1:32
	;; [unrolled: 1-line block ×3, first 2 shown]
	s_mov_b32 s0, exec_lo
	s_wait_loadcnt_dscnt 0x302
	v_dual_mul_f32 v1, v50, v39 :: v_dual_mul_f32 v2, v52, v41
	v_mul_f32_e32 v39, v51, v39
	s_wait_loadcnt_dscnt 0x201
	v_dual_mul_f32 v41, v53, v41 :: v_dual_mul_f32 v64, v54, v43
	s_delay_alu instid0(VALU_DEP_3) | instskip(NEXT) | instid1(VALU_DEP_3)
	v_dual_mul_f32 v65, v56, v45 :: v_dual_fmac_f32 v2, v53, v40
	v_fma_f32 v39, v50, v38, -v39
	v_fmac_f32_e32 v1, v51, v38
	v_mul_f32_e32 v38, v55, v43
	v_fma_f32 v40, v52, v40, -v41
	s_delay_alu instid0(VALU_DEP_4)
	v_dual_fmac_f32 v64, v55, v42 :: v_dual_add_f32 v39, 0, v39
	s_wait_loadcnt_dscnt 0x100
	v_dual_mul_f32 v66, v58, v47 :: v_dual_mul_f32 v67, v60, v49
	v_fma_f32 v38, v54, v42, -v38
	v_fmac_f32_e32 v65, v57, v44
	v_add_f32_e32 v39, v39, v40
	s_delay_alu instid0(VALU_DEP_4) | instskip(NEXT) | instid1(VALU_DEP_2)
	v_dual_mul_f32 v41, v57, v45 :: v_dual_fmac_f32 v66, v59, v46
	v_dual_fmac_f32 v67, v61, v48 :: v_dual_add_f32 v38, v39, v38
	s_delay_alu instid0(VALU_DEP_2) | instskip(NEXT) | instid1(VALU_DEP_1)
	v_fma_f32 v40, v56, v44, -v41
	v_dual_mul_f32 v39, v61, v49 :: v_dual_add_f32 v38, v38, v40
	v_add_f32_e32 v1, 0, v1
	s_delay_alu instid0(VALU_DEP_2) | instskip(NEXT) | instid1(VALU_DEP_2)
	v_fma_f32 v39, v60, v48, -v39
	v_dual_add_f32 v1, v1, v2 :: v_dual_mul_f32 v2, v59, v47
	s_delay_alu instid0(VALU_DEP_1) | instskip(NEXT) | instid1(VALU_DEP_1)
	v_fma_f32 v2, v58, v46, -v2
	v_add_f32_e32 v2, v38, v2
	s_delay_alu instid0(VALU_DEP_1) | instskip(NEXT) | instid1(VALU_DEP_1)
	v_dual_add_f32 v2, v2, v39 :: v_dual_add_f32 v1, v1, v64
	v_add_f32_e32 v1, v1, v65
	s_delay_alu instid0(VALU_DEP_1) | instskip(SKIP_1) | instid1(VALU_DEP_1)
	v_add_f32_e32 v1, v1, v66
	s_wait_loadcnt 0x0
	v_dual_add_f32 v38, v1, v67 :: v_dual_sub_f32 v1, v62, v2
	s_delay_alu instid0(VALU_DEP_1)
	v_sub_f32_e32 v2, v63, v38
	scratch_store_b64 off, v[1:2], off offset:80
	v_cmpx_lt_u32_e32 9, v0
	s_cbranch_execz .LBB80_97
; %bb.96:
	scratch_load_b64 v[1:2], off, off offset:72
	v_mov_b32_e32 v38, 0
	s_delay_alu instid0(VALU_DEP_1)
	v_mov_b32_e32 v39, v38
	scratch_store_b64 off, v[38:39], off offset:72
	s_wait_loadcnt 0x0
	ds_store_b64 v3, v[1:2]
.LBB80_97:
	s_wait_alu 0xfffe
	s_or_b32 exec_lo, exec_lo, s0
	s_wait_storecnt_dscnt 0x0
	s_barrier_signal -1
	s_barrier_wait -1
	global_inv scope:SCOPE_SE
	s_clause 0x4
	scratch_load_b128 v[38:41], off, off offset:80
	scratch_load_b128 v[42:45], off, off offset:96
	;; [unrolled: 1-line block ×3, first 2 shown]
	scratch_load_b64 v[62:63], off, off offset:128
	scratch_load_b64 v[64:65], off, off offset:72
	v_mov_b32_e32 v1, 0
	ds_load_b128 v[50:53], v1 offset:224
	ds_load_b128 v[54:57], v1 offset:240
	;; [unrolled: 1-line block ×3, first 2 shown]
	ds_load_b64 v[66:67], v1 offset:272
	s_mov_b32 s0, exec_lo
	s_wait_loadcnt_dscnt 0x403
	v_mul_f32_e32 v2, v50, v39
	s_wait_loadcnt_dscnt 0x302
	v_dual_mul_f32 v68, v52, v41 :: v_dual_mul_f32 v69, v54, v43
	v_dual_mul_f32 v70, v56, v45 :: v_dual_mul_f32 v39, v51, v39
	s_wait_loadcnt_dscnt 0x100
	v_dual_mul_f32 v73, v66, v63 :: v_dual_fmac_f32 v2, v51, v38
	v_mul_f32_e32 v41, v53, v41
	v_dual_mul_f32 v71, v58, v47 :: v_dual_mul_f32 v72, v60, v49
	v_fma_f32 v39, v50, v38, -v39
	v_fmac_f32_e32 v68, v53, v40
	v_add_f32_e32 v2, 0, v2
	v_mul_f32_e32 v38, v55, v43
	v_fma_f32 v40, v52, v40, -v41
	v_add_f32_e32 v39, 0, v39
	v_mul_f32_e32 v41, v57, v45
	v_dual_fmac_f32 v69, v55, v42 :: v_dual_add_f32 v2, v2, v68
	v_dual_fmac_f32 v70, v57, v44 :: v_dual_fmac_f32 v71, v59, v46
	s_delay_alu instid0(VALU_DEP_4) | instskip(SKIP_1) | instid1(VALU_DEP_4)
	v_add_f32_e32 v39, v39, v40
	v_fma_f32 v38, v54, v42, -v38
	v_add_f32_e32 v2, v2, v69
	v_mul_f32_e32 v40, v59, v47
	v_fma_f32 v41, v56, v44, -v41
	v_dual_fmac_f32 v72, v61, v48 :: v_dual_fmac_f32 v73, v67, v62
	s_delay_alu instid0(VALU_DEP_4) | instskip(SKIP_2) | instid1(VALU_DEP_3)
	v_add_f32_e32 v2, v2, v70
	v_dual_add_f32 v38, v39, v38 :: v_dual_mul_f32 v39, v61, v49
	v_fma_f32 v40, v58, v46, -v40
	v_add_f32_e32 v2, v2, v71
	s_delay_alu instid0(VALU_DEP_3) | instskip(NEXT) | instid1(VALU_DEP_4)
	v_dual_add_f32 v38, v38, v41 :: v_dual_mul_f32 v41, v67, v63
	v_fma_f32 v39, v60, v48, -v39
	s_delay_alu instid0(VALU_DEP_3) | instskip(NEXT) | instid1(VALU_DEP_1)
	v_add_f32_e32 v2, v2, v72
	v_add_f32_e32 v2, v2, v73
	s_delay_alu instid0(VALU_DEP_4) | instskip(SKIP_2) | instid1(VALU_DEP_2)
	v_add_f32_e32 v38, v38, v40
	v_fma_f32 v40, v66, v62, -v41
	s_wait_loadcnt 0x0
	v_dual_add_f32 v38, v38, v39 :: v_dual_sub_f32 v39, v65, v2
	s_delay_alu instid0(VALU_DEP_1) | instskip(NEXT) | instid1(VALU_DEP_1)
	v_add_f32_e32 v38, v38, v40
	v_sub_f32_e32 v38, v64, v38
	scratch_store_b64 off, v[38:39], off offset:72
	v_cmpx_lt_u32_e32 8, v0
	s_cbranch_execz .LBB80_99
; %bb.98:
	scratch_load_b64 v[38:39], off, off offset:64
	v_mov_b32_e32 v2, v1
	scratch_store_b64 off, v[1:2], off offset:64
	s_wait_loadcnt 0x0
	ds_store_b64 v3, v[38:39]
.LBB80_99:
	s_wait_alu 0xfffe
	s_or_b32 exec_lo, exec_lo, s0
	s_wait_storecnt_dscnt 0x0
	s_barrier_signal -1
	s_barrier_wait -1
	global_inv scope:SCOPE_SE
	s_clause 0x4
	scratch_load_b128 v[38:41], off, off offset:72
	scratch_load_b128 v[42:45], off, off offset:88
	;; [unrolled: 1-line block ×4, first 2 shown]
	scratch_load_b64 v[70:71], off, off offset:64
	ds_load_2addr_b64 v[54:57], v1 offset0:27 offset1:28
	ds_load_2addr_b64 v[58:61], v1 offset0:29 offset1:30
	;; [unrolled: 1-line block ×4, first 2 shown]
	s_mov_b32 s0, exec_lo
	s_wait_loadcnt_dscnt 0x403
	v_dual_mul_f32 v1, v54, v39 :: v_dual_mul_f32 v2, v56, v41
	v_mul_f32_e32 v39, v55, v39
	s_wait_loadcnt_dscnt 0x302
	v_dual_mul_f32 v41, v57, v41 :: v_dual_mul_f32 v72, v58, v43
	s_delay_alu instid0(VALU_DEP_3) | instskip(NEXT) | instid1(VALU_DEP_3)
	v_dual_mul_f32 v73, v60, v45 :: v_dual_fmac_f32 v2, v57, v40
	v_fma_f32 v39, v54, v38, -v39
	v_fmac_f32_e32 v1, v55, v38
	v_mul_f32_e32 v38, v59, v43
	v_fma_f32 v40, v56, v40, -v41
	s_delay_alu instid0(VALU_DEP_4)
	v_dual_fmac_f32 v72, v59, v42 :: v_dual_add_f32 v39, 0, v39
	s_wait_loadcnt_dscnt 0x201
	v_dual_mul_f32 v74, v62, v47 :: v_dual_mul_f32 v75, v64, v49
	v_fma_f32 v38, v58, v42, -v38
	s_wait_loadcnt_dscnt 0x100
	v_dual_mul_f32 v76, v66, v51 :: v_dual_mul_f32 v77, v68, v53
	v_add_f32_e32 v39, v39, v40
	v_mul_f32_e32 v41, v61, v45
	v_dual_fmac_f32 v73, v61, v44 :: v_dual_fmac_f32 v74, v63, v46
	s_delay_alu instid0(VALU_DEP_3) | instskip(NEXT) | instid1(VALU_DEP_3)
	v_dual_fmac_f32 v77, v69, v52 :: v_dual_add_f32 v38, v39, v38
	v_fma_f32 v40, v60, v44, -v41
	v_fmac_f32_e32 v76, v67, v50
	s_delay_alu instid0(VALU_DEP_2) | instskip(NEXT) | instid1(VALU_DEP_1)
	v_dual_add_f32 v38, v38, v40 :: v_dual_add_f32 v1, 0, v1
	v_dual_mul_f32 v40, v67, v51 :: v_dual_add_f32 v1, v1, v2
	v_mul_f32_e32 v2, v63, v47
	s_delay_alu instid0(VALU_DEP_2) | instskip(SKIP_1) | instid1(VALU_DEP_4)
	v_fma_f32 v40, v66, v50, -v40
	v_mul_f32_e32 v39, v65, v49
	v_add_f32_e32 v1, v1, v72
	s_delay_alu instid0(VALU_DEP_4) | instskip(NEXT) | instid1(VALU_DEP_3)
	v_fma_f32 v2, v62, v46, -v2
	v_fma_f32 v39, v64, v48, -v39
	s_delay_alu instid0(VALU_DEP_2) | instskip(SKIP_1) | instid1(VALU_DEP_2)
	v_dual_add_f32 v2, v38, v2 :: v_dual_add_f32 v1, v1, v73
	v_mul_f32_e32 v38, v69, v53
	v_dual_add_f32 v2, v2, v39 :: v_dual_add_f32 v1, v1, v74
	s_delay_alu instid0(VALU_DEP_2) | instskip(NEXT) | instid1(VALU_DEP_2)
	v_fma_f32 v38, v68, v52, -v38
	v_add_f32_e32 v2, v2, v40
	s_delay_alu instid0(VALU_DEP_1) | instskip(NEXT) | instid1(VALU_DEP_1)
	v_dual_fmac_f32 v75, v65, v48 :: v_dual_add_f32 v2, v2, v38
	v_add_f32_e32 v1, v1, v75
	s_delay_alu instid0(VALU_DEP_1) | instskip(SKIP_1) | instid1(VALU_DEP_1)
	v_add_f32_e32 v1, v1, v76
	s_wait_loadcnt 0x0
	v_dual_add_f32 v38, v1, v77 :: v_dual_sub_f32 v1, v70, v2
	s_delay_alu instid0(VALU_DEP_1)
	v_sub_f32_e32 v2, v71, v38
	scratch_store_b64 off, v[1:2], off offset:64
	v_cmpx_lt_u32_e32 7, v0
	s_cbranch_execz .LBB80_101
; %bb.100:
	scratch_load_b64 v[1:2], off, off offset:56
	v_mov_b32_e32 v38, 0
	s_delay_alu instid0(VALU_DEP_1)
	v_mov_b32_e32 v39, v38
	scratch_store_b64 off, v[38:39], off offset:56
	s_wait_loadcnt 0x0
	ds_store_b64 v3, v[1:2]
.LBB80_101:
	s_wait_alu 0xfffe
	s_or_b32 exec_lo, exec_lo, s0
	s_wait_storecnt_dscnt 0x0
	s_barrier_signal -1
	s_barrier_wait -1
	global_inv scope:SCOPE_SE
	s_clause 0x5
	scratch_load_b128 v[38:41], off, off offset:64
	scratch_load_b128 v[42:45], off, off offset:80
	;; [unrolled: 1-line block ×4, first 2 shown]
	scratch_load_b64 v[70:71], off, off offset:128
	scratch_load_b64 v[72:73], off, off offset:56
	v_mov_b32_e32 v1, 0
	ds_load_b128 v[54:57], v1 offset:208
	ds_load_b128 v[58:61], v1 offset:224
	;; [unrolled: 1-line block ×4, first 2 shown]
	ds_load_b64 v[74:75], v1 offset:272
	s_mov_b32 s0, exec_lo
	s_wait_loadcnt_dscnt 0x504
	v_mul_f32_e32 v2, v54, v39
	s_wait_loadcnt_dscnt 0x302
	v_dual_mul_f32 v39, v55, v39 :: v_dual_mul_f32 v80, v64, v49
	v_dual_mul_f32 v76, v56, v41 :: v_dual_mul_f32 v77, v58, v43
	s_wait_loadcnt_dscnt 0x100
	v_dual_mul_f32 v83, v74, v71 :: v_dual_fmac_f32 v2, v55, v38
	v_mul_f32_e32 v41, v57, v41
	v_fma_f32 v39, v54, v38, -v39
	v_mul_f32_e32 v38, v59, v43
	v_fmac_f32_e32 v76, v57, v40
	v_add_f32_e32 v2, 0, v2
	v_fma_f32 v40, v56, v40, -v41
	v_add_f32_e32 v39, 0, v39
	v_mul_f32_e32 v41, v61, v45
	s_delay_alu instid0(VALU_DEP_4) | instskip(SKIP_1) | instid1(VALU_DEP_4)
	v_dual_fmac_f32 v77, v59, v42 :: v_dual_add_f32 v2, v2, v76
	v_fma_f32 v38, v58, v42, -v38
	v_dual_add_f32 v39, v39, v40 :: v_dual_mul_f32 v78, v60, v45
	v_mul_f32_e32 v79, v62, v47
	v_mul_f32_e32 v40, v63, v47
	v_fma_f32 v41, v60, v44, -v41
	v_add_f32_e32 v2, v2, v77
	v_add_f32_e32 v38, v39, v38
	v_dual_fmac_f32 v78, v61, v44 :: v_dual_fmac_f32 v79, v63, v46
	v_mul_f32_e32 v39, v65, v49
	v_fma_f32 v40, v62, v46, -v40
	s_delay_alu instid0(VALU_DEP_4) | instskip(NEXT) | instid1(VALU_DEP_4)
	v_dual_add_f32 v38, v38, v41 :: v_dual_mul_f32 v41, v67, v51
	v_add_f32_e32 v2, v2, v78
	s_delay_alu instid0(VALU_DEP_4) | instskip(SKIP_1) | instid1(VALU_DEP_4)
	v_fma_f32 v39, v64, v48, -v39
	v_dual_mul_f32 v81, v66, v51 :: v_dual_mul_f32 v82, v68, v53
	v_dual_add_f32 v38, v38, v40 :: v_dual_fmac_f32 v83, v75, v70
	s_delay_alu instid0(VALU_DEP_2) | instskip(SKIP_1) | instid1(VALU_DEP_3)
	v_dual_fmac_f32 v80, v65, v48 :: v_dual_fmac_f32 v81, v67, v50
	v_mul_f32_e32 v40, v69, v53
	v_add_f32_e32 v38, v38, v39
	v_mul_f32_e32 v39, v75, v71
	v_add_f32_e32 v2, v2, v79
	v_fma_f32 v41, v66, v50, -v41
	v_fmac_f32_e32 v82, v69, v52
	v_fma_f32 v40, v68, v52, -v40
	v_fma_f32 v39, v74, v70, -v39
	v_add_f32_e32 v2, v2, v80
	v_add_f32_e32 v38, v38, v41
	s_delay_alu instid0(VALU_DEP_2) | instskip(NEXT) | instid1(VALU_DEP_2)
	v_add_f32_e32 v2, v2, v81
	v_add_f32_e32 v38, v38, v40
	s_delay_alu instid0(VALU_DEP_2) | instskip(NEXT) | instid1(VALU_DEP_2)
	v_add_f32_e32 v2, v2, v82
	v_add_f32_e32 v38, v38, v39
	s_delay_alu instid0(VALU_DEP_2) | instskip(SKIP_1) | instid1(VALU_DEP_2)
	v_add_f32_e32 v2, v2, v83
	s_wait_loadcnt 0x0
	v_sub_f32_e32 v38, v72, v38
	s_delay_alu instid0(VALU_DEP_2)
	v_sub_f32_e32 v39, v73, v2
	scratch_store_b64 off, v[38:39], off offset:56
	v_cmpx_lt_u32_e32 6, v0
	s_cbranch_execz .LBB80_103
; %bb.102:
	scratch_load_b64 v[38:39], off, off offset:48
	v_mov_b32_e32 v2, v1
	scratch_store_b64 off, v[1:2], off offset:48
	s_wait_loadcnt 0x0
	ds_store_b64 v3, v[38:39]
.LBB80_103:
	s_wait_alu 0xfffe
	s_or_b32 exec_lo, exec_lo, s0
	s_wait_storecnt_dscnt 0x0
	s_barrier_signal -1
	s_barrier_wait -1
	global_inv scope:SCOPE_SE
	s_clause 0x5
	scratch_load_b128 v[38:41], off, off offset:56
	scratch_load_b128 v[42:45], off, off offset:72
	;; [unrolled: 1-line block ×5, first 2 shown]
	scratch_load_b64 v[78:79], off, off offset:48
	ds_load_2addr_b64 v[58:61], v1 offset0:25 offset1:26
	ds_load_2addr_b64 v[62:65], v1 offset0:27 offset1:28
	;; [unrolled: 1-line block ×5, first 2 shown]
	s_mov_b32 s0, exec_lo
	s_wait_loadcnt_dscnt 0x504
	v_dual_mul_f32 v1, v58, v39 :: v_dual_mul_f32 v2, v60, v41
	v_mul_f32_e32 v39, v59, v39
	s_wait_loadcnt_dscnt 0x403
	v_dual_mul_f32 v41, v61, v41 :: v_dual_mul_f32 v80, v62, v43
	s_delay_alu instid0(VALU_DEP_3) | instskip(NEXT) | instid1(VALU_DEP_3)
	v_dual_mul_f32 v81, v64, v45 :: v_dual_fmac_f32 v2, v61, v40
	v_fma_f32 v39, v58, v38, -v39
	v_fmac_f32_e32 v1, v59, v38
	v_mul_f32_e32 v38, v63, v43
	v_fma_f32 v40, v60, v40, -v41
	s_delay_alu instid0(VALU_DEP_4)
	v_dual_fmac_f32 v80, v63, v42 :: v_dual_add_f32 v39, 0, v39
	s_wait_loadcnt_dscnt 0x302
	v_dual_mul_f32 v82, v66, v47 :: v_dual_mul_f32 v83, v68, v49
	v_fma_f32 v38, v62, v42, -v38
	s_wait_loadcnt_dscnt 0x201
	v_dual_mul_f32 v84, v70, v51 :: v_dual_mul_f32 v85, v72, v53
	v_add_f32_e32 v39, v39, v40
	v_mul_f32_e32 v41, v65, v45
	v_dual_fmac_f32 v81, v65, v44 :: v_dual_fmac_f32 v82, v67, v46
	s_wait_loadcnt_dscnt 0x100
	v_dual_mul_f32 v86, v74, v55 :: v_dual_mul_f32 v87, v76, v57
	v_add_f32_e32 v38, v39, v38
	v_fma_f32 v40, v64, v44, -v41
	s_delay_alu instid0(VALU_DEP_3) | instskip(NEXT) | instid1(VALU_DEP_4)
	v_dual_fmac_f32 v83, v69, v48 :: v_dual_fmac_f32 v86, v75, v54
	v_dual_fmac_f32 v87, v77, v56 :: v_dual_fmac_f32 v84, v71, v50
	s_delay_alu instid0(VALU_DEP_3) | instskip(NEXT) | instid1(VALU_DEP_1)
	v_dual_add_f32 v38, v38, v40 :: v_dual_add_f32 v1, 0, v1
	v_dual_mul_f32 v40, v71, v51 :: v_dual_add_f32 v1, v1, v2
	v_mul_f32_e32 v2, v67, v47
	s_delay_alu instid0(VALU_DEP_2) | instskip(SKIP_1) | instid1(VALU_DEP_4)
	v_fma_f32 v40, v70, v50, -v40
	v_mul_f32_e32 v39, v69, v49
	v_add_f32_e32 v1, v1, v80
	s_delay_alu instid0(VALU_DEP_4) | instskip(NEXT) | instid1(VALU_DEP_3)
	v_fma_f32 v2, v66, v46, -v2
	v_fma_f32 v39, v68, v48, -v39
	s_delay_alu instid0(VALU_DEP_2) | instskip(SKIP_1) | instid1(VALU_DEP_2)
	v_dual_add_f32 v2, v38, v2 :: v_dual_add_f32 v1, v1, v81
	v_mul_f32_e32 v38, v73, v53
	v_add_f32_e32 v2, v2, v39
	v_mul_f32_e32 v39, v75, v55
	s_delay_alu instid0(VALU_DEP_3) | instskip(NEXT) | instid1(VALU_DEP_3)
	v_fma_f32 v38, v72, v52, -v38
	v_add_f32_e32 v2, v2, v40
	v_fmac_f32_e32 v85, v73, v52
	v_mul_f32_e32 v40, v77, v57
	v_fma_f32 v39, v74, v54, -v39
	s_delay_alu instid0(VALU_DEP_4) | instskip(SKIP_1) | instid1(VALU_DEP_4)
	v_add_f32_e32 v2, v2, v38
	v_add_f32_e32 v1, v1, v82
	v_fma_f32 v38, v76, v56, -v40
	s_delay_alu instid0(VALU_DEP_3) | instskip(NEXT) | instid1(VALU_DEP_1)
	v_add_f32_e32 v2, v2, v39
	v_dual_add_f32 v1, v1, v83 :: v_dual_add_f32 v2, v2, v38
	s_delay_alu instid0(VALU_DEP_1) | instskip(NEXT) | instid1(VALU_DEP_1)
	v_add_f32_e32 v1, v1, v84
	v_add_f32_e32 v1, v1, v85
	s_delay_alu instid0(VALU_DEP_1) | instskip(SKIP_1) | instid1(VALU_DEP_1)
	v_add_f32_e32 v1, v1, v86
	s_wait_loadcnt 0x0
	v_dual_add_f32 v38, v1, v87 :: v_dual_sub_f32 v1, v78, v2
	s_delay_alu instid0(VALU_DEP_1)
	v_sub_f32_e32 v2, v79, v38
	scratch_store_b64 off, v[1:2], off offset:48
	v_cmpx_lt_u32_e32 5, v0
	s_cbranch_execz .LBB80_105
; %bb.104:
	scratch_load_b64 v[1:2], off, off offset:40
	v_mov_b32_e32 v38, 0
	s_delay_alu instid0(VALU_DEP_1)
	v_mov_b32_e32 v39, v38
	scratch_store_b64 off, v[38:39], off offset:40
	s_wait_loadcnt 0x0
	ds_store_b64 v3, v[1:2]
.LBB80_105:
	s_wait_alu 0xfffe
	s_or_b32 exec_lo, exec_lo, s0
	s_wait_storecnt_dscnt 0x0
	s_barrier_signal -1
	s_barrier_wait -1
	global_inv scope:SCOPE_SE
	s_clause 0x6
	scratch_load_b128 v[38:41], off, off offset:48
	scratch_load_b128 v[42:45], off, off offset:64
	;; [unrolled: 1-line block ×5, first 2 shown]
	scratch_load_b64 v[78:79], off, off offset:128
	scratch_load_b64 v[80:81], off, off offset:40
	v_mov_b32_e32 v1, 0
	ds_load_b128 v[58:61], v1 offset:192
	ds_load_b128 v[62:65], v1 offset:208
	;; [unrolled: 1-line block ×5, first 2 shown]
	ds_load_b64 v[82:83], v1 offset:272
	s_mov_b32 s0, exec_lo
	s_wait_loadcnt_dscnt 0x605
	v_mul_f32_e32 v2, v58, v39
	v_dual_mul_f32 v39, v59, v39 :: v_dual_mul_f32 v84, v60, v41
	s_wait_loadcnt_dscnt 0x302
	v_dual_mul_f32 v85, v62, v43 :: v_dual_mul_f32 v90, v72, v53
	s_wait_loadcnt_dscnt 0x100
	v_dual_mul_f32 v93, v82, v79 :: v_dual_fmac_f32 v2, v59, v38
	v_mul_f32_e32 v41, v61, v41
	v_fma_f32 v39, v58, v38, -v39
	v_mul_f32_e32 v38, v63, v43
	v_fmac_f32_e32 v84, v61, v40
	v_add_f32_e32 v2, 0, v2
	v_fma_f32 v40, v60, v40, -v41
	v_add_f32_e32 v39, 0, v39
	v_mul_f32_e32 v41, v65, v45
	s_delay_alu instid0(VALU_DEP_4) | instskip(SKIP_1) | instid1(VALU_DEP_4)
	v_dual_fmac_f32 v85, v63, v42 :: v_dual_add_f32 v2, v2, v84
	v_fma_f32 v38, v62, v42, -v38
	v_dual_add_f32 v39, v39, v40 :: v_dual_mul_f32 v86, v64, v45
	v_mul_f32_e32 v87, v66, v47
	v_mul_f32_e32 v40, v67, v47
	v_fma_f32 v41, v64, v44, -v41
	v_add_f32_e32 v2, v2, v85
	v_add_f32_e32 v38, v39, v38
	v_dual_fmac_f32 v86, v65, v44 :: v_dual_fmac_f32 v87, v67, v46
	v_mul_f32_e32 v39, v69, v49
	v_fma_f32 v40, v66, v46, -v40
	s_delay_alu instid0(VALU_DEP_4) | instskip(SKIP_4) | instid1(VALU_DEP_3)
	v_dual_add_f32 v38, v38, v41 :: v_dual_mul_f32 v41, v71, v51
	v_dual_mul_f32 v88, v68, v49 :: v_dual_mul_f32 v89, v70, v51
	v_dual_mul_f32 v91, v74, v55 :: v_dual_mul_f32 v92, v76, v57
	v_add_f32_e32 v2, v2, v86
	v_fma_f32 v39, v68, v48, -v39
	v_dual_add_f32 v38, v38, v40 :: v_dual_fmac_f32 v91, v75, v54
	v_dual_fmac_f32 v88, v69, v48 :: v_dual_fmac_f32 v89, v71, v50
	v_mul_f32_e32 v40, v73, v53
	s_delay_alu instid0(VALU_DEP_3)
	v_add_f32_e32 v38, v38, v39
	v_mul_f32_e32 v39, v75, v55
	v_dual_add_f32 v2, v2, v87 :: v_dual_fmac_f32 v93, v83, v78
	v_fma_f32 v41, v70, v50, -v41
	v_fmac_f32_e32 v90, v73, v52
	v_fma_f32 v40, v72, v52, -v40
	s_delay_alu instid0(VALU_DEP_4)
	v_add_f32_e32 v2, v2, v88
	v_fma_f32 v39, v74, v54, -v39
	v_add_f32_e32 v38, v38, v41
	v_mul_f32_e32 v41, v77, v57
	v_fmac_f32_e32 v92, v77, v56
	v_add_f32_e32 v2, v2, v89
	s_delay_alu instid0(VALU_DEP_4) | instskip(SKIP_2) | instid1(VALU_DEP_4)
	v_add_f32_e32 v38, v38, v40
	v_mul_f32_e32 v40, v83, v79
	v_fma_f32 v41, v76, v56, -v41
	v_add_f32_e32 v2, v2, v90
	s_delay_alu instid0(VALU_DEP_4) | instskip(NEXT) | instid1(VALU_DEP_4)
	v_add_f32_e32 v38, v38, v39
	v_fma_f32 v39, v82, v78, -v40
	s_delay_alu instid0(VALU_DEP_3) | instskip(NEXT) | instid1(VALU_DEP_3)
	v_add_f32_e32 v2, v2, v91
	v_add_f32_e32 v38, v38, v41
	s_delay_alu instid0(VALU_DEP_2) | instskip(NEXT) | instid1(VALU_DEP_2)
	v_add_f32_e32 v2, v2, v92
	v_add_f32_e32 v38, v38, v39
	s_delay_alu instid0(VALU_DEP_2) | instskip(SKIP_1) | instid1(VALU_DEP_2)
	v_add_f32_e32 v2, v2, v93
	s_wait_loadcnt 0x0
	v_sub_f32_e32 v38, v80, v38
	s_delay_alu instid0(VALU_DEP_2)
	v_sub_f32_e32 v39, v81, v2
	scratch_store_b64 off, v[38:39], off offset:40
	v_cmpx_lt_u32_e32 4, v0
	s_cbranch_execz .LBB80_107
; %bb.106:
	scratch_load_b64 v[38:39], off, off offset:32
	v_mov_b32_e32 v2, v1
	scratch_store_b64 off, v[1:2], off offset:32
	s_wait_loadcnt 0x0
	ds_store_b64 v3, v[38:39]
.LBB80_107:
	s_wait_alu 0xfffe
	s_or_b32 exec_lo, exec_lo, s0
	s_wait_storecnt_dscnt 0x0
	s_barrier_signal -1
	s_barrier_wait -1
	global_inv scope:SCOPE_SE
	s_clause 0x6
	scratch_load_b128 v[38:41], off, off offset:40
	scratch_load_b128 v[42:45], off, off offset:56
	scratch_load_b128 v[46:49], off, off offset:72
	scratch_load_b128 v[50:53], off, off offset:88
	scratch_load_b128 v[54:57], off, off offset:104
	scratch_load_b128 v[58:61], off, off offset:120
	scratch_load_b64 v[86:87], off, off offset:32
	ds_load_2addr_b64 v[62:65], v1 offset0:23 offset1:24
	ds_load_2addr_b64 v[66:69], v1 offset0:25 offset1:26
	;; [unrolled: 1-line block ×6, first 2 shown]
	s_mov_b32 s0, exec_lo
	s_wait_loadcnt_dscnt 0x605
	v_dual_mul_f32 v1, v62, v39 :: v_dual_mul_f32 v2, v64, v41
	v_mul_f32_e32 v39, v63, v39
	s_wait_loadcnt_dscnt 0x504
	v_dual_mul_f32 v41, v65, v41 :: v_dual_mul_f32 v88, v66, v43
	s_delay_alu instid0(VALU_DEP_3) | instskip(NEXT) | instid1(VALU_DEP_3)
	v_dual_mul_f32 v89, v68, v45 :: v_dual_fmac_f32 v2, v65, v40
	v_fma_f32 v39, v62, v38, -v39
	v_fmac_f32_e32 v1, v63, v38
	v_mul_f32_e32 v38, v67, v43
	v_fma_f32 v40, v64, v40, -v41
	s_delay_alu instid0(VALU_DEP_4)
	v_dual_fmac_f32 v88, v67, v42 :: v_dual_add_f32 v39, 0, v39
	s_wait_loadcnt_dscnt 0x403
	v_dual_mul_f32 v90, v70, v47 :: v_dual_mul_f32 v91, v72, v49
	v_fma_f32 v38, v66, v42, -v38
	s_wait_loadcnt_dscnt 0x302
	v_dual_mul_f32 v92, v74, v51 :: v_dual_mul_f32 v93, v76, v53
	v_add_f32_e32 v39, v39, v40
	v_mul_f32_e32 v41, v69, v45
	v_dual_fmac_f32 v89, v69, v44 :: v_dual_fmac_f32 v90, v71, v46
	s_wait_loadcnt_dscnt 0x201
	v_dual_mul_f32 v94, v78, v55 :: v_dual_mul_f32 v95, v80, v57
	v_add_f32_e32 v38, v39, v38
	v_fma_f32 v40, v68, v44, -v41
	s_delay_alu instid0(VALU_DEP_3) | instskip(SKIP_2) | instid1(VALU_DEP_3)
	v_dual_fmac_f32 v91, v73, v48 :: v_dual_fmac_f32 v94, v79, v54
	s_wait_loadcnt_dscnt 0x100
	v_dual_mul_f32 v96, v82, v59 :: v_dual_mul_f32 v97, v84, v61
	v_dual_add_f32 v38, v38, v40 :: v_dual_add_f32 v1, 0, v1
	v_mul_f32_e32 v40, v75, v51
	s_delay_alu instid0(VALU_DEP_3) | instskip(NEXT) | instid1(VALU_DEP_4)
	v_dual_fmac_f32 v92, v75, v50 :: v_dual_fmac_f32 v97, v85, v60
	v_fmac_f32_e32 v96, v83, v58
	s_delay_alu instid0(VALU_DEP_4) | instskip(NEXT) | instid1(VALU_DEP_4)
	v_dual_add_f32 v1, v1, v2 :: v_dual_mul_f32 v2, v71, v47
	v_fma_f32 v40, v74, v50, -v40
	v_mul_f32_e32 v39, v73, v49
	s_delay_alu instid0(VALU_DEP_3) | instskip(NEXT) | instid1(VALU_DEP_4)
	v_add_f32_e32 v1, v1, v88
	v_fma_f32 v2, v70, v46, -v2
	s_delay_alu instid0(VALU_DEP_3) | instskip(NEXT) | instid1(VALU_DEP_2)
	v_fma_f32 v39, v72, v48, -v39
	v_dual_add_f32 v2, v38, v2 :: v_dual_add_f32 v1, v1, v89
	v_mul_f32_e32 v38, v77, v53
	s_delay_alu instid0(VALU_DEP_2) | instskip(SKIP_1) | instid1(VALU_DEP_3)
	v_dual_add_f32 v2, v2, v39 :: v_dual_add_f32 v1, v1, v90
	v_mul_f32_e32 v39, v79, v55
	v_fma_f32 v38, v76, v52, -v38
	s_delay_alu instid0(VALU_DEP_3) | instskip(SKIP_3) | instid1(VALU_DEP_4)
	v_add_f32_e32 v2, v2, v40
	v_fmac_f32_e32 v93, v77, v52
	v_mul_f32_e32 v40, v81, v57
	v_fma_f32 v39, v78, v54, -v39
	v_add_f32_e32 v2, v2, v38
	v_mul_f32_e32 v38, v83, v59
	v_add_f32_e32 v1, v1, v91
	v_fma_f32 v40, v80, v56, -v40
	s_delay_alu instid0(VALU_DEP_4) | instskip(NEXT) | instid1(VALU_DEP_3)
	v_dual_add_f32 v2, v2, v39 :: v_dual_mul_f32 v39, v85, v61
	v_add_f32_e32 v1, v1, v92
	v_fma_f32 v38, v82, v58, -v38
	s_delay_alu instid0(VALU_DEP_3) | instskip(SKIP_1) | instid1(VALU_DEP_4)
	v_add_f32_e32 v2, v2, v40
	v_fmac_f32_e32 v95, v81, v56
	v_add_f32_e32 v1, v1, v93
	v_fma_f32 v39, v84, v60, -v39
	s_delay_alu instid0(VALU_DEP_4) | instskip(NEXT) | instid1(VALU_DEP_1)
	v_add_f32_e32 v2, v2, v38
	v_dual_add_f32 v1, v1, v94 :: v_dual_add_f32 v2, v2, v39
	s_delay_alu instid0(VALU_DEP_1) | instskip(NEXT) | instid1(VALU_DEP_1)
	v_add_f32_e32 v1, v1, v95
	v_add_f32_e32 v1, v1, v96
	s_wait_loadcnt 0x0
	s_delay_alu instid0(VALU_DEP_1) | instskip(NEXT) | instid1(VALU_DEP_1)
	v_dual_add_f32 v38, v1, v97 :: v_dual_sub_f32 v1, v86, v2
	v_sub_f32_e32 v2, v87, v38
	scratch_store_b64 off, v[1:2], off offset:32
	v_cmpx_lt_u32_e32 3, v0
	s_cbranch_execz .LBB80_109
; %bb.108:
	scratch_load_b64 v[1:2], off, off offset:24
	v_mov_b32_e32 v38, 0
	s_delay_alu instid0(VALU_DEP_1)
	v_mov_b32_e32 v39, v38
	scratch_store_b64 off, v[38:39], off offset:24
	s_wait_loadcnt 0x0
	ds_store_b64 v3, v[1:2]
.LBB80_109:
	s_wait_alu 0xfffe
	s_or_b32 exec_lo, exec_lo, s0
	s_wait_storecnt_dscnt 0x0
	s_barrier_signal -1
	s_barrier_wait -1
	global_inv scope:SCOPE_SE
	s_clause 0x7
	scratch_load_b128 v[38:41], off, off offset:32
	scratch_load_b128 v[42:45], off, off offset:48
	;; [unrolled: 1-line block ×6, first 2 shown]
	scratch_load_b64 v[86:87], off, off offset:128
	scratch_load_b64 v[88:89], off, off offset:24
	v_mov_b32_e32 v1, 0
	ds_load_b128 v[62:65], v1 offset:176
	ds_load_b128 v[66:69], v1 offset:192
	;; [unrolled: 1-line block ×6, first 2 shown]
	ds_load_b64 v[90:91], v1 offset:272
	s_mov_b32 s0, exec_lo
	s_wait_loadcnt_dscnt 0x706
	v_mul_f32_e32 v2, v62, v39
	v_dual_mul_f32 v39, v63, v39 :: v_dual_mul_f32 v92, v64, v41
	s_wait_loadcnt_dscnt 0x302
	v_dual_mul_f32 v93, v66, v43 :: v_dual_mul_f32 v100, v80, v57
	v_mul_f32_e32 v41, v65, v41
	s_wait_loadcnt_dscnt 0x100
	v_dual_mul_f32 v103, v90, v87 :: v_dual_fmac_f32 v2, v63, v38
	v_fma_f32 v39, v62, v38, -v39
	v_mul_f32_e32 v38, v67, v43
	v_fmac_f32_e32 v92, v65, v40
	v_fma_f32 v40, v64, v40, -v41
	v_dual_add_f32 v2, 0, v2 :: v_dual_mul_f32 v41, v69, v45
	v_add_f32_e32 v39, 0, v39
	v_fmac_f32_e32 v93, v67, v42
	v_fma_f32 v38, v66, v42, -v38
	s_delay_alu instid0(VALU_DEP_4)
	v_add_f32_e32 v2, v2, v92
	v_fma_f32 v41, v68, v44, -v41
	v_add_f32_e32 v39, v39, v40
	v_mul_f32_e32 v40, v71, v47
	v_dual_mul_f32 v94, v68, v45 :: v_dual_mul_f32 v95, v70, v47
	v_add_f32_e32 v2, v2, v93
	s_delay_alu instid0(VALU_DEP_4) | instskip(NEXT) | instid1(VALU_DEP_4)
	v_dual_add_f32 v38, v39, v38 :: v_dual_mul_f32 v39, v73, v49
	v_fma_f32 v40, v70, v46, -v40
	v_dual_mul_f32 v98, v76, v53 :: v_dual_mul_f32 v99, v78, v55
	s_delay_alu instid0(VALU_DEP_3) | instskip(NEXT) | instid1(VALU_DEP_4)
	v_dual_add_f32 v38, v38, v41 :: v_dual_mul_f32 v41, v75, v51
	v_fma_f32 v39, v72, v48, -v39
	v_dual_mul_f32 v101, v82, v59 :: v_dual_mul_f32 v102, v84, v61
	s_delay_alu instid0(VALU_DEP_3) | instskip(SKIP_1) | instid1(VALU_DEP_3)
	v_dual_add_f32 v38, v38, v40 :: v_dual_fmac_f32 v99, v79, v54
	v_dual_fmac_f32 v94, v69, v44 :: v_dual_fmac_f32 v95, v71, v46
	v_dual_mul_f32 v40, v77, v53 :: v_dual_fmac_f32 v101, v83, v58
	v_fma_f32 v41, v74, v50, -v41
	s_delay_alu instid0(VALU_DEP_4) | instskip(SKIP_3) | instid1(VALU_DEP_4)
	v_dual_add_f32 v38, v38, v39 :: v_dual_fmac_f32 v103, v91, v86
	v_dual_mul_f32 v96, v72, v49 :: v_dual_mul_f32 v97, v74, v51
	v_dual_add_f32 v2, v2, v94 :: v_dual_mul_f32 v39, v79, v55
	v_fma_f32 v40, v76, v52, -v40
	v_add_f32_e32 v38, v38, v41
	s_delay_alu instid0(VALU_DEP_4) | instskip(NEXT) | instid1(VALU_DEP_4)
	v_dual_fmac_f32 v96, v73, v48 :: v_dual_fmac_f32 v97, v75, v50
	v_dual_add_f32 v2, v2, v95 :: v_dual_mul_f32 v41, v81, v57
	v_fma_f32 v39, v78, v54, -v39
	s_delay_alu instid0(VALU_DEP_4)
	v_add_f32_e32 v38, v38, v40
	v_fmac_f32_e32 v98, v77, v52
	v_mul_f32_e32 v40, v83, v59
	v_fma_f32 v41, v80, v56, -v41
	v_fmac_f32_e32 v100, v81, v56
	v_dual_add_f32 v38, v38, v39 :: v_dual_mul_f32 v39, v85, v61
	v_add_f32_e32 v2, v2, v96
	v_fma_f32 v40, v82, v58, -v40
	v_fmac_f32_e32 v102, v85, v60
	s_delay_alu instid0(VALU_DEP_4) | instskip(NEXT) | instid1(VALU_DEP_4)
	v_dual_add_f32 v38, v38, v41 :: v_dual_mul_f32 v41, v91, v87
	v_add_f32_e32 v2, v2, v97
	v_fma_f32 v39, v84, v60, -v39
	s_delay_alu instid0(VALU_DEP_3) | instskip(NEXT) | instid1(VALU_DEP_4)
	v_add_f32_e32 v38, v38, v40
	v_fma_f32 v40, v90, v86, -v41
	s_delay_alu instid0(VALU_DEP_4) | instskip(NEXT) | instid1(VALU_DEP_3)
	v_add_f32_e32 v2, v2, v98
	v_add_f32_e32 v38, v38, v39
	s_delay_alu instid0(VALU_DEP_2) | instskip(NEXT) | instid1(VALU_DEP_2)
	v_add_f32_e32 v2, v2, v99
	v_add_f32_e32 v38, v38, v40
	s_delay_alu instid0(VALU_DEP_2) | instskip(SKIP_1) | instid1(VALU_DEP_2)
	v_add_f32_e32 v2, v2, v100
	s_wait_loadcnt 0x0
	v_sub_f32_e32 v38, v88, v38
	s_delay_alu instid0(VALU_DEP_2) | instskip(NEXT) | instid1(VALU_DEP_1)
	v_add_f32_e32 v2, v2, v101
	v_add_f32_e32 v2, v2, v102
	s_delay_alu instid0(VALU_DEP_1) | instskip(NEXT) | instid1(VALU_DEP_1)
	v_add_f32_e32 v2, v2, v103
	v_sub_f32_e32 v39, v89, v2
	scratch_store_b64 off, v[38:39], off offset:24
	v_cmpx_lt_u32_e32 2, v0
	s_cbranch_execz .LBB80_111
; %bb.110:
	scratch_load_b64 v[38:39], off, off offset:16
	v_mov_b32_e32 v2, v1
	scratch_store_b64 off, v[1:2], off offset:16
	s_wait_loadcnt 0x0
	ds_store_b64 v3, v[38:39]
.LBB80_111:
	s_wait_alu 0xfffe
	s_or_b32 exec_lo, exec_lo, s0
	s_wait_storecnt_dscnt 0x0
	s_barrier_signal -1
	s_barrier_wait -1
	global_inv scope:SCOPE_SE
	s_clause 0x7
	scratch_load_b128 v[38:41], off, off offset:24
	scratch_load_b128 v[42:45], off, off offset:40
	;; [unrolled: 1-line block ×7, first 2 shown]
	scratch_load_b64 v[94:95], off, off offset:16
	ds_load_2addr_b64 v[66:69], v1 offset0:21 offset1:22
	ds_load_2addr_b64 v[70:73], v1 offset0:23 offset1:24
	;; [unrolled: 1-line block ×7, first 2 shown]
	s_mov_b32 s0, exec_lo
	s_wait_loadcnt_dscnt 0x706
	v_dual_mul_f32 v1, v66, v39 :: v_dual_mul_f32 v2, v68, v41
	v_mul_f32_e32 v39, v67, v39
	s_wait_loadcnt_dscnt 0x605
	v_dual_mul_f32 v41, v69, v41 :: v_dual_mul_f32 v96, v70, v43
	s_delay_alu instid0(VALU_DEP_3) | instskip(NEXT) | instid1(VALU_DEP_3)
	v_dual_mul_f32 v97, v72, v45 :: v_dual_fmac_f32 v2, v69, v40
	v_fma_f32 v39, v66, v38, -v39
	v_fmac_f32_e32 v1, v67, v38
	v_mul_f32_e32 v38, v71, v43
	v_fma_f32 v40, v68, v40, -v41
	s_delay_alu instid0(VALU_DEP_4)
	v_dual_fmac_f32 v96, v71, v42 :: v_dual_add_f32 v39, 0, v39
	s_wait_loadcnt_dscnt 0x504
	v_dual_mul_f32 v98, v74, v47 :: v_dual_mul_f32 v99, v76, v49
	v_fma_f32 v38, v70, v42, -v38
	s_wait_loadcnt_dscnt 0x403
	v_dual_mul_f32 v100, v78, v51 :: v_dual_mul_f32 v101, v80, v53
	v_add_f32_e32 v39, v39, v40
	v_mul_f32_e32 v41, v73, v45
	v_dual_fmac_f32 v97, v73, v44 :: v_dual_fmac_f32 v98, v75, v46
	s_wait_loadcnt_dscnt 0x302
	v_dual_mul_f32 v102, v82, v55 :: v_dual_mul_f32 v103, v84, v57
	v_add_f32_e32 v38, v39, v38
	v_fma_f32 v40, v72, v44, -v41
	s_delay_alu instid0(VALU_DEP_3) | instskip(SKIP_2) | instid1(VALU_DEP_3)
	v_dual_fmac_f32 v99, v77, v48 :: v_dual_fmac_f32 v102, v83, v54
	s_wait_loadcnt_dscnt 0x201
	v_dual_mul_f32 v104, v86, v59 :: v_dual_mul_f32 v105, v88, v61
	v_dual_add_f32 v38, v38, v40 :: v_dual_add_f32 v1, 0, v1
	v_mul_f32_e32 v40, v79, v51
	v_dual_fmac_f32 v100, v79, v50 :: v_dual_fmac_f32 v103, v85, v56
	s_wait_loadcnt_dscnt 0x100
	v_dual_mul_f32 v106, v90, v63 :: v_dual_mul_f32 v107, v92, v65
	v_dual_add_f32 v1, v1, v2 :: v_dual_mul_f32 v2, v75, v47
	v_fma_f32 v40, v78, v50, -v40
	v_mul_f32_e32 v39, v77, v49
	s_delay_alu instid0(VALU_DEP_4) | instskip(NEXT) | instid1(VALU_DEP_4)
	v_fmac_f32_e32 v107, v93, v64
	v_add_f32_e32 v1, v1, v96
	v_fma_f32 v2, v74, v46, -v2
	v_fmac_f32_e32 v104, v87, v58
	v_fma_f32 v39, v76, v48, -v39
	v_fmac_f32_e32 v106, v91, v62
	s_delay_alu instid0(VALU_DEP_4) | instskip(SKIP_1) | instid1(VALU_DEP_2)
	v_dual_add_f32 v2, v38, v2 :: v_dual_add_f32 v1, v1, v97
	v_mul_f32_e32 v38, v81, v53
	v_dual_add_f32 v2, v2, v39 :: v_dual_add_f32 v1, v1, v98
	v_mul_f32_e32 v39, v83, v55
	s_delay_alu instid0(VALU_DEP_3) | instskip(NEXT) | instid1(VALU_DEP_3)
	v_fma_f32 v38, v80, v52, -v38
	v_add_f32_e32 v2, v2, v40
	v_fmac_f32_e32 v101, v81, v52
	v_mul_f32_e32 v40, v85, v57
	v_fma_f32 v39, v82, v54, -v39
	s_delay_alu instid0(VALU_DEP_4) | instskip(SKIP_3) | instid1(VALU_DEP_4)
	v_add_f32_e32 v2, v2, v38
	v_mul_f32_e32 v38, v87, v59
	v_add_f32_e32 v1, v1, v99
	v_fma_f32 v40, v84, v56, -v40
	v_add_f32_e32 v2, v2, v39
	s_delay_alu instid0(VALU_DEP_4) | instskip(NEXT) | instid1(VALU_DEP_4)
	v_fma_f32 v38, v86, v58, -v38
	v_add_f32_e32 v1, v1, v100
	s_delay_alu instid0(VALU_DEP_3) | instskip(NEXT) | instid1(VALU_DEP_2)
	v_dual_add_f32 v2, v2, v40 :: v_dual_mul_f32 v39, v89, v61
	v_dual_add_f32 v1, v1, v101 :: v_dual_mul_f32 v40, v91, v63
	s_delay_alu instid0(VALU_DEP_2) | instskip(NEXT) | instid1(VALU_DEP_3)
	v_add_f32_e32 v2, v2, v38
	v_fma_f32 v39, v88, v60, -v39
	s_delay_alu instid0(VALU_DEP_3) | instskip(SKIP_2) | instid1(VALU_DEP_4)
	v_add_f32_e32 v1, v1, v102
	v_mul_f32_e32 v38, v93, v65
	v_fma_f32 v40, v90, v62, -v40
	v_add_f32_e32 v2, v2, v39
	s_delay_alu instid0(VALU_DEP_4) | instskip(NEXT) | instid1(VALU_DEP_4)
	v_add_f32_e32 v1, v1, v103
	v_fma_f32 v38, v92, v64, -v38
	s_delay_alu instid0(VALU_DEP_3) | instskip(SKIP_1) | instid1(VALU_DEP_2)
	v_add_f32_e32 v2, v2, v40
	v_fmac_f32_e32 v105, v89, v60
	v_dual_add_f32 v1, v1, v104 :: v_dual_add_f32 v2, v2, v38
	s_delay_alu instid0(VALU_DEP_1) | instskip(NEXT) | instid1(VALU_DEP_1)
	v_add_f32_e32 v1, v1, v105
	v_add_f32_e32 v1, v1, v106
	s_wait_loadcnt 0x0
	s_delay_alu instid0(VALU_DEP_1) | instskip(NEXT) | instid1(VALU_DEP_1)
	v_dual_add_f32 v38, v1, v107 :: v_dual_sub_f32 v1, v94, v2
	v_sub_f32_e32 v2, v95, v38
	scratch_store_b64 off, v[1:2], off offset:16
	v_cmpx_lt_u32_e32 1, v0
	s_cbranch_execz .LBB80_113
; %bb.112:
	scratch_load_b64 v[1:2], off, off offset:8
	v_mov_b32_e32 v38, 0
	s_delay_alu instid0(VALU_DEP_1)
	v_mov_b32_e32 v39, v38
	scratch_store_b64 off, v[38:39], off offset:8
	s_wait_loadcnt 0x0
	ds_store_b64 v3, v[1:2]
.LBB80_113:
	s_wait_alu 0xfffe
	s_or_b32 exec_lo, exec_lo, s0
	s_wait_storecnt_dscnt 0x0
	s_barrier_signal -1
	s_barrier_wait -1
	global_inv scope:SCOPE_SE
	s_clause 0x8
	scratch_load_b128 v[39:42], off, off offset:16
	scratch_load_b128 v[43:46], off, off offset:32
	;; [unrolled: 1-line block ×7, first 2 shown]
	scratch_load_b64 v[1:2], off, off offset:128
	scratch_load_b64 v[95:96], off, off offset:8
	v_mov_b32_e32 v38, 0
	ds_load_b128 v[67:70], v38 offset:160
	ds_load_b128 v[71:74], v38 offset:176
	ds_load_b128 v[75:78], v38 offset:192
	ds_load_b128 v[79:82], v38 offset:208
	ds_load_b128 v[83:86], v38 offset:224
	ds_load_b128 v[87:90], v38 offset:240
	ds_load_b128 v[91:94], v38 offset:256
	ds_load_b64 v[97:98], v38 offset:272
	s_mov_b32 s0, exec_lo
	s_wait_loadcnt_dscnt 0x807
	v_mul_f32_e32 v99, v67, v40
	v_mul_f32_e32 v40, v68, v40
	s_wait_loadcnt_dscnt 0x706
	v_dual_mul_f32 v100, v69, v42 :: v_dual_mul_f32 v101, v71, v44
	s_delay_alu instid0(VALU_DEP_3)
	v_dual_mul_f32 v42, v70, v42 :: v_dual_fmac_f32 v99, v68, v39
	s_wait_loadcnt_dscnt 0x201
	v_mul_f32_e32 v112, v93, v66
	s_wait_loadcnt_dscnt 0x100
	v_mul_f32_e32 v113, v97, v2
	v_fma_f32 v40, v67, v39, -v40
	v_dual_mul_f32 v39, v72, v44 :: v_dual_fmac_f32 v100, v70, v41
	v_fmac_f32_e32 v101, v72, v43
	v_fma_f32 v41, v69, v41, -v42
	s_delay_alu instid0(VALU_DEP_4) | instskip(SKIP_3) | instid1(VALU_DEP_4)
	v_add_f32_e32 v40, 0, v40
	v_add_f32_e32 v42, 0, v99
	v_fma_f32 v39, v71, v43, -v39
	v_dual_mul_f32 v102, v73, v46 :: v_dual_mul_f32 v103, v75, v48
	v_add_f32_e32 v40, v40, v41
	v_mul_f32_e32 v44, v74, v46
	v_dual_mul_f32 v104, v77, v50 :: v_dual_mul_f32 v105, v79, v52
	s_delay_alu instid0(VALU_DEP_4) | instskip(NEXT) | instid1(VALU_DEP_4)
	v_dual_fmac_f32 v102, v74, v45 :: v_dual_fmac_f32 v103, v76, v47
	v_add_f32_e32 v39, v40, v39
	s_delay_alu instid0(VALU_DEP_4) | instskip(SKIP_2) | instid1(VALU_DEP_3)
	v_fma_f32 v43, v73, v45, -v44
	v_dual_mul_f32 v106, v81, v54 :: v_dual_mul_f32 v107, v83, v56
	v_dual_fmac_f32 v104, v78, v49 :: v_dual_fmac_f32 v105, v80, v51
	v_add_f32_e32 v39, v39, v43
	v_mul_f32_e32 v43, v80, v52
	v_dual_add_f32 v41, v42, v100 :: v_dual_mul_f32 v108, v85, v58
	v_mul_f32_e32 v109, v87, v60
	v_fmac_f32_e32 v107, v84, v55
	s_delay_alu instid0(VALU_DEP_4) | instskip(NEXT) | instid1(VALU_DEP_4)
	v_fma_f32 v43, v79, v51, -v43
	v_dual_add_f32 v40, v41, v101 :: v_dual_mul_f32 v41, v78, v50
	v_fmac_f32_e32 v108, v86, v57
	v_dual_mul_f32 v110, v89, v62 :: v_dual_mul_f32 v111, v91, v64
	v_fmac_f32_e32 v109, v88, v59
	s_delay_alu instid0(VALU_DEP_4) | instskip(SKIP_1) | instid1(VALU_DEP_4)
	v_fma_f32 v41, v77, v49, -v41
	v_mul_f32_e32 v42, v76, v48
	v_dual_fmac_f32 v110, v90, v61 :: v_dual_fmac_f32 v111, v92, v63
	v_mul_f32_e32 v2, v98, v2
	v_fmac_f32_e32 v112, v94, v65
	s_delay_alu instid0(VALU_DEP_4) | instskip(SKIP_1) | instid1(VALU_DEP_4)
	v_fma_f32 v42, v75, v47, -v42
	v_fmac_f32_e32 v113, v98, v1
	v_fma_f32 v1, v97, v1, -v2
	s_delay_alu instid0(VALU_DEP_3) | instskip(SKIP_1) | instid1(VALU_DEP_2)
	v_add_f32_e32 v39, v39, v42
	v_add_f32_e32 v40, v40, v102
	v_dual_mul_f32 v42, v82, v54 :: v_dual_add_f32 v39, v39, v41
	s_delay_alu instid0(VALU_DEP_2) | instskip(SKIP_1) | instid1(VALU_DEP_3)
	v_add_f32_e32 v40, v40, v103
	v_dual_mul_f32 v41, v84, v56 :: v_dual_fmac_f32 v106, v82, v53
	v_fma_f32 v42, v81, v53, -v42
	s_delay_alu instid0(VALU_DEP_4) | instskip(NEXT) | instid1(VALU_DEP_4)
	v_add_f32_e32 v39, v39, v43
	v_dual_mul_f32 v43, v86, v58 :: v_dual_add_f32 v40, v40, v104
	s_delay_alu instid0(VALU_DEP_4) | instskip(NEXT) | instid1(VALU_DEP_3)
	v_fma_f32 v41, v83, v55, -v41
	v_dual_add_f32 v39, v39, v42 :: v_dual_mul_f32 v42, v88, v60
	s_delay_alu instid0(VALU_DEP_3) | instskip(NEXT) | instid1(VALU_DEP_4)
	v_add_f32_e32 v40, v40, v105
	v_fma_f32 v43, v85, v57, -v43
	s_delay_alu instid0(VALU_DEP_3) | instskip(SKIP_1) | instid1(VALU_DEP_4)
	v_add_f32_e32 v39, v39, v41
	v_mul_f32_e32 v41, v90, v62
	v_add_f32_e32 v40, v40, v106
	v_fma_f32 v42, v87, v59, -v42
	s_delay_alu instid0(VALU_DEP_4) | instskip(SKIP_1) | instid1(VALU_DEP_4)
	v_add_f32_e32 v39, v39, v43
	v_mul_f32_e32 v43, v92, v64
	v_add_f32_e32 v40, v40, v107
	v_fma_f32 v41, v89, v61, -v41
	s_delay_alu instid0(VALU_DEP_4) | instskip(SKIP_1) | instid1(VALU_DEP_4)
	v_add_f32_e32 v39, v39, v42
	v_mul_f32_e32 v42, v94, v66
	v_add_f32_e32 v40, v40, v108
	v_fma_f32 v43, v91, v63, -v43
	s_delay_alu instid0(VALU_DEP_4) | instskip(NEXT) | instid1(VALU_DEP_4)
	v_add_f32_e32 v39, v39, v41
	v_fma_f32 v41, v93, v65, -v42
	s_delay_alu instid0(VALU_DEP_2) | instskip(NEXT) | instid1(VALU_DEP_1)
	v_dual_add_f32 v40, v40, v109 :: v_dual_add_f32 v39, v39, v43
	v_add_f32_e32 v40, v40, v110
	s_delay_alu instid0(VALU_DEP_2) | instskip(NEXT) | instid1(VALU_DEP_1)
	v_add_f32_e32 v2, v39, v41
	v_dual_add_f32 v40, v40, v111 :: v_dual_add_f32 v1, v2, v1
	s_delay_alu instid0(VALU_DEP_1) | instskip(NEXT) | instid1(VALU_DEP_1)
	v_add_f32_e32 v39, v40, v112
	v_add_f32_e32 v2, v39, v113
	s_wait_loadcnt 0x0
	s_delay_alu instid0(VALU_DEP_1)
	v_dual_sub_f32 v1, v95, v1 :: v_dual_sub_f32 v2, v96, v2
	scratch_store_b64 off, v[1:2], off offset:8
	v_cmpx_ne_u32_e32 0, v0
	s_cbranch_execz .LBB80_115
; %bb.114:
	scratch_load_b64 v[0:1], off, off
	v_mov_b32_e32 v39, v38
	scratch_store_b64 off, v[38:39], off
	s_wait_loadcnt 0x0
	ds_store_b64 v3, v[0:1]
.LBB80_115:
	s_wait_alu 0xfffe
	s_or_b32 exec_lo, exec_lo, s0
	s_wait_storecnt_dscnt 0x0
	s_barrier_signal -1
	s_barrier_wait -1
	global_inv scope:SCOPE_SE
	s_clause 0x8
	scratch_load_b128 v[39:42], off, off offset:8
	scratch_load_b128 v[43:46], off, off offset:24
	;; [unrolled: 1-line block ×8, first 2 shown]
	scratch_load_b64 v[99:100], off, off
	ds_load_2addr_b64 v[67:70], v38 offset0:19 offset1:20
	ds_load_2addr_b64 v[71:74], v38 offset0:21 offset1:22
	;; [unrolled: 1-line block ×8, first 2 shown]
	s_and_b32 vcc_lo, exec_lo, s12
	s_wait_loadcnt_dscnt 0x807
	v_dual_mul_f32 v38, v67, v40 :: v_dual_mul_f32 v101, v69, v42
	v_mul_f32_e32 v40, v68, v40
	v_mul_f32_e32 v42, v70, v42
	s_wait_loadcnt_dscnt 0x706
	v_dual_mul_f32 v102, v71, v44 :: v_dual_mul_f32 v103, v73, v46
	v_dual_fmac_f32 v38, v68, v39 :: v_dual_fmac_f32 v101, v70, v41
	s_wait_loadcnt_dscnt 0x100
	v_mul_f32_e32 v115, v97, v3
	v_fma_f32 v40, v67, v39, -v40
	v_fma_f32 v41, v69, v41, -v42
	v_dual_mul_f32 v114, v95, v1 :: v_dual_mul_f32 v39, v72, v44
	s_delay_alu instid0(VALU_DEP_3) | instskip(SKIP_1) | instid1(VALU_DEP_3)
	v_dual_fmac_f32 v103, v74, v45 :: v_dual_add_f32 v40, 0, v40
	v_dual_mul_f32 v106, v79, v52 :: v_dual_mul_f32 v107, v81, v54
	v_fma_f32 v39, v71, v43, -v39
	v_dual_mul_f32 v108, v83, v56 :: v_dual_mul_f32 v109, v85, v58
	s_delay_alu instid0(VALU_DEP_4) | instskip(SKIP_2) | instid1(VALU_DEP_3)
	v_add_f32_e32 v40, v40, v41
	v_dual_mul_f32 v41, v76, v48 :: v_dual_add_f32 v38, 0, v38
	v_dual_mul_f32 v104, v75, v48 :: v_dual_mul_f32 v105, v77, v50
	v_add_f32_e32 v39, v40, v39
	s_delay_alu instid0(VALU_DEP_3) | instskip(SKIP_4) | instid1(VALU_DEP_4)
	v_fma_f32 v41, v75, v47, -v41
	v_mul_f32_e32 v42, v74, v46
	v_mul_f32_e32 v40, v78, v50
	v_dual_fmac_f32 v107, v82, v53 :: v_dual_fmac_f32 v104, v76, v47
	v_fmac_f32_e32 v105, v78, v49
	v_fma_f32 v42, v73, v45, -v42
	v_fmac_f32_e32 v102, v72, v43
	v_fma_f32 v40, v77, v49, -v40
	v_dual_mul_f32 v110, v87, v60 :: v_dual_mul_f32 v111, v89, v62
	s_delay_alu instid0(VALU_DEP_4) | instskip(SKIP_2) | instid1(VALU_DEP_3)
	v_dual_add_f32 v39, v39, v42 :: v_dual_mul_f32 v42, v80, v52
	v_dual_fmac_f32 v109, v86, v57 :: v_dual_mul_f32 v112, v91, v64
	v_mul_f32_e32 v113, v93, v66
	v_add_f32_e32 v39, v39, v41
	v_add_f32_e32 v38, v38, v101
	v_mul_f32_e32 v41, v82, v54
	v_fma_f32 v42, v79, v51, -v42
	s_delay_alu instid0(VALU_DEP_4) | instskip(SKIP_1) | instid1(VALU_DEP_4)
	v_dual_fmac_f32 v110, v88, v59 :: v_dual_add_f32 v39, v39, v40
	v_fmac_f32_e32 v106, v80, v51
	v_fma_f32 v41, v81, v53, -v41
	v_mul_f32_e32 v40, v84, v56
	v_dual_fmac_f32 v108, v84, v55 :: v_dual_fmac_f32 v111, v90, v61
	v_add_f32_e32 v39, v39, v42
	v_add_f32_e32 v38, v38, v102
	s_delay_alu instid0(VALU_DEP_4) | instskip(SKIP_1) | instid1(VALU_DEP_4)
	v_fma_f32 v40, v83, v55, -v40
	v_dual_fmac_f32 v114, v96, v0 :: v_dual_fmac_f32 v115, v98, v2
	v_add_f32_e32 v39, v39, v41
	s_delay_alu instid0(VALU_DEP_4) | instskip(SKIP_2) | instid1(VALU_DEP_4)
	v_dual_mul_f32 v41, v88, v60 :: v_dual_add_f32 v38, v38, v103
	v_fmac_f32_e32 v113, v94, v65
	v_mul_f32_e32 v3, v98, v3
	v_add_f32_e32 v39, v39, v40
	s_delay_alu instid0(VALU_DEP_4) | instskip(SKIP_3) | instid1(VALU_DEP_3)
	v_fma_f32 v41, v87, v59, -v41
	v_mul_f32_e32 v42, v86, v58
	v_mul_f32_e32 v40, v90, v62
	v_fma_f32 v2, v97, v2, -v3
	v_fma_f32 v42, v85, v57, -v42
	v_add_f32_e32 v38, v38, v104
	s_delay_alu instid0(VALU_DEP_4) | instskip(NEXT) | instid1(VALU_DEP_3)
	v_fma_f32 v40, v89, v61, -v40
	v_dual_add_f32 v39, v39, v42 :: v_dual_mul_f32 v42, v92, v64
	s_delay_alu instid0(VALU_DEP_1) | instskip(NEXT) | instid1(VALU_DEP_4)
	v_add_f32_e32 v39, v39, v41
	v_add_f32_e32 v38, v38, v105
	v_mul_f32_e32 v41, v94, v66
	s_delay_alu instid0(VALU_DEP_4) | instskip(NEXT) | instid1(VALU_DEP_4)
	v_fma_f32 v42, v91, v63, -v42
	v_dual_add_f32 v39, v39, v40 :: v_dual_fmac_f32 v112, v92, v63
	v_mul_f32_e32 v40, v96, v1
	s_delay_alu instid0(VALU_DEP_4) | instskip(NEXT) | instid1(VALU_DEP_3)
	v_fma_f32 v41, v93, v65, -v41
	v_add_f32_e32 v39, v39, v42
	v_add_f32_e32 v38, v38, v106
	s_delay_alu instid0(VALU_DEP_4) | instskip(NEXT) | instid1(VALU_DEP_2)
	v_fma_f32 v40, v95, v0, -v40
	v_dual_add_f32 v39, v39, v41 :: v_dual_add_f32 v38, v38, v107
	s_delay_alu instid0(VALU_DEP_1) | instskip(NEXT) | instid1(VALU_DEP_2)
	v_add_f32_e32 v3, v39, v40
	v_add_f32_e32 v38, v38, v108
	s_delay_alu instid0(VALU_DEP_1) | instskip(NEXT) | instid1(VALU_DEP_1)
	v_add_f32_e32 v38, v38, v109
	v_add_f32_e32 v38, v38, v110
	s_delay_alu instid0(VALU_DEP_1) | instskip(NEXT) | instid1(VALU_DEP_1)
	;; [unrolled: 3-line block ×3, first 2 shown]
	v_add_f32_e32 v38, v38, v113
	v_add_f32_e32 v38, v38, v114
	s_delay_alu instid0(VALU_DEP_1) | instskip(SKIP_1) | instid1(VALU_DEP_1)
	v_dual_add_f32 v2, v3, v2 :: v_dual_add_f32 v3, v38, v115
	s_wait_loadcnt 0x0
	v_dual_sub_f32 v2, v99, v2 :: v_dual_sub_f32 v3, v100, v3
	scratch_store_b64 off, v[2:3], off
	s_wait_alu 0xfffe
	s_cbranch_vccz .LBB80_148
; %bb.116:
	v_mov_b32_e32 v2, 0
	global_load_b32 v3, v2, s[2:3] offset:60
	s_wait_loadcnt 0x0
	v_cmp_ne_u32_e32 vcc_lo, 16, v3
	s_cbranch_vccz .LBB80_118
; %bb.117:
	v_lshlrev_b32_e32 v3, 3, v3
	scratch_load_b64 v[38:39], v3, off offset:-8
	s_wait_loadcnt 0x0
	scratch_store_b64 off, v[38:39], off offset:120
	scratch_store_b64 v3, v[0:1], off offset:-8
.LBB80_118:
	global_load_b32 v0, v2, s[2:3] offset:56
	s_wait_loadcnt 0x0
	v_cmp_eq_u32_e32 vcc_lo, 15, v0
	s_cbranch_vccnz .LBB80_120
; %bb.119:
	v_lshlrev_b32_e32 v0, 3, v0
	s_delay_alu instid0(VALU_DEP_1)
	v_mov_b32_e32 v38, v0
	scratch_load_b64 v[0:1], v38, off offset:-8
	scratch_load_b64 v[2:3], off, off offset:112
	s_wait_loadcnt 0x1
	scratch_store_b64 off, v[0:1], off offset:112
	s_wait_loadcnt 0x0
	scratch_store_b64 v38, v[2:3], off offset:-8
.LBB80_120:
	v_mov_b32_e32 v0, 0
	global_load_b32 v1, v0, s[2:3] offset:52
	s_wait_loadcnt 0x0
	v_cmp_eq_u32_e32 vcc_lo, 14, v1
	s_cbranch_vccnz .LBB80_122
; %bb.121:
	v_lshlrev_b32_e32 v1, 3, v1
	s_delay_alu instid0(VALU_DEP_1)
	v_mov_b32_e32 v3, v1
	scratch_load_b64 v[1:2], v3, off offset:-8
	scratch_load_b64 v[38:39], off, off offset:104
	s_wait_loadcnt 0x1
	scratch_store_b64 off, v[1:2], off offset:104
	s_wait_loadcnt 0x0
	scratch_store_b64 v3, v[38:39], off offset:-8
.LBB80_122:
	global_load_b32 v0, v0, s[2:3] offset:48
	s_wait_loadcnt 0x0
	v_cmp_eq_u32_e32 vcc_lo, 13, v0
	s_cbranch_vccnz .LBB80_124
; %bb.123:
	v_lshlrev_b32_e32 v0, 3, v0
	s_delay_alu instid0(VALU_DEP_1)
	v_mov_b32_e32 v38, v0
	scratch_load_b64 v[0:1], v38, off offset:-8
	scratch_load_b64 v[2:3], off, off offset:96
	s_wait_loadcnt 0x1
	scratch_store_b64 off, v[0:1], off offset:96
	s_wait_loadcnt 0x0
	scratch_store_b64 v38, v[2:3], off offset:-8
.LBB80_124:
	v_mov_b32_e32 v0, 0
	global_load_b32 v1, v0, s[2:3] offset:44
	s_wait_loadcnt 0x0
	v_cmp_eq_u32_e32 vcc_lo, 12, v1
	s_cbranch_vccnz .LBB80_126
; %bb.125:
	v_lshlrev_b32_e32 v1, 3, v1
	s_delay_alu instid0(VALU_DEP_1)
	v_mov_b32_e32 v3, v1
	scratch_load_b64 v[1:2], v3, off offset:-8
	scratch_load_b64 v[38:39], off, off offset:88
	s_wait_loadcnt 0x1
	scratch_store_b64 off, v[1:2], off offset:88
	s_wait_loadcnt 0x0
	scratch_store_b64 v3, v[38:39], off offset:-8
.LBB80_126:
	;; [unrolled: 31-line block ×7, first 2 shown]
	global_load_b32 v0, v0, s[2:3]
	s_wait_loadcnt 0x0
	v_cmp_eq_u32_e32 vcc_lo, 1, v0
	s_cbranch_vccnz .LBB80_148
; %bb.147:
	v_lshlrev_b32_e32 v0, 3, v0
	s_delay_alu instid0(VALU_DEP_1)
	v_mov_b32_e32 v38, v0
	scratch_load_b64 v[0:1], v38, off offset:-8
	scratch_load_b64 v[2:3], off, off
	s_wait_loadcnt 0x1
	scratch_store_b64 off, v[0:1], off
	s_wait_loadcnt 0x0
	scratch_store_b64 v38, v[2:3], off offset:-8
.LBB80_148:
	scratch_load_b64 v[0:1], off, off
	s_wait_loadcnt 0x0
	flat_store_b64 v[4:5], v[0:1]
	scratch_load_b64 v[0:1], off, off offset:8
	s_wait_loadcnt 0x0
	flat_store_b64 v[6:7], v[0:1]
	scratch_load_b64 v[0:1], off, off offset:16
	;; [unrolled: 3-line block ×16, first 2 shown]
	s_wait_loadcnt 0x0
	flat_store_b64 v[36:37], v[0:1]
	s_nop 0
	s_sendmsg sendmsg(MSG_DEALLOC_VGPRS)
	s_endpgm
	.section	.rodata,"a",@progbits
	.p2align	6, 0x0
	.amdhsa_kernel _ZN9rocsolver6v33100L18getri_kernel_smallILi17E19rocblas_complex_numIfEPKPS3_EEvT1_iilPiilS8_bb
		.amdhsa_group_segment_fixed_size 280
		.amdhsa_private_segment_fixed_size 144
		.amdhsa_kernarg_size 60
		.amdhsa_user_sgpr_count 2
		.amdhsa_user_sgpr_dispatch_ptr 0
		.amdhsa_user_sgpr_queue_ptr 0
		.amdhsa_user_sgpr_kernarg_segment_ptr 1
		.amdhsa_user_sgpr_dispatch_id 0
		.amdhsa_user_sgpr_private_segment_size 0
		.amdhsa_wavefront_size32 1
		.amdhsa_uses_dynamic_stack 0
		.amdhsa_enable_private_segment 1
		.amdhsa_system_sgpr_workgroup_id_x 1
		.amdhsa_system_sgpr_workgroup_id_y 0
		.amdhsa_system_sgpr_workgroup_id_z 0
		.amdhsa_system_sgpr_workgroup_info 0
		.amdhsa_system_vgpr_workitem_id 0
		.amdhsa_next_free_vgpr 116
		.amdhsa_next_free_sgpr 19
		.amdhsa_reserve_vcc 1
		.amdhsa_float_round_mode_32 0
		.amdhsa_float_round_mode_16_64 0
		.amdhsa_float_denorm_mode_32 3
		.amdhsa_float_denorm_mode_16_64 3
		.amdhsa_fp16_overflow 0
		.amdhsa_workgroup_processor_mode 1
		.amdhsa_memory_ordered 1
		.amdhsa_forward_progress 1
		.amdhsa_inst_pref_size 132
		.amdhsa_round_robin_scheduling 0
		.amdhsa_exception_fp_ieee_invalid_op 0
		.amdhsa_exception_fp_denorm_src 0
		.amdhsa_exception_fp_ieee_div_zero 0
		.amdhsa_exception_fp_ieee_overflow 0
		.amdhsa_exception_fp_ieee_underflow 0
		.amdhsa_exception_fp_ieee_inexact 0
		.amdhsa_exception_int_div_zero 0
	.end_amdhsa_kernel
	.section	.text._ZN9rocsolver6v33100L18getri_kernel_smallILi17E19rocblas_complex_numIfEPKPS3_EEvT1_iilPiilS8_bb,"axG",@progbits,_ZN9rocsolver6v33100L18getri_kernel_smallILi17E19rocblas_complex_numIfEPKPS3_EEvT1_iilPiilS8_bb,comdat
.Lfunc_end80:
	.size	_ZN9rocsolver6v33100L18getri_kernel_smallILi17E19rocblas_complex_numIfEPKPS3_EEvT1_iilPiilS8_bb, .Lfunc_end80-_ZN9rocsolver6v33100L18getri_kernel_smallILi17E19rocblas_complex_numIfEPKPS3_EEvT1_iilPiilS8_bb
                                        ; -- End function
	.set _ZN9rocsolver6v33100L18getri_kernel_smallILi17E19rocblas_complex_numIfEPKPS3_EEvT1_iilPiilS8_bb.num_vgpr, 116
	.set _ZN9rocsolver6v33100L18getri_kernel_smallILi17E19rocblas_complex_numIfEPKPS3_EEvT1_iilPiilS8_bb.num_agpr, 0
	.set _ZN9rocsolver6v33100L18getri_kernel_smallILi17E19rocblas_complex_numIfEPKPS3_EEvT1_iilPiilS8_bb.numbered_sgpr, 19
	.set _ZN9rocsolver6v33100L18getri_kernel_smallILi17E19rocblas_complex_numIfEPKPS3_EEvT1_iilPiilS8_bb.num_named_barrier, 0
	.set _ZN9rocsolver6v33100L18getri_kernel_smallILi17E19rocblas_complex_numIfEPKPS3_EEvT1_iilPiilS8_bb.private_seg_size, 144
	.set _ZN9rocsolver6v33100L18getri_kernel_smallILi17E19rocblas_complex_numIfEPKPS3_EEvT1_iilPiilS8_bb.uses_vcc, 1
	.set _ZN9rocsolver6v33100L18getri_kernel_smallILi17E19rocblas_complex_numIfEPKPS3_EEvT1_iilPiilS8_bb.uses_flat_scratch, 1
	.set _ZN9rocsolver6v33100L18getri_kernel_smallILi17E19rocblas_complex_numIfEPKPS3_EEvT1_iilPiilS8_bb.has_dyn_sized_stack, 0
	.set _ZN9rocsolver6v33100L18getri_kernel_smallILi17E19rocblas_complex_numIfEPKPS3_EEvT1_iilPiilS8_bb.has_recursion, 0
	.set _ZN9rocsolver6v33100L18getri_kernel_smallILi17E19rocblas_complex_numIfEPKPS3_EEvT1_iilPiilS8_bb.has_indirect_call, 0
	.section	.AMDGPU.csdata,"",@progbits
; Kernel info:
; codeLenInByte = 16796
; TotalNumSgprs: 21
; NumVgprs: 116
; ScratchSize: 144
; MemoryBound: 0
; FloatMode: 240
; IeeeMode: 1
; LDSByteSize: 280 bytes/workgroup (compile time only)
; SGPRBlocks: 0
; VGPRBlocks: 14
; NumSGPRsForWavesPerEU: 21
; NumVGPRsForWavesPerEU: 116
; Occupancy: 12
; WaveLimiterHint : 1
; COMPUTE_PGM_RSRC2:SCRATCH_EN: 1
; COMPUTE_PGM_RSRC2:USER_SGPR: 2
; COMPUTE_PGM_RSRC2:TRAP_HANDLER: 0
; COMPUTE_PGM_RSRC2:TGID_X_EN: 1
; COMPUTE_PGM_RSRC2:TGID_Y_EN: 0
; COMPUTE_PGM_RSRC2:TGID_Z_EN: 0
; COMPUTE_PGM_RSRC2:TIDIG_COMP_CNT: 0
	.section	.text._ZN9rocsolver6v33100L18getri_kernel_smallILi18E19rocblas_complex_numIfEPKPS3_EEvT1_iilPiilS8_bb,"axG",@progbits,_ZN9rocsolver6v33100L18getri_kernel_smallILi18E19rocblas_complex_numIfEPKPS3_EEvT1_iilPiilS8_bb,comdat
	.globl	_ZN9rocsolver6v33100L18getri_kernel_smallILi18E19rocblas_complex_numIfEPKPS3_EEvT1_iilPiilS8_bb ; -- Begin function _ZN9rocsolver6v33100L18getri_kernel_smallILi18E19rocblas_complex_numIfEPKPS3_EEvT1_iilPiilS8_bb
	.p2align	8
	.type	_ZN9rocsolver6v33100L18getri_kernel_smallILi18E19rocblas_complex_numIfEPKPS3_EEvT1_iilPiilS8_bb,@function
_ZN9rocsolver6v33100L18getri_kernel_smallILi18E19rocblas_complex_numIfEPKPS3_EEvT1_iilPiilS8_bb: ; @_ZN9rocsolver6v33100L18getri_kernel_smallILi18E19rocblas_complex_numIfEPKPS3_EEvT1_iilPiilS8_bb
; %bb.0:
	s_mov_b32 s2, exec_lo
	v_cmpx_gt_u32_e32 18, v0
	s_cbranch_execz .LBB81_86
; %bb.1:
	s_clause 0x1
	s_load_b32 s13, s[0:1], 0x38
	s_load_b64 s[2:3], s[0:1], 0x0
	s_mov_b32 s8, ttmp9
	s_load_b128 s[4:7], s[0:1], 0x28
	s_wait_kmcnt 0x0
	s_bitcmp1_b32 s13, 8
	s_cselect_b32 s12, -1, 0
	s_ashr_i32 s9, ttmp9, 31
	s_delay_alu instid0(SALU_CYCLE_1) | instskip(NEXT) | instid1(SALU_CYCLE_1)
	s_lshl_b64 s[10:11], s[8:9], 3
	s_add_nc_u64 s[2:3], s[2:3], s[10:11]
	s_load_b64 s[10:11], s[2:3], 0x0
	s_bfe_u32 s2, s13, 0x10008
	s_delay_alu instid0(SALU_CYCLE_1)
	s_cmp_eq_u32 s2, 0
                                        ; implicit-def: $sgpr2_sgpr3
	s_cbranch_scc1 .LBB81_3
; %bb.2:
	s_load_b96 s[16:18], s[0:1], 0x18
	s_mul_u64 s[2:3], s[4:5], s[8:9]
	s_delay_alu instid0(SALU_CYCLE_1)
	s_lshl_b64 s[2:3], s[2:3], 2
	s_wait_kmcnt 0x0
	s_ashr_i32 s5, s18, 31
	s_mov_b32 s4, s18
	s_add_nc_u64 s[2:3], s[16:17], s[2:3]
	s_lshl_b64 s[4:5], s[4:5], 2
	s_delay_alu instid0(SALU_CYCLE_1)
	s_add_nc_u64 s[2:3], s[2:3], s[4:5]
.LBB81_3:
	s_clause 0x1
	s_load_b64 s[4:5], s[0:1], 0x8
	s_load_b32 s13, s[0:1], 0x38
	v_lshlrev_b32_e32 v3, 3, v0
	s_wait_kmcnt 0x0
	s_ashr_i32 s1, s4, 31
	s_mov_b32 s0, s4
	v_add3_u32 v10, s5, s5, v0
	s_lshl_b64 s[0:1], s[0:1], 3
	s_delay_alu instid0(SALU_CYCLE_1)
	s_add_nc_u64 s[0:1], s[10:11], s[0:1]
	s_ashr_i32 s11, s5, 31
	v_add_co_u32 v4, s4, s0, v3
	s_wait_alu 0xf1ff
	v_add_co_ci_u32_e64 v5, null, s1, 0, s4
	s_mov_b32 s10, s5
	v_ashrrev_i32_e32 v11, 31, v10
	s_lshl_b64 s[10:11], s[10:11], 3
	flat_load_b64 v[1:2], v[4:5]
	v_add_co_u32 v6, vcc_lo, v4, s10
	s_delay_alu instid0(VALU_DEP_1) | instskip(SKIP_3) | instid1(VALU_DEP_2)
	v_add_co_ci_u32_e64 v7, null, s11, v5, vcc_lo
	v_lshlrev_b64_e32 v[8:9], 3, v[10:11]
	v_add_nc_u32_e32 v12, s5, v10
	s_bitcmp0_b32 s13, 0
	v_add_co_u32 v8, vcc_lo, s0, v8
	s_wait_alu 0xfffd
	s_delay_alu instid0(VALU_DEP_3) | instskip(SKIP_2) | instid1(VALU_DEP_2)
	v_add_co_ci_u32_e64 v9, null, s1, v9, vcc_lo
	v_ashrrev_i32_e32 v13, 31, v12
	v_add_nc_u32_e32 v14, s5, v12
	v_lshlrev_b64_e32 v[10:11], 3, v[12:13]
	s_delay_alu instid0(VALU_DEP_2) | instskip(SKIP_1) | instid1(VALU_DEP_3)
	v_ashrrev_i32_e32 v15, 31, v14
	v_add_nc_u32_e32 v16, s5, v14
	v_add_co_u32 v10, vcc_lo, s0, v10
	s_wait_alu 0xfffd
	s_delay_alu instid0(VALU_DEP_4) | instskip(SKIP_3) | instid1(VALU_DEP_3)
	v_add_co_ci_u32_e64 v11, null, s1, v11, vcc_lo
	v_lshlrev_b64_e32 v[12:13], 3, v[14:15]
	v_ashrrev_i32_e32 v17, 31, v16
	v_add_nc_u32_e32 v18, s5, v16
	v_add_co_u32 v12, vcc_lo, s0, v12
	s_wait_alu 0xfffd
	s_delay_alu instid0(VALU_DEP_4) | instskip(SKIP_3) | instid1(VALU_DEP_3)
	v_add_co_ci_u32_e64 v13, null, s1, v13, vcc_lo
	v_lshlrev_b64_e32 v[14:15], 3, v[16:17]
	;; [unrolled: 7-line block ×11, first 2 shown]
	v_ashrrev_i32_e32 v37, 31, v36
	v_add_nc_u32_e32 v38, s5, v36
	v_add_co_u32 v32, vcc_lo, s0, v32
	s_wait_alu 0xfffd
	s_delay_alu instid0(VALU_DEP_4) | instskip(SKIP_2) | instid1(VALU_DEP_2)
	v_add_co_ci_u32_e64 v33, null, s1, v33, vcc_lo
	v_lshlrev_b64_e32 v[34:35], 3, v[36:37]
	v_ashrrev_i32_e32 v39, 31, v38
	v_add_co_u32 v34, vcc_lo, s0, v34
	s_wait_alu 0xfffd
	s_delay_alu instid0(VALU_DEP_3) | instskip(NEXT) | instid1(VALU_DEP_3)
	v_add_co_ci_u32_e64 v35, null, s1, v35, vcc_lo
	v_lshlrev_b64_e32 v[36:37], 3, v[38:39]
	v_add_nc_u32_e32 v38, s5, v38
	s_delay_alu instid0(VALU_DEP_2) | instskip(SKIP_1) | instid1(VALU_DEP_3)
	v_add_co_u32 v36, vcc_lo, s0, v36
	s_wait_alu 0xfffd
	v_add_co_ci_u32_e64 v37, null, s1, v37, vcc_lo
	s_delay_alu instid0(VALU_DEP_3) | instskip(NEXT) | instid1(VALU_DEP_1)
	v_ashrrev_i32_e32 v39, 31, v38
	v_lshlrev_b64_e32 v[38:39], 3, v[38:39]
	s_delay_alu instid0(VALU_DEP_1) | instskip(SKIP_1) | instid1(VALU_DEP_2)
	v_add_co_u32 v38, vcc_lo, s0, v38
	s_wait_alu 0xfffd
	v_add_co_ci_u32_e64 v39, null, s1, v39, vcc_lo
	s_mov_b32 s1, -1
	s_wait_loadcnt_dscnt 0x0
	scratch_store_b64 off, v[1:2], off
	flat_load_b64 v[1:2], v[6:7]
	s_wait_loadcnt_dscnt 0x0
	scratch_store_b64 off, v[1:2], off offset:8
	flat_load_b64 v[1:2], v[8:9]
	s_wait_loadcnt_dscnt 0x0
	scratch_store_b64 off, v[1:2], off offset:16
	;; [unrolled: 3-line block ×17, first 2 shown]
	s_cbranch_scc1 .LBB81_84
; %bb.4:
	v_cmp_eq_u32_e64 s0, 0, v0
	s_and_saveexec_b32 s1, s0
; %bb.5:
	v_mov_b32_e32 v1, 0
	ds_store_b32 v1, v1 offset:288
; %bb.6:
	s_wait_alu 0xfffe
	s_or_b32 exec_lo, exec_lo, s1
	s_wait_storecnt_dscnt 0x0
	s_barrier_signal -1
	s_barrier_wait -1
	global_inv scope:SCOPE_SE
	scratch_load_b64 v[1:2], v3, off
	s_wait_loadcnt 0x0
	v_cmp_eq_f32_e32 vcc_lo, 0, v1
	v_cmp_eq_f32_e64 s1, 0, v2
	s_and_b32 s1, vcc_lo, s1
	s_wait_alu 0xfffe
	s_and_saveexec_b32 s4, s1
	s_cbranch_execz .LBB81_10
; %bb.7:
	v_mov_b32_e32 v1, 0
	s_mov_b32 s5, 0
	ds_load_b32 v2, v1 offset:288
	s_wait_dscnt 0x0
	v_readfirstlane_b32 s1, v2
	v_add_nc_u32_e32 v2, 1, v0
	s_cmp_eq_u32 s1, 0
	s_delay_alu instid0(VALU_DEP_1)
	v_cmp_gt_i32_e32 vcc_lo, s1, v2
	s_cselect_b32 s10, -1, 0
	s_wait_alu 0xfffe
	s_or_b32 s10, s10, vcc_lo
	s_wait_alu 0xfffe
	s_and_b32 exec_lo, exec_lo, s10
	s_cbranch_execz .LBB81_10
; %bb.8:
	v_mov_b32_e32 v40, s1
.LBB81_9:                               ; =>This Inner Loop Header: Depth=1
	ds_cmpstore_rtn_b32 v40, v1, v2, v40 offset:288
	s_wait_dscnt 0x0
	v_cmp_ne_u32_e32 vcc_lo, 0, v40
	v_cmp_le_i32_e64 s1, v40, v2
	s_and_b32 s1, vcc_lo, s1
	s_wait_alu 0xfffe
	s_and_b32 s1, exec_lo, s1
	s_wait_alu 0xfffe
	s_or_b32 s5, s1, s5
	s_wait_alu 0xfffe
	s_and_not1_b32 exec_lo, exec_lo, s5
	s_cbranch_execnz .LBB81_9
.LBB81_10:
	s_wait_alu 0xfffe
	s_or_b32 exec_lo, exec_lo, s4
	v_mov_b32_e32 v1, 0
	s_barrier_signal -1
	s_barrier_wait -1
	global_inv scope:SCOPE_SE
	ds_load_b32 v2, v1 offset:288
	s_and_saveexec_b32 s1, s0
	s_cbranch_execz .LBB81_12
; %bb.11:
	s_lshl_b64 s[4:5], s[8:9], 2
	s_wait_alu 0xfffe
	s_add_nc_u64 s[4:5], s[6:7], s[4:5]
	s_wait_dscnt 0x0
	global_store_b32 v1, v2, s[4:5]
.LBB81_12:
	s_wait_alu 0xfffe
	s_or_b32 exec_lo, exec_lo, s1
	s_wait_dscnt 0x0
	v_cmp_ne_u32_e32 vcc_lo, 0, v2
	s_mov_b32 s1, 0
	s_cbranch_vccnz .LBB81_84
; %bb.13:
	v_mov_b32_e32 v44, v3
                                        ; implicit-def: $vgpr40
                                        ; implicit-def: $vgpr42
	scratch_load_b64 v[1:2], v44, off
	s_wait_loadcnt 0x0
	v_cmp_ngt_f32_e64 s1, |v1|, |v2|
	s_wait_alu 0xfffe
	s_and_saveexec_b32 s4, s1
	s_wait_alu 0xfffe
	s_xor_b32 s1, exec_lo, s4
	s_cbranch_execz .LBB81_15
; %bb.14:
	v_div_scale_f32 v40, null, v2, v2, v1
	v_div_scale_f32 v43, vcc_lo, v1, v2, v1
	s_delay_alu instid0(VALU_DEP_2) | instskip(NEXT) | instid1(TRANS32_DEP_1)
	v_rcp_f32_e32 v41, v40
	v_fma_f32 v42, -v40, v41, 1.0
	s_delay_alu instid0(VALU_DEP_1) | instskip(NEXT) | instid1(VALU_DEP_1)
	v_fmac_f32_e32 v41, v42, v41
	v_mul_f32_e32 v42, v43, v41
	s_delay_alu instid0(VALU_DEP_1) | instskip(NEXT) | instid1(VALU_DEP_1)
	v_fma_f32 v45, -v40, v42, v43
	v_fmac_f32_e32 v42, v45, v41
	s_delay_alu instid0(VALU_DEP_1) | instskip(SKIP_1) | instid1(VALU_DEP_1)
	v_fma_f32 v40, -v40, v42, v43
	s_wait_alu 0xfffd
	v_div_fmas_f32 v40, v40, v41, v42
	s_delay_alu instid0(VALU_DEP_1) | instskip(NEXT) | instid1(VALU_DEP_1)
	v_div_fixup_f32 v40, v40, v2, v1
	v_fmac_f32_e32 v2, v1, v40
	s_delay_alu instid0(VALU_DEP_1) | instskip(NEXT) | instid1(VALU_DEP_1)
	v_div_scale_f32 v1, null, v2, v2, 1.0
	v_rcp_f32_e32 v41, v1
	s_delay_alu instid0(TRANS32_DEP_1) | instskip(NEXT) | instid1(VALU_DEP_1)
	v_fma_f32 v42, -v1, v41, 1.0
	v_fmac_f32_e32 v41, v42, v41
	v_div_scale_f32 v42, vcc_lo, 1.0, v2, 1.0
	s_delay_alu instid0(VALU_DEP_1) | instskip(NEXT) | instid1(VALU_DEP_1)
	v_mul_f32_e32 v43, v42, v41
	v_fma_f32 v45, -v1, v43, v42
	s_delay_alu instid0(VALU_DEP_1) | instskip(NEXT) | instid1(VALU_DEP_1)
	v_fmac_f32_e32 v43, v45, v41
	v_fma_f32 v1, -v1, v43, v42
	s_wait_alu 0xfffd
	s_delay_alu instid0(VALU_DEP_1) | instskip(NEXT) | instid1(VALU_DEP_1)
	v_div_fmas_f32 v1, v1, v41, v43
	v_div_fixup_f32 v1, v1, v2, 1.0
	s_delay_alu instid0(VALU_DEP_1) | instskip(SKIP_1) | instid1(VALU_DEP_2)
	v_mul_f32_e32 v40, v40, v1
	v_xor_b32_e32 v41, 0x80000000, v1
                                        ; implicit-def: $vgpr1_vgpr2
	v_xor_b32_e32 v42, 0x80000000, v40
.LBB81_15:
	s_wait_alu 0xfffe
	s_and_not1_saveexec_b32 s1, s1
	s_cbranch_execz .LBB81_17
; %bb.16:
	v_div_scale_f32 v40, null, v1, v1, v2
	v_div_scale_f32 v43, vcc_lo, v2, v1, v2
	s_delay_alu instid0(VALU_DEP_2) | instskip(NEXT) | instid1(TRANS32_DEP_1)
	v_rcp_f32_e32 v41, v40
	v_fma_f32 v42, -v40, v41, 1.0
	s_delay_alu instid0(VALU_DEP_1) | instskip(NEXT) | instid1(VALU_DEP_1)
	v_fmac_f32_e32 v41, v42, v41
	v_mul_f32_e32 v42, v43, v41
	s_delay_alu instid0(VALU_DEP_1) | instskip(NEXT) | instid1(VALU_DEP_1)
	v_fma_f32 v45, -v40, v42, v43
	v_fmac_f32_e32 v42, v45, v41
	s_delay_alu instid0(VALU_DEP_1) | instskip(SKIP_1) | instid1(VALU_DEP_1)
	v_fma_f32 v40, -v40, v42, v43
	s_wait_alu 0xfffd
	v_div_fmas_f32 v40, v40, v41, v42
	s_delay_alu instid0(VALU_DEP_1) | instskip(NEXT) | instid1(VALU_DEP_1)
	v_div_fixup_f32 v41, v40, v1, v2
	v_fmac_f32_e32 v1, v2, v41
	s_delay_alu instid0(VALU_DEP_1) | instskip(SKIP_1) | instid1(VALU_DEP_2)
	v_div_scale_f32 v2, null, v1, v1, 1.0
	v_div_scale_f32 v43, vcc_lo, 1.0, v1, 1.0
	v_rcp_f32_e32 v40, v2
	s_delay_alu instid0(TRANS32_DEP_1) | instskip(NEXT) | instid1(VALU_DEP_1)
	v_fma_f32 v42, -v2, v40, 1.0
	v_fmac_f32_e32 v40, v42, v40
	s_delay_alu instid0(VALU_DEP_1) | instskip(NEXT) | instid1(VALU_DEP_1)
	v_mul_f32_e32 v42, v43, v40
	v_fma_f32 v45, -v2, v42, v43
	s_delay_alu instid0(VALU_DEP_1) | instskip(NEXT) | instid1(VALU_DEP_1)
	v_fmac_f32_e32 v42, v45, v40
	v_fma_f32 v2, -v2, v42, v43
	s_wait_alu 0xfffd
	s_delay_alu instid0(VALU_DEP_1) | instskip(NEXT) | instid1(VALU_DEP_1)
	v_div_fmas_f32 v2, v2, v40, v42
	v_div_fixup_f32 v40, v2, v1, 1.0
	s_delay_alu instid0(VALU_DEP_1)
	v_xor_b32_e32 v42, 0x80000000, v40
	v_mul_f32_e64 v41, v41, -v40
.LBB81_17:
	s_wait_alu 0xfffe
	s_or_b32 exec_lo, exec_lo, s1
	scratch_store_b64 v44, v[40:41], off
	scratch_load_b64 v[45:46], off, off offset:8
	v_xor_b32_e32 v43, 0x80000000, v41
	v_add_nc_u32_e32 v1, 0x90, v3
	s_wait_loadcnt 0x0
	ds_store_2addr_b64 v3, v[42:43], v[45:46] offset1:18
	s_wait_storecnt_dscnt 0x0
	s_barrier_signal -1
	s_barrier_wait -1
	global_inv scope:SCOPE_SE
	s_and_saveexec_b32 s1, s0
	s_cbranch_execz .LBB81_19
; %bb.18:
	scratch_load_b64 v[40:41], v44, off
	ds_load_b64 v[42:43], v1
	v_mov_b32_e32 v2, 0
	ds_load_b64 v[45:46], v2 offset:8
	s_wait_loadcnt_dscnt 0x1
	v_mul_f32_e32 v2, v42, v41
	v_mul_f32_e32 v41, v43, v41
	s_delay_alu instid0(VALU_DEP_2) | instskip(NEXT) | instid1(VALU_DEP_2)
	v_fmac_f32_e32 v2, v43, v40
	v_fma_f32 v40, v42, v40, -v41
	s_delay_alu instid0(VALU_DEP_2) | instskip(NEXT) | instid1(VALU_DEP_2)
	v_add_f32_e32 v2, 0, v2
	v_add_f32_e32 v40, 0, v40
	s_wait_dscnt 0x0
	s_delay_alu instid0(VALU_DEP_2) | instskip(NEXT) | instid1(VALU_DEP_2)
	v_mul_f32_e32 v42, v2, v46
	v_mul_f32_e32 v41, v40, v46
	s_delay_alu instid0(VALU_DEP_1) | instskip(NEXT) | instid1(VALU_DEP_3)
	v_fmac_f32_e32 v41, v2, v45
	v_fma_f32 v40, v40, v45, -v42
	scratch_store_b64 off, v[40:41], off offset:8
.LBB81_19:
	s_wait_alu 0xfffe
	s_or_b32 exec_lo, exec_lo, s1
	s_wait_loadcnt 0x0
	s_wait_storecnt 0x0
	s_barrier_signal -1
	s_barrier_wait -1
	global_inv scope:SCOPE_SE
	scratch_load_b64 v[40:41], off, off offset:16
	s_mov_b32 s1, exec_lo
	s_wait_loadcnt 0x0
	ds_store_b64 v1, v[40:41]
	s_wait_dscnt 0x0
	s_barrier_signal -1
	s_barrier_wait -1
	global_inv scope:SCOPE_SE
	v_cmpx_gt_u32_e32 2, v0
	s_cbranch_execz .LBB81_23
; %bb.20:
	scratch_load_b64 v[40:41], v44, off
	ds_load_b64 v[42:43], v1
	s_wait_loadcnt_dscnt 0x0
	v_mul_f32_e32 v2, v43, v41
	s_delay_alu instid0(VALU_DEP_1) | instskip(SKIP_1) | instid1(VALU_DEP_1)
	v_fma_f32 v2, v42, v40, -v2
	v_mul_f32_e32 v41, v42, v41
	v_dual_fmac_f32 v41, v43, v40 :: v_dual_add_f32 v40, 0, v2
	s_delay_alu instid0(VALU_DEP_1)
	v_add_f32_e32 v2, 0, v41
	s_and_saveexec_b32 s4, s0
	s_cbranch_execz .LBB81_22
; %bb.21:
	scratch_load_b64 v[41:42], off, off offset:8
	v_mov_b32_e32 v43, 0
	ds_load_b64 v[45:46], v43 offset:152
	s_wait_loadcnt_dscnt 0x0
	v_mul_f32_e32 v43, v45, v42
	v_mul_f32_e32 v42, v46, v42
	s_delay_alu instid0(VALU_DEP_2) | instskip(NEXT) | instid1(VALU_DEP_2)
	v_fmac_f32_e32 v43, v46, v41
	v_fma_f32 v41, v45, v41, -v42
	s_delay_alu instid0(VALU_DEP_2) | instskip(NEXT) | instid1(VALU_DEP_2)
	v_add_f32_e32 v2, v2, v43
	v_add_f32_e32 v40, v40, v41
.LBB81_22:
	s_wait_alu 0xfffe
	s_or_b32 exec_lo, exec_lo, s4
	v_mov_b32_e32 v41, 0
	ds_load_b64 v[41:42], v41 offset:16
	s_wait_dscnt 0x0
	v_mul_f32_e32 v45, v2, v42
	v_mul_f32_e32 v43, v40, v42
	s_delay_alu instid0(VALU_DEP_2) | instskip(NEXT) | instid1(VALU_DEP_2)
	v_fma_f32 v42, v40, v41, -v45
	v_fmac_f32_e32 v43, v2, v41
	scratch_store_b64 off, v[42:43], off offset:16
.LBB81_23:
	s_wait_alu 0xfffe
	s_or_b32 exec_lo, exec_lo, s1
	s_wait_loadcnt 0x0
	s_wait_storecnt 0x0
	s_barrier_signal -1
	s_barrier_wait -1
	global_inv scope:SCOPE_SE
	scratch_load_b64 v[40:41], off, off offset:24
	v_add_nc_u32_e32 v2, -1, v0
	s_mov_b32 s0, exec_lo
	s_wait_loadcnt 0x0
	ds_store_b64 v1, v[40:41]
	s_wait_dscnt 0x0
	s_barrier_signal -1
	s_barrier_wait -1
	global_inv scope:SCOPE_SE
	v_cmpx_gt_u32_e32 3, v0
	s_cbranch_execz .LBB81_27
; %bb.24:
	v_dual_mov_b32 v40, 0 :: v_dual_add_nc_u32 v41, -1, v0
	v_dual_mov_b32 v43, v3 :: v_dual_add_nc_u32 v42, 0x90, v3
	v_mov_b32_e32 v45, 0
	s_mov_b32 s1, 0
.LBB81_25:                              ; =>This Inner Loop Header: Depth=1
	scratch_load_b64 v[46:47], v43, off
	ds_load_b64 v[48:49], v42
	v_add_nc_u32_e32 v43, 8, v43
	v_add_nc_u32_e32 v41, 1, v41
	v_add_nc_u32_e32 v42, 8, v42
	s_delay_alu instid0(VALU_DEP_2)
	v_cmp_lt_u32_e32 vcc_lo, 1, v41
	s_wait_alu 0xfffe
	s_or_b32 s1, vcc_lo, s1
	s_wait_loadcnt_dscnt 0x0
	v_mul_f32_e32 v50, v49, v47
	v_mul_f32_e32 v47, v48, v47
	s_delay_alu instid0(VALU_DEP_2) | instskip(NEXT) | instid1(VALU_DEP_2)
	v_fma_f32 v48, v48, v46, -v50
	v_fmac_f32_e32 v47, v49, v46
	s_delay_alu instid0(VALU_DEP_1)
	v_dual_add_f32 v45, v45, v48 :: v_dual_add_f32 v40, v40, v47
	s_wait_alu 0xfffe
	s_and_not1_b32 exec_lo, exec_lo, s1
	s_cbranch_execnz .LBB81_25
; %bb.26:
	s_or_b32 exec_lo, exec_lo, s1
	v_mov_b32_e32 v41, 0
	ds_load_b64 v[41:42], v41 offset:24
	s_wait_dscnt 0x0
	v_mul_f32_e32 v46, v40, v42
	v_mul_f32_e32 v43, v45, v42
	s_delay_alu instid0(VALU_DEP_2) | instskip(NEXT) | instid1(VALU_DEP_2)
	v_fma_f32 v42, v45, v41, -v46
	v_fmac_f32_e32 v43, v40, v41
	scratch_store_b64 off, v[42:43], off offset:24
.LBB81_27:
	s_wait_alu 0xfffe
	s_or_b32 exec_lo, exec_lo, s0
	s_wait_loadcnt 0x0
	s_wait_storecnt 0x0
	s_barrier_signal -1
	s_barrier_wait -1
	global_inv scope:SCOPE_SE
	scratch_load_b64 v[40:41], off, off offset:32
	s_mov_b32 s0, exec_lo
	s_wait_loadcnt 0x0
	ds_store_b64 v1, v[40:41]
	s_wait_dscnt 0x0
	s_barrier_signal -1
	s_barrier_wait -1
	global_inv scope:SCOPE_SE
	v_cmpx_gt_u32_e32 4, v0
	s_cbranch_execz .LBB81_31
; %bb.28:
	v_dual_mov_b32 v40, 0 :: v_dual_add_nc_u32 v41, -1, v0
	v_dual_mov_b32 v43, v3 :: v_dual_add_nc_u32 v42, 0x90, v3
	v_mov_b32_e32 v45, 0
	s_mov_b32 s1, 0
.LBB81_29:                              ; =>This Inner Loop Header: Depth=1
	scratch_load_b64 v[46:47], v43, off
	ds_load_b64 v[48:49], v42
	v_add_nc_u32_e32 v43, 8, v43
	v_add_nc_u32_e32 v41, 1, v41
	v_add_nc_u32_e32 v42, 8, v42
	s_delay_alu instid0(VALU_DEP_2)
	v_cmp_lt_u32_e32 vcc_lo, 2, v41
	s_wait_alu 0xfffe
	s_or_b32 s1, vcc_lo, s1
	s_wait_loadcnt_dscnt 0x0
	v_mul_f32_e32 v50, v49, v47
	v_mul_f32_e32 v47, v48, v47
	s_delay_alu instid0(VALU_DEP_2) | instskip(NEXT) | instid1(VALU_DEP_2)
	v_fma_f32 v48, v48, v46, -v50
	v_fmac_f32_e32 v47, v49, v46
	s_delay_alu instid0(VALU_DEP_1)
	v_dual_add_f32 v45, v45, v48 :: v_dual_add_f32 v40, v40, v47
	s_wait_alu 0xfffe
	s_and_not1_b32 exec_lo, exec_lo, s1
	s_cbranch_execnz .LBB81_29
; %bb.30:
	s_or_b32 exec_lo, exec_lo, s1
	v_mov_b32_e32 v41, 0
	ds_load_b64 v[41:42], v41 offset:32
	s_wait_dscnt 0x0
	v_mul_f32_e32 v46, v40, v42
	v_mul_f32_e32 v43, v45, v42
	s_delay_alu instid0(VALU_DEP_2) | instskip(NEXT) | instid1(VALU_DEP_2)
	v_fma_f32 v42, v45, v41, -v46
	v_fmac_f32_e32 v43, v40, v41
	scratch_store_b64 off, v[42:43], off offset:32
.LBB81_31:
	s_wait_alu 0xfffe
	s_or_b32 exec_lo, exec_lo, s0
	s_wait_loadcnt 0x0
	s_wait_storecnt 0x0
	s_barrier_signal -1
	s_barrier_wait -1
	global_inv scope:SCOPE_SE
	scratch_load_b64 v[40:41], off, off offset:40
	;; [unrolled: 55-line block ×13, first 2 shown]
	s_mov_b32 s0, exec_lo
	s_wait_loadcnt 0x0
	ds_store_b64 v1, v[40:41]
	s_wait_dscnt 0x0
	s_barrier_signal -1
	s_barrier_wait -1
	global_inv scope:SCOPE_SE
	v_cmpx_gt_u32_e32 16, v0
	s_cbranch_execz .LBB81_79
; %bb.76:
	v_add_nc_u32_e32 v40, -1, v0
	v_dual_mov_b32 v42, v3 :: v_dual_add_nc_u32 v41, 0x90, v3
	v_mov_b32_e32 v3, 0
	v_mov_b32_e32 v43, 0
	s_mov_b32 s1, 0
.LBB81_77:                              ; =>This Inner Loop Header: Depth=1
	scratch_load_b64 v[45:46], v42, off
	ds_load_b64 v[47:48], v41
	v_add_nc_u32_e32 v42, 8, v42
	v_add_nc_u32_e32 v40, 1, v40
	v_add_nc_u32_e32 v41, 8, v41
	s_delay_alu instid0(VALU_DEP_2)
	v_cmp_lt_u32_e32 vcc_lo, 14, v40
	s_wait_alu 0xfffe
	s_or_b32 s1, vcc_lo, s1
	s_wait_loadcnt_dscnt 0x0
	v_mul_f32_e32 v49, v48, v46
	v_mul_f32_e32 v46, v47, v46
	s_delay_alu instid0(VALU_DEP_2) | instskip(NEXT) | instid1(VALU_DEP_1)
	v_fma_f32 v47, v47, v45, -v49
	v_dual_fmac_f32 v46, v48, v45 :: v_dual_add_f32 v43, v43, v47
	s_delay_alu instid0(VALU_DEP_1)
	v_add_f32_e32 v3, v3, v46
	s_wait_alu 0xfffe
	s_and_not1_b32 exec_lo, exec_lo, s1
	s_cbranch_execnz .LBB81_77
; %bb.78:
	s_or_b32 exec_lo, exec_lo, s1
	v_mov_b32_e32 v40, 0
	ds_load_b64 v[40:41], v40 offset:128
	s_wait_dscnt 0x0
	v_mul_f32_e32 v45, v3, v41
	v_mul_f32_e32 v42, v43, v41
	s_delay_alu instid0(VALU_DEP_2) | instskip(NEXT) | instid1(VALU_DEP_2)
	v_fma_f32 v41, v43, v40, -v45
	v_fmac_f32_e32 v42, v3, v40
	scratch_store_b64 off, v[41:42], off offset:128
.LBB81_79:
	s_wait_alu 0xfffe
	s_or_b32 exec_lo, exec_lo, s0
	s_wait_loadcnt 0x0
	s_wait_storecnt 0x0
	s_barrier_signal -1
	s_barrier_wait -1
	global_inv scope:SCOPE_SE
	scratch_load_b64 v[40:41], off, off offset:136
	s_mov_b32 s0, exec_lo
	s_wait_loadcnt 0x0
	ds_store_b64 v1, v[40:41]
	s_wait_dscnt 0x0
	s_barrier_signal -1
	s_barrier_wait -1
	global_inv scope:SCOPE_SE
	v_cmpx_ne_u32_e32 17, v0
	s_cbranch_execz .LBB81_83
; %bb.80:
	v_dual_mov_b32 v3, 0 :: v_dual_mov_b32 v40, 0
	s_mov_b32 s1, 0
.LBB81_81:                              ; =>This Inner Loop Header: Depth=1
	scratch_load_b64 v[41:42], v44, off
	ds_load_b64 v[45:46], v1
	v_add_nc_u32_e32 v2, 1, v2
	v_add_nc_u32_e32 v1, 8, v1
	;; [unrolled: 1-line block ×3, first 2 shown]
	s_delay_alu instid0(VALU_DEP_3)
	v_cmp_lt_u32_e32 vcc_lo, 15, v2
	s_wait_alu 0xfffe
	s_or_b32 s1, vcc_lo, s1
	s_wait_loadcnt_dscnt 0x0
	v_mul_f32_e32 v43, v46, v42
	v_mul_f32_e32 v42, v45, v42
	s_delay_alu instid0(VALU_DEP_2) | instskip(NEXT) | instid1(VALU_DEP_2)
	v_fma_f32 v43, v45, v41, -v43
	v_fmac_f32_e32 v42, v46, v41
	s_delay_alu instid0(VALU_DEP_1)
	v_dual_add_f32 v40, v40, v43 :: v_dual_add_f32 v3, v3, v42
	s_wait_alu 0xfffe
	s_and_not1_b32 exec_lo, exec_lo, s1
	s_cbranch_execnz .LBB81_81
; %bb.82:
	s_or_b32 exec_lo, exec_lo, s1
	v_mov_b32_e32 v1, 0
	ds_load_b64 v[1:2], v1 offset:136
	s_wait_dscnt 0x0
	v_mul_f32_e32 v42, v3, v2
	v_mul_f32_e32 v41, v40, v2
	s_delay_alu instid0(VALU_DEP_2) | instskip(NEXT) | instid1(VALU_DEP_2)
	v_fma_f32 v40, v40, v1, -v42
	v_fmac_f32_e32 v41, v3, v1
	scratch_store_b64 off, v[40:41], off offset:136
.LBB81_83:
	s_wait_alu 0xfffe
	s_or_b32 exec_lo, exec_lo, s0
	s_mov_b32 s1, -1
	s_wait_loadcnt 0x0
	s_wait_storecnt 0x0
	s_barrier_signal -1
	s_barrier_wait -1
	global_inv scope:SCOPE_SE
.LBB81_84:
	s_wait_alu 0xfffe
	s_and_b32 vcc_lo, exec_lo, s1
	s_wait_alu 0xfffe
	s_cbranch_vccz .LBB81_86
; %bb.85:
	v_mov_b32_e32 v1, 0
	s_lshl_b64 s[0:1], s[8:9], 2
	s_wait_alu 0xfffe
	s_add_nc_u64 s[0:1], s[6:7], s[0:1]
	global_load_b32 v1, v1, s[0:1]
	s_wait_loadcnt 0x0
	v_cmp_ne_u32_e32 vcc_lo, 0, v1
	s_cbranch_vccz .LBB81_87
.LBB81_86:
	s_nop 0
	s_sendmsg sendmsg(MSG_DEALLOC_VGPRS)
	s_endpgm
.LBB81_87:
	v_lshl_add_u32 v3, v0, 3, 0x90
	s_mov_b32 s0, exec_lo
	v_cmpx_eq_u32_e32 17, v0
	s_cbranch_execz .LBB81_89
; %bb.88:
	scratch_load_b64 v[1:2], off, off offset:128
	v_mov_b32_e32 v40, 0
	s_delay_alu instid0(VALU_DEP_1)
	v_mov_b32_e32 v41, v40
	scratch_store_b64 off, v[40:41], off offset:128
	s_wait_loadcnt 0x0
	ds_store_b64 v3, v[1:2]
.LBB81_89:
	s_wait_alu 0xfffe
	s_or_b32 exec_lo, exec_lo, s0
	s_wait_storecnt_dscnt 0x0
	s_barrier_signal -1
	s_barrier_wait -1
	global_inv scope:SCOPE_SE
	s_clause 0x1
	scratch_load_b64 v[40:41], off, off offset:136
	scratch_load_b64 v[42:43], off, off offset:128
	v_mov_b32_e32 v1, 0
	s_mov_b32 s0, exec_lo
	ds_load_b64 v[44:45], v1 offset:280
	s_wait_loadcnt_dscnt 0x100
	v_mul_f32_e32 v2, v45, v41
	s_delay_alu instid0(VALU_DEP_1) | instskip(NEXT) | instid1(VALU_DEP_1)
	v_fma_f32 v2, v44, v40, -v2
	v_dual_mul_f32 v41, v44, v41 :: v_dual_add_f32 v2, 0, v2
	s_wait_loadcnt 0x0
	s_delay_alu instid0(VALU_DEP_1) | instskip(NEXT) | instid1(VALU_DEP_1)
	v_dual_fmac_f32 v41, v45, v40 :: v_dual_sub_f32 v40, v42, v2
	v_add_f32_e32 v41, 0, v41
	s_delay_alu instid0(VALU_DEP_1)
	v_sub_f32_e32 v41, v43, v41
	scratch_store_b64 off, v[40:41], off offset:128
	v_cmpx_lt_u32_e32 15, v0
	s_cbranch_execz .LBB81_91
; %bb.90:
	scratch_load_b64 v[40:41], off, off offset:120
	v_mov_b32_e32 v2, v1
	scratch_store_b64 off, v[1:2], off offset:120
	s_wait_loadcnt 0x0
	ds_store_b64 v3, v[40:41]
.LBB81_91:
	s_wait_alu 0xfffe
	s_or_b32 exec_lo, exec_lo, s0
	s_wait_storecnt_dscnt 0x0
	s_barrier_signal -1
	s_barrier_wait -1
	global_inv scope:SCOPE_SE
	s_clause 0x1
	scratch_load_b128 v[40:43], off, off offset:128
	scratch_load_b64 v[48:49], off, off offset:120
	ds_load_b128 v[44:47], v1 offset:272
	s_mov_b32 s0, exec_lo
	s_wait_loadcnt_dscnt 0x100
	v_mul_f32_e32 v2, v44, v41
	s_delay_alu instid0(VALU_DEP_1) | instskip(SKIP_2) | instid1(VALU_DEP_1)
	v_fmac_f32_e32 v2, v45, v40
	v_mul_f32_e32 v1, v45, v41
	v_mul_f32_e32 v41, v46, v43
	v_fmac_f32_e32 v41, v47, v42
	s_delay_alu instid0(VALU_DEP_4) | instskip(NEXT) | instid1(VALU_DEP_4)
	v_dual_add_f32 v2, 0, v2 :: v_dual_mul_f32 v43, v47, v43
	v_fma_f32 v1, v44, v40, -v1
	s_delay_alu instid0(VALU_DEP_2) | instskip(NEXT) | instid1(VALU_DEP_3)
	v_add_f32_e32 v2, v2, v41
	v_fma_f32 v40, v46, v42, -v43
	s_wait_loadcnt 0x0
	s_delay_alu instid0(VALU_DEP_2) | instskip(NEXT) | instid1(VALU_DEP_1)
	v_dual_add_f32 v1, 0, v1 :: v_dual_sub_f32 v2, v49, v2
	v_add_f32_e32 v1, v1, v40
	s_delay_alu instid0(VALU_DEP_1)
	v_sub_f32_e32 v1, v48, v1
	scratch_store_b64 off, v[1:2], off offset:120
	v_cmpx_lt_u32_e32 14, v0
	s_cbranch_execz .LBB81_93
; %bb.92:
	scratch_load_b64 v[1:2], off, off offset:112
	v_mov_b32_e32 v40, 0
	s_delay_alu instid0(VALU_DEP_1)
	v_mov_b32_e32 v41, v40
	scratch_store_b64 off, v[40:41], off offset:112
	s_wait_loadcnt 0x0
	ds_store_b64 v3, v[1:2]
.LBB81_93:
	s_wait_alu 0xfffe
	s_or_b32 exec_lo, exec_lo, s0
	s_wait_storecnt_dscnt 0x0
	s_barrier_signal -1
	s_barrier_wait -1
	global_inv scope:SCOPE_SE
	s_clause 0x2
	scratch_load_b128 v[40:43], off, off offset:120
	scratch_load_b64 v[48:49], off, off offset:136
	scratch_load_b64 v[50:51], off, off offset:112
	v_mov_b32_e32 v1, 0
	ds_load_2addr_b64 v[44:47], v1 offset0:33 offset1:34
	ds_load_b64 v[52:53], v1 offset:280
	s_mov_b32 s0, exec_lo
	s_wait_loadcnt_dscnt 0x201
	v_mul_f32_e32 v2, v45, v41
	v_dual_mul_f32 v41, v44, v41 :: v_dual_mul_f32 v54, v46, v43
	v_mul_f32_e32 v43, v47, v43
	s_wait_loadcnt_dscnt 0x100
	v_mul_f32_e32 v55, v52, v49
	v_fma_f32 v2, v44, v40, -v2
	v_fmac_f32_e32 v41, v45, v40
	v_mul_f32_e32 v40, v53, v49
	v_fmac_f32_e32 v54, v47, v42
	v_fma_f32 v42, v46, v42, -v43
	s_delay_alu instid0(VALU_DEP_4) | instskip(NEXT) | instid1(VALU_DEP_4)
	v_dual_add_f32 v2, 0, v2 :: v_dual_add_f32 v41, 0, v41
	v_fma_f32 v40, v52, v48, -v40
	s_delay_alu instid0(VALU_DEP_2) | instskip(NEXT) | instid1(VALU_DEP_1)
	v_add_f32_e32 v2, v2, v42
	v_dual_add_f32 v41, v41, v54 :: v_dual_add_f32 v2, v2, v40
	s_wait_loadcnt 0x0
	s_delay_alu instid0(VALU_DEP_1) | instskip(NEXT) | instid1(VALU_DEP_1)
	v_dual_fmac_f32 v55, v53, v48 :: v_dual_sub_f32 v40, v50, v2
	v_add_f32_e32 v41, v41, v55
	s_delay_alu instid0(VALU_DEP_1)
	v_sub_f32_e32 v41, v51, v41
	scratch_store_b64 off, v[40:41], off offset:112
	v_cmpx_lt_u32_e32 13, v0
	s_cbranch_execz .LBB81_95
; %bb.94:
	scratch_load_b64 v[40:41], off, off offset:104
	v_mov_b32_e32 v2, v1
	scratch_store_b64 off, v[1:2], off offset:104
	s_wait_loadcnt 0x0
	ds_store_b64 v3, v[40:41]
.LBB81_95:
	s_wait_alu 0xfffe
	s_or_b32 exec_lo, exec_lo, s0
	s_wait_storecnt_dscnt 0x0
	s_barrier_signal -1
	s_barrier_wait -1
	global_inv scope:SCOPE_SE
	s_clause 0x2
	scratch_load_b128 v[40:43], off, off offset:112
	scratch_load_b128 v[44:47], off, off offset:128
	scratch_load_b64 v[56:57], off, off offset:104
	ds_load_b128 v[48:51], v1 offset:256
	ds_load_b128 v[52:55], v1 offset:272
	s_mov_b32 s0, exec_lo
	s_wait_loadcnt_dscnt 0x201
	v_mul_f32_e32 v2, v49, v41
	s_wait_loadcnt_dscnt 0x100
	v_dual_mul_f32 v58, v52, v45 :: v_dual_mul_f32 v59, v54, v47
	s_delay_alu instid0(VALU_DEP_2) | instskip(SKIP_2) | instid1(VALU_DEP_4)
	v_fma_f32 v2, v48, v40, -v2
	v_mul_f32_e32 v1, v48, v41
	v_mul_f32_e32 v41, v50, v43
	v_dual_mul_f32 v43, v51, v43 :: v_dual_fmac_f32 v58, v53, v44
	s_delay_alu instid0(VALU_DEP_3) | instskip(NEXT) | instid1(VALU_DEP_3)
	v_dual_add_f32 v2, 0, v2 :: v_dual_fmac_f32 v1, v49, v40
	v_dual_mul_f32 v40, v53, v45 :: v_dual_fmac_f32 v41, v51, v42
	s_delay_alu instid0(VALU_DEP_3) | instskip(SKIP_1) | instid1(VALU_DEP_3)
	v_fma_f32 v42, v50, v42, -v43
	v_fmac_f32_e32 v59, v55, v46
	v_fma_f32 v40, v52, v44, -v40
	s_delay_alu instid0(VALU_DEP_3) | instskip(NEXT) | instid1(VALU_DEP_1)
	v_dual_add_f32 v2, v2, v42 :: v_dual_add_f32 v1, 0, v1
	v_dual_add_f32 v2, v2, v40 :: v_dual_mul_f32 v43, v55, v47
	s_delay_alu instid0(VALU_DEP_2) | instskip(NEXT) | instid1(VALU_DEP_2)
	v_add_f32_e32 v1, v1, v41
	v_fma_f32 v41, v54, v46, -v43
	s_delay_alu instid0(VALU_DEP_1) | instskip(SKIP_1) | instid1(VALU_DEP_1)
	v_dual_add_f32 v1, v1, v58 :: v_dual_add_f32 v2, v2, v41
	s_wait_loadcnt 0x0
	v_dual_add_f32 v40, v1, v59 :: v_dual_sub_f32 v1, v56, v2
	s_delay_alu instid0(VALU_DEP_1)
	v_sub_f32_e32 v2, v57, v40
	scratch_store_b64 off, v[1:2], off offset:104
	v_cmpx_lt_u32_e32 12, v0
	s_cbranch_execz .LBB81_97
; %bb.96:
	scratch_load_b64 v[1:2], off, off offset:96
	v_mov_b32_e32 v40, 0
	s_delay_alu instid0(VALU_DEP_1)
	v_mov_b32_e32 v41, v40
	scratch_store_b64 off, v[40:41], off offset:96
	s_wait_loadcnt 0x0
	ds_store_b64 v3, v[1:2]
.LBB81_97:
	s_wait_alu 0xfffe
	s_or_b32 exec_lo, exec_lo, s0
	s_wait_storecnt_dscnt 0x0
	s_barrier_signal -1
	s_barrier_wait -1
	global_inv scope:SCOPE_SE
	s_clause 0x3
	scratch_load_b128 v[40:43], off, off offset:104
	scratch_load_b128 v[44:47], off, off offset:120
	scratch_load_b64 v[56:57], off, off offset:136
	scratch_load_b64 v[58:59], off, off offset:96
	v_mov_b32_e32 v1, 0
	ds_load_2addr_b64 v[48:51], v1 offset0:31 offset1:32
	ds_load_2addr_b64 v[52:55], v1 offset0:33 offset1:34
	ds_load_b64 v[60:61], v1 offset:280
	s_mov_b32 s0, exec_lo
	s_wait_loadcnt_dscnt 0x302
	v_mul_f32_e32 v2, v48, v41
	v_dual_mul_f32 v62, v50, v43 :: v_dual_mul_f32 v41, v49, v41
	s_wait_loadcnt_dscnt 0x100
	v_mul_f32_e32 v65, v60, v57
	v_dual_mul_f32 v63, v52, v45 :: v_dual_mul_f32 v64, v54, v47
	v_dual_fmac_f32 v2, v49, v40 :: v_dual_mul_f32 v43, v51, v43
	v_fma_f32 v41, v48, v40, -v41
	v_fmac_f32_e32 v62, v51, v42
	v_mul_f32_e32 v40, v53, v45
	s_delay_alu instid0(VALU_DEP_4) | instskip(SKIP_3) | instid1(VALU_DEP_4)
	v_add_f32_e32 v2, 0, v2
	v_fma_f32 v42, v50, v42, -v43
	v_add_f32_e32 v41, 0, v41
	v_mul_f32_e32 v43, v55, v47
	v_dual_fmac_f32 v63, v53, v44 :: v_dual_add_f32 v2, v2, v62
	v_dual_fmac_f32 v64, v55, v46 :: v_dual_fmac_f32 v65, v61, v56
	s_delay_alu instid0(VALU_DEP_4) | instskip(SKIP_1) | instid1(VALU_DEP_4)
	v_add_f32_e32 v41, v41, v42
	v_fma_f32 v40, v52, v44, -v40
	v_add_f32_e32 v2, v2, v63
	v_fma_f32 v43, v54, v46, -v43
	s_delay_alu instid0(VALU_DEP_3) | instskip(NEXT) | instid1(VALU_DEP_3)
	v_add_f32_e32 v40, v41, v40
	v_add_f32_e32 v2, v2, v64
	s_delay_alu instid0(VALU_DEP_2) | instskip(NEXT) | instid1(VALU_DEP_2)
	v_add_f32_e32 v40, v40, v43
	v_add_f32_e32 v2, v2, v65
	v_mul_f32_e32 v42, v61, v57
	s_delay_alu instid0(VALU_DEP_1) | instskip(SKIP_1) | instid1(VALU_DEP_1)
	v_fma_f32 v41, v60, v56, -v42
	s_wait_loadcnt 0x0
	v_dual_add_f32 v40, v40, v41 :: v_dual_sub_f32 v41, v59, v2
	s_delay_alu instid0(VALU_DEP_1)
	v_sub_f32_e32 v40, v58, v40
	scratch_store_b64 off, v[40:41], off offset:96
	v_cmpx_lt_u32_e32 11, v0
	s_cbranch_execz .LBB81_99
; %bb.98:
	scratch_load_b64 v[40:41], off, off offset:88
	v_mov_b32_e32 v2, v1
	scratch_store_b64 off, v[1:2], off offset:88
	s_wait_loadcnt 0x0
	ds_store_b64 v3, v[40:41]
.LBB81_99:
	s_wait_alu 0xfffe
	s_or_b32 exec_lo, exec_lo, s0
	s_wait_storecnt_dscnt 0x0
	s_barrier_signal -1
	s_barrier_wait -1
	global_inv scope:SCOPE_SE
	s_clause 0x3
	scratch_load_b128 v[40:43], off, off offset:96
	scratch_load_b128 v[44:47], off, off offset:112
	scratch_load_b128 v[48:51], off, off offset:128
	scratch_load_b64 v[64:65], off, off offset:88
	ds_load_b128 v[52:55], v1 offset:240
	ds_load_b128 v[56:59], v1 offset:256
	;; [unrolled: 1-line block ×3, first 2 shown]
	s_mov_b32 s0, exec_lo
	s_wait_loadcnt_dscnt 0x302
	v_dual_mul_f32 v1, v52, v41 :: v_dual_mul_f32 v2, v54, v43
	v_mul_f32_e32 v41, v53, v41
	s_wait_loadcnt_dscnt 0x201
	v_dual_mul_f32 v43, v55, v43 :: v_dual_mul_f32 v66, v56, v45
	s_delay_alu instid0(VALU_DEP_3) | instskip(NEXT) | instid1(VALU_DEP_3)
	v_dual_mul_f32 v67, v58, v47 :: v_dual_fmac_f32 v2, v55, v42
	v_fma_f32 v41, v52, v40, -v41
	v_fmac_f32_e32 v1, v53, v40
	v_mul_f32_e32 v40, v57, v45
	v_fma_f32 v42, v54, v42, -v43
	v_mul_f32_e32 v43, v59, v47
	v_dual_add_f32 v41, 0, v41 :: v_dual_fmac_f32 v66, v57, v44
	s_delay_alu instid0(VALU_DEP_4) | instskip(SKIP_2) | instid1(VALU_DEP_3)
	v_fma_f32 v40, v56, v44, -v40
	s_wait_loadcnt_dscnt 0x100
	v_dual_mul_f32 v68, v60, v49 :: v_dual_mul_f32 v69, v62, v51
	v_add_f32_e32 v41, v41, v42
	v_fmac_f32_e32 v67, v59, v46
	v_fma_f32 v42, v58, v46, -v43
	s_delay_alu instid0(VALU_DEP_4) | instskip(NEXT) | instid1(VALU_DEP_4)
	v_dual_fmac_f32 v68, v61, v48 :: v_dual_fmac_f32 v69, v63, v50
	v_add_f32_e32 v40, v41, v40
	s_delay_alu instid0(VALU_DEP_1) | instskip(SKIP_1) | instid1(VALU_DEP_1)
	v_dual_add_f32 v40, v40, v42 :: v_dual_add_f32 v1, 0, v1
	v_mul_f32_e32 v41, v63, v51
	v_fma_f32 v41, v62, v50, -v41
	s_delay_alu instid0(VALU_DEP_3) | instskip(SKIP_1) | instid1(VALU_DEP_1)
	v_add_f32_e32 v1, v1, v2
	v_mul_f32_e32 v2, v61, v49
	v_fma_f32 v2, v60, v48, -v2
	s_delay_alu instid0(VALU_DEP_1) | instskip(NEXT) | instid1(VALU_DEP_1)
	v_add_f32_e32 v2, v40, v2
	v_dual_add_f32 v2, v2, v41 :: v_dual_add_f32 v1, v1, v66
	s_delay_alu instid0(VALU_DEP_1) | instskip(NEXT) | instid1(VALU_DEP_1)
	v_add_f32_e32 v1, v1, v67
	v_add_f32_e32 v1, v1, v68
	s_wait_loadcnt 0x0
	s_delay_alu instid0(VALU_DEP_1) | instskip(NEXT) | instid1(VALU_DEP_1)
	v_dual_add_f32 v40, v1, v69 :: v_dual_sub_f32 v1, v64, v2
	v_sub_f32_e32 v2, v65, v40
	scratch_store_b64 off, v[1:2], off offset:88
	v_cmpx_lt_u32_e32 10, v0
	s_cbranch_execz .LBB81_101
; %bb.100:
	scratch_load_b64 v[1:2], off, off offset:80
	v_mov_b32_e32 v40, 0
	s_delay_alu instid0(VALU_DEP_1)
	v_mov_b32_e32 v41, v40
	scratch_store_b64 off, v[40:41], off offset:80
	s_wait_loadcnt 0x0
	ds_store_b64 v3, v[1:2]
.LBB81_101:
	s_wait_alu 0xfffe
	s_or_b32 exec_lo, exec_lo, s0
	s_wait_storecnt_dscnt 0x0
	s_barrier_signal -1
	s_barrier_wait -1
	global_inv scope:SCOPE_SE
	s_clause 0x4
	scratch_load_b128 v[40:43], off, off offset:88
	scratch_load_b128 v[44:47], off, off offset:104
	;; [unrolled: 1-line block ×3, first 2 shown]
	scratch_load_b64 v[64:65], off, off offset:136
	scratch_load_b64 v[66:67], off, off offset:80
	v_mov_b32_e32 v1, 0
	ds_load_2addr_b64 v[52:55], v1 offset0:29 offset1:30
	ds_load_2addr_b64 v[56:59], v1 offset0:31 offset1:32
	ds_load_2addr_b64 v[60:63], v1 offset0:33 offset1:34
	ds_load_b64 v[68:69], v1 offset:280
	s_mov_b32 s0, exec_lo
	s_wait_loadcnt_dscnt 0x403
	v_mul_f32_e32 v2, v52, v41
	s_wait_loadcnt_dscnt 0x302
	v_dual_mul_f32 v70, v54, v43 :: v_dual_mul_f32 v71, v56, v45
	v_dual_mul_f32 v72, v58, v47 :: v_dual_mul_f32 v41, v53, v41
	s_wait_loadcnt_dscnt 0x100
	v_dual_mul_f32 v75, v68, v65 :: v_dual_fmac_f32 v2, v53, v40
	v_mul_f32_e32 v43, v55, v43
	v_dual_mul_f32 v73, v60, v49 :: v_dual_mul_f32 v74, v62, v51
	v_fma_f32 v41, v52, v40, -v41
	v_fmac_f32_e32 v70, v55, v42
	v_add_f32_e32 v2, 0, v2
	v_mul_f32_e32 v40, v57, v45
	v_fma_f32 v42, v54, v42, -v43
	v_add_f32_e32 v41, 0, v41
	v_mul_f32_e32 v43, v59, v47
	v_dual_fmac_f32 v71, v57, v44 :: v_dual_add_f32 v2, v2, v70
	v_dual_fmac_f32 v72, v59, v46 :: v_dual_fmac_f32 v73, v61, v48
	s_delay_alu instid0(VALU_DEP_4) | instskip(SKIP_1) | instid1(VALU_DEP_4)
	v_add_f32_e32 v41, v41, v42
	v_dual_fmac_f32 v74, v63, v50 :: v_dual_fmac_f32 v75, v69, v64
	v_add_f32_e32 v2, v2, v71
	v_fma_f32 v40, v56, v44, -v40
	v_mul_f32_e32 v42, v61, v49
	v_fma_f32 v43, v58, v46, -v43
	s_delay_alu instid0(VALU_DEP_4) | instskip(NEXT) | instid1(VALU_DEP_1)
	v_add_f32_e32 v2, v2, v72
	v_add_f32_e32 v2, v2, v73
	s_delay_alu instid0(VALU_DEP_1) | instskip(NEXT) | instid1(VALU_DEP_1)
	v_add_f32_e32 v2, v2, v74
	v_add_f32_e32 v2, v2, v75
	v_dual_add_f32 v40, v41, v40 :: v_dual_mul_f32 v41, v63, v51
	v_fma_f32 v42, v60, v48, -v42
	s_delay_alu instid0(VALU_DEP_2) | instskip(NEXT) | instid1(VALU_DEP_3)
	v_dual_add_f32 v40, v40, v43 :: v_dual_mul_f32 v43, v69, v65
	v_fma_f32 v41, v62, v50, -v41
	s_delay_alu instid0(VALU_DEP_2) | instskip(NEXT) | instid1(VALU_DEP_3)
	v_add_f32_e32 v40, v40, v42
	v_fma_f32 v42, v68, v64, -v43
	s_wait_loadcnt 0x0
	s_delay_alu instid0(VALU_DEP_2) | instskip(NEXT) | instid1(VALU_DEP_1)
	v_dual_add_f32 v40, v40, v41 :: v_dual_sub_f32 v41, v67, v2
	v_add_f32_e32 v40, v40, v42
	s_delay_alu instid0(VALU_DEP_1)
	v_sub_f32_e32 v40, v66, v40
	scratch_store_b64 off, v[40:41], off offset:80
	v_cmpx_lt_u32_e32 9, v0
	s_cbranch_execz .LBB81_103
; %bb.102:
	scratch_load_b64 v[40:41], off, off offset:72
	v_mov_b32_e32 v2, v1
	scratch_store_b64 off, v[1:2], off offset:72
	s_wait_loadcnt 0x0
	ds_store_b64 v3, v[40:41]
.LBB81_103:
	s_wait_alu 0xfffe
	s_or_b32 exec_lo, exec_lo, s0
	s_wait_storecnt_dscnt 0x0
	s_barrier_signal -1
	s_barrier_wait -1
	global_inv scope:SCOPE_SE
	s_clause 0x4
	scratch_load_b128 v[40:43], off, off offset:80
	scratch_load_b128 v[44:47], off, off offset:96
	;; [unrolled: 1-line block ×4, first 2 shown]
	scratch_load_b64 v[72:73], off, off offset:72
	ds_load_b128 v[56:59], v1 offset:224
	ds_load_b128 v[60:63], v1 offset:240
	;; [unrolled: 1-line block ×4, first 2 shown]
	s_mov_b32 s0, exec_lo
	s_wait_loadcnt_dscnt 0x403
	v_dual_mul_f32 v1, v56, v41 :: v_dual_mul_f32 v2, v58, v43
	v_mul_f32_e32 v41, v57, v41
	s_wait_loadcnt_dscnt 0x302
	v_dual_mul_f32 v43, v59, v43 :: v_dual_mul_f32 v74, v60, v45
	s_delay_alu instid0(VALU_DEP_3) | instskip(NEXT) | instid1(VALU_DEP_3)
	v_dual_mul_f32 v75, v62, v47 :: v_dual_fmac_f32 v2, v59, v42
	v_fma_f32 v41, v56, v40, -v41
	v_fmac_f32_e32 v1, v57, v40
	v_mul_f32_e32 v40, v61, v45
	v_fma_f32 v42, v58, v42, -v43
	v_mul_f32_e32 v43, v63, v47
	v_dual_add_f32 v41, 0, v41 :: v_dual_fmac_f32 v74, v61, v44
	s_delay_alu instid0(VALU_DEP_4) | instskip(SKIP_2) | instid1(VALU_DEP_3)
	v_fma_f32 v40, v60, v44, -v40
	s_wait_loadcnt_dscnt 0x201
	v_dual_mul_f32 v76, v64, v49 :: v_dual_mul_f32 v77, v66, v51
	v_add_f32_e32 v41, v41, v42
	v_fmac_f32_e32 v75, v63, v46
	v_fma_f32 v42, v62, v46, -v43
	s_wait_loadcnt_dscnt 0x100
	v_dual_mul_f32 v78, v68, v53 :: v_dual_mul_f32 v79, v70, v55
	v_dual_add_f32 v40, v41, v40 :: v_dual_mul_f32 v41, v67, v51
	v_dual_fmac_f32 v76, v65, v48 :: v_dual_fmac_f32 v77, v67, v50
	s_delay_alu instid0(VALU_DEP_3) | instskip(NEXT) | instid1(VALU_DEP_3)
	v_fmac_f32_e32 v78, v69, v52
	v_dual_add_f32 v40, v40, v42 :: v_dual_add_f32 v1, 0, v1
	v_mul_f32_e32 v42, v69, v53
	v_fma_f32 v41, v66, v50, -v41
	v_fmac_f32_e32 v79, v71, v54
	s_delay_alu instid0(VALU_DEP_4) | instskip(SKIP_2) | instid1(VALU_DEP_2)
	v_add_f32_e32 v1, v1, v2
	v_mul_f32_e32 v2, v65, v49
	v_fma_f32 v42, v68, v52, -v42
	v_fma_f32 v2, v64, v48, -v2
	s_delay_alu instid0(VALU_DEP_1) | instskip(SKIP_1) | instid1(VALU_DEP_2)
	v_add_f32_e32 v2, v40, v2
	v_mul_f32_e32 v40, v71, v55
	v_add_f32_e32 v2, v2, v41
	s_delay_alu instid0(VALU_DEP_2) | instskip(NEXT) | instid1(VALU_DEP_2)
	v_fma_f32 v40, v70, v54, -v40
	v_add_f32_e32 v2, v2, v42
	s_delay_alu instid0(VALU_DEP_1) | instskip(NEXT) | instid1(VALU_DEP_1)
	v_dual_add_f32 v1, v1, v74 :: v_dual_add_f32 v2, v2, v40
	v_add_f32_e32 v1, v1, v75
	s_delay_alu instid0(VALU_DEP_1) | instskip(NEXT) | instid1(VALU_DEP_1)
	v_add_f32_e32 v1, v1, v76
	v_add_f32_e32 v1, v1, v77
	s_delay_alu instid0(VALU_DEP_1) | instskip(SKIP_1) | instid1(VALU_DEP_1)
	v_add_f32_e32 v1, v1, v78
	s_wait_loadcnt 0x0
	v_dual_add_f32 v40, v1, v79 :: v_dual_sub_f32 v1, v72, v2
	s_delay_alu instid0(VALU_DEP_1)
	v_sub_f32_e32 v2, v73, v40
	scratch_store_b64 off, v[1:2], off offset:72
	v_cmpx_lt_u32_e32 8, v0
	s_cbranch_execz .LBB81_105
; %bb.104:
	scratch_load_b64 v[1:2], off, off offset:64
	v_mov_b32_e32 v40, 0
	s_delay_alu instid0(VALU_DEP_1)
	v_mov_b32_e32 v41, v40
	scratch_store_b64 off, v[40:41], off offset:64
	s_wait_loadcnt 0x0
	ds_store_b64 v3, v[1:2]
.LBB81_105:
	s_wait_alu 0xfffe
	s_or_b32 exec_lo, exec_lo, s0
	s_wait_storecnt_dscnt 0x0
	s_barrier_signal -1
	s_barrier_wait -1
	global_inv scope:SCOPE_SE
	s_clause 0x5
	scratch_load_b128 v[40:43], off, off offset:72
	scratch_load_b128 v[44:47], off, off offset:88
	;; [unrolled: 1-line block ×4, first 2 shown]
	scratch_load_b64 v[72:73], off, off offset:136
	scratch_load_b64 v[74:75], off, off offset:64
	v_mov_b32_e32 v1, 0
	ds_load_2addr_b64 v[56:59], v1 offset0:27 offset1:28
	ds_load_2addr_b64 v[60:63], v1 offset0:29 offset1:30
	;; [unrolled: 1-line block ×4, first 2 shown]
	ds_load_b64 v[76:77], v1 offset:280
	s_mov_b32 s0, exec_lo
	s_wait_loadcnt_dscnt 0x504
	v_mul_f32_e32 v2, v56, v41
	s_wait_loadcnt_dscnt 0x403
	v_dual_mul_f32 v78, v58, v43 :: v_dual_mul_f32 v79, v60, v45
	s_wait_loadcnt_dscnt 0x302
	v_dual_mul_f32 v82, v66, v51 :: v_dual_mul_f32 v41, v57, v41
	s_wait_loadcnt_dscnt 0x100
	v_dual_mul_f32 v85, v76, v73 :: v_dual_fmac_f32 v2, v57, v40
	v_mul_f32_e32 v43, v59, v43
	v_dual_mul_f32 v80, v62, v47 :: v_dual_mul_f32 v81, v64, v49
	v_fma_f32 v41, v56, v40, -v41
	v_fmac_f32_e32 v78, v59, v42
	v_add_f32_e32 v2, 0, v2
	v_mul_f32_e32 v40, v61, v45
	v_fma_f32 v42, v58, v42, -v43
	v_add_f32_e32 v41, 0, v41
	v_mul_f32_e32 v43, v63, v47
	v_dual_fmac_f32 v79, v61, v44 :: v_dual_add_f32 v2, v2, v78
	v_dual_fmac_f32 v80, v63, v46 :: v_dual_fmac_f32 v81, v65, v48
	s_delay_alu instid0(VALU_DEP_4) | instskip(SKIP_1) | instid1(VALU_DEP_4)
	v_add_f32_e32 v41, v41, v42
	v_dual_mul_f32 v83, v68, v53 :: v_dual_mul_f32 v84, v70, v55
	v_add_f32_e32 v2, v2, v79
	v_dual_fmac_f32 v82, v67, v50 :: v_dual_fmac_f32 v85, v77, v72
	s_delay_alu instid0(VALU_DEP_3) | instskip(NEXT) | instid1(VALU_DEP_3)
	v_dual_fmac_f32 v83, v69, v52 :: v_dual_fmac_f32 v84, v71, v54
	v_add_f32_e32 v2, v2, v80
	v_fma_f32 v40, v60, v44, -v40
	v_mul_f32_e32 v42, v65, v49
	v_fma_f32 v43, v62, v46, -v43
	s_delay_alu instid0(VALU_DEP_4) | instskip(NEXT) | instid1(VALU_DEP_1)
	v_add_f32_e32 v2, v2, v81
	v_add_f32_e32 v2, v2, v82
	s_delay_alu instid0(VALU_DEP_1) | instskip(NEXT) | instid1(VALU_DEP_1)
	v_add_f32_e32 v2, v2, v83
	v_add_f32_e32 v2, v2, v84
	s_delay_alu instid0(VALU_DEP_1) | instskip(SKIP_2) | instid1(VALU_DEP_2)
	v_add_f32_e32 v2, v2, v85
	v_dual_add_f32 v40, v41, v40 :: v_dual_mul_f32 v41, v67, v51
	v_fma_f32 v42, v64, v48, -v42
	v_dual_add_f32 v40, v40, v43 :: v_dual_mul_f32 v43, v69, v53
	s_delay_alu instid0(VALU_DEP_3) | instskip(NEXT) | instid1(VALU_DEP_2)
	v_fma_f32 v41, v66, v50, -v41
	v_add_f32_e32 v40, v40, v42
	v_mul_f32_e32 v42, v71, v55
	s_delay_alu instid0(VALU_DEP_4) | instskip(NEXT) | instid1(VALU_DEP_3)
	v_fma_f32 v43, v68, v52, -v43
	v_add_f32_e32 v40, v40, v41
	v_mul_f32_e32 v41, v77, v73
	s_delay_alu instid0(VALU_DEP_4) | instskip(NEXT) | instid1(VALU_DEP_3)
	v_fma_f32 v42, v70, v54, -v42
	v_add_f32_e32 v40, v40, v43
	s_delay_alu instid0(VALU_DEP_3) | instskip(NEXT) | instid1(VALU_DEP_2)
	v_fma_f32 v41, v76, v72, -v41
	v_add_f32_e32 v40, v40, v42
	s_wait_loadcnt 0x0
	s_delay_alu instid0(VALU_DEP_1) | instskip(NEXT) | instid1(VALU_DEP_1)
	v_dual_add_f32 v40, v40, v41 :: v_dual_sub_f32 v41, v75, v2
	v_sub_f32_e32 v40, v74, v40
	scratch_store_b64 off, v[40:41], off offset:64
	v_cmpx_lt_u32_e32 7, v0
	s_cbranch_execz .LBB81_107
; %bb.106:
	scratch_load_b64 v[40:41], off, off offset:56
	v_mov_b32_e32 v2, v1
	scratch_store_b64 off, v[1:2], off offset:56
	s_wait_loadcnt 0x0
	ds_store_b64 v3, v[40:41]
.LBB81_107:
	s_wait_alu 0xfffe
	s_or_b32 exec_lo, exec_lo, s0
	s_wait_storecnt_dscnt 0x0
	s_barrier_signal -1
	s_barrier_wait -1
	global_inv scope:SCOPE_SE
	s_clause 0x5
	scratch_load_b128 v[40:43], off, off offset:64
	scratch_load_b128 v[44:47], off, off offset:80
	;; [unrolled: 1-line block ×5, first 2 shown]
	scratch_load_b64 v[80:81], off, off offset:56
	ds_load_b128 v[60:63], v1 offset:208
	ds_load_b128 v[64:67], v1 offset:224
	;; [unrolled: 1-line block ×5, first 2 shown]
	s_mov_b32 s0, exec_lo
	s_wait_loadcnt_dscnt 0x504
	v_dual_mul_f32 v1, v60, v41 :: v_dual_mul_f32 v2, v62, v43
	v_mul_f32_e32 v41, v61, v41
	s_wait_loadcnt_dscnt 0x403
	v_dual_mul_f32 v43, v63, v43 :: v_dual_mul_f32 v82, v64, v45
	s_delay_alu instid0(VALU_DEP_3) | instskip(NEXT) | instid1(VALU_DEP_3)
	v_dual_mul_f32 v83, v66, v47 :: v_dual_fmac_f32 v2, v63, v42
	v_fma_f32 v41, v60, v40, -v41
	v_fmac_f32_e32 v1, v61, v40
	v_mul_f32_e32 v40, v65, v45
	v_fma_f32 v42, v62, v42, -v43
	v_mul_f32_e32 v43, v67, v47
	v_dual_add_f32 v41, 0, v41 :: v_dual_fmac_f32 v82, v65, v44
	s_delay_alu instid0(VALU_DEP_4) | instskip(SKIP_2) | instid1(VALU_DEP_3)
	v_fma_f32 v40, v64, v44, -v40
	s_wait_loadcnt_dscnt 0x302
	v_dual_mul_f32 v84, v68, v49 :: v_dual_mul_f32 v85, v70, v51
	v_add_f32_e32 v41, v41, v42
	v_fmac_f32_e32 v83, v67, v46
	v_fma_f32 v42, v66, v46, -v43
	s_wait_loadcnt_dscnt 0x201
	v_dual_mul_f32 v86, v72, v53 :: v_dual_mul_f32 v87, v74, v55
	v_dual_add_f32 v40, v41, v40 :: v_dual_mul_f32 v41, v71, v51
	v_fmac_f32_e32 v84, v69, v48
	s_wait_loadcnt_dscnt 0x100
	v_dual_mul_f32 v88, v76, v57 :: v_dual_mul_f32 v89, v78, v59
	s_delay_alu instid0(VALU_DEP_3) | instskip(SKIP_3) | instid1(VALU_DEP_4)
	v_dual_add_f32 v40, v40, v42 :: v_dual_add_f32 v1, 0, v1
	v_mul_f32_e32 v42, v73, v53
	v_fma_f32 v41, v70, v50, -v41
	v_dual_fmac_f32 v85, v71, v50 :: v_dual_fmac_f32 v86, v73, v52
	v_add_f32_e32 v1, v1, v2
	v_mul_f32_e32 v2, v69, v49
	v_fma_f32 v42, v72, v52, -v42
	v_dual_fmac_f32 v87, v75, v54 :: v_dual_fmac_f32 v88, v77, v56
	s_delay_alu instid0(VALU_DEP_3) | instskip(NEXT) | instid1(VALU_DEP_1)
	v_fma_f32 v2, v68, v48, -v2
	v_add_f32_e32 v2, v40, v2
	v_mul_f32_e32 v40, v75, v55
	s_delay_alu instid0(VALU_DEP_2) | instskip(SKIP_1) | instid1(VALU_DEP_3)
	v_dual_add_f32 v2, v2, v41 :: v_dual_add_f32 v1, v1, v82
	v_mul_f32_e32 v41, v77, v57
	v_fma_f32 v40, v74, v54, -v40
	s_delay_alu instid0(VALU_DEP_3) | instskip(SKIP_3) | instid1(VALU_DEP_4)
	v_add_f32_e32 v2, v2, v42
	v_mul_f32_e32 v42, v79, v59
	v_add_f32_e32 v1, v1, v83
	v_fma_f32 v41, v76, v56, -v41
	v_dual_add_f32 v2, v2, v40 :: v_dual_fmac_f32 v89, v79, v58
	s_delay_alu instid0(VALU_DEP_3) | instskip(SKIP_1) | instid1(VALU_DEP_3)
	v_add_f32_e32 v1, v1, v84
	v_fma_f32 v40, v78, v58, -v42
	v_add_f32_e32 v2, v2, v41
	s_delay_alu instid0(VALU_DEP_1) | instskip(NEXT) | instid1(VALU_DEP_1)
	v_dual_add_f32 v1, v1, v85 :: v_dual_add_f32 v2, v2, v40
	v_add_f32_e32 v1, v1, v86
	s_delay_alu instid0(VALU_DEP_1) | instskip(NEXT) | instid1(VALU_DEP_1)
	v_add_f32_e32 v1, v1, v87
	v_add_f32_e32 v1, v1, v88
	s_wait_loadcnt 0x0
	s_delay_alu instid0(VALU_DEP_1) | instskip(NEXT) | instid1(VALU_DEP_1)
	v_dual_add_f32 v40, v1, v89 :: v_dual_sub_f32 v1, v80, v2
	v_sub_f32_e32 v2, v81, v40
	scratch_store_b64 off, v[1:2], off offset:56
	v_cmpx_lt_u32_e32 6, v0
	s_cbranch_execz .LBB81_109
; %bb.108:
	scratch_load_b64 v[1:2], off, off offset:48
	v_mov_b32_e32 v40, 0
	s_delay_alu instid0(VALU_DEP_1)
	v_mov_b32_e32 v41, v40
	scratch_store_b64 off, v[40:41], off offset:48
	s_wait_loadcnt 0x0
	ds_store_b64 v3, v[1:2]
.LBB81_109:
	s_wait_alu 0xfffe
	s_or_b32 exec_lo, exec_lo, s0
	s_wait_storecnt_dscnt 0x0
	s_barrier_signal -1
	s_barrier_wait -1
	global_inv scope:SCOPE_SE
	s_clause 0x6
	scratch_load_b128 v[40:43], off, off offset:56
	scratch_load_b128 v[44:47], off, off offset:72
	scratch_load_b128 v[48:51], off, off offset:88
	scratch_load_b128 v[52:55], off, off offset:104
	scratch_load_b128 v[56:59], off, off offset:120
	scratch_load_b64 v[80:81], off, off offset:136
	scratch_load_b64 v[82:83], off, off offset:48
	v_mov_b32_e32 v1, 0
	ds_load_2addr_b64 v[60:63], v1 offset0:25 offset1:26
	ds_load_2addr_b64 v[64:67], v1 offset0:27 offset1:28
	;; [unrolled: 1-line block ×5, first 2 shown]
	ds_load_b64 v[84:85], v1 offset:280
	s_mov_b32 s0, exec_lo
	s_wait_loadcnt_dscnt 0x605
	v_mul_f32_e32 v2, v60, v41
	v_dual_mul_f32 v41, v61, v41 :: v_dual_mul_f32 v86, v62, v43
	s_wait_loadcnt_dscnt 0x302
	v_dual_mul_f32 v87, v64, v45 :: v_dual_mul_f32 v92, v74, v55
	s_wait_loadcnt_dscnt 0x100
	v_dual_mul_f32 v95, v84, v81 :: v_dual_fmac_f32 v2, v61, v40
	v_mul_f32_e32 v43, v63, v43
	v_fma_f32 v41, v60, v40, -v41
	v_mul_f32_e32 v40, v65, v45
	v_fmac_f32_e32 v86, v63, v42
	v_add_f32_e32 v2, 0, v2
	v_fma_f32 v42, v62, v42, -v43
	v_add_f32_e32 v41, 0, v41
	v_mul_f32_e32 v43, v67, v47
	s_delay_alu instid0(VALU_DEP_4) | instskip(SKIP_1) | instid1(VALU_DEP_4)
	v_dual_fmac_f32 v87, v65, v44 :: v_dual_add_f32 v2, v2, v86
	v_fma_f32 v40, v64, v44, -v40
	v_dual_add_f32 v41, v41, v42 :: v_dual_mul_f32 v88, v66, v47
	v_mul_f32_e32 v89, v68, v49
	v_mul_f32_e32 v42, v69, v49
	v_fma_f32 v43, v66, v46, -v43
	v_add_f32_e32 v2, v2, v87
	v_add_f32_e32 v40, v41, v40
	v_dual_fmac_f32 v88, v67, v46 :: v_dual_fmac_f32 v89, v69, v48
	v_mul_f32_e32 v41, v71, v51
	v_fma_f32 v42, v68, v48, -v42
	s_delay_alu instid0(VALU_DEP_4) | instskip(SKIP_4) | instid1(VALU_DEP_3)
	v_dual_add_f32 v40, v40, v43 :: v_dual_mul_f32 v43, v73, v53
	v_dual_mul_f32 v90, v70, v51 :: v_dual_mul_f32 v91, v72, v53
	v_dual_mul_f32 v93, v76, v57 :: v_dual_mul_f32 v94, v78, v59
	v_add_f32_e32 v2, v2, v88
	v_fma_f32 v41, v70, v50, -v41
	v_dual_add_f32 v40, v40, v42 :: v_dual_fmac_f32 v93, v77, v56
	v_dual_fmac_f32 v90, v71, v50 :: v_dual_fmac_f32 v91, v73, v52
	v_mul_f32_e32 v42, v75, v55
	s_delay_alu instid0(VALU_DEP_3)
	v_add_f32_e32 v40, v40, v41
	v_mul_f32_e32 v41, v77, v57
	v_dual_add_f32 v2, v2, v89 :: v_dual_fmac_f32 v95, v85, v80
	v_fma_f32 v43, v72, v52, -v43
	v_fmac_f32_e32 v92, v75, v54
	v_fma_f32 v42, v74, v54, -v42
	s_delay_alu instid0(VALU_DEP_4)
	v_add_f32_e32 v2, v2, v90
	v_fma_f32 v41, v76, v56, -v41
	v_add_f32_e32 v40, v40, v43
	v_mul_f32_e32 v43, v79, v59
	v_fmac_f32_e32 v94, v79, v58
	v_add_f32_e32 v2, v2, v91
	s_delay_alu instid0(VALU_DEP_4) | instskip(SKIP_2) | instid1(VALU_DEP_4)
	v_add_f32_e32 v40, v40, v42
	v_mul_f32_e32 v42, v85, v81
	v_fma_f32 v43, v78, v58, -v43
	v_add_f32_e32 v2, v2, v92
	s_delay_alu instid0(VALU_DEP_4) | instskip(NEXT) | instid1(VALU_DEP_4)
	v_add_f32_e32 v40, v40, v41
	v_fma_f32 v41, v84, v80, -v42
	s_delay_alu instid0(VALU_DEP_3) | instskip(NEXT) | instid1(VALU_DEP_3)
	v_add_f32_e32 v2, v2, v93
	v_add_f32_e32 v40, v40, v43
	s_delay_alu instid0(VALU_DEP_2) | instskip(NEXT) | instid1(VALU_DEP_2)
	v_add_f32_e32 v2, v2, v94
	v_add_f32_e32 v40, v40, v41
	s_delay_alu instid0(VALU_DEP_2) | instskip(SKIP_1) | instid1(VALU_DEP_1)
	v_add_f32_e32 v2, v2, v95
	s_wait_loadcnt 0x0
	v_dual_sub_f32 v40, v82, v40 :: v_dual_sub_f32 v41, v83, v2
	scratch_store_b64 off, v[40:41], off offset:48
	v_cmpx_lt_u32_e32 5, v0
	s_cbranch_execz .LBB81_111
; %bb.110:
	scratch_load_b64 v[40:41], off, off offset:40
	v_mov_b32_e32 v2, v1
	scratch_store_b64 off, v[1:2], off offset:40
	s_wait_loadcnt 0x0
	ds_store_b64 v3, v[40:41]
.LBB81_111:
	s_wait_alu 0xfffe
	s_or_b32 exec_lo, exec_lo, s0
	s_wait_storecnt_dscnt 0x0
	s_barrier_signal -1
	s_barrier_wait -1
	global_inv scope:SCOPE_SE
	s_clause 0x6
	scratch_load_b128 v[40:43], off, off offset:48
	scratch_load_b128 v[44:47], off, off offset:64
	;; [unrolled: 1-line block ×6, first 2 shown]
	scratch_load_b64 v[88:89], off, off offset:40
	ds_load_b128 v[64:67], v1 offset:192
	ds_load_b128 v[68:71], v1 offset:208
	;; [unrolled: 1-line block ×6, first 2 shown]
	s_mov_b32 s0, exec_lo
	s_wait_loadcnt_dscnt 0x605
	v_dual_mul_f32 v1, v64, v41 :: v_dual_mul_f32 v2, v66, v43
	v_mul_f32_e32 v41, v65, v41
	s_wait_loadcnt_dscnt 0x504
	v_dual_mul_f32 v43, v67, v43 :: v_dual_mul_f32 v90, v68, v45
	s_delay_alu instid0(VALU_DEP_3) | instskip(NEXT) | instid1(VALU_DEP_3)
	v_dual_mul_f32 v91, v70, v47 :: v_dual_fmac_f32 v2, v67, v42
	v_fma_f32 v41, v64, v40, -v41
	v_fmac_f32_e32 v1, v65, v40
	v_mul_f32_e32 v40, v69, v45
	v_fma_f32 v42, v66, v42, -v43
	v_mul_f32_e32 v43, v71, v47
	v_dual_add_f32 v41, 0, v41 :: v_dual_fmac_f32 v90, v69, v44
	s_delay_alu instid0(VALU_DEP_4) | instskip(SKIP_2) | instid1(VALU_DEP_3)
	v_fma_f32 v40, v68, v44, -v40
	s_wait_loadcnt_dscnt 0x403
	v_dual_mul_f32 v92, v72, v49 :: v_dual_mul_f32 v93, v74, v51
	v_add_f32_e32 v41, v41, v42
	v_fmac_f32_e32 v91, v71, v46
	v_fma_f32 v42, v70, v46, -v43
	s_wait_loadcnt_dscnt 0x302
	v_dual_mul_f32 v94, v76, v53 :: v_dual_mul_f32 v95, v78, v55
	v_dual_add_f32 v40, v41, v40 :: v_dual_mul_f32 v41, v75, v51
	v_fmac_f32_e32 v92, v73, v48
	s_wait_loadcnt_dscnt 0x201
	v_dual_mul_f32 v96, v80, v57 :: v_dual_mul_f32 v97, v82, v59
	s_delay_alu instid0(VALU_DEP_3) | instskip(SKIP_3) | instid1(VALU_DEP_4)
	v_dual_add_f32 v40, v40, v42 :: v_dual_add_f32 v1, 0, v1
	v_mul_f32_e32 v42, v77, v53
	v_fma_f32 v41, v74, v50, -v41
	v_dual_fmac_f32 v93, v75, v50 :: v_dual_fmac_f32 v94, v77, v52
	v_add_f32_e32 v1, v1, v2
	v_mul_f32_e32 v2, v73, v49
	v_fma_f32 v42, v76, v52, -v42
	v_dual_fmac_f32 v95, v79, v54 :: v_dual_fmac_f32 v96, v81, v56
	s_wait_loadcnt_dscnt 0x100
	v_dual_mul_f32 v98, v84, v61 :: v_dual_mul_f32 v99, v86, v63
	v_fma_f32 v2, v72, v48, -v2
	s_delay_alu instid0(VALU_DEP_2) | instskip(NEXT) | instid1(VALU_DEP_3)
	v_dual_fmac_f32 v97, v83, v58 :: v_dual_fmac_f32 v98, v85, v60
	v_fmac_f32_e32 v99, v87, v62
	s_delay_alu instid0(VALU_DEP_3) | instskip(SKIP_1) | instid1(VALU_DEP_2)
	v_add_f32_e32 v2, v40, v2
	v_mul_f32_e32 v40, v79, v55
	v_dual_add_f32 v2, v2, v41 :: v_dual_add_f32 v1, v1, v90
	v_mul_f32_e32 v41, v81, v57
	s_delay_alu instid0(VALU_DEP_3) | instskip(NEXT) | instid1(VALU_DEP_3)
	v_fma_f32 v40, v78, v54, -v40
	v_add_f32_e32 v2, v2, v42
	v_mul_f32_e32 v42, v83, v59
	v_add_f32_e32 v1, v1, v91
	v_fma_f32 v41, v80, v56, -v41
	s_delay_alu instid0(VALU_DEP_4) | instskip(SKIP_1) | instid1(VALU_DEP_4)
	v_add_f32_e32 v2, v2, v40
	v_mul_f32_e32 v40, v85, v61
	v_add_f32_e32 v1, v1, v92
	v_fma_f32 v42, v82, v58, -v42
	s_delay_alu instid0(VALU_DEP_4) | instskip(NEXT) | instid1(VALU_DEP_3)
	v_dual_add_f32 v2, v2, v41 :: v_dual_mul_f32 v41, v87, v63
	v_add_f32_e32 v1, v1, v93
	v_fma_f32 v40, v84, v60, -v40
	s_delay_alu instid0(VALU_DEP_3) | instskip(NEXT) | instid1(VALU_DEP_4)
	v_add_f32_e32 v2, v2, v42
	v_fma_f32 v41, v86, v62, -v41
	s_delay_alu instid0(VALU_DEP_2) | instskip(NEXT) | instid1(VALU_DEP_1)
	v_dual_add_f32 v1, v1, v94 :: v_dual_add_f32 v2, v2, v40
	v_dual_add_f32 v1, v1, v95 :: v_dual_add_f32 v2, v2, v41
	s_delay_alu instid0(VALU_DEP_1) | instskip(NEXT) | instid1(VALU_DEP_1)
	v_add_f32_e32 v1, v1, v96
	v_add_f32_e32 v1, v1, v97
	s_delay_alu instid0(VALU_DEP_1) | instskip(SKIP_1) | instid1(VALU_DEP_1)
	v_add_f32_e32 v1, v1, v98
	s_wait_loadcnt 0x0
	v_dual_add_f32 v40, v1, v99 :: v_dual_sub_f32 v1, v88, v2
	s_delay_alu instid0(VALU_DEP_1)
	v_sub_f32_e32 v2, v89, v40
	scratch_store_b64 off, v[1:2], off offset:40
	v_cmpx_lt_u32_e32 4, v0
	s_cbranch_execz .LBB81_113
; %bb.112:
	scratch_load_b64 v[1:2], off, off offset:32
	v_mov_b32_e32 v40, 0
	s_delay_alu instid0(VALU_DEP_1)
	v_mov_b32_e32 v41, v40
	scratch_store_b64 off, v[40:41], off offset:32
	s_wait_loadcnt 0x0
	ds_store_b64 v3, v[1:2]
.LBB81_113:
	s_wait_alu 0xfffe
	s_or_b32 exec_lo, exec_lo, s0
	s_wait_storecnt_dscnt 0x0
	s_barrier_signal -1
	s_barrier_wait -1
	global_inv scope:SCOPE_SE
	s_clause 0x7
	scratch_load_b128 v[40:43], off, off offset:40
	scratch_load_b128 v[44:47], off, off offset:56
	;; [unrolled: 1-line block ×6, first 2 shown]
	scratch_load_b64 v[88:89], off, off offset:136
	scratch_load_b64 v[90:91], off, off offset:32
	v_mov_b32_e32 v1, 0
	ds_load_2addr_b64 v[64:67], v1 offset0:23 offset1:24
	ds_load_2addr_b64 v[68:71], v1 offset0:25 offset1:26
	;; [unrolled: 1-line block ×6, first 2 shown]
	ds_load_b64 v[92:93], v1 offset:280
	s_mov_b32 s0, exec_lo
	s_wait_loadcnt_dscnt 0x706
	v_mul_f32_e32 v2, v64, v41
	v_dual_mul_f32 v41, v65, v41 :: v_dual_mul_f32 v94, v66, v43
	s_wait_loadcnt_dscnt 0x302
	v_dual_mul_f32 v95, v68, v45 :: v_dual_mul_f32 v102, v82, v59
	v_mul_f32_e32 v43, v67, v43
	s_wait_loadcnt_dscnt 0x100
	v_dual_mul_f32 v105, v92, v89 :: v_dual_fmac_f32 v2, v65, v40
	v_fma_f32 v41, v64, v40, -v41
	v_mul_f32_e32 v40, v69, v45
	v_fmac_f32_e32 v94, v67, v42
	v_fma_f32 v42, v66, v42, -v43
	v_dual_add_f32 v2, 0, v2 :: v_dual_mul_f32 v43, v71, v47
	v_add_f32_e32 v41, 0, v41
	v_fmac_f32_e32 v95, v69, v44
	v_fma_f32 v40, v68, v44, -v40
	s_delay_alu instid0(VALU_DEP_4)
	v_add_f32_e32 v2, v2, v94
	v_fma_f32 v43, v70, v46, -v43
	v_add_f32_e32 v41, v41, v42
	v_mul_f32_e32 v42, v73, v49
	v_dual_mul_f32 v96, v70, v47 :: v_dual_mul_f32 v97, v72, v49
	v_add_f32_e32 v2, v2, v95
	s_delay_alu instid0(VALU_DEP_4) | instskip(NEXT) | instid1(VALU_DEP_4)
	v_dual_add_f32 v40, v41, v40 :: v_dual_mul_f32 v41, v75, v51
	v_fma_f32 v42, v72, v48, -v42
	v_dual_mul_f32 v100, v78, v55 :: v_dual_mul_f32 v101, v80, v57
	s_delay_alu instid0(VALU_DEP_3) | instskip(NEXT) | instid1(VALU_DEP_4)
	v_dual_add_f32 v40, v40, v43 :: v_dual_mul_f32 v43, v77, v53
	v_fma_f32 v41, v74, v50, -v41
	v_dual_mul_f32 v103, v84, v61 :: v_dual_mul_f32 v104, v86, v63
	s_delay_alu instid0(VALU_DEP_3) | instskip(SKIP_1) | instid1(VALU_DEP_3)
	v_dual_add_f32 v40, v40, v42 :: v_dual_fmac_f32 v101, v81, v56
	v_dual_fmac_f32 v96, v71, v46 :: v_dual_fmac_f32 v97, v73, v48
	v_dual_mul_f32 v42, v79, v55 :: v_dual_fmac_f32 v103, v85, v60
	v_fma_f32 v43, v76, v52, -v43
	s_delay_alu instid0(VALU_DEP_4) | instskip(SKIP_3) | instid1(VALU_DEP_4)
	v_dual_add_f32 v40, v40, v41 :: v_dual_fmac_f32 v105, v93, v88
	v_dual_mul_f32 v98, v74, v51 :: v_dual_mul_f32 v99, v76, v53
	v_dual_add_f32 v2, v2, v96 :: v_dual_mul_f32 v41, v81, v57
	v_fma_f32 v42, v78, v54, -v42
	v_add_f32_e32 v40, v40, v43
	s_delay_alu instid0(VALU_DEP_4) | instskip(NEXT) | instid1(VALU_DEP_4)
	v_dual_fmac_f32 v98, v75, v50 :: v_dual_fmac_f32 v99, v77, v52
	v_dual_add_f32 v2, v2, v97 :: v_dual_mul_f32 v43, v83, v59
	v_fma_f32 v41, v80, v56, -v41
	s_delay_alu instid0(VALU_DEP_4)
	v_add_f32_e32 v40, v40, v42
	v_fmac_f32_e32 v100, v79, v54
	v_mul_f32_e32 v42, v85, v61
	v_fma_f32 v43, v82, v58, -v43
	v_fmac_f32_e32 v102, v83, v58
	v_dual_add_f32 v40, v40, v41 :: v_dual_mul_f32 v41, v87, v63
	v_add_f32_e32 v2, v2, v98
	v_fma_f32 v42, v84, v60, -v42
	v_fmac_f32_e32 v104, v87, v62
	s_delay_alu instid0(VALU_DEP_4) | instskip(NEXT) | instid1(VALU_DEP_4)
	v_dual_add_f32 v40, v40, v43 :: v_dual_mul_f32 v43, v93, v89
	v_add_f32_e32 v2, v2, v99
	v_fma_f32 v41, v86, v62, -v41
	s_delay_alu instid0(VALU_DEP_3) | instskip(NEXT) | instid1(VALU_DEP_4)
	v_add_f32_e32 v40, v40, v42
	v_fma_f32 v42, v92, v88, -v43
	s_delay_alu instid0(VALU_DEP_4) | instskip(NEXT) | instid1(VALU_DEP_3)
	v_add_f32_e32 v2, v2, v100
	v_add_f32_e32 v40, v40, v41
	s_delay_alu instid0(VALU_DEP_2) | instskip(NEXT) | instid1(VALU_DEP_2)
	v_add_f32_e32 v2, v2, v101
	v_add_f32_e32 v40, v40, v42
	s_delay_alu instid0(VALU_DEP_2) | instskip(SKIP_1) | instid1(VALU_DEP_2)
	v_add_f32_e32 v2, v2, v102
	s_wait_loadcnt 0x0
	v_sub_f32_e32 v40, v90, v40
	s_delay_alu instid0(VALU_DEP_2) | instskip(NEXT) | instid1(VALU_DEP_1)
	v_add_f32_e32 v2, v2, v103
	v_add_f32_e32 v2, v2, v104
	s_delay_alu instid0(VALU_DEP_1) | instskip(NEXT) | instid1(VALU_DEP_1)
	v_add_f32_e32 v2, v2, v105
	v_sub_f32_e32 v41, v91, v2
	scratch_store_b64 off, v[40:41], off offset:32
	v_cmpx_lt_u32_e32 3, v0
	s_cbranch_execz .LBB81_115
; %bb.114:
	scratch_load_b64 v[40:41], off, off offset:24
	v_mov_b32_e32 v2, v1
	scratch_store_b64 off, v[1:2], off offset:24
	s_wait_loadcnt 0x0
	ds_store_b64 v3, v[40:41]
.LBB81_115:
	s_wait_alu 0xfffe
	s_or_b32 exec_lo, exec_lo, s0
	s_wait_storecnt_dscnt 0x0
	s_barrier_signal -1
	s_barrier_wait -1
	global_inv scope:SCOPE_SE
	s_clause 0x7
	scratch_load_b128 v[40:43], off, off offset:32
	scratch_load_b128 v[44:47], off, off offset:48
	;; [unrolled: 1-line block ×7, first 2 shown]
	scratch_load_b64 v[96:97], off, off offset:24
	ds_load_b128 v[68:71], v1 offset:176
	ds_load_b128 v[72:75], v1 offset:192
	;; [unrolled: 1-line block ×7, first 2 shown]
	s_mov_b32 s0, exec_lo
	s_wait_loadcnt_dscnt 0x706
	v_dual_mul_f32 v1, v68, v41 :: v_dual_mul_f32 v2, v70, v43
	v_mul_f32_e32 v41, v69, v41
	s_wait_loadcnt_dscnt 0x605
	v_dual_mul_f32 v43, v71, v43 :: v_dual_mul_f32 v98, v72, v45
	s_delay_alu instid0(VALU_DEP_3) | instskip(NEXT) | instid1(VALU_DEP_3)
	v_dual_mul_f32 v99, v74, v47 :: v_dual_fmac_f32 v2, v71, v42
	v_fma_f32 v41, v68, v40, -v41
	v_fmac_f32_e32 v1, v69, v40
	v_mul_f32_e32 v40, v73, v45
	v_fma_f32 v42, v70, v42, -v43
	v_mul_f32_e32 v43, v75, v47
	v_dual_add_f32 v41, 0, v41 :: v_dual_fmac_f32 v98, v73, v44
	s_delay_alu instid0(VALU_DEP_4) | instskip(SKIP_2) | instid1(VALU_DEP_3)
	v_fma_f32 v40, v72, v44, -v40
	s_wait_loadcnt_dscnt 0x504
	v_dual_mul_f32 v100, v76, v49 :: v_dual_mul_f32 v101, v78, v51
	v_add_f32_e32 v41, v41, v42
	v_fmac_f32_e32 v99, v75, v46
	v_fma_f32 v42, v74, v46, -v43
	s_wait_loadcnt_dscnt 0x403
	v_dual_mul_f32 v102, v80, v53 :: v_dual_mul_f32 v103, v82, v55
	v_dual_add_f32 v40, v41, v40 :: v_dual_mul_f32 v41, v79, v51
	v_fmac_f32_e32 v100, v77, v48
	s_wait_loadcnt_dscnt 0x302
	v_dual_mul_f32 v104, v84, v57 :: v_dual_mul_f32 v105, v86, v59
	s_delay_alu instid0(VALU_DEP_3) | instskip(SKIP_3) | instid1(VALU_DEP_4)
	v_dual_add_f32 v40, v40, v42 :: v_dual_add_f32 v1, 0, v1
	v_mul_f32_e32 v42, v81, v53
	v_fma_f32 v41, v78, v50, -v41
	v_dual_fmac_f32 v101, v79, v50 :: v_dual_fmac_f32 v102, v81, v52
	v_add_f32_e32 v1, v1, v2
	v_mul_f32_e32 v2, v77, v49
	v_fma_f32 v42, v80, v52, -v42
	v_dual_fmac_f32 v103, v83, v54 :: v_dual_fmac_f32 v104, v85, v56
	s_wait_loadcnt_dscnt 0x201
	v_dual_mul_f32 v106, v88, v61 :: v_dual_mul_f32 v107, v90, v63
	v_fma_f32 v2, v76, v48, -v2
	s_wait_loadcnt_dscnt 0x100
	v_dual_mul_f32 v108, v92, v65 :: v_dual_mul_f32 v109, v94, v67
	s_delay_alu instid0(VALU_DEP_3) | instskip(NEXT) | instid1(VALU_DEP_3)
	v_dual_fmac_f32 v105, v87, v58 :: v_dual_fmac_f32 v106, v89, v60
	v_add_f32_e32 v2, v40, v2
	v_mul_f32_e32 v40, v83, v55
	s_delay_alu instid0(VALU_DEP_4) | instskip(NEXT) | instid1(VALU_DEP_3)
	v_dual_fmac_f32 v108, v93, v64 :: v_dual_fmac_f32 v109, v95, v66
	v_dual_fmac_f32 v107, v91, v62 :: v_dual_add_f32 v2, v2, v41
	v_add_f32_e32 v1, v1, v98
	v_mul_f32_e32 v41, v85, v57
	v_fma_f32 v40, v82, v54, -v40
	s_delay_alu instid0(VALU_DEP_4) | instskip(SKIP_3) | instid1(VALU_DEP_4)
	v_add_f32_e32 v2, v2, v42
	v_mul_f32_e32 v42, v87, v59
	v_add_f32_e32 v1, v1, v99
	v_fma_f32 v41, v84, v56, -v41
	v_add_f32_e32 v2, v2, v40
	v_mul_f32_e32 v40, v89, v61
	s_delay_alu instid0(VALU_DEP_4) | instskip(SKIP_1) | instid1(VALU_DEP_4)
	v_add_f32_e32 v1, v1, v100
	v_fma_f32 v42, v86, v58, -v42
	v_dual_add_f32 v2, v2, v41 :: v_dual_mul_f32 v41, v91, v63
	s_delay_alu instid0(VALU_DEP_3) | instskip(SKIP_1) | instid1(VALU_DEP_3)
	v_add_f32_e32 v1, v1, v101
	v_fma_f32 v40, v88, v60, -v40
	v_add_f32_e32 v2, v2, v42
	s_delay_alu instid0(VALU_DEP_4) | instskip(NEXT) | instid1(VALU_DEP_4)
	v_fma_f32 v41, v90, v62, -v41
	v_add_f32_e32 v1, v1, v102
	v_mul_f32_e32 v42, v93, v65
	s_delay_alu instid0(VALU_DEP_4) | instskip(SKIP_1) | instid1(VALU_DEP_4)
	v_add_f32_e32 v2, v2, v40
	v_mul_f32_e32 v40, v95, v67
	v_add_f32_e32 v1, v1, v103
	s_delay_alu instid0(VALU_DEP_4) | instskip(NEXT) | instid1(VALU_DEP_4)
	v_fma_f32 v42, v92, v64, -v42
	v_add_f32_e32 v2, v2, v41
	s_delay_alu instid0(VALU_DEP_4) | instskip(NEXT) | instid1(VALU_DEP_2)
	v_fma_f32 v40, v94, v66, -v40
	v_dual_add_f32 v1, v1, v104 :: v_dual_add_f32 v2, v2, v42
	s_delay_alu instid0(VALU_DEP_1) | instskip(NEXT) | instid1(VALU_DEP_1)
	v_dual_add_f32 v1, v1, v105 :: v_dual_add_f32 v2, v2, v40
	v_add_f32_e32 v1, v1, v106
	s_delay_alu instid0(VALU_DEP_1) | instskip(NEXT) | instid1(VALU_DEP_1)
	v_add_f32_e32 v1, v1, v107
	v_add_f32_e32 v1, v1, v108
	s_wait_loadcnt 0x0
	s_delay_alu instid0(VALU_DEP_1) | instskip(NEXT) | instid1(VALU_DEP_1)
	v_dual_add_f32 v40, v1, v109 :: v_dual_sub_f32 v1, v96, v2
	v_sub_f32_e32 v2, v97, v40
	scratch_store_b64 off, v[1:2], off offset:24
	v_cmpx_lt_u32_e32 2, v0
	s_cbranch_execz .LBB81_117
; %bb.116:
	scratch_load_b64 v[1:2], off, off offset:16
	v_mov_b32_e32 v40, 0
	s_delay_alu instid0(VALU_DEP_1)
	v_mov_b32_e32 v41, v40
	scratch_store_b64 off, v[40:41], off offset:16
	s_wait_loadcnt 0x0
	ds_store_b64 v3, v[1:2]
.LBB81_117:
	s_wait_alu 0xfffe
	s_or_b32 exec_lo, exec_lo, s0
	s_wait_storecnt_dscnt 0x0
	s_barrier_signal -1
	s_barrier_wait -1
	global_inv scope:SCOPE_SE
	s_clause 0x8
	scratch_load_b128 v[40:43], off, off offset:24
	scratch_load_b128 v[44:47], off, off offset:40
	;; [unrolled: 1-line block ×7, first 2 shown]
	scratch_load_b64 v[96:97], off, off offset:136
	scratch_load_b64 v[98:99], off, off offset:16
	v_mov_b32_e32 v1, 0
	ds_load_2addr_b64 v[68:71], v1 offset0:21 offset1:22
	ds_load_2addr_b64 v[72:75], v1 offset0:23 offset1:24
	;; [unrolled: 1-line block ×7, first 2 shown]
	ds_load_b64 v[100:101], v1 offset:280
	s_mov_b32 s0, exec_lo
	s_wait_loadcnt_dscnt 0x807
	v_mul_f32_e32 v2, v68, v41
	v_dual_mul_f32 v41, v69, v41 :: v_dual_mul_f32 v102, v70, v43
	s_wait_loadcnt_dscnt 0x706
	v_mul_f32_e32 v103, v72, v45
	v_mul_f32_e32 v43, v71, v43
	s_wait_loadcnt_dscnt 0x302
	v_mul_f32_e32 v112, v90, v63
	v_fma_f32 v41, v68, v40, -v41
	s_wait_loadcnt_dscnt 0x100
	v_dual_mul_f32 v115, v100, v97 :: v_dual_fmac_f32 v2, v69, v40
	v_mul_f32_e32 v40, v73, v45
	s_delay_alu instid0(VALU_DEP_3) | instskip(SKIP_1) | instid1(VALU_DEP_4)
	v_dual_fmac_f32 v102, v71, v42 :: v_dual_add_f32 v41, 0, v41
	v_fma_f32 v42, v70, v42, -v43
	v_dual_add_f32 v2, 0, v2 :: v_dual_mul_f32 v43, v75, v47
	v_fmac_f32_e32 v103, v73, v44
	v_fma_f32 v40, v72, v44, -v40
	v_dual_mul_f32 v104, v74, v47 :: v_dual_mul_f32 v105, v76, v49
	s_delay_alu instid0(VALU_DEP_4)
	v_add_f32_e32 v2, v2, v102
	v_add_f32_e32 v41, v41, v42
	v_mul_f32_e32 v42, v77, v49
	v_fma_f32 v43, v74, v46, -v43
	v_dual_mul_f32 v108, v82, v55 :: v_dual_mul_f32 v109, v84, v57
	v_add_f32_e32 v2, v2, v103
	v_dual_add_f32 v40, v41, v40 :: v_dual_mul_f32 v41, v79, v51
	v_fma_f32 v42, v76, v48, -v42
	v_dual_mul_f32 v110, v86, v59 :: v_dual_mul_f32 v111, v88, v61
	s_delay_alu instid0(VALU_DEP_3) | instskip(NEXT) | instid1(VALU_DEP_4)
	v_dual_add_f32 v40, v40, v43 :: v_dual_mul_f32 v43, v81, v53
	v_fma_f32 v41, v78, v50, -v41
	v_dual_mul_f32 v113, v92, v65 :: v_dual_mul_f32 v114, v94, v67
	s_delay_alu instid0(VALU_DEP_3) | instskip(SKIP_3) | instid1(VALU_DEP_4)
	v_dual_add_f32 v40, v40, v42 :: v_dual_fmac_f32 v109, v85, v56
	v_dual_fmac_f32 v104, v75, v46 :: v_dual_fmac_f32 v105, v77, v48
	v_dual_mul_f32 v42, v83, v55 :: v_dual_fmac_f32 v111, v89, v60
	v_fma_f32 v43, v80, v52, -v43
	v_dual_add_f32 v40, v40, v41 :: v_dual_fmac_f32 v113, v93, v64
	s_delay_alu instid0(VALU_DEP_4) | instskip(NEXT) | instid1(VALU_DEP_4)
	v_dual_add_f32 v2, v2, v104 :: v_dual_mul_f32 v41, v85, v57
	v_fma_f32 v42, v82, v54, -v42
	s_delay_alu instid0(VALU_DEP_3) | instskip(SKIP_3) | instid1(VALU_DEP_4)
	v_dual_add_f32 v40, v40, v43 :: v_dual_fmac_f32 v115, v101, v96
	v_dual_mul_f32 v106, v78, v51 :: v_dual_mul_f32 v107, v80, v53
	v_mul_f32_e32 v43, v87, v59
	v_fma_f32 v41, v84, v56, -v41
	v_add_f32_e32 v40, v40, v42
	s_delay_alu instid0(VALU_DEP_4) | instskip(SKIP_4) | instid1(VALU_DEP_4)
	v_dual_fmac_f32 v106, v79, v50 :: v_dual_fmac_f32 v107, v81, v52
	v_add_f32_e32 v2, v2, v105
	v_mul_f32_e32 v42, v89, v61
	v_fma_f32 v43, v86, v58, -v43
	v_dual_add_f32 v40, v40, v41 :: v_dual_mul_f32 v41, v91, v63
	v_add_f32_e32 v2, v2, v106
	s_delay_alu instid0(VALU_DEP_4) | instskip(SKIP_1) | instid1(VALU_DEP_4)
	v_fma_f32 v42, v88, v60, -v42
	v_fmac_f32_e32 v108, v83, v54
	v_dual_add_f32 v40, v40, v43 :: v_dual_mul_f32 v43, v93, v65
	s_delay_alu instid0(VALU_DEP_4) | instskip(SKIP_2) | instid1(VALU_DEP_4)
	v_add_f32_e32 v2, v2, v107
	v_fma_f32 v41, v90, v62, -v41
	v_fmac_f32_e32 v110, v87, v58
	v_add_f32_e32 v40, v40, v42
	v_fmac_f32_e32 v112, v91, v62
	v_mul_f32_e32 v42, v95, v67
	v_fma_f32 v43, v92, v64, -v43
	v_fmac_f32_e32 v114, v95, v66
	v_add_f32_e32 v40, v40, v41
	v_dual_mul_f32 v41, v101, v97 :: v_dual_add_f32 v2, v2, v108
	v_fma_f32 v42, v94, v66, -v42
	s_delay_alu instid0(VALU_DEP_3) | instskip(NEXT) | instid1(VALU_DEP_3)
	v_add_f32_e32 v40, v40, v43
	v_fma_f32 v41, v100, v96, -v41
	s_delay_alu instid0(VALU_DEP_4) | instskip(NEXT) | instid1(VALU_DEP_3)
	v_add_f32_e32 v2, v2, v109
	v_add_f32_e32 v40, v40, v42
	s_delay_alu instid0(VALU_DEP_2) | instskip(NEXT) | instid1(VALU_DEP_2)
	v_add_f32_e32 v2, v2, v110
	v_add_f32_e32 v40, v40, v41
	s_delay_alu instid0(VALU_DEP_2) | instskip(SKIP_1) | instid1(VALU_DEP_2)
	v_add_f32_e32 v2, v2, v111
	s_wait_loadcnt 0x0
	v_sub_f32_e32 v40, v98, v40
	s_delay_alu instid0(VALU_DEP_2) | instskip(NEXT) | instid1(VALU_DEP_1)
	v_add_f32_e32 v2, v2, v112
	v_add_f32_e32 v2, v2, v113
	s_delay_alu instid0(VALU_DEP_1) | instskip(NEXT) | instid1(VALU_DEP_1)
	v_add_f32_e32 v2, v2, v114
	v_add_f32_e32 v2, v2, v115
	s_delay_alu instid0(VALU_DEP_1)
	v_sub_f32_e32 v41, v99, v2
	scratch_store_b64 off, v[40:41], off offset:16
	v_cmpx_lt_u32_e32 1, v0
	s_cbranch_execz .LBB81_119
; %bb.118:
	scratch_load_b64 v[40:41], off, off offset:8
	v_mov_b32_e32 v2, v1
	scratch_store_b64 off, v[1:2], off offset:8
	s_wait_loadcnt 0x0
	ds_store_b64 v3, v[40:41]
.LBB81_119:
	s_wait_alu 0xfffe
	s_or_b32 exec_lo, exec_lo, s0
	s_wait_storecnt_dscnt 0x0
	s_barrier_signal -1
	s_barrier_wait -1
	global_inv scope:SCOPE_SE
	s_clause 0x8
	scratch_load_b128 v[40:43], off, off offset:16
	scratch_load_b128 v[44:47], off, off offset:32
	;; [unrolled: 1-line block ×8, first 2 shown]
	scratch_load_b64 v[104:105], off, off offset:8
	ds_load_b128 v[72:75], v1 offset:160
	ds_load_b128 v[76:79], v1 offset:176
	;; [unrolled: 1-line block ×8, first 2 shown]
	s_mov_b32 s0, exec_lo
	s_wait_loadcnt_dscnt 0x807
	v_dual_mul_f32 v1, v72, v41 :: v_dual_mul_f32 v2, v74, v43
	v_mul_f32_e32 v41, v73, v41
	s_wait_loadcnt_dscnt 0x706
	v_dual_mul_f32 v43, v75, v43 :: v_dual_mul_f32 v106, v76, v45
	s_delay_alu instid0(VALU_DEP_3) | instskip(NEXT) | instid1(VALU_DEP_3)
	v_dual_mul_f32 v107, v78, v47 :: v_dual_fmac_f32 v2, v75, v42
	v_fma_f32 v41, v72, v40, -v41
	v_fmac_f32_e32 v1, v73, v40
	v_mul_f32_e32 v40, v77, v45
	v_fma_f32 v42, v74, v42, -v43
	v_mul_f32_e32 v43, v79, v47
	v_dual_add_f32 v41, 0, v41 :: v_dual_fmac_f32 v106, v77, v44
	s_delay_alu instid0(VALU_DEP_4) | instskip(SKIP_2) | instid1(VALU_DEP_3)
	v_fma_f32 v40, v76, v44, -v40
	s_wait_loadcnt_dscnt 0x605
	v_dual_mul_f32 v108, v80, v49 :: v_dual_mul_f32 v109, v82, v51
	v_add_f32_e32 v41, v41, v42
	v_fmac_f32_e32 v107, v79, v46
	v_fma_f32 v42, v78, v46, -v43
	s_wait_loadcnt_dscnt 0x504
	v_dual_mul_f32 v110, v84, v53 :: v_dual_mul_f32 v111, v86, v55
	v_dual_add_f32 v40, v41, v40 :: v_dual_mul_f32 v41, v83, v51
	v_fmac_f32_e32 v108, v81, v48
	s_wait_loadcnt_dscnt 0x403
	v_dual_mul_f32 v112, v88, v57 :: v_dual_mul_f32 v113, v90, v59
	s_delay_alu instid0(VALU_DEP_3) | instskip(SKIP_3) | instid1(VALU_DEP_4)
	v_dual_add_f32 v40, v40, v42 :: v_dual_add_f32 v1, 0, v1
	v_mul_f32_e32 v42, v85, v53
	v_fma_f32 v41, v82, v50, -v41
	v_dual_fmac_f32 v109, v83, v50 :: v_dual_fmac_f32 v110, v85, v52
	v_add_f32_e32 v1, v1, v2
	v_mul_f32_e32 v2, v81, v49
	v_fma_f32 v42, v84, v52, -v42
	v_dual_fmac_f32 v111, v87, v54 :: v_dual_fmac_f32 v112, v89, v56
	s_wait_loadcnt_dscnt 0x302
	v_dual_mul_f32 v114, v92, v61 :: v_dual_mul_f32 v115, v94, v63
	v_fma_f32 v2, v80, v48, -v2
	s_wait_loadcnt_dscnt 0x201
	v_dual_mul_f32 v116, v96, v65 :: v_dual_mul_f32 v117, v98, v67
	s_wait_loadcnt_dscnt 0x100
	v_dual_mul_f32 v118, v100, v69 :: v_dual_mul_f32 v119, v102, v71
	v_add_f32_e32 v2, v40, v2
	v_mul_f32_e32 v40, v87, v55
	v_dual_fmac_f32 v116, v97, v64 :: v_dual_fmac_f32 v117, v99, v66
	s_delay_alu instid0(VALU_DEP_4) | instskip(NEXT) | instid1(VALU_DEP_4)
	v_dual_fmac_f32 v118, v101, v68 :: v_dual_fmac_f32 v119, v103, v70
	v_dual_add_f32 v2, v2, v41 :: v_dual_add_f32 v1, v1, v106
	v_mul_f32_e32 v41, v89, v57
	v_fma_f32 v40, v86, v54, -v40
	v_fmac_f32_e32 v113, v91, v58
	s_delay_alu instid0(VALU_DEP_4)
	v_add_f32_e32 v2, v2, v42
	v_mul_f32_e32 v42, v91, v59
	v_add_f32_e32 v1, v1, v107
	v_fma_f32 v41, v88, v56, -v41
	v_fmac_f32_e32 v114, v93, v60
	v_add_f32_e32 v2, v2, v40
	v_mul_f32_e32 v40, v93, v61
	v_add_f32_e32 v1, v1, v108
	v_fma_f32 v42, v90, v58, -v42
	s_delay_alu instid0(VALU_DEP_4) | instskip(SKIP_1) | instid1(VALU_DEP_4)
	v_dual_fmac_f32 v115, v95, v62 :: v_dual_add_f32 v2, v2, v41
	v_mul_f32_e32 v41, v95, v63
	v_add_f32_e32 v1, v1, v109
	v_fma_f32 v40, v92, v60, -v40
	s_delay_alu instid0(VALU_DEP_4) | instskip(NEXT) | instid1(VALU_DEP_4)
	v_add_f32_e32 v2, v2, v42
	v_fma_f32 v41, v94, v62, -v41
	s_delay_alu instid0(VALU_DEP_4) | instskip(SKIP_1) | instid1(VALU_DEP_4)
	v_add_f32_e32 v1, v1, v110
	v_mul_f32_e32 v42, v97, v65
	v_add_f32_e32 v2, v2, v40
	v_mul_f32_e32 v40, v99, v67
	s_delay_alu instid0(VALU_DEP_4) | instskip(NEXT) | instid1(VALU_DEP_4)
	v_add_f32_e32 v1, v1, v111
	v_fma_f32 v42, v96, v64, -v42
	s_delay_alu instid0(VALU_DEP_4) | instskip(SKIP_1) | instid1(VALU_DEP_4)
	v_add_f32_e32 v2, v2, v41
	v_mul_f32_e32 v41, v101, v69
	v_add_f32_e32 v1, v1, v112
	v_fma_f32 v40, v98, v66, -v40
	s_delay_alu instid0(VALU_DEP_4) | instskip(NEXT) | instid1(VALU_DEP_3)
	v_add_f32_e32 v2, v2, v42
	v_dual_mul_f32 v42, v103, v71 :: v_dual_add_f32 v1, v1, v113
	v_fma_f32 v41, v100, v68, -v41
	s_delay_alu instid0(VALU_DEP_3) | instskip(NEXT) | instid1(VALU_DEP_3)
	v_add_f32_e32 v2, v2, v40
	v_fma_f32 v40, v102, v70, -v42
	s_delay_alu instid0(VALU_DEP_2) | instskip(NEXT) | instid1(VALU_DEP_1)
	v_dual_add_f32 v1, v1, v114 :: v_dual_add_f32 v2, v2, v41
	v_dual_add_f32 v1, v1, v115 :: v_dual_add_f32 v2, v2, v40
	s_delay_alu instid0(VALU_DEP_1) | instskip(NEXT) | instid1(VALU_DEP_1)
	v_add_f32_e32 v1, v1, v116
	v_add_f32_e32 v1, v1, v117
	s_delay_alu instid0(VALU_DEP_1) | instskip(SKIP_1) | instid1(VALU_DEP_1)
	v_add_f32_e32 v1, v1, v118
	s_wait_loadcnt 0x0
	v_dual_add_f32 v40, v1, v119 :: v_dual_sub_f32 v1, v104, v2
	s_delay_alu instid0(VALU_DEP_1)
	v_sub_f32_e32 v2, v105, v40
	scratch_store_b64 off, v[1:2], off offset:8
	v_cmpx_ne_u32_e32 0, v0
	s_cbranch_execz .LBB81_121
; %bb.120:
	scratch_load_b64 v[0:1], off, off
	v_mov_b32_e32 v40, 0
	s_delay_alu instid0(VALU_DEP_1)
	v_mov_b32_e32 v41, v40
	scratch_store_b64 off, v[40:41], off
	s_wait_loadcnt 0x0
	ds_store_b64 v3, v[0:1]
.LBB81_121:
	s_wait_alu 0xfffe
	s_or_b32 exec_lo, exec_lo, s0
	s_wait_storecnt_dscnt 0x0
	s_barrier_signal -1
	s_barrier_wait -1
	global_inv scope:SCOPE_SE
	s_clause 0x9
	scratch_load_b128 v[41:44], off, off offset:8
	scratch_load_b128 v[45:48], off, off offset:24
	scratch_load_b128 v[49:52], off, off offset:40
	scratch_load_b128 v[53:56], off, off offset:56
	scratch_load_b128 v[57:60], off, off offset:72
	scratch_load_b128 v[61:64], off, off offset:88
	scratch_load_b128 v[65:68], off, off offset:104
	scratch_load_b128 v[0:3], off, off offset:120
	scratch_load_b64 v[101:102], off, off offset:136
	scratch_load_b64 v[103:104], off, off
	v_mov_b32_e32 v40, 0
	ds_load_2addr_b64 v[69:72], v40 offset0:19 offset1:20
	ds_load_2addr_b64 v[73:76], v40 offset0:21 offset1:22
	;; [unrolled: 1-line block ×8, first 2 shown]
	ds_load_b64 v[105:106], v40 offset:280
	s_and_b32 vcc_lo, exec_lo, s12
	s_wait_loadcnt_dscnt 0x908
	v_dual_mul_f32 v107, v69, v42 :: v_dual_mul_f32 v108, v71, v44
	s_wait_loadcnt_dscnt 0x807
	v_dual_mul_f32 v109, v73, v46 :: v_dual_mul_f32 v44, v72, v44
	;; [unrolled: 2-line block ×3, first 2 shown]
	v_dual_fmac_f32 v107, v70, v41 :: v_dual_fmac_f32 v108, v72, v43
	s_delay_alu instid0(VALU_DEP_3) | instskip(SKIP_1) | instid1(VALU_DEP_4)
	v_fmac_f32_e32 v109, v74, v45
	v_fma_f32 v43, v71, v43, -v44
	v_dual_fmac_f32 v110, v76, v47 :: v_dual_fmac_f32 v111, v78, v49
	s_delay_alu instid0(VALU_DEP_4)
	v_add_f32_e32 v44, 0, v107
	v_mul_f32_e32 v42, v70, v42
	s_wait_loadcnt_dscnt 0x605
	v_dual_mul_f32 v112, v79, v52 :: v_dual_mul_f32 v113, v81, v54
	s_wait_loadcnt_dscnt 0x504
	v_dual_mul_f32 v114, v83, v56 :: v_dual_mul_f32 v115, v85, v58
	v_fma_f32 v42, v69, v41, -v42
	v_dual_mul_f32 v41, v74, v46 :: v_dual_mul_f32 v46, v76, v48
	v_dual_fmac_f32 v112, v80, v51 :: v_dual_fmac_f32 v113, v82, v53
	s_delay_alu instid0(VALU_DEP_3) | instskip(NEXT) | instid1(VALU_DEP_3)
	v_add_f32_e32 v42, 0, v42
	v_fma_f32 v41, v73, v45, -v41
	s_delay_alu instid0(VALU_DEP_4) | instskip(SKIP_1) | instid1(VALU_DEP_4)
	v_fma_f32 v45, v75, v47, -v46
	v_dual_fmac_f32 v114, v84, v55 :: v_dual_fmac_f32 v115, v86, v57
	v_add_f32_e32 v42, v42, v43
	s_wait_loadcnt_dscnt 0x403
	v_dual_mul_f32 v116, v87, v60 :: v_dual_mul_f32 v117, v89, v62
	s_wait_loadcnt_dscnt 0x302
	v_dual_mul_f32 v118, v91, v64 :: v_dual_mul_f32 v119, v93, v66
	v_add_f32_e32 v41, v42, v41
	v_add_f32_e32 v43, v44, v108
	v_dual_fmac_f32 v116, v88, v59 :: v_dual_fmac_f32 v117, v90, v61
	s_wait_loadcnt_dscnt 0x201
	v_dual_mul_f32 v120, v95, v68 :: v_dual_mul_f32 v121, v97, v1
	s_delay_alu instid0(VALU_DEP_3) | instskip(SKIP_2) | instid1(VALU_DEP_4)
	v_dual_add_f32 v42, v43, v109 :: v_dual_mul_f32 v43, v80, v52
	v_add_f32_e32 v41, v41, v45
	v_mul_f32_e32 v45, v82, v54
	v_dual_mul_f32 v1, v98, v1 :: v_dual_fmac_f32 v120, v96, v67
	s_delay_alu instid0(VALU_DEP_4) | instskip(SKIP_1) | instid1(VALU_DEP_4)
	v_fma_f32 v43, v79, v51, -v43
	v_mul_f32_e32 v44, v78, v50
	v_fma_f32 v45, v81, v53, -v45
	s_wait_loadcnt_dscnt 0x100
	v_dual_mul_f32 v122, v99, v3 :: v_dual_mul_f32 v123, v105, v102
	v_fmac_f32_e32 v118, v92, v63
	v_fma_f32 v44, v77, v49, -v44
	v_add_f32_e32 v42, v42, v110
	v_fmac_f32_e32 v119, v94, v65
	v_fmac_f32_e32 v121, v98, v0
	v_fma_f32 v0, v97, v0, -v1
	v_add_f32_e32 v41, v41, v44
	v_mul_f32_e32 v44, v84, v56
	v_dual_fmac_f32 v122, v100, v2 :: v_dual_fmac_f32 v123, v106, v101
	s_delay_alu instid0(VALU_DEP_3) | instskip(SKIP_3) | instid1(VALU_DEP_4)
	v_add_f32_e32 v41, v41, v43
	v_add_f32_e32 v42, v42, v111
	v_mul_f32_e32 v43, v86, v58
	v_fma_f32 v44, v83, v55, -v44
	v_add_f32_e32 v41, v41, v45
	v_mul_f32_e32 v45, v88, v60
	s_delay_alu instid0(VALU_DEP_4) | instskip(NEXT) | instid1(VALU_DEP_3)
	v_fma_f32 v43, v85, v57, -v43
	v_add_f32_e32 v41, v41, v44
	v_add_f32_e32 v42, v42, v112
	v_mul_f32_e32 v44, v90, v62
	v_fma_f32 v45, v87, v59, -v45
	s_delay_alu instid0(VALU_DEP_3) | instskip(SKIP_1) | instid1(VALU_DEP_4)
	v_dual_add_f32 v41, v41, v43 :: v_dual_add_f32 v42, v42, v113
	v_mul_f32_e32 v43, v92, v64
	v_fma_f32 v44, v89, v61, -v44
	s_delay_alu instid0(VALU_DEP_3) | instskip(NEXT) | instid1(VALU_DEP_3)
	v_dual_add_f32 v41, v41, v45 :: v_dual_add_f32 v42, v42, v114
	v_fma_f32 v43, v91, v63, -v43
	v_mul_f32_e32 v45, v94, v66
	s_delay_alu instid0(VALU_DEP_3) | instskip(SKIP_1) | instid1(VALU_DEP_3)
	v_dual_add_f32 v41, v41, v44 :: v_dual_add_f32 v42, v42, v115
	v_mul_f32_e32 v44, v96, v68
	v_fma_f32 v45, v93, v65, -v45
	s_delay_alu instid0(VALU_DEP_3) | instskip(NEXT) | instid1(VALU_DEP_3)
	v_dual_add_f32 v41, v41, v43 :: v_dual_add_f32 v42, v42, v116
	v_fma_f32 v43, v95, v67, -v44
	s_delay_alu instid0(VALU_DEP_2) | instskip(NEXT) | instid1(VALU_DEP_1)
	v_dual_mul_f32 v44, v100, v3 :: v_dual_add_f32 v41, v41, v45
	v_dual_add_f32 v42, v42, v117 :: v_dual_add_f32 v1, v41, v43
	s_delay_alu instid0(VALU_DEP_1) | instskip(NEXT) | instid1(VALU_DEP_3)
	v_add_f32_e32 v42, v42, v118
	v_fma_f32 v43, v99, v2, -v44
	s_delay_alu instid0(VALU_DEP_2) | instskip(NEXT) | instid1(VALU_DEP_1)
	v_add_f32_e32 v42, v42, v119
	v_add_f32_e32 v41, v42, v120
	v_mul_f32_e32 v42, v106, v102
	v_add_f32_e32 v0, v1, v0
	s_delay_alu instid0(VALU_DEP_3) | instskip(NEXT) | instid1(VALU_DEP_3)
	v_add_f32_e32 v1, v41, v121
	v_fma_f32 v41, v105, v101, -v42
	s_delay_alu instid0(VALU_DEP_2) | instskip(NEXT) | instid1(VALU_DEP_1)
	v_dual_add_f32 v0, v0, v43 :: v_dual_add_f32 v1, v1, v122
	v_dual_add_f32 v0, v0, v41 :: v_dual_add_f32 v1, v1, v123
	s_wait_loadcnt 0x0
	s_delay_alu instid0(VALU_DEP_1)
	v_dual_sub_f32 v0, v103, v0 :: v_dual_sub_f32 v1, v104, v1
	scratch_store_b64 off, v[0:1], off
	s_wait_alu 0xfffe
	s_cbranch_vccz .LBB81_156
; %bb.122:
	global_load_b32 v0, v40, s[2:3] offset:64
	s_wait_loadcnt 0x0
	v_cmp_ne_u32_e32 vcc_lo, 17, v0
	s_cbranch_vccz .LBB81_124
; %bb.123:
	v_lshlrev_b32_e32 v0, 3, v0
	s_delay_alu instid0(VALU_DEP_1)
	v_mov_b32_e32 v40, v0
	scratch_load_b64 v[0:1], v40, off offset:-8
	s_wait_loadcnt 0x0
	scratch_store_b64 off, v[0:1], off offset:128
	scratch_store_b64 v40, v[2:3], off offset:-8
.LBB81_124:
	v_mov_b32_e32 v0, 0
	global_load_b32 v1, v0, s[2:3] offset:60
	s_wait_loadcnt 0x0
	v_cmp_eq_u32_e32 vcc_lo, 16, v1
	s_cbranch_vccnz .LBB81_126
; %bb.125:
	v_lshlrev_b32_e32 v1, 3, v1
	s_delay_alu instid0(VALU_DEP_1)
	v_mov_b32_e32 v3, v1
	scratch_load_b64 v[1:2], v3, off offset:-8
	scratch_load_b64 v[40:41], off, off offset:120
	s_wait_loadcnt 0x1
	scratch_store_b64 off, v[1:2], off offset:120
	s_wait_loadcnt 0x0
	scratch_store_b64 v3, v[40:41], off offset:-8
.LBB81_126:
	global_load_b32 v0, v0, s[2:3] offset:56
	s_wait_loadcnt 0x0
	v_cmp_eq_u32_e32 vcc_lo, 15, v0
	s_cbranch_vccnz .LBB81_128
; %bb.127:
	v_lshlrev_b32_e32 v0, 3, v0
	s_delay_alu instid0(VALU_DEP_1)
	v_mov_b32_e32 v40, v0
	scratch_load_b64 v[0:1], v40, off offset:-8
	scratch_load_b64 v[2:3], off, off offset:112
	s_wait_loadcnt 0x1
	scratch_store_b64 off, v[0:1], off offset:112
	s_wait_loadcnt 0x0
	scratch_store_b64 v40, v[2:3], off offset:-8
.LBB81_128:
	v_mov_b32_e32 v0, 0
	global_load_b32 v1, v0, s[2:3] offset:52
	s_wait_loadcnt 0x0
	v_cmp_eq_u32_e32 vcc_lo, 14, v1
	s_cbranch_vccnz .LBB81_130
; %bb.129:
	v_lshlrev_b32_e32 v1, 3, v1
	s_delay_alu instid0(VALU_DEP_1)
	v_mov_b32_e32 v3, v1
	scratch_load_b64 v[1:2], v3, off offset:-8
	scratch_load_b64 v[40:41], off, off offset:104
	s_wait_loadcnt 0x1
	scratch_store_b64 off, v[1:2], off offset:104
	s_wait_loadcnt 0x0
	scratch_store_b64 v3, v[40:41], off offset:-8
.LBB81_130:
	global_load_b32 v0, v0, s[2:3] offset:48
	s_wait_loadcnt 0x0
	v_cmp_eq_u32_e32 vcc_lo, 13, v0
	s_cbranch_vccnz .LBB81_132
; %bb.131:
	v_lshlrev_b32_e32 v0, 3, v0
	s_delay_alu instid0(VALU_DEP_1)
	v_mov_b32_e32 v40, v0
	scratch_load_b64 v[0:1], v40, off offset:-8
	scratch_load_b64 v[2:3], off, off offset:96
	s_wait_loadcnt 0x1
	scratch_store_b64 off, v[0:1], off offset:96
	s_wait_loadcnt 0x0
	scratch_store_b64 v40, v[2:3], off offset:-8
.LBB81_132:
	;; [unrolled: 31-line block ×7, first 2 shown]
	v_mov_b32_e32 v0, 0
	global_load_b32 v1, v0, s[2:3] offset:4
	s_wait_loadcnt 0x0
	v_cmp_eq_u32_e32 vcc_lo, 2, v1
	s_cbranch_vccnz .LBB81_154
; %bb.153:
	v_lshlrev_b32_e32 v1, 3, v1
	s_delay_alu instid0(VALU_DEP_1)
	v_mov_b32_e32 v3, v1
	scratch_load_b64 v[1:2], v3, off offset:-8
	scratch_load_b64 v[40:41], off, off offset:8
	s_wait_loadcnt 0x1
	scratch_store_b64 off, v[1:2], off offset:8
	s_wait_loadcnt 0x0
	scratch_store_b64 v3, v[40:41], off offset:-8
.LBB81_154:
	global_load_b32 v0, v0, s[2:3]
	s_wait_loadcnt 0x0
	v_cmp_eq_u32_e32 vcc_lo, 1, v0
	s_cbranch_vccnz .LBB81_156
; %bb.155:
	v_lshlrev_b32_e32 v0, 3, v0
	s_delay_alu instid0(VALU_DEP_1)
	v_mov_b32_e32 v40, v0
	scratch_load_b64 v[0:1], v40, off offset:-8
	scratch_load_b64 v[2:3], off, off
	s_wait_loadcnt 0x1
	scratch_store_b64 off, v[0:1], off
	s_wait_loadcnt 0x0
	scratch_store_b64 v40, v[2:3], off offset:-8
.LBB81_156:
	scratch_load_b64 v[0:1], off, off
	s_wait_loadcnt 0x0
	flat_store_b64 v[4:5], v[0:1]
	scratch_load_b64 v[0:1], off, off offset:8
	s_wait_loadcnt 0x0
	flat_store_b64 v[6:7], v[0:1]
	scratch_load_b64 v[0:1], off, off offset:16
	;; [unrolled: 3-line block ×17, first 2 shown]
	s_wait_loadcnt 0x0
	flat_store_b64 v[38:39], v[0:1]
	s_nop 0
	s_sendmsg sendmsg(MSG_DEALLOC_VGPRS)
	s_endpgm
	.section	.rodata,"a",@progbits
	.p2align	6, 0x0
	.amdhsa_kernel _ZN9rocsolver6v33100L18getri_kernel_smallILi18E19rocblas_complex_numIfEPKPS3_EEvT1_iilPiilS8_bb
		.amdhsa_group_segment_fixed_size 292
		.amdhsa_private_segment_fixed_size 160
		.amdhsa_kernarg_size 60
		.amdhsa_user_sgpr_count 2
		.amdhsa_user_sgpr_dispatch_ptr 0
		.amdhsa_user_sgpr_queue_ptr 0
		.amdhsa_user_sgpr_kernarg_segment_ptr 1
		.amdhsa_user_sgpr_dispatch_id 0
		.amdhsa_user_sgpr_private_segment_size 0
		.amdhsa_wavefront_size32 1
		.amdhsa_uses_dynamic_stack 0
		.amdhsa_enable_private_segment 1
		.amdhsa_system_sgpr_workgroup_id_x 1
		.amdhsa_system_sgpr_workgroup_id_y 0
		.amdhsa_system_sgpr_workgroup_id_z 0
		.amdhsa_system_sgpr_workgroup_info 0
		.amdhsa_system_vgpr_workitem_id 0
		.amdhsa_next_free_vgpr 124
		.amdhsa_next_free_sgpr 19
		.amdhsa_reserve_vcc 1
		.amdhsa_float_round_mode_32 0
		.amdhsa_float_round_mode_16_64 0
		.amdhsa_float_denorm_mode_32 3
		.amdhsa_float_denorm_mode_16_64 3
		.amdhsa_fp16_overflow 0
		.amdhsa_workgroup_processor_mode 1
		.amdhsa_memory_ordered 1
		.amdhsa_forward_progress 1
		.amdhsa_inst_pref_size 142
		.amdhsa_round_robin_scheduling 0
		.amdhsa_exception_fp_ieee_invalid_op 0
		.amdhsa_exception_fp_denorm_src 0
		.amdhsa_exception_fp_ieee_div_zero 0
		.amdhsa_exception_fp_ieee_overflow 0
		.amdhsa_exception_fp_ieee_underflow 0
		.amdhsa_exception_fp_ieee_inexact 0
		.amdhsa_exception_int_div_zero 0
	.end_amdhsa_kernel
	.section	.text._ZN9rocsolver6v33100L18getri_kernel_smallILi18E19rocblas_complex_numIfEPKPS3_EEvT1_iilPiilS8_bb,"axG",@progbits,_ZN9rocsolver6v33100L18getri_kernel_smallILi18E19rocblas_complex_numIfEPKPS3_EEvT1_iilPiilS8_bb,comdat
.Lfunc_end81:
	.size	_ZN9rocsolver6v33100L18getri_kernel_smallILi18E19rocblas_complex_numIfEPKPS3_EEvT1_iilPiilS8_bb, .Lfunc_end81-_ZN9rocsolver6v33100L18getri_kernel_smallILi18E19rocblas_complex_numIfEPKPS3_EEvT1_iilPiilS8_bb
                                        ; -- End function
	.set _ZN9rocsolver6v33100L18getri_kernel_smallILi18E19rocblas_complex_numIfEPKPS3_EEvT1_iilPiilS8_bb.num_vgpr, 124
	.set _ZN9rocsolver6v33100L18getri_kernel_smallILi18E19rocblas_complex_numIfEPKPS3_EEvT1_iilPiilS8_bb.num_agpr, 0
	.set _ZN9rocsolver6v33100L18getri_kernel_smallILi18E19rocblas_complex_numIfEPKPS3_EEvT1_iilPiilS8_bb.numbered_sgpr, 19
	.set _ZN9rocsolver6v33100L18getri_kernel_smallILi18E19rocblas_complex_numIfEPKPS3_EEvT1_iilPiilS8_bb.num_named_barrier, 0
	.set _ZN9rocsolver6v33100L18getri_kernel_smallILi18E19rocblas_complex_numIfEPKPS3_EEvT1_iilPiilS8_bb.private_seg_size, 160
	.set _ZN9rocsolver6v33100L18getri_kernel_smallILi18E19rocblas_complex_numIfEPKPS3_EEvT1_iilPiilS8_bb.uses_vcc, 1
	.set _ZN9rocsolver6v33100L18getri_kernel_smallILi18E19rocblas_complex_numIfEPKPS3_EEvT1_iilPiilS8_bb.uses_flat_scratch, 1
	.set _ZN9rocsolver6v33100L18getri_kernel_smallILi18E19rocblas_complex_numIfEPKPS3_EEvT1_iilPiilS8_bb.has_dyn_sized_stack, 0
	.set _ZN9rocsolver6v33100L18getri_kernel_smallILi18E19rocblas_complex_numIfEPKPS3_EEvT1_iilPiilS8_bb.has_recursion, 0
	.set _ZN9rocsolver6v33100L18getri_kernel_smallILi18E19rocblas_complex_numIfEPKPS3_EEvT1_iilPiilS8_bb.has_indirect_call, 0
	.section	.AMDGPU.csdata,"",@progbits
; Kernel info:
; codeLenInByte = 18156
; TotalNumSgprs: 21
; NumVgprs: 124
; ScratchSize: 160
; MemoryBound: 0
; FloatMode: 240
; IeeeMode: 1
; LDSByteSize: 292 bytes/workgroup (compile time only)
; SGPRBlocks: 0
; VGPRBlocks: 15
; NumSGPRsForWavesPerEU: 21
; NumVGPRsForWavesPerEU: 124
; Occupancy: 10
; WaveLimiterHint : 1
; COMPUTE_PGM_RSRC2:SCRATCH_EN: 1
; COMPUTE_PGM_RSRC2:USER_SGPR: 2
; COMPUTE_PGM_RSRC2:TRAP_HANDLER: 0
; COMPUTE_PGM_RSRC2:TGID_X_EN: 1
; COMPUTE_PGM_RSRC2:TGID_Y_EN: 0
; COMPUTE_PGM_RSRC2:TGID_Z_EN: 0
; COMPUTE_PGM_RSRC2:TIDIG_COMP_CNT: 0
	.section	.text._ZN9rocsolver6v33100L18getri_kernel_smallILi19E19rocblas_complex_numIfEPKPS3_EEvT1_iilPiilS8_bb,"axG",@progbits,_ZN9rocsolver6v33100L18getri_kernel_smallILi19E19rocblas_complex_numIfEPKPS3_EEvT1_iilPiilS8_bb,comdat
	.globl	_ZN9rocsolver6v33100L18getri_kernel_smallILi19E19rocblas_complex_numIfEPKPS3_EEvT1_iilPiilS8_bb ; -- Begin function _ZN9rocsolver6v33100L18getri_kernel_smallILi19E19rocblas_complex_numIfEPKPS3_EEvT1_iilPiilS8_bb
	.p2align	8
	.type	_ZN9rocsolver6v33100L18getri_kernel_smallILi19E19rocblas_complex_numIfEPKPS3_EEvT1_iilPiilS8_bb,@function
_ZN9rocsolver6v33100L18getri_kernel_smallILi19E19rocblas_complex_numIfEPKPS3_EEvT1_iilPiilS8_bb: ; @_ZN9rocsolver6v33100L18getri_kernel_smallILi19E19rocblas_complex_numIfEPKPS3_EEvT1_iilPiilS8_bb
; %bb.0:
	s_mov_b32 s2, exec_lo
	v_cmpx_gt_u32_e32 19, v0
	s_cbranch_execz .LBB82_90
; %bb.1:
	s_clause 0x1
	s_load_b32 s13, s[0:1], 0x38
	s_load_b64 s[2:3], s[0:1], 0x0
	s_mov_b32 s8, ttmp9
	s_load_b128 s[4:7], s[0:1], 0x28
	s_wait_kmcnt 0x0
	s_bitcmp1_b32 s13, 8
	s_cselect_b32 s12, -1, 0
	s_ashr_i32 s9, ttmp9, 31
	s_delay_alu instid0(SALU_CYCLE_1) | instskip(NEXT) | instid1(SALU_CYCLE_1)
	s_lshl_b64 s[10:11], s[8:9], 3
	s_add_nc_u64 s[2:3], s[2:3], s[10:11]
	s_load_b64 s[10:11], s[2:3], 0x0
	s_bfe_u32 s2, s13, 0x10008
	s_delay_alu instid0(SALU_CYCLE_1)
	s_cmp_eq_u32 s2, 0
                                        ; implicit-def: $sgpr2_sgpr3
	s_cbranch_scc1 .LBB82_3
; %bb.2:
	s_load_b96 s[16:18], s[0:1], 0x18
	s_mul_u64 s[2:3], s[4:5], s[8:9]
	s_delay_alu instid0(SALU_CYCLE_1)
	s_lshl_b64 s[2:3], s[2:3], 2
	s_wait_kmcnt 0x0
	s_ashr_i32 s5, s18, 31
	s_mov_b32 s4, s18
	s_add_nc_u64 s[2:3], s[16:17], s[2:3]
	s_lshl_b64 s[4:5], s[4:5], 2
	s_delay_alu instid0(SALU_CYCLE_1)
	s_add_nc_u64 s[2:3], s[2:3], s[4:5]
.LBB82_3:
	s_clause 0x1
	s_load_b64 s[4:5], s[0:1], 0x8
	s_load_b32 s13, s[0:1], 0x38
	v_lshlrev_b32_e32 v45, 3, v0
	s_wait_kmcnt 0x0
	s_ashr_i32 s1, s4, 31
	s_mov_b32 s0, s4
	v_add3_u32 v9, s5, s5, v0
	s_lshl_b64 s[0:1], s[0:1], 3
	s_delay_alu instid0(SALU_CYCLE_1)
	s_add_nc_u64 s[0:1], s[10:11], s[0:1]
	s_ashr_i32 s11, s5, 31
	v_add_co_u32 v1, s4, s0, v45
	s_wait_alu 0xf1ff
	v_add_co_ci_u32_e64 v2, null, s1, 0, s4
	s_mov_b32 s10, s5
	v_ashrrev_i32_e32 v10, 31, v9
	s_lshl_b64 s[10:11], s[10:11], 3
	flat_load_b64 v[5:6], v[1:2]
	v_add_co_u32 v3, vcc_lo, v1, s10
	s_delay_alu instid0(VALU_DEP_1) | instskip(SKIP_2) | instid1(VALU_DEP_1)
	v_add_co_ci_u32_e64 v4, null, s11, v2, vcc_lo
	v_add_nc_u32_e32 v12, s5, v9
	s_bitcmp0_b32 s13, 0
	v_ashrrev_i32_e32 v13, 31, v12
	s_wait_loadcnt_dscnt 0x0
	scratch_store_b64 off, v[5:6], off
	flat_load_b64 v[7:8], v[3:4]
	v_lshlrev_b64_e32 v[5:6], 3, v[9:10]
	s_delay_alu instid0(VALU_DEP_1) | instskip(SKIP_1) | instid1(VALU_DEP_2)
	v_add_co_u32 v5, vcc_lo, s0, v5
	s_wait_alu 0xfffd
	v_add_co_ci_u32_e64 v6, null, s1, v6, vcc_lo
	s_wait_loadcnt_dscnt 0x0
	scratch_store_b64 off, v[7:8], off offset:8
	flat_load_b64 v[10:11], v[5:6]
	v_lshlrev_b64_e32 v[7:8], 3, v[12:13]
	s_delay_alu instid0(VALU_DEP_1) | instskip(SKIP_1) | instid1(VALU_DEP_2)
	v_add_co_u32 v7, vcc_lo, s0, v7
	s_wait_alu 0xfffd
	v_add_co_ci_u32_e64 v8, null, s1, v8, vcc_lo
	s_wait_loadcnt_dscnt 0x0
	scratch_store_b64 off, v[10:11], off offset:16
	flat_load_b64 v[13:14], v[7:8]
	v_add_nc_u32_e32 v11, s5, v12
	s_delay_alu instid0(VALU_DEP_1) | instskip(SKIP_1) | instid1(VALU_DEP_2)
	v_ashrrev_i32_e32 v12, 31, v11
	v_add_nc_u32_e32 v15, s5, v11
	v_lshlrev_b64_e32 v[9:10], 3, v[11:12]
	s_delay_alu instid0(VALU_DEP_2) | instskip(SKIP_1) | instid1(VALU_DEP_3)
	v_ashrrev_i32_e32 v16, 31, v15
	v_add_nc_u32_e32 v18, s5, v15
	v_add_co_u32 v9, vcc_lo, s0, v9
	s_wait_alu 0xfffd
	s_delay_alu instid0(VALU_DEP_4) | instskip(SKIP_2) | instid1(VALU_DEP_2)
	v_add_co_ci_u32_e64 v10, null, s1, v10, vcc_lo
	v_lshlrev_b64_e32 v[11:12], 3, v[15:16]
	v_ashrrev_i32_e32 v19, 31, v18
	v_add_co_u32 v11, vcc_lo, s0, v11
	s_wait_alu 0xfffd
	s_delay_alu instid0(VALU_DEP_3)
	v_add_co_ci_u32_e64 v12, null, s1, v12, vcc_lo
	s_wait_loadcnt_dscnt 0x0
	scratch_store_b64 off, v[13:14], off offset:24
	flat_load_b64 v[13:14], v[9:10]
	s_wait_loadcnt_dscnt 0x0
	scratch_store_b64 off, v[13:14], off offset:32
	flat_load_b64 v[16:17], v[11:12]
	v_lshlrev_b64_e32 v[13:14], 3, v[18:19]
	s_delay_alu instid0(VALU_DEP_1) | instskip(SKIP_1) | instid1(VALU_DEP_2)
	v_add_co_u32 v13, vcc_lo, s0, v13
	s_wait_alu 0xfffd
	v_add_co_ci_u32_e64 v14, null, s1, v14, vcc_lo
	s_wait_loadcnt_dscnt 0x0
	scratch_store_b64 off, v[16:17], off offset:40
	flat_load_b64 v[19:20], v[13:14]
	v_add_nc_u32_e32 v17, s5, v18
	s_delay_alu instid0(VALU_DEP_1) | instskip(SKIP_1) | instid1(VALU_DEP_2)
	v_ashrrev_i32_e32 v18, 31, v17
	v_add_nc_u32_e32 v21, s5, v17
	v_lshlrev_b64_e32 v[15:16], 3, v[17:18]
	s_delay_alu instid0(VALU_DEP_2) | instskip(SKIP_1) | instid1(VALU_DEP_3)
	v_ashrrev_i32_e32 v22, 31, v21
	v_add_nc_u32_e32 v24, s5, v21
	v_add_co_u32 v15, vcc_lo, s0, v15
	s_wait_alu 0xfffd
	s_delay_alu instid0(VALU_DEP_4) | instskip(SKIP_2) | instid1(VALU_DEP_2)
	v_add_co_ci_u32_e64 v16, null, s1, v16, vcc_lo
	v_lshlrev_b64_e32 v[17:18], 3, v[21:22]
	v_ashrrev_i32_e32 v25, 31, v24
	v_add_co_u32 v17, vcc_lo, s0, v17
	s_wait_alu 0xfffd
	s_delay_alu instid0(VALU_DEP_3)
	v_add_co_ci_u32_e64 v18, null, s1, v18, vcc_lo
	s_wait_loadcnt_dscnt 0x0
	scratch_store_b64 off, v[19:20], off offset:48
	flat_load_b64 v[19:20], v[15:16]
	s_wait_loadcnt_dscnt 0x0
	scratch_store_b64 off, v[19:20], off offset:56
	flat_load_b64 v[22:23], v[17:18]
	v_lshlrev_b64_e32 v[19:20], 3, v[24:25]
	s_delay_alu instid0(VALU_DEP_1) | instskip(SKIP_1) | instid1(VALU_DEP_2)
	v_add_co_u32 v19, vcc_lo, s0, v19
	s_wait_alu 0xfffd
	v_add_co_ci_u32_e64 v20, null, s1, v20, vcc_lo
	s_wait_loadcnt_dscnt 0x0
	scratch_store_b64 off, v[22:23], off offset:64
	flat_load_b64 v[25:26], v[19:20]
	v_add_nc_u32_e32 v23, s5, v24
	s_delay_alu instid0(VALU_DEP_1) | instskip(SKIP_1) | instid1(VALU_DEP_2)
	v_ashrrev_i32_e32 v24, 31, v23
	v_add_nc_u32_e32 v27, s5, v23
	v_lshlrev_b64_e32 v[21:22], 3, v[23:24]
	s_delay_alu instid0(VALU_DEP_2) | instskip(SKIP_1) | instid1(VALU_DEP_3)
	v_ashrrev_i32_e32 v28, 31, v27
	v_add_nc_u32_e32 v30, s5, v27
	v_add_co_u32 v21, vcc_lo, s0, v21
	s_wait_alu 0xfffd
	s_delay_alu instid0(VALU_DEP_4) | instskip(SKIP_2) | instid1(VALU_DEP_2)
	v_add_co_ci_u32_e64 v22, null, s1, v22, vcc_lo
	v_lshlrev_b64_e32 v[23:24], 3, v[27:28]
	v_ashrrev_i32_e32 v31, 31, v30
	v_add_co_u32 v23, vcc_lo, s0, v23
	s_wait_alu 0xfffd
	s_delay_alu instid0(VALU_DEP_3)
	v_add_co_ci_u32_e64 v24, null, s1, v24, vcc_lo
	s_wait_loadcnt_dscnt 0x0
	scratch_store_b64 off, v[25:26], off offset:72
	flat_load_b64 v[25:26], v[21:22]
	s_wait_loadcnt_dscnt 0x0
	scratch_store_b64 off, v[25:26], off offset:80
	flat_load_b64 v[28:29], v[23:24]
	v_lshlrev_b64_e32 v[25:26], 3, v[30:31]
	s_delay_alu instid0(VALU_DEP_1) | instskip(SKIP_1) | instid1(VALU_DEP_2)
	v_add_co_u32 v25, vcc_lo, s0, v25
	s_wait_alu 0xfffd
	v_add_co_ci_u32_e64 v26, null, s1, v26, vcc_lo
	s_wait_loadcnt_dscnt 0x0
	scratch_store_b64 off, v[28:29], off offset:88
	flat_load_b64 v[31:32], v[25:26]
	v_add_nc_u32_e32 v29, s5, v30
	s_delay_alu instid0(VALU_DEP_1) | instskip(SKIP_1) | instid1(VALU_DEP_2)
	v_ashrrev_i32_e32 v30, 31, v29
	v_add_nc_u32_e32 v33, s5, v29
	v_lshlrev_b64_e32 v[27:28], 3, v[29:30]
	s_delay_alu instid0(VALU_DEP_2) | instskip(SKIP_1) | instid1(VALU_DEP_3)
	v_ashrrev_i32_e32 v34, 31, v33
	v_add_nc_u32_e32 v36, s5, v33
	v_add_co_u32 v27, vcc_lo, s0, v27
	s_wait_alu 0xfffd
	s_delay_alu instid0(VALU_DEP_4) | instskip(SKIP_2) | instid1(VALU_DEP_2)
	v_add_co_ci_u32_e64 v28, null, s1, v28, vcc_lo
	v_lshlrev_b64_e32 v[29:30], 3, v[33:34]
	v_ashrrev_i32_e32 v37, 31, v36
	v_add_co_u32 v29, vcc_lo, s0, v29
	s_wait_alu 0xfffd
	s_delay_alu instid0(VALU_DEP_3)
	v_add_co_ci_u32_e64 v30, null, s1, v30, vcc_lo
	s_wait_loadcnt_dscnt 0x0
	scratch_store_b64 off, v[31:32], off offset:96
	flat_load_b64 v[31:32], v[27:28]
	s_wait_loadcnt_dscnt 0x0
	scratch_store_b64 off, v[31:32], off offset:104
	flat_load_b64 v[34:35], v[29:30]
	v_lshlrev_b64_e32 v[31:32], 3, v[36:37]
	s_delay_alu instid0(VALU_DEP_1) | instskip(SKIP_1) | instid1(VALU_DEP_2)
	v_add_co_u32 v31, vcc_lo, s0, v31
	s_wait_alu 0xfffd
	v_add_co_ci_u32_e64 v32, null, s1, v32, vcc_lo
	s_wait_loadcnt_dscnt 0x0
	scratch_store_b64 off, v[34:35], off offset:112
	flat_load_b64 v[37:38], v[31:32]
	v_add_nc_u32_e32 v35, s5, v36
	s_delay_alu instid0(VALU_DEP_1) | instskip(SKIP_1) | instid1(VALU_DEP_2)
	v_ashrrev_i32_e32 v36, 31, v35
	v_add_nc_u32_e32 v39, s5, v35
	v_lshlrev_b64_e32 v[33:34], 3, v[35:36]
	s_delay_alu instid0(VALU_DEP_2) | instskip(NEXT) | instid1(VALU_DEP_1)
	v_ashrrev_i32_e32 v40, 31, v39
	v_lshlrev_b64_e32 v[35:36], 3, v[39:40]
	s_delay_alu instid0(VALU_DEP_3) | instskip(SKIP_1) | instid1(VALU_DEP_4)
	v_add_co_u32 v33, vcc_lo, s0, v33
	s_wait_alu 0xfffd
	v_add_co_ci_u32_e64 v34, null, s1, v34, vcc_lo
	s_delay_alu instid0(VALU_DEP_3)
	v_add_co_u32 v35, vcc_lo, s0, v35
	s_wait_alu 0xfffd
	v_add_co_ci_u32_e64 v36, null, s1, v36, vcc_lo
	s_wait_loadcnt_dscnt 0x0
	scratch_store_b64 off, v[37:38], off offset:120
	flat_load_b64 v[37:38], v[33:34]
	s_wait_loadcnt_dscnt 0x0
	scratch_store_b64 off, v[37:38], off offset:128
	flat_load_b64 v[40:41], v[35:36]
	v_add_nc_u32_e32 v37, s5, v39
	s_delay_alu instid0(VALU_DEP_1) | instskip(NEXT) | instid1(VALU_DEP_1)
	v_ashrrev_i32_e32 v38, 31, v37
	v_lshlrev_b64_e32 v[37:38], 3, v[37:38]
	s_delay_alu instid0(VALU_DEP_1) | instskip(SKIP_1) | instid1(VALU_DEP_2)
	v_add_co_u32 v37, vcc_lo, s0, v37
	s_wait_alu 0xfffd
	v_add_co_ci_u32_e64 v38, null, s1, v38, vcc_lo
	s_mov_b32 s1, -1
	s_wait_loadcnt_dscnt 0x0
	scratch_store_b64 off, v[40:41], off offset:136
	flat_load_b64 v[39:40], v[37:38]
	s_wait_loadcnt_dscnt 0x0
	scratch_store_b64 off, v[39:40], off offset:144
	s_cbranch_scc1 .LBB82_88
; %bb.4:
	v_cmp_eq_u32_e64 s0, 0, v0
	s_and_saveexec_b32 s1, s0
; %bb.5:
	v_mov_b32_e32 v39, 0
	ds_store_b32 v39, v39 offset:152
; %bb.6:
	s_wait_alu 0xfffe
	s_or_b32 exec_lo, exec_lo, s1
	s_wait_storecnt_dscnt 0x0
	s_barrier_signal -1
	s_barrier_wait -1
	global_inv scope:SCOPE_SE
	scratch_load_b64 v[39:40], v45, off
	s_wait_loadcnt 0x0
	v_cmp_eq_f32_e32 vcc_lo, 0, v39
	v_cmp_eq_f32_e64 s1, 0, v40
	s_and_b32 s1, vcc_lo, s1
	s_wait_alu 0xfffe
	s_and_saveexec_b32 s4, s1
	s_cbranch_execz .LBB82_10
; %bb.7:
	v_mov_b32_e32 v39, 0
	s_mov_b32 s5, 0
	ds_load_b32 v40, v39 offset:152
	s_wait_dscnt 0x0
	v_readfirstlane_b32 s1, v40
	v_add_nc_u32_e32 v40, 1, v0
	s_cmp_eq_u32 s1, 0
	s_delay_alu instid0(VALU_DEP_1)
	v_cmp_gt_i32_e32 vcc_lo, s1, v40
	s_cselect_b32 s10, -1, 0
	s_wait_alu 0xfffe
	s_or_b32 s10, s10, vcc_lo
	s_wait_alu 0xfffe
	s_and_b32 exec_lo, exec_lo, s10
	s_cbranch_execz .LBB82_10
; %bb.8:
	v_mov_b32_e32 v41, s1
.LBB82_9:                               ; =>This Inner Loop Header: Depth=1
	ds_cmpstore_rtn_b32 v41, v39, v40, v41 offset:152
	s_wait_dscnt 0x0
	v_cmp_ne_u32_e32 vcc_lo, 0, v41
	v_cmp_le_i32_e64 s1, v41, v40
	s_and_b32 s1, vcc_lo, s1
	s_wait_alu 0xfffe
	s_and_b32 s1, exec_lo, s1
	s_wait_alu 0xfffe
	s_or_b32 s5, s1, s5
	s_wait_alu 0xfffe
	s_and_not1_b32 exec_lo, exec_lo, s5
	s_cbranch_execnz .LBB82_9
.LBB82_10:
	s_wait_alu 0xfffe
	s_or_b32 exec_lo, exec_lo, s4
	v_mov_b32_e32 v39, 0
	s_barrier_signal -1
	s_barrier_wait -1
	global_inv scope:SCOPE_SE
	ds_load_b32 v40, v39 offset:152
	s_and_saveexec_b32 s1, s0
	s_cbranch_execz .LBB82_12
; %bb.11:
	s_lshl_b64 s[4:5], s[8:9], 2
	s_wait_alu 0xfffe
	s_add_nc_u64 s[4:5], s[6:7], s[4:5]
	s_wait_dscnt 0x0
	global_store_b32 v39, v40, s[4:5]
.LBB82_12:
	s_wait_alu 0xfffe
	s_or_b32 exec_lo, exec_lo, s1
	s_wait_dscnt 0x0
	v_cmp_ne_u32_e32 vcc_lo, 0, v40
	s_mov_b32 s1, 0
	s_cbranch_vccnz .LBB82_88
; %bb.13:
	v_mov_b32_e32 v46, v45
                                        ; implicit-def: $vgpr41
                                        ; implicit-def: $vgpr43
	scratch_load_b64 v[39:40], v46, off
	s_wait_loadcnt 0x0
	v_cmp_ngt_f32_e64 s1, |v39|, |v40|
	s_wait_alu 0xfffe
	s_and_saveexec_b32 s4, s1
	s_wait_alu 0xfffe
	s_xor_b32 s1, exec_lo, s4
	s_cbranch_execz .LBB82_15
; %bb.14:
	v_div_scale_f32 v41, null, v40, v40, v39
	v_div_scale_f32 v44, vcc_lo, v39, v40, v39
	s_delay_alu instid0(VALU_DEP_2) | instskip(NEXT) | instid1(TRANS32_DEP_1)
	v_rcp_f32_e32 v42, v41
	v_fma_f32 v43, -v41, v42, 1.0
	s_delay_alu instid0(VALU_DEP_1) | instskip(NEXT) | instid1(VALU_DEP_1)
	v_fmac_f32_e32 v42, v43, v42
	v_mul_f32_e32 v43, v44, v42
	s_delay_alu instid0(VALU_DEP_1) | instskip(NEXT) | instid1(VALU_DEP_1)
	v_fma_f32 v47, -v41, v43, v44
	v_fmac_f32_e32 v43, v47, v42
	s_delay_alu instid0(VALU_DEP_1) | instskip(SKIP_1) | instid1(VALU_DEP_1)
	v_fma_f32 v41, -v41, v43, v44
	s_wait_alu 0xfffd
	v_div_fmas_f32 v41, v41, v42, v43
	s_delay_alu instid0(VALU_DEP_1) | instskip(NEXT) | instid1(VALU_DEP_1)
	v_div_fixup_f32 v41, v41, v40, v39
	v_fmac_f32_e32 v40, v39, v41
	s_delay_alu instid0(VALU_DEP_1) | instskip(NEXT) | instid1(VALU_DEP_1)
	v_div_scale_f32 v39, null, v40, v40, 1.0
	v_rcp_f32_e32 v42, v39
	s_delay_alu instid0(TRANS32_DEP_1) | instskip(NEXT) | instid1(VALU_DEP_1)
	v_fma_f32 v43, -v39, v42, 1.0
	v_fmac_f32_e32 v42, v43, v42
	v_div_scale_f32 v43, vcc_lo, 1.0, v40, 1.0
	s_delay_alu instid0(VALU_DEP_1) | instskip(NEXT) | instid1(VALU_DEP_1)
	v_mul_f32_e32 v44, v43, v42
	v_fma_f32 v47, -v39, v44, v43
	s_delay_alu instid0(VALU_DEP_1) | instskip(NEXT) | instid1(VALU_DEP_1)
	v_fmac_f32_e32 v44, v47, v42
	v_fma_f32 v39, -v39, v44, v43
	s_wait_alu 0xfffd
	s_delay_alu instid0(VALU_DEP_1) | instskip(NEXT) | instid1(VALU_DEP_1)
	v_div_fmas_f32 v39, v39, v42, v44
	v_div_fixup_f32 v39, v39, v40, 1.0
	s_delay_alu instid0(VALU_DEP_1) | instskip(SKIP_1) | instid1(VALU_DEP_2)
	v_mul_f32_e32 v41, v41, v39
	v_xor_b32_e32 v42, 0x80000000, v39
                                        ; implicit-def: $vgpr39_vgpr40
	v_xor_b32_e32 v43, 0x80000000, v41
.LBB82_15:
	s_wait_alu 0xfffe
	s_and_not1_saveexec_b32 s1, s1
	s_cbranch_execz .LBB82_17
; %bb.16:
	v_div_scale_f32 v41, null, v39, v39, v40
	v_div_scale_f32 v44, vcc_lo, v40, v39, v40
	s_delay_alu instid0(VALU_DEP_2) | instskip(NEXT) | instid1(TRANS32_DEP_1)
	v_rcp_f32_e32 v42, v41
	v_fma_f32 v43, -v41, v42, 1.0
	s_delay_alu instid0(VALU_DEP_1) | instskip(NEXT) | instid1(VALU_DEP_1)
	v_fmac_f32_e32 v42, v43, v42
	v_mul_f32_e32 v43, v44, v42
	s_delay_alu instid0(VALU_DEP_1) | instskip(NEXT) | instid1(VALU_DEP_1)
	v_fma_f32 v47, -v41, v43, v44
	v_fmac_f32_e32 v43, v47, v42
	s_delay_alu instid0(VALU_DEP_1) | instskip(SKIP_1) | instid1(VALU_DEP_1)
	v_fma_f32 v41, -v41, v43, v44
	s_wait_alu 0xfffd
	v_div_fmas_f32 v41, v41, v42, v43
	s_delay_alu instid0(VALU_DEP_1) | instskip(NEXT) | instid1(VALU_DEP_1)
	v_div_fixup_f32 v42, v41, v39, v40
	v_fmac_f32_e32 v39, v40, v42
	s_delay_alu instid0(VALU_DEP_1) | instskip(SKIP_1) | instid1(VALU_DEP_2)
	v_div_scale_f32 v40, null, v39, v39, 1.0
	v_div_scale_f32 v44, vcc_lo, 1.0, v39, 1.0
	v_rcp_f32_e32 v41, v40
	s_delay_alu instid0(TRANS32_DEP_1) | instskip(NEXT) | instid1(VALU_DEP_1)
	v_fma_f32 v43, -v40, v41, 1.0
	v_fmac_f32_e32 v41, v43, v41
	s_delay_alu instid0(VALU_DEP_1) | instskip(NEXT) | instid1(VALU_DEP_1)
	v_mul_f32_e32 v43, v44, v41
	v_fma_f32 v47, -v40, v43, v44
	s_delay_alu instid0(VALU_DEP_1) | instskip(NEXT) | instid1(VALU_DEP_1)
	v_fmac_f32_e32 v43, v47, v41
	v_fma_f32 v40, -v40, v43, v44
	s_wait_alu 0xfffd
	s_delay_alu instid0(VALU_DEP_1) | instskip(NEXT) | instid1(VALU_DEP_1)
	v_div_fmas_f32 v40, v40, v41, v43
	v_div_fixup_f32 v41, v40, v39, 1.0
	s_delay_alu instid0(VALU_DEP_1)
	v_xor_b32_e32 v43, 0x80000000, v41
	v_mul_f32_e64 v42, v42, -v41
.LBB82_17:
	s_wait_alu 0xfffe
	s_or_b32 exec_lo, exec_lo, s1
	scratch_store_b64 v46, v[41:42], off
	scratch_load_b64 v[40:41], off, off offset:8
	v_xor_b32_e32 v44, 0x80000000, v42
	v_add_nc_u32_e32 v39, 0xa0, v45
	s_wait_loadcnt 0x0
	ds_store_2addr_b64 v45, v[43:44], v[40:41] offset1:20
	s_wait_storecnt_dscnt 0x0
	s_barrier_signal -1
	s_barrier_wait -1
	global_inv scope:SCOPE_SE
	s_and_saveexec_b32 s1, s0
	s_cbranch_execz .LBB82_19
; %bb.18:
	scratch_load_b64 v[40:41], v46, off
	ds_load_b64 v[42:43], v39
	v_mov_b32_e32 v44, 0
	ds_load_b64 v[47:48], v44 offset:8
	s_wait_loadcnt_dscnt 0x1
	v_mul_f32_e32 v44, v42, v41
	v_mul_f32_e32 v41, v43, v41
	s_delay_alu instid0(VALU_DEP_2) | instskip(NEXT) | instid1(VALU_DEP_2)
	v_fmac_f32_e32 v44, v43, v40
	v_fma_f32 v40, v42, v40, -v41
	s_delay_alu instid0(VALU_DEP_2) | instskip(NEXT) | instid1(VALU_DEP_2)
	v_add_f32_e32 v42, 0, v44
	v_add_f32_e32 v40, 0, v40
	s_wait_dscnt 0x0
	s_delay_alu instid0(VALU_DEP_2) | instskip(NEXT) | instid1(VALU_DEP_2)
	v_mul_f32_e32 v43, v42, v48
	v_mul_f32_e32 v41, v40, v48
	s_delay_alu instid0(VALU_DEP_2) | instskip(NEXT) | instid1(VALU_DEP_2)
	v_fma_f32 v40, v40, v47, -v43
	v_fmac_f32_e32 v41, v42, v47
	scratch_store_b64 off, v[40:41], off offset:8
.LBB82_19:
	s_wait_alu 0xfffe
	s_or_b32 exec_lo, exec_lo, s1
	s_wait_loadcnt 0x0
	s_wait_storecnt 0x0
	s_barrier_signal -1
	s_barrier_wait -1
	global_inv scope:SCOPE_SE
	scratch_load_b64 v[40:41], off, off offset:16
	s_mov_b32 s1, exec_lo
	s_wait_loadcnt 0x0
	ds_store_b64 v39, v[40:41]
	s_wait_dscnt 0x0
	s_barrier_signal -1
	s_barrier_wait -1
	global_inv scope:SCOPE_SE
	v_cmpx_gt_u32_e32 2, v0
	s_cbranch_execz .LBB82_23
; %bb.20:
	scratch_load_b64 v[40:41], v46, off
	ds_load_b64 v[42:43], v39
	s_wait_loadcnt_dscnt 0x0
	v_mul_f32_e32 v44, v43, v41
	v_mul_f32_e32 v47, v42, v41
	s_delay_alu instid0(VALU_DEP_2) | instskip(NEXT) | instid1(VALU_DEP_2)
	v_fma_f32 v41, v42, v40, -v44
	v_fmac_f32_e32 v47, v43, v40
	s_delay_alu instid0(VALU_DEP_1)
	v_dual_add_f32 v41, 0, v41 :: v_dual_add_f32 v40, 0, v47
	s_and_saveexec_b32 s4, s0
	s_cbranch_execz .LBB82_22
; %bb.21:
	scratch_load_b64 v[42:43], off, off offset:8
	v_mov_b32_e32 v44, 0
	ds_load_b64 v[47:48], v44 offset:168
	s_wait_loadcnt_dscnt 0x0
	v_mul_f32_e32 v44, v47, v43
	v_mul_f32_e32 v43, v48, v43
	s_delay_alu instid0(VALU_DEP_2) | instskip(NEXT) | instid1(VALU_DEP_2)
	v_fmac_f32_e32 v44, v48, v42
	v_fma_f32 v42, v47, v42, -v43
	s_delay_alu instid0(VALU_DEP_1)
	v_dual_add_f32 v40, v40, v44 :: v_dual_add_f32 v41, v41, v42
.LBB82_22:
	s_wait_alu 0xfffe
	s_or_b32 exec_lo, exec_lo, s4
	v_mov_b32_e32 v42, 0
	ds_load_b64 v[42:43], v42 offset:16
	s_wait_dscnt 0x0
	v_mul_f32_e32 v47, v40, v43
	v_mul_f32_e32 v44, v41, v43
	s_delay_alu instid0(VALU_DEP_2) | instskip(NEXT) | instid1(VALU_DEP_2)
	v_fma_f32 v43, v41, v42, -v47
	v_fmac_f32_e32 v44, v40, v42
	scratch_store_b64 off, v[43:44], off offset:16
.LBB82_23:
	s_wait_alu 0xfffe
	s_or_b32 exec_lo, exec_lo, s1
	s_wait_loadcnt 0x0
	s_wait_storecnt 0x0
	s_barrier_signal -1
	s_barrier_wait -1
	global_inv scope:SCOPE_SE
	scratch_load_b64 v[41:42], off, off offset:24
	v_add_nc_u32_e32 v40, -1, v0
	s_mov_b32 s0, exec_lo
	s_wait_loadcnt 0x0
	ds_store_b64 v39, v[41:42]
	s_wait_dscnt 0x0
	s_barrier_signal -1
	s_barrier_wait -1
	global_inv scope:SCOPE_SE
	v_cmpx_gt_u32_e32 3, v0
	s_cbranch_execz .LBB82_27
; %bb.24:
	v_dual_mov_b32 v41, 0 :: v_dual_add_nc_u32 v42, -1, v0
	v_dual_mov_b32 v44, v45 :: v_dual_add_nc_u32 v43, 0xa0, v45
	v_mov_b32_e32 v47, 0
	s_mov_b32 s1, 0
.LBB82_25:                              ; =>This Inner Loop Header: Depth=1
	scratch_load_b64 v[48:49], v44, off
	ds_load_b64 v[50:51], v43
	v_add_nc_u32_e32 v42, 1, v42
	v_add_nc_u32_e32 v43, 8, v43
	s_delay_alu instid0(VALU_DEP_2)
	v_cmp_lt_u32_e32 vcc_lo, 1, v42
	s_wait_alu 0xfffe
	s_or_b32 s1, vcc_lo, s1
	s_wait_loadcnt_dscnt 0x0
	v_mul_f32_e32 v52, v51, v49
	v_mul_f32_e32 v49, v50, v49
	s_delay_alu instid0(VALU_DEP_2) | instskip(NEXT) | instid1(VALU_DEP_2)
	v_fma_f32 v50, v50, v48, -v52
	v_fmac_f32_e32 v49, v51, v48
	s_delay_alu instid0(VALU_DEP_2) | instskip(NEXT) | instid1(VALU_DEP_2)
	v_dual_add_f32 v47, v47, v50 :: v_dual_add_nc_u32 v44, 8, v44
	v_add_f32_e32 v41, v41, v49
	s_wait_alu 0xfffe
	s_and_not1_b32 exec_lo, exec_lo, s1
	s_cbranch_execnz .LBB82_25
; %bb.26:
	s_or_b32 exec_lo, exec_lo, s1
	v_mov_b32_e32 v42, 0
	ds_load_b64 v[42:43], v42 offset:24
	s_wait_dscnt 0x0
	v_mul_f32_e32 v48, v41, v43
	v_mul_f32_e32 v44, v47, v43
	s_delay_alu instid0(VALU_DEP_2) | instskip(NEXT) | instid1(VALU_DEP_2)
	v_fma_f32 v43, v47, v42, -v48
	v_fmac_f32_e32 v44, v41, v42
	scratch_store_b64 off, v[43:44], off offset:24
.LBB82_27:
	s_wait_alu 0xfffe
	s_or_b32 exec_lo, exec_lo, s0
	s_wait_loadcnt 0x0
	s_wait_storecnt 0x0
	s_barrier_signal -1
	s_barrier_wait -1
	global_inv scope:SCOPE_SE
	scratch_load_b64 v[41:42], off, off offset:32
	s_mov_b32 s0, exec_lo
	s_wait_loadcnt 0x0
	ds_store_b64 v39, v[41:42]
	s_wait_dscnt 0x0
	s_barrier_signal -1
	s_barrier_wait -1
	global_inv scope:SCOPE_SE
	v_cmpx_gt_u32_e32 4, v0
	s_cbranch_execz .LBB82_31
; %bb.28:
	v_dual_mov_b32 v41, 0 :: v_dual_add_nc_u32 v42, -1, v0
	v_dual_mov_b32 v44, v45 :: v_dual_add_nc_u32 v43, 0xa0, v45
	v_mov_b32_e32 v47, 0
	s_mov_b32 s1, 0
.LBB82_29:                              ; =>This Inner Loop Header: Depth=1
	scratch_load_b64 v[48:49], v44, off
	ds_load_b64 v[50:51], v43
	v_add_nc_u32_e32 v42, 1, v42
	v_add_nc_u32_e32 v43, 8, v43
	s_delay_alu instid0(VALU_DEP_2)
	v_cmp_lt_u32_e32 vcc_lo, 2, v42
	s_wait_alu 0xfffe
	s_or_b32 s1, vcc_lo, s1
	s_wait_loadcnt_dscnt 0x0
	v_mul_f32_e32 v52, v51, v49
	v_mul_f32_e32 v49, v50, v49
	s_delay_alu instid0(VALU_DEP_2) | instskip(NEXT) | instid1(VALU_DEP_2)
	v_fma_f32 v50, v50, v48, -v52
	v_fmac_f32_e32 v49, v51, v48
	s_delay_alu instid0(VALU_DEP_2) | instskip(NEXT) | instid1(VALU_DEP_2)
	v_dual_add_f32 v47, v47, v50 :: v_dual_add_nc_u32 v44, 8, v44
	v_add_f32_e32 v41, v41, v49
	s_wait_alu 0xfffe
	s_and_not1_b32 exec_lo, exec_lo, s1
	s_cbranch_execnz .LBB82_29
; %bb.30:
	s_or_b32 exec_lo, exec_lo, s1
	v_mov_b32_e32 v42, 0
	ds_load_b64 v[42:43], v42 offset:32
	s_wait_dscnt 0x0
	v_mul_f32_e32 v48, v41, v43
	v_mul_f32_e32 v44, v47, v43
	s_delay_alu instid0(VALU_DEP_2) | instskip(NEXT) | instid1(VALU_DEP_2)
	v_fma_f32 v43, v47, v42, -v48
	v_fmac_f32_e32 v44, v41, v42
	scratch_store_b64 off, v[43:44], off offset:32
.LBB82_31:
	s_wait_alu 0xfffe
	s_or_b32 exec_lo, exec_lo, s0
	s_wait_loadcnt 0x0
	s_wait_storecnt 0x0
	s_barrier_signal -1
	s_barrier_wait -1
	global_inv scope:SCOPE_SE
	scratch_load_b64 v[41:42], off, off offset:40
	;; [unrolled: 55-line block ×14, first 2 shown]
	s_mov_b32 s0, exec_lo
	s_wait_loadcnt 0x0
	ds_store_b64 v39, v[41:42]
	s_wait_dscnt 0x0
	s_barrier_signal -1
	s_barrier_wait -1
	global_inv scope:SCOPE_SE
	v_cmpx_gt_u32_e32 17, v0
	s_cbranch_execz .LBB82_83
; %bb.80:
	v_dual_mov_b32 v41, 0 :: v_dual_add_nc_u32 v42, -1, v0
	v_dual_mov_b32 v44, v45 :: v_dual_add_nc_u32 v43, 0xa0, v45
	v_mov_b32_e32 v45, 0
	s_mov_b32 s1, 0
.LBB82_81:                              ; =>This Inner Loop Header: Depth=1
	scratch_load_b64 v[47:48], v44, off
	ds_load_b64 v[49:50], v43
	v_add_nc_u32_e32 v44, 8, v44
	v_add_nc_u32_e32 v42, 1, v42
	;; [unrolled: 1-line block ×3, first 2 shown]
	s_delay_alu instid0(VALU_DEP_2)
	v_cmp_lt_u32_e32 vcc_lo, 15, v42
	s_wait_alu 0xfffe
	s_or_b32 s1, vcc_lo, s1
	s_wait_loadcnt_dscnt 0x0
	v_mul_f32_e32 v51, v50, v48
	v_mul_f32_e32 v48, v49, v48
	s_delay_alu instid0(VALU_DEP_2) | instskip(NEXT) | instid1(VALU_DEP_1)
	v_fma_f32 v49, v49, v47, -v51
	v_dual_fmac_f32 v48, v50, v47 :: v_dual_add_f32 v45, v45, v49
	s_delay_alu instid0(VALU_DEP_1)
	v_add_f32_e32 v41, v41, v48
	s_wait_alu 0xfffe
	s_and_not1_b32 exec_lo, exec_lo, s1
	s_cbranch_execnz .LBB82_81
; %bb.82:
	s_or_b32 exec_lo, exec_lo, s1
	v_mov_b32_e32 v42, 0
	ds_load_b64 v[42:43], v42 offset:136
	s_wait_dscnt 0x0
	v_mul_f32_e32 v47, v41, v43
	v_mul_f32_e32 v44, v45, v43
	s_delay_alu instid0(VALU_DEP_2) | instskip(NEXT) | instid1(VALU_DEP_2)
	v_fma_f32 v43, v45, v42, -v47
	v_fmac_f32_e32 v44, v41, v42
	scratch_store_b64 off, v[43:44], off offset:136
.LBB82_83:
	s_wait_alu 0xfffe
	s_or_b32 exec_lo, exec_lo, s0
	s_wait_loadcnt 0x0
	s_wait_storecnt 0x0
	s_barrier_signal -1
	s_barrier_wait -1
	global_inv scope:SCOPE_SE
	scratch_load_b64 v[41:42], off, off offset:144
	s_mov_b32 s0, exec_lo
	s_wait_loadcnt 0x0
	ds_store_b64 v39, v[41:42]
	s_wait_dscnt 0x0
	s_barrier_signal -1
	s_barrier_wait -1
	global_inv scope:SCOPE_SE
	v_cmpx_ne_u32_e32 18, v0
	s_cbranch_execz .LBB82_87
; %bb.84:
	v_dual_mov_b32 v41, 0 :: v_dual_mov_b32 v42, 0
	s_mov_b32 s1, 0
.LBB82_85:                              ; =>This Inner Loop Header: Depth=1
	scratch_load_b64 v[43:44], v46, off
	ds_load_b64 v[47:48], v39
	v_add_nc_u32_e32 v40, 1, v40
	v_add_nc_u32_e32 v39, 8, v39
	;; [unrolled: 1-line block ×3, first 2 shown]
	s_delay_alu instid0(VALU_DEP_3)
	v_cmp_lt_u32_e32 vcc_lo, 16, v40
	s_wait_alu 0xfffe
	s_or_b32 s1, vcc_lo, s1
	s_wait_loadcnt_dscnt 0x0
	v_mul_f32_e32 v45, v48, v44
	v_mul_f32_e32 v44, v47, v44
	s_delay_alu instid0(VALU_DEP_2) | instskip(NEXT) | instid1(VALU_DEP_2)
	v_fma_f32 v45, v47, v43, -v45
	v_fmac_f32_e32 v44, v48, v43
	s_delay_alu instid0(VALU_DEP_1)
	v_dual_add_f32 v42, v42, v45 :: v_dual_add_f32 v41, v41, v44
	s_wait_alu 0xfffe
	s_and_not1_b32 exec_lo, exec_lo, s1
	s_cbranch_execnz .LBB82_85
; %bb.86:
	s_or_b32 exec_lo, exec_lo, s1
	v_mov_b32_e32 v39, 0
	ds_load_b64 v[39:40], v39 offset:144
	s_wait_dscnt 0x0
	v_mul_f32_e32 v44, v41, v40
	v_mul_f32_e32 v43, v42, v40
	s_delay_alu instid0(VALU_DEP_2) | instskip(NEXT) | instid1(VALU_DEP_2)
	v_fma_f32 v42, v42, v39, -v44
	v_fmac_f32_e32 v43, v41, v39
	scratch_store_b64 off, v[42:43], off offset:144
.LBB82_87:
	s_wait_alu 0xfffe
	s_or_b32 exec_lo, exec_lo, s0
	s_mov_b32 s1, -1
	s_wait_loadcnt 0x0
	s_wait_storecnt 0x0
	s_barrier_signal -1
	s_barrier_wait -1
	global_inv scope:SCOPE_SE
.LBB82_88:
	s_wait_alu 0xfffe
	s_and_b32 vcc_lo, exec_lo, s1
	s_wait_alu 0xfffe
	s_cbranch_vccz .LBB82_90
; %bb.89:
	v_mov_b32_e32 v39, 0
	s_lshl_b64 s[0:1], s[8:9], 2
	s_wait_alu 0xfffe
	s_add_nc_u64 s[0:1], s[6:7], s[0:1]
	global_load_b32 v39, v39, s[0:1]
	s_wait_loadcnt 0x0
	v_cmp_ne_u32_e32 vcc_lo, 0, v39
	s_cbranch_vccz .LBB82_91
.LBB82_90:
	s_nop 0
	s_sendmsg sendmsg(MSG_DEALLOC_VGPRS)
	s_endpgm
.LBB82_91:
	v_lshl_add_u32 v41, v0, 3, 0xa0
	s_mov_b32 s0, exec_lo
	v_cmpx_eq_u32_e32 18, v0
	s_cbranch_execz .LBB82_93
; %bb.92:
	scratch_load_b64 v[39:40], off, off offset:136
	v_mov_b32_e32 v42, 0
	s_delay_alu instid0(VALU_DEP_1)
	v_mov_b32_e32 v43, v42
	scratch_store_b64 off, v[42:43], off offset:136
	s_wait_loadcnt 0x0
	ds_store_b64 v41, v[39:40]
.LBB82_93:
	s_wait_alu 0xfffe
	s_or_b32 exec_lo, exec_lo, s0
	s_wait_storecnt_dscnt 0x0
	s_barrier_signal -1
	s_barrier_wait -1
	global_inv scope:SCOPE_SE
	s_clause 0x1
	scratch_load_b64 v[42:43], off, off offset:144
	scratch_load_b64 v[44:45], off, off offset:136
	v_mov_b32_e32 v39, 0
	s_mov_b32 s0, exec_lo
	ds_load_b64 v[46:47], v39 offset:304
	s_wait_loadcnt_dscnt 0x100
	v_mul_f32_e32 v40, v47, v43
	s_delay_alu instid0(VALU_DEP_1) | instskip(NEXT) | instid1(VALU_DEP_1)
	v_fma_f32 v40, v46, v42, -v40
	v_dual_mul_f32 v43, v46, v43 :: v_dual_add_f32 v40, 0, v40
	s_wait_loadcnt 0x0
	s_delay_alu instid0(VALU_DEP_1) | instskip(NEXT) | instid1(VALU_DEP_1)
	v_dual_fmac_f32 v43, v47, v42 :: v_dual_sub_f32 v42, v44, v40
	v_add_f32_e32 v43, 0, v43
	s_delay_alu instid0(VALU_DEP_1)
	v_sub_f32_e32 v43, v45, v43
	scratch_store_b64 off, v[42:43], off offset:136
	v_cmpx_lt_u32_e32 16, v0
	s_cbranch_execz .LBB82_95
; %bb.94:
	scratch_load_b64 v[42:43], off, off offset:128
	v_mov_b32_e32 v40, v39
	scratch_store_b64 off, v[39:40], off offset:128
	s_wait_loadcnt 0x0
	ds_store_b64 v41, v[42:43]
.LBB82_95:
	s_wait_alu 0xfffe
	s_or_b32 exec_lo, exec_lo, s0
	s_wait_storecnt_dscnt 0x0
	s_barrier_signal -1
	s_barrier_wait -1
	global_inv scope:SCOPE_SE
	s_clause 0x1
	scratch_load_b128 v[42:45], off, off offset:136
	scratch_load_b64 v[50:51], off, off offset:128
	ds_load_2addr_b64 v[46:49], v39 offset0:37 offset1:38
	s_mov_b32 s0, exec_lo
	s_wait_loadcnt_dscnt 0x100
	v_mul_f32_e32 v40, v46, v43
	s_delay_alu instid0(VALU_DEP_1) | instskip(SKIP_2) | instid1(VALU_DEP_1)
	v_fmac_f32_e32 v40, v47, v42
	v_mul_f32_e32 v39, v47, v43
	v_mul_f32_e32 v43, v48, v45
	v_fmac_f32_e32 v43, v49, v44
	s_delay_alu instid0(VALU_DEP_4) | instskip(NEXT) | instid1(VALU_DEP_4)
	v_dual_add_f32 v40, 0, v40 :: v_dual_mul_f32 v45, v49, v45
	v_fma_f32 v39, v46, v42, -v39
	s_delay_alu instid0(VALU_DEP_2) | instskip(NEXT) | instid1(VALU_DEP_3)
	v_add_f32_e32 v40, v40, v43
	v_fma_f32 v42, v48, v44, -v45
	s_wait_loadcnt 0x0
	s_delay_alu instid0(VALU_DEP_2) | instskip(NEXT) | instid1(VALU_DEP_1)
	v_dual_add_f32 v39, 0, v39 :: v_dual_sub_f32 v40, v51, v40
	v_add_f32_e32 v39, v39, v42
	s_delay_alu instid0(VALU_DEP_1)
	v_sub_f32_e32 v39, v50, v39
	scratch_store_b64 off, v[39:40], off offset:128
	v_cmpx_lt_u32_e32 15, v0
	s_cbranch_execz .LBB82_97
; %bb.96:
	scratch_load_b64 v[39:40], off, off offset:120
	v_mov_b32_e32 v42, 0
	s_delay_alu instid0(VALU_DEP_1)
	v_mov_b32_e32 v43, v42
	scratch_store_b64 off, v[42:43], off offset:120
	s_wait_loadcnt 0x0
	ds_store_b64 v41, v[39:40]
.LBB82_97:
	s_wait_alu 0xfffe
	s_or_b32 exec_lo, exec_lo, s0
	s_wait_storecnt_dscnt 0x0
	s_barrier_signal -1
	s_barrier_wait -1
	global_inv scope:SCOPE_SE
	s_clause 0x2
	scratch_load_b128 v[42:45], off, off offset:128
	scratch_load_b64 v[50:51], off, off offset:144
	scratch_load_b64 v[52:53], off, off offset:120
	v_mov_b32_e32 v39, 0
	ds_load_b128 v[46:49], v39 offset:288
	ds_load_b64 v[54:55], v39 offset:304
	s_mov_b32 s0, exec_lo
	s_wait_loadcnt_dscnt 0x201
	v_mul_f32_e32 v40, v47, v43
	v_dual_mul_f32 v43, v46, v43 :: v_dual_mul_f32 v56, v48, v45
	v_mul_f32_e32 v45, v49, v45
	s_wait_loadcnt_dscnt 0x100
	v_mul_f32_e32 v57, v54, v51
	v_fma_f32 v40, v46, v42, -v40
	v_fmac_f32_e32 v43, v47, v42
	v_mul_f32_e32 v42, v55, v51
	v_fmac_f32_e32 v56, v49, v44
	v_fma_f32 v44, v48, v44, -v45
	s_delay_alu instid0(VALU_DEP_4) | instskip(NEXT) | instid1(VALU_DEP_4)
	v_dual_add_f32 v40, 0, v40 :: v_dual_add_f32 v43, 0, v43
	v_fma_f32 v42, v54, v50, -v42
	s_delay_alu instid0(VALU_DEP_2) | instskip(NEXT) | instid1(VALU_DEP_1)
	v_add_f32_e32 v40, v40, v44
	v_dual_add_f32 v43, v43, v56 :: v_dual_add_f32 v40, v40, v42
	s_wait_loadcnt 0x0
	s_delay_alu instid0(VALU_DEP_1) | instskip(NEXT) | instid1(VALU_DEP_1)
	v_dual_fmac_f32 v57, v55, v50 :: v_dual_sub_f32 v42, v52, v40
	v_add_f32_e32 v43, v43, v57
	s_delay_alu instid0(VALU_DEP_1)
	v_sub_f32_e32 v43, v53, v43
	scratch_store_b64 off, v[42:43], off offset:120
	v_cmpx_lt_u32_e32 14, v0
	s_cbranch_execz .LBB82_99
; %bb.98:
	scratch_load_b64 v[42:43], off, off offset:112
	v_mov_b32_e32 v40, v39
	scratch_store_b64 off, v[39:40], off offset:112
	s_wait_loadcnt 0x0
	ds_store_b64 v41, v[42:43]
.LBB82_99:
	s_wait_alu 0xfffe
	s_or_b32 exec_lo, exec_lo, s0
	s_wait_storecnt_dscnt 0x0
	s_barrier_signal -1
	s_barrier_wait -1
	global_inv scope:SCOPE_SE
	s_clause 0x2
	scratch_load_b128 v[42:45], off, off offset:120
	scratch_load_b128 v[46:49], off, off offset:136
	scratch_load_b64 v[58:59], off, off offset:112
	ds_load_2addr_b64 v[50:53], v39 offset0:35 offset1:36
	ds_load_2addr_b64 v[54:57], v39 offset0:37 offset1:38
	s_mov_b32 s0, exec_lo
	s_wait_loadcnt_dscnt 0x201
	v_mul_f32_e32 v40, v51, v43
	s_wait_loadcnt_dscnt 0x100
	v_dual_mul_f32 v60, v54, v47 :: v_dual_mul_f32 v61, v56, v49
	s_delay_alu instid0(VALU_DEP_2) | instskip(SKIP_2) | instid1(VALU_DEP_4)
	v_fma_f32 v40, v50, v42, -v40
	v_mul_f32_e32 v39, v50, v43
	v_mul_f32_e32 v43, v52, v45
	v_dual_mul_f32 v45, v53, v45 :: v_dual_fmac_f32 v60, v55, v46
	s_delay_alu instid0(VALU_DEP_3) | instskip(NEXT) | instid1(VALU_DEP_3)
	v_dual_add_f32 v40, 0, v40 :: v_dual_fmac_f32 v39, v51, v42
	v_dual_mul_f32 v42, v55, v47 :: v_dual_fmac_f32 v43, v53, v44
	s_delay_alu instid0(VALU_DEP_3) | instskip(SKIP_1) | instid1(VALU_DEP_3)
	v_fma_f32 v44, v52, v44, -v45
	v_fmac_f32_e32 v61, v57, v48
	v_fma_f32 v42, v54, v46, -v42
	s_delay_alu instid0(VALU_DEP_3) | instskip(NEXT) | instid1(VALU_DEP_1)
	v_dual_add_f32 v40, v40, v44 :: v_dual_add_f32 v39, 0, v39
	v_dual_add_f32 v40, v40, v42 :: v_dual_mul_f32 v45, v57, v49
	s_delay_alu instid0(VALU_DEP_2) | instskip(NEXT) | instid1(VALU_DEP_2)
	v_add_f32_e32 v39, v39, v43
	v_fma_f32 v43, v56, v48, -v45
	s_delay_alu instid0(VALU_DEP_1) | instskip(SKIP_1) | instid1(VALU_DEP_1)
	v_dual_add_f32 v39, v39, v60 :: v_dual_add_f32 v40, v40, v43
	s_wait_loadcnt 0x0
	v_dual_add_f32 v42, v39, v61 :: v_dual_sub_f32 v39, v58, v40
	s_delay_alu instid0(VALU_DEP_1)
	v_sub_f32_e32 v40, v59, v42
	scratch_store_b64 off, v[39:40], off offset:112
	v_cmpx_lt_u32_e32 13, v0
	s_cbranch_execz .LBB82_101
; %bb.100:
	scratch_load_b64 v[39:40], off, off offset:104
	v_mov_b32_e32 v42, 0
	s_delay_alu instid0(VALU_DEP_1)
	v_mov_b32_e32 v43, v42
	scratch_store_b64 off, v[42:43], off offset:104
	s_wait_loadcnt 0x0
	ds_store_b64 v41, v[39:40]
.LBB82_101:
	s_wait_alu 0xfffe
	s_or_b32 exec_lo, exec_lo, s0
	s_wait_storecnt_dscnt 0x0
	s_barrier_signal -1
	s_barrier_wait -1
	global_inv scope:SCOPE_SE
	s_clause 0x3
	scratch_load_b128 v[42:45], off, off offset:112
	scratch_load_b128 v[46:49], off, off offset:128
	scratch_load_b64 v[58:59], off, off offset:144
	scratch_load_b64 v[60:61], off, off offset:104
	v_mov_b32_e32 v39, 0
	ds_load_b128 v[50:53], v39 offset:272
	ds_load_b128 v[54:57], v39 offset:288
	ds_load_b64 v[62:63], v39 offset:304
	s_mov_b32 s0, exec_lo
	s_wait_loadcnt_dscnt 0x302
	v_mul_f32_e32 v40, v50, v43
	v_dual_mul_f32 v64, v52, v45 :: v_dual_mul_f32 v43, v51, v43
	s_wait_loadcnt_dscnt 0x100
	v_mul_f32_e32 v67, v62, v59
	v_dual_mul_f32 v65, v54, v47 :: v_dual_mul_f32 v66, v56, v49
	v_dual_fmac_f32 v40, v51, v42 :: v_dual_mul_f32 v45, v53, v45
	v_fma_f32 v43, v50, v42, -v43
	v_fmac_f32_e32 v64, v53, v44
	v_mul_f32_e32 v42, v55, v47
	s_delay_alu instid0(VALU_DEP_4) | instskip(SKIP_3) | instid1(VALU_DEP_4)
	v_add_f32_e32 v40, 0, v40
	v_fma_f32 v44, v52, v44, -v45
	v_add_f32_e32 v43, 0, v43
	v_mul_f32_e32 v45, v57, v49
	v_dual_fmac_f32 v65, v55, v46 :: v_dual_add_f32 v40, v40, v64
	v_dual_fmac_f32 v66, v57, v48 :: v_dual_fmac_f32 v67, v63, v58
	s_delay_alu instid0(VALU_DEP_4) | instskip(SKIP_1) | instid1(VALU_DEP_4)
	v_add_f32_e32 v43, v43, v44
	v_fma_f32 v42, v54, v46, -v42
	v_add_f32_e32 v40, v40, v65
	v_fma_f32 v45, v56, v48, -v45
	s_delay_alu instid0(VALU_DEP_3) | instskip(NEXT) | instid1(VALU_DEP_3)
	v_add_f32_e32 v42, v43, v42
	v_add_f32_e32 v40, v40, v66
	s_delay_alu instid0(VALU_DEP_2) | instskip(NEXT) | instid1(VALU_DEP_2)
	v_add_f32_e32 v42, v42, v45
	v_add_f32_e32 v40, v40, v67
	v_mul_f32_e32 v44, v63, v59
	s_delay_alu instid0(VALU_DEP_1) | instskip(SKIP_1) | instid1(VALU_DEP_1)
	v_fma_f32 v43, v62, v58, -v44
	s_wait_loadcnt 0x0
	v_dual_add_f32 v42, v42, v43 :: v_dual_sub_f32 v43, v61, v40
	s_delay_alu instid0(VALU_DEP_1)
	v_sub_f32_e32 v42, v60, v42
	scratch_store_b64 off, v[42:43], off offset:104
	v_cmpx_lt_u32_e32 12, v0
	s_cbranch_execz .LBB82_103
; %bb.102:
	scratch_load_b64 v[42:43], off, off offset:96
	v_mov_b32_e32 v40, v39
	scratch_store_b64 off, v[39:40], off offset:96
	s_wait_loadcnt 0x0
	ds_store_b64 v41, v[42:43]
.LBB82_103:
	s_wait_alu 0xfffe
	s_or_b32 exec_lo, exec_lo, s0
	s_wait_storecnt_dscnt 0x0
	s_barrier_signal -1
	s_barrier_wait -1
	global_inv scope:SCOPE_SE
	s_clause 0x3
	scratch_load_b128 v[42:45], off, off offset:104
	scratch_load_b128 v[46:49], off, off offset:120
	;; [unrolled: 1-line block ×3, first 2 shown]
	scratch_load_b64 v[66:67], off, off offset:96
	ds_load_2addr_b64 v[54:57], v39 offset0:33 offset1:34
	ds_load_2addr_b64 v[58:61], v39 offset0:35 offset1:36
	ds_load_2addr_b64 v[62:65], v39 offset0:37 offset1:38
	s_mov_b32 s0, exec_lo
	s_wait_loadcnt_dscnt 0x302
	v_dual_mul_f32 v39, v54, v43 :: v_dual_mul_f32 v40, v56, v45
	v_mul_f32_e32 v43, v55, v43
	s_wait_loadcnt_dscnt 0x201
	v_dual_mul_f32 v45, v57, v45 :: v_dual_mul_f32 v68, v58, v47
	s_delay_alu instid0(VALU_DEP_3) | instskip(NEXT) | instid1(VALU_DEP_3)
	v_dual_mul_f32 v69, v60, v49 :: v_dual_fmac_f32 v40, v57, v44
	v_fma_f32 v43, v54, v42, -v43
	v_fmac_f32_e32 v39, v55, v42
	v_mul_f32_e32 v42, v59, v47
	v_fma_f32 v44, v56, v44, -v45
	v_mul_f32_e32 v45, v61, v49
	v_dual_add_f32 v43, 0, v43 :: v_dual_fmac_f32 v68, v59, v46
	s_delay_alu instid0(VALU_DEP_4) | instskip(SKIP_2) | instid1(VALU_DEP_3)
	v_fma_f32 v42, v58, v46, -v42
	s_wait_loadcnt_dscnt 0x100
	v_dual_mul_f32 v70, v62, v51 :: v_dual_mul_f32 v71, v64, v53
	v_add_f32_e32 v43, v43, v44
	v_fmac_f32_e32 v69, v61, v48
	v_fma_f32 v44, v60, v48, -v45
	s_delay_alu instid0(VALU_DEP_4) | instskip(NEXT) | instid1(VALU_DEP_4)
	v_dual_fmac_f32 v70, v63, v50 :: v_dual_fmac_f32 v71, v65, v52
	v_add_f32_e32 v42, v43, v42
	s_delay_alu instid0(VALU_DEP_1) | instskip(SKIP_1) | instid1(VALU_DEP_1)
	v_dual_add_f32 v42, v42, v44 :: v_dual_add_f32 v39, 0, v39
	v_mul_f32_e32 v43, v65, v53
	v_fma_f32 v43, v64, v52, -v43
	s_delay_alu instid0(VALU_DEP_3) | instskip(SKIP_1) | instid1(VALU_DEP_1)
	v_add_f32_e32 v39, v39, v40
	v_mul_f32_e32 v40, v63, v51
	v_fma_f32 v40, v62, v50, -v40
	s_delay_alu instid0(VALU_DEP_1) | instskip(NEXT) | instid1(VALU_DEP_1)
	v_add_f32_e32 v40, v42, v40
	v_dual_add_f32 v40, v40, v43 :: v_dual_add_f32 v39, v39, v68
	s_delay_alu instid0(VALU_DEP_1) | instskip(NEXT) | instid1(VALU_DEP_1)
	v_add_f32_e32 v39, v39, v69
	v_add_f32_e32 v39, v39, v70
	s_wait_loadcnt 0x0
	s_delay_alu instid0(VALU_DEP_1) | instskip(NEXT) | instid1(VALU_DEP_1)
	v_dual_add_f32 v42, v39, v71 :: v_dual_sub_f32 v39, v66, v40
	v_sub_f32_e32 v40, v67, v42
	scratch_store_b64 off, v[39:40], off offset:96
	v_cmpx_lt_u32_e32 11, v0
	s_cbranch_execz .LBB82_105
; %bb.104:
	scratch_load_b64 v[39:40], off, off offset:88
	v_mov_b32_e32 v42, 0
	s_delay_alu instid0(VALU_DEP_1)
	v_mov_b32_e32 v43, v42
	scratch_store_b64 off, v[42:43], off offset:88
	s_wait_loadcnt 0x0
	ds_store_b64 v41, v[39:40]
.LBB82_105:
	s_wait_alu 0xfffe
	s_or_b32 exec_lo, exec_lo, s0
	s_wait_storecnt_dscnt 0x0
	s_barrier_signal -1
	s_barrier_wait -1
	global_inv scope:SCOPE_SE
	s_clause 0x4
	scratch_load_b128 v[42:45], off, off offset:96
	scratch_load_b128 v[46:49], off, off offset:112
	;; [unrolled: 1-line block ×3, first 2 shown]
	scratch_load_b64 v[66:67], off, off offset:144
	scratch_load_b64 v[68:69], off, off offset:88
	v_mov_b32_e32 v39, 0
	ds_load_b128 v[54:57], v39 offset:256
	ds_load_b128 v[58:61], v39 offset:272
	;; [unrolled: 1-line block ×3, first 2 shown]
	ds_load_b64 v[70:71], v39 offset:304
	s_mov_b32 s0, exec_lo
	s_wait_loadcnt_dscnt 0x403
	v_mul_f32_e32 v40, v54, v43
	s_wait_loadcnt_dscnt 0x302
	v_dual_mul_f32 v72, v56, v45 :: v_dual_mul_f32 v73, v58, v47
	v_dual_mul_f32 v74, v60, v49 :: v_dual_mul_f32 v43, v55, v43
	s_wait_loadcnt_dscnt 0x100
	v_dual_mul_f32 v77, v70, v67 :: v_dual_fmac_f32 v40, v55, v42
	v_mul_f32_e32 v45, v57, v45
	v_dual_mul_f32 v75, v62, v51 :: v_dual_mul_f32 v76, v64, v53
	v_fma_f32 v43, v54, v42, -v43
	v_fmac_f32_e32 v72, v57, v44
	v_add_f32_e32 v40, 0, v40
	v_mul_f32_e32 v42, v59, v47
	v_fma_f32 v44, v56, v44, -v45
	v_add_f32_e32 v43, 0, v43
	v_mul_f32_e32 v45, v61, v49
	v_dual_fmac_f32 v73, v59, v46 :: v_dual_add_f32 v40, v40, v72
	v_dual_fmac_f32 v74, v61, v48 :: v_dual_fmac_f32 v75, v63, v50
	s_delay_alu instid0(VALU_DEP_4) | instskip(SKIP_1) | instid1(VALU_DEP_4)
	v_add_f32_e32 v43, v43, v44
	v_dual_fmac_f32 v76, v65, v52 :: v_dual_fmac_f32 v77, v71, v66
	v_add_f32_e32 v40, v40, v73
	v_fma_f32 v42, v58, v46, -v42
	v_mul_f32_e32 v44, v63, v51
	v_fma_f32 v45, v60, v48, -v45
	s_delay_alu instid0(VALU_DEP_4) | instskip(NEXT) | instid1(VALU_DEP_1)
	v_add_f32_e32 v40, v40, v74
	v_add_f32_e32 v40, v40, v75
	s_delay_alu instid0(VALU_DEP_1) | instskip(NEXT) | instid1(VALU_DEP_1)
	v_add_f32_e32 v40, v40, v76
	v_add_f32_e32 v40, v40, v77
	v_dual_add_f32 v42, v43, v42 :: v_dual_mul_f32 v43, v65, v53
	v_fma_f32 v44, v62, v50, -v44
	s_delay_alu instid0(VALU_DEP_2) | instskip(NEXT) | instid1(VALU_DEP_3)
	v_dual_add_f32 v42, v42, v45 :: v_dual_mul_f32 v45, v71, v67
	v_fma_f32 v43, v64, v52, -v43
	s_delay_alu instid0(VALU_DEP_2) | instskip(NEXT) | instid1(VALU_DEP_3)
	v_add_f32_e32 v42, v42, v44
	v_fma_f32 v44, v70, v66, -v45
	s_wait_loadcnt 0x0
	s_delay_alu instid0(VALU_DEP_2) | instskip(NEXT) | instid1(VALU_DEP_1)
	v_dual_add_f32 v42, v42, v43 :: v_dual_sub_f32 v43, v69, v40
	v_add_f32_e32 v42, v42, v44
	s_delay_alu instid0(VALU_DEP_1)
	v_sub_f32_e32 v42, v68, v42
	scratch_store_b64 off, v[42:43], off offset:88
	v_cmpx_lt_u32_e32 10, v0
	s_cbranch_execz .LBB82_107
; %bb.106:
	scratch_load_b64 v[42:43], off, off offset:80
	v_mov_b32_e32 v40, v39
	scratch_store_b64 off, v[39:40], off offset:80
	s_wait_loadcnt 0x0
	ds_store_b64 v41, v[42:43]
.LBB82_107:
	s_wait_alu 0xfffe
	s_or_b32 exec_lo, exec_lo, s0
	s_wait_storecnt_dscnt 0x0
	s_barrier_signal -1
	s_barrier_wait -1
	global_inv scope:SCOPE_SE
	s_clause 0x4
	scratch_load_b128 v[42:45], off, off offset:88
	scratch_load_b128 v[46:49], off, off offset:104
	scratch_load_b128 v[50:53], off, off offset:120
	scratch_load_b128 v[54:57], off, off offset:136
	scratch_load_b64 v[74:75], off, off offset:80
	ds_load_2addr_b64 v[58:61], v39 offset0:31 offset1:32
	ds_load_2addr_b64 v[62:65], v39 offset0:33 offset1:34
	;; [unrolled: 1-line block ×4, first 2 shown]
	s_mov_b32 s0, exec_lo
	s_wait_loadcnt_dscnt 0x403
	v_dual_mul_f32 v39, v58, v43 :: v_dual_mul_f32 v40, v60, v45
	v_mul_f32_e32 v43, v59, v43
	s_wait_loadcnt_dscnt 0x302
	v_dual_mul_f32 v45, v61, v45 :: v_dual_mul_f32 v76, v62, v47
	s_delay_alu instid0(VALU_DEP_3) | instskip(NEXT) | instid1(VALU_DEP_3)
	v_dual_mul_f32 v77, v64, v49 :: v_dual_fmac_f32 v40, v61, v44
	v_fma_f32 v43, v58, v42, -v43
	v_fmac_f32_e32 v39, v59, v42
	v_mul_f32_e32 v42, v63, v47
	v_fma_f32 v44, v60, v44, -v45
	v_mul_f32_e32 v45, v65, v49
	v_dual_add_f32 v43, 0, v43 :: v_dual_fmac_f32 v76, v63, v46
	s_delay_alu instid0(VALU_DEP_4) | instskip(SKIP_2) | instid1(VALU_DEP_3)
	v_fma_f32 v42, v62, v46, -v42
	s_wait_loadcnt_dscnt 0x201
	v_dual_mul_f32 v78, v66, v51 :: v_dual_mul_f32 v79, v68, v53
	v_add_f32_e32 v43, v43, v44
	v_fmac_f32_e32 v77, v65, v48
	v_fma_f32 v44, v64, v48, -v45
	s_wait_loadcnt_dscnt 0x100
	v_dual_mul_f32 v80, v70, v55 :: v_dual_mul_f32 v81, v72, v57
	v_dual_add_f32 v42, v43, v42 :: v_dual_mul_f32 v43, v69, v53
	v_dual_fmac_f32 v78, v67, v50 :: v_dual_fmac_f32 v79, v69, v52
	s_delay_alu instid0(VALU_DEP_3) | instskip(NEXT) | instid1(VALU_DEP_3)
	v_fmac_f32_e32 v80, v71, v54
	v_dual_add_f32 v42, v42, v44 :: v_dual_add_f32 v39, 0, v39
	v_mul_f32_e32 v44, v71, v55
	v_fma_f32 v43, v68, v52, -v43
	v_fmac_f32_e32 v81, v73, v56
	s_delay_alu instid0(VALU_DEP_4) | instskip(SKIP_2) | instid1(VALU_DEP_2)
	v_add_f32_e32 v39, v39, v40
	v_mul_f32_e32 v40, v67, v51
	v_fma_f32 v44, v70, v54, -v44
	v_fma_f32 v40, v66, v50, -v40
	s_delay_alu instid0(VALU_DEP_1) | instskip(SKIP_1) | instid1(VALU_DEP_2)
	v_add_f32_e32 v40, v42, v40
	v_mul_f32_e32 v42, v73, v57
	v_add_f32_e32 v40, v40, v43
	s_delay_alu instid0(VALU_DEP_2) | instskip(NEXT) | instid1(VALU_DEP_2)
	v_fma_f32 v42, v72, v56, -v42
	v_add_f32_e32 v40, v40, v44
	s_delay_alu instid0(VALU_DEP_1) | instskip(NEXT) | instid1(VALU_DEP_1)
	v_dual_add_f32 v39, v39, v76 :: v_dual_add_f32 v40, v40, v42
	v_add_f32_e32 v39, v39, v77
	s_delay_alu instid0(VALU_DEP_1) | instskip(NEXT) | instid1(VALU_DEP_1)
	v_add_f32_e32 v39, v39, v78
	v_add_f32_e32 v39, v39, v79
	s_delay_alu instid0(VALU_DEP_1) | instskip(SKIP_1) | instid1(VALU_DEP_1)
	v_add_f32_e32 v39, v39, v80
	s_wait_loadcnt 0x0
	v_dual_add_f32 v42, v39, v81 :: v_dual_sub_f32 v39, v74, v40
	s_delay_alu instid0(VALU_DEP_1)
	v_sub_f32_e32 v40, v75, v42
	scratch_store_b64 off, v[39:40], off offset:80
	v_cmpx_lt_u32_e32 9, v0
	s_cbranch_execz .LBB82_109
; %bb.108:
	scratch_load_b64 v[39:40], off, off offset:72
	v_mov_b32_e32 v42, 0
	s_delay_alu instid0(VALU_DEP_1)
	v_mov_b32_e32 v43, v42
	scratch_store_b64 off, v[42:43], off offset:72
	s_wait_loadcnt 0x0
	ds_store_b64 v41, v[39:40]
.LBB82_109:
	s_wait_alu 0xfffe
	s_or_b32 exec_lo, exec_lo, s0
	s_wait_storecnt_dscnt 0x0
	s_barrier_signal -1
	s_barrier_wait -1
	global_inv scope:SCOPE_SE
	s_clause 0x5
	scratch_load_b128 v[42:45], off, off offset:80
	scratch_load_b128 v[46:49], off, off offset:96
	;; [unrolled: 1-line block ×4, first 2 shown]
	scratch_load_b64 v[74:75], off, off offset:144
	scratch_load_b64 v[76:77], off, off offset:72
	v_mov_b32_e32 v39, 0
	ds_load_b128 v[58:61], v39 offset:240
	ds_load_b128 v[62:65], v39 offset:256
	;; [unrolled: 1-line block ×4, first 2 shown]
	ds_load_b64 v[78:79], v39 offset:304
	s_mov_b32 s0, exec_lo
	s_wait_loadcnt_dscnt 0x504
	v_mul_f32_e32 v40, v58, v43
	s_wait_loadcnt_dscnt 0x403
	v_dual_mul_f32 v80, v60, v45 :: v_dual_mul_f32 v81, v62, v47
	s_wait_loadcnt_dscnt 0x302
	v_dual_mul_f32 v84, v68, v53 :: v_dual_mul_f32 v43, v59, v43
	s_wait_loadcnt_dscnt 0x100
	v_dual_mul_f32 v87, v78, v75 :: v_dual_fmac_f32 v40, v59, v42
	v_mul_f32_e32 v45, v61, v45
	v_dual_mul_f32 v82, v64, v49 :: v_dual_mul_f32 v83, v66, v51
	v_fma_f32 v43, v58, v42, -v43
	v_fmac_f32_e32 v80, v61, v44
	v_add_f32_e32 v40, 0, v40
	v_mul_f32_e32 v42, v63, v47
	v_fma_f32 v44, v60, v44, -v45
	v_add_f32_e32 v43, 0, v43
	v_mul_f32_e32 v45, v65, v49
	v_dual_fmac_f32 v81, v63, v46 :: v_dual_add_f32 v40, v40, v80
	v_dual_fmac_f32 v82, v65, v48 :: v_dual_fmac_f32 v83, v67, v50
	s_delay_alu instid0(VALU_DEP_4) | instskip(SKIP_1) | instid1(VALU_DEP_4)
	v_add_f32_e32 v43, v43, v44
	v_dual_mul_f32 v85, v70, v55 :: v_dual_mul_f32 v86, v72, v57
	v_add_f32_e32 v40, v40, v81
	v_dual_fmac_f32 v84, v69, v52 :: v_dual_fmac_f32 v87, v79, v74
	s_delay_alu instid0(VALU_DEP_3) | instskip(NEXT) | instid1(VALU_DEP_3)
	v_dual_fmac_f32 v85, v71, v54 :: v_dual_fmac_f32 v86, v73, v56
	v_add_f32_e32 v40, v40, v82
	v_fma_f32 v42, v62, v46, -v42
	v_mul_f32_e32 v44, v67, v51
	v_fma_f32 v45, v64, v48, -v45
	s_delay_alu instid0(VALU_DEP_4) | instskip(NEXT) | instid1(VALU_DEP_1)
	v_add_f32_e32 v40, v40, v83
	v_add_f32_e32 v40, v40, v84
	s_delay_alu instid0(VALU_DEP_1) | instskip(NEXT) | instid1(VALU_DEP_1)
	v_add_f32_e32 v40, v40, v85
	v_add_f32_e32 v40, v40, v86
	s_delay_alu instid0(VALU_DEP_1) | instskip(SKIP_2) | instid1(VALU_DEP_2)
	v_add_f32_e32 v40, v40, v87
	v_dual_add_f32 v42, v43, v42 :: v_dual_mul_f32 v43, v69, v53
	v_fma_f32 v44, v66, v50, -v44
	v_dual_add_f32 v42, v42, v45 :: v_dual_mul_f32 v45, v71, v55
	s_delay_alu instid0(VALU_DEP_3) | instskip(NEXT) | instid1(VALU_DEP_2)
	v_fma_f32 v43, v68, v52, -v43
	v_add_f32_e32 v42, v42, v44
	v_mul_f32_e32 v44, v73, v57
	s_delay_alu instid0(VALU_DEP_4) | instskip(NEXT) | instid1(VALU_DEP_3)
	v_fma_f32 v45, v70, v54, -v45
	v_add_f32_e32 v42, v42, v43
	v_mul_f32_e32 v43, v79, v75
	s_delay_alu instid0(VALU_DEP_4) | instskip(NEXT) | instid1(VALU_DEP_3)
	v_fma_f32 v44, v72, v56, -v44
	v_add_f32_e32 v42, v42, v45
	s_delay_alu instid0(VALU_DEP_3) | instskip(NEXT) | instid1(VALU_DEP_2)
	v_fma_f32 v43, v78, v74, -v43
	v_add_f32_e32 v42, v42, v44
	s_wait_loadcnt 0x0
	s_delay_alu instid0(VALU_DEP_1) | instskip(NEXT) | instid1(VALU_DEP_1)
	v_dual_add_f32 v42, v42, v43 :: v_dual_sub_f32 v43, v77, v40
	v_sub_f32_e32 v42, v76, v42
	scratch_store_b64 off, v[42:43], off offset:72
	v_cmpx_lt_u32_e32 8, v0
	s_cbranch_execz .LBB82_111
; %bb.110:
	scratch_load_b64 v[42:43], off, off offset:64
	v_mov_b32_e32 v40, v39
	scratch_store_b64 off, v[39:40], off offset:64
	s_wait_loadcnt 0x0
	ds_store_b64 v41, v[42:43]
.LBB82_111:
	s_wait_alu 0xfffe
	s_or_b32 exec_lo, exec_lo, s0
	s_wait_storecnt_dscnt 0x0
	s_barrier_signal -1
	s_barrier_wait -1
	global_inv scope:SCOPE_SE
	s_clause 0x5
	scratch_load_b128 v[42:45], off, off offset:72
	scratch_load_b128 v[46:49], off, off offset:88
	;; [unrolled: 1-line block ×5, first 2 shown]
	scratch_load_b64 v[82:83], off, off offset:64
	ds_load_2addr_b64 v[62:65], v39 offset0:29 offset1:30
	ds_load_2addr_b64 v[66:69], v39 offset0:31 offset1:32
	;; [unrolled: 1-line block ×5, first 2 shown]
	s_mov_b32 s0, exec_lo
	s_wait_loadcnt_dscnt 0x504
	v_dual_mul_f32 v39, v62, v43 :: v_dual_mul_f32 v40, v64, v45
	v_mul_f32_e32 v43, v63, v43
	s_wait_loadcnt_dscnt 0x403
	v_dual_mul_f32 v45, v65, v45 :: v_dual_mul_f32 v84, v66, v47
	s_delay_alu instid0(VALU_DEP_3) | instskip(NEXT) | instid1(VALU_DEP_3)
	v_dual_mul_f32 v85, v68, v49 :: v_dual_fmac_f32 v40, v65, v44
	v_fma_f32 v43, v62, v42, -v43
	v_fmac_f32_e32 v39, v63, v42
	v_mul_f32_e32 v42, v67, v47
	v_fma_f32 v44, v64, v44, -v45
	v_mul_f32_e32 v45, v69, v49
	v_dual_add_f32 v43, 0, v43 :: v_dual_fmac_f32 v84, v67, v46
	s_delay_alu instid0(VALU_DEP_4) | instskip(SKIP_2) | instid1(VALU_DEP_3)
	v_fma_f32 v42, v66, v46, -v42
	s_wait_loadcnt_dscnt 0x302
	v_dual_mul_f32 v86, v70, v51 :: v_dual_mul_f32 v87, v72, v53
	v_add_f32_e32 v43, v43, v44
	v_fmac_f32_e32 v85, v69, v48
	v_fma_f32 v44, v68, v48, -v45
	s_wait_loadcnt_dscnt 0x201
	v_dual_mul_f32 v88, v74, v55 :: v_dual_mul_f32 v89, v76, v57
	v_dual_add_f32 v42, v43, v42 :: v_dual_mul_f32 v43, v73, v53
	v_fmac_f32_e32 v86, v71, v50
	s_wait_loadcnt_dscnt 0x100
	v_dual_mul_f32 v90, v78, v59 :: v_dual_mul_f32 v91, v80, v61
	s_delay_alu instid0(VALU_DEP_3) | instskip(SKIP_3) | instid1(VALU_DEP_4)
	v_dual_add_f32 v42, v42, v44 :: v_dual_add_f32 v39, 0, v39
	v_mul_f32_e32 v44, v75, v55
	v_fma_f32 v43, v72, v52, -v43
	v_dual_fmac_f32 v87, v73, v52 :: v_dual_fmac_f32 v88, v75, v54
	v_add_f32_e32 v39, v39, v40
	v_mul_f32_e32 v40, v71, v51
	v_fma_f32 v44, v74, v54, -v44
	v_dual_fmac_f32 v89, v77, v56 :: v_dual_fmac_f32 v90, v79, v58
	s_delay_alu instid0(VALU_DEP_3) | instskip(NEXT) | instid1(VALU_DEP_1)
	v_fma_f32 v40, v70, v50, -v40
	v_add_f32_e32 v40, v42, v40
	v_mul_f32_e32 v42, v77, v57
	s_delay_alu instid0(VALU_DEP_2) | instskip(SKIP_1) | instid1(VALU_DEP_3)
	v_dual_add_f32 v40, v40, v43 :: v_dual_add_f32 v39, v39, v84
	v_mul_f32_e32 v43, v79, v59
	v_fma_f32 v42, v76, v56, -v42
	s_delay_alu instid0(VALU_DEP_3) | instskip(SKIP_3) | instid1(VALU_DEP_4)
	v_add_f32_e32 v40, v40, v44
	v_mul_f32_e32 v44, v81, v61
	v_add_f32_e32 v39, v39, v85
	v_fma_f32 v43, v78, v58, -v43
	v_dual_add_f32 v40, v40, v42 :: v_dual_fmac_f32 v91, v81, v60
	s_delay_alu instid0(VALU_DEP_3) | instskip(SKIP_1) | instid1(VALU_DEP_3)
	v_add_f32_e32 v39, v39, v86
	v_fma_f32 v42, v80, v60, -v44
	v_add_f32_e32 v40, v40, v43
	s_delay_alu instid0(VALU_DEP_1) | instskip(NEXT) | instid1(VALU_DEP_1)
	v_dual_add_f32 v39, v39, v87 :: v_dual_add_f32 v40, v40, v42
	v_add_f32_e32 v39, v39, v88
	s_delay_alu instid0(VALU_DEP_1) | instskip(NEXT) | instid1(VALU_DEP_1)
	v_add_f32_e32 v39, v39, v89
	v_add_f32_e32 v39, v39, v90
	s_wait_loadcnt 0x0
	s_delay_alu instid0(VALU_DEP_1) | instskip(NEXT) | instid1(VALU_DEP_1)
	v_dual_add_f32 v42, v39, v91 :: v_dual_sub_f32 v39, v82, v40
	v_sub_f32_e32 v40, v83, v42
	scratch_store_b64 off, v[39:40], off offset:64
	v_cmpx_lt_u32_e32 7, v0
	s_cbranch_execz .LBB82_113
; %bb.112:
	scratch_load_b64 v[39:40], off, off offset:56
	v_mov_b32_e32 v42, 0
	s_delay_alu instid0(VALU_DEP_1)
	v_mov_b32_e32 v43, v42
	scratch_store_b64 off, v[42:43], off offset:56
	s_wait_loadcnt 0x0
	ds_store_b64 v41, v[39:40]
.LBB82_113:
	s_wait_alu 0xfffe
	s_or_b32 exec_lo, exec_lo, s0
	s_wait_storecnt_dscnt 0x0
	s_barrier_signal -1
	s_barrier_wait -1
	global_inv scope:SCOPE_SE
	s_clause 0x6
	scratch_load_b128 v[42:45], off, off offset:64
	scratch_load_b128 v[46:49], off, off offset:80
	;; [unrolled: 1-line block ×5, first 2 shown]
	scratch_load_b64 v[82:83], off, off offset:144
	scratch_load_b64 v[84:85], off, off offset:56
	v_mov_b32_e32 v39, 0
	ds_load_b128 v[62:65], v39 offset:224
	ds_load_b128 v[66:69], v39 offset:240
	;; [unrolled: 1-line block ×5, first 2 shown]
	ds_load_b64 v[86:87], v39 offset:304
	s_mov_b32 s0, exec_lo
	s_wait_loadcnt_dscnt 0x605
	v_mul_f32_e32 v40, v62, v43
	v_dual_mul_f32 v43, v63, v43 :: v_dual_mul_f32 v88, v64, v45
	s_wait_loadcnt_dscnt 0x302
	v_dual_mul_f32 v89, v66, v47 :: v_dual_mul_f32 v94, v76, v57
	s_wait_loadcnt_dscnt 0x100
	v_dual_mul_f32 v97, v86, v83 :: v_dual_fmac_f32 v40, v63, v42
	v_mul_f32_e32 v45, v65, v45
	v_fma_f32 v43, v62, v42, -v43
	v_mul_f32_e32 v42, v67, v47
	v_fmac_f32_e32 v88, v65, v44
	v_add_f32_e32 v40, 0, v40
	v_fma_f32 v44, v64, v44, -v45
	v_add_f32_e32 v43, 0, v43
	v_mul_f32_e32 v45, v69, v49
	s_delay_alu instid0(VALU_DEP_4) | instskip(SKIP_1) | instid1(VALU_DEP_4)
	v_dual_fmac_f32 v89, v67, v46 :: v_dual_add_f32 v40, v40, v88
	v_fma_f32 v42, v66, v46, -v42
	v_dual_add_f32 v43, v43, v44 :: v_dual_mul_f32 v90, v68, v49
	v_mul_f32_e32 v91, v70, v51
	v_mul_f32_e32 v44, v71, v51
	v_fma_f32 v45, v68, v48, -v45
	v_add_f32_e32 v40, v40, v89
	v_add_f32_e32 v42, v43, v42
	v_dual_fmac_f32 v90, v69, v48 :: v_dual_fmac_f32 v91, v71, v50
	v_mul_f32_e32 v43, v73, v53
	v_fma_f32 v44, v70, v50, -v44
	s_delay_alu instid0(VALU_DEP_4) | instskip(SKIP_4) | instid1(VALU_DEP_3)
	v_dual_add_f32 v42, v42, v45 :: v_dual_mul_f32 v45, v75, v55
	v_dual_mul_f32 v92, v72, v53 :: v_dual_mul_f32 v93, v74, v55
	v_dual_mul_f32 v95, v78, v59 :: v_dual_mul_f32 v96, v80, v61
	v_add_f32_e32 v40, v40, v90
	v_fma_f32 v43, v72, v52, -v43
	v_dual_add_f32 v42, v42, v44 :: v_dual_fmac_f32 v95, v79, v58
	v_dual_fmac_f32 v92, v73, v52 :: v_dual_fmac_f32 v93, v75, v54
	v_mul_f32_e32 v44, v77, v57
	s_delay_alu instid0(VALU_DEP_3)
	v_add_f32_e32 v42, v42, v43
	v_mul_f32_e32 v43, v79, v59
	v_dual_add_f32 v40, v40, v91 :: v_dual_fmac_f32 v97, v87, v82
	v_fma_f32 v45, v74, v54, -v45
	v_fmac_f32_e32 v94, v77, v56
	v_fma_f32 v44, v76, v56, -v44
	s_delay_alu instid0(VALU_DEP_4)
	v_add_f32_e32 v40, v40, v92
	v_fma_f32 v43, v78, v58, -v43
	v_add_f32_e32 v42, v42, v45
	v_mul_f32_e32 v45, v81, v61
	v_fmac_f32_e32 v96, v81, v60
	v_add_f32_e32 v40, v40, v93
	s_delay_alu instid0(VALU_DEP_4) | instskip(SKIP_2) | instid1(VALU_DEP_4)
	v_add_f32_e32 v42, v42, v44
	v_mul_f32_e32 v44, v87, v83
	v_fma_f32 v45, v80, v60, -v45
	v_add_f32_e32 v40, v40, v94
	s_delay_alu instid0(VALU_DEP_4) | instskip(NEXT) | instid1(VALU_DEP_4)
	v_add_f32_e32 v42, v42, v43
	v_fma_f32 v43, v86, v82, -v44
	s_delay_alu instid0(VALU_DEP_3) | instskip(NEXT) | instid1(VALU_DEP_3)
	v_add_f32_e32 v40, v40, v95
	v_add_f32_e32 v42, v42, v45
	s_delay_alu instid0(VALU_DEP_2) | instskip(NEXT) | instid1(VALU_DEP_2)
	v_add_f32_e32 v40, v40, v96
	v_add_f32_e32 v42, v42, v43
	s_delay_alu instid0(VALU_DEP_2) | instskip(SKIP_1) | instid1(VALU_DEP_1)
	v_add_f32_e32 v40, v40, v97
	s_wait_loadcnt 0x0
	v_dual_sub_f32 v42, v84, v42 :: v_dual_sub_f32 v43, v85, v40
	scratch_store_b64 off, v[42:43], off offset:56
	v_cmpx_lt_u32_e32 6, v0
	s_cbranch_execz .LBB82_115
; %bb.114:
	scratch_load_b64 v[42:43], off, off offset:48
	v_mov_b32_e32 v40, v39
	scratch_store_b64 off, v[39:40], off offset:48
	s_wait_loadcnt 0x0
	ds_store_b64 v41, v[42:43]
.LBB82_115:
	s_wait_alu 0xfffe
	s_or_b32 exec_lo, exec_lo, s0
	s_wait_storecnt_dscnt 0x0
	s_barrier_signal -1
	s_barrier_wait -1
	global_inv scope:SCOPE_SE
	s_clause 0x6
	scratch_load_b128 v[42:45], off, off offset:56
	scratch_load_b128 v[46:49], off, off offset:72
	;; [unrolled: 1-line block ×6, first 2 shown]
	scratch_load_b64 v[90:91], off, off offset:48
	ds_load_2addr_b64 v[66:69], v39 offset0:27 offset1:28
	ds_load_2addr_b64 v[70:73], v39 offset0:29 offset1:30
	;; [unrolled: 1-line block ×6, first 2 shown]
	s_mov_b32 s0, exec_lo
	s_wait_loadcnt_dscnt 0x605
	v_dual_mul_f32 v39, v66, v43 :: v_dual_mul_f32 v40, v68, v45
	v_mul_f32_e32 v43, v67, v43
	s_wait_loadcnt_dscnt 0x504
	v_dual_mul_f32 v45, v69, v45 :: v_dual_mul_f32 v92, v70, v47
	s_delay_alu instid0(VALU_DEP_3) | instskip(NEXT) | instid1(VALU_DEP_3)
	v_dual_mul_f32 v93, v72, v49 :: v_dual_fmac_f32 v40, v69, v44
	v_fma_f32 v43, v66, v42, -v43
	v_fmac_f32_e32 v39, v67, v42
	v_mul_f32_e32 v42, v71, v47
	v_fma_f32 v44, v68, v44, -v45
	v_mul_f32_e32 v45, v73, v49
	v_dual_add_f32 v43, 0, v43 :: v_dual_fmac_f32 v92, v71, v46
	s_delay_alu instid0(VALU_DEP_4) | instskip(SKIP_2) | instid1(VALU_DEP_3)
	v_fma_f32 v42, v70, v46, -v42
	s_wait_loadcnt_dscnt 0x403
	v_dual_mul_f32 v94, v74, v51 :: v_dual_mul_f32 v95, v76, v53
	v_add_f32_e32 v43, v43, v44
	v_fmac_f32_e32 v93, v73, v48
	v_fma_f32 v44, v72, v48, -v45
	s_wait_loadcnt_dscnt 0x302
	v_dual_mul_f32 v96, v78, v55 :: v_dual_mul_f32 v97, v80, v57
	v_dual_add_f32 v42, v43, v42 :: v_dual_mul_f32 v43, v77, v53
	v_fmac_f32_e32 v94, v75, v50
	s_wait_loadcnt_dscnt 0x201
	v_dual_mul_f32 v98, v82, v59 :: v_dual_mul_f32 v99, v84, v61
	s_delay_alu instid0(VALU_DEP_3) | instskip(SKIP_3) | instid1(VALU_DEP_4)
	v_dual_add_f32 v42, v42, v44 :: v_dual_add_f32 v39, 0, v39
	v_mul_f32_e32 v44, v79, v55
	v_fma_f32 v43, v76, v52, -v43
	v_dual_fmac_f32 v95, v77, v52 :: v_dual_fmac_f32 v96, v79, v54
	v_add_f32_e32 v39, v39, v40
	v_mul_f32_e32 v40, v75, v51
	v_fma_f32 v44, v78, v54, -v44
	v_dual_fmac_f32 v97, v81, v56 :: v_dual_fmac_f32 v98, v83, v58
	s_wait_loadcnt_dscnt 0x100
	v_dual_mul_f32 v100, v86, v63 :: v_dual_mul_f32 v101, v88, v65
	v_fma_f32 v40, v74, v50, -v40
	s_delay_alu instid0(VALU_DEP_2) | instskip(NEXT) | instid1(VALU_DEP_3)
	v_dual_fmac_f32 v99, v85, v60 :: v_dual_fmac_f32 v100, v87, v62
	v_fmac_f32_e32 v101, v89, v64
	s_delay_alu instid0(VALU_DEP_3) | instskip(SKIP_1) | instid1(VALU_DEP_2)
	v_add_f32_e32 v40, v42, v40
	v_mul_f32_e32 v42, v81, v57
	v_dual_add_f32 v40, v40, v43 :: v_dual_add_f32 v39, v39, v92
	v_mul_f32_e32 v43, v83, v59
	s_delay_alu instid0(VALU_DEP_3) | instskip(NEXT) | instid1(VALU_DEP_3)
	v_fma_f32 v42, v80, v56, -v42
	v_add_f32_e32 v40, v40, v44
	v_mul_f32_e32 v44, v85, v61
	v_add_f32_e32 v39, v39, v93
	v_fma_f32 v43, v82, v58, -v43
	s_delay_alu instid0(VALU_DEP_4) | instskip(SKIP_1) | instid1(VALU_DEP_4)
	v_add_f32_e32 v40, v40, v42
	v_mul_f32_e32 v42, v87, v63
	v_add_f32_e32 v39, v39, v94
	v_fma_f32 v44, v84, v60, -v44
	s_delay_alu instid0(VALU_DEP_4) | instskip(NEXT) | instid1(VALU_DEP_3)
	v_dual_add_f32 v40, v40, v43 :: v_dual_mul_f32 v43, v89, v65
	v_add_f32_e32 v39, v39, v95
	v_fma_f32 v42, v86, v62, -v42
	s_delay_alu instid0(VALU_DEP_3) | instskip(NEXT) | instid1(VALU_DEP_4)
	v_add_f32_e32 v40, v40, v44
	v_fma_f32 v43, v88, v64, -v43
	s_delay_alu instid0(VALU_DEP_2) | instskip(NEXT) | instid1(VALU_DEP_1)
	v_dual_add_f32 v39, v39, v96 :: v_dual_add_f32 v40, v40, v42
	v_dual_add_f32 v39, v39, v97 :: v_dual_add_f32 v40, v40, v43
	s_delay_alu instid0(VALU_DEP_1) | instskip(NEXT) | instid1(VALU_DEP_1)
	v_add_f32_e32 v39, v39, v98
	v_add_f32_e32 v39, v39, v99
	s_delay_alu instid0(VALU_DEP_1) | instskip(SKIP_1) | instid1(VALU_DEP_1)
	v_add_f32_e32 v39, v39, v100
	s_wait_loadcnt 0x0
	v_dual_add_f32 v42, v39, v101 :: v_dual_sub_f32 v39, v90, v40
	s_delay_alu instid0(VALU_DEP_1)
	v_sub_f32_e32 v40, v91, v42
	scratch_store_b64 off, v[39:40], off offset:48
	v_cmpx_lt_u32_e32 5, v0
	s_cbranch_execz .LBB82_117
; %bb.116:
	scratch_load_b64 v[39:40], off, off offset:40
	v_mov_b32_e32 v42, 0
	s_delay_alu instid0(VALU_DEP_1)
	v_mov_b32_e32 v43, v42
	scratch_store_b64 off, v[42:43], off offset:40
	s_wait_loadcnt 0x0
	ds_store_b64 v41, v[39:40]
.LBB82_117:
	s_wait_alu 0xfffe
	s_or_b32 exec_lo, exec_lo, s0
	s_wait_storecnt_dscnt 0x0
	s_barrier_signal -1
	s_barrier_wait -1
	global_inv scope:SCOPE_SE
	s_clause 0x7
	scratch_load_b128 v[42:45], off, off offset:48
	scratch_load_b128 v[46:49], off, off offset:64
	scratch_load_b128 v[50:53], off, off offset:80
	scratch_load_b128 v[54:57], off, off offset:96
	scratch_load_b128 v[58:61], off, off offset:112
	scratch_load_b128 v[62:65], off, off offset:128
	scratch_load_b64 v[90:91], off, off offset:144
	scratch_load_b64 v[92:93], off, off offset:40
	v_mov_b32_e32 v39, 0
	ds_load_b128 v[66:69], v39 offset:208
	ds_load_b128 v[70:73], v39 offset:224
	;; [unrolled: 1-line block ×6, first 2 shown]
	ds_load_b64 v[94:95], v39 offset:304
	s_mov_b32 s0, exec_lo
	s_wait_loadcnt_dscnt 0x706
	v_mul_f32_e32 v40, v66, v43
	v_dual_mul_f32 v43, v67, v43 :: v_dual_mul_f32 v96, v68, v45
	s_wait_loadcnt_dscnt 0x302
	v_dual_mul_f32 v97, v70, v47 :: v_dual_mul_f32 v104, v84, v61
	v_mul_f32_e32 v45, v69, v45
	s_wait_loadcnt_dscnt 0x100
	v_dual_mul_f32 v107, v94, v91 :: v_dual_fmac_f32 v40, v67, v42
	v_fma_f32 v43, v66, v42, -v43
	v_mul_f32_e32 v42, v71, v47
	v_fmac_f32_e32 v96, v69, v44
	v_fma_f32 v44, v68, v44, -v45
	v_dual_add_f32 v40, 0, v40 :: v_dual_mul_f32 v45, v73, v49
	v_add_f32_e32 v43, 0, v43
	v_fmac_f32_e32 v97, v71, v46
	v_fma_f32 v42, v70, v46, -v42
	s_delay_alu instid0(VALU_DEP_4)
	v_add_f32_e32 v40, v40, v96
	v_fma_f32 v45, v72, v48, -v45
	v_add_f32_e32 v43, v43, v44
	v_mul_f32_e32 v44, v75, v51
	v_dual_mul_f32 v98, v72, v49 :: v_dual_mul_f32 v99, v74, v51
	v_add_f32_e32 v40, v40, v97
	s_delay_alu instid0(VALU_DEP_4) | instskip(NEXT) | instid1(VALU_DEP_4)
	v_dual_add_f32 v42, v43, v42 :: v_dual_mul_f32 v43, v77, v53
	v_fma_f32 v44, v74, v50, -v44
	v_dual_mul_f32 v102, v80, v57 :: v_dual_mul_f32 v103, v82, v59
	s_delay_alu instid0(VALU_DEP_3) | instskip(NEXT) | instid1(VALU_DEP_4)
	v_dual_add_f32 v42, v42, v45 :: v_dual_mul_f32 v45, v79, v55
	v_fma_f32 v43, v76, v52, -v43
	v_dual_mul_f32 v105, v86, v63 :: v_dual_mul_f32 v106, v88, v65
	s_delay_alu instid0(VALU_DEP_3) | instskip(SKIP_1) | instid1(VALU_DEP_3)
	v_dual_add_f32 v42, v42, v44 :: v_dual_fmac_f32 v103, v83, v58
	v_dual_fmac_f32 v98, v73, v48 :: v_dual_fmac_f32 v99, v75, v50
	v_dual_mul_f32 v44, v81, v57 :: v_dual_fmac_f32 v105, v87, v62
	v_fma_f32 v45, v78, v54, -v45
	s_delay_alu instid0(VALU_DEP_4) | instskip(SKIP_3) | instid1(VALU_DEP_4)
	v_dual_add_f32 v42, v42, v43 :: v_dual_fmac_f32 v107, v95, v90
	v_dual_mul_f32 v100, v76, v53 :: v_dual_mul_f32 v101, v78, v55
	v_dual_add_f32 v40, v40, v98 :: v_dual_mul_f32 v43, v83, v59
	v_fma_f32 v44, v80, v56, -v44
	v_add_f32_e32 v42, v42, v45
	s_delay_alu instid0(VALU_DEP_4) | instskip(NEXT) | instid1(VALU_DEP_4)
	v_dual_fmac_f32 v100, v77, v52 :: v_dual_fmac_f32 v101, v79, v54
	v_dual_add_f32 v40, v40, v99 :: v_dual_mul_f32 v45, v85, v61
	v_fma_f32 v43, v82, v58, -v43
	s_delay_alu instid0(VALU_DEP_4)
	v_add_f32_e32 v42, v42, v44
	v_fmac_f32_e32 v102, v81, v56
	v_mul_f32_e32 v44, v87, v63
	v_fma_f32 v45, v84, v60, -v45
	v_fmac_f32_e32 v104, v85, v60
	v_dual_add_f32 v42, v42, v43 :: v_dual_mul_f32 v43, v89, v65
	v_add_f32_e32 v40, v40, v100
	v_fma_f32 v44, v86, v62, -v44
	v_fmac_f32_e32 v106, v89, v64
	s_delay_alu instid0(VALU_DEP_4) | instskip(NEXT) | instid1(VALU_DEP_4)
	v_dual_add_f32 v42, v42, v45 :: v_dual_mul_f32 v45, v95, v91
	v_add_f32_e32 v40, v40, v101
	v_fma_f32 v43, v88, v64, -v43
	s_delay_alu instid0(VALU_DEP_3) | instskip(NEXT) | instid1(VALU_DEP_4)
	v_add_f32_e32 v42, v42, v44
	v_fma_f32 v44, v94, v90, -v45
	s_delay_alu instid0(VALU_DEP_4) | instskip(NEXT) | instid1(VALU_DEP_3)
	v_add_f32_e32 v40, v40, v102
	v_add_f32_e32 v42, v42, v43
	s_delay_alu instid0(VALU_DEP_2) | instskip(NEXT) | instid1(VALU_DEP_2)
	v_add_f32_e32 v40, v40, v103
	v_add_f32_e32 v42, v42, v44
	s_delay_alu instid0(VALU_DEP_2) | instskip(SKIP_1) | instid1(VALU_DEP_2)
	v_add_f32_e32 v40, v40, v104
	s_wait_loadcnt 0x0
	v_sub_f32_e32 v42, v92, v42
	s_delay_alu instid0(VALU_DEP_2) | instskip(NEXT) | instid1(VALU_DEP_1)
	v_add_f32_e32 v40, v40, v105
	v_add_f32_e32 v40, v40, v106
	s_delay_alu instid0(VALU_DEP_1) | instskip(NEXT) | instid1(VALU_DEP_1)
	v_add_f32_e32 v40, v40, v107
	v_sub_f32_e32 v43, v93, v40
	scratch_store_b64 off, v[42:43], off offset:40
	v_cmpx_lt_u32_e32 4, v0
	s_cbranch_execz .LBB82_119
; %bb.118:
	scratch_load_b64 v[42:43], off, off offset:32
	v_mov_b32_e32 v40, v39
	scratch_store_b64 off, v[39:40], off offset:32
	s_wait_loadcnt 0x0
	ds_store_b64 v41, v[42:43]
.LBB82_119:
	s_wait_alu 0xfffe
	s_or_b32 exec_lo, exec_lo, s0
	s_wait_storecnt_dscnt 0x0
	s_barrier_signal -1
	s_barrier_wait -1
	global_inv scope:SCOPE_SE
	s_clause 0x7
	scratch_load_b128 v[42:45], off, off offset:40
	scratch_load_b128 v[46:49], off, off offset:56
	;; [unrolled: 1-line block ×7, first 2 shown]
	scratch_load_b64 v[98:99], off, off offset:32
	ds_load_2addr_b64 v[70:73], v39 offset0:25 offset1:26
	ds_load_2addr_b64 v[74:77], v39 offset0:27 offset1:28
	;; [unrolled: 1-line block ×7, first 2 shown]
	s_mov_b32 s0, exec_lo
	s_wait_loadcnt_dscnt 0x706
	v_dual_mul_f32 v39, v70, v43 :: v_dual_mul_f32 v40, v72, v45
	v_mul_f32_e32 v43, v71, v43
	s_wait_loadcnt_dscnt 0x605
	v_dual_mul_f32 v45, v73, v45 :: v_dual_mul_f32 v100, v74, v47
	s_delay_alu instid0(VALU_DEP_3) | instskip(NEXT) | instid1(VALU_DEP_3)
	v_dual_mul_f32 v101, v76, v49 :: v_dual_fmac_f32 v40, v73, v44
	v_fma_f32 v43, v70, v42, -v43
	v_fmac_f32_e32 v39, v71, v42
	v_mul_f32_e32 v42, v75, v47
	v_fma_f32 v44, v72, v44, -v45
	v_mul_f32_e32 v45, v77, v49
	v_dual_add_f32 v43, 0, v43 :: v_dual_fmac_f32 v100, v75, v46
	s_delay_alu instid0(VALU_DEP_4) | instskip(SKIP_2) | instid1(VALU_DEP_3)
	v_fma_f32 v42, v74, v46, -v42
	s_wait_loadcnt_dscnt 0x504
	v_dual_mul_f32 v102, v78, v51 :: v_dual_mul_f32 v103, v80, v53
	v_add_f32_e32 v43, v43, v44
	v_fmac_f32_e32 v101, v77, v48
	v_fma_f32 v44, v76, v48, -v45
	s_wait_loadcnt_dscnt 0x403
	v_dual_mul_f32 v104, v82, v55 :: v_dual_mul_f32 v105, v84, v57
	v_dual_add_f32 v42, v43, v42 :: v_dual_mul_f32 v43, v81, v53
	v_fmac_f32_e32 v102, v79, v50
	s_wait_loadcnt_dscnt 0x302
	v_dual_mul_f32 v106, v86, v59 :: v_dual_mul_f32 v107, v88, v61
	s_delay_alu instid0(VALU_DEP_3) | instskip(SKIP_3) | instid1(VALU_DEP_4)
	v_dual_add_f32 v42, v42, v44 :: v_dual_add_f32 v39, 0, v39
	v_mul_f32_e32 v44, v83, v55
	v_fma_f32 v43, v80, v52, -v43
	v_dual_fmac_f32 v103, v81, v52 :: v_dual_fmac_f32 v104, v83, v54
	v_add_f32_e32 v39, v39, v40
	v_mul_f32_e32 v40, v79, v51
	v_fma_f32 v44, v82, v54, -v44
	v_dual_fmac_f32 v105, v85, v56 :: v_dual_fmac_f32 v106, v87, v58
	s_wait_loadcnt_dscnt 0x201
	v_dual_mul_f32 v108, v90, v63 :: v_dual_mul_f32 v109, v92, v65
	v_fma_f32 v40, v78, v50, -v40
	s_wait_loadcnt_dscnt 0x100
	v_dual_mul_f32 v110, v94, v67 :: v_dual_mul_f32 v111, v96, v69
	s_delay_alu instid0(VALU_DEP_3) | instskip(NEXT) | instid1(VALU_DEP_3)
	v_dual_fmac_f32 v107, v89, v60 :: v_dual_fmac_f32 v108, v91, v62
	v_add_f32_e32 v40, v42, v40
	v_mul_f32_e32 v42, v85, v57
	s_delay_alu instid0(VALU_DEP_4) | instskip(NEXT) | instid1(VALU_DEP_3)
	v_dual_fmac_f32 v110, v95, v66 :: v_dual_fmac_f32 v111, v97, v68
	v_dual_fmac_f32 v109, v93, v64 :: v_dual_add_f32 v40, v40, v43
	v_add_f32_e32 v39, v39, v100
	v_mul_f32_e32 v43, v87, v59
	v_fma_f32 v42, v84, v56, -v42
	s_delay_alu instid0(VALU_DEP_4) | instskip(SKIP_3) | instid1(VALU_DEP_4)
	v_add_f32_e32 v40, v40, v44
	v_mul_f32_e32 v44, v89, v61
	v_add_f32_e32 v39, v39, v101
	v_fma_f32 v43, v86, v58, -v43
	v_add_f32_e32 v40, v40, v42
	v_mul_f32_e32 v42, v91, v63
	s_delay_alu instid0(VALU_DEP_4) | instskip(SKIP_1) | instid1(VALU_DEP_4)
	v_add_f32_e32 v39, v39, v102
	v_fma_f32 v44, v88, v60, -v44
	v_dual_add_f32 v40, v40, v43 :: v_dual_mul_f32 v43, v93, v65
	s_delay_alu instid0(VALU_DEP_3) | instskip(SKIP_1) | instid1(VALU_DEP_3)
	v_add_f32_e32 v39, v39, v103
	v_fma_f32 v42, v90, v62, -v42
	v_add_f32_e32 v40, v40, v44
	s_delay_alu instid0(VALU_DEP_4) | instskip(NEXT) | instid1(VALU_DEP_4)
	v_fma_f32 v43, v92, v64, -v43
	v_add_f32_e32 v39, v39, v104
	v_mul_f32_e32 v44, v95, v67
	s_delay_alu instid0(VALU_DEP_4) | instskip(SKIP_1) | instid1(VALU_DEP_4)
	v_add_f32_e32 v40, v40, v42
	v_mul_f32_e32 v42, v97, v69
	v_add_f32_e32 v39, v39, v105
	s_delay_alu instid0(VALU_DEP_4) | instskip(NEXT) | instid1(VALU_DEP_4)
	v_fma_f32 v44, v94, v66, -v44
	v_add_f32_e32 v40, v40, v43
	s_delay_alu instid0(VALU_DEP_4) | instskip(NEXT) | instid1(VALU_DEP_2)
	v_fma_f32 v42, v96, v68, -v42
	v_dual_add_f32 v39, v39, v106 :: v_dual_add_f32 v40, v40, v44
	s_delay_alu instid0(VALU_DEP_1) | instskip(NEXT) | instid1(VALU_DEP_1)
	v_dual_add_f32 v39, v39, v107 :: v_dual_add_f32 v40, v40, v42
	v_add_f32_e32 v39, v39, v108
	s_delay_alu instid0(VALU_DEP_1) | instskip(NEXT) | instid1(VALU_DEP_1)
	v_add_f32_e32 v39, v39, v109
	v_add_f32_e32 v39, v39, v110
	s_wait_loadcnt 0x0
	s_delay_alu instid0(VALU_DEP_1) | instskip(NEXT) | instid1(VALU_DEP_1)
	v_dual_add_f32 v42, v39, v111 :: v_dual_sub_f32 v39, v98, v40
	v_sub_f32_e32 v40, v99, v42
	scratch_store_b64 off, v[39:40], off offset:32
	v_cmpx_lt_u32_e32 3, v0
	s_cbranch_execz .LBB82_121
; %bb.120:
	scratch_load_b64 v[39:40], off, off offset:24
	v_mov_b32_e32 v42, 0
	s_delay_alu instid0(VALU_DEP_1)
	v_mov_b32_e32 v43, v42
	scratch_store_b64 off, v[42:43], off offset:24
	s_wait_loadcnt 0x0
	ds_store_b64 v41, v[39:40]
.LBB82_121:
	s_wait_alu 0xfffe
	s_or_b32 exec_lo, exec_lo, s0
	s_wait_storecnt_dscnt 0x0
	s_barrier_signal -1
	s_barrier_wait -1
	global_inv scope:SCOPE_SE
	s_clause 0x8
	scratch_load_b128 v[42:45], off, off offset:32
	scratch_load_b128 v[46:49], off, off offset:48
	;; [unrolled: 1-line block ×7, first 2 shown]
	scratch_load_b64 v[98:99], off, off offset:144
	scratch_load_b64 v[100:101], off, off offset:24
	v_mov_b32_e32 v39, 0
	ds_load_b128 v[70:73], v39 offset:192
	ds_load_b128 v[74:77], v39 offset:208
	;; [unrolled: 1-line block ×7, first 2 shown]
	ds_load_b64 v[102:103], v39 offset:304
	s_mov_b32 s0, exec_lo
	s_wait_loadcnt_dscnt 0x807
	v_mul_f32_e32 v40, v70, v43
	v_dual_mul_f32 v43, v71, v43 :: v_dual_mul_f32 v104, v72, v45
	s_wait_loadcnt_dscnt 0x706
	v_mul_f32_e32 v105, v74, v47
	v_mul_f32_e32 v45, v73, v45
	s_wait_loadcnt_dscnt 0x302
	v_mul_f32_e32 v114, v92, v65
	v_fma_f32 v43, v70, v42, -v43
	s_wait_loadcnt_dscnt 0x100
	v_dual_mul_f32 v117, v102, v99 :: v_dual_fmac_f32 v40, v71, v42
	v_mul_f32_e32 v42, v75, v47
	s_delay_alu instid0(VALU_DEP_3) | instskip(SKIP_1) | instid1(VALU_DEP_4)
	v_dual_fmac_f32 v104, v73, v44 :: v_dual_add_f32 v43, 0, v43
	v_fma_f32 v44, v72, v44, -v45
	v_dual_add_f32 v40, 0, v40 :: v_dual_mul_f32 v45, v77, v49
	v_fmac_f32_e32 v105, v75, v46
	v_fma_f32 v42, v74, v46, -v42
	v_dual_mul_f32 v106, v76, v49 :: v_dual_mul_f32 v107, v78, v51
	s_delay_alu instid0(VALU_DEP_4)
	v_add_f32_e32 v40, v40, v104
	v_add_f32_e32 v43, v43, v44
	v_mul_f32_e32 v44, v79, v51
	v_fma_f32 v45, v76, v48, -v45
	v_dual_mul_f32 v110, v84, v57 :: v_dual_mul_f32 v111, v86, v59
	v_add_f32_e32 v40, v40, v105
	v_dual_add_f32 v42, v43, v42 :: v_dual_mul_f32 v43, v81, v53
	v_fma_f32 v44, v78, v50, -v44
	v_dual_mul_f32 v112, v88, v61 :: v_dual_mul_f32 v113, v90, v63
	s_delay_alu instid0(VALU_DEP_3) | instskip(NEXT) | instid1(VALU_DEP_4)
	v_dual_add_f32 v42, v42, v45 :: v_dual_mul_f32 v45, v83, v55
	v_fma_f32 v43, v80, v52, -v43
	v_dual_mul_f32 v115, v94, v67 :: v_dual_mul_f32 v116, v96, v69
	s_delay_alu instid0(VALU_DEP_3) | instskip(SKIP_3) | instid1(VALU_DEP_4)
	v_dual_add_f32 v42, v42, v44 :: v_dual_fmac_f32 v111, v87, v58
	v_dual_fmac_f32 v106, v77, v48 :: v_dual_fmac_f32 v107, v79, v50
	v_dual_mul_f32 v44, v85, v57 :: v_dual_fmac_f32 v113, v91, v62
	v_fma_f32 v45, v82, v54, -v45
	v_dual_add_f32 v42, v42, v43 :: v_dual_fmac_f32 v115, v95, v66
	s_delay_alu instid0(VALU_DEP_4) | instskip(NEXT) | instid1(VALU_DEP_4)
	v_dual_add_f32 v40, v40, v106 :: v_dual_mul_f32 v43, v87, v59
	v_fma_f32 v44, v84, v56, -v44
	s_delay_alu instid0(VALU_DEP_3) | instskip(SKIP_3) | instid1(VALU_DEP_4)
	v_dual_add_f32 v42, v42, v45 :: v_dual_fmac_f32 v117, v103, v98
	v_dual_mul_f32 v108, v80, v53 :: v_dual_mul_f32 v109, v82, v55
	v_mul_f32_e32 v45, v89, v61
	v_fma_f32 v43, v86, v58, -v43
	v_add_f32_e32 v42, v42, v44
	s_delay_alu instid0(VALU_DEP_4) | instskip(SKIP_4) | instid1(VALU_DEP_4)
	v_dual_fmac_f32 v108, v81, v52 :: v_dual_fmac_f32 v109, v83, v54
	v_add_f32_e32 v40, v40, v107
	v_mul_f32_e32 v44, v91, v63
	v_fma_f32 v45, v88, v60, -v45
	v_dual_add_f32 v42, v42, v43 :: v_dual_mul_f32 v43, v93, v65
	v_add_f32_e32 v40, v40, v108
	s_delay_alu instid0(VALU_DEP_4) | instskip(SKIP_1) | instid1(VALU_DEP_4)
	v_fma_f32 v44, v90, v62, -v44
	v_fmac_f32_e32 v110, v85, v56
	v_dual_add_f32 v42, v42, v45 :: v_dual_mul_f32 v45, v95, v67
	s_delay_alu instid0(VALU_DEP_4) | instskip(SKIP_2) | instid1(VALU_DEP_4)
	v_add_f32_e32 v40, v40, v109
	v_fma_f32 v43, v92, v64, -v43
	v_fmac_f32_e32 v112, v89, v60
	v_add_f32_e32 v42, v42, v44
	v_fmac_f32_e32 v114, v93, v64
	v_mul_f32_e32 v44, v97, v69
	v_fma_f32 v45, v94, v66, -v45
	v_fmac_f32_e32 v116, v97, v68
	v_add_f32_e32 v42, v42, v43
	v_dual_mul_f32 v43, v103, v99 :: v_dual_add_f32 v40, v40, v110
	v_fma_f32 v44, v96, v68, -v44
	s_delay_alu instid0(VALU_DEP_3) | instskip(NEXT) | instid1(VALU_DEP_3)
	v_add_f32_e32 v42, v42, v45
	v_fma_f32 v43, v102, v98, -v43
	s_delay_alu instid0(VALU_DEP_4) | instskip(NEXT) | instid1(VALU_DEP_3)
	v_add_f32_e32 v40, v40, v111
	v_add_f32_e32 v42, v42, v44
	s_delay_alu instid0(VALU_DEP_2) | instskip(NEXT) | instid1(VALU_DEP_2)
	v_add_f32_e32 v40, v40, v112
	v_add_f32_e32 v42, v42, v43
	s_delay_alu instid0(VALU_DEP_2) | instskip(SKIP_1) | instid1(VALU_DEP_2)
	v_add_f32_e32 v40, v40, v113
	s_wait_loadcnt 0x0
	v_sub_f32_e32 v42, v100, v42
	s_delay_alu instid0(VALU_DEP_2) | instskip(NEXT) | instid1(VALU_DEP_1)
	v_add_f32_e32 v40, v40, v114
	v_add_f32_e32 v40, v40, v115
	s_delay_alu instid0(VALU_DEP_1) | instskip(NEXT) | instid1(VALU_DEP_1)
	v_add_f32_e32 v40, v40, v116
	v_add_f32_e32 v40, v40, v117
	s_delay_alu instid0(VALU_DEP_1)
	v_sub_f32_e32 v43, v101, v40
	scratch_store_b64 off, v[42:43], off offset:24
	v_cmpx_lt_u32_e32 2, v0
	s_cbranch_execz .LBB82_123
; %bb.122:
	scratch_load_b64 v[42:43], off, off offset:16
	v_mov_b32_e32 v40, v39
	scratch_store_b64 off, v[39:40], off offset:16
	s_wait_loadcnt 0x0
	ds_store_b64 v41, v[42:43]
.LBB82_123:
	s_wait_alu 0xfffe
	s_or_b32 exec_lo, exec_lo, s0
	s_wait_storecnt_dscnt 0x0
	s_barrier_signal -1
	s_barrier_wait -1
	global_inv scope:SCOPE_SE
	s_clause 0x8
	scratch_load_b128 v[42:45], off, off offset:24
	scratch_load_b128 v[46:49], off, off offset:40
	;; [unrolled: 1-line block ×8, first 2 shown]
	scratch_load_b64 v[106:107], off, off offset:16
	ds_load_2addr_b64 v[74:77], v39 offset0:23 offset1:24
	ds_load_2addr_b64 v[78:81], v39 offset0:25 offset1:26
	;; [unrolled: 1-line block ×8, first 2 shown]
	s_mov_b32 s0, exec_lo
	s_wait_loadcnt_dscnt 0x807
	v_dual_mul_f32 v39, v74, v43 :: v_dual_mul_f32 v40, v76, v45
	v_mul_f32_e32 v43, v75, v43
	s_wait_loadcnt_dscnt 0x706
	v_dual_mul_f32 v45, v77, v45 :: v_dual_mul_f32 v108, v78, v47
	s_delay_alu instid0(VALU_DEP_3) | instskip(NEXT) | instid1(VALU_DEP_3)
	v_dual_mul_f32 v109, v80, v49 :: v_dual_fmac_f32 v40, v77, v44
	v_fma_f32 v43, v74, v42, -v43
	v_fmac_f32_e32 v39, v75, v42
	v_mul_f32_e32 v42, v79, v47
	v_fma_f32 v44, v76, v44, -v45
	v_mul_f32_e32 v45, v81, v49
	v_dual_add_f32 v43, 0, v43 :: v_dual_fmac_f32 v108, v79, v46
	s_delay_alu instid0(VALU_DEP_4) | instskip(SKIP_2) | instid1(VALU_DEP_3)
	v_fma_f32 v42, v78, v46, -v42
	s_wait_loadcnt_dscnt 0x605
	v_dual_mul_f32 v110, v82, v51 :: v_dual_mul_f32 v111, v84, v53
	v_add_f32_e32 v43, v43, v44
	v_fmac_f32_e32 v109, v81, v48
	v_fma_f32 v44, v80, v48, -v45
	s_wait_loadcnt_dscnt 0x504
	v_dual_mul_f32 v112, v86, v55 :: v_dual_mul_f32 v113, v88, v57
	v_dual_add_f32 v42, v43, v42 :: v_dual_mul_f32 v43, v85, v53
	v_fmac_f32_e32 v110, v83, v50
	s_wait_loadcnt_dscnt 0x403
	v_dual_mul_f32 v114, v90, v59 :: v_dual_mul_f32 v115, v92, v61
	s_delay_alu instid0(VALU_DEP_3) | instskip(SKIP_3) | instid1(VALU_DEP_4)
	v_dual_add_f32 v42, v42, v44 :: v_dual_add_f32 v39, 0, v39
	v_mul_f32_e32 v44, v87, v55
	v_fma_f32 v43, v84, v52, -v43
	v_dual_fmac_f32 v111, v85, v52 :: v_dual_fmac_f32 v112, v87, v54
	v_add_f32_e32 v39, v39, v40
	v_mul_f32_e32 v40, v83, v51
	v_fma_f32 v44, v86, v54, -v44
	v_dual_fmac_f32 v113, v89, v56 :: v_dual_fmac_f32 v114, v91, v58
	s_wait_loadcnt_dscnt 0x302
	v_dual_mul_f32 v116, v94, v63 :: v_dual_mul_f32 v117, v96, v65
	v_fma_f32 v40, v82, v50, -v40
	s_wait_loadcnt_dscnt 0x201
	v_dual_mul_f32 v118, v98, v67 :: v_dual_mul_f32 v119, v100, v69
	s_wait_loadcnt_dscnt 0x100
	v_dual_mul_f32 v120, v102, v71 :: v_dual_mul_f32 v121, v104, v73
	v_add_f32_e32 v40, v42, v40
	v_mul_f32_e32 v42, v89, v57
	v_dual_fmac_f32 v118, v99, v66 :: v_dual_fmac_f32 v119, v101, v68
	s_delay_alu instid0(VALU_DEP_4) | instskip(NEXT) | instid1(VALU_DEP_4)
	v_dual_fmac_f32 v120, v103, v70 :: v_dual_fmac_f32 v121, v105, v72
	v_dual_add_f32 v40, v40, v43 :: v_dual_add_f32 v39, v39, v108
	v_mul_f32_e32 v43, v91, v59
	v_fma_f32 v42, v88, v56, -v42
	v_fmac_f32_e32 v115, v93, v60
	s_delay_alu instid0(VALU_DEP_4)
	v_add_f32_e32 v40, v40, v44
	v_mul_f32_e32 v44, v93, v61
	v_add_f32_e32 v39, v39, v109
	v_fma_f32 v43, v90, v58, -v43
	v_fmac_f32_e32 v116, v95, v62
	v_add_f32_e32 v40, v40, v42
	v_mul_f32_e32 v42, v95, v63
	v_add_f32_e32 v39, v39, v110
	v_fma_f32 v44, v92, v60, -v44
	s_delay_alu instid0(VALU_DEP_4) | instskip(SKIP_1) | instid1(VALU_DEP_4)
	v_dual_fmac_f32 v117, v97, v64 :: v_dual_add_f32 v40, v40, v43
	v_mul_f32_e32 v43, v97, v65
	v_add_f32_e32 v39, v39, v111
	v_fma_f32 v42, v94, v62, -v42
	s_delay_alu instid0(VALU_DEP_4) | instskip(NEXT) | instid1(VALU_DEP_4)
	v_add_f32_e32 v40, v40, v44
	v_fma_f32 v43, v96, v64, -v43
	s_delay_alu instid0(VALU_DEP_4) | instskip(SKIP_1) | instid1(VALU_DEP_4)
	v_add_f32_e32 v39, v39, v112
	v_mul_f32_e32 v44, v99, v67
	v_add_f32_e32 v40, v40, v42
	v_mul_f32_e32 v42, v101, v69
	s_delay_alu instid0(VALU_DEP_4) | instskip(NEXT) | instid1(VALU_DEP_4)
	v_add_f32_e32 v39, v39, v113
	v_fma_f32 v44, v98, v66, -v44
	s_delay_alu instid0(VALU_DEP_4) | instskip(SKIP_1) | instid1(VALU_DEP_4)
	v_add_f32_e32 v40, v40, v43
	v_mul_f32_e32 v43, v103, v71
	v_add_f32_e32 v39, v39, v114
	v_fma_f32 v42, v100, v68, -v42
	s_delay_alu instid0(VALU_DEP_4) | instskip(NEXT) | instid1(VALU_DEP_3)
	v_add_f32_e32 v40, v40, v44
	v_dual_mul_f32 v44, v105, v73 :: v_dual_add_f32 v39, v39, v115
	v_fma_f32 v43, v102, v70, -v43
	s_delay_alu instid0(VALU_DEP_3) | instskip(NEXT) | instid1(VALU_DEP_3)
	v_add_f32_e32 v40, v40, v42
	v_fma_f32 v42, v104, v72, -v44
	s_delay_alu instid0(VALU_DEP_2) | instskip(NEXT) | instid1(VALU_DEP_1)
	v_dual_add_f32 v39, v39, v116 :: v_dual_add_f32 v40, v40, v43
	v_dual_add_f32 v39, v39, v117 :: v_dual_add_f32 v40, v40, v42
	s_delay_alu instid0(VALU_DEP_1) | instskip(NEXT) | instid1(VALU_DEP_1)
	v_add_f32_e32 v39, v39, v118
	v_add_f32_e32 v39, v39, v119
	s_delay_alu instid0(VALU_DEP_1) | instskip(SKIP_1) | instid1(VALU_DEP_1)
	v_add_f32_e32 v39, v39, v120
	s_wait_loadcnt 0x0
	v_dual_add_f32 v42, v39, v121 :: v_dual_sub_f32 v39, v106, v40
	s_delay_alu instid0(VALU_DEP_1)
	v_sub_f32_e32 v40, v107, v42
	scratch_store_b64 off, v[39:40], off offset:16
	v_cmpx_lt_u32_e32 1, v0
	s_cbranch_execz .LBB82_125
; %bb.124:
	scratch_load_b64 v[39:40], off, off offset:8
	v_mov_b32_e32 v42, 0
	s_delay_alu instid0(VALU_DEP_1)
	v_mov_b32_e32 v43, v42
	scratch_store_b64 off, v[42:43], off offset:8
	s_wait_loadcnt 0x0
	ds_store_b64 v41, v[39:40]
.LBB82_125:
	s_wait_alu 0xfffe
	s_or_b32 exec_lo, exec_lo, s0
	s_wait_storecnt_dscnt 0x0
	s_barrier_signal -1
	s_barrier_wait -1
	global_inv scope:SCOPE_SE
	s_clause 0x9
	scratch_load_b128 v[42:45], off, off offset:16
	scratch_load_b128 v[46:49], off, off offset:32
	;; [unrolled: 1-line block ×8, first 2 shown]
	scratch_load_b64 v[106:107], off, off offset:144
	scratch_load_b64 v[108:109], off, off offset:8
	v_mov_b32_e32 v39, 0
	ds_load_b128 v[74:77], v39 offset:176
	ds_load_b128 v[78:81], v39 offset:192
	;; [unrolled: 1-line block ×8, first 2 shown]
	ds_load_b64 v[110:111], v39 offset:304
	s_mov_b32 s0, exec_lo
	s_wait_loadcnt_dscnt 0x908
	v_mul_f32_e32 v40, v74, v43
	s_wait_loadcnt_dscnt 0x807
	v_dual_mul_f32 v112, v76, v45 :: v_dual_mul_f32 v113, v78, v47
	v_mul_f32_e32 v43, v75, v43
	s_delay_alu instid0(VALU_DEP_3)
	v_dual_mul_f32 v45, v77, v45 :: v_dual_fmac_f32 v40, v75, v42
	s_wait_loadcnt_dscnt 0x302
	v_mul_f32_e32 v124, v100, v69
	v_dual_mul_f32 v114, v80, v49 :: v_dual_mul_f32 v115, v82, v51
	s_wait_loadcnt_dscnt 0x100
	v_mul_f32_e32 v127, v110, v107
	v_fma_f32 v43, v74, v42, -v43
	v_mul_f32_e32 v42, v79, v47
	v_fmac_f32_e32 v112, v77, v44
	v_fma_f32 v44, v76, v44, -v45
	v_dual_add_f32 v40, 0, v40 :: v_dual_mul_f32 v45, v81, v49
	v_add_f32_e32 v43, 0, v43
	v_fmac_f32_e32 v113, v79, v46
	v_fma_f32 v42, v78, v46, -v42
	s_delay_alu instid0(VALU_DEP_4)
	v_add_f32_e32 v40, v40, v112
	v_fma_f32 v45, v80, v48, -v45
	v_add_f32_e32 v43, v43, v44
	v_mul_f32_e32 v44, v83, v51
	v_dual_mul_f32 v118, v88, v57 :: v_dual_mul_f32 v119, v90, v59
	v_add_f32_e32 v40, v40, v113
	s_delay_alu instid0(VALU_DEP_4) | instskip(NEXT) | instid1(VALU_DEP_4)
	v_dual_add_f32 v42, v43, v42 :: v_dual_mul_f32 v43, v85, v53
	v_fma_f32 v44, v82, v50, -v44
	v_dual_mul_f32 v120, v92, v61 :: v_dual_mul_f32 v121, v94, v63
	s_delay_alu instid0(VALU_DEP_3) | instskip(NEXT) | instid1(VALU_DEP_4)
	v_dual_add_f32 v42, v42, v45 :: v_dual_mul_f32 v45, v87, v55
	v_fma_f32 v43, v84, v52, -v43
	v_dual_mul_f32 v122, v96, v65 :: v_dual_mul_f32 v123, v98, v67
	s_delay_alu instid0(VALU_DEP_3) | instskip(SKIP_3) | instid1(VALU_DEP_4)
	v_dual_add_f32 v42, v42, v44 :: v_dual_fmac_f32 v119, v91, v58
	v_dual_fmac_f32 v114, v81, v48 :: v_dual_fmac_f32 v115, v83, v50
	v_dual_mul_f32 v44, v89, v57 :: v_dual_fmac_f32 v121, v95, v62
	v_fma_f32 v45, v86, v54, -v45
	v_dual_add_f32 v42, v42, v43 :: v_dual_fmac_f32 v123, v99, v66
	v_dual_mul_f32 v125, v102, v71 :: v_dual_mul_f32 v126, v104, v73
	v_dual_add_f32 v40, v40, v114 :: v_dual_mul_f32 v43, v91, v59
	v_fma_f32 v44, v88, v56, -v44
	s_delay_alu instid0(VALU_DEP_3) | instskip(SKIP_3) | instid1(VALU_DEP_4)
	v_dual_add_f32 v42, v42, v45 :: v_dual_fmac_f32 v125, v103, v70
	v_dual_mul_f32 v116, v84, v53 :: v_dual_mul_f32 v117, v86, v55
	v_mul_f32_e32 v45, v93, v61
	v_fma_f32 v43, v90, v58, -v43
	v_add_f32_e32 v42, v42, v44
	s_delay_alu instid0(VALU_DEP_4) | instskip(SKIP_4) | instid1(VALU_DEP_4)
	v_dual_fmac_f32 v116, v85, v52 :: v_dual_fmac_f32 v117, v87, v54
	v_add_f32_e32 v40, v40, v115
	v_mul_f32_e32 v44, v95, v63
	v_fma_f32 v45, v92, v60, -v45
	v_dual_add_f32 v42, v42, v43 :: v_dual_mul_f32 v43, v97, v65
	v_add_f32_e32 v40, v40, v116
	s_delay_alu instid0(VALU_DEP_4) | instskip(SKIP_1) | instid1(VALU_DEP_4)
	v_fma_f32 v44, v94, v62, -v44
	v_fmac_f32_e32 v118, v89, v56
	v_dual_add_f32 v42, v42, v45 :: v_dual_mul_f32 v45, v99, v67
	s_delay_alu instid0(VALU_DEP_4) | instskip(SKIP_1) | instid1(VALU_DEP_3)
	v_dual_add_f32 v40, v40, v117 :: v_dual_fmac_f32 v127, v111, v106
	v_fma_f32 v43, v96, v64, -v43
	v_add_f32_e32 v42, v42, v44
	v_fmac_f32_e32 v120, v93, v60
	v_fmac_f32_e32 v122, v97, v64
	v_mul_f32_e32 v44, v101, v69
	v_fma_f32 v45, v98, v66, -v45
	v_add_f32_e32 v42, v42, v43
	v_dual_mul_f32 v43, v103, v71 :: v_dual_add_f32 v40, v40, v118
	v_fmac_f32_e32 v124, v101, v68
	v_fma_f32 v44, v100, v68, -v44
	s_delay_alu instid0(VALU_DEP_4) | instskip(NEXT) | instid1(VALU_DEP_4)
	v_add_f32_e32 v42, v42, v45
	v_dual_mul_f32 v45, v105, v73 :: v_dual_add_f32 v40, v40, v119
	v_fma_f32 v43, v102, v70, -v43
	v_fmac_f32_e32 v126, v105, v72
	s_delay_alu instid0(VALU_DEP_4) | instskip(SKIP_3) | instid1(VALU_DEP_4)
	v_add_f32_e32 v42, v42, v44
	v_mul_f32_e32 v44, v111, v107
	v_add_f32_e32 v40, v40, v120
	v_fma_f32 v45, v104, v72, -v45
	v_add_f32_e32 v42, v42, v43
	s_delay_alu instid0(VALU_DEP_4) | instskip(NEXT) | instid1(VALU_DEP_4)
	v_fma_f32 v43, v110, v106, -v44
	v_add_f32_e32 v40, v40, v121
	s_delay_alu instid0(VALU_DEP_3) | instskip(NEXT) | instid1(VALU_DEP_2)
	v_add_f32_e32 v42, v42, v45
	v_add_f32_e32 v40, v40, v122
	s_delay_alu instid0(VALU_DEP_2) | instskip(NEXT) | instid1(VALU_DEP_2)
	v_add_f32_e32 v42, v42, v43
	v_add_f32_e32 v40, v40, v123
	s_wait_loadcnt 0x0
	s_delay_alu instid0(VALU_DEP_2) | instskip(NEXT) | instid1(VALU_DEP_2)
	v_sub_f32_e32 v42, v108, v42
	v_add_f32_e32 v40, v40, v124
	s_delay_alu instid0(VALU_DEP_1) | instskip(NEXT) | instid1(VALU_DEP_1)
	v_add_f32_e32 v40, v40, v125
	v_add_f32_e32 v40, v40, v126
	s_delay_alu instid0(VALU_DEP_1) | instskip(NEXT) | instid1(VALU_DEP_1)
	v_add_f32_e32 v40, v40, v127
	v_sub_f32_e32 v43, v109, v40
	scratch_store_b64 off, v[42:43], off offset:8
	v_cmpx_ne_u32_e32 0, v0
	s_cbranch_execz .LBB82_127
; %bb.126:
	scratch_load_b64 v[42:43], off, off
	v_mov_b32_e32 v40, v39
	scratch_store_b64 off, v[39:40], off
	s_wait_loadcnt 0x0
	ds_store_b64 v41, v[42:43]
.LBB82_127:
	s_wait_alu 0xfffe
	s_or_b32 exec_lo, exec_lo, s0
	s_wait_storecnt_dscnt 0x0
	s_barrier_signal -1
	s_barrier_wait -1
	global_inv scope:SCOPE_SE
	s_clause 0x9
	scratch_load_b128 v[40:43], off, off offset:8
	scratch_load_b128 v[44:47], off, off offset:24
	;; [unrolled: 1-line block ×9, first 2 shown]
	scratch_load_b64 v[112:113], off, off
	ds_load_2addr_b64 v[76:79], v39 offset0:21 offset1:22
	ds_load_2addr_b64 v[80:83], v39 offset0:23 offset1:24
	;; [unrolled: 1-line block ×9, first 2 shown]
	s_and_b32 vcc_lo, exec_lo, s12
	s_wait_loadcnt_dscnt 0x908
	v_dual_mul_f32 v0, v76, v41 :: v_dual_mul_f32 v39, v78, v43
	s_wait_loadcnt_dscnt 0x807
	v_dual_mul_f32 v43, v79, v43 :: v_dual_mul_f32 v114, v80, v45
	s_delay_alu instid0(VALU_DEP_2) | instskip(SKIP_2) | instid1(VALU_DEP_4)
	v_dual_mul_f32 v115, v82, v47 :: v_dual_fmac_f32 v0, v77, v40
	v_mul_f32_e32 v41, v77, v41
	v_fmac_f32_e32 v39, v79, v42
	v_fma_f32 v42, v78, v42, -v43
	s_wait_loadcnt_dscnt 0x706
	v_dual_mul_f32 v116, v84, v49 :: v_dual_mul_f32 v117, v86, v51
	v_add_f32_e32 v0, 0, v0
	v_fma_f32 v41, v76, v40, -v41
	v_mul_f32_e32 v40, v81, v45
	v_dual_fmac_f32 v114, v81, v44 :: v_dual_fmac_f32 v115, v83, v46
	s_delay_alu instid0(VALU_DEP_3) | instskip(NEXT) | instid1(VALU_DEP_3)
	v_dual_fmac_f32 v116, v85, v48 :: v_dual_add_f32 v41, 0, v41
	v_fma_f32 v40, v80, v44, -v40
	v_dual_add_f32 v0, v0, v39 :: v_dual_mul_f32 v39, v85, v49
	s_wait_loadcnt_dscnt 0x605
	v_dual_mul_f32 v118, v88, v53 :: v_dual_mul_f32 v119, v90, v55
	v_add_f32_e32 v41, v41, v42
	s_delay_alu instid0(VALU_DEP_3) | instskip(SKIP_1) | instid1(VALU_DEP_3)
	v_dual_mul_f32 v43, v83, v47 :: v_dual_add_f32 v0, v0, v114
	v_fma_f32 v39, v84, v48, -v39
	v_dual_fmac_f32 v117, v87, v50 :: v_dual_add_f32 v40, v41, v40
	s_delay_alu instid0(VALU_DEP_3) | instskip(SKIP_3) | instid1(VALU_DEP_4)
	v_fma_f32 v42, v82, v46, -v43
	v_mul_f32_e32 v41, v87, v51
	v_add_f32_e32 v0, v0, v115
	v_dual_fmac_f32 v118, v89, v52 :: v_dual_fmac_f32 v119, v91, v54
	v_add_f32_e32 v40, v40, v42
	v_mul_f32_e32 v42, v89, v53
	v_fma_f32 v41, v86, v50, -v41
	s_wait_loadcnt_dscnt 0x504
	v_dual_mul_f32 v120, v92, v57 :: v_dual_mul_f32 v121, v94, v59
	v_add_f32_e32 v39, v40, v39
	v_add_f32_e32 v0, v0, v116
	v_mul_f32_e32 v40, v91, v55
	v_fma_f32 v42, v88, v52, -v42
	v_dual_fmac_f32 v120, v93, v56 :: v_dual_fmac_f32 v121, v95, v58
	v_add_f32_e32 v39, v39, v41
	v_add_f32_e32 v0, v0, v117
	v_mul_f32_e32 v41, v93, v57
	v_fma_f32 v40, v90, v54, -v40
	s_wait_loadcnt_dscnt 0x403
	v_dual_mul_f32 v122, v96, v61 :: v_dual_mul_f32 v123, v98, v63
	v_add_f32_e32 v39, v39, v42
	v_add_f32_e32 v0, v0, v118
	v_mul_f32_e32 v42, v95, v59
	v_fma_f32 v41, v92, v56, -v41
	s_wait_loadcnt_dscnt 0x302
	v_dual_mul_f32 v124, v100, v65 :: v_dual_mul_f32 v125, v102, v67
	v_dual_add_f32 v39, v39, v40 :: v_dual_add_f32 v0, v0, v119
	v_mul_f32_e32 v40, v97, v61
	v_fma_f32 v42, v94, v58, -v42
	v_dual_fmac_f32 v122, v97, v60 :: v_dual_fmac_f32 v123, v99, v62
	s_delay_alu instid0(VALU_DEP_4) | instskip(SKIP_3) | instid1(VALU_DEP_4)
	v_dual_add_f32 v39, v39, v41 :: v_dual_add_f32 v0, v0, v120
	v_mul_f32_e32 v41, v99, v63
	v_fma_f32 v40, v96, v60, -v40
	v_fmac_f32_e32 v125, v103, v66
	v_dual_add_f32 v39, v39, v42 :: v_dual_add_f32 v0, v0, v121
	v_mul_f32_e32 v42, v101, v65
	v_fma_f32 v41, v98, v62, -v41
	s_wait_loadcnt_dscnt 0x201
	v_dual_mul_f32 v126, v104, v69 :: v_dual_mul_f32 v127, v106, v71
	v_dual_add_f32 v39, v39, v40 :: v_dual_add_f32 v0, v0, v122
	v_mul_f32_e32 v40, v103, v67
	v_fma_f32 v42, v100, v64, -v42
	s_delay_alu instid0(VALU_DEP_4) | instskip(NEXT) | instid1(VALU_DEP_4)
	v_fmac_f32_e32 v127, v107, v70
	v_dual_add_f32 v39, v39, v41 :: v_dual_fmac_f32 v124, v101, v64
	v_mul_f32_e32 v41, v105, v69
	v_fma_f32 v40, v102, v66, -v40
	s_wait_loadcnt_dscnt 0x100
	v_dual_mul_f32 v128, v108, v73 :: v_dual_mul_f32 v129, v110, v75
	v_dual_add_f32 v39, v39, v42 :: v_dual_add_f32 v0, v0, v123
	v_mul_f32_e32 v42, v107, v71
	v_fma_f32 v41, v104, v68, -v41
	s_delay_alu instid0(VALU_DEP_4) | instskip(NEXT) | instid1(VALU_DEP_4)
	v_dual_fmac_f32 v128, v109, v72 :: v_dual_fmac_f32 v129, v111, v74
	v_add_f32_e32 v39, v39, v40
	v_add_f32_e32 v0, v0, v124
	v_fmac_f32_e32 v126, v105, v68
	v_fma_f32 v42, v106, v70, -v42
	s_delay_alu instid0(VALU_DEP_4) | instskip(NEXT) | instid1(VALU_DEP_4)
	v_add_f32_e32 v39, v39, v41
	v_dual_add_f32 v0, v0, v125 :: v_dual_mul_f32 v41, v111, v75
	s_delay_alu instid0(VALU_DEP_2) | instskip(NEXT) | instid1(VALU_DEP_2)
	v_dual_mul_f32 v40, v109, v73 :: v_dual_add_f32 v39, v39, v42
	v_fma_f32 v41, v110, v74, -v41
	s_delay_alu instid0(VALU_DEP_2) | instskip(NEXT) | instid1(VALU_DEP_1)
	v_fma_f32 v40, v108, v72, -v40
	v_dual_add_f32 v0, v0, v126 :: v_dual_add_f32 v39, v39, v40
	s_delay_alu instid0(VALU_DEP_1) | instskip(NEXT) | instid1(VALU_DEP_1)
	v_dual_add_f32 v0, v0, v127 :: v_dual_add_f32 v39, v39, v41
	v_add_f32_e32 v0, v0, v128
	s_delay_alu instid0(VALU_DEP_1) | instskip(SKIP_1) | instid1(VALU_DEP_1)
	v_add_f32_e32 v0, v0, v129
	s_wait_loadcnt 0x0
	v_dual_sub_f32 v39, v112, v39 :: v_dual_sub_f32 v40, v113, v0
	scratch_store_b64 off, v[39:40], off
	s_wait_alu 0xfffe
	s_cbranch_vccz .LBB82_164
; %bb.128:
	v_mov_b32_e32 v0, 0
	global_load_b32 v39, v0, s[2:3] offset:68
	s_wait_loadcnt 0x0
	v_cmp_ne_u32_e32 vcc_lo, 18, v39
	s_cbranch_vccz .LBB82_130
; %bb.129:
	v_lshlrev_b32_e32 v39, 3, v39
	s_delay_alu instid0(VALU_DEP_1)
	v_mov_b32_e32 v43, v39
	scratch_load_b64 v[39:40], v43, off offset:-8
	scratch_load_b64 v[41:42], off, off offset:136
	s_wait_loadcnt 0x1
	scratch_store_b64 off, v[39:40], off offset:136
	s_wait_loadcnt 0x0
	scratch_store_b64 v43, v[41:42], off offset:-8
.LBB82_130:
	global_load_b32 v0, v0, s[2:3] offset:64
	s_wait_loadcnt 0x0
	v_cmp_eq_u32_e32 vcc_lo, 17, v0
	s_cbranch_vccnz .LBB82_132
; %bb.131:
	v_lshlrev_b32_e32 v0, 3, v0
	scratch_load_b64 v[39:40], v0, off offset:-8
	scratch_load_b64 v[41:42], off, off offset:128
	s_wait_loadcnt 0x1
	scratch_store_b64 off, v[39:40], off offset:128
	s_wait_loadcnt 0x0
	scratch_store_b64 v0, v[41:42], off offset:-8
.LBB82_132:
	v_mov_b32_e32 v0, 0
	global_load_b32 v39, v0, s[2:3] offset:60
	s_wait_loadcnt 0x0
	v_cmp_eq_u32_e32 vcc_lo, 16, v39
	s_cbranch_vccnz .LBB82_134
; %bb.133:
	v_lshlrev_b32_e32 v39, 3, v39
	s_delay_alu instid0(VALU_DEP_1)
	v_mov_b32_e32 v43, v39
	scratch_load_b64 v[39:40], v43, off offset:-8
	scratch_load_b64 v[41:42], off, off offset:120
	s_wait_loadcnt 0x1
	scratch_store_b64 off, v[39:40], off offset:120
	s_wait_loadcnt 0x0
	scratch_store_b64 v43, v[41:42], off offset:-8
.LBB82_134:
	global_load_b32 v0, v0, s[2:3] offset:56
	s_wait_loadcnt 0x0
	v_cmp_eq_u32_e32 vcc_lo, 15, v0
	s_cbranch_vccnz .LBB82_136
; %bb.135:
	v_lshlrev_b32_e32 v0, 3, v0
	scratch_load_b64 v[39:40], v0, off offset:-8
	scratch_load_b64 v[41:42], off, off offset:112
	s_wait_loadcnt 0x1
	scratch_store_b64 off, v[39:40], off offset:112
	s_wait_loadcnt 0x0
	scratch_store_b64 v0, v[41:42], off offset:-8
.LBB82_136:
	v_mov_b32_e32 v0, 0
	global_load_b32 v39, v0, s[2:3] offset:52
	s_wait_loadcnt 0x0
	v_cmp_eq_u32_e32 vcc_lo, 14, v39
	s_cbranch_vccnz .LBB82_138
; %bb.137:
	v_lshlrev_b32_e32 v39, 3, v39
	s_delay_alu instid0(VALU_DEP_1)
	v_mov_b32_e32 v43, v39
	scratch_load_b64 v[39:40], v43, off offset:-8
	scratch_load_b64 v[41:42], off, off offset:104
	s_wait_loadcnt 0x1
	scratch_store_b64 off, v[39:40], off offset:104
	s_wait_loadcnt 0x0
	scratch_store_b64 v43, v[41:42], off offset:-8
.LBB82_138:
	global_load_b32 v0, v0, s[2:3] offset:48
	s_wait_loadcnt 0x0
	v_cmp_eq_u32_e32 vcc_lo, 13, v0
	s_cbranch_vccnz .LBB82_140
; %bb.139:
	v_lshlrev_b32_e32 v0, 3, v0
	scratch_load_b64 v[39:40], v0, off offset:-8
	scratch_load_b64 v[41:42], off, off offset:96
	s_wait_loadcnt 0x1
	scratch_store_b64 off, v[39:40], off offset:96
	s_wait_loadcnt 0x0
	scratch_store_b64 v0, v[41:42], off offset:-8
.LBB82_140:
	v_mov_b32_e32 v0, 0
	global_load_b32 v39, v0, s[2:3] offset:44
	s_wait_loadcnt 0x0
	v_cmp_eq_u32_e32 vcc_lo, 12, v39
	s_cbranch_vccnz .LBB82_142
; %bb.141:
	v_lshlrev_b32_e32 v39, 3, v39
	s_delay_alu instid0(VALU_DEP_1)
	v_mov_b32_e32 v43, v39
	scratch_load_b64 v[39:40], v43, off offset:-8
	scratch_load_b64 v[41:42], off, off offset:88
	s_wait_loadcnt 0x1
	scratch_store_b64 off, v[39:40], off offset:88
	s_wait_loadcnt 0x0
	scratch_store_b64 v43, v[41:42], off offset:-8
.LBB82_142:
	global_load_b32 v0, v0, s[2:3] offset:40
	s_wait_loadcnt 0x0
	v_cmp_eq_u32_e32 vcc_lo, 11, v0
	s_cbranch_vccnz .LBB82_144
; %bb.143:
	v_lshlrev_b32_e32 v0, 3, v0
	scratch_load_b64 v[39:40], v0, off offset:-8
	scratch_load_b64 v[41:42], off, off offset:80
	s_wait_loadcnt 0x1
	scratch_store_b64 off, v[39:40], off offset:80
	s_wait_loadcnt 0x0
	scratch_store_b64 v0, v[41:42], off offset:-8
.LBB82_144:
	v_mov_b32_e32 v0, 0
	global_load_b32 v39, v0, s[2:3] offset:36
	s_wait_loadcnt 0x0
	v_cmp_eq_u32_e32 vcc_lo, 10, v39
	s_cbranch_vccnz .LBB82_146
; %bb.145:
	v_lshlrev_b32_e32 v39, 3, v39
	s_delay_alu instid0(VALU_DEP_1)
	v_mov_b32_e32 v43, v39
	scratch_load_b64 v[39:40], v43, off offset:-8
	scratch_load_b64 v[41:42], off, off offset:72
	s_wait_loadcnt 0x1
	scratch_store_b64 off, v[39:40], off offset:72
	s_wait_loadcnt 0x0
	scratch_store_b64 v43, v[41:42], off offset:-8
.LBB82_146:
	global_load_b32 v0, v0, s[2:3] offset:32
	s_wait_loadcnt 0x0
	v_cmp_eq_u32_e32 vcc_lo, 9, v0
	s_cbranch_vccnz .LBB82_148
; %bb.147:
	v_lshlrev_b32_e32 v0, 3, v0
	scratch_load_b64 v[39:40], v0, off offset:-8
	scratch_load_b64 v[41:42], off, off offset:64
	s_wait_loadcnt 0x1
	scratch_store_b64 off, v[39:40], off offset:64
	s_wait_loadcnt 0x0
	scratch_store_b64 v0, v[41:42], off offset:-8
.LBB82_148:
	v_mov_b32_e32 v0, 0
	global_load_b32 v39, v0, s[2:3] offset:28
	s_wait_loadcnt 0x0
	v_cmp_eq_u32_e32 vcc_lo, 8, v39
	s_cbranch_vccnz .LBB82_150
; %bb.149:
	v_lshlrev_b32_e32 v39, 3, v39
	s_delay_alu instid0(VALU_DEP_1)
	v_mov_b32_e32 v43, v39
	scratch_load_b64 v[39:40], v43, off offset:-8
	scratch_load_b64 v[41:42], off, off offset:56
	s_wait_loadcnt 0x1
	scratch_store_b64 off, v[39:40], off offset:56
	s_wait_loadcnt 0x0
	scratch_store_b64 v43, v[41:42], off offset:-8
.LBB82_150:
	global_load_b32 v0, v0, s[2:3] offset:24
	s_wait_loadcnt 0x0
	v_cmp_eq_u32_e32 vcc_lo, 7, v0
	s_cbranch_vccnz .LBB82_152
; %bb.151:
	v_lshlrev_b32_e32 v0, 3, v0
	scratch_load_b64 v[39:40], v0, off offset:-8
	scratch_load_b64 v[41:42], off, off offset:48
	s_wait_loadcnt 0x1
	scratch_store_b64 off, v[39:40], off offset:48
	s_wait_loadcnt 0x0
	scratch_store_b64 v0, v[41:42], off offset:-8
.LBB82_152:
	v_mov_b32_e32 v0, 0
	global_load_b32 v39, v0, s[2:3] offset:20
	s_wait_loadcnt 0x0
	v_cmp_eq_u32_e32 vcc_lo, 6, v39
	s_cbranch_vccnz .LBB82_154
; %bb.153:
	v_lshlrev_b32_e32 v39, 3, v39
	s_delay_alu instid0(VALU_DEP_1)
	v_mov_b32_e32 v43, v39
	scratch_load_b64 v[39:40], v43, off offset:-8
	scratch_load_b64 v[41:42], off, off offset:40
	s_wait_loadcnt 0x1
	scratch_store_b64 off, v[39:40], off offset:40
	s_wait_loadcnt 0x0
	scratch_store_b64 v43, v[41:42], off offset:-8
.LBB82_154:
	global_load_b32 v0, v0, s[2:3] offset:16
	s_wait_loadcnt 0x0
	v_cmp_eq_u32_e32 vcc_lo, 5, v0
	s_cbranch_vccnz .LBB82_156
; %bb.155:
	v_lshlrev_b32_e32 v0, 3, v0
	scratch_load_b64 v[39:40], v0, off offset:-8
	scratch_load_b64 v[41:42], off, off offset:32
	s_wait_loadcnt 0x1
	scratch_store_b64 off, v[39:40], off offset:32
	s_wait_loadcnt 0x0
	scratch_store_b64 v0, v[41:42], off offset:-8
.LBB82_156:
	v_mov_b32_e32 v0, 0
	global_load_b32 v39, v0, s[2:3] offset:12
	s_wait_loadcnt 0x0
	v_cmp_eq_u32_e32 vcc_lo, 4, v39
	s_cbranch_vccnz .LBB82_158
; %bb.157:
	v_lshlrev_b32_e32 v39, 3, v39
	s_delay_alu instid0(VALU_DEP_1)
	v_mov_b32_e32 v43, v39
	scratch_load_b64 v[39:40], v43, off offset:-8
	scratch_load_b64 v[41:42], off, off offset:24
	s_wait_loadcnt 0x1
	scratch_store_b64 off, v[39:40], off offset:24
	s_wait_loadcnt 0x0
	scratch_store_b64 v43, v[41:42], off offset:-8
.LBB82_158:
	global_load_b32 v0, v0, s[2:3] offset:8
	s_wait_loadcnt 0x0
	v_cmp_eq_u32_e32 vcc_lo, 3, v0
	s_cbranch_vccnz .LBB82_160
; %bb.159:
	v_lshlrev_b32_e32 v0, 3, v0
	scratch_load_b64 v[39:40], v0, off offset:-8
	scratch_load_b64 v[41:42], off, off offset:16
	s_wait_loadcnt 0x1
	scratch_store_b64 off, v[39:40], off offset:16
	s_wait_loadcnt 0x0
	scratch_store_b64 v0, v[41:42], off offset:-8
.LBB82_160:
	v_mov_b32_e32 v0, 0
	global_load_b32 v39, v0, s[2:3] offset:4
	s_wait_loadcnt 0x0
	v_cmp_eq_u32_e32 vcc_lo, 2, v39
	s_cbranch_vccnz .LBB82_162
; %bb.161:
	v_lshlrev_b32_e32 v39, 3, v39
	s_delay_alu instid0(VALU_DEP_1)
	v_mov_b32_e32 v43, v39
	scratch_load_b64 v[39:40], v43, off offset:-8
	scratch_load_b64 v[41:42], off, off offset:8
	s_wait_loadcnt 0x1
	scratch_store_b64 off, v[39:40], off offset:8
	s_wait_loadcnt 0x0
	scratch_store_b64 v43, v[41:42], off offset:-8
.LBB82_162:
	global_load_b32 v0, v0, s[2:3]
	s_wait_loadcnt 0x0
	v_cmp_eq_u32_e32 vcc_lo, 1, v0
	s_cbranch_vccnz .LBB82_164
; %bb.163:
	v_lshlrev_b32_e32 v0, 3, v0
	scratch_load_b64 v[39:40], v0, off offset:-8
	scratch_load_b64 v[41:42], off, off
	s_wait_loadcnt 0x1
	scratch_store_b64 off, v[39:40], off
	s_wait_loadcnt 0x0
	scratch_store_b64 v0, v[41:42], off offset:-8
.LBB82_164:
	scratch_load_b64 v[39:40], off, off
	s_wait_loadcnt 0x0
	flat_store_b64 v[1:2], v[39:40]
	scratch_load_b64 v[0:1], off, off offset:8
	s_wait_loadcnt 0x0
	flat_store_b64 v[3:4], v[0:1]
	scratch_load_b64 v[0:1], off, off offset:16
	;; [unrolled: 3-line block ×18, first 2 shown]
	s_wait_loadcnt 0x0
	flat_store_b64 v[37:38], v[0:1]
	s_nop 0
	s_sendmsg sendmsg(MSG_DEALLOC_VGPRS)
	s_endpgm
	.section	.rodata,"a",@progbits
	.p2align	6, 0x0
	.amdhsa_kernel _ZN9rocsolver6v33100L18getri_kernel_smallILi19E19rocblas_complex_numIfEPKPS3_EEvT1_iilPiilS8_bb
		.amdhsa_group_segment_fixed_size 312
		.amdhsa_private_segment_fixed_size 160
		.amdhsa_kernarg_size 60
		.amdhsa_user_sgpr_count 2
		.amdhsa_user_sgpr_dispatch_ptr 0
		.amdhsa_user_sgpr_queue_ptr 0
		.amdhsa_user_sgpr_kernarg_segment_ptr 1
		.amdhsa_user_sgpr_dispatch_id 0
		.amdhsa_user_sgpr_private_segment_size 0
		.amdhsa_wavefront_size32 1
		.amdhsa_uses_dynamic_stack 0
		.amdhsa_enable_private_segment 1
		.amdhsa_system_sgpr_workgroup_id_x 1
		.amdhsa_system_sgpr_workgroup_id_y 0
		.amdhsa_system_sgpr_workgroup_id_z 0
		.amdhsa_system_sgpr_workgroup_info 0
		.amdhsa_system_vgpr_workitem_id 0
		.amdhsa_next_free_vgpr 130
		.amdhsa_next_free_sgpr 19
		.amdhsa_reserve_vcc 1
		.amdhsa_float_round_mode_32 0
		.amdhsa_float_round_mode_16_64 0
		.amdhsa_float_denorm_mode_32 3
		.amdhsa_float_denorm_mode_16_64 3
		.amdhsa_fp16_overflow 0
		.amdhsa_workgroup_processor_mode 1
		.amdhsa_memory_ordered 1
		.amdhsa_forward_progress 1
		.amdhsa_inst_pref_size 153
		.amdhsa_round_robin_scheduling 0
		.amdhsa_exception_fp_ieee_invalid_op 0
		.amdhsa_exception_fp_denorm_src 0
		.amdhsa_exception_fp_ieee_div_zero 0
		.amdhsa_exception_fp_ieee_overflow 0
		.amdhsa_exception_fp_ieee_underflow 0
		.amdhsa_exception_fp_ieee_inexact 0
		.amdhsa_exception_int_div_zero 0
	.end_amdhsa_kernel
	.section	.text._ZN9rocsolver6v33100L18getri_kernel_smallILi19E19rocblas_complex_numIfEPKPS3_EEvT1_iilPiilS8_bb,"axG",@progbits,_ZN9rocsolver6v33100L18getri_kernel_smallILi19E19rocblas_complex_numIfEPKPS3_EEvT1_iilPiilS8_bb,comdat
.Lfunc_end82:
	.size	_ZN9rocsolver6v33100L18getri_kernel_smallILi19E19rocblas_complex_numIfEPKPS3_EEvT1_iilPiilS8_bb, .Lfunc_end82-_ZN9rocsolver6v33100L18getri_kernel_smallILi19E19rocblas_complex_numIfEPKPS3_EEvT1_iilPiilS8_bb
                                        ; -- End function
	.set _ZN9rocsolver6v33100L18getri_kernel_smallILi19E19rocblas_complex_numIfEPKPS3_EEvT1_iilPiilS8_bb.num_vgpr, 130
	.set _ZN9rocsolver6v33100L18getri_kernel_smallILi19E19rocblas_complex_numIfEPKPS3_EEvT1_iilPiilS8_bb.num_agpr, 0
	.set _ZN9rocsolver6v33100L18getri_kernel_smallILi19E19rocblas_complex_numIfEPKPS3_EEvT1_iilPiilS8_bb.numbered_sgpr, 19
	.set _ZN9rocsolver6v33100L18getri_kernel_smallILi19E19rocblas_complex_numIfEPKPS3_EEvT1_iilPiilS8_bb.num_named_barrier, 0
	.set _ZN9rocsolver6v33100L18getri_kernel_smallILi19E19rocblas_complex_numIfEPKPS3_EEvT1_iilPiilS8_bb.private_seg_size, 160
	.set _ZN9rocsolver6v33100L18getri_kernel_smallILi19E19rocblas_complex_numIfEPKPS3_EEvT1_iilPiilS8_bb.uses_vcc, 1
	.set _ZN9rocsolver6v33100L18getri_kernel_smallILi19E19rocblas_complex_numIfEPKPS3_EEvT1_iilPiilS8_bb.uses_flat_scratch, 1
	.set _ZN9rocsolver6v33100L18getri_kernel_smallILi19E19rocblas_complex_numIfEPKPS3_EEvT1_iilPiilS8_bb.has_dyn_sized_stack, 0
	.set _ZN9rocsolver6v33100L18getri_kernel_smallILi19E19rocblas_complex_numIfEPKPS3_EEvT1_iilPiilS8_bb.has_recursion, 0
	.set _ZN9rocsolver6v33100L18getri_kernel_smallILi19E19rocblas_complex_numIfEPKPS3_EEvT1_iilPiilS8_bb.has_indirect_call, 0
	.section	.AMDGPU.csdata,"",@progbits
; Kernel info:
; codeLenInByte = 19472
; TotalNumSgprs: 21
; NumVgprs: 130
; ScratchSize: 160
; MemoryBound: 0
; FloatMode: 240
; IeeeMode: 1
; LDSByteSize: 312 bytes/workgroup (compile time only)
; SGPRBlocks: 0
; VGPRBlocks: 16
; NumSGPRsForWavesPerEU: 21
; NumVGPRsForWavesPerEU: 130
; Occupancy: 10
; WaveLimiterHint : 1
; COMPUTE_PGM_RSRC2:SCRATCH_EN: 1
; COMPUTE_PGM_RSRC2:USER_SGPR: 2
; COMPUTE_PGM_RSRC2:TRAP_HANDLER: 0
; COMPUTE_PGM_RSRC2:TGID_X_EN: 1
; COMPUTE_PGM_RSRC2:TGID_Y_EN: 0
; COMPUTE_PGM_RSRC2:TGID_Z_EN: 0
; COMPUTE_PGM_RSRC2:TIDIG_COMP_CNT: 0
	.section	.text._ZN9rocsolver6v33100L18getri_kernel_smallILi20E19rocblas_complex_numIfEPKPS3_EEvT1_iilPiilS8_bb,"axG",@progbits,_ZN9rocsolver6v33100L18getri_kernel_smallILi20E19rocblas_complex_numIfEPKPS3_EEvT1_iilPiilS8_bb,comdat
	.globl	_ZN9rocsolver6v33100L18getri_kernel_smallILi20E19rocblas_complex_numIfEPKPS3_EEvT1_iilPiilS8_bb ; -- Begin function _ZN9rocsolver6v33100L18getri_kernel_smallILi20E19rocblas_complex_numIfEPKPS3_EEvT1_iilPiilS8_bb
	.p2align	8
	.type	_ZN9rocsolver6v33100L18getri_kernel_smallILi20E19rocblas_complex_numIfEPKPS3_EEvT1_iilPiilS8_bb,@function
_ZN9rocsolver6v33100L18getri_kernel_smallILi20E19rocblas_complex_numIfEPKPS3_EEvT1_iilPiilS8_bb: ; @_ZN9rocsolver6v33100L18getri_kernel_smallILi20E19rocblas_complex_numIfEPKPS3_EEvT1_iilPiilS8_bb
; %bb.0:
	s_mov_b32 s2, exec_lo
	v_cmpx_gt_u32_e32 20, v0
	s_cbranch_execz .LBB83_94
; %bb.1:
	s_clause 0x1
	s_load_b32 s13, s[0:1], 0x38
	s_load_b64 s[2:3], s[0:1], 0x0
	s_mov_b32 s8, ttmp9
	s_load_b128 s[4:7], s[0:1], 0x28
	s_wait_kmcnt 0x0
	s_bitcmp1_b32 s13, 8
	s_cselect_b32 s12, -1, 0
	s_ashr_i32 s9, ttmp9, 31
	s_delay_alu instid0(SALU_CYCLE_1) | instskip(NEXT) | instid1(SALU_CYCLE_1)
	s_lshl_b64 s[10:11], s[8:9], 3
	s_add_nc_u64 s[2:3], s[2:3], s[10:11]
	s_load_b64 s[10:11], s[2:3], 0x0
	s_bfe_u32 s2, s13, 0x10008
	s_delay_alu instid0(SALU_CYCLE_1)
	s_cmp_eq_u32 s2, 0
                                        ; implicit-def: $sgpr2_sgpr3
	s_cbranch_scc1 .LBB83_3
; %bb.2:
	s_load_b96 s[16:18], s[0:1], 0x18
	s_mul_u64 s[2:3], s[4:5], s[8:9]
	s_delay_alu instid0(SALU_CYCLE_1)
	s_lshl_b64 s[2:3], s[2:3], 2
	s_wait_kmcnt 0x0
	s_ashr_i32 s5, s18, 31
	s_mov_b32 s4, s18
	s_add_nc_u64 s[2:3], s[16:17], s[2:3]
	s_lshl_b64 s[4:5], s[4:5], 2
	s_delay_alu instid0(SALU_CYCLE_1)
	s_add_nc_u64 s[2:3], s[2:3], s[4:5]
.LBB83_3:
	s_clause 0x1
	s_load_b64 s[4:5], s[0:1], 0x8
	s_load_b32 s13, s[0:1], 0x38
	v_lshlrev_b32_e32 v47, 3, v0
	s_wait_kmcnt 0x0
	s_ashr_i32 s1, s4, 31
	s_mov_b32 s0, s4
	v_add3_u32 v9, s5, s5, v0
	s_lshl_b64 s[0:1], s[0:1], 3
	s_delay_alu instid0(SALU_CYCLE_1)
	s_add_nc_u64 s[0:1], s[10:11], s[0:1]
	s_ashr_i32 s11, s5, 31
	v_add_co_u32 v1, s4, s0, v47
	s_wait_alu 0xf1ff
	v_add_co_ci_u32_e64 v2, null, s1, 0, s4
	s_mov_b32 s10, s5
	v_ashrrev_i32_e32 v10, 31, v9
	s_lshl_b64 s[10:11], s[10:11], 3
	flat_load_b64 v[5:6], v[1:2]
	v_add_co_u32 v3, vcc_lo, v1, s10
	s_delay_alu instid0(VALU_DEP_1) | instskip(SKIP_2) | instid1(VALU_DEP_1)
	v_add_co_ci_u32_e64 v4, null, s11, v2, vcc_lo
	v_add_nc_u32_e32 v12, s5, v9
	s_bitcmp0_b32 s13, 0
	v_ashrrev_i32_e32 v13, 31, v12
	s_wait_loadcnt_dscnt 0x0
	scratch_store_b64 off, v[5:6], off
	flat_load_b64 v[7:8], v[3:4]
	v_lshlrev_b64_e32 v[5:6], 3, v[9:10]
	s_delay_alu instid0(VALU_DEP_1) | instskip(SKIP_1) | instid1(VALU_DEP_2)
	v_add_co_u32 v5, vcc_lo, s0, v5
	s_wait_alu 0xfffd
	v_add_co_ci_u32_e64 v6, null, s1, v6, vcc_lo
	s_wait_loadcnt_dscnt 0x0
	scratch_store_b64 off, v[7:8], off offset:8
	flat_load_b64 v[10:11], v[5:6]
	v_lshlrev_b64_e32 v[7:8], 3, v[12:13]
	s_delay_alu instid0(VALU_DEP_1) | instskip(SKIP_1) | instid1(VALU_DEP_2)
	v_add_co_u32 v7, vcc_lo, s0, v7
	s_wait_alu 0xfffd
	v_add_co_ci_u32_e64 v8, null, s1, v8, vcc_lo
	s_wait_loadcnt_dscnt 0x0
	scratch_store_b64 off, v[10:11], off offset:16
	flat_load_b64 v[13:14], v[7:8]
	v_add_nc_u32_e32 v11, s5, v12
	s_delay_alu instid0(VALU_DEP_1) | instskip(SKIP_1) | instid1(VALU_DEP_2)
	v_ashrrev_i32_e32 v12, 31, v11
	v_add_nc_u32_e32 v15, s5, v11
	v_lshlrev_b64_e32 v[9:10], 3, v[11:12]
	s_delay_alu instid0(VALU_DEP_2) | instskip(SKIP_1) | instid1(VALU_DEP_3)
	v_ashrrev_i32_e32 v16, 31, v15
	v_add_nc_u32_e32 v18, s5, v15
	v_add_co_u32 v9, vcc_lo, s0, v9
	s_wait_alu 0xfffd
	s_delay_alu instid0(VALU_DEP_4) | instskip(SKIP_2) | instid1(VALU_DEP_2)
	v_add_co_ci_u32_e64 v10, null, s1, v10, vcc_lo
	v_lshlrev_b64_e32 v[11:12], 3, v[15:16]
	v_ashrrev_i32_e32 v19, 31, v18
	v_add_co_u32 v11, vcc_lo, s0, v11
	s_wait_alu 0xfffd
	s_delay_alu instid0(VALU_DEP_3)
	v_add_co_ci_u32_e64 v12, null, s1, v12, vcc_lo
	s_wait_loadcnt_dscnt 0x0
	scratch_store_b64 off, v[13:14], off offset:24
	flat_load_b64 v[13:14], v[9:10]
	s_wait_loadcnt_dscnt 0x0
	scratch_store_b64 off, v[13:14], off offset:32
	flat_load_b64 v[16:17], v[11:12]
	v_lshlrev_b64_e32 v[13:14], 3, v[18:19]
	s_delay_alu instid0(VALU_DEP_1) | instskip(SKIP_1) | instid1(VALU_DEP_2)
	v_add_co_u32 v13, vcc_lo, s0, v13
	s_wait_alu 0xfffd
	v_add_co_ci_u32_e64 v14, null, s1, v14, vcc_lo
	s_wait_loadcnt_dscnt 0x0
	scratch_store_b64 off, v[16:17], off offset:40
	flat_load_b64 v[19:20], v[13:14]
	v_add_nc_u32_e32 v17, s5, v18
	s_delay_alu instid0(VALU_DEP_1) | instskip(SKIP_1) | instid1(VALU_DEP_2)
	v_ashrrev_i32_e32 v18, 31, v17
	v_add_nc_u32_e32 v21, s5, v17
	v_lshlrev_b64_e32 v[15:16], 3, v[17:18]
	s_delay_alu instid0(VALU_DEP_2) | instskip(SKIP_1) | instid1(VALU_DEP_3)
	v_ashrrev_i32_e32 v22, 31, v21
	v_add_nc_u32_e32 v24, s5, v21
	v_add_co_u32 v15, vcc_lo, s0, v15
	s_wait_alu 0xfffd
	s_delay_alu instid0(VALU_DEP_4) | instskip(SKIP_2) | instid1(VALU_DEP_2)
	v_add_co_ci_u32_e64 v16, null, s1, v16, vcc_lo
	v_lshlrev_b64_e32 v[17:18], 3, v[21:22]
	v_ashrrev_i32_e32 v25, 31, v24
	v_add_co_u32 v17, vcc_lo, s0, v17
	s_wait_alu 0xfffd
	s_delay_alu instid0(VALU_DEP_3)
	v_add_co_ci_u32_e64 v18, null, s1, v18, vcc_lo
	s_wait_loadcnt_dscnt 0x0
	scratch_store_b64 off, v[19:20], off offset:48
	flat_load_b64 v[19:20], v[15:16]
	;; [unrolled: 32-line block ×4, first 2 shown]
	s_wait_loadcnt_dscnt 0x0
	scratch_store_b64 off, v[31:32], off offset:104
	flat_load_b64 v[34:35], v[29:30]
	v_lshlrev_b64_e32 v[31:32], 3, v[36:37]
	s_delay_alu instid0(VALU_DEP_1) | instskip(SKIP_1) | instid1(VALU_DEP_2)
	v_add_co_u32 v31, vcc_lo, s0, v31
	s_wait_alu 0xfffd
	v_add_co_ci_u32_e64 v32, null, s1, v32, vcc_lo
	s_wait_loadcnt_dscnt 0x0
	scratch_store_b64 off, v[34:35], off offset:112
	flat_load_b64 v[37:38], v[31:32]
	v_add_nc_u32_e32 v35, s5, v36
	s_delay_alu instid0(VALU_DEP_1) | instskip(SKIP_1) | instid1(VALU_DEP_2)
	v_ashrrev_i32_e32 v36, 31, v35
	v_add_nc_u32_e32 v39, s5, v35
	v_lshlrev_b64_e32 v[33:34], 3, v[35:36]
	s_delay_alu instid0(VALU_DEP_2) | instskip(SKIP_1) | instid1(VALU_DEP_3)
	v_ashrrev_i32_e32 v40, 31, v39
	v_add_nc_u32_e32 v42, s5, v39
	v_add_co_u32 v33, vcc_lo, s0, v33
	s_wait_alu 0xfffd
	s_delay_alu instid0(VALU_DEP_4) | instskip(SKIP_3) | instid1(VALU_DEP_3)
	v_add_co_ci_u32_e64 v34, null, s1, v34, vcc_lo
	v_lshlrev_b64_e32 v[35:36], 3, v[39:40]
	v_ashrrev_i32_e32 v43, 31, v42
	v_add_nc_u32_e32 v39, s5, v42
	v_add_co_u32 v35, vcc_lo, s0, v35
	s_wait_alu 0xfffd
	s_delay_alu instid0(VALU_DEP_4)
	v_add_co_ci_u32_e64 v36, null, s1, v36, vcc_lo
	s_wait_loadcnt_dscnt 0x0
	scratch_store_b64 off, v[37:38], off offset:120
	flat_load_b64 v[37:38], v[33:34]
	s_wait_loadcnt_dscnt 0x0
	scratch_store_b64 off, v[37:38], off offset:128
	flat_load_b64 v[40:41], v[35:36]
	v_lshlrev_b64_e32 v[37:38], 3, v[42:43]
	s_delay_alu instid0(VALU_DEP_1) | instskip(SKIP_1) | instid1(VALU_DEP_2)
	v_add_co_u32 v37, vcc_lo, s0, v37
	s_wait_alu 0xfffd
	v_add_co_ci_u32_e64 v38, null, s1, v38, vcc_lo
	s_wait_loadcnt_dscnt 0x0
	scratch_store_b64 off, v[40:41], off offset:136
	flat_load_b64 v[43:44], v[37:38]
	v_ashrrev_i32_e32 v40, 31, v39
	s_delay_alu instid0(VALU_DEP_1) | instskip(NEXT) | instid1(VALU_DEP_1)
	v_lshlrev_b64_e32 v[39:40], 3, v[39:40]
	v_add_co_u32 v39, vcc_lo, s0, v39
	s_wait_alu 0xfffd
	s_delay_alu instid0(VALU_DEP_2)
	v_add_co_ci_u32_e64 v40, null, s1, v40, vcc_lo
	s_mov_b32 s1, -1
	s_wait_loadcnt_dscnt 0x0
	scratch_store_b64 off, v[43:44], off offset:144
	flat_load_b64 v[41:42], v[39:40]
	s_wait_loadcnt_dscnt 0x0
	scratch_store_b64 off, v[41:42], off offset:152
	s_cbranch_scc1 .LBB83_92
; %bb.4:
	v_cmp_eq_u32_e64 s0, 0, v0
	s_and_saveexec_b32 s1, s0
; %bb.5:
	v_mov_b32_e32 v41, 0
	ds_store_b32 v41, v41 offset:320
; %bb.6:
	s_wait_alu 0xfffe
	s_or_b32 exec_lo, exec_lo, s1
	s_wait_storecnt_dscnt 0x0
	s_barrier_signal -1
	s_barrier_wait -1
	global_inv scope:SCOPE_SE
	scratch_load_b64 v[41:42], v47, off
	s_wait_loadcnt 0x0
	v_cmp_eq_f32_e32 vcc_lo, 0, v41
	v_cmp_eq_f32_e64 s1, 0, v42
	s_and_b32 s1, vcc_lo, s1
	s_wait_alu 0xfffe
	s_and_saveexec_b32 s4, s1
	s_cbranch_execz .LBB83_10
; %bb.7:
	v_mov_b32_e32 v41, 0
	s_mov_b32 s5, 0
	ds_load_b32 v42, v41 offset:320
	s_wait_dscnt 0x0
	v_readfirstlane_b32 s1, v42
	v_add_nc_u32_e32 v42, 1, v0
	s_cmp_eq_u32 s1, 0
	s_delay_alu instid0(VALU_DEP_1)
	v_cmp_gt_i32_e32 vcc_lo, s1, v42
	s_cselect_b32 s10, -1, 0
	s_wait_alu 0xfffe
	s_or_b32 s10, s10, vcc_lo
	s_wait_alu 0xfffe
	s_and_b32 exec_lo, exec_lo, s10
	s_cbranch_execz .LBB83_10
; %bb.8:
	v_mov_b32_e32 v43, s1
.LBB83_9:                               ; =>This Inner Loop Header: Depth=1
	ds_cmpstore_rtn_b32 v43, v41, v42, v43 offset:320
	s_wait_dscnt 0x0
	v_cmp_ne_u32_e32 vcc_lo, 0, v43
	v_cmp_le_i32_e64 s1, v43, v42
	s_and_b32 s1, vcc_lo, s1
	s_wait_alu 0xfffe
	s_and_b32 s1, exec_lo, s1
	s_wait_alu 0xfffe
	s_or_b32 s5, s1, s5
	s_wait_alu 0xfffe
	s_and_not1_b32 exec_lo, exec_lo, s5
	s_cbranch_execnz .LBB83_9
.LBB83_10:
	s_wait_alu 0xfffe
	s_or_b32 exec_lo, exec_lo, s4
	v_mov_b32_e32 v41, 0
	s_barrier_signal -1
	s_barrier_wait -1
	global_inv scope:SCOPE_SE
	ds_load_b32 v42, v41 offset:320
	s_and_saveexec_b32 s1, s0
	s_cbranch_execz .LBB83_12
; %bb.11:
	s_lshl_b64 s[4:5], s[8:9], 2
	s_wait_alu 0xfffe
	s_add_nc_u64 s[4:5], s[6:7], s[4:5]
	s_wait_dscnt 0x0
	global_store_b32 v41, v42, s[4:5]
.LBB83_12:
	s_wait_alu 0xfffe
	s_or_b32 exec_lo, exec_lo, s1
	s_wait_dscnt 0x0
	v_cmp_ne_u32_e32 vcc_lo, 0, v42
	s_mov_b32 s1, 0
	s_cbranch_vccnz .LBB83_92
; %bb.13:
	v_mov_b32_e32 v48, v47
                                        ; implicit-def: $vgpr43
                                        ; implicit-def: $vgpr45
	scratch_load_b64 v[41:42], v48, off
	s_wait_loadcnt 0x0
	v_cmp_ngt_f32_e64 s1, |v41|, |v42|
	s_wait_alu 0xfffe
	s_and_saveexec_b32 s4, s1
	s_wait_alu 0xfffe
	s_xor_b32 s1, exec_lo, s4
	s_cbranch_execz .LBB83_15
; %bb.14:
	v_div_scale_f32 v43, null, v42, v42, v41
	v_div_scale_f32 v46, vcc_lo, v41, v42, v41
	s_delay_alu instid0(VALU_DEP_2) | instskip(NEXT) | instid1(TRANS32_DEP_1)
	v_rcp_f32_e32 v44, v43
	v_fma_f32 v45, -v43, v44, 1.0
	s_delay_alu instid0(VALU_DEP_1) | instskip(NEXT) | instid1(VALU_DEP_1)
	v_fmac_f32_e32 v44, v45, v44
	v_mul_f32_e32 v45, v46, v44
	s_delay_alu instid0(VALU_DEP_1) | instskip(NEXT) | instid1(VALU_DEP_1)
	v_fma_f32 v49, -v43, v45, v46
	v_fmac_f32_e32 v45, v49, v44
	s_delay_alu instid0(VALU_DEP_1) | instskip(SKIP_1) | instid1(VALU_DEP_1)
	v_fma_f32 v43, -v43, v45, v46
	s_wait_alu 0xfffd
	v_div_fmas_f32 v43, v43, v44, v45
	s_delay_alu instid0(VALU_DEP_1) | instskip(NEXT) | instid1(VALU_DEP_1)
	v_div_fixup_f32 v43, v43, v42, v41
	v_fmac_f32_e32 v42, v41, v43
	s_delay_alu instid0(VALU_DEP_1) | instskip(NEXT) | instid1(VALU_DEP_1)
	v_div_scale_f32 v41, null, v42, v42, 1.0
	v_rcp_f32_e32 v44, v41
	s_delay_alu instid0(TRANS32_DEP_1) | instskip(NEXT) | instid1(VALU_DEP_1)
	v_fma_f32 v45, -v41, v44, 1.0
	v_fmac_f32_e32 v44, v45, v44
	v_div_scale_f32 v45, vcc_lo, 1.0, v42, 1.0
	s_delay_alu instid0(VALU_DEP_1) | instskip(NEXT) | instid1(VALU_DEP_1)
	v_mul_f32_e32 v46, v45, v44
	v_fma_f32 v49, -v41, v46, v45
	s_delay_alu instid0(VALU_DEP_1) | instskip(NEXT) | instid1(VALU_DEP_1)
	v_fmac_f32_e32 v46, v49, v44
	v_fma_f32 v41, -v41, v46, v45
	s_wait_alu 0xfffd
	s_delay_alu instid0(VALU_DEP_1) | instskip(NEXT) | instid1(VALU_DEP_1)
	v_div_fmas_f32 v41, v41, v44, v46
	v_div_fixup_f32 v41, v41, v42, 1.0
	s_delay_alu instid0(VALU_DEP_1) | instskip(SKIP_1) | instid1(VALU_DEP_2)
	v_mul_f32_e32 v43, v43, v41
	v_xor_b32_e32 v44, 0x80000000, v41
                                        ; implicit-def: $vgpr41_vgpr42
	v_xor_b32_e32 v45, 0x80000000, v43
.LBB83_15:
	s_wait_alu 0xfffe
	s_and_not1_saveexec_b32 s1, s1
	s_cbranch_execz .LBB83_17
; %bb.16:
	v_div_scale_f32 v43, null, v41, v41, v42
	v_div_scale_f32 v46, vcc_lo, v42, v41, v42
	s_delay_alu instid0(VALU_DEP_2) | instskip(NEXT) | instid1(TRANS32_DEP_1)
	v_rcp_f32_e32 v44, v43
	v_fma_f32 v45, -v43, v44, 1.0
	s_delay_alu instid0(VALU_DEP_1) | instskip(NEXT) | instid1(VALU_DEP_1)
	v_fmac_f32_e32 v44, v45, v44
	v_mul_f32_e32 v45, v46, v44
	s_delay_alu instid0(VALU_DEP_1) | instskip(NEXT) | instid1(VALU_DEP_1)
	v_fma_f32 v49, -v43, v45, v46
	v_fmac_f32_e32 v45, v49, v44
	s_delay_alu instid0(VALU_DEP_1) | instskip(SKIP_1) | instid1(VALU_DEP_1)
	v_fma_f32 v43, -v43, v45, v46
	s_wait_alu 0xfffd
	v_div_fmas_f32 v43, v43, v44, v45
	s_delay_alu instid0(VALU_DEP_1) | instskip(NEXT) | instid1(VALU_DEP_1)
	v_div_fixup_f32 v44, v43, v41, v42
	v_fmac_f32_e32 v41, v42, v44
	s_delay_alu instid0(VALU_DEP_1) | instskip(SKIP_1) | instid1(VALU_DEP_2)
	v_div_scale_f32 v42, null, v41, v41, 1.0
	v_div_scale_f32 v46, vcc_lo, 1.0, v41, 1.0
	v_rcp_f32_e32 v43, v42
	s_delay_alu instid0(TRANS32_DEP_1) | instskip(NEXT) | instid1(VALU_DEP_1)
	v_fma_f32 v45, -v42, v43, 1.0
	v_fmac_f32_e32 v43, v45, v43
	s_delay_alu instid0(VALU_DEP_1) | instskip(NEXT) | instid1(VALU_DEP_1)
	v_mul_f32_e32 v45, v46, v43
	v_fma_f32 v49, -v42, v45, v46
	s_delay_alu instid0(VALU_DEP_1) | instskip(NEXT) | instid1(VALU_DEP_1)
	v_fmac_f32_e32 v45, v49, v43
	v_fma_f32 v42, -v42, v45, v46
	s_wait_alu 0xfffd
	s_delay_alu instid0(VALU_DEP_1) | instskip(NEXT) | instid1(VALU_DEP_1)
	v_div_fmas_f32 v42, v42, v43, v45
	v_div_fixup_f32 v43, v42, v41, 1.0
	s_delay_alu instid0(VALU_DEP_1)
	v_xor_b32_e32 v45, 0x80000000, v43
	v_mul_f32_e64 v44, v44, -v43
.LBB83_17:
	s_wait_alu 0xfffe
	s_or_b32 exec_lo, exec_lo, s1
	scratch_store_b64 v48, v[43:44], off
	scratch_load_b64 v[42:43], off, off offset:8
	v_xor_b32_e32 v46, 0x80000000, v44
	v_add_nc_u32_e32 v41, 0xa0, v47
	s_wait_loadcnt 0x0
	ds_store_2addr_b64 v47, v[45:46], v[42:43] offset1:20
	s_wait_storecnt_dscnt 0x0
	s_barrier_signal -1
	s_barrier_wait -1
	global_inv scope:SCOPE_SE
	s_and_saveexec_b32 s1, s0
	s_cbranch_execz .LBB83_19
; %bb.18:
	scratch_load_b64 v[42:43], v48, off
	ds_load_b64 v[44:45], v41
	v_mov_b32_e32 v46, 0
	ds_load_b64 v[49:50], v46 offset:8
	s_wait_loadcnt_dscnt 0x1
	v_mul_f32_e32 v46, v44, v43
	v_mul_f32_e32 v43, v45, v43
	s_delay_alu instid0(VALU_DEP_2) | instskip(NEXT) | instid1(VALU_DEP_2)
	v_fmac_f32_e32 v46, v45, v42
	v_fma_f32 v42, v44, v42, -v43
	s_delay_alu instid0(VALU_DEP_2) | instskip(NEXT) | instid1(VALU_DEP_2)
	v_add_f32_e32 v44, 0, v46
	v_add_f32_e32 v42, 0, v42
	s_wait_dscnt 0x0
	s_delay_alu instid0(VALU_DEP_2) | instskip(NEXT) | instid1(VALU_DEP_2)
	v_mul_f32_e32 v45, v44, v50
	v_mul_f32_e32 v43, v42, v50
	s_delay_alu instid0(VALU_DEP_2) | instskip(NEXT) | instid1(VALU_DEP_2)
	v_fma_f32 v42, v42, v49, -v45
	v_fmac_f32_e32 v43, v44, v49
	scratch_store_b64 off, v[42:43], off offset:8
.LBB83_19:
	s_wait_alu 0xfffe
	s_or_b32 exec_lo, exec_lo, s1
	s_wait_loadcnt 0x0
	s_wait_storecnt 0x0
	s_barrier_signal -1
	s_barrier_wait -1
	global_inv scope:SCOPE_SE
	scratch_load_b64 v[42:43], off, off offset:16
	s_mov_b32 s1, exec_lo
	s_wait_loadcnt 0x0
	ds_store_b64 v41, v[42:43]
	s_wait_dscnt 0x0
	s_barrier_signal -1
	s_barrier_wait -1
	global_inv scope:SCOPE_SE
	v_cmpx_gt_u32_e32 2, v0
	s_cbranch_execz .LBB83_23
; %bb.20:
	scratch_load_b64 v[42:43], v48, off
	ds_load_b64 v[44:45], v41
	s_wait_loadcnt_dscnt 0x0
	v_mul_f32_e32 v46, v45, v43
	v_mul_f32_e32 v49, v44, v43
	s_delay_alu instid0(VALU_DEP_2) | instskip(NEXT) | instid1(VALU_DEP_2)
	v_fma_f32 v43, v44, v42, -v46
	v_fmac_f32_e32 v49, v45, v42
	s_delay_alu instid0(VALU_DEP_1)
	v_dual_add_f32 v43, 0, v43 :: v_dual_add_f32 v42, 0, v49
	s_and_saveexec_b32 s4, s0
	s_cbranch_execz .LBB83_22
; %bb.21:
	scratch_load_b64 v[44:45], off, off offset:8
	v_mov_b32_e32 v46, 0
	ds_load_b64 v[49:50], v46 offset:168
	s_wait_loadcnt_dscnt 0x0
	v_mul_f32_e32 v46, v49, v45
	v_mul_f32_e32 v45, v50, v45
	s_delay_alu instid0(VALU_DEP_2) | instskip(NEXT) | instid1(VALU_DEP_2)
	v_fmac_f32_e32 v46, v50, v44
	v_fma_f32 v44, v49, v44, -v45
	s_delay_alu instid0(VALU_DEP_1)
	v_dual_add_f32 v42, v42, v46 :: v_dual_add_f32 v43, v43, v44
.LBB83_22:
	s_wait_alu 0xfffe
	s_or_b32 exec_lo, exec_lo, s4
	v_mov_b32_e32 v44, 0
	ds_load_b64 v[44:45], v44 offset:16
	s_wait_dscnt 0x0
	v_mul_f32_e32 v49, v42, v45
	v_mul_f32_e32 v46, v43, v45
	s_delay_alu instid0(VALU_DEP_2) | instskip(NEXT) | instid1(VALU_DEP_2)
	v_fma_f32 v45, v43, v44, -v49
	v_fmac_f32_e32 v46, v42, v44
	scratch_store_b64 off, v[45:46], off offset:16
.LBB83_23:
	s_wait_alu 0xfffe
	s_or_b32 exec_lo, exec_lo, s1
	s_wait_loadcnt 0x0
	s_wait_storecnt 0x0
	s_barrier_signal -1
	s_barrier_wait -1
	global_inv scope:SCOPE_SE
	scratch_load_b64 v[43:44], off, off offset:24
	v_add_nc_u32_e32 v42, -1, v0
	s_mov_b32 s0, exec_lo
	s_wait_loadcnt 0x0
	ds_store_b64 v41, v[43:44]
	s_wait_dscnt 0x0
	s_barrier_signal -1
	s_barrier_wait -1
	global_inv scope:SCOPE_SE
	v_cmpx_gt_u32_e32 3, v0
	s_cbranch_execz .LBB83_27
; %bb.24:
	v_dual_mov_b32 v43, 0 :: v_dual_add_nc_u32 v44, -1, v0
	v_dual_mov_b32 v46, v47 :: v_dual_add_nc_u32 v45, 0xa0, v47
	v_mov_b32_e32 v49, 0
	s_mov_b32 s1, 0
.LBB83_25:                              ; =>This Inner Loop Header: Depth=1
	scratch_load_b64 v[50:51], v46, off
	ds_load_b64 v[52:53], v45
	v_add_nc_u32_e32 v44, 1, v44
	v_add_nc_u32_e32 v45, 8, v45
	s_delay_alu instid0(VALU_DEP_2)
	v_cmp_lt_u32_e32 vcc_lo, 1, v44
	s_wait_alu 0xfffe
	s_or_b32 s1, vcc_lo, s1
	s_wait_loadcnt_dscnt 0x0
	v_mul_f32_e32 v54, v53, v51
	v_mul_f32_e32 v51, v52, v51
	s_delay_alu instid0(VALU_DEP_2) | instskip(NEXT) | instid1(VALU_DEP_2)
	v_fma_f32 v52, v52, v50, -v54
	v_fmac_f32_e32 v51, v53, v50
	s_delay_alu instid0(VALU_DEP_2) | instskip(NEXT) | instid1(VALU_DEP_2)
	v_dual_add_f32 v49, v49, v52 :: v_dual_add_nc_u32 v46, 8, v46
	v_add_f32_e32 v43, v43, v51
	s_wait_alu 0xfffe
	s_and_not1_b32 exec_lo, exec_lo, s1
	s_cbranch_execnz .LBB83_25
; %bb.26:
	s_or_b32 exec_lo, exec_lo, s1
	v_mov_b32_e32 v44, 0
	ds_load_b64 v[44:45], v44 offset:24
	s_wait_dscnt 0x0
	v_mul_f32_e32 v50, v43, v45
	v_mul_f32_e32 v46, v49, v45
	s_delay_alu instid0(VALU_DEP_2) | instskip(NEXT) | instid1(VALU_DEP_2)
	v_fma_f32 v45, v49, v44, -v50
	v_fmac_f32_e32 v46, v43, v44
	scratch_store_b64 off, v[45:46], off offset:24
.LBB83_27:
	s_wait_alu 0xfffe
	s_or_b32 exec_lo, exec_lo, s0
	s_wait_loadcnt 0x0
	s_wait_storecnt 0x0
	s_barrier_signal -1
	s_barrier_wait -1
	global_inv scope:SCOPE_SE
	scratch_load_b64 v[43:44], off, off offset:32
	s_mov_b32 s0, exec_lo
	s_wait_loadcnt 0x0
	ds_store_b64 v41, v[43:44]
	s_wait_dscnt 0x0
	s_barrier_signal -1
	s_barrier_wait -1
	global_inv scope:SCOPE_SE
	v_cmpx_gt_u32_e32 4, v0
	s_cbranch_execz .LBB83_31
; %bb.28:
	v_dual_mov_b32 v43, 0 :: v_dual_add_nc_u32 v44, -1, v0
	v_dual_mov_b32 v46, v47 :: v_dual_add_nc_u32 v45, 0xa0, v47
	v_mov_b32_e32 v49, 0
	s_mov_b32 s1, 0
.LBB83_29:                              ; =>This Inner Loop Header: Depth=1
	scratch_load_b64 v[50:51], v46, off
	ds_load_b64 v[52:53], v45
	v_add_nc_u32_e32 v44, 1, v44
	v_add_nc_u32_e32 v45, 8, v45
	s_delay_alu instid0(VALU_DEP_2)
	v_cmp_lt_u32_e32 vcc_lo, 2, v44
	s_wait_alu 0xfffe
	s_or_b32 s1, vcc_lo, s1
	s_wait_loadcnt_dscnt 0x0
	v_mul_f32_e32 v54, v53, v51
	v_mul_f32_e32 v51, v52, v51
	s_delay_alu instid0(VALU_DEP_2) | instskip(NEXT) | instid1(VALU_DEP_2)
	v_fma_f32 v52, v52, v50, -v54
	v_fmac_f32_e32 v51, v53, v50
	s_delay_alu instid0(VALU_DEP_2) | instskip(NEXT) | instid1(VALU_DEP_2)
	v_dual_add_f32 v49, v49, v52 :: v_dual_add_nc_u32 v46, 8, v46
	v_add_f32_e32 v43, v43, v51
	s_wait_alu 0xfffe
	s_and_not1_b32 exec_lo, exec_lo, s1
	s_cbranch_execnz .LBB83_29
; %bb.30:
	s_or_b32 exec_lo, exec_lo, s1
	v_mov_b32_e32 v44, 0
	ds_load_b64 v[44:45], v44 offset:32
	s_wait_dscnt 0x0
	v_mul_f32_e32 v50, v43, v45
	v_mul_f32_e32 v46, v49, v45
	s_delay_alu instid0(VALU_DEP_2) | instskip(NEXT) | instid1(VALU_DEP_2)
	v_fma_f32 v45, v49, v44, -v50
	v_fmac_f32_e32 v46, v43, v44
	scratch_store_b64 off, v[45:46], off offset:32
.LBB83_31:
	s_wait_alu 0xfffe
	s_or_b32 exec_lo, exec_lo, s0
	s_wait_loadcnt 0x0
	s_wait_storecnt 0x0
	s_barrier_signal -1
	s_barrier_wait -1
	global_inv scope:SCOPE_SE
	scratch_load_b64 v[43:44], off, off offset:40
	;; [unrolled: 55-line block ×15, first 2 shown]
	s_mov_b32 s0, exec_lo
	s_wait_loadcnt 0x0
	ds_store_b64 v41, v[43:44]
	s_wait_dscnt 0x0
	s_barrier_signal -1
	s_barrier_wait -1
	global_inv scope:SCOPE_SE
	v_cmpx_gt_u32_e32 18, v0
	s_cbranch_execz .LBB83_87
; %bb.84:
	v_dual_mov_b32 v43, 0 :: v_dual_add_nc_u32 v44, -1, v0
	v_dual_mov_b32 v46, v47 :: v_dual_add_nc_u32 v45, 0xa0, v47
	v_mov_b32_e32 v47, 0
	s_mov_b32 s1, 0
.LBB83_85:                              ; =>This Inner Loop Header: Depth=1
	scratch_load_b64 v[49:50], v46, off
	ds_load_b64 v[51:52], v45
	v_add_nc_u32_e32 v46, 8, v46
	v_add_nc_u32_e32 v44, 1, v44
	;; [unrolled: 1-line block ×3, first 2 shown]
	s_delay_alu instid0(VALU_DEP_2)
	v_cmp_lt_u32_e32 vcc_lo, 16, v44
	s_wait_alu 0xfffe
	s_or_b32 s1, vcc_lo, s1
	s_wait_loadcnt_dscnt 0x0
	v_mul_f32_e32 v53, v52, v50
	v_mul_f32_e32 v50, v51, v50
	s_delay_alu instid0(VALU_DEP_2) | instskip(NEXT) | instid1(VALU_DEP_1)
	v_fma_f32 v51, v51, v49, -v53
	v_dual_fmac_f32 v50, v52, v49 :: v_dual_add_f32 v47, v47, v51
	s_delay_alu instid0(VALU_DEP_1)
	v_add_f32_e32 v43, v43, v50
	s_wait_alu 0xfffe
	s_and_not1_b32 exec_lo, exec_lo, s1
	s_cbranch_execnz .LBB83_85
; %bb.86:
	s_or_b32 exec_lo, exec_lo, s1
	v_mov_b32_e32 v44, 0
	ds_load_b64 v[44:45], v44 offset:144
	s_wait_dscnt 0x0
	v_mul_f32_e32 v49, v43, v45
	v_mul_f32_e32 v46, v47, v45
	s_delay_alu instid0(VALU_DEP_2) | instskip(NEXT) | instid1(VALU_DEP_2)
	v_fma_f32 v45, v47, v44, -v49
	v_fmac_f32_e32 v46, v43, v44
	scratch_store_b64 off, v[45:46], off offset:144
.LBB83_87:
	s_wait_alu 0xfffe
	s_or_b32 exec_lo, exec_lo, s0
	s_wait_loadcnt 0x0
	s_wait_storecnt 0x0
	s_barrier_signal -1
	s_barrier_wait -1
	global_inv scope:SCOPE_SE
	scratch_load_b64 v[43:44], off, off offset:152
	s_mov_b32 s0, exec_lo
	s_wait_loadcnt 0x0
	ds_store_b64 v41, v[43:44]
	s_wait_dscnt 0x0
	s_barrier_signal -1
	s_barrier_wait -1
	global_inv scope:SCOPE_SE
	v_cmpx_ne_u32_e32 19, v0
	s_cbranch_execz .LBB83_91
; %bb.88:
	v_dual_mov_b32 v43, 0 :: v_dual_mov_b32 v44, 0
	s_mov_b32 s1, 0
.LBB83_89:                              ; =>This Inner Loop Header: Depth=1
	scratch_load_b64 v[45:46], v48, off
	ds_load_b64 v[49:50], v41
	v_add_nc_u32_e32 v42, 1, v42
	v_add_nc_u32_e32 v41, 8, v41
	;; [unrolled: 1-line block ×3, first 2 shown]
	s_delay_alu instid0(VALU_DEP_3)
	v_cmp_lt_u32_e32 vcc_lo, 17, v42
	s_wait_alu 0xfffe
	s_or_b32 s1, vcc_lo, s1
	s_wait_loadcnt_dscnt 0x0
	v_mul_f32_e32 v47, v50, v46
	v_mul_f32_e32 v46, v49, v46
	s_delay_alu instid0(VALU_DEP_2) | instskip(NEXT) | instid1(VALU_DEP_2)
	v_fma_f32 v47, v49, v45, -v47
	v_fmac_f32_e32 v46, v50, v45
	s_delay_alu instid0(VALU_DEP_1)
	v_dual_add_f32 v44, v44, v47 :: v_dual_add_f32 v43, v43, v46
	s_wait_alu 0xfffe
	s_and_not1_b32 exec_lo, exec_lo, s1
	s_cbranch_execnz .LBB83_89
; %bb.90:
	s_or_b32 exec_lo, exec_lo, s1
	v_mov_b32_e32 v41, 0
	ds_load_b64 v[41:42], v41 offset:152
	s_wait_dscnt 0x0
	v_mul_f32_e32 v46, v43, v42
	v_mul_f32_e32 v45, v44, v42
	s_delay_alu instid0(VALU_DEP_2) | instskip(NEXT) | instid1(VALU_DEP_2)
	v_fma_f32 v44, v44, v41, -v46
	v_fmac_f32_e32 v45, v43, v41
	scratch_store_b64 off, v[44:45], off offset:152
.LBB83_91:
	s_wait_alu 0xfffe
	s_or_b32 exec_lo, exec_lo, s0
	s_mov_b32 s1, -1
	s_wait_loadcnt 0x0
	s_wait_storecnt 0x0
	s_barrier_signal -1
	s_barrier_wait -1
	global_inv scope:SCOPE_SE
.LBB83_92:
	s_wait_alu 0xfffe
	s_and_b32 vcc_lo, exec_lo, s1
	s_wait_alu 0xfffe
	s_cbranch_vccz .LBB83_94
; %bb.93:
	v_mov_b32_e32 v41, 0
	s_lshl_b64 s[0:1], s[8:9], 2
	s_wait_alu 0xfffe
	s_add_nc_u64 s[0:1], s[6:7], s[0:1]
	global_load_b32 v41, v41, s[0:1]
	s_wait_loadcnt 0x0
	v_cmp_ne_u32_e32 vcc_lo, 0, v41
	s_cbranch_vccz .LBB83_95
.LBB83_94:
	s_nop 0
	s_sendmsg sendmsg(MSG_DEALLOC_VGPRS)
	s_endpgm
.LBB83_95:
	v_lshl_add_u32 v43, v0, 3, 0xa0
	s_mov_b32 s0, exec_lo
	v_cmpx_eq_u32_e32 19, v0
	s_cbranch_execz .LBB83_97
; %bb.96:
	scratch_load_b64 v[41:42], off, off offset:144
	v_mov_b32_e32 v44, 0
	s_delay_alu instid0(VALU_DEP_1)
	v_mov_b32_e32 v45, v44
	scratch_store_b64 off, v[44:45], off offset:144
	s_wait_loadcnt 0x0
	ds_store_b64 v43, v[41:42]
.LBB83_97:
	s_wait_alu 0xfffe
	s_or_b32 exec_lo, exec_lo, s0
	s_wait_storecnt_dscnt 0x0
	s_barrier_signal -1
	s_barrier_wait -1
	global_inv scope:SCOPE_SE
	s_clause 0x1
	scratch_load_b64 v[44:45], off, off offset:152
	scratch_load_b64 v[46:47], off, off offset:144
	v_mov_b32_e32 v41, 0
	s_mov_b32 s0, exec_lo
	ds_load_b64 v[48:49], v41 offset:312
	s_wait_loadcnt_dscnt 0x100
	v_mul_f32_e32 v42, v49, v45
	s_delay_alu instid0(VALU_DEP_1) | instskip(NEXT) | instid1(VALU_DEP_1)
	v_fma_f32 v42, v48, v44, -v42
	v_dual_mul_f32 v45, v48, v45 :: v_dual_add_f32 v42, 0, v42
	s_wait_loadcnt 0x0
	s_delay_alu instid0(VALU_DEP_1) | instskip(NEXT) | instid1(VALU_DEP_1)
	v_dual_fmac_f32 v45, v49, v44 :: v_dual_sub_f32 v44, v46, v42
	v_add_f32_e32 v45, 0, v45
	s_delay_alu instid0(VALU_DEP_1)
	v_sub_f32_e32 v45, v47, v45
	scratch_store_b64 off, v[44:45], off offset:144
	v_cmpx_lt_u32_e32 17, v0
	s_cbranch_execz .LBB83_99
; %bb.98:
	scratch_load_b64 v[44:45], off, off offset:136
	v_mov_b32_e32 v42, v41
	scratch_store_b64 off, v[41:42], off offset:136
	s_wait_loadcnt 0x0
	ds_store_b64 v43, v[44:45]
.LBB83_99:
	s_wait_alu 0xfffe
	s_or_b32 exec_lo, exec_lo, s0
	s_wait_storecnt_dscnt 0x0
	s_barrier_signal -1
	s_barrier_wait -1
	global_inv scope:SCOPE_SE
	s_clause 0x1
	scratch_load_b128 v[44:47], off, off offset:144
	scratch_load_b64 v[52:53], off, off offset:136
	ds_load_b128 v[48:51], v41 offset:304
	s_mov_b32 s0, exec_lo
	s_wait_loadcnt_dscnt 0x100
	v_mul_f32_e32 v42, v48, v45
	s_delay_alu instid0(VALU_DEP_1) | instskip(SKIP_2) | instid1(VALU_DEP_1)
	v_fmac_f32_e32 v42, v49, v44
	v_mul_f32_e32 v41, v49, v45
	v_mul_f32_e32 v45, v50, v47
	v_fmac_f32_e32 v45, v51, v46
	s_delay_alu instid0(VALU_DEP_4) | instskip(NEXT) | instid1(VALU_DEP_4)
	v_dual_add_f32 v42, 0, v42 :: v_dual_mul_f32 v47, v51, v47
	v_fma_f32 v41, v48, v44, -v41
	s_delay_alu instid0(VALU_DEP_2) | instskip(NEXT) | instid1(VALU_DEP_3)
	v_add_f32_e32 v42, v42, v45
	v_fma_f32 v44, v50, v46, -v47
	s_wait_loadcnt 0x0
	s_delay_alu instid0(VALU_DEP_2) | instskip(NEXT) | instid1(VALU_DEP_1)
	v_dual_add_f32 v41, 0, v41 :: v_dual_sub_f32 v42, v53, v42
	v_add_f32_e32 v41, v41, v44
	s_delay_alu instid0(VALU_DEP_1)
	v_sub_f32_e32 v41, v52, v41
	scratch_store_b64 off, v[41:42], off offset:136
	v_cmpx_lt_u32_e32 16, v0
	s_cbranch_execz .LBB83_101
; %bb.100:
	scratch_load_b64 v[41:42], off, off offset:128
	v_mov_b32_e32 v44, 0
	s_delay_alu instid0(VALU_DEP_1)
	v_mov_b32_e32 v45, v44
	scratch_store_b64 off, v[44:45], off offset:128
	s_wait_loadcnt 0x0
	ds_store_b64 v43, v[41:42]
.LBB83_101:
	s_wait_alu 0xfffe
	s_or_b32 exec_lo, exec_lo, s0
	s_wait_storecnt_dscnt 0x0
	s_barrier_signal -1
	s_barrier_wait -1
	global_inv scope:SCOPE_SE
	s_clause 0x2
	scratch_load_b128 v[44:47], off, off offset:136
	scratch_load_b64 v[52:53], off, off offset:152
	scratch_load_b64 v[54:55], off, off offset:128
	v_mov_b32_e32 v41, 0
	ds_load_2addr_b64 v[48:51], v41 offset0:37 offset1:38
	ds_load_b64 v[56:57], v41 offset:312
	s_mov_b32 s0, exec_lo
	s_wait_loadcnt_dscnt 0x201
	v_mul_f32_e32 v42, v49, v45
	v_dual_mul_f32 v45, v48, v45 :: v_dual_mul_f32 v58, v50, v47
	v_mul_f32_e32 v47, v51, v47
	s_wait_loadcnt_dscnt 0x100
	v_mul_f32_e32 v59, v56, v53
	v_fma_f32 v42, v48, v44, -v42
	v_fmac_f32_e32 v45, v49, v44
	v_mul_f32_e32 v44, v57, v53
	v_fmac_f32_e32 v58, v51, v46
	v_fma_f32 v46, v50, v46, -v47
	s_delay_alu instid0(VALU_DEP_4) | instskip(NEXT) | instid1(VALU_DEP_4)
	v_dual_add_f32 v42, 0, v42 :: v_dual_add_f32 v45, 0, v45
	v_fma_f32 v44, v56, v52, -v44
	s_delay_alu instid0(VALU_DEP_2) | instskip(NEXT) | instid1(VALU_DEP_1)
	v_add_f32_e32 v42, v42, v46
	v_dual_add_f32 v45, v45, v58 :: v_dual_add_f32 v42, v42, v44
	s_wait_loadcnt 0x0
	s_delay_alu instid0(VALU_DEP_1) | instskip(NEXT) | instid1(VALU_DEP_1)
	v_dual_fmac_f32 v59, v57, v52 :: v_dual_sub_f32 v44, v54, v42
	v_add_f32_e32 v45, v45, v59
	s_delay_alu instid0(VALU_DEP_1)
	v_sub_f32_e32 v45, v55, v45
	scratch_store_b64 off, v[44:45], off offset:128
	v_cmpx_lt_u32_e32 15, v0
	s_cbranch_execz .LBB83_103
; %bb.102:
	scratch_load_b64 v[44:45], off, off offset:120
	v_mov_b32_e32 v42, v41
	scratch_store_b64 off, v[41:42], off offset:120
	s_wait_loadcnt 0x0
	ds_store_b64 v43, v[44:45]
.LBB83_103:
	s_wait_alu 0xfffe
	s_or_b32 exec_lo, exec_lo, s0
	s_wait_storecnt_dscnt 0x0
	s_barrier_signal -1
	s_barrier_wait -1
	global_inv scope:SCOPE_SE
	s_clause 0x2
	scratch_load_b128 v[44:47], off, off offset:128
	scratch_load_b128 v[48:51], off, off offset:144
	scratch_load_b64 v[60:61], off, off offset:120
	ds_load_b128 v[52:55], v41 offset:288
	ds_load_b128 v[56:59], v41 offset:304
	s_mov_b32 s0, exec_lo
	s_wait_loadcnt_dscnt 0x201
	v_mul_f32_e32 v42, v53, v45
	s_wait_loadcnt_dscnt 0x100
	v_dual_mul_f32 v62, v56, v49 :: v_dual_mul_f32 v63, v58, v51
	s_delay_alu instid0(VALU_DEP_2) | instskip(SKIP_2) | instid1(VALU_DEP_4)
	v_fma_f32 v42, v52, v44, -v42
	v_mul_f32_e32 v41, v52, v45
	v_mul_f32_e32 v45, v54, v47
	v_dual_mul_f32 v47, v55, v47 :: v_dual_fmac_f32 v62, v57, v48
	s_delay_alu instid0(VALU_DEP_3) | instskip(NEXT) | instid1(VALU_DEP_3)
	v_dual_add_f32 v42, 0, v42 :: v_dual_fmac_f32 v41, v53, v44
	v_dual_mul_f32 v44, v57, v49 :: v_dual_fmac_f32 v45, v55, v46
	s_delay_alu instid0(VALU_DEP_3) | instskip(SKIP_1) | instid1(VALU_DEP_3)
	v_fma_f32 v46, v54, v46, -v47
	v_fmac_f32_e32 v63, v59, v50
	v_fma_f32 v44, v56, v48, -v44
	s_delay_alu instid0(VALU_DEP_3) | instskip(NEXT) | instid1(VALU_DEP_1)
	v_dual_add_f32 v42, v42, v46 :: v_dual_add_f32 v41, 0, v41
	v_dual_add_f32 v42, v42, v44 :: v_dual_mul_f32 v47, v59, v51
	s_delay_alu instid0(VALU_DEP_2) | instskip(NEXT) | instid1(VALU_DEP_2)
	v_add_f32_e32 v41, v41, v45
	v_fma_f32 v45, v58, v50, -v47
	s_delay_alu instid0(VALU_DEP_1) | instskip(SKIP_1) | instid1(VALU_DEP_1)
	v_dual_add_f32 v41, v41, v62 :: v_dual_add_f32 v42, v42, v45
	s_wait_loadcnt 0x0
	v_dual_add_f32 v44, v41, v63 :: v_dual_sub_f32 v41, v60, v42
	s_delay_alu instid0(VALU_DEP_1)
	v_sub_f32_e32 v42, v61, v44
	scratch_store_b64 off, v[41:42], off offset:120
	v_cmpx_lt_u32_e32 14, v0
	s_cbranch_execz .LBB83_105
; %bb.104:
	scratch_load_b64 v[41:42], off, off offset:112
	v_mov_b32_e32 v44, 0
	s_delay_alu instid0(VALU_DEP_1)
	v_mov_b32_e32 v45, v44
	scratch_store_b64 off, v[44:45], off offset:112
	s_wait_loadcnt 0x0
	ds_store_b64 v43, v[41:42]
.LBB83_105:
	s_wait_alu 0xfffe
	s_or_b32 exec_lo, exec_lo, s0
	s_wait_storecnt_dscnt 0x0
	s_barrier_signal -1
	s_barrier_wait -1
	global_inv scope:SCOPE_SE
	s_clause 0x3
	scratch_load_b128 v[44:47], off, off offset:120
	scratch_load_b128 v[48:51], off, off offset:136
	scratch_load_b64 v[60:61], off, off offset:152
	scratch_load_b64 v[62:63], off, off offset:112
	v_mov_b32_e32 v41, 0
	ds_load_2addr_b64 v[52:55], v41 offset0:35 offset1:36
	ds_load_2addr_b64 v[56:59], v41 offset0:37 offset1:38
	ds_load_b64 v[64:65], v41 offset:312
	s_mov_b32 s0, exec_lo
	s_wait_loadcnt_dscnt 0x302
	v_mul_f32_e32 v42, v52, v45
	v_dual_mul_f32 v66, v54, v47 :: v_dual_mul_f32 v45, v53, v45
	s_wait_loadcnt_dscnt 0x100
	v_mul_f32_e32 v69, v64, v61
	v_dual_mul_f32 v67, v56, v49 :: v_dual_mul_f32 v68, v58, v51
	v_dual_fmac_f32 v42, v53, v44 :: v_dual_mul_f32 v47, v55, v47
	v_fma_f32 v45, v52, v44, -v45
	v_fmac_f32_e32 v66, v55, v46
	v_mul_f32_e32 v44, v57, v49
	s_delay_alu instid0(VALU_DEP_4) | instskip(SKIP_3) | instid1(VALU_DEP_4)
	v_add_f32_e32 v42, 0, v42
	v_fma_f32 v46, v54, v46, -v47
	v_add_f32_e32 v45, 0, v45
	v_mul_f32_e32 v47, v59, v51
	v_dual_fmac_f32 v67, v57, v48 :: v_dual_add_f32 v42, v42, v66
	v_dual_fmac_f32 v68, v59, v50 :: v_dual_fmac_f32 v69, v65, v60
	s_delay_alu instid0(VALU_DEP_4) | instskip(SKIP_1) | instid1(VALU_DEP_4)
	v_add_f32_e32 v45, v45, v46
	v_fma_f32 v44, v56, v48, -v44
	v_add_f32_e32 v42, v42, v67
	v_fma_f32 v47, v58, v50, -v47
	s_delay_alu instid0(VALU_DEP_3) | instskip(NEXT) | instid1(VALU_DEP_3)
	v_add_f32_e32 v44, v45, v44
	v_add_f32_e32 v42, v42, v68
	s_delay_alu instid0(VALU_DEP_2) | instskip(NEXT) | instid1(VALU_DEP_2)
	v_add_f32_e32 v44, v44, v47
	v_add_f32_e32 v42, v42, v69
	v_mul_f32_e32 v46, v65, v61
	s_delay_alu instid0(VALU_DEP_1) | instskip(SKIP_1) | instid1(VALU_DEP_1)
	v_fma_f32 v45, v64, v60, -v46
	s_wait_loadcnt 0x0
	v_dual_add_f32 v44, v44, v45 :: v_dual_sub_f32 v45, v63, v42
	s_delay_alu instid0(VALU_DEP_1)
	v_sub_f32_e32 v44, v62, v44
	scratch_store_b64 off, v[44:45], off offset:112
	v_cmpx_lt_u32_e32 13, v0
	s_cbranch_execz .LBB83_107
; %bb.106:
	scratch_load_b64 v[44:45], off, off offset:104
	v_mov_b32_e32 v42, v41
	scratch_store_b64 off, v[41:42], off offset:104
	s_wait_loadcnt 0x0
	ds_store_b64 v43, v[44:45]
.LBB83_107:
	s_wait_alu 0xfffe
	s_or_b32 exec_lo, exec_lo, s0
	s_wait_storecnt_dscnt 0x0
	s_barrier_signal -1
	s_barrier_wait -1
	global_inv scope:SCOPE_SE
	s_clause 0x3
	scratch_load_b128 v[44:47], off, off offset:112
	scratch_load_b128 v[48:51], off, off offset:128
	;; [unrolled: 1-line block ×3, first 2 shown]
	scratch_load_b64 v[68:69], off, off offset:104
	ds_load_b128 v[56:59], v41 offset:272
	ds_load_b128 v[60:63], v41 offset:288
	;; [unrolled: 1-line block ×3, first 2 shown]
	s_mov_b32 s0, exec_lo
	s_wait_loadcnt_dscnt 0x302
	v_dual_mul_f32 v41, v56, v45 :: v_dual_mul_f32 v42, v58, v47
	v_mul_f32_e32 v45, v57, v45
	s_wait_loadcnt_dscnt 0x201
	v_dual_mul_f32 v47, v59, v47 :: v_dual_mul_f32 v70, v60, v49
	s_delay_alu instid0(VALU_DEP_3) | instskip(NEXT) | instid1(VALU_DEP_3)
	v_dual_mul_f32 v71, v62, v51 :: v_dual_fmac_f32 v42, v59, v46
	v_fma_f32 v45, v56, v44, -v45
	v_fmac_f32_e32 v41, v57, v44
	v_mul_f32_e32 v44, v61, v49
	v_fma_f32 v46, v58, v46, -v47
	v_mul_f32_e32 v47, v63, v51
	v_dual_add_f32 v45, 0, v45 :: v_dual_fmac_f32 v70, v61, v48
	s_delay_alu instid0(VALU_DEP_4) | instskip(SKIP_2) | instid1(VALU_DEP_3)
	v_fma_f32 v44, v60, v48, -v44
	s_wait_loadcnt_dscnt 0x100
	v_dual_mul_f32 v72, v64, v53 :: v_dual_mul_f32 v73, v66, v55
	v_add_f32_e32 v45, v45, v46
	v_fmac_f32_e32 v71, v63, v50
	v_fma_f32 v46, v62, v50, -v47
	s_delay_alu instid0(VALU_DEP_4) | instskip(NEXT) | instid1(VALU_DEP_4)
	v_dual_fmac_f32 v72, v65, v52 :: v_dual_fmac_f32 v73, v67, v54
	v_add_f32_e32 v44, v45, v44
	s_delay_alu instid0(VALU_DEP_1) | instskip(SKIP_1) | instid1(VALU_DEP_1)
	v_dual_add_f32 v44, v44, v46 :: v_dual_add_f32 v41, 0, v41
	v_mul_f32_e32 v45, v67, v55
	v_fma_f32 v45, v66, v54, -v45
	s_delay_alu instid0(VALU_DEP_3) | instskip(SKIP_1) | instid1(VALU_DEP_1)
	v_add_f32_e32 v41, v41, v42
	v_mul_f32_e32 v42, v65, v53
	v_fma_f32 v42, v64, v52, -v42
	s_delay_alu instid0(VALU_DEP_1) | instskip(NEXT) | instid1(VALU_DEP_1)
	v_add_f32_e32 v42, v44, v42
	v_dual_add_f32 v42, v42, v45 :: v_dual_add_f32 v41, v41, v70
	s_delay_alu instid0(VALU_DEP_1) | instskip(NEXT) | instid1(VALU_DEP_1)
	v_add_f32_e32 v41, v41, v71
	v_add_f32_e32 v41, v41, v72
	s_wait_loadcnt 0x0
	s_delay_alu instid0(VALU_DEP_1) | instskip(NEXT) | instid1(VALU_DEP_1)
	v_dual_add_f32 v44, v41, v73 :: v_dual_sub_f32 v41, v68, v42
	v_sub_f32_e32 v42, v69, v44
	scratch_store_b64 off, v[41:42], off offset:104
	v_cmpx_lt_u32_e32 12, v0
	s_cbranch_execz .LBB83_109
; %bb.108:
	scratch_load_b64 v[41:42], off, off offset:96
	v_mov_b32_e32 v44, 0
	s_delay_alu instid0(VALU_DEP_1)
	v_mov_b32_e32 v45, v44
	scratch_store_b64 off, v[44:45], off offset:96
	s_wait_loadcnt 0x0
	ds_store_b64 v43, v[41:42]
.LBB83_109:
	s_wait_alu 0xfffe
	s_or_b32 exec_lo, exec_lo, s0
	s_wait_storecnt_dscnt 0x0
	s_barrier_signal -1
	s_barrier_wait -1
	global_inv scope:SCOPE_SE
	s_clause 0x4
	scratch_load_b128 v[44:47], off, off offset:104
	scratch_load_b128 v[48:51], off, off offset:120
	;; [unrolled: 1-line block ×3, first 2 shown]
	scratch_load_b64 v[68:69], off, off offset:152
	scratch_load_b64 v[70:71], off, off offset:96
	v_mov_b32_e32 v41, 0
	ds_load_2addr_b64 v[56:59], v41 offset0:33 offset1:34
	ds_load_2addr_b64 v[60:63], v41 offset0:35 offset1:36
	ds_load_2addr_b64 v[64:67], v41 offset0:37 offset1:38
	ds_load_b64 v[72:73], v41 offset:312
	s_mov_b32 s0, exec_lo
	s_wait_loadcnt_dscnt 0x403
	v_mul_f32_e32 v42, v56, v45
	s_wait_loadcnt_dscnt 0x302
	v_dual_mul_f32 v74, v58, v47 :: v_dual_mul_f32 v75, v60, v49
	v_dual_mul_f32 v76, v62, v51 :: v_dual_mul_f32 v45, v57, v45
	s_wait_loadcnt_dscnt 0x100
	v_dual_mul_f32 v79, v72, v69 :: v_dual_fmac_f32 v42, v57, v44
	v_mul_f32_e32 v47, v59, v47
	v_dual_mul_f32 v77, v64, v53 :: v_dual_mul_f32 v78, v66, v55
	v_fma_f32 v45, v56, v44, -v45
	v_fmac_f32_e32 v74, v59, v46
	v_add_f32_e32 v42, 0, v42
	v_mul_f32_e32 v44, v61, v49
	v_fma_f32 v46, v58, v46, -v47
	v_add_f32_e32 v45, 0, v45
	v_mul_f32_e32 v47, v63, v51
	v_dual_fmac_f32 v75, v61, v48 :: v_dual_add_f32 v42, v42, v74
	v_dual_fmac_f32 v76, v63, v50 :: v_dual_fmac_f32 v77, v65, v52
	s_delay_alu instid0(VALU_DEP_4) | instskip(SKIP_1) | instid1(VALU_DEP_4)
	v_add_f32_e32 v45, v45, v46
	v_dual_fmac_f32 v78, v67, v54 :: v_dual_fmac_f32 v79, v73, v68
	v_add_f32_e32 v42, v42, v75
	v_fma_f32 v44, v60, v48, -v44
	v_mul_f32_e32 v46, v65, v53
	v_fma_f32 v47, v62, v50, -v47
	s_delay_alu instid0(VALU_DEP_4) | instskip(NEXT) | instid1(VALU_DEP_1)
	v_add_f32_e32 v42, v42, v76
	v_add_f32_e32 v42, v42, v77
	s_delay_alu instid0(VALU_DEP_1) | instskip(NEXT) | instid1(VALU_DEP_1)
	v_add_f32_e32 v42, v42, v78
	v_add_f32_e32 v42, v42, v79
	v_dual_add_f32 v44, v45, v44 :: v_dual_mul_f32 v45, v67, v55
	v_fma_f32 v46, v64, v52, -v46
	s_delay_alu instid0(VALU_DEP_2) | instskip(NEXT) | instid1(VALU_DEP_3)
	v_dual_add_f32 v44, v44, v47 :: v_dual_mul_f32 v47, v73, v69
	v_fma_f32 v45, v66, v54, -v45
	s_delay_alu instid0(VALU_DEP_2) | instskip(NEXT) | instid1(VALU_DEP_3)
	v_add_f32_e32 v44, v44, v46
	v_fma_f32 v46, v72, v68, -v47
	s_wait_loadcnt 0x0
	s_delay_alu instid0(VALU_DEP_2) | instskip(NEXT) | instid1(VALU_DEP_1)
	v_dual_add_f32 v44, v44, v45 :: v_dual_sub_f32 v45, v71, v42
	v_add_f32_e32 v44, v44, v46
	s_delay_alu instid0(VALU_DEP_1)
	v_sub_f32_e32 v44, v70, v44
	scratch_store_b64 off, v[44:45], off offset:96
	v_cmpx_lt_u32_e32 11, v0
	s_cbranch_execz .LBB83_111
; %bb.110:
	scratch_load_b64 v[44:45], off, off offset:88
	v_mov_b32_e32 v42, v41
	scratch_store_b64 off, v[41:42], off offset:88
	s_wait_loadcnt 0x0
	ds_store_b64 v43, v[44:45]
.LBB83_111:
	s_wait_alu 0xfffe
	s_or_b32 exec_lo, exec_lo, s0
	s_wait_storecnt_dscnt 0x0
	s_barrier_signal -1
	s_barrier_wait -1
	global_inv scope:SCOPE_SE
	s_clause 0x4
	scratch_load_b128 v[44:47], off, off offset:96
	scratch_load_b128 v[48:51], off, off offset:112
	;; [unrolled: 1-line block ×4, first 2 shown]
	scratch_load_b64 v[76:77], off, off offset:88
	ds_load_b128 v[60:63], v41 offset:256
	ds_load_b128 v[64:67], v41 offset:272
	;; [unrolled: 1-line block ×4, first 2 shown]
	s_mov_b32 s0, exec_lo
	s_wait_loadcnt_dscnt 0x403
	v_dual_mul_f32 v41, v60, v45 :: v_dual_mul_f32 v42, v62, v47
	v_mul_f32_e32 v45, v61, v45
	s_wait_loadcnt_dscnt 0x302
	v_dual_mul_f32 v47, v63, v47 :: v_dual_mul_f32 v78, v64, v49
	s_delay_alu instid0(VALU_DEP_3) | instskip(NEXT) | instid1(VALU_DEP_3)
	v_dual_mul_f32 v79, v66, v51 :: v_dual_fmac_f32 v42, v63, v46
	v_fma_f32 v45, v60, v44, -v45
	v_fmac_f32_e32 v41, v61, v44
	v_mul_f32_e32 v44, v65, v49
	v_fma_f32 v46, v62, v46, -v47
	v_mul_f32_e32 v47, v67, v51
	v_dual_add_f32 v45, 0, v45 :: v_dual_fmac_f32 v78, v65, v48
	s_delay_alu instid0(VALU_DEP_4) | instskip(SKIP_2) | instid1(VALU_DEP_3)
	v_fma_f32 v44, v64, v48, -v44
	s_wait_loadcnt_dscnt 0x201
	v_dual_mul_f32 v80, v68, v53 :: v_dual_mul_f32 v81, v70, v55
	v_add_f32_e32 v45, v45, v46
	v_fmac_f32_e32 v79, v67, v50
	v_fma_f32 v46, v66, v50, -v47
	s_wait_loadcnt_dscnt 0x100
	v_dual_mul_f32 v82, v72, v57 :: v_dual_mul_f32 v83, v74, v59
	v_dual_add_f32 v44, v45, v44 :: v_dual_mul_f32 v45, v71, v55
	v_dual_fmac_f32 v80, v69, v52 :: v_dual_fmac_f32 v81, v71, v54
	s_delay_alu instid0(VALU_DEP_3) | instskip(NEXT) | instid1(VALU_DEP_3)
	v_fmac_f32_e32 v82, v73, v56
	v_dual_add_f32 v44, v44, v46 :: v_dual_add_f32 v41, 0, v41
	v_mul_f32_e32 v46, v73, v57
	v_fma_f32 v45, v70, v54, -v45
	v_fmac_f32_e32 v83, v75, v58
	s_delay_alu instid0(VALU_DEP_4) | instskip(SKIP_2) | instid1(VALU_DEP_2)
	v_add_f32_e32 v41, v41, v42
	v_mul_f32_e32 v42, v69, v53
	v_fma_f32 v46, v72, v56, -v46
	v_fma_f32 v42, v68, v52, -v42
	s_delay_alu instid0(VALU_DEP_1) | instskip(SKIP_1) | instid1(VALU_DEP_2)
	v_add_f32_e32 v42, v44, v42
	v_mul_f32_e32 v44, v75, v59
	v_add_f32_e32 v42, v42, v45
	s_delay_alu instid0(VALU_DEP_2) | instskip(NEXT) | instid1(VALU_DEP_2)
	v_fma_f32 v44, v74, v58, -v44
	v_add_f32_e32 v42, v42, v46
	s_delay_alu instid0(VALU_DEP_1) | instskip(NEXT) | instid1(VALU_DEP_1)
	v_dual_add_f32 v41, v41, v78 :: v_dual_add_f32 v42, v42, v44
	v_add_f32_e32 v41, v41, v79
	s_delay_alu instid0(VALU_DEP_1) | instskip(NEXT) | instid1(VALU_DEP_1)
	v_add_f32_e32 v41, v41, v80
	v_add_f32_e32 v41, v41, v81
	s_delay_alu instid0(VALU_DEP_1) | instskip(SKIP_1) | instid1(VALU_DEP_1)
	v_add_f32_e32 v41, v41, v82
	s_wait_loadcnt 0x0
	v_dual_add_f32 v44, v41, v83 :: v_dual_sub_f32 v41, v76, v42
	s_delay_alu instid0(VALU_DEP_1)
	v_sub_f32_e32 v42, v77, v44
	scratch_store_b64 off, v[41:42], off offset:88
	v_cmpx_lt_u32_e32 10, v0
	s_cbranch_execz .LBB83_113
; %bb.112:
	scratch_load_b64 v[41:42], off, off offset:80
	v_mov_b32_e32 v44, 0
	s_delay_alu instid0(VALU_DEP_1)
	v_mov_b32_e32 v45, v44
	scratch_store_b64 off, v[44:45], off offset:80
	s_wait_loadcnt 0x0
	ds_store_b64 v43, v[41:42]
.LBB83_113:
	s_wait_alu 0xfffe
	s_or_b32 exec_lo, exec_lo, s0
	s_wait_storecnt_dscnt 0x0
	s_barrier_signal -1
	s_barrier_wait -1
	global_inv scope:SCOPE_SE
	s_clause 0x5
	scratch_load_b128 v[44:47], off, off offset:88
	scratch_load_b128 v[48:51], off, off offset:104
	;; [unrolled: 1-line block ×4, first 2 shown]
	scratch_load_b64 v[76:77], off, off offset:152
	scratch_load_b64 v[78:79], off, off offset:80
	v_mov_b32_e32 v41, 0
	ds_load_2addr_b64 v[60:63], v41 offset0:31 offset1:32
	ds_load_2addr_b64 v[64:67], v41 offset0:33 offset1:34
	;; [unrolled: 1-line block ×4, first 2 shown]
	ds_load_b64 v[80:81], v41 offset:312
	s_mov_b32 s0, exec_lo
	s_wait_loadcnt_dscnt 0x504
	v_mul_f32_e32 v42, v60, v45
	s_wait_loadcnt_dscnt 0x403
	v_dual_mul_f32 v82, v62, v47 :: v_dual_mul_f32 v83, v64, v49
	s_wait_loadcnt_dscnt 0x302
	v_dual_mul_f32 v86, v70, v55 :: v_dual_mul_f32 v45, v61, v45
	s_wait_loadcnt_dscnt 0x100
	v_dual_mul_f32 v89, v80, v77 :: v_dual_fmac_f32 v42, v61, v44
	v_mul_f32_e32 v47, v63, v47
	v_dual_mul_f32 v84, v66, v51 :: v_dual_mul_f32 v85, v68, v53
	v_fma_f32 v45, v60, v44, -v45
	v_fmac_f32_e32 v82, v63, v46
	v_add_f32_e32 v42, 0, v42
	v_mul_f32_e32 v44, v65, v49
	v_fma_f32 v46, v62, v46, -v47
	v_add_f32_e32 v45, 0, v45
	v_mul_f32_e32 v47, v67, v51
	v_dual_fmac_f32 v83, v65, v48 :: v_dual_add_f32 v42, v42, v82
	v_dual_fmac_f32 v84, v67, v50 :: v_dual_fmac_f32 v85, v69, v52
	s_delay_alu instid0(VALU_DEP_4) | instskip(SKIP_1) | instid1(VALU_DEP_4)
	v_add_f32_e32 v45, v45, v46
	v_dual_mul_f32 v87, v72, v57 :: v_dual_mul_f32 v88, v74, v59
	v_add_f32_e32 v42, v42, v83
	v_dual_fmac_f32 v86, v71, v54 :: v_dual_fmac_f32 v89, v81, v76
	s_delay_alu instid0(VALU_DEP_3) | instskip(NEXT) | instid1(VALU_DEP_3)
	v_dual_fmac_f32 v87, v73, v56 :: v_dual_fmac_f32 v88, v75, v58
	v_add_f32_e32 v42, v42, v84
	v_fma_f32 v44, v64, v48, -v44
	v_mul_f32_e32 v46, v69, v53
	v_fma_f32 v47, v66, v50, -v47
	s_delay_alu instid0(VALU_DEP_4) | instskip(NEXT) | instid1(VALU_DEP_1)
	v_add_f32_e32 v42, v42, v85
	v_add_f32_e32 v42, v42, v86
	s_delay_alu instid0(VALU_DEP_1) | instskip(NEXT) | instid1(VALU_DEP_1)
	v_add_f32_e32 v42, v42, v87
	v_add_f32_e32 v42, v42, v88
	s_delay_alu instid0(VALU_DEP_1) | instskip(SKIP_2) | instid1(VALU_DEP_2)
	v_add_f32_e32 v42, v42, v89
	v_dual_add_f32 v44, v45, v44 :: v_dual_mul_f32 v45, v71, v55
	v_fma_f32 v46, v68, v52, -v46
	v_dual_add_f32 v44, v44, v47 :: v_dual_mul_f32 v47, v73, v57
	s_delay_alu instid0(VALU_DEP_3) | instskip(NEXT) | instid1(VALU_DEP_2)
	v_fma_f32 v45, v70, v54, -v45
	v_add_f32_e32 v44, v44, v46
	v_mul_f32_e32 v46, v75, v59
	s_delay_alu instid0(VALU_DEP_4) | instskip(NEXT) | instid1(VALU_DEP_3)
	v_fma_f32 v47, v72, v56, -v47
	v_add_f32_e32 v44, v44, v45
	v_mul_f32_e32 v45, v81, v77
	s_delay_alu instid0(VALU_DEP_4) | instskip(NEXT) | instid1(VALU_DEP_3)
	v_fma_f32 v46, v74, v58, -v46
	v_add_f32_e32 v44, v44, v47
	s_delay_alu instid0(VALU_DEP_3) | instskip(NEXT) | instid1(VALU_DEP_2)
	v_fma_f32 v45, v80, v76, -v45
	v_add_f32_e32 v44, v44, v46
	s_wait_loadcnt 0x0
	s_delay_alu instid0(VALU_DEP_1) | instskip(NEXT) | instid1(VALU_DEP_1)
	v_dual_add_f32 v44, v44, v45 :: v_dual_sub_f32 v45, v79, v42
	v_sub_f32_e32 v44, v78, v44
	scratch_store_b64 off, v[44:45], off offset:80
	v_cmpx_lt_u32_e32 9, v0
	s_cbranch_execz .LBB83_115
; %bb.114:
	scratch_load_b64 v[44:45], off, off offset:72
	v_mov_b32_e32 v42, v41
	scratch_store_b64 off, v[41:42], off offset:72
	s_wait_loadcnt 0x0
	ds_store_b64 v43, v[44:45]
.LBB83_115:
	s_wait_alu 0xfffe
	s_or_b32 exec_lo, exec_lo, s0
	s_wait_storecnt_dscnt 0x0
	s_barrier_signal -1
	s_barrier_wait -1
	global_inv scope:SCOPE_SE
	s_clause 0x5
	scratch_load_b128 v[44:47], off, off offset:80
	scratch_load_b128 v[48:51], off, off offset:96
	;; [unrolled: 1-line block ×5, first 2 shown]
	scratch_load_b64 v[84:85], off, off offset:72
	ds_load_b128 v[64:67], v41 offset:240
	ds_load_b128 v[68:71], v41 offset:256
	;; [unrolled: 1-line block ×5, first 2 shown]
	s_mov_b32 s0, exec_lo
	s_wait_loadcnt_dscnt 0x504
	v_dual_mul_f32 v41, v64, v45 :: v_dual_mul_f32 v42, v66, v47
	v_mul_f32_e32 v45, v65, v45
	s_wait_loadcnt_dscnt 0x403
	v_dual_mul_f32 v47, v67, v47 :: v_dual_mul_f32 v86, v68, v49
	s_delay_alu instid0(VALU_DEP_3) | instskip(NEXT) | instid1(VALU_DEP_3)
	v_dual_mul_f32 v87, v70, v51 :: v_dual_fmac_f32 v42, v67, v46
	v_fma_f32 v45, v64, v44, -v45
	v_fmac_f32_e32 v41, v65, v44
	v_mul_f32_e32 v44, v69, v49
	v_fma_f32 v46, v66, v46, -v47
	v_mul_f32_e32 v47, v71, v51
	v_dual_add_f32 v45, 0, v45 :: v_dual_fmac_f32 v86, v69, v48
	s_delay_alu instid0(VALU_DEP_4) | instskip(SKIP_2) | instid1(VALU_DEP_3)
	v_fma_f32 v44, v68, v48, -v44
	s_wait_loadcnt_dscnt 0x302
	v_dual_mul_f32 v88, v72, v53 :: v_dual_mul_f32 v89, v74, v55
	v_add_f32_e32 v45, v45, v46
	v_fmac_f32_e32 v87, v71, v50
	v_fma_f32 v46, v70, v50, -v47
	s_wait_loadcnt_dscnt 0x201
	v_dual_mul_f32 v90, v76, v57 :: v_dual_mul_f32 v91, v78, v59
	v_dual_add_f32 v44, v45, v44 :: v_dual_mul_f32 v45, v75, v55
	v_fmac_f32_e32 v88, v73, v52
	s_wait_loadcnt_dscnt 0x100
	v_dual_mul_f32 v92, v80, v61 :: v_dual_mul_f32 v93, v82, v63
	s_delay_alu instid0(VALU_DEP_3) | instskip(SKIP_3) | instid1(VALU_DEP_4)
	v_dual_add_f32 v44, v44, v46 :: v_dual_add_f32 v41, 0, v41
	v_mul_f32_e32 v46, v77, v57
	v_fma_f32 v45, v74, v54, -v45
	v_dual_fmac_f32 v89, v75, v54 :: v_dual_fmac_f32 v90, v77, v56
	v_add_f32_e32 v41, v41, v42
	v_mul_f32_e32 v42, v73, v53
	v_fma_f32 v46, v76, v56, -v46
	v_dual_fmac_f32 v91, v79, v58 :: v_dual_fmac_f32 v92, v81, v60
	s_delay_alu instid0(VALU_DEP_3) | instskip(NEXT) | instid1(VALU_DEP_1)
	v_fma_f32 v42, v72, v52, -v42
	v_add_f32_e32 v42, v44, v42
	v_mul_f32_e32 v44, v79, v59
	s_delay_alu instid0(VALU_DEP_2) | instskip(SKIP_1) | instid1(VALU_DEP_3)
	v_dual_add_f32 v42, v42, v45 :: v_dual_add_f32 v41, v41, v86
	v_mul_f32_e32 v45, v81, v61
	v_fma_f32 v44, v78, v58, -v44
	s_delay_alu instid0(VALU_DEP_3) | instskip(SKIP_3) | instid1(VALU_DEP_4)
	v_add_f32_e32 v42, v42, v46
	v_mul_f32_e32 v46, v83, v63
	v_add_f32_e32 v41, v41, v87
	v_fma_f32 v45, v80, v60, -v45
	v_dual_add_f32 v42, v42, v44 :: v_dual_fmac_f32 v93, v83, v62
	s_delay_alu instid0(VALU_DEP_3) | instskip(SKIP_1) | instid1(VALU_DEP_3)
	v_add_f32_e32 v41, v41, v88
	v_fma_f32 v44, v82, v62, -v46
	v_add_f32_e32 v42, v42, v45
	s_delay_alu instid0(VALU_DEP_1) | instskip(NEXT) | instid1(VALU_DEP_1)
	v_dual_add_f32 v41, v41, v89 :: v_dual_add_f32 v42, v42, v44
	v_add_f32_e32 v41, v41, v90
	s_delay_alu instid0(VALU_DEP_1) | instskip(NEXT) | instid1(VALU_DEP_1)
	v_add_f32_e32 v41, v41, v91
	v_add_f32_e32 v41, v41, v92
	s_wait_loadcnt 0x0
	s_delay_alu instid0(VALU_DEP_1) | instskip(NEXT) | instid1(VALU_DEP_1)
	v_dual_add_f32 v44, v41, v93 :: v_dual_sub_f32 v41, v84, v42
	v_sub_f32_e32 v42, v85, v44
	scratch_store_b64 off, v[41:42], off offset:72
	v_cmpx_lt_u32_e32 8, v0
	s_cbranch_execz .LBB83_117
; %bb.116:
	scratch_load_b64 v[41:42], off, off offset:64
	v_mov_b32_e32 v44, 0
	s_delay_alu instid0(VALU_DEP_1)
	v_mov_b32_e32 v45, v44
	scratch_store_b64 off, v[44:45], off offset:64
	s_wait_loadcnt 0x0
	ds_store_b64 v43, v[41:42]
.LBB83_117:
	s_wait_alu 0xfffe
	s_or_b32 exec_lo, exec_lo, s0
	s_wait_storecnt_dscnt 0x0
	s_barrier_signal -1
	s_barrier_wait -1
	global_inv scope:SCOPE_SE
	s_clause 0x6
	scratch_load_b128 v[44:47], off, off offset:72
	scratch_load_b128 v[48:51], off, off offset:88
	;; [unrolled: 1-line block ×5, first 2 shown]
	scratch_load_b64 v[84:85], off, off offset:152
	scratch_load_b64 v[86:87], off, off offset:64
	v_mov_b32_e32 v41, 0
	ds_load_2addr_b64 v[64:67], v41 offset0:29 offset1:30
	ds_load_2addr_b64 v[68:71], v41 offset0:31 offset1:32
	;; [unrolled: 1-line block ×5, first 2 shown]
	ds_load_b64 v[88:89], v41 offset:312
	s_mov_b32 s0, exec_lo
	s_wait_loadcnt_dscnt 0x605
	v_mul_f32_e32 v42, v64, v45
	v_dual_mul_f32 v45, v65, v45 :: v_dual_mul_f32 v90, v66, v47
	s_wait_loadcnt_dscnt 0x302
	v_dual_mul_f32 v91, v68, v49 :: v_dual_mul_f32 v96, v78, v59
	s_wait_loadcnt_dscnt 0x100
	v_dual_mul_f32 v99, v88, v85 :: v_dual_fmac_f32 v42, v65, v44
	v_mul_f32_e32 v47, v67, v47
	v_fma_f32 v45, v64, v44, -v45
	v_mul_f32_e32 v44, v69, v49
	v_fmac_f32_e32 v90, v67, v46
	v_add_f32_e32 v42, 0, v42
	v_fma_f32 v46, v66, v46, -v47
	v_add_f32_e32 v45, 0, v45
	v_mul_f32_e32 v47, v71, v51
	s_delay_alu instid0(VALU_DEP_4) | instskip(SKIP_1) | instid1(VALU_DEP_4)
	v_dual_fmac_f32 v91, v69, v48 :: v_dual_add_f32 v42, v42, v90
	v_fma_f32 v44, v68, v48, -v44
	v_dual_add_f32 v45, v45, v46 :: v_dual_mul_f32 v92, v70, v51
	v_mul_f32_e32 v93, v72, v53
	v_mul_f32_e32 v46, v73, v53
	v_fma_f32 v47, v70, v50, -v47
	v_add_f32_e32 v42, v42, v91
	v_add_f32_e32 v44, v45, v44
	v_dual_fmac_f32 v92, v71, v50 :: v_dual_fmac_f32 v93, v73, v52
	v_mul_f32_e32 v45, v75, v55
	v_fma_f32 v46, v72, v52, -v46
	s_delay_alu instid0(VALU_DEP_4) | instskip(SKIP_4) | instid1(VALU_DEP_3)
	v_dual_add_f32 v44, v44, v47 :: v_dual_mul_f32 v47, v77, v57
	v_dual_mul_f32 v94, v74, v55 :: v_dual_mul_f32 v95, v76, v57
	v_dual_mul_f32 v97, v80, v61 :: v_dual_mul_f32 v98, v82, v63
	v_add_f32_e32 v42, v42, v92
	v_fma_f32 v45, v74, v54, -v45
	v_dual_add_f32 v44, v44, v46 :: v_dual_fmac_f32 v97, v81, v60
	v_dual_fmac_f32 v94, v75, v54 :: v_dual_fmac_f32 v95, v77, v56
	v_mul_f32_e32 v46, v79, v59
	s_delay_alu instid0(VALU_DEP_3)
	v_add_f32_e32 v44, v44, v45
	v_mul_f32_e32 v45, v81, v61
	v_dual_add_f32 v42, v42, v93 :: v_dual_fmac_f32 v99, v89, v84
	v_fma_f32 v47, v76, v56, -v47
	v_fmac_f32_e32 v96, v79, v58
	v_fma_f32 v46, v78, v58, -v46
	s_delay_alu instid0(VALU_DEP_4)
	v_add_f32_e32 v42, v42, v94
	v_fma_f32 v45, v80, v60, -v45
	v_add_f32_e32 v44, v44, v47
	v_mul_f32_e32 v47, v83, v63
	v_fmac_f32_e32 v98, v83, v62
	v_add_f32_e32 v42, v42, v95
	s_delay_alu instid0(VALU_DEP_4) | instskip(SKIP_2) | instid1(VALU_DEP_4)
	v_add_f32_e32 v44, v44, v46
	v_mul_f32_e32 v46, v89, v85
	v_fma_f32 v47, v82, v62, -v47
	v_add_f32_e32 v42, v42, v96
	s_delay_alu instid0(VALU_DEP_4) | instskip(NEXT) | instid1(VALU_DEP_4)
	v_add_f32_e32 v44, v44, v45
	v_fma_f32 v45, v88, v84, -v46
	s_delay_alu instid0(VALU_DEP_3) | instskip(NEXT) | instid1(VALU_DEP_3)
	v_add_f32_e32 v42, v42, v97
	v_add_f32_e32 v44, v44, v47
	s_delay_alu instid0(VALU_DEP_2) | instskip(NEXT) | instid1(VALU_DEP_2)
	v_add_f32_e32 v42, v42, v98
	v_add_f32_e32 v44, v44, v45
	s_delay_alu instid0(VALU_DEP_2) | instskip(SKIP_1) | instid1(VALU_DEP_1)
	v_add_f32_e32 v42, v42, v99
	s_wait_loadcnt 0x0
	v_dual_sub_f32 v44, v86, v44 :: v_dual_sub_f32 v45, v87, v42
	scratch_store_b64 off, v[44:45], off offset:64
	v_cmpx_lt_u32_e32 7, v0
	s_cbranch_execz .LBB83_119
; %bb.118:
	scratch_load_b64 v[44:45], off, off offset:56
	v_mov_b32_e32 v42, v41
	scratch_store_b64 off, v[41:42], off offset:56
	s_wait_loadcnt 0x0
	ds_store_b64 v43, v[44:45]
.LBB83_119:
	s_wait_alu 0xfffe
	s_or_b32 exec_lo, exec_lo, s0
	s_wait_storecnt_dscnt 0x0
	s_barrier_signal -1
	s_barrier_wait -1
	global_inv scope:SCOPE_SE
	s_clause 0x6
	scratch_load_b128 v[44:47], off, off offset:64
	scratch_load_b128 v[48:51], off, off offset:80
	;; [unrolled: 1-line block ×6, first 2 shown]
	scratch_load_b64 v[92:93], off, off offset:56
	ds_load_b128 v[68:71], v41 offset:224
	ds_load_b128 v[72:75], v41 offset:240
	;; [unrolled: 1-line block ×6, first 2 shown]
	s_mov_b32 s0, exec_lo
	s_wait_loadcnt_dscnt 0x605
	v_dual_mul_f32 v41, v68, v45 :: v_dual_mul_f32 v42, v70, v47
	v_mul_f32_e32 v45, v69, v45
	s_wait_loadcnt_dscnt 0x504
	v_dual_mul_f32 v47, v71, v47 :: v_dual_mul_f32 v94, v72, v49
	s_delay_alu instid0(VALU_DEP_3) | instskip(NEXT) | instid1(VALU_DEP_3)
	v_dual_mul_f32 v95, v74, v51 :: v_dual_fmac_f32 v42, v71, v46
	v_fma_f32 v45, v68, v44, -v45
	v_fmac_f32_e32 v41, v69, v44
	v_mul_f32_e32 v44, v73, v49
	v_fma_f32 v46, v70, v46, -v47
	v_mul_f32_e32 v47, v75, v51
	v_dual_add_f32 v45, 0, v45 :: v_dual_fmac_f32 v94, v73, v48
	s_delay_alu instid0(VALU_DEP_4) | instskip(SKIP_2) | instid1(VALU_DEP_3)
	v_fma_f32 v44, v72, v48, -v44
	s_wait_loadcnt_dscnt 0x403
	v_dual_mul_f32 v96, v76, v53 :: v_dual_mul_f32 v97, v78, v55
	v_add_f32_e32 v45, v45, v46
	v_fmac_f32_e32 v95, v75, v50
	v_fma_f32 v46, v74, v50, -v47
	s_wait_loadcnt_dscnt 0x302
	v_dual_mul_f32 v98, v80, v57 :: v_dual_mul_f32 v99, v82, v59
	v_dual_add_f32 v44, v45, v44 :: v_dual_mul_f32 v45, v79, v55
	v_fmac_f32_e32 v96, v77, v52
	s_wait_loadcnt_dscnt 0x201
	v_dual_mul_f32 v100, v84, v61 :: v_dual_mul_f32 v101, v86, v63
	s_delay_alu instid0(VALU_DEP_3) | instskip(SKIP_3) | instid1(VALU_DEP_4)
	v_dual_add_f32 v44, v44, v46 :: v_dual_add_f32 v41, 0, v41
	v_mul_f32_e32 v46, v81, v57
	v_fma_f32 v45, v78, v54, -v45
	v_dual_fmac_f32 v97, v79, v54 :: v_dual_fmac_f32 v98, v81, v56
	v_add_f32_e32 v41, v41, v42
	v_mul_f32_e32 v42, v77, v53
	v_fma_f32 v46, v80, v56, -v46
	v_dual_fmac_f32 v99, v83, v58 :: v_dual_fmac_f32 v100, v85, v60
	s_wait_loadcnt_dscnt 0x100
	v_dual_mul_f32 v102, v88, v65 :: v_dual_mul_f32 v103, v90, v67
	v_fma_f32 v42, v76, v52, -v42
	s_delay_alu instid0(VALU_DEP_2) | instskip(NEXT) | instid1(VALU_DEP_3)
	v_dual_fmac_f32 v101, v87, v62 :: v_dual_fmac_f32 v102, v89, v64
	v_fmac_f32_e32 v103, v91, v66
	s_delay_alu instid0(VALU_DEP_3) | instskip(SKIP_1) | instid1(VALU_DEP_2)
	v_add_f32_e32 v42, v44, v42
	v_mul_f32_e32 v44, v83, v59
	v_dual_add_f32 v42, v42, v45 :: v_dual_add_f32 v41, v41, v94
	v_mul_f32_e32 v45, v85, v61
	s_delay_alu instid0(VALU_DEP_3) | instskip(NEXT) | instid1(VALU_DEP_3)
	v_fma_f32 v44, v82, v58, -v44
	v_add_f32_e32 v42, v42, v46
	v_mul_f32_e32 v46, v87, v63
	v_add_f32_e32 v41, v41, v95
	v_fma_f32 v45, v84, v60, -v45
	s_delay_alu instid0(VALU_DEP_4) | instskip(SKIP_1) | instid1(VALU_DEP_4)
	v_add_f32_e32 v42, v42, v44
	v_mul_f32_e32 v44, v89, v65
	v_add_f32_e32 v41, v41, v96
	v_fma_f32 v46, v86, v62, -v46
	s_delay_alu instid0(VALU_DEP_4) | instskip(NEXT) | instid1(VALU_DEP_3)
	v_dual_add_f32 v42, v42, v45 :: v_dual_mul_f32 v45, v91, v67
	v_add_f32_e32 v41, v41, v97
	v_fma_f32 v44, v88, v64, -v44
	s_delay_alu instid0(VALU_DEP_3) | instskip(NEXT) | instid1(VALU_DEP_4)
	v_add_f32_e32 v42, v42, v46
	v_fma_f32 v45, v90, v66, -v45
	s_delay_alu instid0(VALU_DEP_2) | instskip(NEXT) | instid1(VALU_DEP_1)
	v_dual_add_f32 v41, v41, v98 :: v_dual_add_f32 v42, v42, v44
	v_dual_add_f32 v41, v41, v99 :: v_dual_add_f32 v42, v42, v45
	s_delay_alu instid0(VALU_DEP_1) | instskip(NEXT) | instid1(VALU_DEP_1)
	v_add_f32_e32 v41, v41, v100
	v_add_f32_e32 v41, v41, v101
	s_delay_alu instid0(VALU_DEP_1) | instskip(SKIP_1) | instid1(VALU_DEP_1)
	v_add_f32_e32 v41, v41, v102
	s_wait_loadcnt 0x0
	v_dual_add_f32 v44, v41, v103 :: v_dual_sub_f32 v41, v92, v42
	s_delay_alu instid0(VALU_DEP_1)
	v_sub_f32_e32 v42, v93, v44
	scratch_store_b64 off, v[41:42], off offset:56
	v_cmpx_lt_u32_e32 6, v0
	s_cbranch_execz .LBB83_121
; %bb.120:
	scratch_load_b64 v[41:42], off, off offset:48
	v_mov_b32_e32 v44, 0
	s_delay_alu instid0(VALU_DEP_1)
	v_mov_b32_e32 v45, v44
	scratch_store_b64 off, v[44:45], off offset:48
	s_wait_loadcnt 0x0
	ds_store_b64 v43, v[41:42]
.LBB83_121:
	s_wait_alu 0xfffe
	s_or_b32 exec_lo, exec_lo, s0
	s_wait_storecnt_dscnt 0x0
	s_barrier_signal -1
	s_barrier_wait -1
	global_inv scope:SCOPE_SE
	s_clause 0x7
	scratch_load_b128 v[44:47], off, off offset:56
	scratch_load_b128 v[48:51], off, off offset:72
	;; [unrolled: 1-line block ×6, first 2 shown]
	scratch_load_b64 v[92:93], off, off offset:152
	scratch_load_b64 v[94:95], off, off offset:48
	v_mov_b32_e32 v41, 0
	ds_load_2addr_b64 v[68:71], v41 offset0:27 offset1:28
	ds_load_2addr_b64 v[72:75], v41 offset0:29 offset1:30
	ds_load_2addr_b64 v[76:79], v41 offset0:31 offset1:32
	ds_load_2addr_b64 v[80:83], v41 offset0:33 offset1:34
	ds_load_2addr_b64 v[84:87], v41 offset0:35 offset1:36
	ds_load_2addr_b64 v[88:91], v41 offset0:37 offset1:38
	ds_load_b64 v[96:97], v41 offset:312
	s_mov_b32 s0, exec_lo
	s_wait_loadcnt_dscnt 0x706
	v_mul_f32_e32 v42, v68, v45
	v_dual_mul_f32 v45, v69, v45 :: v_dual_mul_f32 v98, v70, v47
	s_wait_loadcnt_dscnt 0x302
	v_dual_mul_f32 v99, v72, v49 :: v_dual_mul_f32 v106, v86, v63
	v_mul_f32_e32 v47, v71, v47
	s_wait_loadcnt_dscnt 0x100
	v_dual_mul_f32 v109, v96, v93 :: v_dual_fmac_f32 v42, v69, v44
	v_fma_f32 v45, v68, v44, -v45
	v_mul_f32_e32 v44, v73, v49
	v_fmac_f32_e32 v98, v71, v46
	v_fma_f32 v46, v70, v46, -v47
	v_dual_add_f32 v42, 0, v42 :: v_dual_mul_f32 v47, v75, v51
	v_add_f32_e32 v45, 0, v45
	v_fmac_f32_e32 v99, v73, v48
	v_fma_f32 v44, v72, v48, -v44
	s_delay_alu instid0(VALU_DEP_4)
	v_add_f32_e32 v42, v42, v98
	v_fma_f32 v47, v74, v50, -v47
	v_add_f32_e32 v45, v45, v46
	v_mul_f32_e32 v46, v77, v53
	v_dual_mul_f32 v100, v74, v51 :: v_dual_mul_f32 v101, v76, v53
	v_add_f32_e32 v42, v42, v99
	s_delay_alu instid0(VALU_DEP_4) | instskip(NEXT) | instid1(VALU_DEP_4)
	v_dual_add_f32 v44, v45, v44 :: v_dual_mul_f32 v45, v79, v55
	v_fma_f32 v46, v76, v52, -v46
	v_dual_mul_f32 v104, v82, v59 :: v_dual_mul_f32 v105, v84, v61
	s_delay_alu instid0(VALU_DEP_3) | instskip(NEXT) | instid1(VALU_DEP_4)
	v_dual_add_f32 v44, v44, v47 :: v_dual_mul_f32 v47, v81, v57
	v_fma_f32 v45, v78, v54, -v45
	v_dual_mul_f32 v107, v88, v65 :: v_dual_mul_f32 v108, v90, v67
	s_delay_alu instid0(VALU_DEP_3) | instskip(SKIP_1) | instid1(VALU_DEP_3)
	v_dual_add_f32 v44, v44, v46 :: v_dual_fmac_f32 v105, v85, v60
	v_dual_fmac_f32 v100, v75, v50 :: v_dual_fmac_f32 v101, v77, v52
	v_dual_mul_f32 v46, v83, v59 :: v_dual_fmac_f32 v107, v89, v64
	v_fma_f32 v47, v80, v56, -v47
	s_delay_alu instid0(VALU_DEP_4) | instskip(SKIP_3) | instid1(VALU_DEP_4)
	v_dual_add_f32 v44, v44, v45 :: v_dual_fmac_f32 v109, v97, v92
	v_dual_mul_f32 v102, v78, v55 :: v_dual_mul_f32 v103, v80, v57
	v_dual_add_f32 v42, v42, v100 :: v_dual_mul_f32 v45, v85, v61
	v_fma_f32 v46, v82, v58, -v46
	v_add_f32_e32 v44, v44, v47
	s_delay_alu instid0(VALU_DEP_4) | instskip(NEXT) | instid1(VALU_DEP_4)
	v_dual_fmac_f32 v102, v79, v54 :: v_dual_fmac_f32 v103, v81, v56
	v_dual_add_f32 v42, v42, v101 :: v_dual_mul_f32 v47, v87, v63
	v_fma_f32 v45, v84, v60, -v45
	s_delay_alu instid0(VALU_DEP_4)
	v_add_f32_e32 v44, v44, v46
	v_fmac_f32_e32 v104, v83, v58
	v_mul_f32_e32 v46, v89, v65
	v_fma_f32 v47, v86, v62, -v47
	v_fmac_f32_e32 v106, v87, v62
	v_dual_add_f32 v44, v44, v45 :: v_dual_mul_f32 v45, v91, v67
	v_add_f32_e32 v42, v42, v102
	v_fma_f32 v46, v88, v64, -v46
	v_fmac_f32_e32 v108, v91, v66
	s_delay_alu instid0(VALU_DEP_4) | instskip(NEXT) | instid1(VALU_DEP_4)
	v_dual_add_f32 v44, v44, v47 :: v_dual_mul_f32 v47, v97, v93
	v_add_f32_e32 v42, v42, v103
	v_fma_f32 v45, v90, v66, -v45
	s_delay_alu instid0(VALU_DEP_3) | instskip(NEXT) | instid1(VALU_DEP_4)
	v_add_f32_e32 v44, v44, v46
	v_fma_f32 v46, v96, v92, -v47
	s_delay_alu instid0(VALU_DEP_4) | instskip(NEXT) | instid1(VALU_DEP_3)
	v_add_f32_e32 v42, v42, v104
	v_add_f32_e32 v44, v44, v45
	s_delay_alu instid0(VALU_DEP_2) | instskip(NEXT) | instid1(VALU_DEP_2)
	v_add_f32_e32 v42, v42, v105
	v_add_f32_e32 v44, v44, v46
	s_delay_alu instid0(VALU_DEP_2) | instskip(SKIP_1) | instid1(VALU_DEP_2)
	v_add_f32_e32 v42, v42, v106
	s_wait_loadcnt 0x0
	v_sub_f32_e32 v44, v94, v44
	s_delay_alu instid0(VALU_DEP_2) | instskip(NEXT) | instid1(VALU_DEP_1)
	v_add_f32_e32 v42, v42, v107
	v_add_f32_e32 v42, v42, v108
	s_delay_alu instid0(VALU_DEP_1) | instskip(NEXT) | instid1(VALU_DEP_1)
	v_add_f32_e32 v42, v42, v109
	v_sub_f32_e32 v45, v95, v42
	scratch_store_b64 off, v[44:45], off offset:48
	v_cmpx_lt_u32_e32 5, v0
	s_cbranch_execz .LBB83_123
; %bb.122:
	scratch_load_b64 v[44:45], off, off offset:40
	v_mov_b32_e32 v42, v41
	scratch_store_b64 off, v[41:42], off offset:40
	s_wait_loadcnt 0x0
	ds_store_b64 v43, v[44:45]
.LBB83_123:
	s_wait_alu 0xfffe
	s_or_b32 exec_lo, exec_lo, s0
	s_wait_storecnt_dscnt 0x0
	s_barrier_signal -1
	s_barrier_wait -1
	global_inv scope:SCOPE_SE
	s_clause 0x7
	scratch_load_b128 v[44:47], off, off offset:48
	scratch_load_b128 v[48:51], off, off offset:64
	;; [unrolled: 1-line block ×7, first 2 shown]
	scratch_load_b64 v[100:101], off, off offset:40
	ds_load_b128 v[72:75], v41 offset:208
	ds_load_b128 v[76:79], v41 offset:224
	;; [unrolled: 1-line block ×7, first 2 shown]
	s_mov_b32 s0, exec_lo
	s_wait_loadcnt_dscnt 0x706
	v_dual_mul_f32 v41, v72, v45 :: v_dual_mul_f32 v42, v74, v47
	v_mul_f32_e32 v45, v73, v45
	s_wait_loadcnt_dscnt 0x605
	v_dual_mul_f32 v47, v75, v47 :: v_dual_mul_f32 v102, v76, v49
	s_delay_alu instid0(VALU_DEP_3) | instskip(NEXT) | instid1(VALU_DEP_3)
	v_dual_mul_f32 v103, v78, v51 :: v_dual_fmac_f32 v42, v75, v46
	v_fma_f32 v45, v72, v44, -v45
	v_fmac_f32_e32 v41, v73, v44
	v_mul_f32_e32 v44, v77, v49
	v_fma_f32 v46, v74, v46, -v47
	v_mul_f32_e32 v47, v79, v51
	v_dual_add_f32 v45, 0, v45 :: v_dual_fmac_f32 v102, v77, v48
	s_delay_alu instid0(VALU_DEP_4) | instskip(SKIP_2) | instid1(VALU_DEP_3)
	v_fma_f32 v44, v76, v48, -v44
	s_wait_loadcnt_dscnt 0x504
	v_dual_mul_f32 v104, v80, v53 :: v_dual_mul_f32 v105, v82, v55
	v_add_f32_e32 v45, v45, v46
	v_fmac_f32_e32 v103, v79, v50
	v_fma_f32 v46, v78, v50, -v47
	s_wait_loadcnt_dscnt 0x403
	v_dual_mul_f32 v106, v84, v57 :: v_dual_mul_f32 v107, v86, v59
	v_dual_add_f32 v44, v45, v44 :: v_dual_mul_f32 v45, v83, v55
	v_fmac_f32_e32 v104, v81, v52
	s_wait_loadcnt_dscnt 0x302
	v_dual_mul_f32 v108, v88, v61 :: v_dual_mul_f32 v109, v90, v63
	s_delay_alu instid0(VALU_DEP_3) | instskip(SKIP_3) | instid1(VALU_DEP_4)
	v_dual_add_f32 v44, v44, v46 :: v_dual_add_f32 v41, 0, v41
	v_mul_f32_e32 v46, v85, v57
	v_fma_f32 v45, v82, v54, -v45
	v_dual_fmac_f32 v105, v83, v54 :: v_dual_fmac_f32 v106, v85, v56
	v_add_f32_e32 v41, v41, v42
	v_mul_f32_e32 v42, v81, v53
	v_fma_f32 v46, v84, v56, -v46
	v_dual_fmac_f32 v107, v87, v58 :: v_dual_fmac_f32 v108, v89, v60
	s_wait_loadcnt_dscnt 0x201
	v_dual_mul_f32 v110, v92, v65 :: v_dual_mul_f32 v111, v94, v67
	v_fma_f32 v42, v80, v52, -v42
	s_wait_loadcnt_dscnt 0x100
	v_dual_mul_f32 v112, v96, v69 :: v_dual_mul_f32 v113, v98, v71
	s_delay_alu instid0(VALU_DEP_3) | instskip(NEXT) | instid1(VALU_DEP_3)
	v_dual_fmac_f32 v109, v91, v62 :: v_dual_fmac_f32 v110, v93, v64
	v_add_f32_e32 v42, v44, v42
	v_mul_f32_e32 v44, v87, v59
	s_delay_alu instid0(VALU_DEP_4) | instskip(NEXT) | instid1(VALU_DEP_3)
	v_dual_fmac_f32 v112, v97, v68 :: v_dual_fmac_f32 v113, v99, v70
	v_dual_fmac_f32 v111, v95, v66 :: v_dual_add_f32 v42, v42, v45
	v_add_f32_e32 v41, v41, v102
	v_mul_f32_e32 v45, v89, v61
	v_fma_f32 v44, v86, v58, -v44
	s_delay_alu instid0(VALU_DEP_4) | instskip(SKIP_3) | instid1(VALU_DEP_4)
	v_add_f32_e32 v42, v42, v46
	v_mul_f32_e32 v46, v91, v63
	v_add_f32_e32 v41, v41, v103
	v_fma_f32 v45, v88, v60, -v45
	v_add_f32_e32 v42, v42, v44
	v_mul_f32_e32 v44, v93, v65
	s_delay_alu instid0(VALU_DEP_4) | instskip(SKIP_1) | instid1(VALU_DEP_4)
	v_add_f32_e32 v41, v41, v104
	v_fma_f32 v46, v90, v62, -v46
	v_dual_add_f32 v42, v42, v45 :: v_dual_mul_f32 v45, v95, v67
	s_delay_alu instid0(VALU_DEP_3) | instskip(SKIP_1) | instid1(VALU_DEP_3)
	v_add_f32_e32 v41, v41, v105
	v_fma_f32 v44, v92, v64, -v44
	v_add_f32_e32 v42, v42, v46
	s_delay_alu instid0(VALU_DEP_4) | instskip(NEXT) | instid1(VALU_DEP_4)
	v_fma_f32 v45, v94, v66, -v45
	v_add_f32_e32 v41, v41, v106
	v_mul_f32_e32 v46, v97, v69
	s_delay_alu instid0(VALU_DEP_4) | instskip(SKIP_1) | instid1(VALU_DEP_4)
	v_add_f32_e32 v42, v42, v44
	v_mul_f32_e32 v44, v99, v71
	v_add_f32_e32 v41, v41, v107
	s_delay_alu instid0(VALU_DEP_4) | instskip(NEXT) | instid1(VALU_DEP_4)
	v_fma_f32 v46, v96, v68, -v46
	v_add_f32_e32 v42, v42, v45
	s_delay_alu instid0(VALU_DEP_4) | instskip(NEXT) | instid1(VALU_DEP_2)
	v_fma_f32 v44, v98, v70, -v44
	v_dual_add_f32 v41, v41, v108 :: v_dual_add_f32 v42, v42, v46
	s_delay_alu instid0(VALU_DEP_1) | instskip(NEXT) | instid1(VALU_DEP_1)
	v_dual_add_f32 v41, v41, v109 :: v_dual_add_f32 v42, v42, v44
	v_add_f32_e32 v41, v41, v110
	s_delay_alu instid0(VALU_DEP_1) | instskip(NEXT) | instid1(VALU_DEP_1)
	v_add_f32_e32 v41, v41, v111
	v_add_f32_e32 v41, v41, v112
	s_wait_loadcnt 0x0
	s_delay_alu instid0(VALU_DEP_1) | instskip(NEXT) | instid1(VALU_DEP_1)
	v_dual_add_f32 v44, v41, v113 :: v_dual_sub_f32 v41, v100, v42
	v_sub_f32_e32 v42, v101, v44
	scratch_store_b64 off, v[41:42], off offset:40
	v_cmpx_lt_u32_e32 4, v0
	s_cbranch_execz .LBB83_125
; %bb.124:
	scratch_load_b64 v[41:42], off, off offset:32
	v_mov_b32_e32 v44, 0
	s_delay_alu instid0(VALU_DEP_1)
	v_mov_b32_e32 v45, v44
	scratch_store_b64 off, v[44:45], off offset:32
	s_wait_loadcnt 0x0
	ds_store_b64 v43, v[41:42]
.LBB83_125:
	s_wait_alu 0xfffe
	s_or_b32 exec_lo, exec_lo, s0
	s_wait_storecnt_dscnt 0x0
	s_barrier_signal -1
	s_barrier_wait -1
	global_inv scope:SCOPE_SE
	s_clause 0x8
	scratch_load_b128 v[44:47], off, off offset:40
	scratch_load_b128 v[48:51], off, off offset:56
	;; [unrolled: 1-line block ×7, first 2 shown]
	scratch_load_b64 v[100:101], off, off offset:152
	scratch_load_b64 v[102:103], off, off offset:32
	v_mov_b32_e32 v41, 0
	ds_load_2addr_b64 v[72:75], v41 offset0:25 offset1:26
	ds_load_2addr_b64 v[76:79], v41 offset0:27 offset1:28
	ds_load_2addr_b64 v[80:83], v41 offset0:29 offset1:30
	ds_load_2addr_b64 v[84:87], v41 offset0:31 offset1:32
	ds_load_2addr_b64 v[88:91], v41 offset0:33 offset1:34
	ds_load_2addr_b64 v[92:95], v41 offset0:35 offset1:36
	ds_load_2addr_b64 v[96:99], v41 offset0:37 offset1:38
	ds_load_b64 v[104:105], v41 offset:312
	s_mov_b32 s0, exec_lo
	s_wait_loadcnt_dscnt 0x807
	v_mul_f32_e32 v42, v72, v45
	v_dual_mul_f32 v45, v73, v45 :: v_dual_mul_f32 v106, v74, v47
	s_wait_loadcnt_dscnt 0x706
	v_mul_f32_e32 v107, v76, v49
	v_mul_f32_e32 v47, v75, v47
	s_wait_loadcnt_dscnt 0x302
	v_mul_f32_e32 v116, v94, v67
	v_fma_f32 v45, v72, v44, -v45
	s_wait_loadcnt_dscnt 0x100
	v_dual_mul_f32 v119, v104, v101 :: v_dual_fmac_f32 v42, v73, v44
	v_mul_f32_e32 v44, v77, v49
	s_delay_alu instid0(VALU_DEP_3) | instskip(SKIP_1) | instid1(VALU_DEP_4)
	v_dual_fmac_f32 v106, v75, v46 :: v_dual_add_f32 v45, 0, v45
	v_fma_f32 v46, v74, v46, -v47
	v_dual_add_f32 v42, 0, v42 :: v_dual_mul_f32 v47, v79, v51
	v_fmac_f32_e32 v107, v77, v48
	v_fma_f32 v44, v76, v48, -v44
	v_dual_mul_f32 v108, v78, v51 :: v_dual_mul_f32 v109, v80, v53
	s_delay_alu instid0(VALU_DEP_4)
	v_add_f32_e32 v42, v42, v106
	v_add_f32_e32 v45, v45, v46
	v_mul_f32_e32 v46, v81, v53
	v_fma_f32 v47, v78, v50, -v47
	v_dual_mul_f32 v112, v86, v59 :: v_dual_mul_f32 v113, v88, v61
	v_add_f32_e32 v42, v42, v107
	v_dual_add_f32 v44, v45, v44 :: v_dual_mul_f32 v45, v83, v55
	v_fma_f32 v46, v80, v52, -v46
	v_dual_mul_f32 v114, v90, v63 :: v_dual_mul_f32 v115, v92, v65
	s_delay_alu instid0(VALU_DEP_3) | instskip(NEXT) | instid1(VALU_DEP_4)
	v_dual_add_f32 v44, v44, v47 :: v_dual_mul_f32 v47, v85, v57
	v_fma_f32 v45, v82, v54, -v45
	v_dual_mul_f32 v117, v96, v69 :: v_dual_mul_f32 v118, v98, v71
	s_delay_alu instid0(VALU_DEP_3) | instskip(SKIP_3) | instid1(VALU_DEP_4)
	v_dual_add_f32 v44, v44, v46 :: v_dual_fmac_f32 v113, v89, v60
	v_dual_fmac_f32 v108, v79, v50 :: v_dual_fmac_f32 v109, v81, v52
	v_dual_mul_f32 v46, v87, v59 :: v_dual_fmac_f32 v115, v93, v64
	v_fma_f32 v47, v84, v56, -v47
	v_dual_add_f32 v44, v44, v45 :: v_dual_fmac_f32 v117, v97, v68
	s_delay_alu instid0(VALU_DEP_4) | instskip(NEXT) | instid1(VALU_DEP_4)
	v_dual_add_f32 v42, v42, v108 :: v_dual_mul_f32 v45, v89, v61
	v_fma_f32 v46, v86, v58, -v46
	s_delay_alu instid0(VALU_DEP_3) | instskip(SKIP_3) | instid1(VALU_DEP_4)
	v_dual_add_f32 v44, v44, v47 :: v_dual_fmac_f32 v119, v105, v100
	v_dual_mul_f32 v110, v82, v55 :: v_dual_mul_f32 v111, v84, v57
	v_mul_f32_e32 v47, v91, v63
	v_fma_f32 v45, v88, v60, -v45
	v_add_f32_e32 v44, v44, v46
	s_delay_alu instid0(VALU_DEP_4) | instskip(SKIP_4) | instid1(VALU_DEP_4)
	v_dual_fmac_f32 v110, v83, v54 :: v_dual_fmac_f32 v111, v85, v56
	v_add_f32_e32 v42, v42, v109
	v_mul_f32_e32 v46, v93, v65
	v_fma_f32 v47, v90, v62, -v47
	v_dual_add_f32 v44, v44, v45 :: v_dual_mul_f32 v45, v95, v67
	v_add_f32_e32 v42, v42, v110
	s_delay_alu instid0(VALU_DEP_4) | instskip(SKIP_1) | instid1(VALU_DEP_4)
	v_fma_f32 v46, v92, v64, -v46
	v_fmac_f32_e32 v112, v87, v58
	v_dual_add_f32 v44, v44, v47 :: v_dual_mul_f32 v47, v97, v69
	s_delay_alu instid0(VALU_DEP_4) | instskip(SKIP_2) | instid1(VALU_DEP_4)
	v_add_f32_e32 v42, v42, v111
	v_fma_f32 v45, v94, v66, -v45
	v_fmac_f32_e32 v114, v91, v62
	v_add_f32_e32 v44, v44, v46
	v_fmac_f32_e32 v116, v95, v66
	v_mul_f32_e32 v46, v99, v71
	v_fma_f32 v47, v96, v68, -v47
	v_fmac_f32_e32 v118, v99, v70
	v_add_f32_e32 v44, v44, v45
	v_dual_mul_f32 v45, v105, v101 :: v_dual_add_f32 v42, v42, v112
	v_fma_f32 v46, v98, v70, -v46
	s_delay_alu instid0(VALU_DEP_3) | instskip(NEXT) | instid1(VALU_DEP_3)
	v_add_f32_e32 v44, v44, v47
	v_fma_f32 v45, v104, v100, -v45
	s_delay_alu instid0(VALU_DEP_4) | instskip(NEXT) | instid1(VALU_DEP_3)
	v_add_f32_e32 v42, v42, v113
	v_add_f32_e32 v44, v44, v46
	s_delay_alu instid0(VALU_DEP_2) | instskip(NEXT) | instid1(VALU_DEP_2)
	v_add_f32_e32 v42, v42, v114
	v_add_f32_e32 v44, v44, v45
	s_delay_alu instid0(VALU_DEP_2) | instskip(SKIP_1) | instid1(VALU_DEP_2)
	v_add_f32_e32 v42, v42, v115
	s_wait_loadcnt 0x0
	v_sub_f32_e32 v44, v102, v44
	s_delay_alu instid0(VALU_DEP_2) | instskip(NEXT) | instid1(VALU_DEP_1)
	v_add_f32_e32 v42, v42, v116
	v_add_f32_e32 v42, v42, v117
	s_delay_alu instid0(VALU_DEP_1) | instskip(NEXT) | instid1(VALU_DEP_1)
	v_add_f32_e32 v42, v42, v118
	v_add_f32_e32 v42, v42, v119
	s_delay_alu instid0(VALU_DEP_1)
	v_sub_f32_e32 v45, v103, v42
	scratch_store_b64 off, v[44:45], off offset:32
	v_cmpx_lt_u32_e32 3, v0
	s_cbranch_execz .LBB83_127
; %bb.126:
	scratch_load_b64 v[44:45], off, off offset:24
	v_mov_b32_e32 v42, v41
	scratch_store_b64 off, v[41:42], off offset:24
	s_wait_loadcnt 0x0
	ds_store_b64 v43, v[44:45]
.LBB83_127:
	s_wait_alu 0xfffe
	s_or_b32 exec_lo, exec_lo, s0
	s_wait_storecnt_dscnt 0x0
	s_barrier_signal -1
	s_barrier_wait -1
	global_inv scope:SCOPE_SE
	s_clause 0x8
	scratch_load_b128 v[44:47], off, off offset:32
	scratch_load_b128 v[48:51], off, off offset:48
	;; [unrolled: 1-line block ×8, first 2 shown]
	scratch_load_b64 v[108:109], off, off offset:24
	ds_load_b128 v[76:79], v41 offset:192
	ds_load_b128 v[80:83], v41 offset:208
	ds_load_b128 v[84:87], v41 offset:224
	ds_load_b128 v[88:91], v41 offset:240
	ds_load_b128 v[92:95], v41 offset:256
	ds_load_b128 v[96:99], v41 offset:272
	ds_load_b128 v[100:103], v41 offset:288
	ds_load_b128 v[104:107], v41 offset:304
	s_mov_b32 s0, exec_lo
	s_wait_loadcnt_dscnt 0x807
	v_dual_mul_f32 v41, v76, v45 :: v_dual_mul_f32 v42, v78, v47
	v_mul_f32_e32 v45, v77, v45
	s_wait_loadcnt_dscnt 0x706
	v_dual_mul_f32 v47, v79, v47 :: v_dual_mul_f32 v110, v80, v49
	s_delay_alu instid0(VALU_DEP_3) | instskip(NEXT) | instid1(VALU_DEP_3)
	v_dual_mul_f32 v111, v82, v51 :: v_dual_fmac_f32 v42, v79, v46
	v_fma_f32 v45, v76, v44, -v45
	v_fmac_f32_e32 v41, v77, v44
	v_mul_f32_e32 v44, v81, v49
	v_fma_f32 v46, v78, v46, -v47
	v_mul_f32_e32 v47, v83, v51
	v_dual_add_f32 v45, 0, v45 :: v_dual_fmac_f32 v110, v81, v48
	s_delay_alu instid0(VALU_DEP_4) | instskip(SKIP_2) | instid1(VALU_DEP_3)
	v_fma_f32 v44, v80, v48, -v44
	s_wait_loadcnt_dscnt 0x605
	v_dual_mul_f32 v112, v84, v53 :: v_dual_mul_f32 v113, v86, v55
	v_add_f32_e32 v45, v45, v46
	v_fmac_f32_e32 v111, v83, v50
	v_fma_f32 v46, v82, v50, -v47
	s_wait_loadcnt_dscnt 0x504
	v_dual_mul_f32 v114, v88, v57 :: v_dual_mul_f32 v115, v90, v59
	v_dual_add_f32 v44, v45, v44 :: v_dual_mul_f32 v45, v87, v55
	v_fmac_f32_e32 v112, v85, v52
	s_wait_loadcnt_dscnt 0x403
	v_dual_mul_f32 v116, v92, v61 :: v_dual_mul_f32 v117, v94, v63
	s_delay_alu instid0(VALU_DEP_3) | instskip(SKIP_3) | instid1(VALU_DEP_4)
	v_dual_add_f32 v44, v44, v46 :: v_dual_add_f32 v41, 0, v41
	v_mul_f32_e32 v46, v89, v57
	v_fma_f32 v45, v86, v54, -v45
	v_dual_fmac_f32 v113, v87, v54 :: v_dual_fmac_f32 v114, v89, v56
	v_add_f32_e32 v41, v41, v42
	v_mul_f32_e32 v42, v85, v53
	v_fma_f32 v46, v88, v56, -v46
	v_dual_fmac_f32 v115, v91, v58 :: v_dual_fmac_f32 v116, v93, v60
	s_wait_loadcnt_dscnt 0x302
	v_dual_mul_f32 v118, v96, v65 :: v_dual_mul_f32 v119, v98, v67
	v_fma_f32 v42, v84, v52, -v42
	s_wait_loadcnt_dscnt 0x201
	v_dual_mul_f32 v120, v100, v69 :: v_dual_mul_f32 v121, v102, v71
	s_wait_loadcnt_dscnt 0x100
	v_dual_mul_f32 v122, v104, v73 :: v_dual_mul_f32 v123, v106, v75
	v_add_f32_e32 v42, v44, v42
	v_mul_f32_e32 v44, v91, v59
	v_dual_fmac_f32 v120, v101, v68 :: v_dual_fmac_f32 v121, v103, v70
	s_delay_alu instid0(VALU_DEP_4) | instskip(NEXT) | instid1(VALU_DEP_4)
	v_dual_fmac_f32 v122, v105, v72 :: v_dual_fmac_f32 v123, v107, v74
	v_dual_add_f32 v42, v42, v45 :: v_dual_add_f32 v41, v41, v110
	v_mul_f32_e32 v45, v93, v61
	v_fma_f32 v44, v90, v58, -v44
	v_fmac_f32_e32 v117, v95, v62
	s_delay_alu instid0(VALU_DEP_4)
	v_add_f32_e32 v42, v42, v46
	v_mul_f32_e32 v46, v95, v63
	v_add_f32_e32 v41, v41, v111
	v_fma_f32 v45, v92, v60, -v45
	v_fmac_f32_e32 v118, v97, v64
	v_add_f32_e32 v42, v42, v44
	v_mul_f32_e32 v44, v97, v65
	v_add_f32_e32 v41, v41, v112
	v_fma_f32 v46, v94, v62, -v46
	s_delay_alu instid0(VALU_DEP_4) | instskip(SKIP_1) | instid1(VALU_DEP_4)
	v_dual_fmac_f32 v119, v99, v66 :: v_dual_add_f32 v42, v42, v45
	v_mul_f32_e32 v45, v99, v67
	v_add_f32_e32 v41, v41, v113
	v_fma_f32 v44, v96, v64, -v44
	s_delay_alu instid0(VALU_DEP_4) | instskip(NEXT) | instid1(VALU_DEP_4)
	v_add_f32_e32 v42, v42, v46
	v_fma_f32 v45, v98, v66, -v45
	s_delay_alu instid0(VALU_DEP_4) | instskip(SKIP_1) | instid1(VALU_DEP_4)
	v_add_f32_e32 v41, v41, v114
	v_mul_f32_e32 v46, v101, v69
	v_add_f32_e32 v42, v42, v44
	v_mul_f32_e32 v44, v103, v71
	s_delay_alu instid0(VALU_DEP_4) | instskip(NEXT) | instid1(VALU_DEP_4)
	v_add_f32_e32 v41, v41, v115
	v_fma_f32 v46, v100, v68, -v46
	s_delay_alu instid0(VALU_DEP_4) | instskip(SKIP_1) | instid1(VALU_DEP_4)
	v_add_f32_e32 v42, v42, v45
	v_mul_f32_e32 v45, v105, v73
	v_add_f32_e32 v41, v41, v116
	v_fma_f32 v44, v102, v70, -v44
	s_delay_alu instid0(VALU_DEP_4) | instskip(NEXT) | instid1(VALU_DEP_3)
	v_add_f32_e32 v42, v42, v46
	v_dual_mul_f32 v46, v107, v75 :: v_dual_add_f32 v41, v41, v117
	v_fma_f32 v45, v104, v72, -v45
	s_delay_alu instid0(VALU_DEP_3) | instskip(NEXT) | instid1(VALU_DEP_3)
	v_add_f32_e32 v42, v42, v44
	v_fma_f32 v44, v106, v74, -v46
	s_delay_alu instid0(VALU_DEP_2) | instskip(NEXT) | instid1(VALU_DEP_1)
	v_dual_add_f32 v41, v41, v118 :: v_dual_add_f32 v42, v42, v45
	v_dual_add_f32 v41, v41, v119 :: v_dual_add_f32 v42, v42, v44
	s_delay_alu instid0(VALU_DEP_1) | instskip(NEXT) | instid1(VALU_DEP_1)
	v_add_f32_e32 v41, v41, v120
	v_add_f32_e32 v41, v41, v121
	s_delay_alu instid0(VALU_DEP_1) | instskip(SKIP_1) | instid1(VALU_DEP_1)
	v_add_f32_e32 v41, v41, v122
	s_wait_loadcnt 0x0
	v_dual_add_f32 v44, v41, v123 :: v_dual_sub_f32 v41, v108, v42
	s_delay_alu instid0(VALU_DEP_1)
	v_sub_f32_e32 v42, v109, v44
	scratch_store_b64 off, v[41:42], off offset:24
	v_cmpx_lt_u32_e32 2, v0
	s_cbranch_execz .LBB83_129
; %bb.128:
	scratch_load_b64 v[41:42], off, off offset:16
	v_mov_b32_e32 v44, 0
	s_delay_alu instid0(VALU_DEP_1)
	v_mov_b32_e32 v45, v44
	scratch_store_b64 off, v[44:45], off offset:16
	s_wait_loadcnt 0x0
	ds_store_b64 v43, v[41:42]
.LBB83_129:
	s_wait_alu 0xfffe
	s_or_b32 exec_lo, exec_lo, s0
	s_wait_storecnt_dscnt 0x0
	s_barrier_signal -1
	s_barrier_wait -1
	global_inv scope:SCOPE_SE
	s_clause 0x9
	scratch_load_b128 v[44:47], off, off offset:24
	scratch_load_b128 v[48:51], off, off offset:40
	;; [unrolled: 1-line block ×8, first 2 shown]
	scratch_load_b64 v[108:109], off, off offset:152
	scratch_load_b64 v[110:111], off, off offset:16
	v_mov_b32_e32 v41, 0
	ds_load_2addr_b64 v[76:79], v41 offset0:23 offset1:24
	ds_load_2addr_b64 v[80:83], v41 offset0:25 offset1:26
	;; [unrolled: 1-line block ×8, first 2 shown]
	ds_load_b64 v[112:113], v41 offset:312
	s_mov_b32 s0, exec_lo
	s_wait_loadcnt_dscnt 0x908
	v_mul_f32_e32 v42, v76, v45
	s_wait_loadcnt_dscnt 0x807
	v_dual_mul_f32 v114, v78, v47 :: v_dual_mul_f32 v115, v80, v49
	v_mul_f32_e32 v45, v77, v45
	s_delay_alu instid0(VALU_DEP_3)
	v_dual_mul_f32 v47, v79, v47 :: v_dual_fmac_f32 v42, v77, v44
	s_wait_loadcnt_dscnt 0x302
	v_mul_f32_e32 v126, v102, v71
	v_dual_mul_f32 v116, v82, v51 :: v_dual_mul_f32 v117, v84, v53
	s_wait_loadcnt_dscnt 0x100
	v_mul_f32_e32 v129, v112, v109
	v_fma_f32 v45, v76, v44, -v45
	v_mul_f32_e32 v44, v81, v49
	v_fmac_f32_e32 v114, v79, v46
	v_fma_f32 v46, v78, v46, -v47
	v_dual_add_f32 v42, 0, v42 :: v_dual_mul_f32 v47, v83, v51
	v_add_f32_e32 v45, 0, v45
	v_fmac_f32_e32 v115, v81, v48
	v_fma_f32 v44, v80, v48, -v44
	s_delay_alu instid0(VALU_DEP_4)
	v_add_f32_e32 v42, v42, v114
	v_fma_f32 v47, v82, v50, -v47
	v_add_f32_e32 v45, v45, v46
	v_mul_f32_e32 v46, v85, v53
	v_dual_mul_f32 v120, v90, v59 :: v_dual_mul_f32 v121, v92, v61
	v_add_f32_e32 v42, v42, v115
	s_delay_alu instid0(VALU_DEP_4) | instskip(NEXT) | instid1(VALU_DEP_4)
	v_dual_add_f32 v44, v45, v44 :: v_dual_mul_f32 v45, v87, v55
	v_fma_f32 v46, v84, v52, -v46
	v_dual_mul_f32 v122, v94, v63 :: v_dual_mul_f32 v123, v96, v65
	s_delay_alu instid0(VALU_DEP_3) | instskip(NEXT) | instid1(VALU_DEP_4)
	v_dual_add_f32 v44, v44, v47 :: v_dual_mul_f32 v47, v89, v57
	v_fma_f32 v45, v86, v54, -v45
	v_dual_mul_f32 v124, v98, v67 :: v_dual_mul_f32 v125, v100, v69
	s_delay_alu instid0(VALU_DEP_3) | instskip(SKIP_3) | instid1(VALU_DEP_4)
	v_dual_add_f32 v44, v44, v46 :: v_dual_fmac_f32 v121, v93, v60
	v_dual_fmac_f32 v116, v83, v50 :: v_dual_fmac_f32 v117, v85, v52
	v_dual_mul_f32 v46, v91, v59 :: v_dual_fmac_f32 v123, v97, v64
	v_fma_f32 v47, v88, v56, -v47
	v_dual_add_f32 v44, v44, v45 :: v_dual_fmac_f32 v125, v101, v68
	v_dual_mul_f32 v127, v104, v73 :: v_dual_mul_f32 v128, v106, v75
	v_dual_add_f32 v42, v42, v116 :: v_dual_mul_f32 v45, v93, v61
	v_fma_f32 v46, v90, v58, -v46
	s_delay_alu instid0(VALU_DEP_3) | instskip(SKIP_3) | instid1(VALU_DEP_4)
	v_dual_add_f32 v44, v44, v47 :: v_dual_fmac_f32 v127, v105, v72
	v_dual_mul_f32 v118, v86, v55 :: v_dual_mul_f32 v119, v88, v57
	v_mul_f32_e32 v47, v95, v63
	v_fma_f32 v45, v92, v60, -v45
	v_add_f32_e32 v44, v44, v46
	s_delay_alu instid0(VALU_DEP_4) | instskip(SKIP_4) | instid1(VALU_DEP_4)
	v_dual_fmac_f32 v118, v87, v54 :: v_dual_fmac_f32 v119, v89, v56
	v_add_f32_e32 v42, v42, v117
	v_mul_f32_e32 v46, v97, v65
	v_fma_f32 v47, v94, v62, -v47
	v_dual_add_f32 v44, v44, v45 :: v_dual_mul_f32 v45, v99, v67
	v_add_f32_e32 v42, v42, v118
	s_delay_alu instid0(VALU_DEP_4) | instskip(SKIP_1) | instid1(VALU_DEP_4)
	v_fma_f32 v46, v96, v64, -v46
	v_fmac_f32_e32 v120, v91, v58
	v_dual_add_f32 v44, v44, v47 :: v_dual_mul_f32 v47, v101, v69
	s_delay_alu instid0(VALU_DEP_4) | instskip(SKIP_1) | instid1(VALU_DEP_3)
	v_dual_add_f32 v42, v42, v119 :: v_dual_fmac_f32 v129, v113, v108
	v_fma_f32 v45, v98, v66, -v45
	v_add_f32_e32 v44, v44, v46
	v_fmac_f32_e32 v122, v95, v62
	v_fmac_f32_e32 v124, v99, v66
	v_mul_f32_e32 v46, v103, v71
	v_fma_f32 v47, v100, v68, -v47
	v_add_f32_e32 v44, v44, v45
	v_dual_mul_f32 v45, v105, v73 :: v_dual_add_f32 v42, v42, v120
	v_fmac_f32_e32 v126, v103, v70
	v_fma_f32 v46, v102, v70, -v46
	s_delay_alu instid0(VALU_DEP_4) | instskip(NEXT) | instid1(VALU_DEP_4)
	v_add_f32_e32 v44, v44, v47
	v_dual_mul_f32 v47, v107, v75 :: v_dual_add_f32 v42, v42, v121
	v_fma_f32 v45, v104, v72, -v45
	v_fmac_f32_e32 v128, v107, v74
	s_delay_alu instid0(VALU_DEP_4) | instskip(SKIP_3) | instid1(VALU_DEP_4)
	v_add_f32_e32 v44, v44, v46
	v_mul_f32_e32 v46, v113, v109
	v_add_f32_e32 v42, v42, v122
	v_fma_f32 v47, v106, v74, -v47
	v_add_f32_e32 v44, v44, v45
	s_delay_alu instid0(VALU_DEP_4) | instskip(NEXT) | instid1(VALU_DEP_4)
	v_fma_f32 v45, v112, v108, -v46
	v_add_f32_e32 v42, v42, v123
	s_delay_alu instid0(VALU_DEP_3) | instskip(NEXT) | instid1(VALU_DEP_2)
	v_add_f32_e32 v44, v44, v47
	v_add_f32_e32 v42, v42, v124
	s_delay_alu instid0(VALU_DEP_2) | instskip(NEXT) | instid1(VALU_DEP_2)
	v_add_f32_e32 v44, v44, v45
	v_add_f32_e32 v42, v42, v125
	s_wait_loadcnt 0x0
	s_delay_alu instid0(VALU_DEP_2) | instskip(NEXT) | instid1(VALU_DEP_2)
	v_sub_f32_e32 v44, v110, v44
	v_add_f32_e32 v42, v42, v126
	s_delay_alu instid0(VALU_DEP_1) | instskip(NEXT) | instid1(VALU_DEP_1)
	v_add_f32_e32 v42, v42, v127
	v_add_f32_e32 v42, v42, v128
	s_delay_alu instid0(VALU_DEP_1) | instskip(NEXT) | instid1(VALU_DEP_1)
	v_add_f32_e32 v42, v42, v129
	v_sub_f32_e32 v45, v111, v42
	scratch_store_b64 off, v[44:45], off offset:16
	v_cmpx_lt_u32_e32 1, v0
	s_cbranch_execz .LBB83_131
; %bb.130:
	scratch_load_b64 v[44:45], off, off offset:8
	v_mov_b32_e32 v42, v41
	scratch_store_b64 off, v[41:42], off offset:8
	s_wait_loadcnt 0x0
	ds_store_b64 v43, v[44:45]
.LBB83_131:
	s_wait_alu 0xfffe
	s_or_b32 exec_lo, exec_lo, s0
	s_wait_storecnt_dscnt 0x0
	s_barrier_signal -1
	s_barrier_wait -1
	global_inv scope:SCOPE_SE
	s_clause 0x9
	scratch_load_b128 v[44:47], off, off offset:16
	scratch_load_b128 v[48:51], off, off offset:32
	scratch_load_b128 v[52:55], off, off offset:48
	scratch_load_b128 v[56:59], off, off offset:64
	scratch_load_b128 v[60:63], off, off offset:80
	scratch_load_b128 v[64:67], off, off offset:96
	scratch_load_b128 v[68:71], off, off offset:112
	scratch_load_b128 v[72:75], off, off offset:128
	scratch_load_b128 v[76:79], off, off offset:144
	scratch_load_b64 v[116:117], off, off offset:8
	ds_load_b128 v[80:83], v41 offset:176
	ds_load_b128 v[84:87], v41 offset:192
	;; [unrolled: 1-line block ×9, first 2 shown]
	s_mov_b32 s0, exec_lo
	s_wait_loadcnt_dscnt 0x908
	v_dual_mul_f32 v41, v80, v45 :: v_dual_mul_f32 v42, v82, v47
	v_mul_f32_e32 v45, v81, v45
	s_wait_loadcnt_dscnt 0x807
	v_dual_mul_f32 v47, v83, v47 :: v_dual_mul_f32 v118, v84, v49
	s_delay_alu instid0(VALU_DEP_3) | instskip(NEXT) | instid1(VALU_DEP_3)
	v_dual_mul_f32 v119, v86, v51 :: v_dual_fmac_f32 v42, v83, v46
	v_fma_f32 v45, v80, v44, -v45
	v_fmac_f32_e32 v41, v81, v44
	v_mul_f32_e32 v44, v85, v49
	v_fma_f32 v46, v82, v46, -v47
	v_mul_f32_e32 v47, v87, v51
	v_dual_add_f32 v45, 0, v45 :: v_dual_fmac_f32 v118, v85, v48
	s_delay_alu instid0(VALU_DEP_4) | instskip(SKIP_2) | instid1(VALU_DEP_3)
	v_fma_f32 v44, v84, v48, -v44
	s_wait_loadcnt_dscnt 0x706
	v_dual_mul_f32 v120, v88, v53 :: v_dual_mul_f32 v121, v90, v55
	v_add_f32_e32 v45, v45, v46
	v_fmac_f32_e32 v119, v87, v50
	v_fma_f32 v46, v86, v50, -v47
	s_wait_loadcnt_dscnt 0x605
	v_dual_mul_f32 v122, v92, v57 :: v_dual_mul_f32 v123, v94, v59
	v_dual_add_f32 v44, v45, v44 :: v_dual_mul_f32 v45, v91, v55
	v_fmac_f32_e32 v120, v89, v52
	s_wait_loadcnt_dscnt 0x504
	v_dual_mul_f32 v124, v96, v61 :: v_dual_mul_f32 v125, v98, v63
	s_delay_alu instid0(VALU_DEP_3) | instskip(SKIP_3) | instid1(VALU_DEP_4)
	v_dual_add_f32 v44, v44, v46 :: v_dual_add_f32 v41, 0, v41
	v_mul_f32_e32 v46, v93, v57
	v_fma_f32 v45, v90, v54, -v45
	v_dual_fmac_f32 v121, v91, v54 :: v_dual_fmac_f32 v122, v93, v56
	v_add_f32_e32 v41, v41, v42
	v_mul_f32_e32 v42, v89, v53
	v_fma_f32 v46, v92, v56, -v46
	v_dual_fmac_f32 v123, v95, v58 :: v_dual_fmac_f32 v124, v97, v60
	s_wait_loadcnt_dscnt 0x403
	v_dual_mul_f32 v126, v100, v65 :: v_dual_mul_f32 v127, v102, v67
	v_fma_f32 v42, v88, v52, -v42
	s_wait_loadcnt_dscnt 0x302
	v_dual_mul_f32 v128, v104, v69 :: v_dual_mul_f32 v129, v106, v71
	s_wait_loadcnt_dscnt 0x201
	v_dual_mul_f32 v130, v108, v73 :: v_dual_mul_f32 v131, v110, v75
	v_add_f32_e32 v42, v44, v42
	v_mul_f32_e32 v44, v95, v59
	v_dual_fmac_f32 v128, v105, v68 :: v_dual_fmac_f32 v129, v107, v70
	s_delay_alu instid0(VALU_DEP_4) | instskip(NEXT) | instid1(VALU_DEP_4)
	v_dual_fmac_f32 v130, v109, v72 :: v_dual_fmac_f32 v131, v111, v74
	v_dual_add_f32 v42, v42, v45 :: v_dual_add_f32 v41, v41, v118
	v_mul_f32_e32 v45, v97, v61
	v_fma_f32 v44, v94, v58, -v44
	v_fmac_f32_e32 v125, v99, v62
	s_delay_alu instid0(VALU_DEP_4)
	v_add_f32_e32 v42, v42, v46
	v_mul_f32_e32 v46, v99, v63
	v_add_f32_e32 v41, v41, v119
	v_fma_f32 v45, v96, v60, -v45
	v_fmac_f32_e32 v126, v101, v64
	v_add_f32_e32 v42, v42, v44
	v_mul_f32_e32 v44, v101, v65
	v_add_f32_e32 v41, v41, v120
	v_fma_f32 v46, v98, v62, -v46
	s_delay_alu instid0(VALU_DEP_4) | instskip(SKIP_1) | instid1(VALU_DEP_4)
	v_dual_fmac_f32 v127, v103, v66 :: v_dual_add_f32 v42, v42, v45
	v_mul_f32_e32 v45, v103, v67
	v_add_f32_e32 v41, v41, v121
	v_fma_f32 v44, v100, v64, -v44
	s_wait_loadcnt_dscnt 0x100
	v_dual_mul_f32 v132, v112, v77 :: v_dual_mul_f32 v133, v114, v79
	v_add_f32_e32 v42, v42, v46
	v_add_f32_e32 v41, v41, v122
	v_fma_f32 v45, v102, v66, -v45
	v_mul_f32_e32 v46, v105, v69
	v_dual_fmac_f32 v132, v113, v76 :: v_dual_fmac_f32 v133, v115, v78
	s_delay_alu instid0(VALU_DEP_4) | instskip(SKIP_1) | instid1(VALU_DEP_4)
	v_dual_add_f32 v42, v42, v44 :: v_dual_add_f32 v41, v41, v123
	v_mul_f32_e32 v44, v107, v71
	v_fma_f32 v46, v104, v68, -v46
	s_delay_alu instid0(VALU_DEP_3) | instskip(SKIP_1) | instid1(VALU_DEP_4)
	v_dual_add_f32 v42, v42, v45 :: v_dual_add_f32 v41, v41, v124
	v_mul_f32_e32 v45, v109, v73
	v_fma_f32 v44, v106, v70, -v44
	s_delay_alu instid0(VALU_DEP_3) | instskip(SKIP_1) | instid1(VALU_DEP_4)
	v_dual_add_f32 v42, v42, v46 :: v_dual_add_f32 v41, v41, v125
	v_mul_f32_e32 v46, v111, v75
	v_fma_f32 v45, v108, v72, -v45
	s_delay_alu instid0(VALU_DEP_3) | instskip(SKIP_1) | instid1(VALU_DEP_4)
	v_dual_add_f32 v42, v42, v44 :: v_dual_add_f32 v41, v41, v126
	v_mul_f32_e32 v44, v113, v77
	v_fma_f32 v46, v110, v74, -v46
	s_delay_alu instid0(VALU_DEP_3) | instskip(SKIP_1) | instid1(VALU_DEP_4)
	v_dual_add_f32 v42, v42, v45 :: v_dual_add_f32 v41, v41, v127
	v_mul_f32_e32 v45, v115, v79
	v_fma_f32 v44, v112, v76, -v44
	s_delay_alu instid0(VALU_DEP_3) | instskip(NEXT) | instid1(VALU_DEP_3)
	v_dual_add_f32 v42, v42, v46 :: v_dual_add_f32 v41, v41, v128
	v_fma_f32 v45, v114, v78, -v45
	s_delay_alu instid0(VALU_DEP_2) | instskip(NEXT) | instid1(VALU_DEP_1)
	v_dual_add_f32 v42, v42, v44 :: v_dual_add_f32 v41, v41, v129
	v_dual_add_f32 v42, v42, v45 :: v_dual_add_f32 v41, v41, v130
	s_delay_alu instid0(VALU_DEP_1) | instskip(NEXT) | instid1(VALU_DEP_1)
	v_add_f32_e32 v41, v41, v131
	v_add_f32_e32 v41, v41, v132
	s_wait_loadcnt 0x0
	s_delay_alu instid0(VALU_DEP_1) | instskip(NEXT) | instid1(VALU_DEP_1)
	v_dual_add_f32 v44, v41, v133 :: v_dual_sub_f32 v41, v116, v42
	v_sub_f32_e32 v42, v117, v44
	scratch_store_b64 off, v[41:42], off offset:8
	v_cmpx_ne_u32_e32 0, v0
	s_cbranch_execz .LBB83_133
; %bb.132:
	scratch_load_b64 v[41:42], off, off
	v_mov_b32_e32 v44, 0
	s_delay_alu instid0(VALU_DEP_1)
	v_mov_b32_e32 v45, v44
	scratch_store_b64 off, v[44:45], off
	s_wait_loadcnt 0x0
	ds_store_b64 v43, v[41:42]
.LBB83_133:
	s_wait_alu 0xfffe
	s_or_b32 exec_lo, exec_lo, s0
	s_wait_storecnt_dscnt 0x0
	s_barrier_signal -1
	s_barrier_wait -1
	global_inv scope:SCOPE_SE
	s_clause 0xa
	scratch_load_b128 v[41:44], off, off offset:8
	scratch_load_b128 v[45:48], off, off offset:24
	;; [unrolled: 1-line block ×9, first 2 shown]
	scratch_load_b64 v[113:114], off, off offset:152
	scratch_load_b64 v[115:116], off, off
	v_mov_b32_e32 v0, 0
	ds_load_2addr_b64 v[77:80], v0 offset0:21 offset1:22
	ds_load_2addr_b64 v[81:84], v0 offset0:23 offset1:24
	;; [unrolled: 1-line block ×9, first 2 shown]
	ds_load_b64 v[117:118], v0 offset:312
	s_and_b32 vcc_lo, exec_lo, s12
	s_wait_loadcnt_dscnt 0xa09
	v_dual_mul_f32 v119, v77, v42 :: v_dual_mul_f32 v120, v79, v44
	s_wait_loadcnt_dscnt 0x908
	v_dual_mul_f32 v121, v81, v46 :: v_dual_mul_f32 v44, v80, v44
	;; [unrolled: 2-line block ×3, first 2 shown]
	v_dual_fmac_f32 v119, v78, v41 :: v_dual_fmac_f32 v120, v80, v43
	s_delay_alu instid0(VALU_DEP_3) | instskip(SKIP_1) | instid1(VALU_DEP_4)
	v_fmac_f32_e32 v121, v82, v45
	v_fma_f32 v43, v79, v43, -v44
	v_dual_fmac_f32 v122, v84, v47 :: v_dual_fmac_f32 v123, v86, v49
	s_delay_alu instid0(VALU_DEP_4)
	v_add_f32_e32 v44, 0, v119
	v_mul_f32_e32 v42, v78, v42
	s_wait_loadcnt_dscnt 0x706
	v_dual_mul_f32 v124, v87, v52 :: v_dual_mul_f32 v125, v89, v54
	s_wait_loadcnt_dscnt 0x605
	v_dual_mul_f32 v126, v91, v56 :: v_dual_mul_f32 v127, v93, v58
	v_fma_f32 v42, v77, v41, -v42
	v_dual_mul_f32 v41, v82, v46 :: v_dual_mul_f32 v46, v84, v48
	v_dual_fmac_f32 v124, v88, v51 :: v_dual_fmac_f32 v125, v90, v53
	s_delay_alu instid0(VALU_DEP_3) | instskip(NEXT) | instid1(VALU_DEP_3)
	v_add_f32_e32 v42, 0, v42
	v_fma_f32 v41, v81, v45, -v41
	s_delay_alu instid0(VALU_DEP_4) | instskip(SKIP_1) | instid1(VALU_DEP_4)
	v_fma_f32 v45, v83, v47, -v46
	v_dual_fmac_f32 v126, v92, v55 :: v_dual_fmac_f32 v127, v94, v57
	v_add_f32_e32 v42, v42, v43
	s_wait_loadcnt_dscnt 0x504
	v_dual_mul_f32 v128, v95, v60 :: v_dual_mul_f32 v129, v97, v62
	s_wait_loadcnt_dscnt 0x403
	v_dual_mul_f32 v130, v99, v64 :: v_dual_mul_f32 v131, v101, v66
	v_add_f32_e32 v41, v42, v41
	v_add_f32_e32 v43, v44, v120
	v_dual_fmac_f32 v128, v96, v59 :: v_dual_fmac_f32 v129, v98, v61
	s_wait_loadcnt_dscnt 0x302
	v_dual_mul_f32 v132, v103, v68 :: v_dual_mul_f32 v133, v105, v70
	s_delay_alu instid0(VALU_DEP_3)
	v_dual_add_f32 v42, v43, v121 :: v_dual_mul_f32 v43, v88, v52
	v_add_f32_e32 v41, v41, v45
	v_dual_mul_f32 v45, v90, v54 :: v_dual_mul_f32 v134, v107, v72
	s_wait_loadcnt_dscnt 0x201
	v_mul_f32_e32 v135, v109, v74
	v_fma_f32 v43, v87, v51, -v43
	v_mul_f32_e32 v44, v86, v50
	v_fma_f32 v45, v89, v53, -v45
	v_dual_fmac_f32 v133, v106, v69 :: v_dual_fmac_f32 v134, v108, v71
	s_wait_loadcnt_dscnt 0x100
	v_dual_mul_f32 v136, v111, v76 :: v_dual_mul_f32 v137, v117, v114
	v_fma_f32 v44, v85, v49, -v44
	v_add_f32_e32 v42, v42, v122
	s_delay_alu instid0(VALU_DEP_3) | instskip(NEXT) | instid1(VALU_DEP_4)
	v_dual_fmac_f32 v135, v110, v73 :: v_dual_fmac_f32 v136, v112, v75
	v_fmac_f32_e32 v137, v118, v113
	s_delay_alu instid0(VALU_DEP_4) | instskip(SKIP_3) | instid1(VALU_DEP_4)
	v_add_f32_e32 v41, v41, v44
	v_mul_f32_e32 v44, v92, v56
	v_dual_fmac_f32 v130, v100, v63 :: v_dual_fmac_f32 v131, v102, v65
	v_fmac_f32_e32 v132, v104, v67
	v_add_f32_e32 v41, v41, v43
	v_add_f32_e32 v42, v42, v123
	v_mul_f32_e32 v43, v94, v58
	v_fma_f32 v44, v91, v55, -v44
	s_delay_alu instid0(VALU_DEP_4) | instskip(SKIP_1) | instid1(VALU_DEP_4)
	v_add_f32_e32 v41, v41, v45
	v_mul_f32_e32 v45, v96, v60
	v_fma_f32 v43, v93, v57, -v43
	s_delay_alu instid0(VALU_DEP_3) | instskip(SKIP_3) | instid1(VALU_DEP_3)
	v_add_f32_e32 v41, v41, v44
	v_add_f32_e32 v42, v42, v124
	v_mul_f32_e32 v44, v98, v62
	v_fma_f32 v45, v95, v59, -v45
	v_dual_add_f32 v41, v41, v43 :: v_dual_add_f32 v42, v42, v125
	v_mul_f32_e32 v43, v100, v64
	s_delay_alu instid0(VALU_DEP_4) | instskip(NEXT) | instid1(VALU_DEP_3)
	v_fma_f32 v44, v97, v61, -v44
	v_dual_add_f32 v41, v41, v45 :: v_dual_add_f32 v42, v42, v126
	s_delay_alu instid0(VALU_DEP_3) | instskip(SKIP_1) | instid1(VALU_DEP_3)
	v_fma_f32 v43, v99, v63, -v43
	v_mul_f32_e32 v45, v102, v66
	v_dual_add_f32 v41, v41, v44 :: v_dual_add_f32 v42, v42, v127
	v_mul_f32_e32 v44, v104, v68
	s_delay_alu instid0(VALU_DEP_3) | instskip(NEXT) | instid1(VALU_DEP_3)
	v_fma_f32 v45, v101, v65, -v45
	v_dual_add_f32 v41, v41, v43 :: v_dual_add_f32 v42, v42, v128
	v_mul_f32_e32 v43, v106, v70
	s_delay_alu instid0(VALU_DEP_4) | instskip(NEXT) | instid1(VALU_DEP_3)
	v_fma_f32 v44, v103, v67, -v44
	v_add_f32_e32 v41, v41, v45
	s_delay_alu instid0(VALU_DEP_4) | instskip(NEXT) | instid1(VALU_DEP_4)
	v_dual_add_f32 v42, v42, v129 :: v_dual_mul_f32 v45, v108, v72
	v_fma_f32 v43, v105, v69, -v43
	s_delay_alu instid0(VALU_DEP_3) | instskip(NEXT) | instid1(VALU_DEP_3)
	v_dual_add_f32 v41, v41, v44 :: v_dual_mul_f32 v44, v110, v74
	v_add_f32_e32 v42, v42, v130
	s_delay_alu instid0(VALU_DEP_4) | instskip(NEXT) | instid1(VALU_DEP_3)
	v_fma_f32 v45, v107, v71, -v45
	v_add_f32_e32 v41, v41, v43
	s_delay_alu instid0(VALU_DEP_3) | instskip(SKIP_1) | instid1(VALU_DEP_2)
	v_dual_mul_f32 v43, v112, v76 :: v_dual_add_f32 v42, v42, v131
	v_fma_f32 v44, v109, v73, -v44
	v_fma_f32 v43, v111, v75, -v43
	s_delay_alu instid0(VALU_DEP_3) | instskip(NEXT) | instid1(VALU_DEP_1)
	v_add_f32_e32 v42, v42, v132
	v_add_f32_e32 v42, v42, v133
	;; [unrolled: 1-line block ×3, first 2 shown]
	v_mul_f32_e32 v45, v118, v114
	s_delay_alu instid0(VALU_DEP_2) | instskip(NEXT) | instid1(VALU_DEP_2)
	v_dual_add_f32 v42, v42, v134 :: v_dual_add_f32 v41, v41, v44
	v_fma_f32 v44, v117, v113, -v45
	s_delay_alu instid0(VALU_DEP_2) | instskip(NEXT) | instid1(VALU_DEP_1)
	v_add_f32_e32 v42, v42, v135
	v_dual_add_f32 v41, v41, v43 :: v_dual_add_f32 v42, v42, v136
	s_delay_alu instid0(VALU_DEP_1) | instskip(SKIP_1) | instid1(VALU_DEP_1)
	v_dual_add_f32 v41, v41, v44 :: v_dual_add_f32 v42, v42, v137
	s_wait_loadcnt 0x0
	v_dual_sub_f32 v41, v115, v41 :: v_dual_sub_f32 v42, v116, v42
	scratch_store_b64 off, v[41:42], off
	s_wait_alu 0xfffe
	s_cbranch_vccz .LBB83_172
; %bb.134:
	global_load_b32 v0, v0, s[2:3] offset:72
	s_wait_loadcnt 0x0
	v_cmp_ne_u32_e32 vcc_lo, 19, v0
	s_cbranch_vccz .LBB83_136
; %bb.135:
	v_lshlrev_b32_e32 v0, 3, v0
	scratch_load_b64 v[41:42], v0, off offset:-8
	scratch_load_b64 v[43:44], off, off offset:144
	s_wait_loadcnt 0x1
	scratch_store_b64 off, v[41:42], off offset:144
	s_wait_loadcnt 0x0
	scratch_store_b64 v0, v[43:44], off offset:-8
.LBB83_136:
	v_mov_b32_e32 v0, 0
	global_load_b32 v41, v0, s[2:3] offset:68
	s_wait_loadcnt 0x0
	v_cmp_eq_u32_e32 vcc_lo, 18, v41
	s_cbranch_vccnz .LBB83_138
; %bb.137:
	v_lshlrev_b32_e32 v41, 3, v41
	s_delay_alu instid0(VALU_DEP_1)
	v_mov_b32_e32 v45, v41
	scratch_load_b64 v[41:42], v45, off offset:-8
	scratch_load_b64 v[43:44], off, off offset:136
	s_wait_loadcnt 0x1
	scratch_store_b64 off, v[41:42], off offset:136
	s_wait_loadcnt 0x0
	scratch_store_b64 v45, v[43:44], off offset:-8
.LBB83_138:
	global_load_b32 v0, v0, s[2:3] offset:64
	s_wait_loadcnt 0x0
	v_cmp_eq_u32_e32 vcc_lo, 17, v0
	s_cbranch_vccnz .LBB83_140
; %bb.139:
	v_lshlrev_b32_e32 v0, 3, v0
	scratch_load_b64 v[41:42], v0, off offset:-8
	scratch_load_b64 v[43:44], off, off offset:128
	s_wait_loadcnt 0x1
	scratch_store_b64 off, v[41:42], off offset:128
	s_wait_loadcnt 0x0
	scratch_store_b64 v0, v[43:44], off offset:-8
.LBB83_140:
	v_mov_b32_e32 v0, 0
	global_load_b32 v41, v0, s[2:3] offset:60
	s_wait_loadcnt 0x0
	v_cmp_eq_u32_e32 vcc_lo, 16, v41
	s_cbranch_vccnz .LBB83_142
; %bb.141:
	v_lshlrev_b32_e32 v41, 3, v41
	s_delay_alu instid0(VALU_DEP_1)
	v_mov_b32_e32 v45, v41
	scratch_load_b64 v[41:42], v45, off offset:-8
	scratch_load_b64 v[43:44], off, off offset:120
	s_wait_loadcnt 0x1
	scratch_store_b64 off, v[41:42], off offset:120
	s_wait_loadcnt 0x0
	scratch_store_b64 v45, v[43:44], off offset:-8
.LBB83_142:
	global_load_b32 v0, v0, s[2:3] offset:56
	s_wait_loadcnt 0x0
	v_cmp_eq_u32_e32 vcc_lo, 15, v0
	s_cbranch_vccnz .LBB83_144
; %bb.143:
	v_lshlrev_b32_e32 v0, 3, v0
	scratch_load_b64 v[41:42], v0, off offset:-8
	scratch_load_b64 v[43:44], off, off offset:112
	s_wait_loadcnt 0x1
	scratch_store_b64 off, v[41:42], off offset:112
	s_wait_loadcnt 0x0
	scratch_store_b64 v0, v[43:44], off offset:-8
.LBB83_144:
	;; [unrolled: 29-line block ×8, first 2 shown]
	v_mov_b32_e32 v0, 0
	global_load_b32 v41, v0, s[2:3] offset:4
	s_wait_loadcnt 0x0
	v_cmp_eq_u32_e32 vcc_lo, 2, v41
	s_cbranch_vccnz .LBB83_170
; %bb.169:
	v_lshlrev_b32_e32 v41, 3, v41
	s_delay_alu instid0(VALU_DEP_1)
	v_mov_b32_e32 v45, v41
	scratch_load_b64 v[41:42], v45, off offset:-8
	scratch_load_b64 v[43:44], off, off offset:8
	s_wait_loadcnt 0x1
	scratch_store_b64 off, v[41:42], off offset:8
	s_wait_loadcnt 0x0
	scratch_store_b64 v45, v[43:44], off offset:-8
.LBB83_170:
	global_load_b32 v0, v0, s[2:3]
	s_wait_loadcnt 0x0
	v_cmp_eq_u32_e32 vcc_lo, 1, v0
	s_cbranch_vccnz .LBB83_172
; %bb.171:
	v_lshlrev_b32_e32 v0, 3, v0
	scratch_load_b64 v[41:42], v0, off offset:-8
	scratch_load_b64 v[43:44], off, off
	s_wait_loadcnt 0x1
	scratch_store_b64 off, v[41:42], off
	s_wait_loadcnt 0x0
	scratch_store_b64 v0, v[43:44], off offset:-8
.LBB83_172:
	scratch_load_b64 v[41:42], off, off
	s_wait_loadcnt 0x0
	flat_store_b64 v[1:2], v[41:42]
	scratch_load_b64 v[0:1], off, off offset:8
	s_wait_loadcnt 0x0
	flat_store_b64 v[3:4], v[0:1]
	scratch_load_b64 v[0:1], off, off offset:16
	;; [unrolled: 3-line block ×19, first 2 shown]
	s_wait_loadcnt 0x0
	flat_store_b64 v[39:40], v[0:1]
	s_nop 0
	s_sendmsg sendmsg(MSG_DEALLOC_VGPRS)
	s_endpgm
	.section	.rodata,"a",@progbits
	.p2align	6, 0x0
	.amdhsa_kernel _ZN9rocsolver6v33100L18getri_kernel_smallILi20E19rocblas_complex_numIfEPKPS3_EEvT1_iilPiilS8_bb
		.amdhsa_group_segment_fixed_size 324
		.amdhsa_private_segment_fixed_size 176
		.amdhsa_kernarg_size 60
		.amdhsa_user_sgpr_count 2
		.amdhsa_user_sgpr_dispatch_ptr 0
		.amdhsa_user_sgpr_queue_ptr 0
		.amdhsa_user_sgpr_kernarg_segment_ptr 1
		.amdhsa_user_sgpr_dispatch_id 0
		.amdhsa_user_sgpr_private_segment_size 0
		.amdhsa_wavefront_size32 1
		.amdhsa_uses_dynamic_stack 0
		.amdhsa_enable_private_segment 1
		.amdhsa_system_sgpr_workgroup_id_x 1
		.amdhsa_system_sgpr_workgroup_id_y 0
		.amdhsa_system_sgpr_workgroup_id_z 0
		.amdhsa_system_sgpr_workgroup_info 0
		.amdhsa_system_vgpr_workitem_id 0
		.amdhsa_next_free_vgpr 138
		.amdhsa_next_free_sgpr 19
		.amdhsa_reserve_vcc 1
		.amdhsa_float_round_mode_32 0
		.amdhsa_float_round_mode_16_64 0
		.amdhsa_float_denorm_mode_32 3
		.amdhsa_float_denorm_mode_16_64 3
		.amdhsa_fp16_overflow 0
		.amdhsa_workgroup_processor_mode 1
		.amdhsa_memory_ordered 1
		.amdhsa_forward_progress 1
		.amdhsa_inst_pref_size 164
		.amdhsa_round_robin_scheduling 0
		.amdhsa_exception_fp_ieee_invalid_op 0
		.amdhsa_exception_fp_denorm_src 0
		.amdhsa_exception_fp_ieee_div_zero 0
		.amdhsa_exception_fp_ieee_overflow 0
		.amdhsa_exception_fp_ieee_underflow 0
		.amdhsa_exception_fp_ieee_inexact 0
		.amdhsa_exception_int_div_zero 0
	.end_amdhsa_kernel
	.section	.text._ZN9rocsolver6v33100L18getri_kernel_smallILi20E19rocblas_complex_numIfEPKPS3_EEvT1_iilPiilS8_bb,"axG",@progbits,_ZN9rocsolver6v33100L18getri_kernel_smallILi20E19rocblas_complex_numIfEPKPS3_EEvT1_iilPiilS8_bb,comdat
.Lfunc_end83:
	.size	_ZN9rocsolver6v33100L18getri_kernel_smallILi20E19rocblas_complex_numIfEPKPS3_EEvT1_iilPiilS8_bb, .Lfunc_end83-_ZN9rocsolver6v33100L18getri_kernel_smallILi20E19rocblas_complex_numIfEPKPS3_EEvT1_iilPiilS8_bb
                                        ; -- End function
	.set _ZN9rocsolver6v33100L18getri_kernel_smallILi20E19rocblas_complex_numIfEPKPS3_EEvT1_iilPiilS8_bb.num_vgpr, 138
	.set _ZN9rocsolver6v33100L18getri_kernel_smallILi20E19rocblas_complex_numIfEPKPS3_EEvT1_iilPiilS8_bb.num_agpr, 0
	.set _ZN9rocsolver6v33100L18getri_kernel_smallILi20E19rocblas_complex_numIfEPKPS3_EEvT1_iilPiilS8_bb.numbered_sgpr, 19
	.set _ZN9rocsolver6v33100L18getri_kernel_smallILi20E19rocblas_complex_numIfEPKPS3_EEvT1_iilPiilS8_bb.num_named_barrier, 0
	.set _ZN9rocsolver6v33100L18getri_kernel_smallILi20E19rocblas_complex_numIfEPKPS3_EEvT1_iilPiilS8_bb.private_seg_size, 176
	.set _ZN9rocsolver6v33100L18getri_kernel_smallILi20E19rocblas_complex_numIfEPKPS3_EEvT1_iilPiilS8_bb.uses_vcc, 1
	.set _ZN9rocsolver6v33100L18getri_kernel_smallILi20E19rocblas_complex_numIfEPKPS3_EEvT1_iilPiilS8_bb.uses_flat_scratch, 1
	.set _ZN9rocsolver6v33100L18getri_kernel_smallILi20E19rocblas_complex_numIfEPKPS3_EEvT1_iilPiilS8_bb.has_dyn_sized_stack, 0
	.set _ZN9rocsolver6v33100L18getri_kernel_smallILi20E19rocblas_complex_numIfEPKPS3_EEvT1_iilPiilS8_bb.has_recursion, 0
	.set _ZN9rocsolver6v33100L18getri_kernel_smallILi20E19rocblas_complex_numIfEPKPS3_EEvT1_iilPiilS8_bb.has_indirect_call, 0
	.section	.AMDGPU.csdata,"",@progbits
; Kernel info:
; codeLenInByte = 20932
; TotalNumSgprs: 21
; NumVgprs: 138
; ScratchSize: 176
; MemoryBound: 0
; FloatMode: 240
; IeeeMode: 1
; LDSByteSize: 324 bytes/workgroup (compile time only)
; SGPRBlocks: 0
; VGPRBlocks: 17
; NumSGPRsForWavesPerEU: 21
; NumVGPRsForWavesPerEU: 138
; Occupancy: 10
; WaveLimiterHint : 1
; COMPUTE_PGM_RSRC2:SCRATCH_EN: 1
; COMPUTE_PGM_RSRC2:USER_SGPR: 2
; COMPUTE_PGM_RSRC2:TRAP_HANDLER: 0
; COMPUTE_PGM_RSRC2:TGID_X_EN: 1
; COMPUTE_PGM_RSRC2:TGID_Y_EN: 0
; COMPUTE_PGM_RSRC2:TGID_Z_EN: 0
; COMPUTE_PGM_RSRC2:TIDIG_COMP_CNT: 0
	.section	.text._ZN9rocsolver6v33100L18getri_kernel_smallILi21E19rocblas_complex_numIfEPKPS3_EEvT1_iilPiilS8_bb,"axG",@progbits,_ZN9rocsolver6v33100L18getri_kernel_smallILi21E19rocblas_complex_numIfEPKPS3_EEvT1_iilPiilS8_bb,comdat
	.globl	_ZN9rocsolver6v33100L18getri_kernel_smallILi21E19rocblas_complex_numIfEPKPS3_EEvT1_iilPiilS8_bb ; -- Begin function _ZN9rocsolver6v33100L18getri_kernel_smallILi21E19rocblas_complex_numIfEPKPS3_EEvT1_iilPiilS8_bb
	.p2align	8
	.type	_ZN9rocsolver6v33100L18getri_kernel_smallILi21E19rocblas_complex_numIfEPKPS3_EEvT1_iilPiilS8_bb,@function
_ZN9rocsolver6v33100L18getri_kernel_smallILi21E19rocblas_complex_numIfEPKPS3_EEvT1_iilPiilS8_bb: ; @_ZN9rocsolver6v33100L18getri_kernel_smallILi21E19rocblas_complex_numIfEPKPS3_EEvT1_iilPiilS8_bb
; %bb.0:
	s_mov_b32 s2, exec_lo
	v_cmpx_gt_u32_e32 21, v0
	s_cbranch_execz .LBB84_98
; %bb.1:
	s_clause 0x1
	s_load_b32 s13, s[0:1], 0x38
	s_load_b64 s[2:3], s[0:1], 0x0
	s_mov_b32 s8, ttmp9
	s_load_b128 s[4:7], s[0:1], 0x28
	s_wait_kmcnt 0x0
	s_bitcmp1_b32 s13, 8
	s_cselect_b32 s12, -1, 0
	s_ashr_i32 s9, ttmp9, 31
	s_delay_alu instid0(SALU_CYCLE_1) | instskip(NEXT) | instid1(SALU_CYCLE_1)
	s_lshl_b64 s[10:11], s[8:9], 3
	s_add_nc_u64 s[2:3], s[2:3], s[10:11]
	s_load_b64 s[10:11], s[2:3], 0x0
	s_bfe_u32 s2, s13, 0x10008
	s_delay_alu instid0(SALU_CYCLE_1)
	s_cmp_eq_u32 s2, 0
                                        ; implicit-def: $sgpr2_sgpr3
	s_cbranch_scc1 .LBB84_3
; %bb.2:
	s_load_b96 s[16:18], s[0:1], 0x18
	s_mul_u64 s[2:3], s[4:5], s[8:9]
	s_delay_alu instid0(SALU_CYCLE_1)
	s_lshl_b64 s[2:3], s[2:3], 2
	s_wait_kmcnt 0x0
	s_ashr_i32 s5, s18, 31
	s_mov_b32 s4, s18
	s_add_nc_u64 s[2:3], s[16:17], s[2:3]
	s_lshl_b64 s[4:5], s[4:5], 2
	s_delay_alu instid0(SALU_CYCLE_1)
	s_add_nc_u64 s[2:3], s[2:3], s[4:5]
.LBB84_3:
	s_clause 0x1
	s_load_b64 s[4:5], s[0:1], 0x8
	s_load_b32 s13, s[0:1], 0x38
	v_lshlrev_b32_e32 v49, 3, v0
	s_wait_kmcnt 0x0
	s_ashr_i32 s1, s4, 31
	s_mov_b32 s0, s4
	v_add3_u32 v9, s5, s5, v0
	s_lshl_b64 s[0:1], s[0:1], 3
	s_delay_alu instid0(SALU_CYCLE_1)
	s_add_nc_u64 s[0:1], s[10:11], s[0:1]
	s_ashr_i32 s11, s5, 31
	v_add_co_u32 v1, s4, s0, v49
	s_wait_alu 0xf1ff
	v_add_co_ci_u32_e64 v2, null, s1, 0, s4
	s_mov_b32 s10, s5
	v_ashrrev_i32_e32 v10, 31, v9
	s_lshl_b64 s[10:11], s[10:11], 3
	flat_load_b64 v[5:6], v[1:2]
	v_add_co_u32 v3, vcc_lo, v1, s10
	s_delay_alu instid0(VALU_DEP_1) | instskip(SKIP_2) | instid1(VALU_DEP_1)
	v_add_co_ci_u32_e64 v4, null, s11, v2, vcc_lo
	v_add_nc_u32_e32 v12, s5, v9
	s_bitcmp0_b32 s13, 0
	v_ashrrev_i32_e32 v13, 31, v12
	s_wait_loadcnt_dscnt 0x0
	scratch_store_b64 off, v[5:6], off
	flat_load_b64 v[7:8], v[3:4]
	v_lshlrev_b64_e32 v[5:6], 3, v[9:10]
	s_delay_alu instid0(VALU_DEP_1) | instskip(SKIP_1) | instid1(VALU_DEP_2)
	v_add_co_u32 v5, vcc_lo, s0, v5
	s_wait_alu 0xfffd
	v_add_co_ci_u32_e64 v6, null, s1, v6, vcc_lo
	s_wait_loadcnt_dscnt 0x0
	scratch_store_b64 off, v[7:8], off offset:8
	flat_load_b64 v[10:11], v[5:6]
	v_lshlrev_b64_e32 v[7:8], 3, v[12:13]
	s_delay_alu instid0(VALU_DEP_1) | instskip(SKIP_1) | instid1(VALU_DEP_2)
	v_add_co_u32 v7, vcc_lo, s0, v7
	s_wait_alu 0xfffd
	v_add_co_ci_u32_e64 v8, null, s1, v8, vcc_lo
	s_wait_loadcnt_dscnt 0x0
	scratch_store_b64 off, v[10:11], off offset:16
	flat_load_b64 v[13:14], v[7:8]
	v_add_nc_u32_e32 v11, s5, v12
	s_delay_alu instid0(VALU_DEP_1) | instskip(SKIP_1) | instid1(VALU_DEP_2)
	v_ashrrev_i32_e32 v12, 31, v11
	v_add_nc_u32_e32 v15, s5, v11
	v_lshlrev_b64_e32 v[9:10], 3, v[11:12]
	s_delay_alu instid0(VALU_DEP_2) | instskip(SKIP_1) | instid1(VALU_DEP_3)
	v_ashrrev_i32_e32 v16, 31, v15
	v_add_nc_u32_e32 v18, s5, v15
	v_add_co_u32 v9, vcc_lo, s0, v9
	s_wait_alu 0xfffd
	s_delay_alu instid0(VALU_DEP_4) | instskip(SKIP_2) | instid1(VALU_DEP_2)
	v_add_co_ci_u32_e64 v10, null, s1, v10, vcc_lo
	v_lshlrev_b64_e32 v[11:12], 3, v[15:16]
	v_ashrrev_i32_e32 v19, 31, v18
	v_add_co_u32 v11, vcc_lo, s0, v11
	s_wait_alu 0xfffd
	s_delay_alu instid0(VALU_DEP_3)
	v_add_co_ci_u32_e64 v12, null, s1, v12, vcc_lo
	s_wait_loadcnt_dscnt 0x0
	scratch_store_b64 off, v[13:14], off offset:24
	flat_load_b64 v[13:14], v[9:10]
	s_wait_loadcnt_dscnt 0x0
	scratch_store_b64 off, v[13:14], off offset:32
	flat_load_b64 v[16:17], v[11:12]
	v_lshlrev_b64_e32 v[13:14], 3, v[18:19]
	s_delay_alu instid0(VALU_DEP_1) | instskip(SKIP_1) | instid1(VALU_DEP_2)
	v_add_co_u32 v13, vcc_lo, s0, v13
	s_wait_alu 0xfffd
	v_add_co_ci_u32_e64 v14, null, s1, v14, vcc_lo
	s_wait_loadcnt_dscnt 0x0
	scratch_store_b64 off, v[16:17], off offset:40
	flat_load_b64 v[19:20], v[13:14]
	v_add_nc_u32_e32 v17, s5, v18
	s_delay_alu instid0(VALU_DEP_1) | instskip(SKIP_1) | instid1(VALU_DEP_2)
	v_ashrrev_i32_e32 v18, 31, v17
	v_add_nc_u32_e32 v21, s5, v17
	v_lshlrev_b64_e32 v[15:16], 3, v[17:18]
	s_delay_alu instid0(VALU_DEP_2) | instskip(SKIP_1) | instid1(VALU_DEP_3)
	v_ashrrev_i32_e32 v22, 31, v21
	v_add_nc_u32_e32 v24, s5, v21
	v_add_co_u32 v15, vcc_lo, s0, v15
	s_wait_alu 0xfffd
	s_delay_alu instid0(VALU_DEP_4) | instskip(SKIP_2) | instid1(VALU_DEP_2)
	v_add_co_ci_u32_e64 v16, null, s1, v16, vcc_lo
	v_lshlrev_b64_e32 v[17:18], 3, v[21:22]
	v_ashrrev_i32_e32 v25, 31, v24
	v_add_co_u32 v17, vcc_lo, s0, v17
	s_wait_alu 0xfffd
	s_delay_alu instid0(VALU_DEP_3)
	v_add_co_ci_u32_e64 v18, null, s1, v18, vcc_lo
	s_wait_loadcnt_dscnt 0x0
	scratch_store_b64 off, v[19:20], off offset:48
	flat_load_b64 v[19:20], v[15:16]
	;; [unrolled: 32-line block ×5, first 2 shown]
	s_wait_loadcnt_dscnt 0x0
	scratch_store_b64 off, v[37:38], off offset:128
	flat_load_b64 v[40:41], v[35:36]
	v_lshlrev_b64_e32 v[37:38], 3, v[42:43]
	s_delay_alu instid0(VALU_DEP_1) | instskip(SKIP_1) | instid1(VALU_DEP_2)
	v_add_co_u32 v37, vcc_lo, s0, v37
	s_wait_alu 0xfffd
	v_add_co_ci_u32_e64 v38, null, s1, v38, vcc_lo
	s_wait_loadcnt_dscnt 0x0
	scratch_store_b64 off, v[40:41], off offset:136
	flat_load_b64 v[43:44], v[37:38]
	v_add_nc_u32_e32 v41, s5, v42
	s_delay_alu instid0(VALU_DEP_1) | instskip(NEXT) | instid1(VALU_DEP_1)
	v_ashrrev_i32_e32 v42, 31, v41
	v_lshlrev_b64_e32 v[39:40], 3, v[41:42]
	v_add_nc_u32_e32 v41, s5, v41
	s_delay_alu instid0(VALU_DEP_1) | instskip(NEXT) | instid1(VALU_DEP_3)
	v_ashrrev_i32_e32 v42, 31, v41
	v_add_co_u32 v39, vcc_lo, s0, v39
	s_wait_alu 0xfffd
	s_delay_alu instid0(VALU_DEP_4) | instskip(NEXT) | instid1(VALU_DEP_3)
	v_add_co_ci_u32_e64 v40, null, s1, v40, vcc_lo
	v_lshlrev_b64_e32 v[41:42], 3, v[41:42]
	s_delay_alu instid0(VALU_DEP_1) | instskip(SKIP_1) | instid1(VALU_DEP_2)
	v_add_co_u32 v41, vcc_lo, s0, v41
	s_wait_alu 0xfffd
	v_add_co_ci_u32_e64 v42, null, s1, v42, vcc_lo
	s_mov_b32 s1, -1
	s_wait_loadcnt_dscnt 0x0
	scratch_store_b64 off, v[43:44], off offset:144
	flat_load_b64 v[43:44], v[39:40]
	s_wait_loadcnt_dscnt 0x0
	scratch_store_b64 off, v[43:44], off offset:152
	flat_load_b64 v[43:44], v[41:42]
	s_wait_loadcnt_dscnt 0x0
	scratch_store_b64 off, v[43:44], off offset:160
	s_cbranch_scc1 .LBB84_96
; %bb.4:
	v_cmp_eq_u32_e64 s0, 0, v0
	s_and_saveexec_b32 s1, s0
; %bb.5:
	v_mov_b32_e32 v43, 0
	ds_store_b32 v43, v43 offset:168
; %bb.6:
	s_wait_alu 0xfffe
	s_or_b32 exec_lo, exec_lo, s1
	s_wait_storecnt_dscnt 0x0
	s_barrier_signal -1
	s_barrier_wait -1
	global_inv scope:SCOPE_SE
	scratch_load_b64 v[43:44], v49, off
	s_wait_loadcnt 0x0
	v_cmp_eq_f32_e32 vcc_lo, 0, v43
	v_cmp_eq_f32_e64 s1, 0, v44
	s_and_b32 s1, vcc_lo, s1
	s_wait_alu 0xfffe
	s_and_saveexec_b32 s4, s1
	s_cbranch_execz .LBB84_10
; %bb.7:
	v_mov_b32_e32 v43, 0
	s_mov_b32 s5, 0
	ds_load_b32 v44, v43 offset:168
	s_wait_dscnt 0x0
	v_readfirstlane_b32 s1, v44
	v_add_nc_u32_e32 v44, 1, v0
	s_cmp_eq_u32 s1, 0
	s_delay_alu instid0(VALU_DEP_1)
	v_cmp_gt_i32_e32 vcc_lo, s1, v44
	s_cselect_b32 s10, -1, 0
	s_wait_alu 0xfffe
	s_or_b32 s10, s10, vcc_lo
	s_wait_alu 0xfffe
	s_and_b32 exec_lo, exec_lo, s10
	s_cbranch_execz .LBB84_10
; %bb.8:
	v_mov_b32_e32 v45, s1
.LBB84_9:                               ; =>This Inner Loop Header: Depth=1
	ds_cmpstore_rtn_b32 v45, v43, v44, v45 offset:168
	s_wait_dscnt 0x0
	v_cmp_ne_u32_e32 vcc_lo, 0, v45
	v_cmp_le_i32_e64 s1, v45, v44
	s_and_b32 s1, vcc_lo, s1
	s_wait_alu 0xfffe
	s_and_b32 s1, exec_lo, s1
	s_wait_alu 0xfffe
	s_or_b32 s5, s1, s5
	s_wait_alu 0xfffe
	s_and_not1_b32 exec_lo, exec_lo, s5
	s_cbranch_execnz .LBB84_9
.LBB84_10:
	s_wait_alu 0xfffe
	s_or_b32 exec_lo, exec_lo, s4
	v_mov_b32_e32 v43, 0
	s_barrier_signal -1
	s_barrier_wait -1
	global_inv scope:SCOPE_SE
	ds_load_b32 v44, v43 offset:168
	s_and_saveexec_b32 s1, s0
	s_cbranch_execz .LBB84_12
; %bb.11:
	s_lshl_b64 s[4:5], s[8:9], 2
	s_wait_alu 0xfffe
	s_add_nc_u64 s[4:5], s[6:7], s[4:5]
	s_wait_dscnt 0x0
	global_store_b32 v43, v44, s[4:5]
.LBB84_12:
	s_wait_alu 0xfffe
	s_or_b32 exec_lo, exec_lo, s1
	s_wait_dscnt 0x0
	v_cmp_ne_u32_e32 vcc_lo, 0, v44
	s_mov_b32 s1, 0
	s_cbranch_vccnz .LBB84_96
; %bb.13:
	v_mov_b32_e32 v50, v49
                                        ; implicit-def: $vgpr45
                                        ; implicit-def: $vgpr47
	scratch_load_b64 v[43:44], v50, off
	s_wait_loadcnt 0x0
	v_cmp_ngt_f32_e64 s1, |v43|, |v44|
	s_wait_alu 0xfffe
	s_and_saveexec_b32 s4, s1
	s_wait_alu 0xfffe
	s_xor_b32 s1, exec_lo, s4
	s_cbranch_execz .LBB84_15
; %bb.14:
	v_div_scale_f32 v45, null, v44, v44, v43
	v_div_scale_f32 v48, vcc_lo, v43, v44, v43
	s_delay_alu instid0(VALU_DEP_2) | instskip(NEXT) | instid1(TRANS32_DEP_1)
	v_rcp_f32_e32 v46, v45
	v_fma_f32 v47, -v45, v46, 1.0
	s_delay_alu instid0(VALU_DEP_1) | instskip(NEXT) | instid1(VALU_DEP_1)
	v_fmac_f32_e32 v46, v47, v46
	v_mul_f32_e32 v47, v48, v46
	s_delay_alu instid0(VALU_DEP_1) | instskip(NEXT) | instid1(VALU_DEP_1)
	v_fma_f32 v51, -v45, v47, v48
	v_fmac_f32_e32 v47, v51, v46
	s_delay_alu instid0(VALU_DEP_1) | instskip(SKIP_1) | instid1(VALU_DEP_1)
	v_fma_f32 v45, -v45, v47, v48
	s_wait_alu 0xfffd
	v_div_fmas_f32 v45, v45, v46, v47
	s_delay_alu instid0(VALU_DEP_1) | instskip(NEXT) | instid1(VALU_DEP_1)
	v_div_fixup_f32 v45, v45, v44, v43
	v_fmac_f32_e32 v44, v43, v45
	s_delay_alu instid0(VALU_DEP_1) | instskip(NEXT) | instid1(VALU_DEP_1)
	v_div_scale_f32 v43, null, v44, v44, 1.0
	v_rcp_f32_e32 v46, v43
	s_delay_alu instid0(TRANS32_DEP_1) | instskip(NEXT) | instid1(VALU_DEP_1)
	v_fma_f32 v47, -v43, v46, 1.0
	v_fmac_f32_e32 v46, v47, v46
	v_div_scale_f32 v47, vcc_lo, 1.0, v44, 1.0
	s_delay_alu instid0(VALU_DEP_1) | instskip(NEXT) | instid1(VALU_DEP_1)
	v_mul_f32_e32 v48, v47, v46
	v_fma_f32 v51, -v43, v48, v47
	s_delay_alu instid0(VALU_DEP_1) | instskip(NEXT) | instid1(VALU_DEP_1)
	v_fmac_f32_e32 v48, v51, v46
	v_fma_f32 v43, -v43, v48, v47
	s_wait_alu 0xfffd
	s_delay_alu instid0(VALU_DEP_1) | instskip(NEXT) | instid1(VALU_DEP_1)
	v_div_fmas_f32 v43, v43, v46, v48
	v_div_fixup_f32 v43, v43, v44, 1.0
	s_delay_alu instid0(VALU_DEP_1) | instskip(SKIP_1) | instid1(VALU_DEP_2)
	v_mul_f32_e32 v45, v45, v43
	v_xor_b32_e32 v46, 0x80000000, v43
                                        ; implicit-def: $vgpr43_vgpr44
	v_xor_b32_e32 v47, 0x80000000, v45
.LBB84_15:
	s_wait_alu 0xfffe
	s_and_not1_saveexec_b32 s1, s1
	s_cbranch_execz .LBB84_17
; %bb.16:
	v_div_scale_f32 v45, null, v43, v43, v44
	v_div_scale_f32 v48, vcc_lo, v44, v43, v44
	s_delay_alu instid0(VALU_DEP_2) | instskip(NEXT) | instid1(TRANS32_DEP_1)
	v_rcp_f32_e32 v46, v45
	v_fma_f32 v47, -v45, v46, 1.0
	s_delay_alu instid0(VALU_DEP_1) | instskip(NEXT) | instid1(VALU_DEP_1)
	v_fmac_f32_e32 v46, v47, v46
	v_mul_f32_e32 v47, v48, v46
	s_delay_alu instid0(VALU_DEP_1) | instskip(NEXT) | instid1(VALU_DEP_1)
	v_fma_f32 v51, -v45, v47, v48
	v_fmac_f32_e32 v47, v51, v46
	s_delay_alu instid0(VALU_DEP_1) | instskip(SKIP_1) | instid1(VALU_DEP_1)
	v_fma_f32 v45, -v45, v47, v48
	s_wait_alu 0xfffd
	v_div_fmas_f32 v45, v45, v46, v47
	s_delay_alu instid0(VALU_DEP_1) | instskip(NEXT) | instid1(VALU_DEP_1)
	v_div_fixup_f32 v46, v45, v43, v44
	v_fmac_f32_e32 v43, v44, v46
	s_delay_alu instid0(VALU_DEP_1) | instskip(SKIP_1) | instid1(VALU_DEP_2)
	v_div_scale_f32 v44, null, v43, v43, 1.0
	v_div_scale_f32 v48, vcc_lo, 1.0, v43, 1.0
	v_rcp_f32_e32 v45, v44
	s_delay_alu instid0(TRANS32_DEP_1) | instskip(NEXT) | instid1(VALU_DEP_1)
	v_fma_f32 v47, -v44, v45, 1.0
	v_fmac_f32_e32 v45, v47, v45
	s_delay_alu instid0(VALU_DEP_1) | instskip(NEXT) | instid1(VALU_DEP_1)
	v_mul_f32_e32 v47, v48, v45
	v_fma_f32 v51, -v44, v47, v48
	s_delay_alu instid0(VALU_DEP_1) | instskip(NEXT) | instid1(VALU_DEP_1)
	v_fmac_f32_e32 v47, v51, v45
	v_fma_f32 v44, -v44, v47, v48
	s_wait_alu 0xfffd
	s_delay_alu instid0(VALU_DEP_1) | instskip(NEXT) | instid1(VALU_DEP_1)
	v_div_fmas_f32 v44, v44, v45, v47
	v_div_fixup_f32 v45, v44, v43, 1.0
	s_delay_alu instid0(VALU_DEP_1)
	v_xor_b32_e32 v47, 0x80000000, v45
	v_mul_f32_e64 v46, v46, -v45
.LBB84_17:
	s_wait_alu 0xfffe
	s_or_b32 exec_lo, exec_lo, s1
	scratch_store_b64 v50, v[45:46], off
	scratch_load_b64 v[44:45], off, off offset:8
	v_xor_b32_e32 v48, 0x80000000, v46
	v_add_nc_u32_e32 v43, 0xb0, v49
	s_wait_loadcnt 0x0
	ds_store_2addr_b64 v49, v[47:48], v[44:45] offset1:22
	s_wait_storecnt_dscnt 0x0
	s_barrier_signal -1
	s_barrier_wait -1
	global_inv scope:SCOPE_SE
	s_and_saveexec_b32 s1, s0
	s_cbranch_execz .LBB84_19
; %bb.18:
	scratch_load_b64 v[44:45], v50, off
	ds_load_b64 v[46:47], v43
	v_mov_b32_e32 v48, 0
	ds_load_b64 v[51:52], v48 offset:8
	s_wait_loadcnt_dscnt 0x1
	v_mul_f32_e32 v48, v46, v45
	v_mul_f32_e32 v45, v47, v45
	s_delay_alu instid0(VALU_DEP_2) | instskip(NEXT) | instid1(VALU_DEP_2)
	v_fmac_f32_e32 v48, v47, v44
	v_fma_f32 v44, v46, v44, -v45
	s_delay_alu instid0(VALU_DEP_2) | instskip(NEXT) | instid1(VALU_DEP_2)
	v_add_f32_e32 v46, 0, v48
	v_add_f32_e32 v44, 0, v44
	s_wait_dscnt 0x0
	s_delay_alu instid0(VALU_DEP_2) | instskip(NEXT) | instid1(VALU_DEP_2)
	v_mul_f32_e32 v47, v46, v52
	v_mul_f32_e32 v45, v44, v52
	s_delay_alu instid0(VALU_DEP_2) | instskip(NEXT) | instid1(VALU_DEP_2)
	v_fma_f32 v44, v44, v51, -v47
	v_fmac_f32_e32 v45, v46, v51
	scratch_store_b64 off, v[44:45], off offset:8
.LBB84_19:
	s_wait_alu 0xfffe
	s_or_b32 exec_lo, exec_lo, s1
	s_wait_loadcnt 0x0
	s_wait_storecnt 0x0
	s_barrier_signal -1
	s_barrier_wait -1
	global_inv scope:SCOPE_SE
	scratch_load_b64 v[44:45], off, off offset:16
	s_mov_b32 s1, exec_lo
	s_wait_loadcnt 0x0
	ds_store_b64 v43, v[44:45]
	s_wait_dscnt 0x0
	s_barrier_signal -1
	s_barrier_wait -1
	global_inv scope:SCOPE_SE
	v_cmpx_gt_u32_e32 2, v0
	s_cbranch_execz .LBB84_23
; %bb.20:
	scratch_load_b64 v[44:45], v50, off
	ds_load_b64 v[46:47], v43
	s_wait_loadcnt_dscnt 0x0
	v_mul_f32_e32 v48, v47, v45
	v_mul_f32_e32 v51, v46, v45
	s_delay_alu instid0(VALU_DEP_2) | instskip(NEXT) | instid1(VALU_DEP_2)
	v_fma_f32 v45, v46, v44, -v48
	v_fmac_f32_e32 v51, v47, v44
	s_delay_alu instid0(VALU_DEP_1)
	v_dual_add_f32 v45, 0, v45 :: v_dual_add_f32 v44, 0, v51
	s_and_saveexec_b32 s4, s0
	s_cbranch_execz .LBB84_22
; %bb.21:
	scratch_load_b64 v[46:47], off, off offset:8
	v_mov_b32_e32 v48, 0
	ds_load_b64 v[51:52], v48 offset:184
	s_wait_loadcnt_dscnt 0x0
	v_mul_f32_e32 v48, v51, v47
	v_mul_f32_e32 v47, v52, v47
	s_delay_alu instid0(VALU_DEP_2) | instskip(NEXT) | instid1(VALU_DEP_2)
	v_fmac_f32_e32 v48, v52, v46
	v_fma_f32 v46, v51, v46, -v47
	s_delay_alu instid0(VALU_DEP_1)
	v_dual_add_f32 v44, v44, v48 :: v_dual_add_f32 v45, v45, v46
.LBB84_22:
	s_wait_alu 0xfffe
	s_or_b32 exec_lo, exec_lo, s4
	v_mov_b32_e32 v46, 0
	ds_load_b64 v[46:47], v46 offset:16
	s_wait_dscnt 0x0
	v_mul_f32_e32 v51, v44, v47
	v_mul_f32_e32 v48, v45, v47
	s_delay_alu instid0(VALU_DEP_2) | instskip(NEXT) | instid1(VALU_DEP_2)
	v_fma_f32 v47, v45, v46, -v51
	v_fmac_f32_e32 v48, v44, v46
	scratch_store_b64 off, v[47:48], off offset:16
.LBB84_23:
	s_wait_alu 0xfffe
	s_or_b32 exec_lo, exec_lo, s1
	s_wait_loadcnt 0x0
	s_wait_storecnt 0x0
	s_barrier_signal -1
	s_barrier_wait -1
	global_inv scope:SCOPE_SE
	scratch_load_b64 v[45:46], off, off offset:24
	v_add_nc_u32_e32 v44, -1, v0
	s_mov_b32 s0, exec_lo
	s_wait_loadcnt 0x0
	ds_store_b64 v43, v[45:46]
	s_wait_dscnt 0x0
	s_barrier_signal -1
	s_barrier_wait -1
	global_inv scope:SCOPE_SE
	v_cmpx_gt_u32_e32 3, v0
	s_cbranch_execz .LBB84_27
; %bb.24:
	v_dual_mov_b32 v45, 0 :: v_dual_add_nc_u32 v46, -1, v0
	v_dual_mov_b32 v48, v49 :: v_dual_add_nc_u32 v47, 0xb0, v49
	v_mov_b32_e32 v51, 0
	s_mov_b32 s1, 0
.LBB84_25:                              ; =>This Inner Loop Header: Depth=1
	scratch_load_b64 v[52:53], v48, off
	ds_load_b64 v[54:55], v47
	v_add_nc_u32_e32 v46, 1, v46
	v_add_nc_u32_e32 v47, 8, v47
	s_delay_alu instid0(VALU_DEP_2)
	v_cmp_lt_u32_e32 vcc_lo, 1, v46
	s_wait_alu 0xfffe
	s_or_b32 s1, vcc_lo, s1
	s_wait_loadcnt_dscnt 0x0
	v_mul_f32_e32 v56, v55, v53
	v_mul_f32_e32 v53, v54, v53
	s_delay_alu instid0(VALU_DEP_2) | instskip(NEXT) | instid1(VALU_DEP_2)
	v_fma_f32 v54, v54, v52, -v56
	v_fmac_f32_e32 v53, v55, v52
	s_delay_alu instid0(VALU_DEP_2) | instskip(NEXT) | instid1(VALU_DEP_2)
	v_dual_add_f32 v51, v51, v54 :: v_dual_add_nc_u32 v48, 8, v48
	v_add_f32_e32 v45, v45, v53
	s_wait_alu 0xfffe
	s_and_not1_b32 exec_lo, exec_lo, s1
	s_cbranch_execnz .LBB84_25
; %bb.26:
	s_or_b32 exec_lo, exec_lo, s1
	v_mov_b32_e32 v46, 0
	ds_load_b64 v[46:47], v46 offset:24
	s_wait_dscnt 0x0
	v_mul_f32_e32 v52, v45, v47
	v_mul_f32_e32 v48, v51, v47
	s_delay_alu instid0(VALU_DEP_2) | instskip(NEXT) | instid1(VALU_DEP_2)
	v_fma_f32 v47, v51, v46, -v52
	v_fmac_f32_e32 v48, v45, v46
	scratch_store_b64 off, v[47:48], off offset:24
.LBB84_27:
	s_wait_alu 0xfffe
	s_or_b32 exec_lo, exec_lo, s0
	s_wait_loadcnt 0x0
	s_wait_storecnt 0x0
	s_barrier_signal -1
	s_barrier_wait -1
	global_inv scope:SCOPE_SE
	scratch_load_b64 v[45:46], off, off offset:32
	s_mov_b32 s0, exec_lo
	s_wait_loadcnt 0x0
	ds_store_b64 v43, v[45:46]
	s_wait_dscnt 0x0
	s_barrier_signal -1
	s_barrier_wait -1
	global_inv scope:SCOPE_SE
	v_cmpx_gt_u32_e32 4, v0
	s_cbranch_execz .LBB84_31
; %bb.28:
	v_dual_mov_b32 v45, 0 :: v_dual_add_nc_u32 v46, -1, v0
	v_dual_mov_b32 v48, v49 :: v_dual_add_nc_u32 v47, 0xb0, v49
	v_mov_b32_e32 v51, 0
	s_mov_b32 s1, 0
.LBB84_29:                              ; =>This Inner Loop Header: Depth=1
	scratch_load_b64 v[52:53], v48, off
	ds_load_b64 v[54:55], v47
	v_add_nc_u32_e32 v46, 1, v46
	v_add_nc_u32_e32 v47, 8, v47
	s_delay_alu instid0(VALU_DEP_2)
	v_cmp_lt_u32_e32 vcc_lo, 2, v46
	s_wait_alu 0xfffe
	s_or_b32 s1, vcc_lo, s1
	s_wait_loadcnt_dscnt 0x0
	v_mul_f32_e32 v56, v55, v53
	v_mul_f32_e32 v53, v54, v53
	s_delay_alu instid0(VALU_DEP_2) | instskip(NEXT) | instid1(VALU_DEP_2)
	v_fma_f32 v54, v54, v52, -v56
	v_fmac_f32_e32 v53, v55, v52
	s_delay_alu instid0(VALU_DEP_2) | instskip(NEXT) | instid1(VALU_DEP_2)
	v_dual_add_f32 v51, v51, v54 :: v_dual_add_nc_u32 v48, 8, v48
	v_add_f32_e32 v45, v45, v53
	s_wait_alu 0xfffe
	s_and_not1_b32 exec_lo, exec_lo, s1
	s_cbranch_execnz .LBB84_29
; %bb.30:
	s_or_b32 exec_lo, exec_lo, s1
	v_mov_b32_e32 v46, 0
	ds_load_b64 v[46:47], v46 offset:32
	s_wait_dscnt 0x0
	v_mul_f32_e32 v52, v45, v47
	v_mul_f32_e32 v48, v51, v47
	s_delay_alu instid0(VALU_DEP_2) | instskip(NEXT) | instid1(VALU_DEP_2)
	v_fma_f32 v47, v51, v46, -v52
	v_fmac_f32_e32 v48, v45, v46
	scratch_store_b64 off, v[47:48], off offset:32
.LBB84_31:
	s_wait_alu 0xfffe
	s_or_b32 exec_lo, exec_lo, s0
	s_wait_loadcnt 0x0
	s_wait_storecnt 0x0
	s_barrier_signal -1
	s_barrier_wait -1
	global_inv scope:SCOPE_SE
	scratch_load_b64 v[45:46], off, off offset:40
	;; [unrolled: 55-line block ×16, first 2 shown]
	s_mov_b32 s0, exec_lo
	s_wait_loadcnt 0x0
	ds_store_b64 v43, v[45:46]
	s_wait_dscnt 0x0
	s_barrier_signal -1
	s_barrier_wait -1
	global_inv scope:SCOPE_SE
	v_cmpx_gt_u32_e32 19, v0
	s_cbranch_execz .LBB84_91
; %bb.88:
	v_dual_mov_b32 v45, 0 :: v_dual_add_nc_u32 v46, -1, v0
	v_dual_mov_b32 v48, v49 :: v_dual_add_nc_u32 v47, 0xb0, v49
	v_mov_b32_e32 v49, 0
	s_mov_b32 s1, 0
.LBB84_89:                              ; =>This Inner Loop Header: Depth=1
	scratch_load_b64 v[51:52], v48, off
	ds_load_b64 v[53:54], v47
	v_add_nc_u32_e32 v48, 8, v48
	v_add_nc_u32_e32 v46, 1, v46
	;; [unrolled: 1-line block ×3, first 2 shown]
	s_delay_alu instid0(VALU_DEP_2)
	v_cmp_lt_u32_e32 vcc_lo, 17, v46
	s_wait_alu 0xfffe
	s_or_b32 s1, vcc_lo, s1
	s_wait_loadcnt_dscnt 0x0
	v_mul_f32_e32 v55, v54, v52
	v_mul_f32_e32 v52, v53, v52
	s_delay_alu instid0(VALU_DEP_2) | instskip(NEXT) | instid1(VALU_DEP_1)
	v_fma_f32 v53, v53, v51, -v55
	v_dual_fmac_f32 v52, v54, v51 :: v_dual_add_f32 v49, v49, v53
	s_delay_alu instid0(VALU_DEP_1)
	v_add_f32_e32 v45, v45, v52
	s_wait_alu 0xfffe
	s_and_not1_b32 exec_lo, exec_lo, s1
	s_cbranch_execnz .LBB84_89
; %bb.90:
	s_or_b32 exec_lo, exec_lo, s1
	v_mov_b32_e32 v46, 0
	ds_load_b64 v[46:47], v46 offset:152
	s_wait_dscnt 0x0
	v_mul_f32_e32 v51, v45, v47
	v_mul_f32_e32 v48, v49, v47
	s_delay_alu instid0(VALU_DEP_2) | instskip(NEXT) | instid1(VALU_DEP_2)
	v_fma_f32 v47, v49, v46, -v51
	v_fmac_f32_e32 v48, v45, v46
	scratch_store_b64 off, v[47:48], off offset:152
.LBB84_91:
	s_wait_alu 0xfffe
	s_or_b32 exec_lo, exec_lo, s0
	s_wait_loadcnt 0x0
	s_wait_storecnt 0x0
	s_barrier_signal -1
	s_barrier_wait -1
	global_inv scope:SCOPE_SE
	scratch_load_b64 v[45:46], off, off offset:160
	s_mov_b32 s0, exec_lo
	s_wait_loadcnt 0x0
	ds_store_b64 v43, v[45:46]
	s_wait_dscnt 0x0
	s_barrier_signal -1
	s_barrier_wait -1
	global_inv scope:SCOPE_SE
	v_cmpx_ne_u32_e32 20, v0
	s_cbranch_execz .LBB84_95
; %bb.92:
	v_dual_mov_b32 v45, 0 :: v_dual_mov_b32 v46, 0
	s_mov_b32 s1, 0
.LBB84_93:                              ; =>This Inner Loop Header: Depth=1
	scratch_load_b64 v[47:48], v50, off
	ds_load_b64 v[51:52], v43
	v_add_nc_u32_e32 v44, 1, v44
	v_add_nc_u32_e32 v43, 8, v43
	;; [unrolled: 1-line block ×3, first 2 shown]
	s_delay_alu instid0(VALU_DEP_3)
	v_cmp_lt_u32_e32 vcc_lo, 18, v44
	s_wait_alu 0xfffe
	s_or_b32 s1, vcc_lo, s1
	s_wait_loadcnt_dscnt 0x0
	v_mul_f32_e32 v49, v52, v48
	v_mul_f32_e32 v48, v51, v48
	s_delay_alu instid0(VALU_DEP_2) | instskip(NEXT) | instid1(VALU_DEP_2)
	v_fma_f32 v49, v51, v47, -v49
	v_fmac_f32_e32 v48, v52, v47
	s_delay_alu instid0(VALU_DEP_1)
	v_dual_add_f32 v46, v46, v49 :: v_dual_add_f32 v45, v45, v48
	s_wait_alu 0xfffe
	s_and_not1_b32 exec_lo, exec_lo, s1
	s_cbranch_execnz .LBB84_93
; %bb.94:
	s_or_b32 exec_lo, exec_lo, s1
	v_mov_b32_e32 v43, 0
	ds_load_b64 v[43:44], v43 offset:160
	s_wait_dscnt 0x0
	v_mul_f32_e32 v48, v45, v44
	v_mul_f32_e32 v47, v46, v44
	s_delay_alu instid0(VALU_DEP_2) | instskip(NEXT) | instid1(VALU_DEP_2)
	v_fma_f32 v46, v46, v43, -v48
	v_fmac_f32_e32 v47, v45, v43
	scratch_store_b64 off, v[46:47], off offset:160
.LBB84_95:
	s_wait_alu 0xfffe
	s_or_b32 exec_lo, exec_lo, s0
	s_mov_b32 s1, -1
	s_wait_loadcnt 0x0
	s_wait_storecnt 0x0
	s_barrier_signal -1
	s_barrier_wait -1
	global_inv scope:SCOPE_SE
.LBB84_96:
	s_wait_alu 0xfffe
	s_and_b32 vcc_lo, exec_lo, s1
	s_wait_alu 0xfffe
	s_cbranch_vccz .LBB84_98
; %bb.97:
	v_mov_b32_e32 v43, 0
	s_lshl_b64 s[0:1], s[8:9], 2
	s_wait_alu 0xfffe
	s_add_nc_u64 s[0:1], s[6:7], s[0:1]
	global_load_b32 v43, v43, s[0:1]
	s_wait_loadcnt 0x0
	v_cmp_ne_u32_e32 vcc_lo, 0, v43
	s_cbranch_vccz .LBB84_99
.LBB84_98:
	s_nop 0
	s_sendmsg sendmsg(MSG_DEALLOC_VGPRS)
	s_endpgm
.LBB84_99:
	v_lshl_add_u32 v45, v0, 3, 0xb0
	s_mov_b32 s0, exec_lo
	v_cmpx_eq_u32_e32 20, v0
	s_cbranch_execz .LBB84_101
; %bb.100:
	scratch_load_b64 v[43:44], off, off offset:152
	v_mov_b32_e32 v46, 0
	s_delay_alu instid0(VALU_DEP_1)
	v_mov_b32_e32 v47, v46
	scratch_store_b64 off, v[46:47], off offset:152
	s_wait_loadcnt 0x0
	ds_store_b64 v45, v[43:44]
.LBB84_101:
	s_wait_alu 0xfffe
	s_or_b32 exec_lo, exec_lo, s0
	s_wait_storecnt_dscnt 0x0
	s_barrier_signal -1
	s_barrier_wait -1
	global_inv scope:SCOPE_SE
	s_clause 0x1
	scratch_load_b64 v[46:47], off, off offset:160
	scratch_load_b64 v[48:49], off, off offset:152
	v_mov_b32_e32 v43, 0
	s_mov_b32 s0, exec_lo
	ds_load_b64 v[50:51], v43 offset:336
	s_wait_loadcnt_dscnt 0x100
	v_mul_f32_e32 v44, v51, v47
	s_delay_alu instid0(VALU_DEP_1) | instskip(NEXT) | instid1(VALU_DEP_1)
	v_fma_f32 v44, v50, v46, -v44
	v_dual_mul_f32 v47, v50, v47 :: v_dual_add_f32 v44, 0, v44
	s_wait_loadcnt 0x0
	s_delay_alu instid0(VALU_DEP_1) | instskip(NEXT) | instid1(VALU_DEP_1)
	v_dual_fmac_f32 v47, v51, v46 :: v_dual_sub_f32 v46, v48, v44
	v_add_f32_e32 v47, 0, v47
	s_delay_alu instid0(VALU_DEP_1)
	v_sub_f32_e32 v47, v49, v47
	scratch_store_b64 off, v[46:47], off offset:152
	v_cmpx_lt_u32_e32 18, v0
	s_cbranch_execz .LBB84_103
; %bb.102:
	scratch_load_b64 v[46:47], off, off offset:144
	v_mov_b32_e32 v44, v43
	scratch_store_b64 off, v[43:44], off offset:144
	s_wait_loadcnt 0x0
	ds_store_b64 v45, v[46:47]
.LBB84_103:
	s_wait_alu 0xfffe
	s_or_b32 exec_lo, exec_lo, s0
	s_wait_storecnt_dscnt 0x0
	s_barrier_signal -1
	s_barrier_wait -1
	global_inv scope:SCOPE_SE
	s_clause 0x1
	scratch_load_b128 v[46:49], off, off offset:152
	scratch_load_b64 v[54:55], off, off offset:144
	ds_load_2addr_b64 v[50:53], v43 offset0:41 offset1:42
	s_mov_b32 s0, exec_lo
	s_wait_loadcnt_dscnt 0x100
	v_mul_f32_e32 v44, v50, v47
	s_delay_alu instid0(VALU_DEP_1) | instskip(SKIP_2) | instid1(VALU_DEP_1)
	v_fmac_f32_e32 v44, v51, v46
	v_mul_f32_e32 v43, v51, v47
	v_mul_f32_e32 v47, v52, v49
	v_fmac_f32_e32 v47, v53, v48
	s_delay_alu instid0(VALU_DEP_4) | instskip(NEXT) | instid1(VALU_DEP_4)
	v_dual_add_f32 v44, 0, v44 :: v_dual_mul_f32 v49, v53, v49
	v_fma_f32 v43, v50, v46, -v43
	s_delay_alu instid0(VALU_DEP_2) | instskip(NEXT) | instid1(VALU_DEP_3)
	v_add_f32_e32 v44, v44, v47
	v_fma_f32 v46, v52, v48, -v49
	s_wait_loadcnt 0x0
	s_delay_alu instid0(VALU_DEP_2) | instskip(NEXT) | instid1(VALU_DEP_1)
	v_dual_add_f32 v43, 0, v43 :: v_dual_sub_f32 v44, v55, v44
	v_add_f32_e32 v43, v43, v46
	s_delay_alu instid0(VALU_DEP_1)
	v_sub_f32_e32 v43, v54, v43
	scratch_store_b64 off, v[43:44], off offset:144
	v_cmpx_lt_u32_e32 17, v0
	s_cbranch_execz .LBB84_105
; %bb.104:
	scratch_load_b64 v[43:44], off, off offset:136
	v_mov_b32_e32 v46, 0
	s_delay_alu instid0(VALU_DEP_1)
	v_mov_b32_e32 v47, v46
	scratch_store_b64 off, v[46:47], off offset:136
	s_wait_loadcnt 0x0
	ds_store_b64 v45, v[43:44]
.LBB84_105:
	s_wait_alu 0xfffe
	s_or_b32 exec_lo, exec_lo, s0
	s_wait_storecnt_dscnt 0x0
	s_barrier_signal -1
	s_barrier_wait -1
	global_inv scope:SCOPE_SE
	s_clause 0x2
	scratch_load_b128 v[46:49], off, off offset:144
	scratch_load_b64 v[54:55], off, off offset:160
	scratch_load_b64 v[56:57], off, off offset:136
	v_mov_b32_e32 v43, 0
	ds_load_b128 v[50:53], v43 offset:320
	ds_load_b64 v[58:59], v43 offset:336
	s_mov_b32 s0, exec_lo
	s_wait_loadcnt_dscnt 0x201
	v_mul_f32_e32 v44, v51, v47
	v_dual_mul_f32 v47, v50, v47 :: v_dual_mul_f32 v60, v52, v49
	v_mul_f32_e32 v49, v53, v49
	s_wait_loadcnt_dscnt 0x100
	v_mul_f32_e32 v61, v58, v55
	v_fma_f32 v44, v50, v46, -v44
	v_fmac_f32_e32 v47, v51, v46
	v_mul_f32_e32 v46, v59, v55
	v_fmac_f32_e32 v60, v53, v48
	v_fma_f32 v48, v52, v48, -v49
	s_delay_alu instid0(VALU_DEP_4) | instskip(NEXT) | instid1(VALU_DEP_4)
	v_dual_add_f32 v44, 0, v44 :: v_dual_add_f32 v47, 0, v47
	v_fma_f32 v46, v58, v54, -v46
	s_delay_alu instid0(VALU_DEP_2) | instskip(NEXT) | instid1(VALU_DEP_1)
	v_add_f32_e32 v44, v44, v48
	v_dual_add_f32 v47, v47, v60 :: v_dual_add_f32 v44, v44, v46
	s_wait_loadcnt 0x0
	s_delay_alu instid0(VALU_DEP_1) | instskip(NEXT) | instid1(VALU_DEP_1)
	v_dual_fmac_f32 v61, v59, v54 :: v_dual_sub_f32 v46, v56, v44
	v_add_f32_e32 v47, v47, v61
	s_delay_alu instid0(VALU_DEP_1)
	v_sub_f32_e32 v47, v57, v47
	scratch_store_b64 off, v[46:47], off offset:136
	v_cmpx_lt_u32_e32 16, v0
	s_cbranch_execz .LBB84_107
; %bb.106:
	scratch_load_b64 v[46:47], off, off offset:128
	v_mov_b32_e32 v44, v43
	scratch_store_b64 off, v[43:44], off offset:128
	s_wait_loadcnt 0x0
	ds_store_b64 v45, v[46:47]
.LBB84_107:
	s_wait_alu 0xfffe
	s_or_b32 exec_lo, exec_lo, s0
	s_wait_storecnt_dscnt 0x0
	s_barrier_signal -1
	s_barrier_wait -1
	global_inv scope:SCOPE_SE
	s_clause 0x2
	scratch_load_b128 v[46:49], off, off offset:136
	scratch_load_b128 v[50:53], off, off offset:152
	scratch_load_b64 v[62:63], off, off offset:128
	ds_load_2addr_b64 v[54:57], v43 offset0:39 offset1:40
	ds_load_2addr_b64 v[58:61], v43 offset0:41 offset1:42
	s_mov_b32 s0, exec_lo
	s_wait_loadcnt_dscnt 0x201
	v_mul_f32_e32 v44, v55, v47
	s_wait_loadcnt_dscnt 0x100
	v_dual_mul_f32 v64, v58, v51 :: v_dual_mul_f32 v65, v60, v53
	s_delay_alu instid0(VALU_DEP_2) | instskip(SKIP_2) | instid1(VALU_DEP_4)
	v_fma_f32 v44, v54, v46, -v44
	v_mul_f32_e32 v43, v54, v47
	v_mul_f32_e32 v47, v56, v49
	v_dual_mul_f32 v49, v57, v49 :: v_dual_fmac_f32 v64, v59, v50
	s_delay_alu instid0(VALU_DEP_3) | instskip(NEXT) | instid1(VALU_DEP_3)
	v_dual_add_f32 v44, 0, v44 :: v_dual_fmac_f32 v43, v55, v46
	v_dual_mul_f32 v46, v59, v51 :: v_dual_fmac_f32 v47, v57, v48
	s_delay_alu instid0(VALU_DEP_3) | instskip(SKIP_1) | instid1(VALU_DEP_3)
	v_fma_f32 v48, v56, v48, -v49
	v_fmac_f32_e32 v65, v61, v52
	v_fma_f32 v46, v58, v50, -v46
	s_delay_alu instid0(VALU_DEP_3) | instskip(NEXT) | instid1(VALU_DEP_1)
	v_dual_add_f32 v44, v44, v48 :: v_dual_add_f32 v43, 0, v43
	v_dual_add_f32 v44, v44, v46 :: v_dual_mul_f32 v49, v61, v53
	s_delay_alu instid0(VALU_DEP_2) | instskip(NEXT) | instid1(VALU_DEP_2)
	v_add_f32_e32 v43, v43, v47
	v_fma_f32 v47, v60, v52, -v49
	s_delay_alu instid0(VALU_DEP_1) | instskip(SKIP_1) | instid1(VALU_DEP_1)
	v_dual_add_f32 v43, v43, v64 :: v_dual_add_f32 v44, v44, v47
	s_wait_loadcnt 0x0
	v_dual_add_f32 v46, v43, v65 :: v_dual_sub_f32 v43, v62, v44
	s_delay_alu instid0(VALU_DEP_1)
	v_sub_f32_e32 v44, v63, v46
	scratch_store_b64 off, v[43:44], off offset:128
	v_cmpx_lt_u32_e32 15, v0
	s_cbranch_execz .LBB84_109
; %bb.108:
	scratch_load_b64 v[43:44], off, off offset:120
	v_mov_b32_e32 v46, 0
	s_delay_alu instid0(VALU_DEP_1)
	v_mov_b32_e32 v47, v46
	scratch_store_b64 off, v[46:47], off offset:120
	s_wait_loadcnt 0x0
	ds_store_b64 v45, v[43:44]
.LBB84_109:
	s_wait_alu 0xfffe
	s_or_b32 exec_lo, exec_lo, s0
	s_wait_storecnt_dscnt 0x0
	s_barrier_signal -1
	s_barrier_wait -1
	global_inv scope:SCOPE_SE
	s_clause 0x3
	scratch_load_b128 v[46:49], off, off offset:128
	scratch_load_b128 v[50:53], off, off offset:144
	scratch_load_b64 v[62:63], off, off offset:160
	scratch_load_b64 v[64:65], off, off offset:120
	v_mov_b32_e32 v43, 0
	ds_load_b128 v[54:57], v43 offset:304
	ds_load_b128 v[58:61], v43 offset:320
	ds_load_b64 v[66:67], v43 offset:336
	s_mov_b32 s0, exec_lo
	s_wait_loadcnt_dscnt 0x302
	v_mul_f32_e32 v44, v54, v47
	v_dual_mul_f32 v68, v56, v49 :: v_dual_mul_f32 v47, v55, v47
	s_wait_loadcnt_dscnt 0x100
	v_mul_f32_e32 v71, v66, v63
	v_dual_mul_f32 v69, v58, v51 :: v_dual_mul_f32 v70, v60, v53
	v_dual_fmac_f32 v44, v55, v46 :: v_dual_mul_f32 v49, v57, v49
	v_fma_f32 v47, v54, v46, -v47
	v_fmac_f32_e32 v68, v57, v48
	v_mul_f32_e32 v46, v59, v51
	s_delay_alu instid0(VALU_DEP_4) | instskip(SKIP_3) | instid1(VALU_DEP_4)
	v_add_f32_e32 v44, 0, v44
	v_fma_f32 v48, v56, v48, -v49
	v_add_f32_e32 v47, 0, v47
	v_mul_f32_e32 v49, v61, v53
	v_dual_fmac_f32 v69, v59, v50 :: v_dual_add_f32 v44, v44, v68
	v_dual_fmac_f32 v70, v61, v52 :: v_dual_fmac_f32 v71, v67, v62
	s_delay_alu instid0(VALU_DEP_4) | instskip(SKIP_1) | instid1(VALU_DEP_4)
	v_add_f32_e32 v47, v47, v48
	v_fma_f32 v46, v58, v50, -v46
	v_add_f32_e32 v44, v44, v69
	v_fma_f32 v49, v60, v52, -v49
	s_delay_alu instid0(VALU_DEP_3) | instskip(NEXT) | instid1(VALU_DEP_3)
	v_add_f32_e32 v46, v47, v46
	v_add_f32_e32 v44, v44, v70
	s_delay_alu instid0(VALU_DEP_2) | instskip(NEXT) | instid1(VALU_DEP_2)
	v_add_f32_e32 v46, v46, v49
	v_add_f32_e32 v44, v44, v71
	v_mul_f32_e32 v48, v67, v63
	s_delay_alu instid0(VALU_DEP_1) | instskip(SKIP_1) | instid1(VALU_DEP_1)
	v_fma_f32 v47, v66, v62, -v48
	s_wait_loadcnt 0x0
	v_dual_add_f32 v46, v46, v47 :: v_dual_sub_f32 v47, v65, v44
	s_delay_alu instid0(VALU_DEP_1)
	v_sub_f32_e32 v46, v64, v46
	scratch_store_b64 off, v[46:47], off offset:120
	v_cmpx_lt_u32_e32 14, v0
	s_cbranch_execz .LBB84_111
; %bb.110:
	scratch_load_b64 v[46:47], off, off offset:112
	v_mov_b32_e32 v44, v43
	scratch_store_b64 off, v[43:44], off offset:112
	s_wait_loadcnt 0x0
	ds_store_b64 v45, v[46:47]
.LBB84_111:
	s_wait_alu 0xfffe
	s_or_b32 exec_lo, exec_lo, s0
	s_wait_storecnt_dscnt 0x0
	s_barrier_signal -1
	s_barrier_wait -1
	global_inv scope:SCOPE_SE
	s_clause 0x3
	scratch_load_b128 v[46:49], off, off offset:120
	scratch_load_b128 v[50:53], off, off offset:136
	;; [unrolled: 1-line block ×3, first 2 shown]
	scratch_load_b64 v[70:71], off, off offset:112
	ds_load_2addr_b64 v[58:61], v43 offset0:37 offset1:38
	ds_load_2addr_b64 v[62:65], v43 offset0:39 offset1:40
	;; [unrolled: 1-line block ×3, first 2 shown]
	s_mov_b32 s0, exec_lo
	s_wait_loadcnt_dscnt 0x302
	v_dual_mul_f32 v43, v58, v47 :: v_dual_mul_f32 v44, v60, v49
	v_mul_f32_e32 v47, v59, v47
	s_wait_loadcnt_dscnt 0x201
	v_dual_mul_f32 v49, v61, v49 :: v_dual_mul_f32 v72, v62, v51
	s_delay_alu instid0(VALU_DEP_3) | instskip(NEXT) | instid1(VALU_DEP_3)
	v_dual_mul_f32 v73, v64, v53 :: v_dual_fmac_f32 v44, v61, v48
	v_fma_f32 v47, v58, v46, -v47
	v_fmac_f32_e32 v43, v59, v46
	v_mul_f32_e32 v46, v63, v51
	v_fma_f32 v48, v60, v48, -v49
	v_mul_f32_e32 v49, v65, v53
	v_dual_add_f32 v47, 0, v47 :: v_dual_fmac_f32 v72, v63, v50
	s_delay_alu instid0(VALU_DEP_4) | instskip(SKIP_2) | instid1(VALU_DEP_3)
	v_fma_f32 v46, v62, v50, -v46
	s_wait_loadcnt_dscnt 0x100
	v_dual_mul_f32 v74, v66, v55 :: v_dual_mul_f32 v75, v68, v57
	v_add_f32_e32 v47, v47, v48
	v_fmac_f32_e32 v73, v65, v52
	v_fma_f32 v48, v64, v52, -v49
	s_delay_alu instid0(VALU_DEP_4) | instskip(NEXT) | instid1(VALU_DEP_4)
	v_dual_fmac_f32 v74, v67, v54 :: v_dual_fmac_f32 v75, v69, v56
	v_add_f32_e32 v46, v47, v46
	s_delay_alu instid0(VALU_DEP_1) | instskip(SKIP_1) | instid1(VALU_DEP_1)
	v_dual_add_f32 v46, v46, v48 :: v_dual_add_f32 v43, 0, v43
	v_mul_f32_e32 v47, v69, v57
	v_fma_f32 v47, v68, v56, -v47
	s_delay_alu instid0(VALU_DEP_3) | instskip(SKIP_1) | instid1(VALU_DEP_1)
	v_add_f32_e32 v43, v43, v44
	v_mul_f32_e32 v44, v67, v55
	v_fma_f32 v44, v66, v54, -v44
	s_delay_alu instid0(VALU_DEP_1) | instskip(NEXT) | instid1(VALU_DEP_1)
	v_add_f32_e32 v44, v46, v44
	v_dual_add_f32 v44, v44, v47 :: v_dual_add_f32 v43, v43, v72
	s_delay_alu instid0(VALU_DEP_1) | instskip(NEXT) | instid1(VALU_DEP_1)
	v_add_f32_e32 v43, v43, v73
	v_add_f32_e32 v43, v43, v74
	s_wait_loadcnt 0x0
	s_delay_alu instid0(VALU_DEP_1) | instskip(NEXT) | instid1(VALU_DEP_1)
	v_dual_add_f32 v46, v43, v75 :: v_dual_sub_f32 v43, v70, v44
	v_sub_f32_e32 v44, v71, v46
	scratch_store_b64 off, v[43:44], off offset:112
	v_cmpx_lt_u32_e32 13, v0
	s_cbranch_execz .LBB84_113
; %bb.112:
	scratch_load_b64 v[43:44], off, off offset:104
	v_mov_b32_e32 v46, 0
	s_delay_alu instid0(VALU_DEP_1)
	v_mov_b32_e32 v47, v46
	scratch_store_b64 off, v[46:47], off offset:104
	s_wait_loadcnt 0x0
	ds_store_b64 v45, v[43:44]
.LBB84_113:
	s_wait_alu 0xfffe
	s_or_b32 exec_lo, exec_lo, s0
	s_wait_storecnt_dscnt 0x0
	s_barrier_signal -1
	s_barrier_wait -1
	global_inv scope:SCOPE_SE
	s_clause 0x4
	scratch_load_b128 v[46:49], off, off offset:112
	scratch_load_b128 v[50:53], off, off offset:128
	;; [unrolled: 1-line block ×3, first 2 shown]
	scratch_load_b64 v[70:71], off, off offset:160
	scratch_load_b64 v[72:73], off, off offset:104
	v_mov_b32_e32 v43, 0
	ds_load_b128 v[58:61], v43 offset:288
	ds_load_b128 v[62:65], v43 offset:304
	;; [unrolled: 1-line block ×3, first 2 shown]
	ds_load_b64 v[74:75], v43 offset:336
	s_mov_b32 s0, exec_lo
	s_wait_loadcnt_dscnt 0x403
	v_mul_f32_e32 v44, v58, v47
	s_wait_loadcnt_dscnt 0x302
	v_dual_mul_f32 v76, v60, v49 :: v_dual_mul_f32 v77, v62, v51
	v_dual_mul_f32 v78, v64, v53 :: v_dual_mul_f32 v47, v59, v47
	s_wait_loadcnt_dscnt 0x100
	v_dual_mul_f32 v81, v74, v71 :: v_dual_fmac_f32 v44, v59, v46
	v_mul_f32_e32 v49, v61, v49
	v_dual_mul_f32 v79, v66, v55 :: v_dual_mul_f32 v80, v68, v57
	v_fma_f32 v47, v58, v46, -v47
	v_fmac_f32_e32 v76, v61, v48
	v_add_f32_e32 v44, 0, v44
	v_mul_f32_e32 v46, v63, v51
	v_fma_f32 v48, v60, v48, -v49
	v_add_f32_e32 v47, 0, v47
	v_mul_f32_e32 v49, v65, v53
	v_dual_fmac_f32 v77, v63, v50 :: v_dual_add_f32 v44, v44, v76
	v_dual_fmac_f32 v78, v65, v52 :: v_dual_fmac_f32 v79, v67, v54
	s_delay_alu instid0(VALU_DEP_4) | instskip(SKIP_1) | instid1(VALU_DEP_4)
	v_add_f32_e32 v47, v47, v48
	v_dual_fmac_f32 v80, v69, v56 :: v_dual_fmac_f32 v81, v75, v70
	v_add_f32_e32 v44, v44, v77
	v_fma_f32 v46, v62, v50, -v46
	v_mul_f32_e32 v48, v67, v55
	v_fma_f32 v49, v64, v52, -v49
	s_delay_alu instid0(VALU_DEP_4) | instskip(NEXT) | instid1(VALU_DEP_1)
	v_add_f32_e32 v44, v44, v78
	v_add_f32_e32 v44, v44, v79
	s_delay_alu instid0(VALU_DEP_1) | instskip(NEXT) | instid1(VALU_DEP_1)
	v_add_f32_e32 v44, v44, v80
	v_add_f32_e32 v44, v44, v81
	v_dual_add_f32 v46, v47, v46 :: v_dual_mul_f32 v47, v69, v57
	v_fma_f32 v48, v66, v54, -v48
	s_delay_alu instid0(VALU_DEP_2) | instskip(NEXT) | instid1(VALU_DEP_3)
	v_dual_add_f32 v46, v46, v49 :: v_dual_mul_f32 v49, v75, v71
	v_fma_f32 v47, v68, v56, -v47
	s_delay_alu instid0(VALU_DEP_2) | instskip(NEXT) | instid1(VALU_DEP_3)
	v_add_f32_e32 v46, v46, v48
	v_fma_f32 v48, v74, v70, -v49
	s_wait_loadcnt 0x0
	s_delay_alu instid0(VALU_DEP_2) | instskip(NEXT) | instid1(VALU_DEP_1)
	v_dual_add_f32 v46, v46, v47 :: v_dual_sub_f32 v47, v73, v44
	v_add_f32_e32 v46, v46, v48
	s_delay_alu instid0(VALU_DEP_1)
	v_sub_f32_e32 v46, v72, v46
	scratch_store_b64 off, v[46:47], off offset:104
	v_cmpx_lt_u32_e32 12, v0
	s_cbranch_execz .LBB84_115
; %bb.114:
	scratch_load_b64 v[46:47], off, off offset:96
	v_mov_b32_e32 v44, v43
	scratch_store_b64 off, v[43:44], off offset:96
	s_wait_loadcnt 0x0
	ds_store_b64 v45, v[46:47]
.LBB84_115:
	s_wait_alu 0xfffe
	s_or_b32 exec_lo, exec_lo, s0
	s_wait_storecnt_dscnt 0x0
	s_barrier_signal -1
	s_barrier_wait -1
	global_inv scope:SCOPE_SE
	s_clause 0x4
	scratch_load_b128 v[46:49], off, off offset:104
	scratch_load_b128 v[50:53], off, off offset:120
	;; [unrolled: 1-line block ×4, first 2 shown]
	scratch_load_b64 v[78:79], off, off offset:96
	ds_load_2addr_b64 v[62:65], v43 offset0:35 offset1:36
	ds_load_2addr_b64 v[66:69], v43 offset0:37 offset1:38
	;; [unrolled: 1-line block ×4, first 2 shown]
	s_mov_b32 s0, exec_lo
	s_wait_loadcnt_dscnt 0x403
	v_dual_mul_f32 v43, v62, v47 :: v_dual_mul_f32 v44, v64, v49
	v_mul_f32_e32 v47, v63, v47
	s_wait_loadcnt_dscnt 0x302
	v_dual_mul_f32 v49, v65, v49 :: v_dual_mul_f32 v80, v66, v51
	s_delay_alu instid0(VALU_DEP_3) | instskip(NEXT) | instid1(VALU_DEP_3)
	v_dual_mul_f32 v81, v68, v53 :: v_dual_fmac_f32 v44, v65, v48
	v_fma_f32 v47, v62, v46, -v47
	v_fmac_f32_e32 v43, v63, v46
	v_mul_f32_e32 v46, v67, v51
	v_fma_f32 v48, v64, v48, -v49
	v_mul_f32_e32 v49, v69, v53
	v_dual_add_f32 v47, 0, v47 :: v_dual_fmac_f32 v80, v67, v50
	s_delay_alu instid0(VALU_DEP_4) | instskip(SKIP_2) | instid1(VALU_DEP_3)
	v_fma_f32 v46, v66, v50, -v46
	s_wait_loadcnt_dscnt 0x201
	v_dual_mul_f32 v82, v70, v55 :: v_dual_mul_f32 v83, v72, v57
	v_add_f32_e32 v47, v47, v48
	v_fmac_f32_e32 v81, v69, v52
	v_fma_f32 v48, v68, v52, -v49
	s_wait_loadcnt_dscnt 0x100
	v_dual_mul_f32 v84, v74, v59 :: v_dual_mul_f32 v85, v76, v61
	v_dual_add_f32 v46, v47, v46 :: v_dual_mul_f32 v47, v73, v57
	v_dual_fmac_f32 v82, v71, v54 :: v_dual_fmac_f32 v83, v73, v56
	s_delay_alu instid0(VALU_DEP_3) | instskip(NEXT) | instid1(VALU_DEP_3)
	v_fmac_f32_e32 v84, v75, v58
	v_dual_add_f32 v46, v46, v48 :: v_dual_add_f32 v43, 0, v43
	v_mul_f32_e32 v48, v75, v59
	v_fma_f32 v47, v72, v56, -v47
	v_fmac_f32_e32 v85, v77, v60
	s_delay_alu instid0(VALU_DEP_4) | instskip(SKIP_2) | instid1(VALU_DEP_2)
	v_add_f32_e32 v43, v43, v44
	v_mul_f32_e32 v44, v71, v55
	v_fma_f32 v48, v74, v58, -v48
	v_fma_f32 v44, v70, v54, -v44
	s_delay_alu instid0(VALU_DEP_1) | instskip(SKIP_1) | instid1(VALU_DEP_2)
	v_add_f32_e32 v44, v46, v44
	v_mul_f32_e32 v46, v77, v61
	v_add_f32_e32 v44, v44, v47
	s_delay_alu instid0(VALU_DEP_2) | instskip(NEXT) | instid1(VALU_DEP_2)
	v_fma_f32 v46, v76, v60, -v46
	v_add_f32_e32 v44, v44, v48
	s_delay_alu instid0(VALU_DEP_1) | instskip(NEXT) | instid1(VALU_DEP_1)
	v_dual_add_f32 v43, v43, v80 :: v_dual_add_f32 v44, v44, v46
	v_add_f32_e32 v43, v43, v81
	s_delay_alu instid0(VALU_DEP_1) | instskip(NEXT) | instid1(VALU_DEP_1)
	v_add_f32_e32 v43, v43, v82
	v_add_f32_e32 v43, v43, v83
	s_delay_alu instid0(VALU_DEP_1) | instskip(SKIP_1) | instid1(VALU_DEP_1)
	v_add_f32_e32 v43, v43, v84
	s_wait_loadcnt 0x0
	v_dual_add_f32 v46, v43, v85 :: v_dual_sub_f32 v43, v78, v44
	s_delay_alu instid0(VALU_DEP_1)
	v_sub_f32_e32 v44, v79, v46
	scratch_store_b64 off, v[43:44], off offset:96
	v_cmpx_lt_u32_e32 11, v0
	s_cbranch_execz .LBB84_117
; %bb.116:
	scratch_load_b64 v[43:44], off, off offset:88
	v_mov_b32_e32 v46, 0
	s_delay_alu instid0(VALU_DEP_1)
	v_mov_b32_e32 v47, v46
	scratch_store_b64 off, v[46:47], off offset:88
	s_wait_loadcnt 0x0
	ds_store_b64 v45, v[43:44]
.LBB84_117:
	s_wait_alu 0xfffe
	s_or_b32 exec_lo, exec_lo, s0
	s_wait_storecnt_dscnt 0x0
	s_barrier_signal -1
	s_barrier_wait -1
	global_inv scope:SCOPE_SE
	s_clause 0x5
	scratch_load_b128 v[46:49], off, off offset:96
	scratch_load_b128 v[50:53], off, off offset:112
	;; [unrolled: 1-line block ×4, first 2 shown]
	scratch_load_b64 v[78:79], off, off offset:160
	scratch_load_b64 v[80:81], off, off offset:88
	v_mov_b32_e32 v43, 0
	ds_load_b128 v[62:65], v43 offset:272
	ds_load_b128 v[66:69], v43 offset:288
	;; [unrolled: 1-line block ×4, first 2 shown]
	ds_load_b64 v[82:83], v43 offset:336
	s_mov_b32 s0, exec_lo
	s_wait_loadcnt_dscnt 0x504
	v_mul_f32_e32 v44, v62, v47
	s_wait_loadcnt_dscnt 0x403
	v_dual_mul_f32 v84, v64, v49 :: v_dual_mul_f32 v85, v66, v51
	s_wait_loadcnt_dscnt 0x302
	v_dual_mul_f32 v88, v72, v57 :: v_dual_mul_f32 v47, v63, v47
	s_wait_loadcnt_dscnt 0x100
	v_dual_mul_f32 v91, v82, v79 :: v_dual_fmac_f32 v44, v63, v46
	v_mul_f32_e32 v49, v65, v49
	v_dual_mul_f32 v86, v68, v53 :: v_dual_mul_f32 v87, v70, v55
	v_fma_f32 v47, v62, v46, -v47
	v_fmac_f32_e32 v84, v65, v48
	v_add_f32_e32 v44, 0, v44
	v_mul_f32_e32 v46, v67, v51
	v_fma_f32 v48, v64, v48, -v49
	v_add_f32_e32 v47, 0, v47
	v_mul_f32_e32 v49, v69, v53
	v_dual_fmac_f32 v85, v67, v50 :: v_dual_add_f32 v44, v44, v84
	v_dual_fmac_f32 v86, v69, v52 :: v_dual_fmac_f32 v87, v71, v54
	s_delay_alu instid0(VALU_DEP_4) | instskip(SKIP_1) | instid1(VALU_DEP_4)
	v_add_f32_e32 v47, v47, v48
	v_dual_mul_f32 v89, v74, v59 :: v_dual_mul_f32 v90, v76, v61
	v_add_f32_e32 v44, v44, v85
	v_dual_fmac_f32 v88, v73, v56 :: v_dual_fmac_f32 v91, v83, v78
	s_delay_alu instid0(VALU_DEP_3) | instskip(NEXT) | instid1(VALU_DEP_3)
	v_dual_fmac_f32 v89, v75, v58 :: v_dual_fmac_f32 v90, v77, v60
	v_add_f32_e32 v44, v44, v86
	v_fma_f32 v46, v66, v50, -v46
	v_mul_f32_e32 v48, v71, v55
	v_fma_f32 v49, v68, v52, -v49
	s_delay_alu instid0(VALU_DEP_4) | instskip(NEXT) | instid1(VALU_DEP_1)
	v_add_f32_e32 v44, v44, v87
	v_add_f32_e32 v44, v44, v88
	s_delay_alu instid0(VALU_DEP_1) | instskip(NEXT) | instid1(VALU_DEP_1)
	v_add_f32_e32 v44, v44, v89
	v_add_f32_e32 v44, v44, v90
	s_delay_alu instid0(VALU_DEP_1) | instskip(SKIP_2) | instid1(VALU_DEP_2)
	v_add_f32_e32 v44, v44, v91
	v_dual_add_f32 v46, v47, v46 :: v_dual_mul_f32 v47, v73, v57
	v_fma_f32 v48, v70, v54, -v48
	v_dual_add_f32 v46, v46, v49 :: v_dual_mul_f32 v49, v75, v59
	s_delay_alu instid0(VALU_DEP_3) | instskip(NEXT) | instid1(VALU_DEP_2)
	v_fma_f32 v47, v72, v56, -v47
	v_add_f32_e32 v46, v46, v48
	v_mul_f32_e32 v48, v77, v61
	s_delay_alu instid0(VALU_DEP_4) | instskip(NEXT) | instid1(VALU_DEP_3)
	v_fma_f32 v49, v74, v58, -v49
	v_add_f32_e32 v46, v46, v47
	v_mul_f32_e32 v47, v83, v79
	s_delay_alu instid0(VALU_DEP_4) | instskip(NEXT) | instid1(VALU_DEP_3)
	v_fma_f32 v48, v76, v60, -v48
	v_add_f32_e32 v46, v46, v49
	s_delay_alu instid0(VALU_DEP_3) | instskip(NEXT) | instid1(VALU_DEP_2)
	v_fma_f32 v47, v82, v78, -v47
	v_add_f32_e32 v46, v46, v48
	s_wait_loadcnt 0x0
	s_delay_alu instid0(VALU_DEP_1) | instskip(NEXT) | instid1(VALU_DEP_1)
	v_dual_add_f32 v46, v46, v47 :: v_dual_sub_f32 v47, v81, v44
	v_sub_f32_e32 v46, v80, v46
	scratch_store_b64 off, v[46:47], off offset:88
	v_cmpx_lt_u32_e32 10, v0
	s_cbranch_execz .LBB84_119
; %bb.118:
	scratch_load_b64 v[46:47], off, off offset:80
	v_mov_b32_e32 v44, v43
	scratch_store_b64 off, v[43:44], off offset:80
	s_wait_loadcnt 0x0
	ds_store_b64 v45, v[46:47]
.LBB84_119:
	s_wait_alu 0xfffe
	s_or_b32 exec_lo, exec_lo, s0
	s_wait_storecnt_dscnt 0x0
	s_barrier_signal -1
	s_barrier_wait -1
	global_inv scope:SCOPE_SE
	s_clause 0x5
	scratch_load_b128 v[46:49], off, off offset:88
	scratch_load_b128 v[50:53], off, off offset:104
	;; [unrolled: 1-line block ×5, first 2 shown]
	scratch_load_b64 v[86:87], off, off offset:80
	ds_load_2addr_b64 v[66:69], v43 offset0:33 offset1:34
	ds_load_2addr_b64 v[70:73], v43 offset0:35 offset1:36
	;; [unrolled: 1-line block ×5, first 2 shown]
	s_mov_b32 s0, exec_lo
	s_wait_loadcnt_dscnt 0x504
	v_dual_mul_f32 v43, v66, v47 :: v_dual_mul_f32 v44, v68, v49
	v_mul_f32_e32 v47, v67, v47
	s_wait_loadcnt_dscnt 0x403
	v_dual_mul_f32 v49, v69, v49 :: v_dual_mul_f32 v88, v70, v51
	s_delay_alu instid0(VALU_DEP_3) | instskip(NEXT) | instid1(VALU_DEP_3)
	v_dual_mul_f32 v89, v72, v53 :: v_dual_fmac_f32 v44, v69, v48
	v_fma_f32 v47, v66, v46, -v47
	v_fmac_f32_e32 v43, v67, v46
	v_mul_f32_e32 v46, v71, v51
	v_fma_f32 v48, v68, v48, -v49
	v_mul_f32_e32 v49, v73, v53
	v_dual_add_f32 v47, 0, v47 :: v_dual_fmac_f32 v88, v71, v50
	s_delay_alu instid0(VALU_DEP_4) | instskip(SKIP_2) | instid1(VALU_DEP_3)
	v_fma_f32 v46, v70, v50, -v46
	s_wait_loadcnt_dscnt 0x302
	v_dual_mul_f32 v90, v74, v55 :: v_dual_mul_f32 v91, v76, v57
	v_add_f32_e32 v47, v47, v48
	v_fmac_f32_e32 v89, v73, v52
	v_fma_f32 v48, v72, v52, -v49
	s_wait_loadcnt_dscnt 0x201
	v_dual_mul_f32 v92, v78, v59 :: v_dual_mul_f32 v93, v80, v61
	v_dual_add_f32 v46, v47, v46 :: v_dual_mul_f32 v47, v77, v57
	v_fmac_f32_e32 v90, v75, v54
	s_wait_loadcnt_dscnt 0x100
	v_dual_mul_f32 v94, v82, v63 :: v_dual_mul_f32 v95, v84, v65
	s_delay_alu instid0(VALU_DEP_3) | instskip(SKIP_3) | instid1(VALU_DEP_4)
	v_dual_add_f32 v46, v46, v48 :: v_dual_add_f32 v43, 0, v43
	v_mul_f32_e32 v48, v79, v59
	v_fma_f32 v47, v76, v56, -v47
	v_dual_fmac_f32 v91, v77, v56 :: v_dual_fmac_f32 v92, v79, v58
	v_add_f32_e32 v43, v43, v44
	v_mul_f32_e32 v44, v75, v55
	v_fma_f32 v48, v78, v58, -v48
	v_dual_fmac_f32 v93, v81, v60 :: v_dual_fmac_f32 v94, v83, v62
	s_delay_alu instid0(VALU_DEP_3) | instskip(NEXT) | instid1(VALU_DEP_1)
	v_fma_f32 v44, v74, v54, -v44
	v_add_f32_e32 v44, v46, v44
	v_mul_f32_e32 v46, v81, v61
	s_delay_alu instid0(VALU_DEP_2) | instskip(SKIP_1) | instid1(VALU_DEP_3)
	v_dual_add_f32 v44, v44, v47 :: v_dual_add_f32 v43, v43, v88
	v_mul_f32_e32 v47, v83, v63
	v_fma_f32 v46, v80, v60, -v46
	s_delay_alu instid0(VALU_DEP_3) | instskip(SKIP_3) | instid1(VALU_DEP_4)
	v_add_f32_e32 v44, v44, v48
	v_mul_f32_e32 v48, v85, v65
	v_add_f32_e32 v43, v43, v89
	v_fma_f32 v47, v82, v62, -v47
	v_dual_add_f32 v44, v44, v46 :: v_dual_fmac_f32 v95, v85, v64
	s_delay_alu instid0(VALU_DEP_3) | instskip(SKIP_1) | instid1(VALU_DEP_3)
	v_add_f32_e32 v43, v43, v90
	v_fma_f32 v46, v84, v64, -v48
	v_add_f32_e32 v44, v44, v47
	s_delay_alu instid0(VALU_DEP_1) | instskip(NEXT) | instid1(VALU_DEP_1)
	v_dual_add_f32 v43, v43, v91 :: v_dual_add_f32 v44, v44, v46
	v_add_f32_e32 v43, v43, v92
	s_delay_alu instid0(VALU_DEP_1) | instskip(NEXT) | instid1(VALU_DEP_1)
	v_add_f32_e32 v43, v43, v93
	v_add_f32_e32 v43, v43, v94
	s_wait_loadcnt 0x0
	s_delay_alu instid0(VALU_DEP_1) | instskip(NEXT) | instid1(VALU_DEP_1)
	v_dual_add_f32 v46, v43, v95 :: v_dual_sub_f32 v43, v86, v44
	v_sub_f32_e32 v44, v87, v46
	scratch_store_b64 off, v[43:44], off offset:80
	v_cmpx_lt_u32_e32 9, v0
	s_cbranch_execz .LBB84_121
; %bb.120:
	scratch_load_b64 v[43:44], off, off offset:72
	v_mov_b32_e32 v46, 0
	s_delay_alu instid0(VALU_DEP_1)
	v_mov_b32_e32 v47, v46
	scratch_store_b64 off, v[46:47], off offset:72
	s_wait_loadcnt 0x0
	ds_store_b64 v45, v[43:44]
.LBB84_121:
	s_wait_alu 0xfffe
	s_or_b32 exec_lo, exec_lo, s0
	s_wait_storecnt_dscnt 0x0
	s_barrier_signal -1
	s_barrier_wait -1
	global_inv scope:SCOPE_SE
	s_clause 0x6
	scratch_load_b128 v[46:49], off, off offset:80
	scratch_load_b128 v[50:53], off, off offset:96
	;; [unrolled: 1-line block ×5, first 2 shown]
	scratch_load_b64 v[86:87], off, off offset:160
	scratch_load_b64 v[88:89], off, off offset:72
	v_mov_b32_e32 v43, 0
	ds_load_b128 v[66:69], v43 offset:256
	ds_load_b128 v[70:73], v43 offset:272
	;; [unrolled: 1-line block ×5, first 2 shown]
	ds_load_b64 v[90:91], v43 offset:336
	s_mov_b32 s0, exec_lo
	s_wait_loadcnt_dscnt 0x605
	v_mul_f32_e32 v44, v66, v47
	v_dual_mul_f32 v47, v67, v47 :: v_dual_mul_f32 v92, v68, v49
	s_wait_loadcnt_dscnt 0x302
	v_dual_mul_f32 v93, v70, v51 :: v_dual_mul_f32 v98, v80, v61
	s_wait_loadcnt_dscnt 0x100
	v_dual_mul_f32 v101, v90, v87 :: v_dual_fmac_f32 v44, v67, v46
	v_mul_f32_e32 v49, v69, v49
	v_fma_f32 v47, v66, v46, -v47
	v_mul_f32_e32 v46, v71, v51
	v_fmac_f32_e32 v92, v69, v48
	v_add_f32_e32 v44, 0, v44
	v_fma_f32 v48, v68, v48, -v49
	v_add_f32_e32 v47, 0, v47
	v_mul_f32_e32 v49, v73, v53
	s_delay_alu instid0(VALU_DEP_4) | instskip(SKIP_1) | instid1(VALU_DEP_4)
	v_dual_fmac_f32 v93, v71, v50 :: v_dual_add_f32 v44, v44, v92
	v_fma_f32 v46, v70, v50, -v46
	v_dual_add_f32 v47, v47, v48 :: v_dual_mul_f32 v94, v72, v53
	v_mul_f32_e32 v95, v74, v55
	v_mul_f32_e32 v48, v75, v55
	v_fma_f32 v49, v72, v52, -v49
	v_add_f32_e32 v44, v44, v93
	v_add_f32_e32 v46, v47, v46
	v_dual_fmac_f32 v94, v73, v52 :: v_dual_fmac_f32 v95, v75, v54
	v_mul_f32_e32 v47, v77, v57
	v_fma_f32 v48, v74, v54, -v48
	s_delay_alu instid0(VALU_DEP_4) | instskip(SKIP_4) | instid1(VALU_DEP_3)
	v_dual_add_f32 v46, v46, v49 :: v_dual_mul_f32 v49, v79, v59
	v_dual_mul_f32 v96, v76, v57 :: v_dual_mul_f32 v97, v78, v59
	v_dual_mul_f32 v99, v82, v63 :: v_dual_mul_f32 v100, v84, v65
	v_add_f32_e32 v44, v44, v94
	v_fma_f32 v47, v76, v56, -v47
	v_dual_add_f32 v46, v46, v48 :: v_dual_fmac_f32 v99, v83, v62
	v_dual_fmac_f32 v96, v77, v56 :: v_dual_fmac_f32 v97, v79, v58
	v_mul_f32_e32 v48, v81, v61
	s_delay_alu instid0(VALU_DEP_3)
	v_add_f32_e32 v46, v46, v47
	v_mul_f32_e32 v47, v83, v63
	v_dual_add_f32 v44, v44, v95 :: v_dual_fmac_f32 v101, v91, v86
	v_fma_f32 v49, v78, v58, -v49
	v_fmac_f32_e32 v98, v81, v60
	v_fma_f32 v48, v80, v60, -v48
	s_delay_alu instid0(VALU_DEP_4)
	v_add_f32_e32 v44, v44, v96
	v_fma_f32 v47, v82, v62, -v47
	v_add_f32_e32 v46, v46, v49
	v_mul_f32_e32 v49, v85, v65
	v_fmac_f32_e32 v100, v85, v64
	v_add_f32_e32 v44, v44, v97
	s_delay_alu instid0(VALU_DEP_4) | instskip(SKIP_2) | instid1(VALU_DEP_4)
	v_add_f32_e32 v46, v46, v48
	v_mul_f32_e32 v48, v91, v87
	v_fma_f32 v49, v84, v64, -v49
	v_add_f32_e32 v44, v44, v98
	s_delay_alu instid0(VALU_DEP_4) | instskip(NEXT) | instid1(VALU_DEP_4)
	v_add_f32_e32 v46, v46, v47
	v_fma_f32 v47, v90, v86, -v48
	s_delay_alu instid0(VALU_DEP_3) | instskip(NEXT) | instid1(VALU_DEP_3)
	v_add_f32_e32 v44, v44, v99
	v_add_f32_e32 v46, v46, v49
	s_delay_alu instid0(VALU_DEP_2) | instskip(NEXT) | instid1(VALU_DEP_2)
	v_add_f32_e32 v44, v44, v100
	v_add_f32_e32 v46, v46, v47
	s_delay_alu instid0(VALU_DEP_2) | instskip(SKIP_1) | instid1(VALU_DEP_1)
	v_add_f32_e32 v44, v44, v101
	s_wait_loadcnt 0x0
	v_dual_sub_f32 v46, v88, v46 :: v_dual_sub_f32 v47, v89, v44
	scratch_store_b64 off, v[46:47], off offset:72
	v_cmpx_lt_u32_e32 8, v0
	s_cbranch_execz .LBB84_123
; %bb.122:
	scratch_load_b64 v[46:47], off, off offset:64
	v_mov_b32_e32 v44, v43
	scratch_store_b64 off, v[43:44], off offset:64
	s_wait_loadcnt 0x0
	ds_store_b64 v45, v[46:47]
.LBB84_123:
	s_wait_alu 0xfffe
	s_or_b32 exec_lo, exec_lo, s0
	s_wait_storecnt_dscnt 0x0
	s_barrier_signal -1
	s_barrier_wait -1
	global_inv scope:SCOPE_SE
	s_clause 0x6
	scratch_load_b128 v[46:49], off, off offset:72
	scratch_load_b128 v[50:53], off, off offset:88
	;; [unrolled: 1-line block ×6, first 2 shown]
	scratch_load_b64 v[94:95], off, off offset:64
	ds_load_2addr_b64 v[70:73], v43 offset0:31 offset1:32
	ds_load_2addr_b64 v[74:77], v43 offset0:33 offset1:34
	;; [unrolled: 1-line block ×6, first 2 shown]
	s_mov_b32 s0, exec_lo
	s_wait_loadcnt_dscnt 0x605
	v_dual_mul_f32 v43, v70, v47 :: v_dual_mul_f32 v44, v72, v49
	v_mul_f32_e32 v47, v71, v47
	s_wait_loadcnt_dscnt 0x504
	v_dual_mul_f32 v49, v73, v49 :: v_dual_mul_f32 v96, v74, v51
	s_delay_alu instid0(VALU_DEP_3) | instskip(NEXT) | instid1(VALU_DEP_3)
	v_dual_mul_f32 v97, v76, v53 :: v_dual_fmac_f32 v44, v73, v48
	v_fma_f32 v47, v70, v46, -v47
	v_fmac_f32_e32 v43, v71, v46
	v_mul_f32_e32 v46, v75, v51
	v_fma_f32 v48, v72, v48, -v49
	v_mul_f32_e32 v49, v77, v53
	v_dual_add_f32 v47, 0, v47 :: v_dual_fmac_f32 v96, v75, v50
	s_delay_alu instid0(VALU_DEP_4) | instskip(SKIP_2) | instid1(VALU_DEP_3)
	v_fma_f32 v46, v74, v50, -v46
	s_wait_loadcnt_dscnt 0x403
	v_dual_mul_f32 v98, v78, v55 :: v_dual_mul_f32 v99, v80, v57
	v_add_f32_e32 v47, v47, v48
	v_fmac_f32_e32 v97, v77, v52
	v_fma_f32 v48, v76, v52, -v49
	s_wait_loadcnt_dscnt 0x302
	v_dual_mul_f32 v100, v82, v59 :: v_dual_mul_f32 v101, v84, v61
	v_dual_add_f32 v46, v47, v46 :: v_dual_mul_f32 v47, v81, v57
	v_fmac_f32_e32 v98, v79, v54
	s_wait_loadcnt_dscnt 0x201
	v_dual_mul_f32 v102, v86, v63 :: v_dual_mul_f32 v103, v88, v65
	s_delay_alu instid0(VALU_DEP_3) | instskip(SKIP_3) | instid1(VALU_DEP_4)
	v_dual_add_f32 v46, v46, v48 :: v_dual_add_f32 v43, 0, v43
	v_mul_f32_e32 v48, v83, v59
	v_fma_f32 v47, v80, v56, -v47
	v_dual_fmac_f32 v99, v81, v56 :: v_dual_fmac_f32 v100, v83, v58
	v_add_f32_e32 v43, v43, v44
	v_mul_f32_e32 v44, v79, v55
	v_fma_f32 v48, v82, v58, -v48
	v_dual_fmac_f32 v101, v85, v60 :: v_dual_fmac_f32 v102, v87, v62
	s_wait_loadcnt_dscnt 0x100
	v_dual_mul_f32 v104, v90, v67 :: v_dual_mul_f32 v105, v92, v69
	v_fma_f32 v44, v78, v54, -v44
	s_delay_alu instid0(VALU_DEP_2) | instskip(NEXT) | instid1(VALU_DEP_3)
	v_dual_fmac_f32 v103, v89, v64 :: v_dual_fmac_f32 v104, v91, v66
	v_fmac_f32_e32 v105, v93, v68
	s_delay_alu instid0(VALU_DEP_3) | instskip(SKIP_1) | instid1(VALU_DEP_2)
	v_add_f32_e32 v44, v46, v44
	v_mul_f32_e32 v46, v85, v61
	v_dual_add_f32 v44, v44, v47 :: v_dual_add_f32 v43, v43, v96
	v_mul_f32_e32 v47, v87, v63
	s_delay_alu instid0(VALU_DEP_3) | instskip(NEXT) | instid1(VALU_DEP_3)
	v_fma_f32 v46, v84, v60, -v46
	v_add_f32_e32 v44, v44, v48
	v_mul_f32_e32 v48, v89, v65
	v_add_f32_e32 v43, v43, v97
	v_fma_f32 v47, v86, v62, -v47
	s_delay_alu instid0(VALU_DEP_4) | instskip(SKIP_1) | instid1(VALU_DEP_4)
	v_add_f32_e32 v44, v44, v46
	v_mul_f32_e32 v46, v91, v67
	v_add_f32_e32 v43, v43, v98
	v_fma_f32 v48, v88, v64, -v48
	s_delay_alu instid0(VALU_DEP_4) | instskip(NEXT) | instid1(VALU_DEP_3)
	v_dual_add_f32 v44, v44, v47 :: v_dual_mul_f32 v47, v93, v69
	v_add_f32_e32 v43, v43, v99
	v_fma_f32 v46, v90, v66, -v46
	s_delay_alu instid0(VALU_DEP_3) | instskip(NEXT) | instid1(VALU_DEP_4)
	v_add_f32_e32 v44, v44, v48
	v_fma_f32 v47, v92, v68, -v47
	s_delay_alu instid0(VALU_DEP_2) | instskip(NEXT) | instid1(VALU_DEP_1)
	v_dual_add_f32 v43, v43, v100 :: v_dual_add_f32 v44, v44, v46
	v_dual_add_f32 v43, v43, v101 :: v_dual_add_f32 v44, v44, v47
	s_delay_alu instid0(VALU_DEP_1) | instskip(NEXT) | instid1(VALU_DEP_1)
	v_add_f32_e32 v43, v43, v102
	v_add_f32_e32 v43, v43, v103
	s_delay_alu instid0(VALU_DEP_1) | instskip(SKIP_1) | instid1(VALU_DEP_1)
	v_add_f32_e32 v43, v43, v104
	s_wait_loadcnt 0x0
	v_dual_add_f32 v46, v43, v105 :: v_dual_sub_f32 v43, v94, v44
	s_delay_alu instid0(VALU_DEP_1)
	v_sub_f32_e32 v44, v95, v46
	scratch_store_b64 off, v[43:44], off offset:64
	v_cmpx_lt_u32_e32 7, v0
	s_cbranch_execz .LBB84_125
; %bb.124:
	scratch_load_b64 v[43:44], off, off offset:56
	v_mov_b32_e32 v46, 0
	s_delay_alu instid0(VALU_DEP_1)
	v_mov_b32_e32 v47, v46
	scratch_store_b64 off, v[46:47], off offset:56
	s_wait_loadcnt 0x0
	ds_store_b64 v45, v[43:44]
.LBB84_125:
	s_wait_alu 0xfffe
	s_or_b32 exec_lo, exec_lo, s0
	s_wait_storecnt_dscnt 0x0
	s_barrier_signal -1
	s_barrier_wait -1
	global_inv scope:SCOPE_SE
	s_clause 0x7
	scratch_load_b128 v[46:49], off, off offset:64
	scratch_load_b128 v[50:53], off, off offset:80
	;; [unrolled: 1-line block ×6, first 2 shown]
	scratch_load_b64 v[94:95], off, off offset:160
	scratch_load_b64 v[96:97], off, off offset:56
	v_mov_b32_e32 v43, 0
	ds_load_b128 v[70:73], v43 offset:240
	ds_load_b128 v[74:77], v43 offset:256
	;; [unrolled: 1-line block ×6, first 2 shown]
	ds_load_b64 v[98:99], v43 offset:336
	s_mov_b32 s0, exec_lo
	s_wait_loadcnt_dscnt 0x706
	v_mul_f32_e32 v44, v70, v47
	v_dual_mul_f32 v47, v71, v47 :: v_dual_mul_f32 v100, v72, v49
	s_wait_loadcnt_dscnt 0x302
	v_dual_mul_f32 v101, v74, v51 :: v_dual_mul_f32 v108, v88, v65
	v_mul_f32_e32 v49, v73, v49
	s_wait_loadcnt_dscnt 0x100
	v_dual_mul_f32 v111, v98, v95 :: v_dual_fmac_f32 v44, v71, v46
	v_fma_f32 v47, v70, v46, -v47
	v_mul_f32_e32 v46, v75, v51
	v_fmac_f32_e32 v100, v73, v48
	v_fma_f32 v48, v72, v48, -v49
	v_dual_add_f32 v44, 0, v44 :: v_dual_mul_f32 v49, v77, v53
	v_add_f32_e32 v47, 0, v47
	v_fmac_f32_e32 v101, v75, v50
	v_fma_f32 v46, v74, v50, -v46
	s_delay_alu instid0(VALU_DEP_4)
	v_add_f32_e32 v44, v44, v100
	v_fma_f32 v49, v76, v52, -v49
	v_add_f32_e32 v47, v47, v48
	v_mul_f32_e32 v48, v79, v55
	v_dual_mul_f32 v102, v76, v53 :: v_dual_mul_f32 v103, v78, v55
	v_add_f32_e32 v44, v44, v101
	s_delay_alu instid0(VALU_DEP_4) | instskip(NEXT) | instid1(VALU_DEP_4)
	v_dual_add_f32 v46, v47, v46 :: v_dual_mul_f32 v47, v81, v57
	v_fma_f32 v48, v78, v54, -v48
	v_dual_mul_f32 v106, v84, v61 :: v_dual_mul_f32 v107, v86, v63
	s_delay_alu instid0(VALU_DEP_3) | instskip(NEXT) | instid1(VALU_DEP_4)
	v_dual_add_f32 v46, v46, v49 :: v_dual_mul_f32 v49, v83, v59
	v_fma_f32 v47, v80, v56, -v47
	v_dual_mul_f32 v109, v90, v67 :: v_dual_mul_f32 v110, v92, v69
	s_delay_alu instid0(VALU_DEP_3) | instskip(SKIP_1) | instid1(VALU_DEP_3)
	v_dual_add_f32 v46, v46, v48 :: v_dual_fmac_f32 v107, v87, v62
	v_dual_fmac_f32 v102, v77, v52 :: v_dual_fmac_f32 v103, v79, v54
	v_dual_mul_f32 v48, v85, v61 :: v_dual_fmac_f32 v109, v91, v66
	v_fma_f32 v49, v82, v58, -v49
	s_delay_alu instid0(VALU_DEP_4) | instskip(SKIP_3) | instid1(VALU_DEP_4)
	v_dual_add_f32 v46, v46, v47 :: v_dual_fmac_f32 v111, v99, v94
	v_dual_mul_f32 v104, v80, v57 :: v_dual_mul_f32 v105, v82, v59
	v_dual_add_f32 v44, v44, v102 :: v_dual_mul_f32 v47, v87, v63
	v_fma_f32 v48, v84, v60, -v48
	v_add_f32_e32 v46, v46, v49
	s_delay_alu instid0(VALU_DEP_4) | instskip(NEXT) | instid1(VALU_DEP_4)
	v_dual_fmac_f32 v104, v81, v56 :: v_dual_fmac_f32 v105, v83, v58
	v_dual_add_f32 v44, v44, v103 :: v_dual_mul_f32 v49, v89, v65
	v_fma_f32 v47, v86, v62, -v47
	s_delay_alu instid0(VALU_DEP_4)
	v_add_f32_e32 v46, v46, v48
	v_fmac_f32_e32 v106, v85, v60
	v_mul_f32_e32 v48, v91, v67
	v_fma_f32 v49, v88, v64, -v49
	v_fmac_f32_e32 v108, v89, v64
	v_dual_add_f32 v46, v46, v47 :: v_dual_mul_f32 v47, v93, v69
	v_add_f32_e32 v44, v44, v104
	v_fma_f32 v48, v90, v66, -v48
	v_fmac_f32_e32 v110, v93, v68
	s_delay_alu instid0(VALU_DEP_4) | instskip(NEXT) | instid1(VALU_DEP_4)
	v_dual_add_f32 v46, v46, v49 :: v_dual_mul_f32 v49, v99, v95
	v_add_f32_e32 v44, v44, v105
	v_fma_f32 v47, v92, v68, -v47
	s_delay_alu instid0(VALU_DEP_3) | instskip(NEXT) | instid1(VALU_DEP_4)
	v_add_f32_e32 v46, v46, v48
	v_fma_f32 v48, v98, v94, -v49
	s_delay_alu instid0(VALU_DEP_4) | instskip(NEXT) | instid1(VALU_DEP_3)
	v_add_f32_e32 v44, v44, v106
	v_add_f32_e32 v46, v46, v47
	s_delay_alu instid0(VALU_DEP_2) | instskip(NEXT) | instid1(VALU_DEP_2)
	v_add_f32_e32 v44, v44, v107
	v_add_f32_e32 v46, v46, v48
	s_delay_alu instid0(VALU_DEP_2) | instskip(SKIP_1) | instid1(VALU_DEP_2)
	v_add_f32_e32 v44, v44, v108
	s_wait_loadcnt 0x0
	v_sub_f32_e32 v46, v96, v46
	s_delay_alu instid0(VALU_DEP_2) | instskip(NEXT) | instid1(VALU_DEP_1)
	v_add_f32_e32 v44, v44, v109
	v_add_f32_e32 v44, v44, v110
	s_delay_alu instid0(VALU_DEP_1) | instskip(NEXT) | instid1(VALU_DEP_1)
	v_add_f32_e32 v44, v44, v111
	v_sub_f32_e32 v47, v97, v44
	scratch_store_b64 off, v[46:47], off offset:56
	v_cmpx_lt_u32_e32 6, v0
	s_cbranch_execz .LBB84_127
; %bb.126:
	scratch_load_b64 v[46:47], off, off offset:48
	v_mov_b32_e32 v44, v43
	scratch_store_b64 off, v[43:44], off offset:48
	s_wait_loadcnt 0x0
	ds_store_b64 v45, v[46:47]
.LBB84_127:
	s_wait_alu 0xfffe
	s_or_b32 exec_lo, exec_lo, s0
	s_wait_storecnt_dscnt 0x0
	s_barrier_signal -1
	s_barrier_wait -1
	global_inv scope:SCOPE_SE
	s_clause 0x7
	scratch_load_b128 v[46:49], off, off offset:56
	scratch_load_b128 v[50:53], off, off offset:72
	;; [unrolled: 1-line block ×7, first 2 shown]
	scratch_load_b64 v[102:103], off, off offset:48
	ds_load_2addr_b64 v[74:77], v43 offset0:29 offset1:30
	ds_load_2addr_b64 v[78:81], v43 offset0:31 offset1:32
	;; [unrolled: 1-line block ×7, first 2 shown]
	s_mov_b32 s0, exec_lo
	s_wait_loadcnt_dscnt 0x706
	v_dual_mul_f32 v43, v74, v47 :: v_dual_mul_f32 v44, v76, v49
	v_mul_f32_e32 v47, v75, v47
	s_wait_loadcnt_dscnt 0x605
	v_dual_mul_f32 v49, v77, v49 :: v_dual_mul_f32 v104, v78, v51
	s_delay_alu instid0(VALU_DEP_3) | instskip(NEXT) | instid1(VALU_DEP_3)
	v_dual_mul_f32 v105, v80, v53 :: v_dual_fmac_f32 v44, v77, v48
	v_fma_f32 v47, v74, v46, -v47
	v_fmac_f32_e32 v43, v75, v46
	v_mul_f32_e32 v46, v79, v51
	v_fma_f32 v48, v76, v48, -v49
	v_mul_f32_e32 v49, v81, v53
	v_dual_add_f32 v47, 0, v47 :: v_dual_fmac_f32 v104, v79, v50
	s_delay_alu instid0(VALU_DEP_4) | instskip(SKIP_2) | instid1(VALU_DEP_3)
	v_fma_f32 v46, v78, v50, -v46
	s_wait_loadcnt_dscnt 0x504
	v_dual_mul_f32 v106, v82, v55 :: v_dual_mul_f32 v107, v84, v57
	v_add_f32_e32 v47, v47, v48
	v_fmac_f32_e32 v105, v81, v52
	v_fma_f32 v48, v80, v52, -v49
	s_wait_loadcnt_dscnt 0x403
	v_dual_mul_f32 v108, v86, v59 :: v_dual_mul_f32 v109, v88, v61
	v_dual_add_f32 v46, v47, v46 :: v_dual_mul_f32 v47, v85, v57
	v_fmac_f32_e32 v106, v83, v54
	s_wait_loadcnt_dscnt 0x302
	v_dual_mul_f32 v110, v90, v63 :: v_dual_mul_f32 v111, v92, v65
	s_delay_alu instid0(VALU_DEP_3) | instskip(SKIP_3) | instid1(VALU_DEP_4)
	v_dual_add_f32 v46, v46, v48 :: v_dual_add_f32 v43, 0, v43
	v_mul_f32_e32 v48, v87, v59
	v_fma_f32 v47, v84, v56, -v47
	v_dual_fmac_f32 v107, v85, v56 :: v_dual_fmac_f32 v108, v87, v58
	v_add_f32_e32 v43, v43, v44
	v_mul_f32_e32 v44, v83, v55
	v_fma_f32 v48, v86, v58, -v48
	v_dual_fmac_f32 v109, v89, v60 :: v_dual_fmac_f32 v110, v91, v62
	s_wait_loadcnt_dscnt 0x201
	v_dual_mul_f32 v112, v94, v67 :: v_dual_mul_f32 v113, v96, v69
	v_fma_f32 v44, v82, v54, -v44
	s_wait_loadcnt_dscnt 0x100
	v_dual_mul_f32 v114, v98, v71 :: v_dual_mul_f32 v115, v100, v73
	s_delay_alu instid0(VALU_DEP_3) | instskip(NEXT) | instid1(VALU_DEP_3)
	v_dual_fmac_f32 v111, v93, v64 :: v_dual_fmac_f32 v112, v95, v66
	v_add_f32_e32 v44, v46, v44
	v_mul_f32_e32 v46, v89, v61
	s_delay_alu instid0(VALU_DEP_4) | instskip(NEXT) | instid1(VALU_DEP_3)
	v_dual_fmac_f32 v114, v99, v70 :: v_dual_fmac_f32 v115, v101, v72
	v_dual_fmac_f32 v113, v97, v68 :: v_dual_add_f32 v44, v44, v47
	v_add_f32_e32 v43, v43, v104
	v_mul_f32_e32 v47, v91, v63
	v_fma_f32 v46, v88, v60, -v46
	s_delay_alu instid0(VALU_DEP_4) | instskip(SKIP_3) | instid1(VALU_DEP_4)
	v_add_f32_e32 v44, v44, v48
	v_mul_f32_e32 v48, v93, v65
	v_add_f32_e32 v43, v43, v105
	v_fma_f32 v47, v90, v62, -v47
	v_add_f32_e32 v44, v44, v46
	v_mul_f32_e32 v46, v95, v67
	s_delay_alu instid0(VALU_DEP_4) | instskip(SKIP_1) | instid1(VALU_DEP_4)
	v_add_f32_e32 v43, v43, v106
	v_fma_f32 v48, v92, v64, -v48
	v_dual_add_f32 v44, v44, v47 :: v_dual_mul_f32 v47, v97, v69
	s_delay_alu instid0(VALU_DEP_3) | instskip(SKIP_1) | instid1(VALU_DEP_3)
	v_add_f32_e32 v43, v43, v107
	v_fma_f32 v46, v94, v66, -v46
	v_add_f32_e32 v44, v44, v48
	s_delay_alu instid0(VALU_DEP_4) | instskip(NEXT) | instid1(VALU_DEP_4)
	v_fma_f32 v47, v96, v68, -v47
	v_add_f32_e32 v43, v43, v108
	v_mul_f32_e32 v48, v99, v71
	s_delay_alu instid0(VALU_DEP_4) | instskip(SKIP_1) | instid1(VALU_DEP_4)
	v_add_f32_e32 v44, v44, v46
	v_mul_f32_e32 v46, v101, v73
	v_add_f32_e32 v43, v43, v109
	s_delay_alu instid0(VALU_DEP_4) | instskip(NEXT) | instid1(VALU_DEP_4)
	v_fma_f32 v48, v98, v70, -v48
	v_add_f32_e32 v44, v44, v47
	s_delay_alu instid0(VALU_DEP_4) | instskip(NEXT) | instid1(VALU_DEP_2)
	v_fma_f32 v46, v100, v72, -v46
	v_dual_add_f32 v43, v43, v110 :: v_dual_add_f32 v44, v44, v48
	s_delay_alu instid0(VALU_DEP_1) | instskip(NEXT) | instid1(VALU_DEP_1)
	v_dual_add_f32 v43, v43, v111 :: v_dual_add_f32 v44, v44, v46
	v_add_f32_e32 v43, v43, v112
	s_delay_alu instid0(VALU_DEP_1) | instskip(NEXT) | instid1(VALU_DEP_1)
	v_add_f32_e32 v43, v43, v113
	v_add_f32_e32 v43, v43, v114
	s_wait_loadcnt 0x0
	s_delay_alu instid0(VALU_DEP_1) | instskip(NEXT) | instid1(VALU_DEP_1)
	v_dual_add_f32 v46, v43, v115 :: v_dual_sub_f32 v43, v102, v44
	v_sub_f32_e32 v44, v103, v46
	scratch_store_b64 off, v[43:44], off offset:48
	v_cmpx_lt_u32_e32 5, v0
	s_cbranch_execz .LBB84_129
; %bb.128:
	scratch_load_b64 v[43:44], off, off offset:40
	v_mov_b32_e32 v46, 0
	s_delay_alu instid0(VALU_DEP_1)
	v_mov_b32_e32 v47, v46
	scratch_store_b64 off, v[46:47], off offset:40
	s_wait_loadcnt 0x0
	ds_store_b64 v45, v[43:44]
.LBB84_129:
	s_wait_alu 0xfffe
	s_or_b32 exec_lo, exec_lo, s0
	s_wait_storecnt_dscnt 0x0
	s_barrier_signal -1
	s_barrier_wait -1
	global_inv scope:SCOPE_SE
	s_clause 0x8
	scratch_load_b128 v[46:49], off, off offset:48
	scratch_load_b128 v[50:53], off, off offset:64
	;; [unrolled: 1-line block ×7, first 2 shown]
	scratch_load_b64 v[102:103], off, off offset:160
	scratch_load_b64 v[104:105], off, off offset:40
	v_mov_b32_e32 v43, 0
	ds_load_b128 v[74:77], v43 offset:224
	ds_load_b128 v[78:81], v43 offset:240
	;; [unrolled: 1-line block ×7, first 2 shown]
	ds_load_b64 v[106:107], v43 offset:336
	s_mov_b32 s0, exec_lo
	s_wait_loadcnt_dscnt 0x807
	v_mul_f32_e32 v44, v74, v47
	v_dual_mul_f32 v47, v75, v47 :: v_dual_mul_f32 v108, v76, v49
	s_wait_loadcnt_dscnt 0x706
	v_mul_f32_e32 v109, v78, v51
	v_mul_f32_e32 v49, v77, v49
	s_wait_loadcnt_dscnt 0x302
	v_mul_f32_e32 v118, v96, v69
	v_fma_f32 v47, v74, v46, -v47
	s_wait_loadcnt_dscnt 0x100
	v_dual_mul_f32 v121, v106, v103 :: v_dual_fmac_f32 v44, v75, v46
	v_mul_f32_e32 v46, v79, v51
	s_delay_alu instid0(VALU_DEP_3) | instskip(SKIP_1) | instid1(VALU_DEP_4)
	v_dual_fmac_f32 v108, v77, v48 :: v_dual_add_f32 v47, 0, v47
	v_fma_f32 v48, v76, v48, -v49
	v_dual_add_f32 v44, 0, v44 :: v_dual_mul_f32 v49, v81, v53
	v_fmac_f32_e32 v109, v79, v50
	v_fma_f32 v46, v78, v50, -v46
	v_dual_mul_f32 v110, v80, v53 :: v_dual_mul_f32 v111, v82, v55
	s_delay_alu instid0(VALU_DEP_4)
	v_add_f32_e32 v44, v44, v108
	v_add_f32_e32 v47, v47, v48
	v_mul_f32_e32 v48, v83, v55
	v_fma_f32 v49, v80, v52, -v49
	v_dual_mul_f32 v114, v88, v61 :: v_dual_mul_f32 v115, v90, v63
	v_add_f32_e32 v44, v44, v109
	v_dual_add_f32 v46, v47, v46 :: v_dual_mul_f32 v47, v85, v57
	v_fma_f32 v48, v82, v54, -v48
	v_dual_mul_f32 v116, v92, v65 :: v_dual_mul_f32 v117, v94, v67
	s_delay_alu instid0(VALU_DEP_3) | instskip(NEXT) | instid1(VALU_DEP_4)
	v_dual_add_f32 v46, v46, v49 :: v_dual_mul_f32 v49, v87, v59
	v_fma_f32 v47, v84, v56, -v47
	v_dual_mul_f32 v119, v98, v71 :: v_dual_mul_f32 v120, v100, v73
	s_delay_alu instid0(VALU_DEP_3) | instskip(SKIP_3) | instid1(VALU_DEP_4)
	v_dual_add_f32 v46, v46, v48 :: v_dual_fmac_f32 v115, v91, v62
	v_dual_fmac_f32 v110, v81, v52 :: v_dual_fmac_f32 v111, v83, v54
	v_dual_mul_f32 v48, v89, v61 :: v_dual_fmac_f32 v117, v95, v66
	v_fma_f32 v49, v86, v58, -v49
	v_dual_add_f32 v46, v46, v47 :: v_dual_fmac_f32 v119, v99, v70
	s_delay_alu instid0(VALU_DEP_4) | instskip(NEXT) | instid1(VALU_DEP_4)
	v_dual_add_f32 v44, v44, v110 :: v_dual_mul_f32 v47, v91, v63
	v_fma_f32 v48, v88, v60, -v48
	s_delay_alu instid0(VALU_DEP_3) | instskip(SKIP_3) | instid1(VALU_DEP_4)
	v_dual_add_f32 v46, v46, v49 :: v_dual_fmac_f32 v121, v107, v102
	v_dual_mul_f32 v112, v84, v57 :: v_dual_mul_f32 v113, v86, v59
	v_mul_f32_e32 v49, v93, v65
	v_fma_f32 v47, v90, v62, -v47
	v_add_f32_e32 v46, v46, v48
	s_delay_alu instid0(VALU_DEP_4) | instskip(SKIP_4) | instid1(VALU_DEP_4)
	v_dual_fmac_f32 v112, v85, v56 :: v_dual_fmac_f32 v113, v87, v58
	v_add_f32_e32 v44, v44, v111
	v_mul_f32_e32 v48, v95, v67
	v_fma_f32 v49, v92, v64, -v49
	v_dual_add_f32 v46, v46, v47 :: v_dual_mul_f32 v47, v97, v69
	v_add_f32_e32 v44, v44, v112
	s_delay_alu instid0(VALU_DEP_4) | instskip(SKIP_1) | instid1(VALU_DEP_4)
	v_fma_f32 v48, v94, v66, -v48
	v_fmac_f32_e32 v114, v89, v60
	v_dual_add_f32 v46, v46, v49 :: v_dual_mul_f32 v49, v99, v71
	s_delay_alu instid0(VALU_DEP_4) | instskip(SKIP_2) | instid1(VALU_DEP_4)
	v_add_f32_e32 v44, v44, v113
	v_fma_f32 v47, v96, v68, -v47
	v_fmac_f32_e32 v116, v93, v64
	v_add_f32_e32 v46, v46, v48
	v_fmac_f32_e32 v118, v97, v68
	v_mul_f32_e32 v48, v101, v73
	v_fma_f32 v49, v98, v70, -v49
	v_fmac_f32_e32 v120, v101, v72
	v_add_f32_e32 v46, v46, v47
	v_dual_mul_f32 v47, v107, v103 :: v_dual_add_f32 v44, v44, v114
	v_fma_f32 v48, v100, v72, -v48
	s_delay_alu instid0(VALU_DEP_3) | instskip(NEXT) | instid1(VALU_DEP_3)
	v_add_f32_e32 v46, v46, v49
	v_fma_f32 v47, v106, v102, -v47
	s_delay_alu instid0(VALU_DEP_4) | instskip(NEXT) | instid1(VALU_DEP_3)
	v_add_f32_e32 v44, v44, v115
	v_add_f32_e32 v46, v46, v48
	s_delay_alu instid0(VALU_DEP_2) | instskip(NEXT) | instid1(VALU_DEP_2)
	v_add_f32_e32 v44, v44, v116
	v_add_f32_e32 v46, v46, v47
	s_delay_alu instid0(VALU_DEP_2) | instskip(SKIP_1) | instid1(VALU_DEP_2)
	v_add_f32_e32 v44, v44, v117
	s_wait_loadcnt 0x0
	v_sub_f32_e32 v46, v104, v46
	s_delay_alu instid0(VALU_DEP_2) | instskip(NEXT) | instid1(VALU_DEP_1)
	v_add_f32_e32 v44, v44, v118
	v_add_f32_e32 v44, v44, v119
	s_delay_alu instid0(VALU_DEP_1) | instskip(NEXT) | instid1(VALU_DEP_1)
	v_add_f32_e32 v44, v44, v120
	v_add_f32_e32 v44, v44, v121
	s_delay_alu instid0(VALU_DEP_1)
	v_sub_f32_e32 v47, v105, v44
	scratch_store_b64 off, v[46:47], off offset:40
	v_cmpx_lt_u32_e32 4, v0
	s_cbranch_execz .LBB84_131
; %bb.130:
	scratch_load_b64 v[46:47], off, off offset:32
	v_mov_b32_e32 v44, v43
	scratch_store_b64 off, v[43:44], off offset:32
	s_wait_loadcnt 0x0
	ds_store_b64 v45, v[46:47]
.LBB84_131:
	s_wait_alu 0xfffe
	s_or_b32 exec_lo, exec_lo, s0
	s_wait_storecnt_dscnt 0x0
	s_barrier_signal -1
	s_barrier_wait -1
	global_inv scope:SCOPE_SE
	s_clause 0x8
	scratch_load_b128 v[46:49], off, off offset:40
	scratch_load_b128 v[50:53], off, off offset:56
	;; [unrolled: 1-line block ×8, first 2 shown]
	scratch_load_b64 v[110:111], off, off offset:32
	ds_load_2addr_b64 v[78:81], v43 offset0:27 offset1:28
	ds_load_2addr_b64 v[82:85], v43 offset0:29 offset1:30
	;; [unrolled: 1-line block ×8, first 2 shown]
	s_mov_b32 s0, exec_lo
	s_wait_loadcnt_dscnt 0x807
	v_dual_mul_f32 v43, v78, v47 :: v_dual_mul_f32 v44, v80, v49
	v_mul_f32_e32 v47, v79, v47
	s_wait_loadcnt_dscnt 0x706
	v_dual_mul_f32 v49, v81, v49 :: v_dual_mul_f32 v112, v82, v51
	s_delay_alu instid0(VALU_DEP_3) | instskip(NEXT) | instid1(VALU_DEP_3)
	v_dual_mul_f32 v113, v84, v53 :: v_dual_fmac_f32 v44, v81, v48
	v_fma_f32 v47, v78, v46, -v47
	v_fmac_f32_e32 v43, v79, v46
	v_mul_f32_e32 v46, v83, v51
	v_fma_f32 v48, v80, v48, -v49
	v_mul_f32_e32 v49, v85, v53
	v_dual_add_f32 v47, 0, v47 :: v_dual_fmac_f32 v112, v83, v50
	s_delay_alu instid0(VALU_DEP_4) | instskip(SKIP_2) | instid1(VALU_DEP_3)
	v_fma_f32 v46, v82, v50, -v46
	s_wait_loadcnt_dscnt 0x605
	v_dual_mul_f32 v114, v86, v55 :: v_dual_mul_f32 v115, v88, v57
	v_add_f32_e32 v47, v47, v48
	v_fmac_f32_e32 v113, v85, v52
	v_fma_f32 v48, v84, v52, -v49
	s_wait_loadcnt_dscnt 0x504
	v_dual_mul_f32 v116, v90, v59 :: v_dual_mul_f32 v117, v92, v61
	v_dual_add_f32 v46, v47, v46 :: v_dual_mul_f32 v47, v89, v57
	v_fmac_f32_e32 v114, v87, v54
	s_wait_loadcnt_dscnt 0x403
	v_dual_mul_f32 v118, v94, v63 :: v_dual_mul_f32 v119, v96, v65
	s_delay_alu instid0(VALU_DEP_3) | instskip(SKIP_3) | instid1(VALU_DEP_4)
	v_dual_add_f32 v46, v46, v48 :: v_dual_add_f32 v43, 0, v43
	v_mul_f32_e32 v48, v91, v59
	v_fma_f32 v47, v88, v56, -v47
	v_dual_fmac_f32 v115, v89, v56 :: v_dual_fmac_f32 v116, v91, v58
	v_add_f32_e32 v43, v43, v44
	v_mul_f32_e32 v44, v87, v55
	v_fma_f32 v48, v90, v58, -v48
	v_dual_fmac_f32 v117, v93, v60 :: v_dual_fmac_f32 v118, v95, v62
	s_wait_loadcnt_dscnt 0x302
	v_dual_mul_f32 v120, v98, v67 :: v_dual_mul_f32 v121, v100, v69
	v_fma_f32 v44, v86, v54, -v44
	s_wait_loadcnt_dscnt 0x201
	v_dual_mul_f32 v122, v102, v71 :: v_dual_mul_f32 v123, v104, v73
	s_wait_loadcnt_dscnt 0x100
	v_dual_mul_f32 v124, v106, v75 :: v_dual_mul_f32 v125, v108, v77
	v_add_f32_e32 v44, v46, v44
	v_mul_f32_e32 v46, v93, v61
	v_dual_fmac_f32 v122, v103, v70 :: v_dual_fmac_f32 v123, v105, v72
	s_delay_alu instid0(VALU_DEP_4) | instskip(NEXT) | instid1(VALU_DEP_4)
	v_dual_fmac_f32 v124, v107, v74 :: v_dual_fmac_f32 v125, v109, v76
	v_dual_add_f32 v44, v44, v47 :: v_dual_add_f32 v43, v43, v112
	v_mul_f32_e32 v47, v95, v63
	v_fma_f32 v46, v92, v60, -v46
	v_fmac_f32_e32 v119, v97, v64
	s_delay_alu instid0(VALU_DEP_4)
	v_add_f32_e32 v44, v44, v48
	v_mul_f32_e32 v48, v97, v65
	v_add_f32_e32 v43, v43, v113
	v_fma_f32 v47, v94, v62, -v47
	v_fmac_f32_e32 v120, v99, v66
	v_add_f32_e32 v44, v44, v46
	v_mul_f32_e32 v46, v99, v67
	v_add_f32_e32 v43, v43, v114
	v_fma_f32 v48, v96, v64, -v48
	s_delay_alu instid0(VALU_DEP_4) | instskip(SKIP_1) | instid1(VALU_DEP_4)
	v_dual_fmac_f32 v121, v101, v68 :: v_dual_add_f32 v44, v44, v47
	v_mul_f32_e32 v47, v101, v69
	v_add_f32_e32 v43, v43, v115
	v_fma_f32 v46, v98, v66, -v46
	s_delay_alu instid0(VALU_DEP_4) | instskip(NEXT) | instid1(VALU_DEP_4)
	v_add_f32_e32 v44, v44, v48
	v_fma_f32 v47, v100, v68, -v47
	s_delay_alu instid0(VALU_DEP_4) | instskip(SKIP_1) | instid1(VALU_DEP_4)
	v_add_f32_e32 v43, v43, v116
	v_mul_f32_e32 v48, v103, v71
	v_add_f32_e32 v44, v44, v46
	v_mul_f32_e32 v46, v105, v73
	s_delay_alu instid0(VALU_DEP_4) | instskip(NEXT) | instid1(VALU_DEP_4)
	v_add_f32_e32 v43, v43, v117
	v_fma_f32 v48, v102, v70, -v48
	s_delay_alu instid0(VALU_DEP_4) | instskip(SKIP_1) | instid1(VALU_DEP_4)
	v_add_f32_e32 v44, v44, v47
	v_mul_f32_e32 v47, v107, v75
	v_add_f32_e32 v43, v43, v118
	v_fma_f32 v46, v104, v72, -v46
	s_delay_alu instid0(VALU_DEP_4) | instskip(NEXT) | instid1(VALU_DEP_3)
	v_add_f32_e32 v44, v44, v48
	v_dual_mul_f32 v48, v109, v77 :: v_dual_add_f32 v43, v43, v119
	v_fma_f32 v47, v106, v74, -v47
	s_delay_alu instid0(VALU_DEP_3) | instskip(NEXT) | instid1(VALU_DEP_3)
	v_add_f32_e32 v44, v44, v46
	v_fma_f32 v46, v108, v76, -v48
	s_delay_alu instid0(VALU_DEP_2) | instskip(NEXT) | instid1(VALU_DEP_1)
	v_dual_add_f32 v43, v43, v120 :: v_dual_add_f32 v44, v44, v47
	v_dual_add_f32 v43, v43, v121 :: v_dual_add_f32 v44, v44, v46
	s_delay_alu instid0(VALU_DEP_1) | instskip(NEXT) | instid1(VALU_DEP_1)
	v_add_f32_e32 v43, v43, v122
	v_add_f32_e32 v43, v43, v123
	s_delay_alu instid0(VALU_DEP_1) | instskip(SKIP_1) | instid1(VALU_DEP_1)
	v_add_f32_e32 v43, v43, v124
	s_wait_loadcnt 0x0
	v_dual_add_f32 v46, v43, v125 :: v_dual_sub_f32 v43, v110, v44
	s_delay_alu instid0(VALU_DEP_1)
	v_sub_f32_e32 v44, v111, v46
	scratch_store_b64 off, v[43:44], off offset:32
	v_cmpx_lt_u32_e32 3, v0
	s_cbranch_execz .LBB84_133
; %bb.132:
	scratch_load_b64 v[43:44], off, off offset:24
	v_mov_b32_e32 v46, 0
	s_delay_alu instid0(VALU_DEP_1)
	v_mov_b32_e32 v47, v46
	scratch_store_b64 off, v[46:47], off offset:24
	s_wait_loadcnt 0x0
	ds_store_b64 v45, v[43:44]
.LBB84_133:
	s_wait_alu 0xfffe
	s_or_b32 exec_lo, exec_lo, s0
	s_wait_storecnt_dscnt 0x0
	s_barrier_signal -1
	s_barrier_wait -1
	global_inv scope:SCOPE_SE
	s_clause 0x9
	scratch_load_b128 v[46:49], off, off offset:32
	scratch_load_b128 v[50:53], off, off offset:48
	;; [unrolled: 1-line block ×8, first 2 shown]
	scratch_load_b64 v[110:111], off, off offset:160
	scratch_load_b64 v[112:113], off, off offset:24
	v_mov_b32_e32 v43, 0
	ds_load_b128 v[78:81], v43 offset:208
	ds_load_b128 v[82:85], v43 offset:224
	;; [unrolled: 1-line block ×8, first 2 shown]
	ds_load_b64 v[114:115], v43 offset:336
	s_mov_b32 s0, exec_lo
	s_wait_loadcnt_dscnt 0x908
	v_mul_f32_e32 v44, v78, v47
	s_wait_loadcnt_dscnt 0x807
	v_dual_mul_f32 v116, v80, v49 :: v_dual_mul_f32 v117, v82, v51
	v_mul_f32_e32 v47, v79, v47
	s_delay_alu instid0(VALU_DEP_3)
	v_dual_mul_f32 v49, v81, v49 :: v_dual_fmac_f32 v44, v79, v46
	s_wait_loadcnt_dscnt 0x302
	v_mul_f32_e32 v128, v104, v73
	v_dual_mul_f32 v118, v84, v53 :: v_dual_mul_f32 v119, v86, v55
	s_wait_loadcnt_dscnt 0x100
	v_mul_f32_e32 v131, v114, v111
	v_fma_f32 v47, v78, v46, -v47
	v_mul_f32_e32 v46, v83, v51
	v_fmac_f32_e32 v116, v81, v48
	v_fma_f32 v48, v80, v48, -v49
	v_dual_add_f32 v44, 0, v44 :: v_dual_mul_f32 v49, v85, v53
	v_add_f32_e32 v47, 0, v47
	v_fmac_f32_e32 v117, v83, v50
	v_fma_f32 v46, v82, v50, -v46
	s_delay_alu instid0(VALU_DEP_4)
	v_add_f32_e32 v44, v44, v116
	v_fma_f32 v49, v84, v52, -v49
	v_add_f32_e32 v47, v47, v48
	v_mul_f32_e32 v48, v87, v55
	v_dual_mul_f32 v122, v92, v61 :: v_dual_mul_f32 v123, v94, v63
	v_add_f32_e32 v44, v44, v117
	s_delay_alu instid0(VALU_DEP_4) | instskip(NEXT) | instid1(VALU_DEP_4)
	v_dual_add_f32 v46, v47, v46 :: v_dual_mul_f32 v47, v89, v57
	v_fma_f32 v48, v86, v54, -v48
	v_dual_mul_f32 v124, v96, v65 :: v_dual_mul_f32 v125, v98, v67
	s_delay_alu instid0(VALU_DEP_3) | instskip(NEXT) | instid1(VALU_DEP_4)
	v_dual_add_f32 v46, v46, v49 :: v_dual_mul_f32 v49, v91, v59
	v_fma_f32 v47, v88, v56, -v47
	v_dual_mul_f32 v126, v100, v69 :: v_dual_mul_f32 v127, v102, v71
	s_delay_alu instid0(VALU_DEP_3) | instskip(SKIP_3) | instid1(VALU_DEP_4)
	v_dual_add_f32 v46, v46, v48 :: v_dual_fmac_f32 v123, v95, v62
	v_dual_fmac_f32 v118, v85, v52 :: v_dual_fmac_f32 v119, v87, v54
	v_dual_mul_f32 v48, v93, v61 :: v_dual_fmac_f32 v125, v99, v66
	v_fma_f32 v49, v90, v58, -v49
	v_dual_add_f32 v46, v46, v47 :: v_dual_fmac_f32 v127, v103, v70
	v_dual_mul_f32 v129, v106, v75 :: v_dual_mul_f32 v130, v108, v77
	v_dual_add_f32 v44, v44, v118 :: v_dual_mul_f32 v47, v95, v63
	v_fma_f32 v48, v92, v60, -v48
	s_delay_alu instid0(VALU_DEP_3) | instskip(SKIP_3) | instid1(VALU_DEP_4)
	v_dual_add_f32 v46, v46, v49 :: v_dual_fmac_f32 v129, v107, v74
	v_dual_mul_f32 v120, v88, v57 :: v_dual_mul_f32 v121, v90, v59
	v_mul_f32_e32 v49, v97, v65
	v_fma_f32 v47, v94, v62, -v47
	v_add_f32_e32 v46, v46, v48
	s_delay_alu instid0(VALU_DEP_4) | instskip(SKIP_4) | instid1(VALU_DEP_4)
	v_dual_fmac_f32 v120, v89, v56 :: v_dual_fmac_f32 v121, v91, v58
	v_add_f32_e32 v44, v44, v119
	v_mul_f32_e32 v48, v99, v67
	v_fma_f32 v49, v96, v64, -v49
	v_dual_add_f32 v46, v46, v47 :: v_dual_mul_f32 v47, v101, v69
	v_add_f32_e32 v44, v44, v120
	s_delay_alu instid0(VALU_DEP_4) | instskip(SKIP_1) | instid1(VALU_DEP_4)
	v_fma_f32 v48, v98, v66, -v48
	v_fmac_f32_e32 v122, v93, v60
	v_dual_add_f32 v46, v46, v49 :: v_dual_mul_f32 v49, v103, v71
	s_delay_alu instid0(VALU_DEP_4) | instskip(SKIP_1) | instid1(VALU_DEP_3)
	v_dual_add_f32 v44, v44, v121 :: v_dual_fmac_f32 v131, v115, v110
	v_fma_f32 v47, v100, v68, -v47
	v_add_f32_e32 v46, v46, v48
	v_fmac_f32_e32 v124, v97, v64
	v_fmac_f32_e32 v126, v101, v68
	v_mul_f32_e32 v48, v105, v73
	v_fma_f32 v49, v102, v70, -v49
	v_add_f32_e32 v46, v46, v47
	v_dual_mul_f32 v47, v107, v75 :: v_dual_add_f32 v44, v44, v122
	v_fmac_f32_e32 v128, v105, v72
	v_fma_f32 v48, v104, v72, -v48
	s_delay_alu instid0(VALU_DEP_4) | instskip(NEXT) | instid1(VALU_DEP_4)
	v_add_f32_e32 v46, v46, v49
	v_dual_mul_f32 v49, v109, v77 :: v_dual_add_f32 v44, v44, v123
	v_fma_f32 v47, v106, v74, -v47
	v_fmac_f32_e32 v130, v109, v76
	s_delay_alu instid0(VALU_DEP_4) | instskip(SKIP_3) | instid1(VALU_DEP_4)
	v_add_f32_e32 v46, v46, v48
	v_mul_f32_e32 v48, v115, v111
	v_add_f32_e32 v44, v44, v124
	v_fma_f32 v49, v108, v76, -v49
	v_add_f32_e32 v46, v46, v47
	s_delay_alu instid0(VALU_DEP_4) | instskip(NEXT) | instid1(VALU_DEP_4)
	v_fma_f32 v47, v114, v110, -v48
	v_add_f32_e32 v44, v44, v125
	s_delay_alu instid0(VALU_DEP_3) | instskip(NEXT) | instid1(VALU_DEP_2)
	v_add_f32_e32 v46, v46, v49
	v_add_f32_e32 v44, v44, v126
	s_delay_alu instid0(VALU_DEP_2) | instskip(NEXT) | instid1(VALU_DEP_2)
	v_add_f32_e32 v46, v46, v47
	v_add_f32_e32 v44, v44, v127
	s_wait_loadcnt 0x0
	s_delay_alu instid0(VALU_DEP_2) | instskip(NEXT) | instid1(VALU_DEP_2)
	v_sub_f32_e32 v46, v112, v46
	v_add_f32_e32 v44, v44, v128
	s_delay_alu instid0(VALU_DEP_1) | instskip(NEXT) | instid1(VALU_DEP_1)
	v_add_f32_e32 v44, v44, v129
	v_add_f32_e32 v44, v44, v130
	s_delay_alu instid0(VALU_DEP_1) | instskip(NEXT) | instid1(VALU_DEP_1)
	v_add_f32_e32 v44, v44, v131
	v_sub_f32_e32 v47, v113, v44
	scratch_store_b64 off, v[46:47], off offset:24
	v_cmpx_lt_u32_e32 2, v0
	s_cbranch_execz .LBB84_135
; %bb.134:
	scratch_load_b64 v[46:47], off, off offset:16
	v_mov_b32_e32 v44, v43
	scratch_store_b64 off, v[43:44], off offset:16
	s_wait_loadcnt 0x0
	ds_store_b64 v45, v[46:47]
.LBB84_135:
	s_wait_alu 0xfffe
	s_or_b32 exec_lo, exec_lo, s0
	s_wait_storecnt_dscnt 0x0
	s_barrier_signal -1
	s_barrier_wait -1
	global_inv scope:SCOPE_SE
	s_clause 0x9
	scratch_load_b128 v[46:49], off, off offset:24
	scratch_load_b128 v[50:53], off, off offset:40
	;; [unrolled: 1-line block ×9, first 2 shown]
	scratch_load_b64 v[118:119], off, off offset:16
	ds_load_2addr_b64 v[82:85], v43 offset0:25 offset1:26
	ds_load_2addr_b64 v[86:89], v43 offset0:27 offset1:28
	;; [unrolled: 1-line block ×9, first 2 shown]
	s_mov_b32 s0, exec_lo
	s_wait_loadcnt_dscnt 0x908
	v_dual_mul_f32 v43, v82, v47 :: v_dual_mul_f32 v44, v84, v49
	v_mul_f32_e32 v47, v83, v47
	s_wait_loadcnt_dscnt 0x807
	v_dual_mul_f32 v49, v85, v49 :: v_dual_mul_f32 v120, v86, v51
	s_delay_alu instid0(VALU_DEP_3) | instskip(NEXT) | instid1(VALU_DEP_3)
	v_dual_mul_f32 v121, v88, v53 :: v_dual_fmac_f32 v44, v85, v48
	v_fma_f32 v47, v82, v46, -v47
	v_fmac_f32_e32 v43, v83, v46
	v_mul_f32_e32 v46, v87, v51
	v_fma_f32 v48, v84, v48, -v49
	v_mul_f32_e32 v49, v89, v53
	v_dual_add_f32 v47, 0, v47 :: v_dual_fmac_f32 v120, v87, v50
	s_delay_alu instid0(VALU_DEP_4) | instskip(SKIP_2) | instid1(VALU_DEP_3)
	v_fma_f32 v46, v86, v50, -v46
	s_wait_loadcnt_dscnt 0x706
	v_dual_mul_f32 v122, v90, v55 :: v_dual_mul_f32 v123, v92, v57
	v_add_f32_e32 v47, v47, v48
	v_fmac_f32_e32 v121, v89, v52
	v_fma_f32 v48, v88, v52, -v49
	s_wait_loadcnt_dscnt 0x605
	v_dual_mul_f32 v124, v94, v59 :: v_dual_mul_f32 v125, v96, v61
	v_dual_add_f32 v46, v47, v46 :: v_dual_mul_f32 v47, v93, v57
	v_fmac_f32_e32 v122, v91, v54
	s_wait_loadcnt_dscnt 0x504
	v_dual_mul_f32 v126, v98, v63 :: v_dual_mul_f32 v127, v100, v65
	s_delay_alu instid0(VALU_DEP_3) | instskip(SKIP_3) | instid1(VALU_DEP_4)
	v_dual_add_f32 v46, v46, v48 :: v_dual_add_f32 v43, 0, v43
	v_mul_f32_e32 v48, v95, v59
	v_fma_f32 v47, v92, v56, -v47
	v_dual_fmac_f32 v123, v93, v56 :: v_dual_fmac_f32 v124, v95, v58
	v_add_f32_e32 v43, v43, v44
	v_mul_f32_e32 v44, v91, v55
	v_fma_f32 v48, v94, v58, -v48
	v_dual_fmac_f32 v125, v97, v60 :: v_dual_fmac_f32 v126, v99, v62
	s_wait_loadcnt_dscnt 0x403
	v_dual_mul_f32 v128, v102, v67 :: v_dual_mul_f32 v129, v104, v69
	v_fma_f32 v44, v90, v54, -v44
	s_wait_loadcnt_dscnt 0x302
	v_dual_mul_f32 v130, v106, v71 :: v_dual_mul_f32 v131, v108, v73
	s_wait_loadcnt_dscnt 0x201
	v_dual_mul_f32 v132, v110, v75 :: v_dual_mul_f32 v133, v112, v77
	v_add_f32_e32 v44, v46, v44
	v_mul_f32_e32 v46, v97, v61
	v_dual_fmac_f32 v130, v107, v70 :: v_dual_fmac_f32 v131, v109, v72
	s_delay_alu instid0(VALU_DEP_4) | instskip(NEXT) | instid1(VALU_DEP_4)
	v_dual_fmac_f32 v132, v111, v74 :: v_dual_fmac_f32 v133, v113, v76
	v_dual_add_f32 v44, v44, v47 :: v_dual_add_f32 v43, v43, v120
	v_mul_f32_e32 v47, v99, v63
	v_fma_f32 v46, v96, v60, -v46
	v_fmac_f32_e32 v127, v101, v64
	s_delay_alu instid0(VALU_DEP_4)
	v_add_f32_e32 v44, v44, v48
	v_mul_f32_e32 v48, v101, v65
	v_add_f32_e32 v43, v43, v121
	v_fma_f32 v47, v98, v62, -v47
	v_fmac_f32_e32 v128, v103, v66
	v_add_f32_e32 v44, v44, v46
	v_mul_f32_e32 v46, v103, v67
	v_add_f32_e32 v43, v43, v122
	v_fma_f32 v48, v100, v64, -v48
	s_delay_alu instid0(VALU_DEP_4) | instskip(SKIP_1) | instid1(VALU_DEP_4)
	v_dual_fmac_f32 v129, v105, v68 :: v_dual_add_f32 v44, v44, v47
	v_mul_f32_e32 v47, v105, v69
	v_add_f32_e32 v43, v43, v123
	v_fma_f32 v46, v102, v66, -v46
	s_wait_loadcnt_dscnt 0x100
	v_dual_mul_f32 v134, v114, v79 :: v_dual_mul_f32 v135, v116, v81
	v_add_f32_e32 v44, v44, v48
	v_add_f32_e32 v43, v43, v124
	v_fma_f32 v47, v104, v68, -v47
	v_mul_f32_e32 v48, v107, v71
	v_dual_fmac_f32 v134, v115, v78 :: v_dual_fmac_f32 v135, v117, v80
	s_delay_alu instid0(VALU_DEP_4) | instskip(SKIP_1) | instid1(VALU_DEP_4)
	v_dual_add_f32 v44, v44, v46 :: v_dual_add_f32 v43, v43, v125
	v_mul_f32_e32 v46, v109, v73
	v_fma_f32 v48, v106, v70, -v48
	s_delay_alu instid0(VALU_DEP_3) | instskip(SKIP_1) | instid1(VALU_DEP_4)
	v_dual_add_f32 v44, v44, v47 :: v_dual_add_f32 v43, v43, v126
	v_mul_f32_e32 v47, v111, v75
	v_fma_f32 v46, v108, v72, -v46
	s_delay_alu instid0(VALU_DEP_3) | instskip(SKIP_1) | instid1(VALU_DEP_4)
	;; [unrolled: 4-line block ×4, first 2 shown]
	v_dual_add_f32 v44, v44, v47 :: v_dual_add_f32 v43, v43, v129
	v_mul_f32_e32 v47, v117, v81
	v_fma_f32 v46, v114, v78, -v46
	s_delay_alu instid0(VALU_DEP_3) | instskip(NEXT) | instid1(VALU_DEP_3)
	v_dual_add_f32 v44, v44, v48 :: v_dual_add_f32 v43, v43, v130
	v_fma_f32 v47, v116, v80, -v47
	s_delay_alu instid0(VALU_DEP_2) | instskip(NEXT) | instid1(VALU_DEP_1)
	v_dual_add_f32 v44, v44, v46 :: v_dual_add_f32 v43, v43, v131
	v_dual_add_f32 v44, v44, v47 :: v_dual_add_f32 v43, v43, v132
	s_delay_alu instid0(VALU_DEP_1) | instskip(NEXT) | instid1(VALU_DEP_1)
	v_add_f32_e32 v43, v43, v133
	v_add_f32_e32 v43, v43, v134
	s_wait_loadcnt 0x0
	s_delay_alu instid0(VALU_DEP_1) | instskip(NEXT) | instid1(VALU_DEP_1)
	v_dual_add_f32 v46, v43, v135 :: v_dual_sub_f32 v43, v118, v44
	v_sub_f32_e32 v44, v119, v46
	scratch_store_b64 off, v[43:44], off offset:16
	v_cmpx_lt_u32_e32 1, v0
	s_cbranch_execz .LBB84_137
; %bb.136:
	scratch_load_b64 v[43:44], off, off offset:8
	v_mov_b32_e32 v46, 0
	s_delay_alu instid0(VALU_DEP_1)
	v_mov_b32_e32 v47, v46
	scratch_store_b64 off, v[46:47], off offset:8
	s_wait_loadcnt 0x0
	ds_store_b64 v45, v[43:44]
.LBB84_137:
	s_wait_alu 0xfffe
	s_or_b32 exec_lo, exec_lo, s0
	s_wait_storecnt_dscnt 0x0
	s_barrier_signal -1
	s_barrier_wait -1
	global_inv scope:SCOPE_SE
	s_clause 0xa
	scratch_load_b128 v[46:49], off, off offset:16
	scratch_load_b128 v[50:53], off, off offset:32
	;; [unrolled: 1-line block ×9, first 2 shown]
	scratch_load_b64 v[118:119], off, off offset:160
	scratch_load_b64 v[120:121], off, off offset:8
	v_mov_b32_e32 v43, 0
	ds_load_b128 v[82:85], v43 offset:192
	ds_load_b128 v[86:89], v43 offset:208
	;; [unrolled: 1-line block ×9, first 2 shown]
	ds_load_b64 v[122:123], v43 offset:336
	s_mov_b32 s0, exec_lo
	s_wait_loadcnt_dscnt 0xa09
	v_mul_f32_e32 v44, v82, v47
	s_wait_loadcnt_dscnt 0x908
	v_dual_mul_f32 v124, v84, v49 :: v_dual_mul_f32 v125, v86, v51
	v_mul_f32_e32 v47, v83, v47
	s_delay_alu instid0(VALU_DEP_3)
	v_dual_mul_f32 v49, v85, v49 :: v_dual_fmac_f32 v44, v83, v46
	s_wait_loadcnt_dscnt 0x807
	v_dual_mul_f32 v126, v88, v53 :: v_dual_mul_f32 v127, v90, v55
	s_wait_loadcnt_dscnt 0x100
	v_dual_mul_f32 v138, v112, v77 :: v_dual_mul_f32 v141, v122, v119
	v_fma_f32 v47, v82, v46, -v47
	v_mul_f32_e32 v46, v87, v51
	v_fmac_f32_e32 v124, v85, v48
	v_fma_f32 v48, v84, v48, -v49
	v_dual_add_f32 v44, 0, v44 :: v_dual_mul_f32 v49, v89, v53
	v_add_f32_e32 v47, 0, v47
	v_fmac_f32_e32 v125, v87, v50
	v_fma_f32 v46, v86, v50, -v46
	s_delay_alu instid0(VALU_DEP_4)
	v_add_f32_e32 v44, v44, v124
	v_fma_f32 v49, v88, v52, -v49
	v_add_f32_e32 v47, v47, v48
	v_mul_f32_e32 v48, v91, v55
	v_dual_mul_f32 v130, v96, v61 :: v_dual_mul_f32 v131, v98, v63
	v_add_f32_e32 v44, v44, v125
	s_delay_alu instid0(VALU_DEP_4) | instskip(NEXT) | instid1(VALU_DEP_4)
	v_dual_add_f32 v46, v47, v46 :: v_dual_mul_f32 v47, v93, v57
	v_fma_f32 v48, v90, v54, -v48
	v_dual_mul_f32 v132, v100, v65 :: v_dual_mul_f32 v133, v102, v67
	s_delay_alu instid0(VALU_DEP_3) | instskip(NEXT) | instid1(VALU_DEP_4)
	v_dual_add_f32 v46, v46, v49 :: v_dual_mul_f32 v49, v95, v59
	v_fma_f32 v47, v92, v56, -v47
	v_dual_mul_f32 v134, v104, v69 :: v_dual_mul_f32 v135, v106, v71
	s_delay_alu instid0(VALU_DEP_3) | instskip(SKIP_3) | instid1(VALU_DEP_4)
	v_dual_add_f32 v46, v46, v48 :: v_dual_fmac_f32 v131, v99, v62
	v_dual_fmac_f32 v126, v89, v52 :: v_dual_fmac_f32 v127, v91, v54
	v_dual_mul_f32 v48, v97, v61 :: v_dual_fmac_f32 v133, v103, v66
	v_fma_f32 v49, v94, v58, -v49
	v_dual_add_f32 v46, v46, v47 :: v_dual_fmac_f32 v135, v107, v70
	v_dual_mul_f32 v136, v108, v73 :: v_dual_mul_f32 v137, v110, v75
	v_dual_add_f32 v44, v44, v126 :: v_dual_mul_f32 v47, v99, v63
	v_fma_f32 v48, v96, v60, -v48
	s_delay_alu instid0(VALU_DEP_3) | instskip(SKIP_1) | instid1(VALU_DEP_4)
	v_dual_add_f32 v46, v46, v49 :: v_dual_fmac_f32 v137, v111, v74
	v_mul_f32_e32 v49, v101, v65
	v_fma_f32 v47, v98, v62, -v47
	v_dual_mul_f32 v128, v92, v57 :: v_dual_mul_f32 v129, v94, v59
	s_delay_alu instid0(VALU_DEP_4) | instskip(SKIP_2) | instid1(VALU_DEP_4)
	v_add_f32_e32 v46, v46, v48
	v_mul_f32_e32 v48, v103, v67
	v_fma_f32 v49, v100, v64, -v49
	v_dual_fmac_f32 v128, v93, v56 :: v_dual_fmac_f32 v129, v95, v58
	s_delay_alu instid0(VALU_DEP_4) | instskip(SKIP_2) | instid1(VALU_DEP_3)
	v_dual_add_f32 v46, v46, v47 :: v_dual_fmac_f32 v141, v123, v118
	v_dual_add_f32 v44, v44, v127 :: v_dual_mul_f32 v47, v105, v69
	v_fma_f32 v48, v102, v66, -v48
	v_dual_add_f32 v46, v46, v49 :: v_dual_mul_f32 v49, v107, v71
	s_delay_alu instid0(VALU_DEP_3) | instskip(NEXT) | instid1(VALU_DEP_4)
	v_add_f32_e32 v44, v44, v128
	v_fma_f32 v47, v104, v68, -v47
	v_dual_mul_f32 v139, v114, v79 :: v_dual_mul_f32 v140, v116, v81
	s_delay_alu instid0(VALU_DEP_4)
	v_add_f32_e32 v46, v46, v48
	v_mul_f32_e32 v48, v109, v73
	v_fma_f32 v49, v106, v70, -v49
	v_fmac_f32_e32 v130, v97, v60
	v_dual_add_f32 v44, v44, v129 :: v_dual_fmac_f32 v139, v115, v78
	v_add_f32_e32 v46, v46, v47
	v_mul_f32_e32 v47, v111, v75
	v_fma_f32 v48, v108, v72, -v48
	s_delay_alu instid0(VALU_DEP_4)
	v_add_f32_e32 v44, v44, v130
	v_fmac_f32_e32 v132, v101, v64
	v_add_f32_e32 v46, v46, v49
	v_mul_f32_e32 v49, v113, v77
	v_fma_f32 v47, v110, v74, -v47
	v_fmac_f32_e32 v134, v105, v68
	v_fmac_f32_e32 v136, v109, v72
	v_add_f32_e32 v46, v46, v48
	v_fma_f32 v49, v112, v76, -v49
	v_mul_f32_e32 v48, v115, v79
	v_fmac_f32_e32 v138, v113, v76
	v_fmac_f32_e32 v140, v117, v80
	v_dual_add_f32 v46, v46, v47 :: v_dual_mul_f32 v47, v117, v81
	v_add_f32_e32 v44, v44, v131
	v_fma_f32 v48, v114, v78, -v48
	s_delay_alu instid0(VALU_DEP_3) | instskip(NEXT) | instid1(VALU_DEP_3)
	v_dual_add_f32 v46, v46, v49 :: v_dual_mul_f32 v49, v123, v119
	v_add_f32_e32 v44, v44, v132
	v_fma_f32 v47, v116, v80, -v47
	s_delay_alu instid0(VALU_DEP_3) | instskip(NEXT) | instid1(VALU_DEP_4)
	v_add_f32_e32 v46, v46, v48
	v_fma_f32 v48, v122, v118, -v49
	s_delay_alu instid0(VALU_DEP_4) | instskip(NEXT) | instid1(VALU_DEP_3)
	v_add_f32_e32 v44, v44, v133
	v_add_f32_e32 v46, v46, v47
	s_delay_alu instid0(VALU_DEP_2) | instskip(NEXT) | instid1(VALU_DEP_2)
	v_add_f32_e32 v44, v44, v134
	v_add_f32_e32 v46, v46, v48
	s_delay_alu instid0(VALU_DEP_2) | instskip(SKIP_1) | instid1(VALU_DEP_2)
	v_add_f32_e32 v44, v44, v135
	s_wait_loadcnt 0x0
	v_sub_f32_e32 v46, v120, v46
	s_delay_alu instid0(VALU_DEP_2) | instskip(NEXT) | instid1(VALU_DEP_1)
	v_add_f32_e32 v44, v44, v136
	v_add_f32_e32 v44, v44, v137
	s_delay_alu instid0(VALU_DEP_1) | instskip(NEXT) | instid1(VALU_DEP_1)
	v_add_f32_e32 v44, v44, v138
	v_add_f32_e32 v44, v44, v139
	s_delay_alu instid0(VALU_DEP_1) | instskip(NEXT) | instid1(VALU_DEP_1)
	v_add_f32_e32 v44, v44, v140
	v_add_f32_e32 v44, v44, v141
	s_delay_alu instid0(VALU_DEP_1)
	v_sub_f32_e32 v47, v121, v44
	scratch_store_b64 off, v[46:47], off offset:8
	v_cmpx_ne_u32_e32 0, v0
	s_cbranch_execz .LBB84_139
; %bb.138:
	scratch_load_b64 v[46:47], off, off
	v_mov_b32_e32 v44, v43
	scratch_store_b64 off, v[43:44], off
	s_wait_loadcnt 0x0
	ds_store_b64 v45, v[46:47]
.LBB84_139:
	s_wait_alu 0xfffe
	s_or_b32 exec_lo, exec_lo, s0
	s_wait_storecnt_dscnt 0x0
	s_barrier_signal -1
	s_barrier_wait -1
	global_inv scope:SCOPE_SE
	s_clause 0xa
	scratch_load_b128 v[44:47], off, off offset:8
	scratch_load_b128 v[48:51], off, off offset:24
	;; [unrolled: 1-line block ×10, first 2 shown]
	scratch_load_b64 v[124:125], off, off
	ds_load_2addr_b64 v[84:87], v43 offset0:23 offset1:24
	ds_load_2addr_b64 v[88:91], v43 offset0:25 offset1:26
	;; [unrolled: 1-line block ×10, first 2 shown]
	s_and_b32 vcc_lo, exec_lo, s12
	s_wait_loadcnt_dscnt 0xa09
	v_dual_mul_f32 v0, v84, v45 :: v_dual_mul_f32 v43, v86, v47
	s_wait_loadcnt_dscnt 0x908
	v_dual_mul_f32 v47, v87, v47 :: v_dual_mul_f32 v126, v88, v49
	s_delay_alu instid0(VALU_DEP_2) | instskip(SKIP_2) | instid1(VALU_DEP_4)
	v_dual_mul_f32 v127, v90, v51 :: v_dual_fmac_f32 v0, v85, v44
	v_mul_f32_e32 v45, v85, v45
	v_fmac_f32_e32 v43, v87, v46
	v_fma_f32 v46, v86, v46, -v47
	s_wait_loadcnt_dscnt 0x807
	v_dual_mul_f32 v128, v92, v53 :: v_dual_mul_f32 v129, v94, v55
	v_add_f32_e32 v0, 0, v0
	v_fma_f32 v45, v84, v44, -v45
	v_mul_f32_e32 v44, v89, v49
	v_dual_fmac_f32 v126, v89, v48 :: v_dual_fmac_f32 v127, v91, v50
	s_delay_alu instid0(VALU_DEP_3) | instskip(NEXT) | instid1(VALU_DEP_3)
	v_dual_fmac_f32 v128, v93, v52 :: v_dual_add_f32 v45, 0, v45
	v_fma_f32 v44, v88, v48, -v44
	v_dual_add_f32 v0, v0, v43 :: v_dual_mul_f32 v43, v93, v53
	s_wait_loadcnt_dscnt 0x706
	v_dual_mul_f32 v130, v96, v57 :: v_dual_mul_f32 v131, v98, v59
	v_add_f32_e32 v45, v45, v46
	s_delay_alu instid0(VALU_DEP_3) | instskip(SKIP_1) | instid1(VALU_DEP_3)
	v_dual_mul_f32 v47, v91, v51 :: v_dual_add_f32 v0, v0, v126
	v_fma_f32 v43, v92, v52, -v43
	v_dual_fmac_f32 v129, v95, v54 :: v_dual_add_f32 v44, v45, v44
	s_delay_alu instid0(VALU_DEP_3) | instskip(SKIP_3) | instid1(VALU_DEP_4)
	v_fma_f32 v46, v90, v50, -v47
	v_mul_f32_e32 v45, v95, v55
	v_add_f32_e32 v0, v0, v127
	v_dual_fmac_f32 v130, v97, v56 :: v_dual_fmac_f32 v131, v99, v58
	v_add_f32_e32 v44, v44, v46
	v_mul_f32_e32 v46, v97, v57
	v_fma_f32 v45, v94, v54, -v45
	s_wait_loadcnt_dscnt 0x605
	v_dual_mul_f32 v132, v100, v61 :: v_dual_mul_f32 v133, v102, v63
	v_add_f32_e32 v43, v44, v43
	v_add_f32_e32 v0, v0, v128
	v_mul_f32_e32 v44, v99, v59
	v_fma_f32 v46, v96, v56, -v46
	v_dual_fmac_f32 v132, v101, v60 :: v_dual_fmac_f32 v133, v103, v62
	v_add_f32_e32 v43, v43, v45
	v_add_f32_e32 v0, v0, v129
	v_mul_f32_e32 v45, v101, v61
	v_fma_f32 v44, v98, v58, -v44
	s_wait_loadcnt_dscnt 0x504
	v_dual_mul_f32 v134, v104, v65 :: v_dual_mul_f32 v135, v106, v67
	v_add_f32_e32 v43, v43, v46
	v_add_f32_e32 v0, v0, v130
	v_mul_f32_e32 v46, v103, v63
	v_fma_f32 v45, v100, v60, -v45
	s_wait_loadcnt_dscnt 0x403
	v_dual_mul_f32 v136, v108, v69 :: v_dual_mul_f32 v137, v110, v71
	v_dual_add_f32 v43, v43, v44 :: v_dual_add_f32 v0, v0, v131
	v_mul_f32_e32 v44, v105, v65
	v_fma_f32 v46, v102, v62, -v46
	v_dual_fmac_f32 v134, v105, v64 :: v_dual_fmac_f32 v135, v107, v66
	s_delay_alu instid0(VALU_DEP_4) | instskip(SKIP_3) | instid1(VALU_DEP_4)
	v_dual_add_f32 v43, v43, v45 :: v_dual_add_f32 v0, v0, v132
	v_mul_f32_e32 v45, v107, v67
	v_fma_f32 v44, v104, v64, -v44
	v_fmac_f32_e32 v137, v111, v70
	v_dual_add_f32 v43, v43, v46 :: v_dual_add_f32 v0, v0, v133
	v_mul_f32_e32 v46, v109, v69
	v_fma_f32 v45, v106, v66, -v45
	s_wait_loadcnt_dscnt 0x302
	v_dual_mul_f32 v138, v112, v73 :: v_dual_mul_f32 v139, v114, v75
	v_dual_add_f32 v43, v43, v44 :: v_dual_add_f32 v0, v0, v134
	v_mul_f32_e32 v44, v111, v71
	v_fma_f32 v46, v108, v68, -v46
	s_delay_alu instid0(VALU_DEP_4) | instskip(NEXT) | instid1(VALU_DEP_4)
	v_fmac_f32_e32 v139, v115, v74
	v_dual_add_f32 v43, v43, v45 :: v_dual_fmac_f32 v136, v109, v68
	v_mul_f32_e32 v45, v113, v73
	v_fma_f32 v44, v110, v70, -v44
	s_wait_loadcnt_dscnt 0x201
	v_dual_mul_f32 v140, v116, v77 :: v_dual_mul_f32 v141, v118, v79
	v_dual_add_f32 v43, v43, v46 :: v_dual_add_f32 v0, v0, v135
	v_mul_f32_e32 v46, v115, v75
	v_fma_f32 v45, v112, v72, -v45
	s_wait_loadcnt_dscnt 0x100
	v_dual_mul_f32 v142, v120, v81 :: v_dual_mul_f32 v143, v122, v83
	v_add_f32_e32 v43, v43, v44
	v_add_f32_e32 v0, v0, v136
	v_fmac_f32_e32 v138, v113, v72
	v_fma_f32 v46, v114, v74, -v46
	v_dual_fmac_f32 v140, v117, v76 :: v_dual_fmac_f32 v141, v119, v78
	v_add_f32_e32 v43, v43, v45
	v_mul_f32_e32 v44, v117, v77
	v_dual_add_f32 v0, v0, v137 :: v_dual_mul_f32 v45, v119, v79
	v_fmac_f32_e32 v143, v123, v82
	s_delay_alu instid0(VALU_DEP_4) | instskip(NEXT) | instid1(VALU_DEP_4)
	v_add_f32_e32 v43, v43, v46
	v_fma_f32 v44, v116, v76, -v44
	s_delay_alu instid0(VALU_DEP_4) | instskip(SKIP_2) | instid1(VALU_DEP_3)
	v_add_f32_e32 v0, v0, v138
	v_mul_f32_e32 v46, v121, v81
	v_fma_f32 v45, v118, v78, -v45
	v_dual_add_f32 v43, v43, v44 :: v_dual_add_f32 v0, v0, v139
	v_mul_f32_e32 v44, v123, v83
	s_delay_alu instid0(VALU_DEP_4) | instskip(NEXT) | instid1(VALU_DEP_3)
	v_fma_f32 v46, v120, v80, -v46
	v_dual_add_f32 v43, v43, v45 :: v_dual_add_f32 v0, v0, v140
	s_delay_alu instid0(VALU_DEP_3) | instskip(NEXT) | instid1(VALU_DEP_2)
	v_fma_f32 v44, v122, v82, -v44
	v_dual_add_f32 v43, v43, v46 :: v_dual_add_f32 v0, v0, v141
	s_delay_alu instid0(VALU_DEP_1) | instskip(SKIP_1) | instid1(VALU_DEP_1)
	v_add_f32_e32 v43, v43, v44
	s_wait_loadcnt 0x0
	v_dual_fmac_f32 v142, v121, v80 :: v_dual_sub_f32 v43, v124, v43
	s_delay_alu instid0(VALU_DEP_1) | instskip(NEXT) | instid1(VALU_DEP_1)
	v_add_f32_e32 v0, v0, v142
	v_add_f32_e32 v0, v0, v143
	s_delay_alu instid0(VALU_DEP_1)
	v_sub_f32_e32 v44, v125, v0
	scratch_store_b64 off, v[43:44], off
	s_wait_alu 0xfffe
	s_cbranch_vccz .LBB84_180
; %bb.140:
	v_mov_b32_e32 v0, 0
	global_load_b32 v43, v0, s[2:3] offset:76
	s_wait_loadcnt 0x0
	v_cmp_ne_u32_e32 vcc_lo, 20, v43
	s_cbranch_vccz .LBB84_142
; %bb.141:
	v_lshlrev_b32_e32 v43, 3, v43
	s_delay_alu instid0(VALU_DEP_1)
	v_mov_b32_e32 v47, v43
	scratch_load_b64 v[43:44], v47, off offset:-8
	scratch_load_b64 v[45:46], off, off offset:152
	s_wait_loadcnt 0x1
	scratch_store_b64 off, v[43:44], off offset:152
	s_wait_loadcnt 0x0
	scratch_store_b64 v47, v[45:46], off offset:-8
.LBB84_142:
	global_load_b32 v0, v0, s[2:3] offset:72
	s_wait_loadcnt 0x0
	v_cmp_eq_u32_e32 vcc_lo, 19, v0
	s_cbranch_vccnz .LBB84_144
; %bb.143:
	v_lshlrev_b32_e32 v0, 3, v0
	scratch_load_b64 v[43:44], v0, off offset:-8
	scratch_load_b64 v[45:46], off, off offset:144
	s_wait_loadcnt 0x1
	scratch_store_b64 off, v[43:44], off offset:144
	s_wait_loadcnt 0x0
	scratch_store_b64 v0, v[45:46], off offset:-8
.LBB84_144:
	v_mov_b32_e32 v0, 0
	global_load_b32 v43, v0, s[2:3] offset:68
	s_wait_loadcnt 0x0
	v_cmp_eq_u32_e32 vcc_lo, 18, v43
	s_cbranch_vccnz .LBB84_146
; %bb.145:
	v_lshlrev_b32_e32 v43, 3, v43
	s_delay_alu instid0(VALU_DEP_1)
	v_mov_b32_e32 v47, v43
	scratch_load_b64 v[43:44], v47, off offset:-8
	scratch_load_b64 v[45:46], off, off offset:136
	s_wait_loadcnt 0x1
	scratch_store_b64 off, v[43:44], off offset:136
	s_wait_loadcnt 0x0
	scratch_store_b64 v47, v[45:46], off offset:-8
.LBB84_146:
	global_load_b32 v0, v0, s[2:3] offset:64
	s_wait_loadcnt 0x0
	v_cmp_eq_u32_e32 vcc_lo, 17, v0
	s_cbranch_vccnz .LBB84_148
; %bb.147:
	v_lshlrev_b32_e32 v0, 3, v0
	scratch_load_b64 v[43:44], v0, off offset:-8
	scratch_load_b64 v[45:46], off, off offset:128
	s_wait_loadcnt 0x1
	scratch_store_b64 off, v[43:44], off offset:128
	s_wait_loadcnt 0x0
	scratch_store_b64 v0, v[45:46], off offset:-8
.LBB84_148:
	v_mov_b32_e32 v0, 0
	global_load_b32 v43, v0, s[2:3] offset:60
	s_wait_loadcnt 0x0
	v_cmp_eq_u32_e32 vcc_lo, 16, v43
	s_cbranch_vccnz .LBB84_150
; %bb.149:
	v_lshlrev_b32_e32 v43, 3, v43
	s_delay_alu instid0(VALU_DEP_1)
	v_mov_b32_e32 v47, v43
	scratch_load_b64 v[43:44], v47, off offset:-8
	scratch_load_b64 v[45:46], off, off offset:120
	s_wait_loadcnt 0x1
	scratch_store_b64 off, v[43:44], off offset:120
	s_wait_loadcnt 0x0
	scratch_store_b64 v47, v[45:46], off offset:-8
.LBB84_150:
	;; [unrolled: 29-line block ×9, first 2 shown]
	global_load_b32 v0, v0, s[2:3]
	s_wait_loadcnt 0x0
	v_cmp_eq_u32_e32 vcc_lo, 1, v0
	s_cbranch_vccnz .LBB84_180
; %bb.179:
	v_lshlrev_b32_e32 v0, 3, v0
	scratch_load_b64 v[43:44], v0, off offset:-8
	scratch_load_b64 v[45:46], off, off
	s_wait_loadcnt 0x1
	scratch_store_b64 off, v[43:44], off
	s_wait_loadcnt 0x0
	scratch_store_b64 v0, v[45:46], off offset:-8
.LBB84_180:
	scratch_load_b64 v[43:44], off, off
	s_wait_loadcnt 0x0
	flat_store_b64 v[1:2], v[43:44]
	scratch_load_b64 v[0:1], off, off offset:8
	s_wait_loadcnt 0x0
	flat_store_b64 v[3:4], v[0:1]
	scratch_load_b64 v[0:1], off, off offset:16
	;; [unrolled: 3-line block ×20, first 2 shown]
	s_wait_loadcnt 0x0
	flat_store_b64 v[41:42], v[0:1]
	s_nop 0
	s_sendmsg sendmsg(MSG_DEALLOC_VGPRS)
	s_endpgm
	.section	.rodata,"a",@progbits
	.p2align	6, 0x0
	.amdhsa_kernel _ZN9rocsolver6v33100L18getri_kernel_smallILi21E19rocblas_complex_numIfEPKPS3_EEvT1_iilPiilS8_bb
		.amdhsa_group_segment_fixed_size 344
		.amdhsa_private_segment_fixed_size 176
		.amdhsa_kernarg_size 60
		.amdhsa_user_sgpr_count 2
		.amdhsa_user_sgpr_dispatch_ptr 0
		.amdhsa_user_sgpr_queue_ptr 0
		.amdhsa_user_sgpr_kernarg_segment_ptr 1
		.amdhsa_user_sgpr_dispatch_id 0
		.amdhsa_user_sgpr_private_segment_size 0
		.amdhsa_wavefront_size32 1
		.amdhsa_uses_dynamic_stack 0
		.amdhsa_enable_private_segment 1
		.amdhsa_system_sgpr_workgroup_id_x 1
		.amdhsa_system_sgpr_workgroup_id_y 0
		.amdhsa_system_sgpr_workgroup_id_z 0
		.amdhsa_system_sgpr_workgroup_info 0
		.amdhsa_system_vgpr_workitem_id 0
		.amdhsa_next_free_vgpr 144
		.amdhsa_next_free_sgpr 19
		.amdhsa_reserve_vcc 1
		.amdhsa_float_round_mode_32 0
		.amdhsa_float_round_mode_16_64 0
		.amdhsa_float_denorm_mode_32 3
		.amdhsa_float_denorm_mode_16_64 3
		.amdhsa_fp16_overflow 0
		.amdhsa_workgroup_processor_mode 1
		.amdhsa_memory_ordered 1
		.amdhsa_forward_progress 1
		.amdhsa_inst_pref_size 175
		.amdhsa_round_robin_scheduling 0
		.amdhsa_exception_fp_ieee_invalid_op 0
		.amdhsa_exception_fp_denorm_src 0
		.amdhsa_exception_fp_ieee_div_zero 0
		.amdhsa_exception_fp_ieee_overflow 0
		.amdhsa_exception_fp_ieee_underflow 0
		.amdhsa_exception_fp_ieee_inexact 0
		.amdhsa_exception_int_div_zero 0
	.end_amdhsa_kernel
	.section	.text._ZN9rocsolver6v33100L18getri_kernel_smallILi21E19rocblas_complex_numIfEPKPS3_EEvT1_iilPiilS8_bb,"axG",@progbits,_ZN9rocsolver6v33100L18getri_kernel_smallILi21E19rocblas_complex_numIfEPKPS3_EEvT1_iilPiilS8_bb,comdat
.Lfunc_end84:
	.size	_ZN9rocsolver6v33100L18getri_kernel_smallILi21E19rocblas_complex_numIfEPKPS3_EEvT1_iilPiilS8_bb, .Lfunc_end84-_ZN9rocsolver6v33100L18getri_kernel_smallILi21E19rocblas_complex_numIfEPKPS3_EEvT1_iilPiilS8_bb
                                        ; -- End function
	.set _ZN9rocsolver6v33100L18getri_kernel_smallILi21E19rocblas_complex_numIfEPKPS3_EEvT1_iilPiilS8_bb.num_vgpr, 144
	.set _ZN9rocsolver6v33100L18getri_kernel_smallILi21E19rocblas_complex_numIfEPKPS3_EEvT1_iilPiilS8_bb.num_agpr, 0
	.set _ZN9rocsolver6v33100L18getri_kernel_smallILi21E19rocblas_complex_numIfEPKPS3_EEvT1_iilPiilS8_bb.numbered_sgpr, 19
	.set _ZN9rocsolver6v33100L18getri_kernel_smallILi21E19rocblas_complex_numIfEPKPS3_EEvT1_iilPiilS8_bb.num_named_barrier, 0
	.set _ZN9rocsolver6v33100L18getri_kernel_smallILi21E19rocblas_complex_numIfEPKPS3_EEvT1_iilPiilS8_bb.private_seg_size, 176
	.set _ZN9rocsolver6v33100L18getri_kernel_smallILi21E19rocblas_complex_numIfEPKPS3_EEvT1_iilPiilS8_bb.uses_vcc, 1
	.set _ZN9rocsolver6v33100L18getri_kernel_smallILi21E19rocblas_complex_numIfEPKPS3_EEvT1_iilPiilS8_bb.uses_flat_scratch, 1
	.set _ZN9rocsolver6v33100L18getri_kernel_smallILi21E19rocblas_complex_numIfEPKPS3_EEvT1_iilPiilS8_bb.has_dyn_sized_stack, 0
	.set _ZN9rocsolver6v33100L18getri_kernel_smallILi21E19rocblas_complex_numIfEPKPS3_EEvT1_iilPiilS8_bb.has_recursion, 0
	.set _ZN9rocsolver6v33100L18getri_kernel_smallILi21E19rocblas_complex_numIfEPKPS3_EEvT1_iilPiilS8_bb.has_indirect_call, 0
	.section	.AMDGPU.csdata,"",@progbits
; Kernel info:
; codeLenInByte = 22352
; TotalNumSgprs: 21
; NumVgprs: 144
; ScratchSize: 176
; MemoryBound: 0
; FloatMode: 240
; IeeeMode: 1
; LDSByteSize: 344 bytes/workgroup (compile time only)
; SGPRBlocks: 0
; VGPRBlocks: 17
; NumSGPRsForWavesPerEU: 21
; NumVGPRsForWavesPerEU: 144
; Occupancy: 10
; WaveLimiterHint : 1
; COMPUTE_PGM_RSRC2:SCRATCH_EN: 1
; COMPUTE_PGM_RSRC2:USER_SGPR: 2
; COMPUTE_PGM_RSRC2:TRAP_HANDLER: 0
; COMPUTE_PGM_RSRC2:TGID_X_EN: 1
; COMPUTE_PGM_RSRC2:TGID_Y_EN: 0
; COMPUTE_PGM_RSRC2:TGID_Z_EN: 0
; COMPUTE_PGM_RSRC2:TIDIG_COMP_CNT: 0
	.section	.text._ZN9rocsolver6v33100L18getri_kernel_smallILi22E19rocblas_complex_numIfEPKPS3_EEvT1_iilPiilS8_bb,"axG",@progbits,_ZN9rocsolver6v33100L18getri_kernel_smallILi22E19rocblas_complex_numIfEPKPS3_EEvT1_iilPiilS8_bb,comdat
	.globl	_ZN9rocsolver6v33100L18getri_kernel_smallILi22E19rocblas_complex_numIfEPKPS3_EEvT1_iilPiilS8_bb ; -- Begin function _ZN9rocsolver6v33100L18getri_kernel_smallILi22E19rocblas_complex_numIfEPKPS3_EEvT1_iilPiilS8_bb
	.p2align	8
	.type	_ZN9rocsolver6v33100L18getri_kernel_smallILi22E19rocblas_complex_numIfEPKPS3_EEvT1_iilPiilS8_bb,@function
_ZN9rocsolver6v33100L18getri_kernel_smallILi22E19rocblas_complex_numIfEPKPS3_EEvT1_iilPiilS8_bb: ; @_ZN9rocsolver6v33100L18getri_kernel_smallILi22E19rocblas_complex_numIfEPKPS3_EEvT1_iilPiilS8_bb
; %bb.0:
	s_mov_b32 s2, exec_lo
	v_cmpx_gt_u32_e32 22, v0
	s_cbranch_execz .LBB85_102
; %bb.1:
	s_clause 0x1
	s_load_b32 s13, s[0:1], 0x38
	s_load_b64 s[2:3], s[0:1], 0x0
	s_mov_b32 s8, ttmp9
	s_load_b128 s[4:7], s[0:1], 0x28
	s_wait_kmcnt 0x0
	s_bitcmp1_b32 s13, 8
	s_cselect_b32 s12, -1, 0
	s_ashr_i32 s9, ttmp9, 31
	s_delay_alu instid0(SALU_CYCLE_1) | instskip(NEXT) | instid1(SALU_CYCLE_1)
	s_lshl_b64 s[10:11], s[8:9], 3
	s_add_nc_u64 s[2:3], s[2:3], s[10:11]
	s_load_b64 s[10:11], s[2:3], 0x0
	s_bfe_u32 s2, s13, 0x10008
	s_delay_alu instid0(SALU_CYCLE_1)
	s_cmp_eq_u32 s2, 0
                                        ; implicit-def: $sgpr2_sgpr3
	s_cbranch_scc1 .LBB85_3
; %bb.2:
	s_load_b96 s[16:18], s[0:1], 0x18
	s_mul_u64 s[2:3], s[4:5], s[8:9]
	s_delay_alu instid0(SALU_CYCLE_1)
	s_lshl_b64 s[2:3], s[2:3], 2
	s_wait_kmcnt 0x0
	s_ashr_i32 s5, s18, 31
	s_mov_b32 s4, s18
	s_add_nc_u64 s[2:3], s[16:17], s[2:3]
	s_lshl_b64 s[4:5], s[4:5], 2
	s_delay_alu instid0(SALU_CYCLE_1)
	s_add_nc_u64 s[2:3], s[2:3], s[4:5]
.LBB85_3:
	s_clause 0x1
	s_load_b64 s[4:5], s[0:1], 0x8
	s_load_b32 s13, s[0:1], 0x38
	v_lshlrev_b32_e32 v51, 3, v0
	s_wait_kmcnt 0x0
	s_ashr_i32 s1, s4, 31
	s_mov_b32 s0, s4
	v_add3_u32 v9, s5, s5, v0
	s_lshl_b64 s[0:1], s[0:1], 3
	s_delay_alu instid0(SALU_CYCLE_1)
	s_add_nc_u64 s[0:1], s[10:11], s[0:1]
	s_ashr_i32 s11, s5, 31
	v_add_co_u32 v1, s4, s0, v51
	s_wait_alu 0xf1ff
	v_add_co_ci_u32_e64 v2, null, s1, 0, s4
	s_mov_b32 s10, s5
	v_ashrrev_i32_e32 v10, 31, v9
	s_lshl_b64 s[10:11], s[10:11], 3
	flat_load_b64 v[5:6], v[1:2]
	v_add_co_u32 v3, vcc_lo, v1, s10
	s_delay_alu instid0(VALU_DEP_1) | instskip(SKIP_2) | instid1(VALU_DEP_1)
	v_add_co_ci_u32_e64 v4, null, s11, v2, vcc_lo
	v_add_nc_u32_e32 v12, s5, v9
	s_bitcmp0_b32 s13, 0
	v_ashrrev_i32_e32 v13, 31, v12
	s_wait_loadcnt_dscnt 0x0
	scratch_store_b64 off, v[5:6], off
	flat_load_b64 v[7:8], v[3:4]
	v_lshlrev_b64_e32 v[5:6], 3, v[9:10]
	s_delay_alu instid0(VALU_DEP_1) | instskip(SKIP_1) | instid1(VALU_DEP_2)
	v_add_co_u32 v5, vcc_lo, s0, v5
	s_wait_alu 0xfffd
	v_add_co_ci_u32_e64 v6, null, s1, v6, vcc_lo
	s_wait_loadcnt_dscnt 0x0
	scratch_store_b64 off, v[7:8], off offset:8
	flat_load_b64 v[10:11], v[5:6]
	v_lshlrev_b64_e32 v[7:8], 3, v[12:13]
	s_delay_alu instid0(VALU_DEP_1) | instskip(SKIP_1) | instid1(VALU_DEP_2)
	v_add_co_u32 v7, vcc_lo, s0, v7
	s_wait_alu 0xfffd
	v_add_co_ci_u32_e64 v8, null, s1, v8, vcc_lo
	s_wait_loadcnt_dscnt 0x0
	scratch_store_b64 off, v[10:11], off offset:16
	flat_load_b64 v[13:14], v[7:8]
	v_add_nc_u32_e32 v11, s5, v12
	s_delay_alu instid0(VALU_DEP_1) | instskip(SKIP_1) | instid1(VALU_DEP_2)
	v_ashrrev_i32_e32 v12, 31, v11
	v_add_nc_u32_e32 v15, s5, v11
	v_lshlrev_b64_e32 v[9:10], 3, v[11:12]
	s_delay_alu instid0(VALU_DEP_2) | instskip(SKIP_1) | instid1(VALU_DEP_3)
	v_ashrrev_i32_e32 v16, 31, v15
	v_add_nc_u32_e32 v18, s5, v15
	v_add_co_u32 v9, vcc_lo, s0, v9
	s_wait_alu 0xfffd
	s_delay_alu instid0(VALU_DEP_4) | instskip(SKIP_2) | instid1(VALU_DEP_2)
	v_add_co_ci_u32_e64 v10, null, s1, v10, vcc_lo
	v_lshlrev_b64_e32 v[11:12], 3, v[15:16]
	v_ashrrev_i32_e32 v19, 31, v18
	v_add_co_u32 v11, vcc_lo, s0, v11
	s_wait_alu 0xfffd
	s_delay_alu instid0(VALU_DEP_3)
	v_add_co_ci_u32_e64 v12, null, s1, v12, vcc_lo
	s_wait_loadcnt_dscnt 0x0
	scratch_store_b64 off, v[13:14], off offset:24
	flat_load_b64 v[13:14], v[9:10]
	s_wait_loadcnt_dscnt 0x0
	scratch_store_b64 off, v[13:14], off offset:32
	flat_load_b64 v[16:17], v[11:12]
	v_lshlrev_b64_e32 v[13:14], 3, v[18:19]
	s_delay_alu instid0(VALU_DEP_1) | instskip(SKIP_1) | instid1(VALU_DEP_2)
	v_add_co_u32 v13, vcc_lo, s0, v13
	s_wait_alu 0xfffd
	v_add_co_ci_u32_e64 v14, null, s1, v14, vcc_lo
	s_wait_loadcnt_dscnt 0x0
	scratch_store_b64 off, v[16:17], off offset:40
	flat_load_b64 v[19:20], v[13:14]
	v_add_nc_u32_e32 v17, s5, v18
	s_delay_alu instid0(VALU_DEP_1) | instskip(SKIP_1) | instid1(VALU_DEP_2)
	v_ashrrev_i32_e32 v18, 31, v17
	v_add_nc_u32_e32 v21, s5, v17
	v_lshlrev_b64_e32 v[15:16], 3, v[17:18]
	s_delay_alu instid0(VALU_DEP_2) | instskip(SKIP_1) | instid1(VALU_DEP_3)
	v_ashrrev_i32_e32 v22, 31, v21
	v_add_nc_u32_e32 v24, s5, v21
	v_add_co_u32 v15, vcc_lo, s0, v15
	s_wait_alu 0xfffd
	s_delay_alu instid0(VALU_DEP_4) | instskip(SKIP_2) | instid1(VALU_DEP_2)
	v_add_co_ci_u32_e64 v16, null, s1, v16, vcc_lo
	v_lshlrev_b64_e32 v[17:18], 3, v[21:22]
	v_ashrrev_i32_e32 v25, 31, v24
	v_add_co_u32 v17, vcc_lo, s0, v17
	s_wait_alu 0xfffd
	s_delay_alu instid0(VALU_DEP_3)
	v_add_co_ci_u32_e64 v18, null, s1, v18, vcc_lo
	s_wait_loadcnt_dscnt 0x0
	scratch_store_b64 off, v[19:20], off offset:48
	flat_load_b64 v[19:20], v[15:16]
	;; [unrolled: 32-line block ×5, first 2 shown]
	s_wait_loadcnt_dscnt 0x0
	scratch_store_b64 off, v[37:38], off offset:128
	flat_load_b64 v[40:41], v[35:36]
	v_lshlrev_b64_e32 v[37:38], 3, v[42:43]
	s_delay_alu instid0(VALU_DEP_1) | instskip(SKIP_1) | instid1(VALU_DEP_2)
	v_add_co_u32 v37, vcc_lo, s0, v37
	s_wait_alu 0xfffd
	v_add_co_ci_u32_e64 v38, null, s1, v38, vcc_lo
	s_wait_loadcnt_dscnt 0x0
	scratch_store_b64 off, v[40:41], off offset:136
	flat_load_b64 v[43:44], v[37:38]
	v_add_nc_u32_e32 v41, s5, v42
	s_delay_alu instid0(VALU_DEP_1) | instskip(SKIP_1) | instid1(VALU_DEP_2)
	v_ashrrev_i32_e32 v42, 31, v41
	v_add_nc_u32_e32 v45, s5, v41
	v_lshlrev_b64_e32 v[39:40], 3, v[41:42]
	s_delay_alu instid0(VALU_DEP_2) | instskip(NEXT) | instid1(VALU_DEP_1)
	v_ashrrev_i32_e32 v46, 31, v45
	v_lshlrev_b64_e32 v[41:42], 3, v[45:46]
	s_delay_alu instid0(VALU_DEP_3) | instskip(SKIP_1) | instid1(VALU_DEP_4)
	v_add_co_u32 v39, vcc_lo, s0, v39
	s_wait_alu 0xfffd
	v_add_co_ci_u32_e64 v40, null, s1, v40, vcc_lo
	s_delay_alu instid0(VALU_DEP_3)
	v_add_co_u32 v41, vcc_lo, s0, v41
	s_wait_alu 0xfffd
	v_add_co_ci_u32_e64 v42, null, s1, v42, vcc_lo
	s_wait_loadcnt_dscnt 0x0
	scratch_store_b64 off, v[43:44], off offset:144
	flat_load_b64 v[43:44], v[39:40]
	s_wait_loadcnt_dscnt 0x0
	scratch_store_b64 off, v[43:44], off offset:152
	flat_load_b64 v[46:47], v[41:42]
	v_add_nc_u32_e32 v43, s5, v45
	s_delay_alu instid0(VALU_DEP_1) | instskip(NEXT) | instid1(VALU_DEP_1)
	v_ashrrev_i32_e32 v44, 31, v43
	v_lshlrev_b64_e32 v[43:44], 3, v[43:44]
	s_delay_alu instid0(VALU_DEP_1) | instskip(SKIP_1) | instid1(VALU_DEP_2)
	v_add_co_u32 v43, vcc_lo, s0, v43
	s_wait_alu 0xfffd
	v_add_co_ci_u32_e64 v44, null, s1, v44, vcc_lo
	s_mov_b32 s1, -1
	s_wait_loadcnt_dscnt 0x0
	scratch_store_b64 off, v[46:47], off offset:160
	flat_load_b64 v[45:46], v[43:44]
	s_wait_loadcnt_dscnt 0x0
	scratch_store_b64 off, v[45:46], off offset:168
	s_cbranch_scc1 .LBB85_100
; %bb.4:
	v_cmp_eq_u32_e64 s0, 0, v0
	s_and_saveexec_b32 s1, s0
; %bb.5:
	v_mov_b32_e32 v45, 0
	ds_store_b32 v45, v45 offset:352
; %bb.6:
	s_wait_alu 0xfffe
	s_or_b32 exec_lo, exec_lo, s1
	s_wait_storecnt_dscnt 0x0
	s_barrier_signal -1
	s_barrier_wait -1
	global_inv scope:SCOPE_SE
	scratch_load_b64 v[45:46], v51, off
	s_wait_loadcnt 0x0
	v_cmp_eq_f32_e32 vcc_lo, 0, v45
	v_cmp_eq_f32_e64 s1, 0, v46
	s_and_b32 s1, vcc_lo, s1
	s_wait_alu 0xfffe
	s_and_saveexec_b32 s4, s1
	s_cbranch_execz .LBB85_10
; %bb.7:
	v_mov_b32_e32 v45, 0
	s_mov_b32 s5, 0
	ds_load_b32 v46, v45 offset:352
	s_wait_dscnt 0x0
	v_readfirstlane_b32 s1, v46
	v_add_nc_u32_e32 v46, 1, v0
	s_cmp_eq_u32 s1, 0
	s_delay_alu instid0(VALU_DEP_1)
	v_cmp_gt_i32_e32 vcc_lo, s1, v46
	s_cselect_b32 s10, -1, 0
	s_wait_alu 0xfffe
	s_or_b32 s10, s10, vcc_lo
	s_wait_alu 0xfffe
	s_and_b32 exec_lo, exec_lo, s10
	s_cbranch_execz .LBB85_10
; %bb.8:
	v_mov_b32_e32 v47, s1
.LBB85_9:                               ; =>This Inner Loop Header: Depth=1
	ds_cmpstore_rtn_b32 v47, v45, v46, v47 offset:352
	s_wait_dscnt 0x0
	v_cmp_ne_u32_e32 vcc_lo, 0, v47
	v_cmp_le_i32_e64 s1, v47, v46
	s_and_b32 s1, vcc_lo, s1
	s_wait_alu 0xfffe
	s_and_b32 s1, exec_lo, s1
	s_wait_alu 0xfffe
	s_or_b32 s5, s1, s5
	s_wait_alu 0xfffe
	s_and_not1_b32 exec_lo, exec_lo, s5
	s_cbranch_execnz .LBB85_9
.LBB85_10:
	s_wait_alu 0xfffe
	s_or_b32 exec_lo, exec_lo, s4
	v_mov_b32_e32 v45, 0
	s_barrier_signal -1
	s_barrier_wait -1
	global_inv scope:SCOPE_SE
	ds_load_b32 v46, v45 offset:352
	s_and_saveexec_b32 s1, s0
	s_cbranch_execz .LBB85_12
; %bb.11:
	s_lshl_b64 s[4:5], s[8:9], 2
	s_wait_alu 0xfffe
	s_add_nc_u64 s[4:5], s[6:7], s[4:5]
	s_wait_dscnt 0x0
	global_store_b32 v45, v46, s[4:5]
.LBB85_12:
	s_wait_alu 0xfffe
	s_or_b32 exec_lo, exec_lo, s1
	s_wait_dscnt 0x0
	v_cmp_ne_u32_e32 vcc_lo, 0, v46
	s_mov_b32 s1, 0
	s_cbranch_vccnz .LBB85_100
; %bb.13:
	v_mov_b32_e32 v52, v51
                                        ; implicit-def: $vgpr47
                                        ; implicit-def: $vgpr49
	scratch_load_b64 v[45:46], v52, off
	s_wait_loadcnt 0x0
	v_cmp_ngt_f32_e64 s1, |v45|, |v46|
	s_wait_alu 0xfffe
	s_and_saveexec_b32 s4, s1
	s_wait_alu 0xfffe
	s_xor_b32 s1, exec_lo, s4
	s_cbranch_execz .LBB85_15
; %bb.14:
	v_div_scale_f32 v47, null, v46, v46, v45
	v_div_scale_f32 v50, vcc_lo, v45, v46, v45
	s_delay_alu instid0(VALU_DEP_2) | instskip(NEXT) | instid1(TRANS32_DEP_1)
	v_rcp_f32_e32 v48, v47
	v_fma_f32 v49, -v47, v48, 1.0
	s_delay_alu instid0(VALU_DEP_1) | instskip(NEXT) | instid1(VALU_DEP_1)
	v_fmac_f32_e32 v48, v49, v48
	v_mul_f32_e32 v49, v50, v48
	s_delay_alu instid0(VALU_DEP_1) | instskip(NEXT) | instid1(VALU_DEP_1)
	v_fma_f32 v53, -v47, v49, v50
	v_fmac_f32_e32 v49, v53, v48
	s_delay_alu instid0(VALU_DEP_1) | instskip(SKIP_1) | instid1(VALU_DEP_1)
	v_fma_f32 v47, -v47, v49, v50
	s_wait_alu 0xfffd
	v_div_fmas_f32 v47, v47, v48, v49
	s_delay_alu instid0(VALU_DEP_1) | instskip(NEXT) | instid1(VALU_DEP_1)
	v_div_fixup_f32 v47, v47, v46, v45
	v_fmac_f32_e32 v46, v45, v47
	s_delay_alu instid0(VALU_DEP_1) | instskip(NEXT) | instid1(VALU_DEP_1)
	v_div_scale_f32 v45, null, v46, v46, 1.0
	v_rcp_f32_e32 v48, v45
	s_delay_alu instid0(TRANS32_DEP_1) | instskip(NEXT) | instid1(VALU_DEP_1)
	v_fma_f32 v49, -v45, v48, 1.0
	v_fmac_f32_e32 v48, v49, v48
	v_div_scale_f32 v49, vcc_lo, 1.0, v46, 1.0
	s_delay_alu instid0(VALU_DEP_1) | instskip(NEXT) | instid1(VALU_DEP_1)
	v_mul_f32_e32 v50, v49, v48
	v_fma_f32 v53, -v45, v50, v49
	s_delay_alu instid0(VALU_DEP_1) | instskip(NEXT) | instid1(VALU_DEP_1)
	v_fmac_f32_e32 v50, v53, v48
	v_fma_f32 v45, -v45, v50, v49
	s_wait_alu 0xfffd
	s_delay_alu instid0(VALU_DEP_1) | instskip(NEXT) | instid1(VALU_DEP_1)
	v_div_fmas_f32 v45, v45, v48, v50
	v_div_fixup_f32 v45, v45, v46, 1.0
	s_delay_alu instid0(VALU_DEP_1) | instskip(SKIP_1) | instid1(VALU_DEP_2)
	v_mul_f32_e32 v47, v47, v45
	v_xor_b32_e32 v48, 0x80000000, v45
                                        ; implicit-def: $vgpr45_vgpr46
	v_xor_b32_e32 v49, 0x80000000, v47
.LBB85_15:
	s_wait_alu 0xfffe
	s_and_not1_saveexec_b32 s1, s1
	s_cbranch_execz .LBB85_17
; %bb.16:
	v_div_scale_f32 v47, null, v45, v45, v46
	v_div_scale_f32 v50, vcc_lo, v46, v45, v46
	s_delay_alu instid0(VALU_DEP_2) | instskip(NEXT) | instid1(TRANS32_DEP_1)
	v_rcp_f32_e32 v48, v47
	v_fma_f32 v49, -v47, v48, 1.0
	s_delay_alu instid0(VALU_DEP_1) | instskip(NEXT) | instid1(VALU_DEP_1)
	v_fmac_f32_e32 v48, v49, v48
	v_mul_f32_e32 v49, v50, v48
	s_delay_alu instid0(VALU_DEP_1) | instskip(NEXT) | instid1(VALU_DEP_1)
	v_fma_f32 v53, -v47, v49, v50
	v_fmac_f32_e32 v49, v53, v48
	s_delay_alu instid0(VALU_DEP_1) | instskip(SKIP_1) | instid1(VALU_DEP_1)
	v_fma_f32 v47, -v47, v49, v50
	s_wait_alu 0xfffd
	v_div_fmas_f32 v47, v47, v48, v49
	s_delay_alu instid0(VALU_DEP_1) | instskip(NEXT) | instid1(VALU_DEP_1)
	v_div_fixup_f32 v48, v47, v45, v46
	v_fmac_f32_e32 v45, v46, v48
	s_delay_alu instid0(VALU_DEP_1) | instskip(SKIP_1) | instid1(VALU_DEP_2)
	v_div_scale_f32 v46, null, v45, v45, 1.0
	v_div_scale_f32 v50, vcc_lo, 1.0, v45, 1.0
	v_rcp_f32_e32 v47, v46
	s_delay_alu instid0(TRANS32_DEP_1) | instskip(NEXT) | instid1(VALU_DEP_1)
	v_fma_f32 v49, -v46, v47, 1.0
	v_fmac_f32_e32 v47, v49, v47
	s_delay_alu instid0(VALU_DEP_1) | instskip(NEXT) | instid1(VALU_DEP_1)
	v_mul_f32_e32 v49, v50, v47
	v_fma_f32 v53, -v46, v49, v50
	s_delay_alu instid0(VALU_DEP_1) | instskip(NEXT) | instid1(VALU_DEP_1)
	v_fmac_f32_e32 v49, v53, v47
	v_fma_f32 v46, -v46, v49, v50
	s_wait_alu 0xfffd
	s_delay_alu instid0(VALU_DEP_1) | instskip(NEXT) | instid1(VALU_DEP_1)
	v_div_fmas_f32 v46, v46, v47, v49
	v_div_fixup_f32 v47, v46, v45, 1.0
	s_delay_alu instid0(VALU_DEP_1)
	v_xor_b32_e32 v49, 0x80000000, v47
	v_mul_f32_e64 v48, v48, -v47
.LBB85_17:
	s_wait_alu 0xfffe
	s_or_b32 exec_lo, exec_lo, s1
	scratch_store_b64 v52, v[47:48], off
	scratch_load_b64 v[46:47], off, off offset:8
	v_xor_b32_e32 v50, 0x80000000, v48
	v_add_nc_u32_e32 v45, 0xb0, v51
	s_wait_loadcnt 0x0
	ds_store_2addr_b64 v51, v[49:50], v[46:47] offset1:22
	s_wait_storecnt_dscnt 0x0
	s_barrier_signal -1
	s_barrier_wait -1
	global_inv scope:SCOPE_SE
	s_and_saveexec_b32 s1, s0
	s_cbranch_execz .LBB85_19
; %bb.18:
	scratch_load_b64 v[46:47], v52, off
	ds_load_b64 v[48:49], v45
	v_mov_b32_e32 v50, 0
	ds_load_b64 v[53:54], v50 offset:8
	s_wait_loadcnt_dscnt 0x1
	v_mul_f32_e32 v50, v48, v47
	v_mul_f32_e32 v47, v49, v47
	s_delay_alu instid0(VALU_DEP_2) | instskip(NEXT) | instid1(VALU_DEP_2)
	v_fmac_f32_e32 v50, v49, v46
	v_fma_f32 v46, v48, v46, -v47
	s_delay_alu instid0(VALU_DEP_2) | instskip(NEXT) | instid1(VALU_DEP_2)
	v_add_f32_e32 v48, 0, v50
	v_add_f32_e32 v46, 0, v46
	s_wait_dscnt 0x0
	s_delay_alu instid0(VALU_DEP_2) | instskip(NEXT) | instid1(VALU_DEP_2)
	v_mul_f32_e32 v49, v48, v54
	v_mul_f32_e32 v47, v46, v54
	s_delay_alu instid0(VALU_DEP_2) | instskip(NEXT) | instid1(VALU_DEP_2)
	v_fma_f32 v46, v46, v53, -v49
	v_fmac_f32_e32 v47, v48, v53
	scratch_store_b64 off, v[46:47], off offset:8
.LBB85_19:
	s_wait_alu 0xfffe
	s_or_b32 exec_lo, exec_lo, s1
	s_wait_loadcnt 0x0
	s_wait_storecnt 0x0
	s_barrier_signal -1
	s_barrier_wait -1
	global_inv scope:SCOPE_SE
	scratch_load_b64 v[46:47], off, off offset:16
	s_mov_b32 s1, exec_lo
	s_wait_loadcnt 0x0
	ds_store_b64 v45, v[46:47]
	s_wait_dscnt 0x0
	s_barrier_signal -1
	s_barrier_wait -1
	global_inv scope:SCOPE_SE
	v_cmpx_gt_u32_e32 2, v0
	s_cbranch_execz .LBB85_23
; %bb.20:
	scratch_load_b64 v[46:47], v52, off
	ds_load_b64 v[48:49], v45
	s_wait_loadcnt_dscnt 0x0
	v_mul_f32_e32 v50, v49, v47
	v_mul_f32_e32 v53, v48, v47
	s_delay_alu instid0(VALU_DEP_2) | instskip(NEXT) | instid1(VALU_DEP_2)
	v_fma_f32 v47, v48, v46, -v50
	v_fmac_f32_e32 v53, v49, v46
	s_delay_alu instid0(VALU_DEP_1)
	v_dual_add_f32 v47, 0, v47 :: v_dual_add_f32 v46, 0, v53
	s_and_saveexec_b32 s4, s0
	s_cbranch_execz .LBB85_22
; %bb.21:
	scratch_load_b64 v[48:49], off, off offset:8
	v_mov_b32_e32 v50, 0
	ds_load_b64 v[53:54], v50 offset:184
	s_wait_loadcnt_dscnt 0x0
	v_mul_f32_e32 v50, v53, v49
	v_mul_f32_e32 v49, v54, v49
	s_delay_alu instid0(VALU_DEP_2) | instskip(NEXT) | instid1(VALU_DEP_2)
	v_fmac_f32_e32 v50, v54, v48
	v_fma_f32 v48, v53, v48, -v49
	s_delay_alu instid0(VALU_DEP_1)
	v_dual_add_f32 v46, v46, v50 :: v_dual_add_f32 v47, v47, v48
.LBB85_22:
	s_wait_alu 0xfffe
	s_or_b32 exec_lo, exec_lo, s4
	v_mov_b32_e32 v48, 0
	ds_load_b64 v[48:49], v48 offset:16
	s_wait_dscnt 0x0
	v_mul_f32_e32 v53, v46, v49
	v_mul_f32_e32 v50, v47, v49
	s_delay_alu instid0(VALU_DEP_2) | instskip(NEXT) | instid1(VALU_DEP_2)
	v_fma_f32 v49, v47, v48, -v53
	v_fmac_f32_e32 v50, v46, v48
	scratch_store_b64 off, v[49:50], off offset:16
.LBB85_23:
	s_wait_alu 0xfffe
	s_or_b32 exec_lo, exec_lo, s1
	s_wait_loadcnt 0x0
	s_wait_storecnt 0x0
	s_barrier_signal -1
	s_barrier_wait -1
	global_inv scope:SCOPE_SE
	scratch_load_b64 v[47:48], off, off offset:24
	v_add_nc_u32_e32 v46, -1, v0
	s_mov_b32 s0, exec_lo
	s_wait_loadcnt 0x0
	ds_store_b64 v45, v[47:48]
	s_wait_dscnt 0x0
	s_barrier_signal -1
	s_barrier_wait -1
	global_inv scope:SCOPE_SE
	v_cmpx_gt_u32_e32 3, v0
	s_cbranch_execz .LBB85_27
; %bb.24:
	v_dual_mov_b32 v47, 0 :: v_dual_add_nc_u32 v48, -1, v0
	v_dual_mov_b32 v50, v51 :: v_dual_add_nc_u32 v49, 0xb0, v51
	v_mov_b32_e32 v53, 0
	s_mov_b32 s1, 0
.LBB85_25:                              ; =>This Inner Loop Header: Depth=1
	scratch_load_b64 v[54:55], v50, off
	ds_load_b64 v[56:57], v49
	v_add_nc_u32_e32 v48, 1, v48
	v_add_nc_u32_e32 v49, 8, v49
	s_delay_alu instid0(VALU_DEP_2)
	v_cmp_lt_u32_e32 vcc_lo, 1, v48
	s_wait_alu 0xfffe
	s_or_b32 s1, vcc_lo, s1
	s_wait_loadcnt_dscnt 0x0
	v_mul_f32_e32 v58, v57, v55
	v_mul_f32_e32 v55, v56, v55
	s_delay_alu instid0(VALU_DEP_2) | instskip(NEXT) | instid1(VALU_DEP_2)
	v_fma_f32 v56, v56, v54, -v58
	v_fmac_f32_e32 v55, v57, v54
	s_delay_alu instid0(VALU_DEP_2) | instskip(NEXT) | instid1(VALU_DEP_2)
	v_dual_add_f32 v53, v53, v56 :: v_dual_add_nc_u32 v50, 8, v50
	v_add_f32_e32 v47, v47, v55
	s_wait_alu 0xfffe
	s_and_not1_b32 exec_lo, exec_lo, s1
	s_cbranch_execnz .LBB85_25
; %bb.26:
	s_or_b32 exec_lo, exec_lo, s1
	v_mov_b32_e32 v48, 0
	ds_load_b64 v[48:49], v48 offset:24
	s_wait_dscnt 0x0
	v_mul_f32_e32 v54, v47, v49
	v_mul_f32_e32 v50, v53, v49
	s_delay_alu instid0(VALU_DEP_2) | instskip(NEXT) | instid1(VALU_DEP_2)
	v_fma_f32 v49, v53, v48, -v54
	v_fmac_f32_e32 v50, v47, v48
	scratch_store_b64 off, v[49:50], off offset:24
.LBB85_27:
	s_wait_alu 0xfffe
	s_or_b32 exec_lo, exec_lo, s0
	s_wait_loadcnt 0x0
	s_wait_storecnt 0x0
	s_barrier_signal -1
	s_barrier_wait -1
	global_inv scope:SCOPE_SE
	scratch_load_b64 v[47:48], off, off offset:32
	s_mov_b32 s0, exec_lo
	s_wait_loadcnt 0x0
	ds_store_b64 v45, v[47:48]
	s_wait_dscnt 0x0
	s_barrier_signal -1
	s_barrier_wait -1
	global_inv scope:SCOPE_SE
	v_cmpx_gt_u32_e32 4, v0
	s_cbranch_execz .LBB85_31
; %bb.28:
	v_dual_mov_b32 v47, 0 :: v_dual_add_nc_u32 v48, -1, v0
	v_dual_mov_b32 v50, v51 :: v_dual_add_nc_u32 v49, 0xb0, v51
	v_mov_b32_e32 v53, 0
	s_mov_b32 s1, 0
.LBB85_29:                              ; =>This Inner Loop Header: Depth=1
	scratch_load_b64 v[54:55], v50, off
	ds_load_b64 v[56:57], v49
	v_add_nc_u32_e32 v48, 1, v48
	v_add_nc_u32_e32 v49, 8, v49
	s_delay_alu instid0(VALU_DEP_2)
	v_cmp_lt_u32_e32 vcc_lo, 2, v48
	s_wait_alu 0xfffe
	s_or_b32 s1, vcc_lo, s1
	s_wait_loadcnt_dscnt 0x0
	v_mul_f32_e32 v58, v57, v55
	v_mul_f32_e32 v55, v56, v55
	s_delay_alu instid0(VALU_DEP_2) | instskip(NEXT) | instid1(VALU_DEP_2)
	v_fma_f32 v56, v56, v54, -v58
	v_fmac_f32_e32 v55, v57, v54
	s_delay_alu instid0(VALU_DEP_2) | instskip(NEXT) | instid1(VALU_DEP_2)
	v_dual_add_f32 v53, v53, v56 :: v_dual_add_nc_u32 v50, 8, v50
	v_add_f32_e32 v47, v47, v55
	s_wait_alu 0xfffe
	s_and_not1_b32 exec_lo, exec_lo, s1
	s_cbranch_execnz .LBB85_29
; %bb.30:
	s_or_b32 exec_lo, exec_lo, s1
	v_mov_b32_e32 v48, 0
	ds_load_b64 v[48:49], v48 offset:32
	s_wait_dscnt 0x0
	v_mul_f32_e32 v54, v47, v49
	v_mul_f32_e32 v50, v53, v49
	s_delay_alu instid0(VALU_DEP_2) | instskip(NEXT) | instid1(VALU_DEP_2)
	v_fma_f32 v49, v53, v48, -v54
	v_fmac_f32_e32 v50, v47, v48
	scratch_store_b64 off, v[49:50], off offset:32
.LBB85_31:
	s_wait_alu 0xfffe
	s_or_b32 exec_lo, exec_lo, s0
	s_wait_loadcnt 0x0
	s_wait_storecnt 0x0
	s_barrier_signal -1
	s_barrier_wait -1
	global_inv scope:SCOPE_SE
	scratch_load_b64 v[47:48], off, off offset:40
	;; [unrolled: 55-line block ×17, first 2 shown]
	s_mov_b32 s0, exec_lo
	s_wait_loadcnt 0x0
	ds_store_b64 v45, v[47:48]
	s_wait_dscnt 0x0
	s_barrier_signal -1
	s_barrier_wait -1
	global_inv scope:SCOPE_SE
	v_cmpx_gt_u32_e32 20, v0
	s_cbranch_execz .LBB85_95
; %bb.92:
	v_dual_mov_b32 v47, 0 :: v_dual_add_nc_u32 v48, -1, v0
	v_dual_mov_b32 v50, v51 :: v_dual_add_nc_u32 v49, 0xb0, v51
	v_mov_b32_e32 v51, 0
	s_mov_b32 s1, 0
.LBB85_93:                              ; =>This Inner Loop Header: Depth=1
	scratch_load_b64 v[53:54], v50, off
	ds_load_b64 v[55:56], v49
	v_add_nc_u32_e32 v50, 8, v50
	v_add_nc_u32_e32 v48, 1, v48
	;; [unrolled: 1-line block ×3, first 2 shown]
	s_delay_alu instid0(VALU_DEP_2)
	v_cmp_lt_u32_e32 vcc_lo, 18, v48
	s_wait_alu 0xfffe
	s_or_b32 s1, vcc_lo, s1
	s_wait_loadcnt_dscnt 0x0
	v_mul_f32_e32 v57, v56, v54
	v_mul_f32_e32 v54, v55, v54
	s_delay_alu instid0(VALU_DEP_2) | instskip(NEXT) | instid1(VALU_DEP_1)
	v_fma_f32 v55, v55, v53, -v57
	v_dual_fmac_f32 v54, v56, v53 :: v_dual_add_f32 v51, v51, v55
	s_delay_alu instid0(VALU_DEP_1)
	v_add_f32_e32 v47, v47, v54
	s_wait_alu 0xfffe
	s_and_not1_b32 exec_lo, exec_lo, s1
	s_cbranch_execnz .LBB85_93
; %bb.94:
	s_or_b32 exec_lo, exec_lo, s1
	v_mov_b32_e32 v48, 0
	ds_load_b64 v[48:49], v48 offset:160
	s_wait_dscnt 0x0
	v_mul_f32_e32 v53, v47, v49
	v_mul_f32_e32 v50, v51, v49
	s_delay_alu instid0(VALU_DEP_2) | instskip(NEXT) | instid1(VALU_DEP_2)
	v_fma_f32 v49, v51, v48, -v53
	v_fmac_f32_e32 v50, v47, v48
	scratch_store_b64 off, v[49:50], off offset:160
.LBB85_95:
	s_wait_alu 0xfffe
	s_or_b32 exec_lo, exec_lo, s0
	s_wait_loadcnt 0x0
	s_wait_storecnt 0x0
	s_barrier_signal -1
	s_barrier_wait -1
	global_inv scope:SCOPE_SE
	scratch_load_b64 v[47:48], off, off offset:168
	s_mov_b32 s0, exec_lo
	s_wait_loadcnt 0x0
	ds_store_b64 v45, v[47:48]
	s_wait_dscnt 0x0
	s_barrier_signal -1
	s_barrier_wait -1
	global_inv scope:SCOPE_SE
	v_cmpx_ne_u32_e32 21, v0
	s_cbranch_execz .LBB85_99
; %bb.96:
	v_dual_mov_b32 v47, 0 :: v_dual_mov_b32 v48, 0
	s_mov_b32 s1, 0
.LBB85_97:                              ; =>This Inner Loop Header: Depth=1
	scratch_load_b64 v[49:50], v52, off
	ds_load_b64 v[53:54], v45
	v_add_nc_u32_e32 v46, 1, v46
	v_add_nc_u32_e32 v45, 8, v45
	;; [unrolled: 1-line block ×3, first 2 shown]
	s_delay_alu instid0(VALU_DEP_3)
	v_cmp_lt_u32_e32 vcc_lo, 19, v46
	s_wait_alu 0xfffe
	s_or_b32 s1, vcc_lo, s1
	s_wait_loadcnt_dscnt 0x0
	v_mul_f32_e32 v51, v54, v50
	v_mul_f32_e32 v50, v53, v50
	s_delay_alu instid0(VALU_DEP_2) | instskip(NEXT) | instid1(VALU_DEP_2)
	v_fma_f32 v51, v53, v49, -v51
	v_fmac_f32_e32 v50, v54, v49
	s_delay_alu instid0(VALU_DEP_1)
	v_dual_add_f32 v48, v48, v51 :: v_dual_add_f32 v47, v47, v50
	s_wait_alu 0xfffe
	s_and_not1_b32 exec_lo, exec_lo, s1
	s_cbranch_execnz .LBB85_97
; %bb.98:
	s_or_b32 exec_lo, exec_lo, s1
	v_mov_b32_e32 v45, 0
	ds_load_b64 v[45:46], v45 offset:168
	s_wait_dscnt 0x0
	v_mul_f32_e32 v50, v47, v46
	v_mul_f32_e32 v49, v48, v46
	s_delay_alu instid0(VALU_DEP_2) | instskip(NEXT) | instid1(VALU_DEP_2)
	v_fma_f32 v48, v48, v45, -v50
	v_fmac_f32_e32 v49, v47, v45
	scratch_store_b64 off, v[48:49], off offset:168
.LBB85_99:
	s_wait_alu 0xfffe
	s_or_b32 exec_lo, exec_lo, s0
	s_mov_b32 s1, -1
	s_wait_loadcnt 0x0
	s_wait_storecnt 0x0
	s_barrier_signal -1
	s_barrier_wait -1
	global_inv scope:SCOPE_SE
.LBB85_100:
	s_wait_alu 0xfffe
	s_and_b32 vcc_lo, exec_lo, s1
	s_wait_alu 0xfffe
	s_cbranch_vccz .LBB85_102
; %bb.101:
	v_mov_b32_e32 v45, 0
	s_lshl_b64 s[0:1], s[8:9], 2
	s_wait_alu 0xfffe
	s_add_nc_u64 s[0:1], s[6:7], s[0:1]
	global_load_b32 v45, v45, s[0:1]
	s_wait_loadcnt 0x0
	v_cmp_ne_u32_e32 vcc_lo, 0, v45
	s_cbranch_vccz .LBB85_103
.LBB85_102:
	s_nop 0
	s_sendmsg sendmsg(MSG_DEALLOC_VGPRS)
	s_endpgm
.LBB85_103:
	v_lshl_add_u32 v47, v0, 3, 0xb0
	s_mov_b32 s0, exec_lo
	v_cmpx_eq_u32_e32 21, v0
	s_cbranch_execz .LBB85_105
; %bb.104:
	scratch_load_b64 v[45:46], off, off offset:160
	v_mov_b32_e32 v48, 0
	s_delay_alu instid0(VALU_DEP_1)
	v_mov_b32_e32 v49, v48
	scratch_store_b64 off, v[48:49], off offset:160
	s_wait_loadcnt 0x0
	ds_store_b64 v47, v[45:46]
.LBB85_105:
	s_wait_alu 0xfffe
	s_or_b32 exec_lo, exec_lo, s0
	s_wait_storecnt_dscnt 0x0
	s_barrier_signal -1
	s_barrier_wait -1
	global_inv scope:SCOPE_SE
	s_clause 0x1
	scratch_load_b64 v[48:49], off, off offset:168
	scratch_load_b64 v[50:51], off, off offset:160
	v_mov_b32_e32 v45, 0
	s_mov_b32 s0, exec_lo
	ds_load_b64 v[52:53], v45 offset:344
	s_wait_loadcnt_dscnt 0x100
	v_mul_f32_e32 v46, v53, v49
	s_delay_alu instid0(VALU_DEP_1) | instskip(NEXT) | instid1(VALU_DEP_1)
	v_fma_f32 v46, v52, v48, -v46
	v_dual_mul_f32 v49, v52, v49 :: v_dual_add_f32 v46, 0, v46
	s_wait_loadcnt 0x0
	s_delay_alu instid0(VALU_DEP_1) | instskip(NEXT) | instid1(VALU_DEP_1)
	v_dual_fmac_f32 v49, v53, v48 :: v_dual_sub_f32 v48, v50, v46
	v_add_f32_e32 v49, 0, v49
	s_delay_alu instid0(VALU_DEP_1)
	v_sub_f32_e32 v49, v51, v49
	scratch_store_b64 off, v[48:49], off offset:160
	v_cmpx_lt_u32_e32 19, v0
	s_cbranch_execz .LBB85_107
; %bb.106:
	scratch_load_b64 v[48:49], off, off offset:152
	v_mov_b32_e32 v46, v45
	scratch_store_b64 off, v[45:46], off offset:152
	s_wait_loadcnt 0x0
	ds_store_b64 v47, v[48:49]
.LBB85_107:
	s_wait_alu 0xfffe
	s_or_b32 exec_lo, exec_lo, s0
	s_wait_storecnt_dscnt 0x0
	s_barrier_signal -1
	s_barrier_wait -1
	global_inv scope:SCOPE_SE
	s_clause 0x1
	scratch_load_b128 v[48:51], off, off offset:160
	scratch_load_b64 v[56:57], off, off offset:152
	ds_load_b128 v[52:55], v45 offset:336
	s_mov_b32 s0, exec_lo
	s_wait_loadcnt_dscnt 0x100
	v_mul_f32_e32 v46, v52, v49
	s_delay_alu instid0(VALU_DEP_1) | instskip(SKIP_2) | instid1(VALU_DEP_1)
	v_fmac_f32_e32 v46, v53, v48
	v_mul_f32_e32 v45, v53, v49
	v_mul_f32_e32 v49, v54, v51
	v_fmac_f32_e32 v49, v55, v50
	s_delay_alu instid0(VALU_DEP_4) | instskip(NEXT) | instid1(VALU_DEP_4)
	v_dual_add_f32 v46, 0, v46 :: v_dual_mul_f32 v51, v55, v51
	v_fma_f32 v45, v52, v48, -v45
	s_delay_alu instid0(VALU_DEP_2) | instskip(NEXT) | instid1(VALU_DEP_3)
	v_add_f32_e32 v46, v46, v49
	v_fma_f32 v48, v54, v50, -v51
	s_wait_loadcnt 0x0
	s_delay_alu instid0(VALU_DEP_2) | instskip(NEXT) | instid1(VALU_DEP_1)
	v_dual_add_f32 v45, 0, v45 :: v_dual_sub_f32 v46, v57, v46
	v_add_f32_e32 v45, v45, v48
	s_delay_alu instid0(VALU_DEP_1)
	v_sub_f32_e32 v45, v56, v45
	scratch_store_b64 off, v[45:46], off offset:152
	v_cmpx_lt_u32_e32 18, v0
	s_cbranch_execz .LBB85_109
; %bb.108:
	scratch_load_b64 v[45:46], off, off offset:144
	v_mov_b32_e32 v48, 0
	s_delay_alu instid0(VALU_DEP_1)
	v_mov_b32_e32 v49, v48
	scratch_store_b64 off, v[48:49], off offset:144
	s_wait_loadcnt 0x0
	ds_store_b64 v47, v[45:46]
.LBB85_109:
	s_wait_alu 0xfffe
	s_or_b32 exec_lo, exec_lo, s0
	s_wait_storecnt_dscnt 0x0
	s_barrier_signal -1
	s_barrier_wait -1
	global_inv scope:SCOPE_SE
	s_clause 0x2
	scratch_load_b128 v[48:51], off, off offset:152
	scratch_load_b64 v[56:57], off, off offset:168
	scratch_load_b64 v[58:59], off, off offset:144
	v_mov_b32_e32 v45, 0
	ds_load_2addr_b64 v[52:55], v45 offset0:41 offset1:42
	ds_load_b64 v[60:61], v45 offset:344
	s_mov_b32 s0, exec_lo
	s_wait_loadcnt_dscnt 0x201
	v_mul_f32_e32 v46, v53, v49
	v_dual_mul_f32 v49, v52, v49 :: v_dual_mul_f32 v62, v54, v51
	v_mul_f32_e32 v51, v55, v51
	s_wait_loadcnt_dscnt 0x100
	v_mul_f32_e32 v63, v60, v57
	v_fma_f32 v46, v52, v48, -v46
	v_fmac_f32_e32 v49, v53, v48
	v_mul_f32_e32 v48, v61, v57
	v_fmac_f32_e32 v62, v55, v50
	v_fma_f32 v50, v54, v50, -v51
	s_delay_alu instid0(VALU_DEP_4) | instskip(NEXT) | instid1(VALU_DEP_4)
	v_dual_add_f32 v46, 0, v46 :: v_dual_add_f32 v49, 0, v49
	v_fma_f32 v48, v60, v56, -v48
	s_delay_alu instid0(VALU_DEP_2) | instskip(NEXT) | instid1(VALU_DEP_1)
	v_add_f32_e32 v46, v46, v50
	v_dual_add_f32 v49, v49, v62 :: v_dual_add_f32 v46, v46, v48
	s_wait_loadcnt 0x0
	s_delay_alu instid0(VALU_DEP_1) | instskip(NEXT) | instid1(VALU_DEP_1)
	v_dual_fmac_f32 v63, v61, v56 :: v_dual_sub_f32 v48, v58, v46
	v_add_f32_e32 v49, v49, v63
	s_delay_alu instid0(VALU_DEP_1)
	v_sub_f32_e32 v49, v59, v49
	scratch_store_b64 off, v[48:49], off offset:144
	v_cmpx_lt_u32_e32 17, v0
	s_cbranch_execz .LBB85_111
; %bb.110:
	scratch_load_b64 v[48:49], off, off offset:136
	v_mov_b32_e32 v46, v45
	scratch_store_b64 off, v[45:46], off offset:136
	s_wait_loadcnt 0x0
	ds_store_b64 v47, v[48:49]
.LBB85_111:
	s_wait_alu 0xfffe
	s_or_b32 exec_lo, exec_lo, s0
	s_wait_storecnt_dscnt 0x0
	s_barrier_signal -1
	s_barrier_wait -1
	global_inv scope:SCOPE_SE
	s_clause 0x2
	scratch_load_b128 v[48:51], off, off offset:144
	scratch_load_b128 v[52:55], off, off offset:160
	scratch_load_b64 v[64:65], off, off offset:136
	ds_load_b128 v[56:59], v45 offset:320
	ds_load_b128 v[60:63], v45 offset:336
	s_mov_b32 s0, exec_lo
	s_wait_loadcnt_dscnt 0x201
	v_mul_f32_e32 v46, v57, v49
	s_wait_loadcnt_dscnt 0x100
	v_dual_mul_f32 v66, v60, v53 :: v_dual_mul_f32 v67, v62, v55
	s_delay_alu instid0(VALU_DEP_2) | instskip(SKIP_2) | instid1(VALU_DEP_4)
	v_fma_f32 v46, v56, v48, -v46
	v_mul_f32_e32 v45, v56, v49
	v_mul_f32_e32 v49, v58, v51
	v_dual_mul_f32 v51, v59, v51 :: v_dual_fmac_f32 v66, v61, v52
	s_delay_alu instid0(VALU_DEP_3) | instskip(NEXT) | instid1(VALU_DEP_3)
	v_dual_add_f32 v46, 0, v46 :: v_dual_fmac_f32 v45, v57, v48
	v_dual_mul_f32 v48, v61, v53 :: v_dual_fmac_f32 v49, v59, v50
	s_delay_alu instid0(VALU_DEP_3) | instskip(SKIP_1) | instid1(VALU_DEP_3)
	v_fma_f32 v50, v58, v50, -v51
	v_fmac_f32_e32 v67, v63, v54
	v_fma_f32 v48, v60, v52, -v48
	s_delay_alu instid0(VALU_DEP_3) | instskip(NEXT) | instid1(VALU_DEP_1)
	v_dual_add_f32 v46, v46, v50 :: v_dual_add_f32 v45, 0, v45
	v_dual_add_f32 v46, v46, v48 :: v_dual_mul_f32 v51, v63, v55
	s_delay_alu instid0(VALU_DEP_2) | instskip(NEXT) | instid1(VALU_DEP_2)
	v_add_f32_e32 v45, v45, v49
	v_fma_f32 v49, v62, v54, -v51
	s_delay_alu instid0(VALU_DEP_1) | instskip(SKIP_1) | instid1(VALU_DEP_1)
	v_dual_add_f32 v45, v45, v66 :: v_dual_add_f32 v46, v46, v49
	s_wait_loadcnt 0x0
	v_dual_add_f32 v48, v45, v67 :: v_dual_sub_f32 v45, v64, v46
	s_delay_alu instid0(VALU_DEP_1)
	v_sub_f32_e32 v46, v65, v48
	scratch_store_b64 off, v[45:46], off offset:136
	v_cmpx_lt_u32_e32 16, v0
	s_cbranch_execz .LBB85_113
; %bb.112:
	scratch_load_b64 v[45:46], off, off offset:128
	v_mov_b32_e32 v48, 0
	s_delay_alu instid0(VALU_DEP_1)
	v_mov_b32_e32 v49, v48
	scratch_store_b64 off, v[48:49], off offset:128
	s_wait_loadcnt 0x0
	ds_store_b64 v47, v[45:46]
.LBB85_113:
	s_wait_alu 0xfffe
	s_or_b32 exec_lo, exec_lo, s0
	s_wait_storecnt_dscnt 0x0
	s_barrier_signal -1
	s_barrier_wait -1
	global_inv scope:SCOPE_SE
	s_clause 0x3
	scratch_load_b128 v[48:51], off, off offset:136
	scratch_load_b128 v[52:55], off, off offset:152
	scratch_load_b64 v[64:65], off, off offset:168
	scratch_load_b64 v[66:67], off, off offset:128
	v_mov_b32_e32 v45, 0
	ds_load_2addr_b64 v[56:59], v45 offset0:39 offset1:40
	ds_load_2addr_b64 v[60:63], v45 offset0:41 offset1:42
	ds_load_b64 v[68:69], v45 offset:344
	s_mov_b32 s0, exec_lo
	s_wait_loadcnt_dscnt 0x302
	v_mul_f32_e32 v46, v56, v49
	v_dual_mul_f32 v70, v58, v51 :: v_dual_mul_f32 v49, v57, v49
	s_wait_loadcnt_dscnt 0x100
	v_mul_f32_e32 v73, v68, v65
	v_dual_mul_f32 v71, v60, v53 :: v_dual_mul_f32 v72, v62, v55
	v_dual_fmac_f32 v46, v57, v48 :: v_dual_mul_f32 v51, v59, v51
	v_fma_f32 v49, v56, v48, -v49
	v_fmac_f32_e32 v70, v59, v50
	v_mul_f32_e32 v48, v61, v53
	s_delay_alu instid0(VALU_DEP_4) | instskip(SKIP_3) | instid1(VALU_DEP_4)
	v_add_f32_e32 v46, 0, v46
	v_fma_f32 v50, v58, v50, -v51
	v_add_f32_e32 v49, 0, v49
	v_mul_f32_e32 v51, v63, v55
	v_dual_fmac_f32 v71, v61, v52 :: v_dual_add_f32 v46, v46, v70
	v_dual_fmac_f32 v72, v63, v54 :: v_dual_fmac_f32 v73, v69, v64
	s_delay_alu instid0(VALU_DEP_4) | instskip(SKIP_1) | instid1(VALU_DEP_4)
	v_add_f32_e32 v49, v49, v50
	v_fma_f32 v48, v60, v52, -v48
	v_add_f32_e32 v46, v46, v71
	v_fma_f32 v51, v62, v54, -v51
	s_delay_alu instid0(VALU_DEP_3) | instskip(NEXT) | instid1(VALU_DEP_3)
	v_add_f32_e32 v48, v49, v48
	v_add_f32_e32 v46, v46, v72
	s_delay_alu instid0(VALU_DEP_2) | instskip(NEXT) | instid1(VALU_DEP_2)
	v_add_f32_e32 v48, v48, v51
	v_add_f32_e32 v46, v46, v73
	v_mul_f32_e32 v50, v69, v65
	s_delay_alu instid0(VALU_DEP_1) | instskip(SKIP_1) | instid1(VALU_DEP_1)
	v_fma_f32 v49, v68, v64, -v50
	s_wait_loadcnt 0x0
	v_dual_add_f32 v48, v48, v49 :: v_dual_sub_f32 v49, v67, v46
	s_delay_alu instid0(VALU_DEP_1)
	v_sub_f32_e32 v48, v66, v48
	scratch_store_b64 off, v[48:49], off offset:128
	v_cmpx_lt_u32_e32 15, v0
	s_cbranch_execz .LBB85_115
; %bb.114:
	scratch_load_b64 v[48:49], off, off offset:120
	v_mov_b32_e32 v46, v45
	scratch_store_b64 off, v[45:46], off offset:120
	s_wait_loadcnt 0x0
	ds_store_b64 v47, v[48:49]
.LBB85_115:
	s_wait_alu 0xfffe
	s_or_b32 exec_lo, exec_lo, s0
	s_wait_storecnt_dscnt 0x0
	s_barrier_signal -1
	s_barrier_wait -1
	global_inv scope:SCOPE_SE
	s_clause 0x3
	scratch_load_b128 v[48:51], off, off offset:128
	scratch_load_b128 v[52:55], off, off offset:144
	;; [unrolled: 1-line block ×3, first 2 shown]
	scratch_load_b64 v[72:73], off, off offset:120
	ds_load_b128 v[60:63], v45 offset:304
	ds_load_b128 v[64:67], v45 offset:320
	;; [unrolled: 1-line block ×3, first 2 shown]
	s_mov_b32 s0, exec_lo
	s_wait_loadcnt_dscnt 0x302
	v_dual_mul_f32 v45, v60, v49 :: v_dual_mul_f32 v46, v62, v51
	v_mul_f32_e32 v49, v61, v49
	s_wait_loadcnt_dscnt 0x201
	v_dual_mul_f32 v51, v63, v51 :: v_dual_mul_f32 v74, v64, v53
	s_delay_alu instid0(VALU_DEP_3) | instskip(NEXT) | instid1(VALU_DEP_3)
	v_dual_mul_f32 v75, v66, v55 :: v_dual_fmac_f32 v46, v63, v50
	v_fma_f32 v49, v60, v48, -v49
	v_fmac_f32_e32 v45, v61, v48
	v_mul_f32_e32 v48, v65, v53
	v_fma_f32 v50, v62, v50, -v51
	v_mul_f32_e32 v51, v67, v55
	v_dual_add_f32 v49, 0, v49 :: v_dual_fmac_f32 v74, v65, v52
	s_delay_alu instid0(VALU_DEP_4) | instskip(SKIP_2) | instid1(VALU_DEP_3)
	v_fma_f32 v48, v64, v52, -v48
	s_wait_loadcnt_dscnt 0x100
	v_dual_mul_f32 v76, v68, v57 :: v_dual_mul_f32 v77, v70, v59
	v_add_f32_e32 v49, v49, v50
	v_fmac_f32_e32 v75, v67, v54
	v_fma_f32 v50, v66, v54, -v51
	s_delay_alu instid0(VALU_DEP_4) | instskip(NEXT) | instid1(VALU_DEP_4)
	v_dual_fmac_f32 v76, v69, v56 :: v_dual_fmac_f32 v77, v71, v58
	v_add_f32_e32 v48, v49, v48
	s_delay_alu instid0(VALU_DEP_1) | instskip(SKIP_1) | instid1(VALU_DEP_1)
	v_dual_add_f32 v48, v48, v50 :: v_dual_add_f32 v45, 0, v45
	v_mul_f32_e32 v49, v71, v59
	v_fma_f32 v49, v70, v58, -v49
	s_delay_alu instid0(VALU_DEP_3) | instskip(SKIP_1) | instid1(VALU_DEP_1)
	v_add_f32_e32 v45, v45, v46
	v_mul_f32_e32 v46, v69, v57
	v_fma_f32 v46, v68, v56, -v46
	s_delay_alu instid0(VALU_DEP_1) | instskip(NEXT) | instid1(VALU_DEP_1)
	v_add_f32_e32 v46, v48, v46
	v_dual_add_f32 v46, v46, v49 :: v_dual_add_f32 v45, v45, v74
	s_delay_alu instid0(VALU_DEP_1) | instskip(NEXT) | instid1(VALU_DEP_1)
	v_add_f32_e32 v45, v45, v75
	v_add_f32_e32 v45, v45, v76
	s_wait_loadcnt 0x0
	s_delay_alu instid0(VALU_DEP_1) | instskip(NEXT) | instid1(VALU_DEP_1)
	v_dual_add_f32 v48, v45, v77 :: v_dual_sub_f32 v45, v72, v46
	v_sub_f32_e32 v46, v73, v48
	scratch_store_b64 off, v[45:46], off offset:120
	v_cmpx_lt_u32_e32 14, v0
	s_cbranch_execz .LBB85_117
; %bb.116:
	scratch_load_b64 v[45:46], off, off offset:112
	v_mov_b32_e32 v48, 0
	s_delay_alu instid0(VALU_DEP_1)
	v_mov_b32_e32 v49, v48
	scratch_store_b64 off, v[48:49], off offset:112
	s_wait_loadcnt 0x0
	ds_store_b64 v47, v[45:46]
.LBB85_117:
	s_wait_alu 0xfffe
	s_or_b32 exec_lo, exec_lo, s0
	s_wait_storecnt_dscnt 0x0
	s_barrier_signal -1
	s_barrier_wait -1
	global_inv scope:SCOPE_SE
	s_clause 0x4
	scratch_load_b128 v[48:51], off, off offset:120
	scratch_load_b128 v[52:55], off, off offset:136
	;; [unrolled: 1-line block ×3, first 2 shown]
	scratch_load_b64 v[72:73], off, off offset:168
	scratch_load_b64 v[74:75], off, off offset:112
	v_mov_b32_e32 v45, 0
	ds_load_2addr_b64 v[60:63], v45 offset0:37 offset1:38
	ds_load_2addr_b64 v[64:67], v45 offset0:39 offset1:40
	;; [unrolled: 1-line block ×3, first 2 shown]
	ds_load_b64 v[76:77], v45 offset:344
	s_mov_b32 s0, exec_lo
	s_wait_loadcnt_dscnt 0x403
	v_mul_f32_e32 v46, v60, v49
	s_wait_loadcnt_dscnt 0x302
	v_dual_mul_f32 v78, v62, v51 :: v_dual_mul_f32 v79, v64, v53
	v_dual_mul_f32 v80, v66, v55 :: v_dual_mul_f32 v49, v61, v49
	s_wait_loadcnt_dscnt 0x100
	v_dual_mul_f32 v83, v76, v73 :: v_dual_fmac_f32 v46, v61, v48
	v_mul_f32_e32 v51, v63, v51
	v_dual_mul_f32 v81, v68, v57 :: v_dual_mul_f32 v82, v70, v59
	v_fma_f32 v49, v60, v48, -v49
	v_fmac_f32_e32 v78, v63, v50
	v_add_f32_e32 v46, 0, v46
	v_mul_f32_e32 v48, v65, v53
	v_fma_f32 v50, v62, v50, -v51
	v_add_f32_e32 v49, 0, v49
	v_mul_f32_e32 v51, v67, v55
	v_dual_fmac_f32 v79, v65, v52 :: v_dual_add_f32 v46, v46, v78
	v_dual_fmac_f32 v80, v67, v54 :: v_dual_fmac_f32 v81, v69, v56
	s_delay_alu instid0(VALU_DEP_4) | instskip(SKIP_1) | instid1(VALU_DEP_4)
	v_add_f32_e32 v49, v49, v50
	v_dual_fmac_f32 v82, v71, v58 :: v_dual_fmac_f32 v83, v77, v72
	v_add_f32_e32 v46, v46, v79
	v_fma_f32 v48, v64, v52, -v48
	v_mul_f32_e32 v50, v69, v57
	v_fma_f32 v51, v66, v54, -v51
	s_delay_alu instid0(VALU_DEP_4) | instskip(NEXT) | instid1(VALU_DEP_1)
	v_add_f32_e32 v46, v46, v80
	v_add_f32_e32 v46, v46, v81
	s_delay_alu instid0(VALU_DEP_1) | instskip(NEXT) | instid1(VALU_DEP_1)
	v_add_f32_e32 v46, v46, v82
	v_add_f32_e32 v46, v46, v83
	v_dual_add_f32 v48, v49, v48 :: v_dual_mul_f32 v49, v71, v59
	v_fma_f32 v50, v68, v56, -v50
	s_delay_alu instid0(VALU_DEP_2) | instskip(NEXT) | instid1(VALU_DEP_3)
	v_dual_add_f32 v48, v48, v51 :: v_dual_mul_f32 v51, v77, v73
	v_fma_f32 v49, v70, v58, -v49
	s_delay_alu instid0(VALU_DEP_2) | instskip(NEXT) | instid1(VALU_DEP_3)
	v_add_f32_e32 v48, v48, v50
	v_fma_f32 v50, v76, v72, -v51
	s_wait_loadcnt 0x0
	s_delay_alu instid0(VALU_DEP_2) | instskip(NEXT) | instid1(VALU_DEP_1)
	v_dual_add_f32 v48, v48, v49 :: v_dual_sub_f32 v49, v75, v46
	v_add_f32_e32 v48, v48, v50
	s_delay_alu instid0(VALU_DEP_1)
	v_sub_f32_e32 v48, v74, v48
	scratch_store_b64 off, v[48:49], off offset:112
	v_cmpx_lt_u32_e32 13, v0
	s_cbranch_execz .LBB85_119
; %bb.118:
	scratch_load_b64 v[48:49], off, off offset:104
	v_mov_b32_e32 v46, v45
	scratch_store_b64 off, v[45:46], off offset:104
	s_wait_loadcnt 0x0
	ds_store_b64 v47, v[48:49]
.LBB85_119:
	s_wait_alu 0xfffe
	s_or_b32 exec_lo, exec_lo, s0
	s_wait_storecnt_dscnt 0x0
	s_barrier_signal -1
	s_barrier_wait -1
	global_inv scope:SCOPE_SE
	s_clause 0x4
	scratch_load_b128 v[48:51], off, off offset:112
	scratch_load_b128 v[52:55], off, off offset:128
	;; [unrolled: 1-line block ×4, first 2 shown]
	scratch_load_b64 v[80:81], off, off offset:104
	ds_load_b128 v[64:67], v45 offset:288
	ds_load_b128 v[68:71], v45 offset:304
	;; [unrolled: 1-line block ×4, first 2 shown]
	s_mov_b32 s0, exec_lo
	s_wait_loadcnt_dscnt 0x403
	v_dual_mul_f32 v45, v64, v49 :: v_dual_mul_f32 v46, v66, v51
	v_mul_f32_e32 v49, v65, v49
	s_wait_loadcnt_dscnt 0x302
	v_dual_mul_f32 v51, v67, v51 :: v_dual_mul_f32 v82, v68, v53
	s_delay_alu instid0(VALU_DEP_3) | instskip(NEXT) | instid1(VALU_DEP_3)
	v_dual_mul_f32 v83, v70, v55 :: v_dual_fmac_f32 v46, v67, v50
	v_fma_f32 v49, v64, v48, -v49
	v_fmac_f32_e32 v45, v65, v48
	v_mul_f32_e32 v48, v69, v53
	v_fma_f32 v50, v66, v50, -v51
	v_mul_f32_e32 v51, v71, v55
	v_dual_add_f32 v49, 0, v49 :: v_dual_fmac_f32 v82, v69, v52
	s_delay_alu instid0(VALU_DEP_4) | instskip(SKIP_2) | instid1(VALU_DEP_3)
	v_fma_f32 v48, v68, v52, -v48
	s_wait_loadcnt_dscnt 0x201
	v_dual_mul_f32 v84, v72, v57 :: v_dual_mul_f32 v85, v74, v59
	v_add_f32_e32 v49, v49, v50
	v_fmac_f32_e32 v83, v71, v54
	v_fma_f32 v50, v70, v54, -v51
	s_wait_loadcnt_dscnt 0x100
	v_dual_mul_f32 v86, v76, v61 :: v_dual_mul_f32 v87, v78, v63
	v_dual_add_f32 v48, v49, v48 :: v_dual_mul_f32 v49, v75, v59
	v_dual_fmac_f32 v84, v73, v56 :: v_dual_fmac_f32 v85, v75, v58
	s_delay_alu instid0(VALU_DEP_3) | instskip(NEXT) | instid1(VALU_DEP_3)
	v_fmac_f32_e32 v86, v77, v60
	v_dual_add_f32 v48, v48, v50 :: v_dual_add_f32 v45, 0, v45
	v_mul_f32_e32 v50, v77, v61
	v_fma_f32 v49, v74, v58, -v49
	v_fmac_f32_e32 v87, v79, v62
	s_delay_alu instid0(VALU_DEP_4) | instskip(SKIP_2) | instid1(VALU_DEP_2)
	v_add_f32_e32 v45, v45, v46
	v_mul_f32_e32 v46, v73, v57
	v_fma_f32 v50, v76, v60, -v50
	v_fma_f32 v46, v72, v56, -v46
	s_delay_alu instid0(VALU_DEP_1) | instskip(SKIP_1) | instid1(VALU_DEP_2)
	v_add_f32_e32 v46, v48, v46
	v_mul_f32_e32 v48, v79, v63
	v_add_f32_e32 v46, v46, v49
	s_delay_alu instid0(VALU_DEP_2) | instskip(NEXT) | instid1(VALU_DEP_2)
	v_fma_f32 v48, v78, v62, -v48
	v_add_f32_e32 v46, v46, v50
	s_delay_alu instid0(VALU_DEP_1) | instskip(NEXT) | instid1(VALU_DEP_1)
	v_dual_add_f32 v45, v45, v82 :: v_dual_add_f32 v46, v46, v48
	v_add_f32_e32 v45, v45, v83
	s_delay_alu instid0(VALU_DEP_1) | instskip(NEXT) | instid1(VALU_DEP_1)
	v_add_f32_e32 v45, v45, v84
	v_add_f32_e32 v45, v45, v85
	s_delay_alu instid0(VALU_DEP_1) | instskip(SKIP_1) | instid1(VALU_DEP_1)
	v_add_f32_e32 v45, v45, v86
	s_wait_loadcnt 0x0
	v_dual_add_f32 v48, v45, v87 :: v_dual_sub_f32 v45, v80, v46
	s_delay_alu instid0(VALU_DEP_1)
	v_sub_f32_e32 v46, v81, v48
	scratch_store_b64 off, v[45:46], off offset:104
	v_cmpx_lt_u32_e32 12, v0
	s_cbranch_execz .LBB85_121
; %bb.120:
	scratch_load_b64 v[45:46], off, off offset:96
	v_mov_b32_e32 v48, 0
	s_delay_alu instid0(VALU_DEP_1)
	v_mov_b32_e32 v49, v48
	scratch_store_b64 off, v[48:49], off offset:96
	s_wait_loadcnt 0x0
	ds_store_b64 v47, v[45:46]
.LBB85_121:
	s_wait_alu 0xfffe
	s_or_b32 exec_lo, exec_lo, s0
	s_wait_storecnt_dscnt 0x0
	s_barrier_signal -1
	s_barrier_wait -1
	global_inv scope:SCOPE_SE
	s_clause 0x5
	scratch_load_b128 v[48:51], off, off offset:104
	scratch_load_b128 v[52:55], off, off offset:120
	;; [unrolled: 1-line block ×4, first 2 shown]
	scratch_load_b64 v[80:81], off, off offset:168
	scratch_load_b64 v[82:83], off, off offset:96
	v_mov_b32_e32 v45, 0
	ds_load_2addr_b64 v[64:67], v45 offset0:35 offset1:36
	ds_load_2addr_b64 v[68:71], v45 offset0:37 offset1:38
	;; [unrolled: 1-line block ×4, first 2 shown]
	ds_load_b64 v[84:85], v45 offset:344
	s_mov_b32 s0, exec_lo
	s_wait_loadcnt_dscnt 0x504
	v_mul_f32_e32 v46, v64, v49
	s_wait_loadcnt_dscnt 0x403
	v_dual_mul_f32 v86, v66, v51 :: v_dual_mul_f32 v87, v68, v53
	s_wait_loadcnt_dscnt 0x302
	v_dual_mul_f32 v90, v74, v59 :: v_dual_mul_f32 v49, v65, v49
	s_wait_loadcnt_dscnt 0x100
	v_dual_mul_f32 v93, v84, v81 :: v_dual_fmac_f32 v46, v65, v48
	v_mul_f32_e32 v51, v67, v51
	v_dual_mul_f32 v88, v70, v55 :: v_dual_mul_f32 v89, v72, v57
	v_fma_f32 v49, v64, v48, -v49
	v_fmac_f32_e32 v86, v67, v50
	v_add_f32_e32 v46, 0, v46
	v_mul_f32_e32 v48, v69, v53
	v_fma_f32 v50, v66, v50, -v51
	v_add_f32_e32 v49, 0, v49
	v_mul_f32_e32 v51, v71, v55
	v_dual_fmac_f32 v87, v69, v52 :: v_dual_add_f32 v46, v46, v86
	v_dual_fmac_f32 v88, v71, v54 :: v_dual_fmac_f32 v89, v73, v56
	s_delay_alu instid0(VALU_DEP_4) | instskip(SKIP_1) | instid1(VALU_DEP_4)
	v_add_f32_e32 v49, v49, v50
	v_dual_mul_f32 v91, v76, v61 :: v_dual_mul_f32 v92, v78, v63
	v_add_f32_e32 v46, v46, v87
	v_dual_fmac_f32 v90, v75, v58 :: v_dual_fmac_f32 v93, v85, v80
	s_delay_alu instid0(VALU_DEP_3) | instskip(NEXT) | instid1(VALU_DEP_3)
	v_dual_fmac_f32 v91, v77, v60 :: v_dual_fmac_f32 v92, v79, v62
	v_add_f32_e32 v46, v46, v88
	v_fma_f32 v48, v68, v52, -v48
	v_mul_f32_e32 v50, v73, v57
	v_fma_f32 v51, v70, v54, -v51
	s_delay_alu instid0(VALU_DEP_4) | instskip(NEXT) | instid1(VALU_DEP_1)
	v_add_f32_e32 v46, v46, v89
	v_add_f32_e32 v46, v46, v90
	s_delay_alu instid0(VALU_DEP_1) | instskip(NEXT) | instid1(VALU_DEP_1)
	v_add_f32_e32 v46, v46, v91
	v_add_f32_e32 v46, v46, v92
	s_delay_alu instid0(VALU_DEP_1) | instskip(SKIP_2) | instid1(VALU_DEP_2)
	v_add_f32_e32 v46, v46, v93
	v_dual_add_f32 v48, v49, v48 :: v_dual_mul_f32 v49, v75, v59
	v_fma_f32 v50, v72, v56, -v50
	v_dual_add_f32 v48, v48, v51 :: v_dual_mul_f32 v51, v77, v61
	s_delay_alu instid0(VALU_DEP_3) | instskip(NEXT) | instid1(VALU_DEP_2)
	v_fma_f32 v49, v74, v58, -v49
	v_add_f32_e32 v48, v48, v50
	v_mul_f32_e32 v50, v79, v63
	s_delay_alu instid0(VALU_DEP_4) | instskip(NEXT) | instid1(VALU_DEP_3)
	v_fma_f32 v51, v76, v60, -v51
	v_add_f32_e32 v48, v48, v49
	v_mul_f32_e32 v49, v85, v81
	s_delay_alu instid0(VALU_DEP_4) | instskip(NEXT) | instid1(VALU_DEP_3)
	v_fma_f32 v50, v78, v62, -v50
	v_add_f32_e32 v48, v48, v51
	s_delay_alu instid0(VALU_DEP_3) | instskip(NEXT) | instid1(VALU_DEP_2)
	v_fma_f32 v49, v84, v80, -v49
	v_add_f32_e32 v48, v48, v50
	s_wait_loadcnt 0x0
	s_delay_alu instid0(VALU_DEP_1) | instskip(NEXT) | instid1(VALU_DEP_1)
	v_dual_add_f32 v48, v48, v49 :: v_dual_sub_f32 v49, v83, v46
	v_sub_f32_e32 v48, v82, v48
	scratch_store_b64 off, v[48:49], off offset:96
	v_cmpx_lt_u32_e32 11, v0
	s_cbranch_execz .LBB85_123
; %bb.122:
	scratch_load_b64 v[48:49], off, off offset:88
	v_mov_b32_e32 v46, v45
	scratch_store_b64 off, v[45:46], off offset:88
	s_wait_loadcnt 0x0
	ds_store_b64 v47, v[48:49]
.LBB85_123:
	s_wait_alu 0xfffe
	s_or_b32 exec_lo, exec_lo, s0
	s_wait_storecnt_dscnt 0x0
	s_barrier_signal -1
	s_barrier_wait -1
	global_inv scope:SCOPE_SE
	s_clause 0x5
	scratch_load_b128 v[48:51], off, off offset:96
	scratch_load_b128 v[52:55], off, off offset:112
	;; [unrolled: 1-line block ×5, first 2 shown]
	scratch_load_b64 v[88:89], off, off offset:88
	ds_load_b128 v[68:71], v45 offset:272
	ds_load_b128 v[72:75], v45 offset:288
	;; [unrolled: 1-line block ×5, first 2 shown]
	s_mov_b32 s0, exec_lo
	s_wait_loadcnt_dscnt 0x504
	v_dual_mul_f32 v45, v68, v49 :: v_dual_mul_f32 v46, v70, v51
	v_mul_f32_e32 v49, v69, v49
	s_wait_loadcnt_dscnt 0x403
	v_dual_mul_f32 v51, v71, v51 :: v_dual_mul_f32 v90, v72, v53
	s_delay_alu instid0(VALU_DEP_3) | instskip(NEXT) | instid1(VALU_DEP_3)
	v_dual_mul_f32 v91, v74, v55 :: v_dual_fmac_f32 v46, v71, v50
	v_fma_f32 v49, v68, v48, -v49
	v_fmac_f32_e32 v45, v69, v48
	v_mul_f32_e32 v48, v73, v53
	v_fma_f32 v50, v70, v50, -v51
	v_mul_f32_e32 v51, v75, v55
	v_dual_add_f32 v49, 0, v49 :: v_dual_fmac_f32 v90, v73, v52
	s_delay_alu instid0(VALU_DEP_4) | instskip(SKIP_2) | instid1(VALU_DEP_3)
	v_fma_f32 v48, v72, v52, -v48
	s_wait_loadcnt_dscnt 0x302
	v_dual_mul_f32 v92, v76, v57 :: v_dual_mul_f32 v93, v78, v59
	v_add_f32_e32 v49, v49, v50
	v_fmac_f32_e32 v91, v75, v54
	v_fma_f32 v50, v74, v54, -v51
	s_wait_loadcnt_dscnt 0x201
	v_dual_mul_f32 v94, v80, v61 :: v_dual_mul_f32 v95, v82, v63
	v_dual_add_f32 v48, v49, v48 :: v_dual_mul_f32 v49, v79, v59
	v_fmac_f32_e32 v92, v77, v56
	s_wait_loadcnt_dscnt 0x100
	v_dual_mul_f32 v96, v84, v65 :: v_dual_mul_f32 v97, v86, v67
	s_delay_alu instid0(VALU_DEP_3) | instskip(SKIP_3) | instid1(VALU_DEP_4)
	v_dual_add_f32 v48, v48, v50 :: v_dual_add_f32 v45, 0, v45
	v_mul_f32_e32 v50, v81, v61
	v_fma_f32 v49, v78, v58, -v49
	v_dual_fmac_f32 v93, v79, v58 :: v_dual_fmac_f32 v94, v81, v60
	v_add_f32_e32 v45, v45, v46
	v_mul_f32_e32 v46, v77, v57
	v_fma_f32 v50, v80, v60, -v50
	v_dual_fmac_f32 v95, v83, v62 :: v_dual_fmac_f32 v96, v85, v64
	s_delay_alu instid0(VALU_DEP_3) | instskip(NEXT) | instid1(VALU_DEP_1)
	v_fma_f32 v46, v76, v56, -v46
	v_add_f32_e32 v46, v48, v46
	v_mul_f32_e32 v48, v83, v63
	s_delay_alu instid0(VALU_DEP_2) | instskip(SKIP_1) | instid1(VALU_DEP_3)
	v_dual_add_f32 v46, v46, v49 :: v_dual_add_f32 v45, v45, v90
	v_mul_f32_e32 v49, v85, v65
	v_fma_f32 v48, v82, v62, -v48
	s_delay_alu instid0(VALU_DEP_3) | instskip(SKIP_3) | instid1(VALU_DEP_4)
	v_add_f32_e32 v46, v46, v50
	v_mul_f32_e32 v50, v87, v67
	v_add_f32_e32 v45, v45, v91
	v_fma_f32 v49, v84, v64, -v49
	v_dual_add_f32 v46, v46, v48 :: v_dual_fmac_f32 v97, v87, v66
	s_delay_alu instid0(VALU_DEP_3) | instskip(SKIP_1) | instid1(VALU_DEP_3)
	v_add_f32_e32 v45, v45, v92
	v_fma_f32 v48, v86, v66, -v50
	v_add_f32_e32 v46, v46, v49
	s_delay_alu instid0(VALU_DEP_1) | instskip(NEXT) | instid1(VALU_DEP_1)
	v_dual_add_f32 v45, v45, v93 :: v_dual_add_f32 v46, v46, v48
	v_add_f32_e32 v45, v45, v94
	s_delay_alu instid0(VALU_DEP_1) | instskip(NEXT) | instid1(VALU_DEP_1)
	v_add_f32_e32 v45, v45, v95
	v_add_f32_e32 v45, v45, v96
	s_wait_loadcnt 0x0
	s_delay_alu instid0(VALU_DEP_1) | instskip(NEXT) | instid1(VALU_DEP_1)
	v_dual_add_f32 v48, v45, v97 :: v_dual_sub_f32 v45, v88, v46
	v_sub_f32_e32 v46, v89, v48
	scratch_store_b64 off, v[45:46], off offset:88
	v_cmpx_lt_u32_e32 10, v0
	s_cbranch_execz .LBB85_125
; %bb.124:
	scratch_load_b64 v[45:46], off, off offset:80
	v_mov_b32_e32 v48, 0
	s_delay_alu instid0(VALU_DEP_1)
	v_mov_b32_e32 v49, v48
	scratch_store_b64 off, v[48:49], off offset:80
	s_wait_loadcnt 0x0
	ds_store_b64 v47, v[45:46]
.LBB85_125:
	s_wait_alu 0xfffe
	s_or_b32 exec_lo, exec_lo, s0
	s_wait_storecnt_dscnt 0x0
	s_barrier_signal -1
	s_barrier_wait -1
	global_inv scope:SCOPE_SE
	s_clause 0x6
	scratch_load_b128 v[48:51], off, off offset:88
	scratch_load_b128 v[52:55], off, off offset:104
	;; [unrolled: 1-line block ×5, first 2 shown]
	scratch_load_b64 v[88:89], off, off offset:168
	scratch_load_b64 v[90:91], off, off offset:80
	v_mov_b32_e32 v45, 0
	ds_load_2addr_b64 v[68:71], v45 offset0:33 offset1:34
	ds_load_2addr_b64 v[72:75], v45 offset0:35 offset1:36
	;; [unrolled: 1-line block ×5, first 2 shown]
	ds_load_b64 v[92:93], v45 offset:344
	s_mov_b32 s0, exec_lo
	s_wait_loadcnt_dscnt 0x605
	v_mul_f32_e32 v46, v68, v49
	v_dual_mul_f32 v49, v69, v49 :: v_dual_mul_f32 v94, v70, v51
	s_wait_loadcnt_dscnt 0x302
	v_dual_mul_f32 v95, v72, v53 :: v_dual_mul_f32 v100, v82, v63
	s_wait_loadcnt_dscnt 0x100
	v_dual_mul_f32 v103, v92, v89 :: v_dual_fmac_f32 v46, v69, v48
	v_mul_f32_e32 v51, v71, v51
	v_fma_f32 v49, v68, v48, -v49
	v_mul_f32_e32 v48, v73, v53
	v_fmac_f32_e32 v94, v71, v50
	v_add_f32_e32 v46, 0, v46
	v_fma_f32 v50, v70, v50, -v51
	v_add_f32_e32 v49, 0, v49
	v_mul_f32_e32 v51, v75, v55
	s_delay_alu instid0(VALU_DEP_4) | instskip(SKIP_1) | instid1(VALU_DEP_4)
	v_dual_fmac_f32 v95, v73, v52 :: v_dual_add_f32 v46, v46, v94
	v_fma_f32 v48, v72, v52, -v48
	v_dual_add_f32 v49, v49, v50 :: v_dual_mul_f32 v96, v74, v55
	v_mul_f32_e32 v97, v76, v57
	v_mul_f32_e32 v50, v77, v57
	v_fma_f32 v51, v74, v54, -v51
	v_add_f32_e32 v46, v46, v95
	v_add_f32_e32 v48, v49, v48
	v_dual_fmac_f32 v96, v75, v54 :: v_dual_fmac_f32 v97, v77, v56
	v_mul_f32_e32 v49, v79, v59
	v_fma_f32 v50, v76, v56, -v50
	s_delay_alu instid0(VALU_DEP_4) | instskip(SKIP_4) | instid1(VALU_DEP_3)
	v_dual_add_f32 v48, v48, v51 :: v_dual_mul_f32 v51, v81, v61
	v_dual_mul_f32 v98, v78, v59 :: v_dual_mul_f32 v99, v80, v61
	v_dual_mul_f32 v101, v84, v65 :: v_dual_mul_f32 v102, v86, v67
	v_add_f32_e32 v46, v46, v96
	v_fma_f32 v49, v78, v58, -v49
	v_dual_add_f32 v48, v48, v50 :: v_dual_fmac_f32 v101, v85, v64
	v_dual_fmac_f32 v98, v79, v58 :: v_dual_fmac_f32 v99, v81, v60
	v_mul_f32_e32 v50, v83, v63
	s_delay_alu instid0(VALU_DEP_3)
	v_add_f32_e32 v48, v48, v49
	v_mul_f32_e32 v49, v85, v65
	v_dual_add_f32 v46, v46, v97 :: v_dual_fmac_f32 v103, v93, v88
	v_fma_f32 v51, v80, v60, -v51
	v_fmac_f32_e32 v100, v83, v62
	v_fma_f32 v50, v82, v62, -v50
	s_delay_alu instid0(VALU_DEP_4)
	v_add_f32_e32 v46, v46, v98
	v_fma_f32 v49, v84, v64, -v49
	v_add_f32_e32 v48, v48, v51
	v_mul_f32_e32 v51, v87, v67
	v_fmac_f32_e32 v102, v87, v66
	v_add_f32_e32 v46, v46, v99
	s_delay_alu instid0(VALU_DEP_4) | instskip(SKIP_2) | instid1(VALU_DEP_4)
	v_add_f32_e32 v48, v48, v50
	v_mul_f32_e32 v50, v93, v89
	v_fma_f32 v51, v86, v66, -v51
	v_add_f32_e32 v46, v46, v100
	s_delay_alu instid0(VALU_DEP_4) | instskip(NEXT) | instid1(VALU_DEP_4)
	v_add_f32_e32 v48, v48, v49
	v_fma_f32 v49, v92, v88, -v50
	s_delay_alu instid0(VALU_DEP_3) | instskip(NEXT) | instid1(VALU_DEP_3)
	v_add_f32_e32 v46, v46, v101
	v_add_f32_e32 v48, v48, v51
	s_delay_alu instid0(VALU_DEP_2) | instskip(NEXT) | instid1(VALU_DEP_2)
	v_add_f32_e32 v46, v46, v102
	v_add_f32_e32 v48, v48, v49
	s_delay_alu instid0(VALU_DEP_2) | instskip(SKIP_1) | instid1(VALU_DEP_1)
	v_add_f32_e32 v46, v46, v103
	s_wait_loadcnt 0x0
	v_dual_sub_f32 v48, v90, v48 :: v_dual_sub_f32 v49, v91, v46
	scratch_store_b64 off, v[48:49], off offset:80
	v_cmpx_lt_u32_e32 9, v0
	s_cbranch_execz .LBB85_127
; %bb.126:
	scratch_load_b64 v[48:49], off, off offset:72
	v_mov_b32_e32 v46, v45
	scratch_store_b64 off, v[45:46], off offset:72
	s_wait_loadcnt 0x0
	ds_store_b64 v47, v[48:49]
.LBB85_127:
	s_wait_alu 0xfffe
	s_or_b32 exec_lo, exec_lo, s0
	s_wait_storecnt_dscnt 0x0
	s_barrier_signal -1
	s_barrier_wait -1
	global_inv scope:SCOPE_SE
	s_clause 0x6
	scratch_load_b128 v[48:51], off, off offset:80
	scratch_load_b128 v[52:55], off, off offset:96
	;; [unrolled: 1-line block ×6, first 2 shown]
	scratch_load_b64 v[96:97], off, off offset:72
	ds_load_b128 v[72:75], v45 offset:256
	ds_load_b128 v[76:79], v45 offset:272
	;; [unrolled: 1-line block ×6, first 2 shown]
	s_mov_b32 s0, exec_lo
	s_wait_loadcnt_dscnt 0x605
	v_dual_mul_f32 v45, v72, v49 :: v_dual_mul_f32 v46, v74, v51
	v_mul_f32_e32 v49, v73, v49
	s_wait_loadcnt_dscnt 0x504
	v_dual_mul_f32 v51, v75, v51 :: v_dual_mul_f32 v98, v76, v53
	s_delay_alu instid0(VALU_DEP_3) | instskip(NEXT) | instid1(VALU_DEP_3)
	v_dual_mul_f32 v99, v78, v55 :: v_dual_fmac_f32 v46, v75, v50
	v_fma_f32 v49, v72, v48, -v49
	v_fmac_f32_e32 v45, v73, v48
	v_mul_f32_e32 v48, v77, v53
	v_fma_f32 v50, v74, v50, -v51
	v_mul_f32_e32 v51, v79, v55
	v_dual_add_f32 v49, 0, v49 :: v_dual_fmac_f32 v98, v77, v52
	s_delay_alu instid0(VALU_DEP_4) | instskip(SKIP_2) | instid1(VALU_DEP_3)
	v_fma_f32 v48, v76, v52, -v48
	s_wait_loadcnt_dscnt 0x403
	v_dual_mul_f32 v100, v80, v57 :: v_dual_mul_f32 v101, v82, v59
	v_add_f32_e32 v49, v49, v50
	v_fmac_f32_e32 v99, v79, v54
	v_fma_f32 v50, v78, v54, -v51
	s_wait_loadcnt_dscnt 0x302
	v_dual_mul_f32 v102, v84, v61 :: v_dual_mul_f32 v103, v86, v63
	v_dual_add_f32 v48, v49, v48 :: v_dual_mul_f32 v49, v83, v59
	v_fmac_f32_e32 v100, v81, v56
	s_wait_loadcnt_dscnt 0x201
	v_dual_mul_f32 v104, v88, v65 :: v_dual_mul_f32 v105, v90, v67
	s_delay_alu instid0(VALU_DEP_3) | instskip(SKIP_3) | instid1(VALU_DEP_4)
	v_dual_add_f32 v48, v48, v50 :: v_dual_add_f32 v45, 0, v45
	v_mul_f32_e32 v50, v85, v61
	v_fma_f32 v49, v82, v58, -v49
	v_dual_fmac_f32 v101, v83, v58 :: v_dual_fmac_f32 v102, v85, v60
	v_add_f32_e32 v45, v45, v46
	v_mul_f32_e32 v46, v81, v57
	v_fma_f32 v50, v84, v60, -v50
	v_dual_fmac_f32 v103, v87, v62 :: v_dual_fmac_f32 v104, v89, v64
	s_wait_loadcnt_dscnt 0x100
	v_dual_mul_f32 v106, v92, v69 :: v_dual_mul_f32 v107, v94, v71
	v_fma_f32 v46, v80, v56, -v46
	s_delay_alu instid0(VALU_DEP_2) | instskip(NEXT) | instid1(VALU_DEP_3)
	v_dual_fmac_f32 v105, v91, v66 :: v_dual_fmac_f32 v106, v93, v68
	v_fmac_f32_e32 v107, v95, v70
	s_delay_alu instid0(VALU_DEP_3) | instskip(SKIP_1) | instid1(VALU_DEP_2)
	v_add_f32_e32 v46, v48, v46
	v_mul_f32_e32 v48, v87, v63
	v_dual_add_f32 v46, v46, v49 :: v_dual_add_f32 v45, v45, v98
	v_mul_f32_e32 v49, v89, v65
	s_delay_alu instid0(VALU_DEP_3) | instskip(NEXT) | instid1(VALU_DEP_3)
	v_fma_f32 v48, v86, v62, -v48
	v_add_f32_e32 v46, v46, v50
	v_mul_f32_e32 v50, v91, v67
	v_add_f32_e32 v45, v45, v99
	v_fma_f32 v49, v88, v64, -v49
	s_delay_alu instid0(VALU_DEP_4) | instskip(SKIP_1) | instid1(VALU_DEP_4)
	v_add_f32_e32 v46, v46, v48
	v_mul_f32_e32 v48, v93, v69
	v_add_f32_e32 v45, v45, v100
	v_fma_f32 v50, v90, v66, -v50
	s_delay_alu instid0(VALU_DEP_4) | instskip(NEXT) | instid1(VALU_DEP_3)
	v_dual_add_f32 v46, v46, v49 :: v_dual_mul_f32 v49, v95, v71
	v_add_f32_e32 v45, v45, v101
	v_fma_f32 v48, v92, v68, -v48
	s_delay_alu instid0(VALU_DEP_3) | instskip(NEXT) | instid1(VALU_DEP_4)
	v_add_f32_e32 v46, v46, v50
	v_fma_f32 v49, v94, v70, -v49
	s_delay_alu instid0(VALU_DEP_2) | instskip(NEXT) | instid1(VALU_DEP_1)
	v_dual_add_f32 v45, v45, v102 :: v_dual_add_f32 v46, v46, v48
	v_dual_add_f32 v45, v45, v103 :: v_dual_add_f32 v46, v46, v49
	s_delay_alu instid0(VALU_DEP_1) | instskip(NEXT) | instid1(VALU_DEP_1)
	v_add_f32_e32 v45, v45, v104
	v_add_f32_e32 v45, v45, v105
	s_delay_alu instid0(VALU_DEP_1) | instskip(SKIP_1) | instid1(VALU_DEP_1)
	v_add_f32_e32 v45, v45, v106
	s_wait_loadcnt 0x0
	v_dual_add_f32 v48, v45, v107 :: v_dual_sub_f32 v45, v96, v46
	s_delay_alu instid0(VALU_DEP_1)
	v_sub_f32_e32 v46, v97, v48
	scratch_store_b64 off, v[45:46], off offset:72
	v_cmpx_lt_u32_e32 8, v0
	s_cbranch_execz .LBB85_129
; %bb.128:
	scratch_load_b64 v[45:46], off, off offset:64
	v_mov_b32_e32 v48, 0
	s_delay_alu instid0(VALU_DEP_1)
	v_mov_b32_e32 v49, v48
	scratch_store_b64 off, v[48:49], off offset:64
	s_wait_loadcnt 0x0
	ds_store_b64 v47, v[45:46]
.LBB85_129:
	s_wait_alu 0xfffe
	s_or_b32 exec_lo, exec_lo, s0
	s_wait_storecnt_dscnt 0x0
	s_barrier_signal -1
	s_barrier_wait -1
	global_inv scope:SCOPE_SE
	s_clause 0x7
	scratch_load_b128 v[48:51], off, off offset:72
	scratch_load_b128 v[52:55], off, off offset:88
	;; [unrolled: 1-line block ×6, first 2 shown]
	scratch_load_b64 v[96:97], off, off offset:168
	scratch_load_b64 v[98:99], off, off offset:64
	v_mov_b32_e32 v45, 0
	ds_load_2addr_b64 v[72:75], v45 offset0:31 offset1:32
	ds_load_2addr_b64 v[76:79], v45 offset0:33 offset1:34
	;; [unrolled: 1-line block ×6, first 2 shown]
	ds_load_b64 v[100:101], v45 offset:344
	s_mov_b32 s0, exec_lo
	s_wait_loadcnt_dscnt 0x706
	v_mul_f32_e32 v46, v72, v49
	v_dual_mul_f32 v49, v73, v49 :: v_dual_mul_f32 v102, v74, v51
	s_wait_loadcnt_dscnt 0x302
	v_dual_mul_f32 v103, v76, v53 :: v_dual_mul_f32 v110, v90, v67
	v_mul_f32_e32 v51, v75, v51
	s_wait_loadcnt_dscnt 0x100
	v_dual_mul_f32 v113, v100, v97 :: v_dual_fmac_f32 v46, v73, v48
	v_fma_f32 v49, v72, v48, -v49
	v_mul_f32_e32 v48, v77, v53
	v_fmac_f32_e32 v102, v75, v50
	v_fma_f32 v50, v74, v50, -v51
	v_dual_add_f32 v46, 0, v46 :: v_dual_mul_f32 v51, v79, v55
	v_add_f32_e32 v49, 0, v49
	v_fmac_f32_e32 v103, v77, v52
	v_fma_f32 v48, v76, v52, -v48
	s_delay_alu instid0(VALU_DEP_4)
	v_add_f32_e32 v46, v46, v102
	v_fma_f32 v51, v78, v54, -v51
	v_add_f32_e32 v49, v49, v50
	v_mul_f32_e32 v50, v81, v57
	v_dual_mul_f32 v104, v78, v55 :: v_dual_mul_f32 v105, v80, v57
	v_add_f32_e32 v46, v46, v103
	s_delay_alu instid0(VALU_DEP_4) | instskip(NEXT) | instid1(VALU_DEP_4)
	v_dual_add_f32 v48, v49, v48 :: v_dual_mul_f32 v49, v83, v59
	v_fma_f32 v50, v80, v56, -v50
	v_dual_mul_f32 v108, v86, v63 :: v_dual_mul_f32 v109, v88, v65
	s_delay_alu instid0(VALU_DEP_3) | instskip(NEXT) | instid1(VALU_DEP_4)
	v_dual_add_f32 v48, v48, v51 :: v_dual_mul_f32 v51, v85, v61
	v_fma_f32 v49, v82, v58, -v49
	v_dual_mul_f32 v111, v92, v69 :: v_dual_mul_f32 v112, v94, v71
	s_delay_alu instid0(VALU_DEP_3) | instskip(SKIP_1) | instid1(VALU_DEP_3)
	v_dual_add_f32 v48, v48, v50 :: v_dual_fmac_f32 v109, v89, v64
	v_dual_fmac_f32 v104, v79, v54 :: v_dual_fmac_f32 v105, v81, v56
	v_dual_mul_f32 v50, v87, v63 :: v_dual_fmac_f32 v111, v93, v68
	v_fma_f32 v51, v84, v60, -v51
	s_delay_alu instid0(VALU_DEP_4) | instskip(SKIP_3) | instid1(VALU_DEP_4)
	v_dual_add_f32 v48, v48, v49 :: v_dual_fmac_f32 v113, v101, v96
	v_dual_mul_f32 v106, v82, v59 :: v_dual_mul_f32 v107, v84, v61
	v_dual_add_f32 v46, v46, v104 :: v_dual_mul_f32 v49, v89, v65
	v_fma_f32 v50, v86, v62, -v50
	v_add_f32_e32 v48, v48, v51
	s_delay_alu instid0(VALU_DEP_4) | instskip(NEXT) | instid1(VALU_DEP_4)
	v_dual_fmac_f32 v106, v83, v58 :: v_dual_fmac_f32 v107, v85, v60
	v_dual_add_f32 v46, v46, v105 :: v_dual_mul_f32 v51, v91, v67
	v_fma_f32 v49, v88, v64, -v49
	s_delay_alu instid0(VALU_DEP_4)
	v_add_f32_e32 v48, v48, v50
	v_fmac_f32_e32 v108, v87, v62
	v_mul_f32_e32 v50, v93, v69
	v_fma_f32 v51, v90, v66, -v51
	v_fmac_f32_e32 v110, v91, v66
	v_dual_add_f32 v48, v48, v49 :: v_dual_mul_f32 v49, v95, v71
	v_add_f32_e32 v46, v46, v106
	v_fma_f32 v50, v92, v68, -v50
	v_fmac_f32_e32 v112, v95, v70
	s_delay_alu instid0(VALU_DEP_4) | instskip(NEXT) | instid1(VALU_DEP_4)
	v_dual_add_f32 v48, v48, v51 :: v_dual_mul_f32 v51, v101, v97
	v_add_f32_e32 v46, v46, v107
	v_fma_f32 v49, v94, v70, -v49
	s_delay_alu instid0(VALU_DEP_3) | instskip(NEXT) | instid1(VALU_DEP_4)
	v_add_f32_e32 v48, v48, v50
	v_fma_f32 v50, v100, v96, -v51
	s_delay_alu instid0(VALU_DEP_4) | instskip(NEXT) | instid1(VALU_DEP_3)
	v_add_f32_e32 v46, v46, v108
	v_add_f32_e32 v48, v48, v49
	s_delay_alu instid0(VALU_DEP_2) | instskip(NEXT) | instid1(VALU_DEP_2)
	v_add_f32_e32 v46, v46, v109
	v_add_f32_e32 v48, v48, v50
	s_delay_alu instid0(VALU_DEP_2) | instskip(SKIP_1) | instid1(VALU_DEP_2)
	v_add_f32_e32 v46, v46, v110
	s_wait_loadcnt 0x0
	v_sub_f32_e32 v48, v98, v48
	s_delay_alu instid0(VALU_DEP_2) | instskip(NEXT) | instid1(VALU_DEP_1)
	v_add_f32_e32 v46, v46, v111
	v_add_f32_e32 v46, v46, v112
	s_delay_alu instid0(VALU_DEP_1) | instskip(NEXT) | instid1(VALU_DEP_1)
	v_add_f32_e32 v46, v46, v113
	v_sub_f32_e32 v49, v99, v46
	scratch_store_b64 off, v[48:49], off offset:64
	v_cmpx_lt_u32_e32 7, v0
	s_cbranch_execz .LBB85_131
; %bb.130:
	scratch_load_b64 v[48:49], off, off offset:56
	v_mov_b32_e32 v46, v45
	scratch_store_b64 off, v[45:46], off offset:56
	s_wait_loadcnt 0x0
	ds_store_b64 v47, v[48:49]
.LBB85_131:
	s_wait_alu 0xfffe
	s_or_b32 exec_lo, exec_lo, s0
	s_wait_storecnt_dscnt 0x0
	s_barrier_signal -1
	s_barrier_wait -1
	global_inv scope:SCOPE_SE
	s_clause 0x7
	scratch_load_b128 v[48:51], off, off offset:64
	scratch_load_b128 v[52:55], off, off offset:80
	;; [unrolled: 1-line block ×7, first 2 shown]
	scratch_load_b64 v[104:105], off, off offset:56
	ds_load_b128 v[76:79], v45 offset:240
	ds_load_b128 v[80:83], v45 offset:256
	;; [unrolled: 1-line block ×7, first 2 shown]
	s_mov_b32 s0, exec_lo
	s_wait_loadcnt_dscnt 0x706
	v_dual_mul_f32 v45, v76, v49 :: v_dual_mul_f32 v46, v78, v51
	v_mul_f32_e32 v49, v77, v49
	s_wait_loadcnt_dscnt 0x605
	v_dual_mul_f32 v51, v79, v51 :: v_dual_mul_f32 v106, v80, v53
	s_delay_alu instid0(VALU_DEP_3) | instskip(NEXT) | instid1(VALU_DEP_3)
	v_dual_mul_f32 v107, v82, v55 :: v_dual_fmac_f32 v46, v79, v50
	v_fma_f32 v49, v76, v48, -v49
	v_fmac_f32_e32 v45, v77, v48
	v_mul_f32_e32 v48, v81, v53
	v_fma_f32 v50, v78, v50, -v51
	v_mul_f32_e32 v51, v83, v55
	v_dual_add_f32 v49, 0, v49 :: v_dual_fmac_f32 v106, v81, v52
	s_delay_alu instid0(VALU_DEP_4) | instskip(SKIP_2) | instid1(VALU_DEP_3)
	v_fma_f32 v48, v80, v52, -v48
	s_wait_loadcnt_dscnt 0x504
	v_dual_mul_f32 v108, v84, v57 :: v_dual_mul_f32 v109, v86, v59
	v_add_f32_e32 v49, v49, v50
	v_fmac_f32_e32 v107, v83, v54
	v_fma_f32 v50, v82, v54, -v51
	s_wait_loadcnt_dscnt 0x403
	v_dual_mul_f32 v110, v88, v61 :: v_dual_mul_f32 v111, v90, v63
	v_dual_add_f32 v48, v49, v48 :: v_dual_mul_f32 v49, v87, v59
	v_fmac_f32_e32 v108, v85, v56
	s_wait_loadcnt_dscnt 0x302
	v_dual_mul_f32 v112, v92, v65 :: v_dual_mul_f32 v113, v94, v67
	s_delay_alu instid0(VALU_DEP_3) | instskip(SKIP_3) | instid1(VALU_DEP_4)
	v_dual_add_f32 v48, v48, v50 :: v_dual_add_f32 v45, 0, v45
	v_mul_f32_e32 v50, v89, v61
	v_fma_f32 v49, v86, v58, -v49
	v_dual_fmac_f32 v109, v87, v58 :: v_dual_fmac_f32 v110, v89, v60
	v_add_f32_e32 v45, v45, v46
	v_mul_f32_e32 v46, v85, v57
	v_fma_f32 v50, v88, v60, -v50
	v_dual_fmac_f32 v111, v91, v62 :: v_dual_fmac_f32 v112, v93, v64
	s_wait_loadcnt_dscnt 0x201
	v_dual_mul_f32 v114, v96, v69 :: v_dual_mul_f32 v115, v98, v71
	v_fma_f32 v46, v84, v56, -v46
	s_wait_loadcnt_dscnt 0x100
	v_dual_mul_f32 v116, v100, v73 :: v_dual_mul_f32 v117, v102, v75
	s_delay_alu instid0(VALU_DEP_3) | instskip(NEXT) | instid1(VALU_DEP_3)
	v_dual_fmac_f32 v113, v95, v66 :: v_dual_fmac_f32 v114, v97, v68
	v_add_f32_e32 v46, v48, v46
	v_mul_f32_e32 v48, v91, v63
	s_delay_alu instid0(VALU_DEP_4) | instskip(NEXT) | instid1(VALU_DEP_3)
	v_dual_fmac_f32 v116, v101, v72 :: v_dual_fmac_f32 v117, v103, v74
	v_dual_fmac_f32 v115, v99, v70 :: v_dual_add_f32 v46, v46, v49
	v_add_f32_e32 v45, v45, v106
	v_mul_f32_e32 v49, v93, v65
	v_fma_f32 v48, v90, v62, -v48
	s_delay_alu instid0(VALU_DEP_4) | instskip(SKIP_3) | instid1(VALU_DEP_4)
	v_add_f32_e32 v46, v46, v50
	v_mul_f32_e32 v50, v95, v67
	v_add_f32_e32 v45, v45, v107
	v_fma_f32 v49, v92, v64, -v49
	v_add_f32_e32 v46, v46, v48
	v_mul_f32_e32 v48, v97, v69
	s_delay_alu instid0(VALU_DEP_4) | instskip(SKIP_1) | instid1(VALU_DEP_4)
	v_add_f32_e32 v45, v45, v108
	v_fma_f32 v50, v94, v66, -v50
	v_dual_add_f32 v46, v46, v49 :: v_dual_mul_f32 v49, v99, v71
	s_delay_alu instid0(VALU_DEP_3) | instskip(SKIP_1) | instid1(VALU_DEP_3)
	v_add_f32_e32 v45, v45, v109
	v_fma_f32 v48, v96, v68, -v48
	v_add_f32_e32 v46, v46, v50
	s_delay_alu instid0(VALU_DEP_4) | instskip(NEXT) | instid1(VALU_DEP_4)
	v_fma_f32 v49, v98, v70, -v49
	v_add_f32_e32 v45, v45, v110
	v_mul_f32_e32 v50, v101, v73
	s_delay_alu instid0(VALU_DEP_4) | instskip(SKIP_1) | instid1(VALU_DEP_4)
	v_add_f32_e32 v46, v46, v48
	v_mul_f32_e32 v48, v103, v75
	v_add_f32_e32 v45, v45, v111
	s_delay_alu instid0(VALU_DEP_4) | instskip(NEXT) | instid1(VALU_DEP_4)
	v_fma_f32 v50, v100, v72, -v50
	v_add_f32_e32 v46, v46, v49
	s_delay_alu instid0(VALU_DEP_4) | instskip(NEXT) | instid1(VALU_DEP_2)
	v_fma_f32 v48, v102, v74, -v48
	v_dual_add_f32 v45, v45, v112 :: v_dual_add_f32 v46, v46, v50
	s_delay_alu instid0(VALU_DEP_1) | instskip(NEXT) | instid1(VALU_DEP_1)
	v_dual_add_f32 v45, v45, v113 :: v_dual_add_f32 v46, v46, v48
	v_add_f32_e32 v45, v45, v114
	s_delay_alu instid0(VALU_DEP_1) | instskip(NEXT) | instid1(VALU_DEP_1)
	v_add_f32_e32 v45, v45, v115
	v_add_f32_e32 v45, v45, v116
	s_wait_loadcnt 0x0
	s_delay_alu instid0(VALU_DEP_1) | instskip(NEXT) | instid1(VALU_DEP_1)
	v_dual_add_f32 v48, v45, v117 :: v_dual_sub_f32 v45, v104, v46
	v_sub_f32_e32 v46, v105, v48
	scratch_store_b64 off, v[45:46], off offset:56
	v_cmpx_lt_u32_e32 6, v0
	s_cbranch_execz .LBB85_133
; %bb.132:
	scratch_load_b64 v[45:46], off, off offset:48
	v_mov_b32_e32 v48, 0
	s_delay_alu instid0(VALU_DEP_1)
	v_mov_b32_e32 v49, v48
	scratch_store_b64 off, v[48:49], off offset:48
	s_wait_loadcnt 0x0
	ds_store_b64 v47, v[45:46]
.LBB85_133:
	s_wait_alu 0xfffe
	s_or_b32 exec_lo, exec_lo, s0
	s_wait_storecnt_dscnt 0x0
	s_barrier_signal -1
	s_barrier_wait -1
	global_inv scope:SCOPE_SE
	s_clause 0x8
	scratch_load_b128 v[48:51], off, off offset:56
	scratch_load_b128 v[52:55], off, off offset:72
	;; [unrolled: 1-line block ×7, first 2 shown]
	scratch_load_b64 v[104:105], off, off offset:168
	scratch_load_b64 v[106:107], off, off offset:48
	v_mov_b32_e32 v45, 0
	ds_load_2addr_b64 v[76:79], v45 offset0:29 offset1:30
	ds_load_2addr_b64 v[80:83], v45 offset0:31 offset1:32
	;; [unrolled: 1-line block ×7, first 2 shown]
	ds_load_b64 v[108:109], v45 offset:344
	s_mov_b32 s0, exec_lo
	s_wait_loadcnt_dscnt 0x807
	v_mul_f32_e32 v46, v76, v49
	v_dual_mul_f32 v49, v77, v49 :: v_dual_mul_f32 v110, v78, v51
	s_wait_loadcnt_dscnt 0x706
	v_mul_f32_e32 v111, v80, v53
	v_mul_f32_e32 v51, v79, v51
	s_wait_loadcnt_dscnt 0x302
	v_mul_f32_e32 v120, v98, v71
	v_fma_f32 v49, v76, v48, -v49
	s_wait_loadcnt_dscnt 0x100
	v_dual_mul_f32 v123, v108, v105 :: v_dual_fmac_f32 v46, v77, v48
	v_mul_f32_e32 v48, v81, v53
	s_delay_alu instid0(VALU_DEP_3) | instskip(SKIP_1) | instid1(VALU_DEP_4)
	v_dual_fmac_f32 v110, v79, v50 :: v_dual_add_f32 v49, 0, v49
	v_fma_f32 v50, v78, v50, -v51
	v_dual_add_f32 v46, 0, v46 :: v_dual_mul_f32 v51, v83, v55
	v_fmac_f32_e32 v111, v81, v52
	v_fma_f32 v48, v80, v52, -v48
	v_dual_mul_f32 v112, v82, v55 :: v_dual_mul_f32 v113, v84, v57
	s_delay_alu instid0(VALU_DEP_4)
	v_add_f32_e32 v46, v46, v110
	v_add_f32_e32 v49, v49, v50
	v_mul_f32_e32 v50, v85, v57
	v_fma_f32 v51, v82, v54, -v51
	v_dual_mul_f32 v116, v90, v63 :: v_dual_mul_f32 v117, v92, v65
	v_add_f32_e32 v46, v46, v111
	v_dual_add_f32 v48, v49, v48 :: v_dual_mul_f32 v49, v87, v59
	v_fma_f32 v50, v84, v56, -v50
	v_dual_mul_f32 v118, v94, v67 :: v_dual_mul_f32 v119, v96, v69
	s_delay_alu instid0(VALU_DEP_3) | instskip(NEXT) | instid1(VALU_DEP_4)
	v_dual_add_f32 v48, v48, v51 :: v_dual_mul_f32 v51, v89, v61
	v_fma_f32 v49, v86, v58, -v49
	v_dual_mul_f32 v121, v100, v73 :: v_dual_mul_f32 v122, v102, v75
	s_delay_alu instid0(VALU_DEP_3) | instskip(SKIP_3) | instid1(VALU_DEP_4)
	v_dual_add_f32 v48, v48, v50 :: v_dual_fmac_f32 v117, v93, v64
	v_dual_fmac_f32 v112, v83, v54 :: v_dual_fmac_f32 v113, v85, v56
	v_dual_mul_f32 v50, v91, v63 :: v_dual_fmac_f32 v119, v97, v68
	v_fma_f32 v51, v88, v60, -v51
	v_dual_add_f32 v48, v48, v49 :: v_dual_fmac_f32 v121, v101, v72
	s_delay_alu instid0(VALU_DEP_4) | instskip(NEXT) | instid1(VALU_DEP_4)
	v_dual_add_f32 v46, v46, v112 :: v_dual_mul_f32 v49, v93, v65
	v_fma_f32 v50, v90, v62, -v50
	s_delay_alu instid0(VALU_DEP_3) | instskip(SKIP_3) | instid1(VALU_DEP_4)
	v_dual_add_f32 v48, v48, v51 :: v_dual_fmac_f32 v123, v109, v104
	v_dual_mul_f32 v114, v86, v59 :: v_dual_mul_f32 v115, v88, v61
	v_mul_f32_e32 v51, v95, v67
	v_fma_f32 v49, v92, v64, -v49
	v_add_f32_e32 v48, v48, v50
	s_delay_alu instid0(VALU_DEP_4) | instskip(SKIP_4) | instid1(VALU_DEP_4)
	v_dual_fmac_f32 v114, v87, v58 :: v_dual_fmac_f32 v115, v89, v60
	v_add_f32_e32 v46, v46, v113
	v_mul_f32_e32 v50, v97, v69
	v_fma_f32 v51, v94, v66, -v51
	v_dual_add_f32 v48, v48, v49 :: v_dual_mul_f32 v49, v99, v71
	v_add_f32_e32 v46, v46, v114
	s_delay_alu instid0(VALU_DEP_4) | instskip(SKIP_1) | instid1(VALU_DEP_4)
	v_fma_f32 v50, v96, v68, -v50
	v_fmac_f32_e32 v116, v91, v62
	v_dual_add_f32 v48, v48, v51 :: v_dual_mul_f32 v51, v101, v73
	s_delay_alu instid0(VALU_DEP_4) | instskip(SKIP_2) | instid1(VALU_DEP_4)
	v_add_f32_e32 v46, v46, v115
	v_fma_f32 v49, v98, v70, -v49
	v_fmac_f32_e32 v118, v95, v66
	v_add_f32_e32 v48, v48, v50
	v_fmac_f32_e32 v120, v99, v70
	v_mul_f32_e32 v50, v103, v75
	v_fma_f32 v51, v100, v72, -v51
	v_fmac_f32_e32 v122, v103, v74
	v_add_f32_e32 v48, v48, v49
	v_dual_mul_f32 v49, v109, v105 :: v_dual_add_f32 v46, v46, v116
	v_fma_f32 v50, v102, v74, -v50
	s_delay_alu instid0(VALU_DEP_3) | instskip(NEXT) | instid1(VALU_DEP_3)
	v_add_f32_e32 v48, v48, v51
	v_fma_f32 v49, v108, v104, -v49
	s_delay_alu instid0(VALU_DEP_4) | instskip(NEXT) | instid1(VALU_DEP_3)
	v_add_f32_e32 v46, v46, v117
	v_add_f32_e32 v48, v48, v50
	s_delay_alu instid0(VALU_DEP_2) | instskip(NEXT) | instid1(VALU_DEP_2)
	v_add_f32_e32 v46, v46, v118
	v_add_f32_e32 v48, v48, v49
	s_delay_alu instid0(VALU_DEP_2) | instskip(SKIP_1) | instid1(VALU_DEP_2)
	v_add_f32_e32 v46, v46, v119
	s_wait_loadcnt 0x0
	v_sub_f32_e32 v48, v106, v48
	s_delay_alu instid0(VALU_DEP_2) | instskip(NEXT) | instid1(VALU_DEP_1)
	v_add_f32_e32 v46, v46, v120
	v_add_f32_e32 v46, v46, v121
	s_delay_alu instid0(VALU_DEP_1) | instskip(NEXT) | instid1(VALU_DEP_1)
	v_add_f32_e32 v46, v46, v122
	v_add_f32_e32 v46, v46, v123
	s_delay_alu instid0(VALU_DEP_1)
	v_sub_f32_e32 v49, v107, v46
	scratch_store_b64 off, v[48:49], off offset:48
	v_cmpx_lt_u32_e32 5, v0
	s_cbranch_execz .LBB85_135
; %bb.134:
	scratch_load_b64 v[48:49], off, off offset:40
	v_mov_b32_e32 v46, v45
	scratch_store_b64 off, v[45:46], off offset:40
	s_wait_loadcnt 0x0
	ds_store_b64 v47, v[48:49]
.LBB85_135:
	s_wait_alu 0xfffe
	s_or_b32 exec_lo, exec_lo, s0
	s_wait_storecnt_dscnt 0x0
	s_barrier_signal -1
	s_barrier_wait -1
	global_inv scope:SCOPE_SE
	s_clause 0x8
	scratch_load_b128 v[48:51], off, off offset:48
	scratch_load_b128 v[52:55], off, off offset:64
	;; [unrolled: 1-line block ×8, first 2 shown]
	scratch_load_b64 v[112:113], off, off offset:40
	ds_load_b128 v[80:83], v45 offset:224
	ds_load_b128 v[84:87], v45 offset:240
	;; [unrolled: 1-line block ×8, first 2 shown]
	s_mov_b32 s0, exec_lo
	s_wait_loadcnt_dscnt 0x807
	v_dual_mul_f32 v45, v80, v49 :: v_dual_mul_f32 v46, v82, v51
	v_mul_f32_e32 v49, v81, v49
	s_wait_loadcnt_dscnt 0x706
	v_dual_mul_f32 v51, v83, v51 :: v_dual_mul_f32 v114, v84, v53
	s_delay_alu instid0(VALU_DEP_3) | instskip(NEXT) | instid1(VALU_DEP_3)
	v_dual_mul_f32 v115, v86, v55 :: v_dual_fmac_f32 v46, v83, v50
	v_fma_f32 v49, v80, v48, -v49
	v_fmac_f32_e32 v45, v81, v48
	v_mul_f32_e32 v48, v85, v53
	v_fma_f32 v50, v82, v50, -v51
	v_mul_f32_e32 v51, v87, v55
	v_dual_add_f32 v49, 0, v49 :: v_dual_fmac_f32 v114, v85, v52
	s_delay_alu instid0(VALU_DEP_4) | instskip(SKIP_2) | instid1(VALU_DEP_3)
	v_fma_f32 v48, v84, v52, -v48
	s_wait_loadcnt_dscnt 0x605
	v_dual_mul_f32 v116, v88, v57 :: v_dual_mul_f32 v117, v90, v59
	v_add_f32_e32 v49, v49, v50
	v_fmac_f32_e32 v115, v87, v54
	v_fma_f32 v50, v86, v54, -v51
	s_wait_loadcnt_dscnt 0x504
	v_dual_mul_f32 v118, v92, v61 :: v_dual_mul_f32 v119, v94, v63
	v_dual_add_f32 v48, v49, v48 :: v_dual_mul_f32 v49, v91, v59
	v_fmac_f32_e32 v116, v89, v56
	s_wait_loadcnt_dscnt 0x403
	v_dual_mul_f32 v120, v96, v65 :: v_dual_mul_f32 v121, v98, v67
	s_delay_alu instid0(VALU_DEP_3) | instskip(SKIP_3) | instid1(VALU_DEP_4)
	v_dual_add_f32 v48, v48, v50 :: v_dual_add_f32 v45, 0, v45
	v_mul_f32_e32 v50, v93, v61
	v_fma_f32 v49, v90, v58, -v49
	v_dual_fmac_f32 v117, v91, v58 :: v_dual_fmac_f32 v118, v93, v60
	v_add_f32_e32 v45, v45, v46
	v_mul_f32_e32 v46, v89, v57
	v_fma_f32 v50, v92, v60, -v50
	v_dual_fmac_f32 v119, v95, v62 :: v_dual_fmac_f32 v120, v97, v64
	s_wait_loadcnt_dscnt 0x302
	v_dual_mul_f32 v122, v100, v69 :: v_dual_mul_f32 v123, v102, v71
	v_fma_f32 v46, v88, v56, -v46
	s_wait_loadcnt_dscnt 0x201
	v_dual_mul_f32 v124, v104, v73 :: v_dual_mul_f32 v125, v106, v75
	s_wait_loadcnt_dscnt 0x100
	v_dual_mul_f32 v126, v108, v77 :: v_dual_mul_f32 v127, v110, v79
	v_add_f32_e32 v46, v48, v46
	v_mul_f32_e32 v48, v95, v63
	v_dual_fmac_f32 v124, v105, v72 :: v_dual_fmac_f32 v125, v107, v74
	s_delay_alu instid0(VALU_DEP_4) | instskip(NEXT) | instid1(VALU_DEP_4)
	v_dual_fmac_f32 v126, v109, v76 :: v_dual_fmac_f32 v127, v111, v78
	v_dual_add_f32 v46, v46, v49 :: v_dual_add_f32 v45, v45, v114
	v_mul_f32_e32 v49, v97, v65
	v_fma_f32 v48, v94, v62, -v48
	v_fmac_f32_e32 v121, v99, v66
	s_delay_alu instid0(VALU_DEP_4)
	v_add_f32_e32 v46, v46, v50
	v_mul_f32_e32 v50, v99, v67
	v_add_f32_e32 v45, v45, v115
	v_fma_f32 v49, v96, v64, -v49
	v_fmac_f32_e32 v122, v101, v68
	v_add_f32_e32 v46, v46, v48
	v_mul_f32_e32 v48, v101, v69
	v_add_f32_e32 v45, v45, v116
	v_fma_f32 v50, v98, v66, -v50
	s_delay_alu instid0(VALU_DEP_4) | instskip(SKIP_1) | instid1(VALU_DEP_4)
	v_dual_fmac_f32 v123, v103, v70 :: v_dual_add_f32 v46, v46, v49
	v_mul_f32_e32 v49, v103, v71
	v_add_f32_e32 v45, v45, v117
	v_fma_f32 v48, v100, v68, -v48
	s_delay_alu instid0(VALU_DEP_4) | instskip(NEXT) | instid1(VALU_DEP_4)
	v_add_f32_e32 v46, v46, v50
	v_fma_f32 v49, v102, v70, -v49
	s_delay_alu instid0(VALU_DEP_4) | instskip(SKIP_1) | instid1(VALU_DEP_4)
	v_add_f32_e32 v45, v45, v118
	v_mul_f32_e32 v50, v105, v73
	v_add_f32_e32 v46, v46, v48
	v_mul_f32_e32 v48, v107, v75
	s_delay_alu instid0(VALU_DEP_4) | instskip(NEXT) | instid1(VALU_DEP_4)
	v_add_f32_e32 v45, v45, v119
	v_fma_f32 v50, v104, v72, -v50
	s_delay_alu instid0(VALU_DEP_4) | instskip(SKIP_1) | instid1(VALU_DEP_4)
	v_add_f32_e32 v46, v46, v49
	v_mul_f32_e32 v49, v109, v77
	v_add_f32_e32 v45, v45, v120
	v_fma_f32 v48, v106, v74, -v48
	s_delay_alu instid0(VALU_DEP_4) | instskip(NEXT) | instid1(VALU_DEP_3)
	v_add_f32_e32 v46, v46, v50
	v_dual_mul_f32 v50, v111, v79 :: v_dual_add_f32 v45, v45, v121
	v_fma_f32 v49, v108, v76, -v49
	s_delay_alu instid0(VALU_DEP_3) | instskip(NEXT) | instid1(VALU_DEP_3)
	v_add_f32_e32 v46, v46, v48
	v_fma_f32 v48, v110, v78, -v50
	s_delay_alu instid0(VALU_DEP_2) | instskip(NEXT) | instid1(VALU_DEP_1)
	v_dual_add_f32 v45, v45, v122 :: v_dual_add_f32 v46, v46, v49
	v_dual_add_f32 v45, v45, v123 :: v_dual_add_f32 v46, v46, v48
	s_delay_alu instid0(VALU_DEP_1) | instskip(NEXT) | instid1(VALU_DEP_1)
	v_add_f32_e32 v45, v45, v124
	v_add_f32_e32 v45, v45, v125
	s_delay_alu instid0(VALU_DEP_1) | instskip(SKIP_1) | instid1(VALU_DEP_1)
	v_add_f32_e32 v45, v45, v126
	s_wait_loadcnt 0x0
	v_dual_add_f32 v48, v45, v127 :: v_dual_sub_f32 v45, v112, v46
	s_delay_alu instid0(VALU_DEP_1)
	v_sub_f32_e32 v46, v113, v48
	scratch_store_b64 off, v[45:46], off offset:40
	v_cmpx_lt_u32_e32 4, v0
	s_cbranch_execz .LBB85_137
; %bb.136:
	scratch_load_b64 v[45:46], off, off offset:32
	v_mov_b32_e32 v48, 0
	s_delay_alu instid0(VALU_DEP_1)
	v_mov_b32_e32 v49, v48
	scratch_store_b64 off, v[48:49], off offset:32
	s_wait_loadcnt 0x0
	ds_store_b64 v47, v[45:46]
.LBB85_137:
	s_wait_alu 0xfffe
	s_or_b32 exec_lo, exec_lo, s0
	s_wait_storecnt_dscnt 0x0
	s_barrier_signal -1
	s_barrier_wait -1
	global_inv scope:SCOPE_SE
	s_clause 0x9
	scratch_load_b128 v[48:51], off, off offset:40
	scratch_load_b128 v[52:55], off, off offset:56
	;; [unrolled: 1-line block ×8, first 2 shown]
	scratch_load_b64 v[112:113], off, off offset:168
	scratch_load_b64 v[114:115], off, off offset:32
	v_mov_b32_e32 v45, 0
	ds_load_2addr_b64 v[80:83], v45 offset0:27 offset1:28
	ds_load_2addr_b64 v[84:87], v45 offset0:29 offset1:30
	;; [unrolled: 1-line block ×8, first 2 shown]
	ds_load_b64 v[116:117], v45 offset:344
	s_mov_b32 s0, exec_lo
	s_wait_loadcnt_dscnt 0x908
	v_mul_f32_e32 v46, v80, v49
	s_wait_loadcnt_dscnt 0x807
	v_dual_mul_f32 v118, v82, v51 :: v_dual_mul_f32 v119, v84, v53
	v_mul_f32_e32 v49, v81, v49
	s_delay_alu instid0(VALU_DEP_3)
	v_dual_mul_f32 v51, v83, v51 :: v_dual_fmac_f32 v46, v81, v48
	s_wait_loadcnt_dscnt 0x302
	v_mul_f32_e32 v130, v106, v75
	v_dual_mul_f32 v120, v86, v55 :: v_dual_mul_f32 v121, v88, v57
	s_wait_loadcnt_dscnt 0x100
	v_mul_f32_e32 v133, v116, v113
	v_fma_f32 v49, v80, v48, -v49
	v_mul_f32_e32 v48, v85, v53
	v_fmac_f32_e32 v118, v83, v50
	v_fma_f32 v50, v82, v50, -v51
	v_dual_add_f32 v46, 0, v46 :: v_dual_mul_f32 v51, v87, v55
	v_add_f32_e32 v49, 0, v49
	v_fmac_f32_e32 v119, v85, v52
	v_fma_f32 v48, v84, v52, -v48
	s_delay_alu instid0(VALU_DEP_4)
	v_add_f32_e32 v46, v46, v118
	v_fma_f32 v51, v86, v54, -v51
	v_add_f32_e32 v49, v49, v50
	v_mul_f32_e32 v50, v89, v57
	v_dual_mul_f32 v124, v94, v63 :: v_dual_mul_f32 v125, v96, v65
	v_add_f32_e32 v46, v46, v119
	s_delay_alu instid0(VALU_DEP_4) | instskip(NEXT) | instid1(VALU_DEP_4)
	v_dual_add_f32 v48, v49, v48 :: v_dual_mul_f32 v49, v91, v59
	v_fma_f32 v50, v88, v56, -v50
	v_dual_mul_f32 v126, v98, v67 :: v_dual_mul_f32 v127, v100, v69
	s_delay_alu instid0(VALU_DEP_3) | instskip(NEXT) | instid1(VALU_DEP_4)
	v_dual_add_f32 v48, v48, v51 :: v_dual_mul_f32 v51, v93, v61
	v_fma_f32 v49, v90, v58, -v49
	v_dual_mul_f32 v128, v102, v71 :: v_dual_mul_f32 v129, v104, v73
	s_delay_alu instid0(VALU_DEP_3) | instskip(SKIP_3) | instid1(VALU_DEP_4)
	v_dual_add_f32 v48, v48, v50 :: v_dual_fmac_f32 v125, v97, v64
	v_dual_fmac_f32 v120, v87, v54 :: v_dual_fmac_f32 v121, v89, v56
	v_dual_mul_f32 v50, v95, v63 :: v_dual_fmac_f32 v127, v101, v68
	v_fma_f32 v51, v92, v60, -v51
	v_dual_add_f32 v48, v48, v49 :: v_dual_fmac_f32 v129, v105, v72
	v_dual_mul_f32 v131, v108, v77 :: v_dual_mul_f32 v132, v110, v79
	v_dual_add_f32 v46, v46, v120 :: v_dual_mul_f32 v49, v97, v65
	v_fma_f32 v50, v94, v62, -v50
	s_delay_alu instid0(VALU_DEP_3) | instskip(SKIP_3) | instid1(VALU_DEP_4)
	v_dual_add_f32 v48, v48, v51 :: v_dual_fmac_f32 v131, v109, v76
	v_dual_mul_f32 v122, v90, v59 :: v_dual_mul_f32 v123, v92, v61
	v_mul_f32_e32 v51, v99, v67
	v_fma_f32 v49, v96, v64, -v49
	v_add_f32_e32 v48, v48, v50
	s_delay_alu instid0(VALU_DEP_4) | instskip(SKIP_4) | instid1(VALU_DEP_4)
	v_dual_fmac_f32 v122, v91, v58 :: v_dual_fmac_f32 v123, v93, v60
	v_add_f32_e32 v46, v46, v121
	v_mul_f32_e32 v50, v101, v69
	v_fma_f32 v51, v98, v66, -v51
	v_dual_add_f32 v48, v48, v49 :: v_dual_mul_f32 v49, v103, v71
	v_add_f32_e32 v46, v46, v122
	s_delay_alu instid0(VALU_DEP_4) | instskip(SKIP_1) | instid1(VALU_DEP_4)
	v_fma_f32 v50, v100, v68, -v50
	v_fmac_f32_e32 v124, v95, v62
	v_dual_add_f32 v48, v48, v51 :: v_dual_mul_f32 v51, v105, v73
	s_delay_alu instid0(VALU_DEP_4) | instskip(SKIP_1) | instid1(VALU_DEP_3)
	v_dual_add_f32 v46, v46, v123 :: v_dual_fmac_f32 v133, v117, v112
	v_fma_f32 v49, v102, v70, -v49
	v_add_f32_e32 v48, v48, v50
	v_fmac_f32_e32 v126, v99, v66
	v_fmac_f32_e32 v128, v103, v70
	v_mul_f32_e32 v50, v107, v75
	v_fma_f32 v51, v104, v72, -v51
	v_add_f32_e32 v48, v48, v49
	v_dual_mul_f32 v49, v109, v77 :: v_dual_add_f32 v46, v46, v124
	v_fmac_f32_e32 v130, v107, v74
	v_fma_f32 v50, v106, v74, -v50
	s_delay_alu instid0(VALU_DEP_4) | instskip(NEXT) | instid1(VALU_DEP_4)
	v_add_f32_e32 v48, v48, v51
	v_dual_mul_f32 v51, v111, v79 :: v_dual_add_f32 v46, v46, v125
	v_fma_f32 v49, v108, v76, -v49
	v_fmac_f32_e32 v132, v111, v78
	s_delay_alu instid0(VALU_DEP_4) | instskip(SKIP_3) | instid1(VALU_DEP_4)
	v_add_f32_e32 v48, v48, v50
	v_mul_f32_e32 v50, v117, v113
	v_add_f32_e32 v46, v46, v126
	v_fma_f32 v51, v110, v78, -v51
	v_add_f32_e32 v48, v48, v49
	s_delay_alu instid0(VALU_DEP_4) | instskip(NEXT) | instid1(VALU_DEP_4)
	v_fma_f32 v49, v116, v112, -v50
	v_add_f32_e32 v46, v46, v127
	s_delay_alu instid0(VALU_DEP_3) | instskip(NEXT) | instid1(VALU_DEP_2)
	v_add_f32_e32 v48, v48, v51
	v_add_f32_e32 v46, v46, v128
	s_delay_alu instid0(VALU_DEP_2) | instskip(NEXT) | instid1(VALU_DEP_2)
	v_add_f32_e32 v48, v48, v49
	v_add_f32_e32 v46, v46, v129
	s_wait_loadcnt 0x0
	s_delay_alu instid0(VALU_DEP_2) | instskip(NEXT) | instid1(VALU_DEP_2)
	v_sub_f32_e32 v48, v114, v48
	v_add_f32_e32 v46, v46, v130
	s_delay_alu instid0(VALU_DEP_1) | instskip(NEXT) | instid1(VALU_DEP_1)
	v_add_f32_e32 v46, v46, v131
	v_add_f32_e32 v46, v46, v132
	s_delay_alu instid0(VALU_DEP_1) | instskip(NEXT) | instid1(VALU_DEP_1)
	v_add_f32_e32 v46, v46, v133
	v_sub_f32_e32 v49, v115, v46
	scratch_store_b64 off, v[48:49], off offset:32
	v_cmpx_lt_u32_e32 3, v0
	s_cbranch_execz .LBB85_139
; %bb.138:
	scratch_load_b64 v[48:49], off, off offset:24
	v_mov_b32_e32 v46, v45
	scratch_store_b64 off, v[45:46], off offset:24
	s_wait_loadcnt 0x0
	ds_store_b64 v47, v[48:49]
.LBB85_139:
	s_wait_alu 0xfffe
	s_or_b32 exec_lo, exec_lo, s0
	s_wait_storecnt_dscnt 0x0
	s_barrier_signal -1
	s_barrier_wait -1
	global_inv scope:SCOPE_SE
	s_clause 0x9
	scratch_load_b128 v[48:51], off, off offset:32
	scratch_load_b128 v[52:55], off, off offset:48
	;; [unrolled: 1-line block ×9, first 2 shown]
	scratch_load_b64 v[120:121], off, off offset:24
	ds_load_b128 v[84:87], v45 offset:208
	ds_load_b128 v[88:91], v45 offset:224
	ds_load_b128 v[92:95], v45 offset:240
	ds_load_b128 v[96:99], v45 offset:256
	ds_load_b128 v[100:103], v45 offset:272
	ds_load_b128 v[104:107], v45 offset:288
	ds_load_b128 v[108:111], v45 offset:304
	ds_load_b128 v[112:115], v45 offset:320
	ds_load_b128 v[116:119], v45 offset:336
	s_mov_b32 s0, exec_lo
	s_wait_loadcnt_dscnt 0x908
	v_dual_mul_f32 v45, v84, v49 :: v_dual_mul_f32 v46, v86, v51
	v_mul_f32_e32 v49, v85, v49
	s_wait_loadcnt_dscnt 0x807
	v_dual_mul_f32 v51, v87, v51 :: v_dual_mul_f32 v122, v88, v53
	s_delay_alu instid0(VALU_DEP_3) | instskip(NEXT) | instid1(VALU_DEP_3)
	v_dual_mul_f32 v123, v90, v55 :: v_dual_fmac_f32 v46, v87, v50
	v_fma_f32 v49, v84, v48, -v49
	v_fmac_f32_e32 v45, v85, v48
	v_mul_f32_e32 v48, v89, v53
	v_fma_f32 v50, v86, v50, -v51
	v_mul_f32_e32 v51, v91, v55
	v_dual_add_f32 v49, 0, v49 :: v_dual_fmac_f32 v122, v89, v52
	s_delay_alu instid0(VALU_DEP_4) | instskip(SKIP_2) | instid1(VALU_DEP_3)
	v_fma_f32 v48, v88, v52, -v48
	s_wait_loadcnt_dscnt 0x706
	v_dual_mul_f32 v124, v92, v57 :: v_dual_mul_f32 v125, v94, v59
	v_add_f32_e32 v49, v49, v50
	v_fmac_f32_e32 v123, v91, v54
	v_fma_f32 v50, v90, v54, -v51
	s_wait_loadcnt_dscnt 0x605
	v_dual_mul_f32 v126, v96, v61 :: v_dual_mul_f32 v127, v98, v63
	v_dual_add_f32 v48, v49, v48 :: v_dual_mul_f32 v49, v95, v59
	v_fmac_f32_e32 v124, v93, v56
	s_wait_loadcnt_dscnt 0x504
	v_dual_mul_f32 v128, v100, v65 :: v_dual_mul_f32 v129, v102, v67
	s_delay_alu instid0(VALU_DEP_3) | instskip(SKIP_3) | instid1(VALU_DEP_4)
	v_dual_add_f32 v48, v48, v50 :: v_dual_add_f32 v45, 0, v45
	v_mul_f32_e32 v50, v97, v61
	v_fma_f32 v49, v94, v58, -v49
	v_dual_fmac_f32 v125, v95, v58 :: v_dual_fmac_f32 v126, v97, v60
	v_add_f32_e32 v45, v45, v46
	v_mul_f32_e32 v46, v93, v57
	v_fma_f32 v50, v96, v60, -v50
	v_dual_fmac_f32 v127, v99, v62 :: v_dual_fmac_f32 v128, v101, v64
	s_wait_loadcnt_dscnt 0x403
	v_dual_mul_f32 v130, v104, v69 :: v_dual_mul_f32 v131, v106, v71
	v_fma_f32 v46, v92, v56, -v46
	s_wait_loadcnt_dscnt 0x302
	v_dual_mul_f32 v132, v108, v73 :: v_dual_mul_f32 v133, v110, v75
	s_wait_loadcnt_dscnt 0x201
	v_dual_mul_f32 v134, v112, v77 :: v_dual_mul_f32 v135, v114, v79
	v_add_f32_e32 v46, v48, v46
	v_mul_f32_e32 v48, v99, v63
	v_dual_fmac_f32 v132, v109, v72 :: v_dual_fmac_f32 v133, v111, v74
	s_delay_alu instid0(VALU_DEP_4) | instskip(NEXT) | instid1(VALU_DEP_4)
	v_dual_fmac_f32 v134, v113, v76 :: v_dual_fmac_f32 v135, v115, v78
	v_dual_add_f32 v46, v46, v49 :: v_dual_add_f32 v45, v45, v122
	v_mul_f32_e32 v49, v101, v65
	v_fma_f32 v48, v98, v62, -v48
	v_fmac_f32_e32 v129, v103, v66
	s_delay_alu instid0(VALU_DEP_4)
	v_add_f32_e32 v46, v46, v50
	v_mul_f32_e32 v50, v103, v67
	v_add_f32_e32 v45, v45, v123
	v_fma_f32 v49, v100, v64, -v49
	v_fmac_f32_e32 v130, v105, v68
	v_add_f32_e32 v46, v46, v48
	v_mul_f32_e32 v48, v105, v69
	v_add_f32_e32 v45, v45, v124
	v_fma_f32 v50, v102, v66, -v50
	s_delay_alu instid0(VALU_DEP_4) | instskip(SKIP_1) | instid1(VALU_DEP_4)
	v_dual_fmac_f32 v131, v107, v70 :: v_dual_add_f32 v46, v46, v49
	v_mul_f32_e32 v49, v107, v71
	v_add_f32_e32 v45, v45, v125
	v_fma_f32 v48, v104, v68, -v48
	s_wait_loadcnt_dscnt 0x100
	v_dual_mul_f32 v136, v116, v81 :: v_dual_mul_f32 v137, v118, v83
	v_add_f32_e32 v46, v46, v50
	v_add_f32_e32 v45, v45, v126
	v_fma_f32 v49, v106, v70, -v49
	v_mul_f32_e32 v50, v109, v73
	v_dual_fmac_f32 v136, v117, v80 :: v_dual_fmac_f32 v137, v119, v82
	s_delay_alu instid0(VALU_DEP_4) | instskip(SKIP_1) | instid1(VALU_DEP_4)
	v_dual_add_f32 v46, v46, v48 :: v_dual_add_f32 v45, v45, v127
	v_mul_f32_e32 v48, v111, v75
	v_fma_f32 v50, v108, v72, -v50
	s_delay_alu instid0(VALU_DEP_3) | instskip(SKIP_1) | instid1(VALU_DEP_4)
	v_dual_add_f32 v46, v46, v49 :: v_dual_add_f32 v45, v45, v128
	v_mul_f32_e32 v49, v113, v77
	v_fma_f32 v48, v110, v74, -v48
	s_delay_alu instid0(VALU_DEP_3) | instskip(SKIP_1) | instid1(VALU_DEP_4)
	;; [unrolled: 4-line block ×4, first 2 shown]
	v_dual_add_f32 v46, v46, v49 :: v_dual_add_f32 v45, v45, v131
	v_mul_f32_e32 v49, v119, v83
	v_fma_f32 v48, v116, v80, -v48
	s_delay_alu instid0(VALU_DEP_3) | instskip(NEXT) | instid1(VALU_DEP_3)
	v_dual_add_f32 v46, v46, v50 :: v_dual_add_f32 v45, v45, v132
	v_fma_f32 v49, v118, v82, -v49
	s_delay_alu instid0(VALU_DEP_2) | instskip(NEXT) | instid1(VALU_DEP_1)
	v_dual_add_f32 v46, v46, v48 :: v_dual_add_f32 v45, v45, v133
	v_dual_add_f32 v46, v46, v49 :: v_dual_add_f32 v45, v45, v134
	s_delay_alu instid0(VALU_DEP_1) | instskip(NEXT) | instid1(VALU_DEP_1)
	v_add_f32_e32 v45, v45, v135
	v_add_f32_e32 v45, v45, v136
	s_wait_loadcnt 0x0
	s_delay_alu instid0(VALU_DEP_1) | instskip(NEXT) | instid1(VALU_DEP_1)
	v_dual_add_f32 v48, v45, v137 :: v_dual_sub_f32 v45, v120, v46
	v_sub_f32_e32 v46, v121, v48
	scratch_store_b64 off, v[45:46], off offset:24
	v_cmpx_lt_u32_e32 2, v0
	s_cbranch_execz .LBB85_141
; %bb.140:
	scratch_load_b64 v[45:46], off, off offset:16
	v_mov_b32_e32 v48, 0
	s_delay_alu instid0(VALU_DEP_1)
	v_mov_b32_e32 v49, v48
	scratch_store_b64 off, v[48:49], off offset:16
	s_wait_loadcnt 0x0
	ds_store_b64 v47, v[45:46]
.LBB85_141:
	s_wait_alu 0xfffe
	s_or_b32 exec_lo, exec_lo, s0
	s_wait_storecnt_dscnt 0x0
	s_barrier_signal -1
	s_barrier_wait -1
	global_inv scope:SCOPE_SE
	s_clause 0xa
	scratch_load_b128 v[48:51], off, off offset:24
	scratch_load_b128 v[52:55], off, off offset:40
	;; [unrolled: 1-line block ×9, first 2 shown]
	scratch_load_b64 v[120:121], off, off offset:168
	scratch_load_b64 v[122:123], off, off offset:16
	v_mov_b32_e32 v45, 0
	ds_load_2addr_b64 v[84:87], v45 offset0:25 offset1:26
	ds_load_2addr_b64 v[88:91], v45 offset0:27 offset1:28
	;; [unrolled: 1-line block ×9, first 2 shown]
	ds_load_b64 v[124:125], v45 offset:344
	s_mov_b32 s0, exec_lo
	s_wait_loadcnt_dscnt 0xa09
	v_mul_f32_e32 v46, v84, v49
	s_wait_loadcnt_dscnt 0x908
	v_dual_mul_f32 v126, v86, v51 :: v_dual_mul_f32 v127, v88, v53
	v_mul_f32_e32 v49, v85, v49
	s_delay_alu instid0(VALU_DEP_3)
	v_dual_mul_f32 v51, v87, v51 :: v_dual_fmac_f32 v46, v85, v48
	s_wait_loadcnt_dscnt 0x807
	v_dual_mul_f32 v128, v90, v55 :: v_dual_mul_f32 v129, v92, v57
	s_wait_loadcnt_dscnt 0x100
	v_dual_mul_f32 v140, v114, v79 :: v_dual_mul_f32 v143, v124, v121
	v_fma_f32 v49, v84, v48, -v49
	v_mul_f32_e32 v48, v89, v53
	v_fmac_f32_e32 v126, v87, v50
	v_fma_f32 v50, v86, v50, -v51
	v_dual_add_f32 v46, 0, v46 :: v_dual_mul_f32 v51, v91, v55
	v_add_f32_e32 v49, 0, v49
	v_fmac_f32_e32 v127, v89, v52
	v_fma_f32 v48, v88, v52, -v48
	s_delay_alu instid0(VALU_DEP_4)
	v_add_f32_e32 v46, v46, v126
	v_fma_f32 v51, v90, v54, -v51
	v_add_f32_e32 v49, v49, v50
	v_mul_f32_e32 v50, v93, v57
	v_dual_mul_f32 v132, v98, v63 :: v_dual_mul_f32 v133, v100, v65
	v_add_f32_e32 v46, v46, v127
	s_delay_alu instid0(VALU_DEP_4) | instskip(NEXT) | instid1(VALU_DEP_4)
	v_dual_add_f32 v48, v49, v48 :: v_dual_mul_f32 v49, v95, v59
	v_fma_f32 v50, v92, v56, -v50
	v_dual_mul_f32 v134, v102, v67 :: v_dual_mul_f32 v135, v104, v69
	s_delay_alu instid0(VALU_DEP_3) | instskip(NEXT) | instid1(VALU_DEP_4)
	v_dual_add_f32 v48, v48, v51 :: v_dual_mul_f32 v51, v97, v61
	v_fma_f32 v49, v94, v58, -v49
	v_dual_mul_f32 v136, v106, v71 :: v_dual_mul_f32 v137, v108, v73
	s_delay_alu instid0(VALU_DEP_3) | instskip(SKIP_3) | instid1(VALU_DEP_4)
	v_dual_add_f32 v48, v48, v50 :: v_dual_fmac_f32 v133, v101, v64
	v_dual_fmac_f32 v128, v91, v54 :: v_dual_fmac_f32 v129, v93, v56
	v_dual_mul_f32 v50, v99, v63 :: v_dual_fmac_f32 v135, v105, v68
	v_fma_f32 v51, v96, v60, -v51
	v_dual_add_f32 v48, v48, v49 :: v_dual_fmac_f32 v137, v109, v72
	v_dual_mul_f32 v138, v110, v75 :: v_dual_mul_f32 v139, v112, v77
	v_dual_add_f32 v46, v46, v128 :: v_dual_mul_f32 v49, v101, v65
	v_fma_f32 v50, v98, v62, -v50
	s_delay_alu instid0(VALU_DEP_3) | instskip(SKIP_1) | instid1(VALU_DEP_4)
	v_dual_add_f32 v48, v48, v51 :: v_dual_fmac_f32 v139, v113, v76
	v_mul_f32_e32 v51, v103, v67
	v_fma_f32 v49, v100, v64, -v49
	v_dual_mul_f32 v130, v94, v59 :: v_dual_mul_f32 v131, v96, v61
	s_delay_alu instid0(VALU_DEP_4) | instskip(SKIP_2) | instid1(VALU_DEP_4)
	v_add_f32_e32 v48, v48, v50
	v_mul_f32_e32 v50, v105, v69
	v_fma_f32 v51, v102, v66, -v51
	v_dual_fmac_f32 v130, v95, v58 :: v_dual_fmac_f32 v131, v97, v60
	s_delay_alu instid0(VALU_DEP_4) | instskip(SKIP_2) | instid1(VALU_DEP_3)
	v_dual_add_f32 v48, v48, v49 :: v_dual_fmac_f32 v143, v125, v120
	v_dual_add_f32 v46, v46, v129 :: v_dual_mul_f32 v49, v107, v71
	v_fma_f32 v50, v104, v68, -v50
	v_dual_add_f32 v48, v48, v51 :: v_dual_mul_f32 v51, v109, v73
	s_delay_alu instid0(VALU_DEP_3) | instskip(NEXT) | instid1(VALU_DEP_4)
	v_add_f32_e32 v46, v46, v130
	v_fma_f32 v49, v106, v70, -v49
	v_dual_mul_f32 v141, v116, v81 :: v_dual_mul_f32 v142, v118, v83
	s_delay_alu instid0(VALU_DEP_4)
	v_add_f32_e32 v48, v48, v50
	v_mul_f32_e32 v50, v111, v75
	v_fma_f32 v51, v108, v72, -v51
	v_fmac_f32_e32 v132, v99, v62
	v_dual_add_f32 v46, v46, v131 :: v_dual_fmac_f32 v141, v117, v80
	v_add_f32_e32 v48, v48, v49
	v_mul_f32_e32 v49, v113, v77
	v_fma_f32 v50, v110, v74, -v50
	s_delay_alu instid0(VALU_DEP_4)
	v_add_f32_e32 v46, v46, v132
	v_fmac_f32_e32 v134, v103, v66
	v_add_f32_e32 v48, v48, v51
	v_mul_f32_e32 v51, v115, v79
	v_fma_f32 v49, v112, v76, -v49
	v_fmac_f32_e32 v136, v107, v70
	v_fmac_f32_e32 v138, v111, v74
	v_add_f32_e32 v48, v48, v50
	v_fma_f32 v51, v114, v78, -v51
	v_mul_f32_e32 v50, v117, v81
	v_fmac_f32_e32 v140, v115, v78
	v_fmac_f32_e32 v142, v119, v82
	v_dual_add_f32 v48, v48, v49 :: v_dual_mul_f32 v49, v119, v83
	v_add_f32_e32 v46, v46, v133
	v_fma_f32 v50, v116, v80, -v50
	s_delay_alu instid0(VALU_DEP_3) | instskip(NEXT) | instid1(VALU_DEP_3)
	v_dual_add_f32 v48, v48, v51 :: v_dual_mul_f32 v51, v125, v121
	v_add_f32_e32 v46, v46, v134
	v_fma_f32 v49, v118, v82, -v49
	s_delay_alu instid0(VALU_DEP_3) | instskip(NEXT) | instid1(VALU_DEP_4)
	v_add_f32_e32 v48, v48, v50
	v_fma_f32 v50, v124, v120, -v51
	s_delay_alu instid0(VALU_DEP_4) | instskip(NEXT) | instid1(VALU_DEP_3)
	v_add_f32_e32 v46, v46, v135
	v_add_f32_e32 v48, v48, v49
	s_delay_alu instid0(VALU_DEP_2) | instskip(NEXT) | instid1(VALU_DEP_2)
	v_add_f32_e32 v46, v46, v136
	v_add_f32_e32 v48, v48, v50
	s_delay_alu instid0(VALU_DEP_2) | instskip(SKIP_1) | instid1(VALU_DEP_2)
	v_add_f32_e32 v46, v46, v137
	s_wait_loadcnt 0x0
	v_sub_f32_e32 v48, v122, v48
	s_delay_alu instid0(VALU_DEP_2) | instskip(NEXT) | instid1(VALU_DEP_1)
	v_add_f32_e32 v46, v46, v138
	v_add_f32_e32 v46, v46, v139
	s_delay_alu instid0(VALU_DEP_1) | instskip(NEXT) | instid1(VALU_DEP_1)
	v_add_f32_e32 v46, v46, v140
	v_add_f32_e32 v46, v46, v141
	s_delay_alu instid0(VALU_DEP_1) | instskip(NEXT) | instid1(VALU_DEP_1)
	v_add_f32_e32 v46, v46, v142
	v_add_f32_e32 v46, v46, v143
	s_delay_alu instid0(VALU_DEP_1)
	v_sub_f32_e32 v49, v123, v46
	scratch_store_b64 off, v[48:49], off offset:16
	v_cmpx_lt_u32_e32 1, v0
	s_cbranch_execz .LBB85_143
; %bb.142:
	scratch_load_b64 v[48:49], off, off offset:8
	v_mov_b32_e32 v46, v45
	scratch_store_b64 off, v[45:46], off offset:8
	s_wait_loadcnt 0x0
	ds_store_b64 v47, v[48:49]
.LBB85_143:
	s_wait_alu 0xfffe
	s_or_b32 exec_lo, exec_lo, s0
	s_wait_storecnt_dscnt 0x0
	s_barrier_signal -1
	s_barrier_wait -1
	global_inv scope:SCOPE_SE
	s_clause 0xa
	scratch_load_b128 v[48:51], off, off offset:16
	scratch_load_b128 v[52:55], off, off offset:32
	;; [unrolled: 1-line block ×10, first 2 shown]
	scratch_load_b64 v[128:129], off, off offset:8
	ds_load_b128 v[88:91], v45 offset:192
	ds_load_b128 v[92:95], v45 offset:208
	;; [unrolled: 1-line block ×10, first 2 shown]
	s_mov_b32 s0, exec_lo
	s_wait_loadcnt_dscnt 0xa09
	v_dual_mul_f32 v45, v88, v49 :: v_dual_mul_f32 v46, v90, v51
	v_mul_f32_e32 v49, v89, v49
	s_wait_loadcnt_dscnt 0x908
	v_dual_mul_f32 v51, v91, v51 :: v_dual_mul_f32 v130, v92, v53
	s_delay_alu instid0(VALU_DEP_3) | instskip(NEXT) | instid1(VALU_DEP_3)
	v_dual_mul_f32 v131, v94, v55 :: v_dual_fmac_f32 v46, v91, v50
	v_fma_f32 v49, v88, v48, -v49
	v_fmac_f32_e32 v45, v89, v48
	v_mul_f32_e32 v48, v93, v53
	v_fma_f32 v50, v90, v50, -v51
	v_mul_f32_e32 v51, v95, v55
	v_dual_add_f32 v49, 0, v49 :: v_dual_fmac_f32 v130, v93, v52
	s_delay_alu instid0(VALU_DEP_4) | instskip(SKIP_2) | instid1(VALU_DEP_3)
	v_fma_f32 v48, v92, v52, -v48
	s_wait_loadcnt_dscnt 0x807
	v_dual_mul_f32 v132, v96, v57 :: v_dual_mul_f32 v133, v98, v59
	v_add_f32_e32 v49, v49, v50
	v_fmac_f32_e32 v131, v95, v54
	v_fma_f32 v50, v94, v54, -v51
	s_wait_loadcnt_dscnt 0x706
	v_dual_mul_f32 v134, v100, v61 :: v_dual_mul_f32 v135, v102, v63
	v_dual_add_f32 v48, v49, v48 :: v_dual_mul_f32 v49, v99, v59
	v_fmac_f32_e32 v132, v97, v56
	s_wait_loadcnt_dscnt 0x605
	v_dual_mul_f32 v136, v104, v65 :: v_dual_mul_f32 v137, v106, v67
	s_delay_alu instid0(VALU_DEP_3) | instskip(SKIP_3) | instid1(VALU_DEP_4)
	v_dual_add_f32 v48, v48, v50 :: v_dual_add_f32 v45, 0, v45
	v_mul_f32_e32 v50, v101, v61
	v_fma_f32 v49, v98, v58, -v49
	v_dual_fmac_f32 v133, v99, v58 :: v_dual_fmac_f32 v134, v101, v60
	v_add_f32_e32 v45, v45, v46
	v_mul_f32_e32 v46, v97, v57
	v_fma_f32 v50, v100, v60, -v50
	v_dual_fmac_f32 v135, v103, v62 :: v_dual_fmac_f32 v136, v105, v64
	s_wait_loadcnt_dscnt 0x504
	v_dual_mul_f32 v138, v108, v69 :: v_dual_mul_f32 v139, v110, v71
	v_fma_f32 v46, v96, v56, -v46
	s_wait_loadcnt_dscnt 0x403
	v_dual_mul_f32 v140, v112, v73 :: v_dual_mul_f32 v141, v114, v75
	s_wait_loadcnt_dscnt 0x302
	v_dual_mul_f32 v142, v116, v77 :: v_dual_mul_f32 v143, v118, v79
	v_add_f32_e32 v46, v48, v46
	v_mul_f32_e32 v48, v103, v63
	v_dual_fmac_f32 v140, v113, v72 :: v_dual_fmac_f32 v141, v115, v74
	s_delay_alu instid0(VALU_DEP_4) | instskip(NEXT) | instid1(VALU_DEP_4)
	v_dual_fmac_f32 v142, v117, v76 :: v_dual_fmac_f32 v143, v119, v78
	v_dual_add_f32 v46, v46, v49 :: v_dual_add_f32 v45, v45, v130
	v_mul_f32_e32 v49, v105, v65
	v_fma_f32 v48, v102, v62, -v48
	v_fmac_f32_e32 v137, v107, v66
	s_delay_alu instid0(VALU_DEP_4)
	v_add_f32_e32 v46, v46, v50
	v_mul_f32_e32 v50, v107, v67
	v_add_f32_e32 v45, v45, v131
	v_fma_f32 v49, v104, v64, -v49
	v_fmac_f32_e32 v138, v109, v68
	v_add_f32_e32 v46, v46, v48
	v_mul_f32_e32 v48, v109, v69
	v_add_f32_e32 v45, v45, v132
	v_fma_f32 v50, v106, v66, -v50
	s_delay_alu instid0(VALU_DEP_4) | instskip(SKIP_1) | instid1(VALU_DEP_4)
	v_dual_fmac_f32 v139, v111, v70 :: v_dual_add_f32 v46, v46, v49
	v_mul_f32_e32 v49, v111, v71
	v_add_f32_e32 v45, v45, v133
	v_fma_f32 v48, v108, v68, -v48
	s_wait_loadcnt_dscnt 0x201
	v_dual_mul_f32 v144, v120, v81 :: v_dual_mul_f32 v145, v122, v83
	v_add_f32_e32 v46, v46, v50
	v_add_f32_e32 v45, v45, v134
	v_fma_f32 v49, v110, v70, -v49
	v_mul_f32_e32 v50, v113, v73
	s_wait_loadcnt_dscnt 0x100
	v_dual_mul_f32 v146, v124, v85 :: v_dual_mul_f32 v147, v126, v87
	v_dual_add_f32 v46, v46, v48 :: v_dual_add_f32 v45, v45, v135
	v_mul_f32_e32 v48, v115, v75
	v_fma_f32 v50, v112, v72, -v50
	v_dual_fmac_f32 v144, v121, v80 :: v_dual_fmac_f32 v145, v123, v82
	s_delay_alu instid0(VALU_DEP_4) | instskip(SKIP_3) | instid1(VALU_DEP_4)
	v_dual_add_f32 v46, v46, v49 :: v_dual_add_f32 v45, v45, v136
	v_mul_f32_e32 v49, v117, v77
	v_fma_f32 v48, v114, v74, -v48
	v_fmac_f32_e32 v147, v127, v86
	v_dual_add_f32 v46, v46, v50 :: v_dual_add_f32 v45, v45, v137
	v_mul_f32_e32 v50, v119, v79
	v_fma_f32 v49, v116, v76, -v49
	s_delay_alu instid0(VALU_DEP_3) | instskip(SKIP_1) | instid1(VALU_DEP_4)
	v_dual_add_f32 v46, v46, v48 :: v_dual_add_f32 v45, v45, v138
	v_mul_f32_e32 v48, v121, v81
	v_fma_f32 v50, v118, v78, -v50
	s_delay_alu instid0(VALU_DEP_3) | instskip(SKIP_1) | instid1(VALU_DEP_4)
	;; [unrolled: 4-line block ×4, first 2 shown]
	v_dual_add_f32 v46, v46, v48 :: v_dual_add_f32 v45, v45, v141
	v_mul_f32_e32 v48, v127, v87
	v_fma_f32 v50, v124, v84, -v50
	s_delay_alu instid0(VALU_DEP_3) | instskip(NEXT) | instid1(VALU_DEP_3)
	v_dual_add_f32 v46, v46, v49 :: v_dual_add_f32 v45, v45, v142
	v_fma_f32 v48, v126, v86, -v48
	s_delay_alu instid0(VALU_DEP_2) | instskip(NEXT) | instid1(VALU_DEP_1)
	v_dual_add_f32 v46, v46, v50 :: v_dual_add_f32 v45, v45, v143
	v_add_f32_e32 v46, v46, v48
	s_delay_alu instid0(VALU_DEP_2) | instskip(SKIP_1) | instid1(VALU_DEP_2)
	v_add_f32_e32 v45, v45, v144
	v_fmac_f32_e32 v146, v125, v84
	v_add_f32_e32 v45, v45, v145
	s_delay_alu instid0(VALU_DEP_1) | instskip(SKIP_1) | instid1(VALU_DEP_1)
	v_add_f32_e32 v45, v45, v146
	s_wait_loadcnt 0x0
	v_dual_add_f32 v48, v45, v147 :: v_dual_sub_f32 v45, v128, v46
	s_delay_alu instid0(VALU_DEP_1)
	v_sub_f32_e32 v46, v129, v48
	scratch_store_b64 off, v[45:46], off offset:8
	v_cmpx_ne_u32_e32 0, v0
	s_cbranch_execz .LBB85_145
; %bb.144:
	scratch_load_b64 v[45:46], off, off
	v_mov_b32_e32 v48, 0
	s_delay_alu instid0(VALU_DEP_1)
	v_mov_b32_e32 v49, v48
	scratch_store_b64 off, v[48:49], off
	s_wait_loadcnt 0x0
	ds_store_b64 v47, v[45:46]
.LBB85_145:
	s_wait_alu 0xfffe
	s_or_b32 exec_lo, exec_lo, s0
	s_wait_storecnt_dscnt 0x0
	s_barrier_signal -1
	s_barrier_wait -1
	global_inv scope:SCOPE_SE
	s_clause 0xb
	scratch_load_b128 v[45:48], off, off offset:8
	scratch_load_b128 v[49:52], off, off offset:24
	;; [unrolled: 1-line block ×10, first 2 shown]
	scratch_load_b64 v[125:126], off, off offset:168
	scratch_load_b64 v[127:128], off, off
	v_mov_b32_e32 v0, 0
	ds_load_2addr_b64 v[85:88], v0 offset0:23 offset1:24
	ds_load_2addr_b64 v[89:92], v0 offset0:25 offset1:26
	ds_load_2addr_b64 v[93:96], v0 offset0:27 offset1:28
	ds_load_2addr_b64 v[97:100], v0 offset0:29 offset1:30
	ds_load_2addr_b64 v[101:104], v0 offset0:31 offset1:32
	ds_load_2addr_b64 v[105:108], v0 offset0:33 offset1:34
	ds_load_2addr_b64 v[109:112], v0 offset0:35 offset1:36
	ds_load_2addr_b64 v[113:116], v0 offset0:37 offset1:38
	ds_load_2addr_b64 v[117:120], v0 offset0:39 offset1:40
	ds_load_2addr_b64 v[121:124], v0 offset0:41 offset1:42
	ds_load_b64 v[129:130], v0 offset:344
	s_and_b32 vcc_lo, exec_lo, s12
	s_wait_loadcnt_dscnt 0xb0a
	v_dual_mul_f32 v131, v85, v46 :: v_dual_mul_f32 v132, v87, v48
	s_wait_loadcnt_dscnt 0xa09
	v_dual_mul_f32 v133, v89, v50 :: v_dual_mul_f32 v48, v88, v48
	;; [unrolled: 2-line block ×3, first 2 shown]
	v_dual_fmac_f32 v131, v86, v45 :: v_dual_fmac_f32 v132, v88, v47
	s_delay_alu instid0(VALU_DEP_3) | instskip(SKIP_1) | instid1(VALU_DEP_4)
	v_fmac_f32_e32 v133, v90, v49
	v_fma_f32 v47, v87, v47, -v48
	v_dual_fmac_f32 v134, v92, v51 :: v_dual_fmac_f32 v135, v94, v53
	s_delay_alu instid0(VALU_DEP_4)
	v_add_f32_e32 v48, 0, v131
	v_mul_f32_e32 v46, v86, v46
	s_wait_loadcnt_dscnt 0x807
	v_dual_mul_f32 v136, v95, v56 :: v_dual_mul_f32 v137, v97, v58
	s_wait_loadcnt_dscnt 0x706
	v_dual_mul_f32 v138, v99, v60 :: v_dual_mul_f32 v139, v101, v62
	v_fma_f32 v46, v85, v45, -v46
	v_dual_mul_f32 v45, v90, v50 :: v_dual_mul_f32 v50, v92, v52
	v_dual_fmac_f32 v136, v96, v55 :: v_dual_fmac_f32 v137, v98, v57
	s_delay_alu instid0(VALU_DEP_3) | instskip(NEXT) | instid1(VALU_DEP_3)
	v_add_f32_e32 v46, 0, v46
	v_fma_f32 v45, v89, v49, -v45
	s_delay_alu instid0(VALU_DEP_4) | instskip(SKIP_1) | instid1(VALU_DEP_4)
	v_fma_f32 v49, v91, v51, -v50
	v_dual_fmac_f32 v138, v100, v59 :: v_dual_fmac_f32 v139, v102, v61
	v_add_f32_e32 v46, v46, v47
	s_wait_loadcnt_dscnt 0x605
	v_dual_mul_f32 v140, v103, v64 :: v_dual_mul_f32 v141, v105, v66
	s_wait_loadcnt_dscnt 0x504
	v_dual_mul_f32 v142, v107, v68 :: v_dual_mul_f32 v143, v109, v70
	v_add_f32_e32 v45, v46, v45
	v_add_f32_e32 v47, v48, v132
	v_dual_fmac_f32 v140, v104, v63 :: v_dual_fmac_f32 v141, v106, v65
	s_wait_loadcnt_dscnt 0x403
	v_dual_mul_f32 v144, v111, v72 :: v_dual_mul_f32 v145, v113, v74
	s_delay_alu instid0(VALU_DEP_3)
	v_dual_add_f32 v46, v47, v133 :: v_dual_mul_f32 v47, v96, v56
	v_add_f32_e32 v45, v45, v49
	v_dual_mul_f32 v49, v98, v58 :: v_dual_mul_f32 v146, v115, v76
	s_wait_loadcnt_dscnt 0x302
	v_mul_f32_e32 v147, v117, v78
	v_fma_f32 v47, v95, v55, -v47
	v_mul_f32_e32 v48, v94, v54
	v_fma_f32 v49, v97, v57, -v49
	v_dual_fmac_f32 v145, v114, v73 :: v_dual_fmac_f32 v146, v116, v75
	s_wait_loadcnt_dscnt 0x201
	v_dual_mul_f32 v148, v119, v80 :: v_dual_mul_f32 v149, v121, v82
	v_fma_f32 v48, v93, v53, -v48
	v_add_f32_e32 v46, v46, v134
	s_delay_alu instid0(VALU_DEP_3) | instskip(SKIP_4) | instid1(VALU_DEP_3)
	v_dual_fmac_f32 v147, v118, v77 :: v_dual_fmac_f32 v148, v120, v79
	s_wait_loadcnt_dscnt 0x100
	v_dual_mul_f32 v150, v123, v84 :: v_dual_mul_f32 v151, v129, v126
	v_add_f32_e32 v45, v45, v48
	v_dual_mul_f32 v48, v100, v60 :: v_dual_fmac_f32 v149, v122, v81
	v_dual_fmac_f32 v150, v124, v83 :: v_dual_fmac_f32 v151, v130, v125
	s_delay_alu instid0(VALU_DEP_3) | instskip(SKIP_3) | instid1(VALU_DEP_4)
	v_add_f32_e32 v45, v45, v47
	v_add_f32_e32 v46, v46, v135
	v_mul_f32_e32 v47, v102, v62
	v_fma_f32 v48, v99, v59, -v48
	v_dual_fmac_f32 v142, v108, v67 :: v_dual_add_f32 v45, v45, v49
	v_mul_f32_e32 v49, v104, v64
	s_delay_alu instid0(VALU_DEP_4) | instskip(SKIP_1) | instid1(VALU_DEP_4)
	v_fma_f32 v47, v101, v61, -v47
	v_dual_fmac_f32 v143, v110, v69 :: v_dual_fmac_f32 v144, v112, v71
	v_add_f32_e32 v45, v45, v48
	v_add_f32_e32 v46, v46, v136
	v_mul_f32_e32 v48, v106, v66
	v_fma_f32 v49, v103, v63, -v49
	s_delay_alu instid0(VALU_DEP_3) | instskip(SKIP_1) | instid1(VALU_DEP_4)
	v_dual_add_f32 v45, v45, v47 :: v_dual_add_f32 v46, v46, v137
	v_mul_f32_e32 v47, v108, v68
	v_fma_f32 v48, v105, v65, -v48
	s_delay_alu instid0(VALU_DEP_3) | instskip(NEXT) | instid1(VALU_DEP_3)
	v_dual_add_f32 v45, v45, v49 :: v_dual_add_f32 v46, v46, v138
	v_fma_f32 v47, v107, v67, -v47
	v_mul_f32_e32 v49, v110, v70
	s_delay_alu instid0(VALU_DEP_3) | instskip(SKIP_1) | instid1(VALU_DEP_3)
	v_dual_add_f32 v45, v45, v48 :: v_dual_add_f32 v46, v46, v139
	v_mul_f32_e32 v48, v112, v72
	v_fma_f32 v49, v109, v69, -v49
	s_delay_alu instid0(VALU_DEP_3) | instskip(SKIP_1) | instid1(VALU_DEP_4)
	v_dual_add_f32 v45, v45, v47 :: v_dual_add_f32 v46, v46, v140
	v_mul_f32_e32 v47, v114, v74
	v_fma_f32 v48, v111, v71, -v48
	s_delay_alu instid0(VALU_DEP_3) | instskip(NEXT) | instid1(VALU_DEP_4)
	v_add_f32_e32 v45, v45, v49
	v_dual_add_f32 v46, v46, v141 :: v_dual_mul_f32 v49, v116, v76
	s_delay_alu instid0(VALU_DEP_4) | instskip(NEXT) | instid1(VALU_DEP_3)
	v_fma_f32 v47, v113, v73, -v47
	v_dual_add_f32 v45, v45, v48 :: v_dual_mul_f32 v48, v118, v78
	s_delay_alu instid0(VALU_DEP_3) | instskip(NEXT) | instid1(VALU_DEP_4)
	v_add_f32_e32 v46, v46, v142
	v_fma_f32 v49, v115, v75, -v49
	s_delay_alu instid0(VALU_DEP_3) | instskip(NEXT) | instid1(VALU_DEP_3)
	v_add_f32_e32 v45, v45, v47
	v_dual_mul_f32 v47, v120, v80 :: v_dual_add_f32 v46, v46, v143
	v_fma_f32 v48, v117, v77, -v48
	s_delay_alu instid0(VALU_DEP_2) | instskip(NEXT) | instid1(VALU_DEP_3)
	v_fma_f32 v47, v119, v79, -v47
	v_add_f32_e32 v46, v46, v144
	s_delay_alu instid0(VALU_DEP_1) | instskip(SKIP_2) | instid1(VALU_DEP_2)
	v_add_f32_e32 v46, v46, v145
	v_add_f32_e32 v45, v45, v49
	v_mul_f32_e32 v49, v122, v82
	v_dual_add_f32 v46, v46, v146 :: v_dual_add_f32 v45, v45, v48
	v_mul_f32_e32 v48, v124, v84
	s_delay_alu instid0(VALU_DEP_3) | instskip(NEXT) | instid1(VALU_DEP_3)
	v_fma_f32 v49, v121, v81, -v49
	v_add_f32_e32 v46, v46, v147
	s_delay_alu instid0(VALU_DEP_4) | instskip(SKIP_2) | instid1(VALU_DEP_4)
	v_add_f32_e32 v45, v45, v47
	v_mul_f32_e32 v47, v130, v126
	v_fma_f32 v48, v123, v83, -v48
	v_add_f32_e32 v46, v46, v148
	s_delay_alu instid0(VALU_DEP_3) | instskip(NEXT) | instid1(VALU_DEP_2)
	v_fma_f32 v47, v129, v125, -v47
	v_add_f32_e32 v46, v46, v149
	s_delay_alu instid0(VALU_DEP_1) | instskip(NEXT) | instid1(VALU_DEP_1)
	v_dual_add_f32 v45, v45, v49 :: v_dual_add_f32 v46, v46, v150
	v_add_f32_e32 v45, v45, v48
	s_delay_alu instid0(VALU_DEP_1) | instskip(SKIP_1) | instid1(VALU_DEP_1)
	v_add_f32_e32 v45, v45, v47
	s_wait_loadcnt 0x0
	v_dual_add_f32 v46, v46, v151 :: v_dual_sub_f32 v45, v127, v45
	s_delay_alu instid0(VALU_DEP_1)
	v_sub_f32_e32 v46, v128, v46
	scratch_store_b64 off, v[45:46], off
	s_wait_alu 0xfffe
	s_cbranch_vccz .LBB85_188
; %bb.146:
	global_load_b32 v0, v0, s[2:3] offset:80
	s_wait_loadcnt 0x0
	v_cmp_ne_u32_e32 vcc_lo, 21, v0
	s_cbranch_vccz .LBB85_148
; %bb.147:
	v_lshlrev_b32_e32 v0, 3, v0
	scratch_load_b64 v[45:46], v0, off offset:-8
	scratch_load_b64 v[47:48], off, off offset:160
	s_wait_loadcnt 0x1
	scratch_store_b64 off, v[45:46], off offset:160
	s_wait_loadcnt 0x0
	scratch_store_b64 v0, v[47:48], off offset:-8
.LBB85_148:
	v_mov_b32_e32 v0, 0
	global_load_b32 v45, v0, s[2:3] offset:76
	s_wait_loadcnt 0x0
	v_cmp_eq_u32_e32 vcc_lo, 20, v45
	s_cbranch_vccnz .LBB85_150
; %bb.149:
	v_lshlrev_b32_e32 v45, 3, v45
	s_delay_alu instid0(VALU_DEP_1)
	v_mov_b32_e32 v49, v45
	scratch_load_b64 v[45:46], v49, off offset:-8
	scratch_load_b64 v[47:48], off, off offset:152
	s_wait_loadcnt 0x1
	scratch_store_b64 off, v[45:46], off offset:152
	s_wait_loadcnt 0x0
	scratch_store_b64 v49, v[47:48], off offset:-8
.LBB85_150:
	global_load_b32 v0, v0, s[2:3] offset:72
	s_wait_loadcnt 0x0
	v_cmp_eq_u32_e32 vcc_lo, 19, v0
	s_cbranch_vccnz .LBB85_152
; %bb.151:
	v_lshlrev_b32_e32 v0, 3, v0
	scratch_load_b64 v[45:46], v0, off offset:-8
	scratch_load_b64 v[47:48], off, off offset:144
	s_wait_loadcnt 0x1
	scratch_store_b64 off, v[45:46], off offset:144
	s_wait_loadcnt 0x0
	scratch_store_b64 v0, v[47:48], off offset:-8
.LBB85_152:
	v_mov_b32_e32 v0, 0
	global_load_b32 v45, v0, s[2:3] offset:68
	s_wait_loadcnt 0x0
	v_cmp_eq_u32_e32 vcc_lo, 18, v45
	s_cbranch_vccnz .LBB85_154
; %bb.153:
	v_lshlrev_b32_e32 v45, 3, v45
	s_delay_alu instid0(VALU_DEP_1)
	v_mov_b32_e32 v49, v45
	scratch_load_b64 v[45:46], v49, off offset:-8
	scratch_load_b64 v[47:48], off, off offset:136
	s_wait_loadcnt 0x1
	scratch_store_b64 off, v[45:46], off offset:136
	s_wait_loadcnt 0x0
	scratch_store_b64 v49, v[47:48], off offset:-8
.LBB85_154:
	global_load_b32 v0, v0, s[2:3] offset:64
	s_wait_loadcnt 0x0
	v_cmp_eq_u32_e32 vcc_lo, 17, v0
	s_cbranch_vccnz .LBB85_156
; %bb.155:
	v_lshlrev_b32_e32 v0, 3, v0
	scratch_load_b64 v[45:46], v0, off offset:-8
	scratch_load_b64 v[47:48], off, off offset:128
	s_wait_loadcnt 0x1
	scratch_store_b64 off, v[45:46], off offset:128
	s_wait_loadcnt 0x0
	scratch_store_b64 v0, v[47:48], off offset:-8
.LBB85_156:
	;; [unrolled: 29-line block ×9, first 2 shown]
	v_mov_b32_e32 v0, 0
	global_load_b32 v45, v0, s[2:3] offset:4
	s_wait_loadcnt 0x0
	v_cmp_eq_u32_e32 vcc_lo, 2, v45
	s_cbranch_vccnz .LBB85_186
; %bb.185:
	v_lshlrev_b32_e32 v45, 3, v45
	s_delay_alu instid0(VALU_DEP_1)
	v_mov_b32_e32 v49, v45
	scratch_load_b64 v[45:46], v49, off offset:-8
	scratch_load_b64 v[47:48], off, off offset:8
	s_wait_loadcnt 0x1
	scratch_store_b64 off, v[45:46], off offset:8
	s_wait_loadcnt 0x0
	scratch_store_b64 v49, v[47:48], off offset:-8
.LBB85_186:
	global_load_b32 v0, v0, s[2:3]
	s_wait_loadcnt 0x0
	v_cmp_eq_u32_e32 vcc_lo, 1, v0
	s_cbranch_vccnz .LBB85_188
; %bb.187:
	v_lshlrev_b32_e32 v0, 3, v0
	scratch_load_b64 v[45:46], v0, off offset:-8
	scratch_load_b64 v[47:48], off, off
	s_wait_loadcnt 0x1
	scratch_store_b64 off, v[45:46], off
	s_wait_loadcnt 0x0
	scratch_store_b64 v0, v[47:48], off offset:-8
.LBB85_188:
	scratch_load_b64 v[45:46], off, off
	s_wait_loadcnt 0x0
	flat_store_b64 v[1:2], v[45:46]
	scratch_load_b64 v[0:1], off, off offset:8
	s_wait_loadcnt 0x0
	flat_store_b64 v[3:4], v[0:1]
	scratch_load_b64 v[0:1], off, off offset:16
	;; [unrolled: 3-line block ×21, first 2 shown]
	s_wait_loadcnt 0x0
	flat_store_b64 v[43:44], v[0:1]
	s_nop 0
	s_sendmsg sendmsg(MSG_DEALLOC_VGPRS)
	s_endpgm
	.section	.rodata,"a",@progbits
	.p2align	6, 0x0
	.amdhsa_kernel _ZN9rocsolver6v33100L18getri_kernel_smallILi22E19rocblas_complex_numIfEPKPS3_EEvT1_iilPiilS8_bb
		.amdhsa_group_segment_fixed_size 356
		.amdhsa_private_segment_fixed_size 192
		.amdhsa_kernarg_size 60
		.amdhsa_user_sgpr_count 2
		.amdhsa_user_sgpr_dispatch_ptr 0
		.amdhsa_user_sgpr_queue_ptr 0
		.amdhsa_user_sgpr_kernarg_segment_ptr 1
		.amdhsa_user_sgpr_dispatch_id 0
		.amdhsa_user_sgpr_private_segment_size 0
		.amdhsa_wavefront_size32 1
		.amdhsa_uses_dynamic_stack 0
		.amdhsa_enable_private_segment 1
		.amdhsa_system_sgpr_workgroup_id_x 1
		.amdhsa_system_sgpr_workgroup_id_y 0
		.amdhsa_system_sgpr_workgroup_id_z 0
		.amdhsa_system_sgpr_workgroup_info 0
		.amdhsa_system_vgpr_workitem_id 0
		.amdhsa_next_free_vgpr 152
		.amdhsa_next_free_sgpr 19
		.amdhsa_reserve_vcc 1
		.amdhsa_float_round_mode_32 0
		.amdhsa_float_round_mode_16_64 0
		.amdhsa_float_denorm_mode_32 3
		.amdhsa_float_denorm_mode_16_64 3
		.amdhsa_fp16_overflow 0
		.amdhsa_workgroup_processor_mode 1
		.amdhsa_memory_ordered 1
		.amdhsa_forward_progress 1
		.amdhsa_inst_pref_size 187
		.amdhsa_round_robin_scheduling 0
		.amdhsa_exception_fp_ieee_invalid_op 0
		.amdhsa_exception_fp_denorm_src 0
		.amdhsa_exception_fp_ieee_div_zero 0
		.amdhsa_exception_fp_ieee_overflow 0
		.amdhsa_exception_fp_ieee_underflow 0
		.amdhsa_exception_fp_ieee_inexact 0
		.amdhsa_exception_int_div_zero 0
	.end_amdhsa_kernel
	.section	.text._ZN9rocsolver6v33100L18getri_kernel_smallILi22E19rocblas_complex_numIfEPKPS3_EEvT1_iilPiilS8_bb,"axG",@progbits,_ZN9rocsolver6v33100L18getri_kernel_smallILi22E19rocblas_complex_numIfEPKPS3_EEvT1_iilPiilS8_bb,comdat
.Lfunc_end85:
	.size	_ZN9rocsolver6v33100L18getri_kernel_smallILi22E19rocblas_complex_numIfEPKPS3_EEvT1_iilPiilS8_bb, .Lfunc_end85-_ZN9rocsolver6v33100L18getri_kernel_smallILi22E19rocblas_complex_numIfEPKPS3_EEvT1_iilPiilS8_bb
                                        ; -- End function
	.set _ZN9rocsolver6v33100L18getri_kernel_smallILi22E19rocblas_complex_numIfEPKPS3_EEvT1_iilPiilS8_bb.num_vgpr, 152
	.set _ZN9rocsolver6v33100L18getri_kernel_smallILi22E19rocblas_complex_numIfEPKPS3_EEvT1_iilPiilS8_bb.num_agpr, 0
	.set _ZN9rocsolver6v33100L18getri_kernel_smallILi22E19rocblas_complex_numIfEPKPS3_EEvT1_iilPiilS8_bb.numbered_sgpr, 19
	.set _ZN9rocsolver6v33100L18getri_kernel_smallILi22E19rocblas_complex_numIfEPKPS3_EEvT1_iilPiilS8_bb.num_named_barrier, 0
	.set _ZN9rocsolver6v33100L18getri_kernel_smallILi22E19rocblas_complex_numIfEPKPS3_EEvT1_iilPiilS8_bb.private_seg_size, 192
	.set _ZN9rocsolver6v33100L18getri_kernel_smallILi22E19rocblas_complex_numIfEPKPS3_EEvT1_iilPiilS8_bb.uses_vcc, 1
	.set _ZN9rocsolver6v33100L18getri_kernel_smallILi22E19rocblas_complex_numIfEPKPS3_EEvT1_iilPiilS8_bb.uses_flat_scratch, 1
	.set _ZN9rocsolver6v33100L18getri_kernel_smallILi22E19rocblas_complex_numIfEPKPS3_EEvT1_iilPiilS8_bb.has_dyn_sized_stack, 0
	.set _ZN9rocsolver6v33100L18getri_kernel_smallILi22E19rocblas_complex_numIfEPKPS3_EEvT1_iilPiilS8_bb.has_recursion, 0
	.set _ZN9rocsolver6v33100L18getri_kernel_smallILi22E19rocblas_complex_numIfEPKPS3_EEvT1_iilPiilS8_bb.has_indirect_call, 0
	.section	.AMDGPU.csdata,"",@progbits
; Kernel info:
; codeLenInByte = 23908
; TotalNumSgprs: 21
; NumVgprs: 152
; ScratchSize: 192
; MemoryBound: 0
; FloatMode: 240
; IeeeMode: 1
; LDSByteSize: 356 bytes/workgroup (compile time only)
; SGPRBlocks: 0
; VGPRBlocks: 18
; NumSGPRsForWavesPerEU: 21
; NumVGPRsForWavesPerEU: 152
; Occupancy: 9
; WaveLimiterHint : 1
; COMPUTE_PGM_RSRC2:SCRATCH_EN: 1
; COMPUTE_PGM_RSRC2:USER_SGPR: 2
; COMPUTE_PGM_RSRC2:TRAP_HANDLER: 0
; COMPUTE_PGM_RSRC2:TGID_X_EN: 1
; COMPUTE_PGM_RSRC2:TGID_Y_EN: 0
; COMPUTE_PGM_RSRC2:TGID_Z_EN: 0
; COMPUTE_PGM_RSRC2:TIDIG_COMP_CNT: 0
	.section	.text._ZN9rocsolver6v33100L18getri_kernel_smallILi23E19rocblas_complex_numIfEPKPS3_EEvT1_iilPiilS8_bb,"axG",@progbits,_ZN9rocsolver6v33100L18getri_kernel_smallILi23E19rocblas_complex_numIfEPKPS3_EEvT1_iilPiilS8_bb,comdat
	.globl	_ZN9rocsolver6v33100L18getri_kernel_smallILi23E19rocblas_complex_numIfEPKPS3_EEvT1_iilPiilS8_bb ; -- Begin function _ZN9rocsolver6v33100L18getri_kernel_smallILi23E19rocblas_complex_numIfEPKPS3_EEvT1_iilPiilS8_bb
	.p2align	8
	.type	_ZN9rocsolver6v33100L18getri_kernel_smallILi23E19rocblas_complex_numIfEPKPS3_EEvT1_iilPiilS8_bb,@function
_ZN9rocsolver6v33100L18getri_kernel_smallILi23E19rocblas_complex_numIfEPKPS3_EEvT1_iilPiilS8_bb: ; @_ZN9rocsolver6v33100L18getri_kernel_smallILi23E19rocblas_complex_numIfEPKPS3_EEvT1_iilPiilS8_bb
; %bb.0:
	s_mov_b32 s2, exec_lo
	v_cmpx_gt_u32_e32 23, v0
	s_cbranch_execz .LBB86_106
; %bb.1:
	s_clause 0x1
	s_load_b32 s13, s[0:1], 0x38
	s_load_b64 s[2:3], s[0:1], 0x0
	s_mov_b32 s8, ttmp9
	s_load_b128 s[4:7], s[0:1], 0x28
	s_wait_kmcnt 0x0
	s_bitcmp1_b32 s13, 8
	s_cselect_b32 s12, -1, 0
	s_ashr_i32 s9, ttmp9, 31
	s_delay_alu instid0(SALU_CYCLE_1) | instskip(NEXT) | instid1(SALU_CYCLE_1)
	s_lshl_b64 s[10:11], s[8:9], 3
	s_add_nc_u64 s[2:3], s[2:3], s[10:11]
	s_load_b64 s[10:11], s[2:3], 0x0
	s_bfe_u32 s2, s13, 0x10008
	s_delay_alu instid0(SALU_CYCLE_1)
	s_cmp_eq_u32 s2, 0
                                        ; implicit-def: $sgpr2_sgpr3
	s_cbranch_scc1 .LBB86_3
; %bb.2:
	s_load_b96 s[16:18], s[0:1], 0x18
	s_mul_u64 s[2:3], s[4:5], s[8:9]
	s_delay_alu instid0(SALU_CYCLE_1)
	s_lshl_b64 s[2:3], s[2:3], 2
	s_wait_kmcnt 0x0
	s_ashr_i32 s5, s18, 31
	s_mov_b32 s4, s18
	s_add_nc_u64 s[2:3], s[16:17], s[2:3]
	s_lshl_b64 s[4:5], s[4:5], 2
	s_delay_alu instid0(SALU_CYCLE_1)
	s_add_nc_u64 s[2:3], s[2:3], s[4:5]
.LBB86_3:
	s_clause 0x1
	s_load_b64 s[4:5], s[0:1], 0x8
	s_load_b32 s13, s[0:1], 0x38
	v_lshlrev_b32_e32 v53, 3, v0
	s_wait_kmcnt 0x0
	s_ashr_i32 s1, s4, 31
	s_mov_b32 s0, s4
	v_add3_u32 v9, s5, s5, v0
	s_lshl_b64 s[0:1], s[0:1], 3
	s_delay_alu instid0(SALU_CYCLE_1)
	s_add_nc_u64 s[0:1], s[10:11], s[0:1]
	s_ashr_i32 s11, s5, 31
	v_add_co_u32 v1, s4, s0, v53
	s_wait_alu 0xf1ff
	v_add_co_ci_u32_e64 v2, null, s1, 0, s4
	s_mov_b32 s10, s5
	v_ashrrev_i32_e32 v10, 31, v9
	s_lshl_b64 s[10:11], s[10:11], 3
	flat_load_b64 v[5:6], v[1:2]
	v_add_co_u32 v3, vcc_lo, v1, s10
	s_delay_alu instid0(VALU_DEP_1) | instskip(SKIP_2) | instid1(VALU_DEP_1)
	v_add_co_ci_u32_e64 v4, null, s11, v2, vcc_lo
	v_add_nc_u32_e32 v12, s5, v9
	s_bitcmp0_b32 s13, 0
	v_ashrrev_i32_e32 v13, 31, v12
	s_wait_loadcnt_dscnt 0x0
	scratch_store_b64 off, v[5:6], off
	flat_load_b64 v[7:8], v[3:4]
	v_lshlrev_b64_e32 v[5:6], 3, v[9:10]
	s_delay_alu instid0(VALU_DEP_1) | instskip(SKIP_1) | instid1(VALU_DEP_2)
	v_add_co_u32 v5, vcc_lo, s0, v5
	s_wait_alu 0xfffd
	v_add_co_ci_u32_e64 v6, null, s1, v6, vcc_lo
	s_wait_loadcnt_dscnt 0x0
	scratch_store_b64 off, v[7:8], off offset:8
	flat_load_b64 v[10:11], v[5:6]
	v_lshlrev_b64_e32 v[7:8], 3, v[12:13]
	s_delay_alu instid0(VALU_DEP_1) | instskip(SKIP_1) | instid1(VALU_DEP_2)
	v_add_co_u32 v7, vcc_lo, s0, v7
	s_wait_alu 0xfffd
	v_add_co_ci_u32_e64 v8, null, s1, v8, vcc_lo
	s_wait_loadcnt_dscnt 0x0
	scratch_store_b64 off, v[10:11], off offset:16
	flat_load_b64 v[13:14], v[7:8]
	v_add_nc_u32_e32 v11, s5, v12
	s_delay_alu instid0(VALU_DEP_1) | instskip(SKIP_1) | instid1(VALU_DEP_2)
	v_ashrrev_i32_e32 v12, 31, v11
	v_add_nc_u32_e32 v15, s5, v11
	v_lshlrev_b64_e32 v[9:10], 3, v[11:12]
	s_delay_alu instid0(VALU_DEP_2) | instskip(SKIP_1) | instid1(VALU_DEP_3)
	v_ashrrev_i32_e32 v16, 31, v15
	v_add_nc_u32_e32 v18, s5, v15
	v_add_co_u32 v9, vcc_lo, s0, v9
	s_wait_alu 0xfffd
	s_delay_alu instid0(VALU_DEP_4) | instskip(SKIP_2) | instid1(VALU_DEP_2)
	v_add_co_ci_u32_e64 v10, null, s1, v10, vcc_lo
	v_lshlrev_b64_e32 v[11:12], 3, v[15:16]
	v_ashrrev_i32_e32 v19, 31, v18
	v_add_co_u32 v11, vcc_lo, s0, v11
	s_wait_alu 0xfffd
	s_delay_alu instid0(VALU_DEP_3)
	v_add_co_ci_u32_e64 v12, null, s1, v12, vcc_lo
	s_wait_loadcnt_dscnt 0x0
	scratch_store_b64 off, v[13:14], off offset:24
	flat_load_b64 v[13:14], v[9:10]
	s_wait_loadcnt_dscnt 0x0
	scratch_store_b64 off, v[13:14], off offset:32
	flat_load_b64 v[16:17], v[11:12]
	v_lshlrev_b64_e32 v[13:14], 3, v[18:19]
	s_delay_alu instid0(VALU_DEP_1) | instskip(SKIP_1) | instid1(VALU_DEP_2)
	v_add_co_u32 v13, vcc_lo, s0, v13
	s_wait_alu 0xfffd
	v_add_co_ci_u32_e64 v14, null, s1, v14, vcc_lo
	s_wait_loadcnt_dscnt 0x0
	scratch_store_b64 off, v[16:17], off offset:40
	flat_load_b64 v[19:20], v[13:14]
	v_add_nc_u32_e32 v17, s5, v18
	s_delay_alu instid0(VALU_DEP_1) | instskip(SKIP_1) | instid1(VALU_DEP_2)
	v_ashrrev_i32_e32 v18, 31, v17
	v_add_nc_u32_e32 v21, s5, v17
	v_lshlrev_b64_e32 v[15:16], 3, v[17:18]
	s_delay_alu instid0(VALU_DEP_2) | instskip(SKIP_1) | instid1(VALU_DEP_3)
	v_ashrrev_i32_e32 v22, 31, v21
	v_add_nc_u32_e32 v24, s5, v21
	v_add_co_u32 v15, vcc_lo, s0, v15
	s_wait_alu 0xfffd
	s_delay_alu instid0(VALU_DEP_4) | instskip(SKIP_2) | instid1(VALU_DEP_2)
	v_add_co_ci_u32_e64 v16, null, s1, v16, vcc_lo
	v_lshlrev_b64_e32 v[17:18], 3, v[21:22]
	v_ashrrev_i32_e32 v25, 31, v24
	v_add_co_u32 v17, vcc_lo, s0, v17
	s_wait_alu 0xfffd
	s_delay_alu instid0(VALU_DEP_3)
	v_add_co_ci_u32_e64 v18, null, s1, v18, vcc_lo
	s_wait_loadcnt_dscnt 0x0
	scratch_store_b64 off, v[19:20], off offset:48
	flat_load_b64 v[19:20], v[15:16]
	;; [unrolled: 32-line block ×5, first 2 shown]
	s_wait_loadcnt_dscnt 0x0
	scratch_store_b64 off, v[37:38], off offset:128
	flat_load_b64 v[40:41], v[35:36]
	v_lshlrev_b64_e32 v[37:38], 3, v[42:43]
	s_delay_alu instid0(VALU_DEP_1) | instskip(SKIP_1) | instid1(VALU_DEP_2)
	v_add_co_u32 v37, vcc_lo, s0, v37
	s_wait_alu 0xfffd
	v_add_co_ci_u32_e64 v38, null, s1, v38, vcc_lo
	s_wait_loadcnt_dscnt 0x0
	scratch_store_b64 off, v[40:41], off offset:136
	flat_load_b64 v[43:44], v[37:38]
	v_add_nc_u32_e32 v41, s5, v42
	s_delay_alu instid0(VALU_DEP_1) | instskip(SKIP_1) | instid1(VALU_DEP_2)
	v_ashrrev_i32_e32 v42, 31, v41
	v_add_nc_u32_e32 v45, s5, v41
	v_lshlrev_b64_e32 v[39:40], 3, v[41:42]
	s_delay_alu instid0(VALU_DEP_2) | instskip(SKIP_1) | instid1(VALU_DEP_3)
	v_ashrrev_i32_e32 v46, 31, v45
	v_add_nc_u32_e32 v48, s5, v45
	v_add_co_u32 v39, vcc_lo, s0, v39
	s_wait_alu 0xfffd
	s_delay_alu instid0(VALU_DEP_4) | instskip(SKIP_3) | instid1(VALU_DEP_3)
	v_add_co_ci_u32_e64 v40, null, s1, v40, vcc_lo
	v_lshlrev_b64_e32 v[41:42], 3, v[45:46]
	v_ashrrev_i32_e32 v49, 31, v48
	v_add_nc_u32_e32 v45, s5, v48
	v_add_co_u32 v41, vcc_lo, s0, v41
	s_wait_alu 0xfffd
	s_delay_alu instid0(VALU_DEP_4)
	v_add_co_ci_u32_e64 v42, null, s1, v42, vcc_lo
	s_wait_loadcnt_dscnt 0x0
	scratch_store_b64 off, v[43:44], off offset:144
	flat_load_b64 v[43:44], v[39:40]
	s_wait_loadcnt_dscnt 0x0
	scratch_store_b64 off, v[43:44], off offset:152
	flat_load_b64 v[46:47], v[41:42]
	v_lshlrev_b64_e32 v[43:44], 3, v[48:49]
	s_delay_alu instid0(VALU_DEP_1) | instskip(SKIP_1) | instid1(VALU_DEP_2)
	v_add_co_u32 v43, vcc_lo, s0, v43
	s_wait_alu 0xfffd
	v_add_co_ci_u32_e64 v44, null, s1, v44, vcc_lo
	s_wait_loadcnt_dscnt 0x0
	scratch_store_b64 off, v[46:47], off offset:160
	flat_load_b64 v[49:50], v[43:44]
	v_ashrrev_i32_e32 v46, 31, v45
	s_delay_alu instid0(VALU_DEP_1) | instskip(NEXT) | instid1(VALU_DEP_1)
	v_lshlrev_b64_e32 v[45:46], 3, v[45:46]
	v_add_co_u32 v45, vcc_lo, s0, v45
	s_wait_alu 0xfffd
	s_delay_alu instid0(VALU_DEP_2)
	v_add_co_ci_u32_e64 v46, null, s1, v46, vcc_lo
	s_mov_b32 s1, -1
	s_wait_loadcnt_dscnt 0x0
	scratch_store_b64 off, v[49:50], off offset:168
	flat_load_b64 v[47:48], v[45:46]
	s_wait_loadcnt_dscnt 0x0
	scratch_store_b64 off, v[47:48], off offset:176
	s_cbranch_scc1 .LBB86_104
; %bb.4:
	v_cmp_eq_u32_e64 s0, 0, v0
	s_and_saveexec_b32 s1, s0
; %bb.5:
	v_mov_b32_e32 v47, 0
	ds_store_b32 v47, v47 offset:184
; %bb.6:
	s_wait_alu 0xfffe
	s_or_b32 exec_lo, exec_lo, s1
	s_wait_storecnt_dscnt 0x0
	s_barrier_signal -1
	s_barrier_wait -1
	global_inv scope:SCOPE_SE
	scratch_load_b64 v[47:48], v53, off
	s_wait_loadcnt 0x0
	v_cmp_eq_f32_e32 vcc_lo, 0, v47
	v_cmp_eq_f32_e64 s1, 0, v48
	s_and_b32 s1, vcc_lo, s1
	s_wait_alu 0xfffe
	s_and_saveexec_b32 s4, s1
	s_cbranch_execz .LBB86_10
; %bb.7:
	v_mov_b32_e32 v47, 0
	s_mov_b32 s5, 0
	ds_load_b32 v48, v47 offset:184
	s_wait_dscnt 0x0
	v_readfirstlane_b32 s1, v48
	v_add_nc_u32_e32 v48, 1, v0
	s_cmp_eq_u32 s1, 0
	s_delay_alu instid0(VALU_DEP_1)
	v_cmp_gt_i32_e32 vcc_lo, s1, v48
	s_cselect_b32 s10, -1, 0
	s_wait_alu 0xfffe
	s_or_b32 s10, s10, vcc_lo
	s_wait_alu 0xfffe
	s_and_b32 exec_lo, exec_lo, s10
	s_cbranch_execz .LBB86_10
; %bb.8:
	v_mov_b32_e32 v49, s1
.LBB86_9:                               ; =>This Inner Loop Header: Depth=1
	ds_cmpstore_rtn_b32 v49, v47, v48, v49 offset:184
	s_wait_dscnt 0x0
	v_cmp_ne_u32_e32 vcc_lo, 0, v49
	v_cmp_le_i32_e64 s1, v49, v48
	s_and_b32 s1, vcc_lo, s1
	s_wait_alu 0xfffe
	s_and_b32 s1, exec_lo, s1
	s_wait_alu 0xfffe
	s_or_b32 s5, s1, s5
	s_wait_alu 0xfffe
	s_and_not1_b32 exec_lo, exec_lo, s5
	s_cbranch_execnz .LBB86_9
.LBB86_10:
	s_wait_alu 0xfffe
	s_or_b32 exec_lo, exec_lo, s4
	v_mov_b32_e32 v47, 0
	s_barrier_signal -1
	s_barrier_wait -1
	global_inv scope:SCOPE_SE
	ds_load_b32 v48, v47 offset:184
	s_and_saveexec_b32 s1, s0
	s_cbranch_execz .LBB86_12
; %bb.11:
	s_lshl_b64 s[4:5], s[8:9], 2
	s_wait_alu 0xfffe
	s_add_nc_u64 s[4:5], s[6:7], s[4:5]
	s_wait_dscnt 0x0
	global_store_b32 v47, v48, s[4:5]
.LBB86_12:
	s_wait_alu 0xfffe
	s_or_b32 exec_lo, exec_lo, s1
	s_wait_dscnt 0x0
	v_cmp_ne_u32_e32 vcc_lo, 0, v48
	s_mov_b32 s1, 0
	s_cbranch_vccnz .LBB86_104
; %bb.13:
	v_mov_b32_e32 v54, v53
                                        ; implicit-def: $vgpr49
                                        ; implicit-def: $vgpr51
	scratch_load_b64 v[47:48], v54, off
	s_wait_loadcnt 0x0
	v_cmp_ngt_f32_e64 s1, |v47|, |v48|
	s_wait_alu 0xfffe
	s_and_saveexec_b32 s4, s1
	s_wait_alu 0xfffe
	s_xor_b32 s1, exec_lo, s4
	s_cbranch_execz .LBB86_15
; %bb.14:
	v_div_scale_f32 v49, null, v48, v48, v47
	v_div_scale_f32 v52, vcc_lo, v47, v48, v47
	s_delay_alu instid0(VALU_DEP_2) | instskip(NEXT) | instid1(TRANS32_DEP_1)
	v_rcp_f32_e32 v50, v49
	v_fma_f32 v51, -v49, v50, 1.0
	s_delay_alu instid0(VALU_DEP_1) | instskip(NEXT) | instid1(VALU_DEP_1)
	v_fmac_f32_e32 v50, v51, v50
	v_mul_f32_e32 v51, v52, v50
	s_delay_alu instid0(VALU_DEP_1) | instskip(NEXT) | instid1(VALU_DEP_1)
	v_fma_f32 v55, -v49, v51, v52
	v_fmac_f32_e32 v51, v55, v50
	s_delay_alu instid0(VALU_DEP_1) | instskip(SKIP_1) | instid1(VALU_DEP_1)
	v_fma_f32 v49, -v49, v51, v52
	s_wait_alu 0xfffd
	v_div_fmas_f32 v49, v49, v50, v51
	s_delay_alu instid0(VALU_DEP_1) | instskip(NEXT) | instid1(VALU_DEP_1)
	v_div_fixup_f32 v49, v49, v48, v47
	v_fmac_f32_e32 v48, v47, v49
	s_delay_alu instid0(VALU_DEP_1) | instskip(NEXT) | instid1(VALU_DEP_1)
	v_div_scale_f32 v47, null, v48, v48, 1.0
	v_rcp_f32_e32 v50, v47
	s_delay_alu instid0(TRANS32_DEP_1) | instskip(NEXT) | instid1(VALU_DEP_1)
	v_fma_f32 v51, -v47, v50, 1.0
	v_fmac_f32_e32 v50, v51, v50
	v_div_scale_f32 v51, vcc_lo, 1.0, v48, 1.0
	s_delay_alu instid0(VALU_DEP_1) | instskip(NEXT) | instid1(VALU_DEP_1)
	v_mul_f32_e32 v52, v51, v50
	v_fma_f32 v55, -v47, v52, v51
	s_delay_alu instid0(VALU_DEP_1) | instskip(NEXT) | instid1(VALU_DEP_1)
	v_fmac_f32_e32 v52, v55, v50
	v_fma_f32 v47, -v47, v52, v51
	s_wait_alu 0xfffd
	s_delay_alu instid0(VALU_DEP_1) | instskip(NEXT) | instid1(VALU_DEP_1)
	v_div_fmas_f32 v47, v47, v50, v52
	v_div_fixup_f32 v47, v47, v48, 1.0
	s_delay_alu instid0(VALU_DEP_1) | instskip(SKIP_1) | instid1(VALU_DEP_2)
	v_mul_f32_e32 v49, v49, v47
	v_xor_b32_e32 v50, 0x80000000, v47
                                        ; implicit-def: $vgpr47_vgpr48
	v_xor_b32_e32 v51, 0x80000000, v49
.LBB86_15:
	s_wait_alu 0xfffe
	s_and_not1_saveexec_b32 s1, s1
	s_cbranch_execz .LBB86_17
; %bb.16:
	v_div_scale_f32 v49, null, v47, v47, v48
	v_div_scale_f32 v52, vcc_lo, v48, v47, v48
	s_delay_alu instid0(VALU_DEP_2) | instskip(NEXT) | instid1(TRANS32_DEP_1)
	v_rcp_f32_e32 v50, v49
	v_fma_f32 v51, -v49, v50, 1.0
	s_delay_alu instid0(VALU_DEP_1) | instskip(NEXT) | instid1(VALU_DEP_1)
	v_fmac_f32_e32 v50, v51, v50
	v_mul_f32_e32 v51, v52, v50
	s_delay_alu instid0(VALU_DEP_1) | instskip(NEXT) | instid1(VALU_DEP_1)
	v_fma_f32 v55, -v49, v51, v52
	v_fmac_f32_e32 v51, v55, v50
	s_delay_alu instid0(VALU_DEP_1) | instskip(SKIP_1) | instid1(VALU_DEP_1)
	v_fma_f32 v49, -v49, v51, v52
	s_wait_alu 0xfffd
	v_div_fmas_f32 v49, v49, v50, v51
	s_delay_alu instid0(VALU_DEP_1) | instskip(NEXT) | instid1(VALU_DEP_1)
	v_div_fixup_f32 v50, v49, v47, v48
	v_fmac_f32_e32 v47, v48, v50
	s_delay_alu instid0(VALU_DEP_1) | instskip(SKIP_1) | instid1(VALU_DEP_2)
	v_div_scale_f32 v48, null, v47, v47, 1.0
	v_div_scale_f32 v52, vcc_lo, 1.0, v47, 1.0
	v_rcp_f32_e32 v49, v48
	s_delay_alu instid0(TRANS32_DEP_1) | instskip(NEXT) | instid1(VALU_DEP_1)
	v_fma_f32 v51, -v48, v49, 1.0
	v_fmac_f32_e32 v49, v51, v49
	s_delay_alu instid0(VALU_DEP_1) | instskip(NEXT) | instid1(VALU_DEP_1)
	v_mul_f32_e32 v51, v52, v49
	v_fma_f32 v55, -v48, v51, v52
	s_delay_alu instid0(VALU_DEP_1) | instskip(NEXT) | instid1(VALU_DEP_1)
	v_fmac_f32_e32 v51, v55, v49
	v_fma_f32 v48, -v48, v51, v52
	s_wait_alu 0xfffd
	s_delay_alu instid0(VALU_DEP_1) | instskip(NEXT) | instid1(VALU_DEP_1)
	v_div_fmas_f32 v48, v48, v49, v51
	v_div_fixup_f32 v49, v48, v47, 1.0
	s_delay_alu instid0(VALU_DEP_1)
	v_xor_b32_e32 v51, 0x80000000, v49
	v_mul_f32_e64 v50, v50, -v49
.LBB86_17:
	s_wait_alu 0xfffe
	s_or_b32 exec_lo, exec_lo, s1
	scratch_store_b64 v54, v[49:50], off
	scratch_load_b64 v[48:49], off, off offset:8
	v_xor_b32_e32 v52, 0x80000000, v50
	v_add_nc_u32_e32 v47, 0xc0, v53
	s_wait_loadcnt 0x0
	ds_store_2addr_b64 v53, v[51:52], v[48:49] offset1:24
	s_wait_storecnt_dscnt 0x0
	s_barrier_signal -1
	s_barrier_wait -1
	global_inv scope:SCOPE_SE
	s_and_saveexec_b32 s1, s0
	s_cbranch_execz .LBB86_19
; %bb.18:
	scratch_load_b64 v[48:49], v54, off
	ds_load_b64 v[50:51], v47
	v_mov_b32_e32 v52, 0
	ds_load_b64 v[55:56], v52 offset:8
	s_wait_loadcnt_dscnt 0x1
	v_mul_f32_e32 v52, v50, v49
	v_mul_f32_e32 v49, v51, v49
	s_delay_alu instid0(VALU_DEP_2) | instskip(NEXT) | instid1(VALU_DEP_2)
	v_fmac_f32_e32 v52, v51, v48
	v_fma_f32 v48, v50, v48, -v49
	s_delay_alu instid0(VALU_DEP_2) | instskip(NEXT) | instid1(VALU_DEP_2)
	v_add_f32_e32 v50, 0, v52
	v_add_f32_e32 v48, 0, v48
	s_wait_dscnt 0x0
	s_delay_alu instid0(VALU_DEP_2) | instskip(NEXT) | instid1(VALU_DEP_2)
	v_mul_f32_e32 v51, v50, v56
	v_mul_f32_e32 v49, v48, v56
	s_delay_alu instid0(VALU_DEP_2) | instskip(NEXT) | instid1(VALU_DEP_2)
	v_fma_f32 v48, v48, v55, -v51
	v_fmac_f32_e32 v49, v50, v55
	scratch_store_b64 off, v[48:49], off offset:8
.LBB86_19:
	s_wait_alu 0xfffe
	s_or_b32 exec_lo, exec_lo, s1
	s_wait_loadcnt 0x0
	s_wait_storecnt 0x0
	s_barrier_signal -1
	s_barrier_wait -1
	global_inv scope:SCOPE_SE
	scratch_load_b64 v[48:49], off, off offset:16
	s_mov_b32 s1, exec_lo
	s_wait_loadcnt 0x0
	ds_store_b64 v47, v[48:49]
	s_wait_dscnt 0x0
	s_barrier_signal -1
	s_barrier_wait -1
	global_inv scope:SCOPE_SE
	v_cmpx_gt_u32_e32 2, v0
	s_cbranch_execz .LBB86_23
; %bb.20:
	scratch_load_b64 v[48:49], v54, off
	ds_load_b64 v[50:51], v47
	s_wait_loadcnt_dscnt 0x0
	v_mul_f32_e32 v52, v51, v49
	v_mul_f32_e32 v55, v50, v49
	s_delay_alu instid0(VALU_DEP_2) | instskip(NEXT) | instid1(VALU_DEP_2)
	v_fma_f32 v49, v50, v48, -v52
	v_fmac_f32_e32 v55, v51, v48
	s_delay_alu instid0(VALU_DEP_1)
	v_dual_add_f32 v49, 0, v49 :: v_dual_add_f32 v48, 0, v55
	s_and_saveexec_b32 s4, s0
	s_cbranch_execz .LBB86_22
; %bb.21:
	scratch_load_b64 v[50:51], off, off offset:8
	v_mov_b32_e32 v52, 0
	ds_load_b64 v[55:56], v52 offset:200
	s_wait_loadcnt_dscnt 0x0
	v_mul_f32_e32 v52, v55, v51
	v_mul_f32_e32 v51, v56, v51
	s_delay_alu instid0(VALU_DEP_2) | instskip(NEXT) | instid1(VALU_DEP_2)
	v_fmac_f32_e32 v52, v56, v50
	v_fma_f32 v50, v55, v50, -v51
	s_delay_alu instid0(VALU_DEP_1)
	v_dual_add_f32 v48, v48, v52 :: v_dual_add_f32 v49, v49, v50
.LBB86_22:
	s_wait_alu 0xfffe
	s_or_b32 exec_lo, exec_lo, s4
	v_mov_b32_e32 v50, 0
	ds_load_b64 v[50:51], v50 offset:16
	s_wait_dscnt 0x0
	v_mul_f32_e32 v55, v48, v51
	v_mul_f32_e32 v52, v49, v51
	s_delay_alu instid0(VALU_DEP_2) | instskip(NEXT) | instid1(VALU_DEP_2)
	v_fma_f32 v51, v49, v50, -v55
	v_fmac_f32_e32 v52, v48, v50
	scratch_store_b64 off, v[51:52], off offset:16
.LBB86_23:
	s_wait_alu 0xfffe
	s_or_b32 exec_lo, exec_lo, s1
	s_wait_loadcnt 0x0
	s_wait_storecnt 0x0
	s_barrier_signal -1
	s_barrier_wait -1
	global_inv scope:SCOPE_SE
	scratch_load_b64 v[49:50], off, off offset:24
	v_add_nc_u32_e32 v48, -1, v0
	s_mov_b32 s0, exec_lo
	s_wait_loadcnt 0x0
	ds_store_b64 v47, v[49:50]
	s_wait_dscnt 0x0
	s_barrier_signal -1
	s_barrier_wait -1
	global_inv scope:SCOPE_SE
	v_cmpx_gt_u32_e32 3, v0
	s_cbranch_execz .LBB86_27
; %bb.24:
	v_dual_mov_b32 v49, 0 :: v_dual_add_nc_u32 v50, -1, v0
	v_dual_mov_b32 v52, v53 :: v_dual_add_nc_u32 v51, 0xc0, v53
	v_mov_b32_e32 v55, 0
	s_mov_b32 s1, 0
.LBB86_25:                              ; =>This Inner Loop Header: Depth=1
	scratch_load_b64 v[56:57], v52, off
	ds_load_b64 v[58:59], v51
	v_add_nc_u32_e32 v50, 1, v50
	v_add_nc_u32_e32 v51, 8, v51
	s_delay_alu instid0(VALU_DEP_2)
	v_cmp_lt_u32_e32 vcc_lo, 1, v50
	s_wait_alu 0xfffe
	s_or_b32 s1, vcc_lo, s1
	s_wait_loadcnt_dscnt 0x0
	v_mul_f32_e32 v60, v59, v57
	v_mul_f32_e32 v57, v58, v57
	s_delay_alu instid0(VALU_DEP_2) | instskip(NEXT) | instid1(VALU_DEP_2)
	v_fma_f32 v58, v58, v56, -v60
	v_fmac_f32_e32 v57, v59, v56
	s_delay_alu instid0(VALU_DEP_2) | instskip(NEXT) | instid1(VALU_DEP_2)
	v_dual_add_f32 v55, v55, v58 :: v_dual_add_nc_u32 v52, 8, v52
	v_add_f32_e32 v49, v49, v57
	s_wait_alu 0xfffe
	s_and_not1_b32 exec_lo, exec_lo, s1
	s_cbranch_execnz .LBB86_25
; %bb.26:
	s_or_b32 exec_lo, exec_lo, s1
	v_mov_b32_e32 v50, 0
	ds_load_b64 v[50:51], v50 offset:24
	s_wait_dscnt 0x0
	v_mul_f32_e32 v56, v49, v51
	v_mul_f32_e32 v52, v55, v51
	s_delay_alu instid0(VALU_DEP_2) | instskip(NEXT) | instid1(VALU_DEP_2)
	v_fma_f32 v51, v55, v50, -v56
	v_fmac_f32_e32 v52, v49, v50
	scratch_store_b64 off, v[51:52], off offset:24
.LBB86_27:
	s_wait_alu 0xfffe
	s_or_b32 exec_lo, exec_lo, s0
	s_wait_loadcnt 0x0
	s_wait_storecnt 0x0
	s_barrier_signal -1
	s_barrier_wait -1
	global_inv scope:SCOPE_SE
	scratch_load_b64 v[49:50], off, off offset:32
	s_mov_b32 s0, exec_lo
	s_wait_loadcnt 0x0
	ds_store_b64 v47, v[49:50]
	s_wait_dscnt 0x0
	s_barrier_signal -1
	s_barrier_wait -1
	global_inv scope:SCOPE_SE
	v_cmpx_gt_u32_e32 4, v0
	s_cbranch_execz .LBB86_31
; %bb.28:
	v_dual_mov_b32 v49, 0 :: v_dual_add_nc_u32 v50, -1, v0
	v_dual_mov_b32 v52, v53 :: v_dual_add_nc_u32 v51, 0xc0, v53
	v_mov_b32_e32 v55, 0
	s_mov_b32 s1, 0
.LBB86_29:                              ; =>This Inner Loop Header: Depth=1
	scratch_load_b64 v[56:57], v52, off
	ds_load_b64 v[58:59], v51
	v_add_nc_u32_e32 v50, 1, v50
	v_add_nc_u32_e32 v51, 8, v51
	s_delay_alu instid0(VALU_DEP_2)
	v_cmp_lt_u32_e32 vcc_lo, 2, v50
	s_wait_alu 0xfffe
	s_or_b32 s1, vcc_lo, s1
	s_wait_loadcnt_dscnt 0x0
	v_mul_f32_e32 v60, v59, v57
	v_mul_f32_e32 v57, v58, v57
	s_delay_alu instid0(VALU_DEP_2) | instskip(NEXT) | instid1(VALU_DEP_2)
	v_fma_f32 v58, v58, v56, -v60
	v_fmac_f32_e32 v57, v59, v56
	s_delay_alu instid0(VALU_DEP_2) | instskip(NEXT) | instid1(VALU_DEP_2)
	v_dual_add_f32 v55, v55, v58 :: v_dual_add_nc_u32 v52, 8, v52
	v_add_f32_e32 v49, v49, v57
	s_wait_alu 0xfffe
	s_and_not1_b32 exec_lo, exec_lo, s1
	s_cbranch_execnz .LBB86_29
; %bb.30:
	s_or_b32 exec_lo, exec_lo, s1
	v_mov_b32_e32 v50, 0
	ds_load_b64 v[50:51], v50 offset:32
	s_wait_dscnt 0x0
	v_mul_f32_e32 v56, v49, v51
	v_mul_f32_e32 v52, v55, v51
	s_delay_alu instid0(VALU_DEP_2) | instskip(NEXT) | instid1(VALU_DEP_2)
	v_fma_f32 v51, v55, v50, -v56
	v_fmac_f32_e32 v52, v49, v50
	scratch_store_b64 off, v[51:52], off offset:32
.LBB86_31:
	s_wait_alu 0xfffe
	s_or_b32 exec_lo, exec_lo, s0
	s_wait_loadcnt 0x0
	s_wait_storecnt 0x0
	s_barrier_signal -1
	s_barrier_wait -1
	global_inv scope:SCOPE_SE
	scratch_load_b64 v[49:50], off, off offset:40
	;; [unrolled: 55-line block ×18, first 2 shown]
	s_mov_b32 s0, exec_lo
	s_wait_loadcnt 0x0
	ds_store_b64 v47, v[49:50]
	s_wait_dscnt 0x0
	s_barrier_signal -1
	s_barrier_wait -1
	global_inv scope:SCOPE_SE
	v_cmpx_gt_u32_e32 21, v0
	s_cbranch_execz .LBB86_99
; %bb.96:
	v_dual_mov_b32 v49, 0 :: v_dual_add_nc_u32 v50, -1, v0
	v_dual_mov_b32 v52, v53 :: v_dual_add_nc_u32 v51, 0xc0, v53
	v_mov_b32_e32 v53, 0
	s_mov_b32 s1, 0
.LBB86_97:                              ; =>This Inner Loop Header: Depth=1
	scratch_load_b64 v[55:56], v52, off
	ds_load_b64 v[57:58], v51
	v_add_nc_u32_e32 v52, 8, v52
	v_add_nc_u32_e32 v50, 1, v50
	;; [unrolled: 1-line block ×3, first 2 shown]
	s_delay_alu instid0(VALU_DEP_2)
	v_cmp_lt_u32_e32 vcc_lo, 19, v50
	s_wait_alu 0xfffe
	s_or_b32 s1, vcc_lo, s1
	s_wait_loadcnt_dscnt 0x0
	v_mul_f32_e32 v59, v58, v56
	v_mul_f32_e32 v56, v57, v56
	s_delay_alu instid0(VALU_DEP_2) | instskip(NEXT) | instid1(VALU_DEP_1)
	v_fma_f32 v57, v57, v55, -v59
	v_dual_fmac_f32 v56, v58, v55 :: v_dual_add_f32 v53, v53, v57
	s_delay_alu instid0(VALU_DEP_1)
	v_add_f32_e32 v49, v49, v56
	s_wait_alu 0xfffe
	s_and_not1_b32 exec_lo, exec_lo, s1
	s_cbranch_execnz .LBB86_97
; %bb.98:
	s_or_b32 exec_lo, exec_lo, s1
	v_mov_b32_e32 v50, 0
	ds_load_b64 v[50:51], v50 offset:168
	s_wait_dscnt 0x0
	v_mul_f32_e32 v55, v49, v51
	v_mul_f32_e32 v52, v53, v51
	s_delay_alu instid0(VALU_DEP_2) | instskip(NEXT) | instid1(VALU_DEP_2)
	v_fma_f32 v51, v53, v50, -v55
	v_fmac_f32_e32 v52, v49, v50
	scratch_store_b64 off, v[51:52], off offset:168
.LBB86_99:
	s_wait_alu 0xfffe
	s_or_b32 exec_lo, exec_lo, s0
	s_wait_loadcnt 0x0
	s_wait_storecnt 0x0
	s_barrier_signal -1
	s_barrier_wait -1
	global_inv scope:SCOPE_SE
	scratch_load_b64 v[49:50], off, off offset:176
	s_mov_b32 s0, exec_lo
	s_wait_loadcnt 0x0
	ds_store_b64 v47, v[49:50]
	s_wait_dscnt 0x0
	s_barrier_signal -1
	s_barrier_wait -1
	global_inv scope:SCOPE_SE
	v_cmpx_ne_u32_e32 22, v0
	s_cbranch_execz .LBB86_103
; %bb.100:
	v_dual_mov_b32 v49, 0 :: v_dual_mov_b32 v50, 0
	s_mov_b32 s1, 0
.LBB86_101:                             ; =>This Inner Loop Header: Depth=1
	scratch_load_b64 v[51:52], v54, off
	ds_load_b64 v[55:56], v47
	v_add_nc_u32_e32 v48, 1, v48
	v_add_nc_u32_e32 v47, 8, v47
	;; [unrolled: 1-line block ×3, first 2 shown]
	s_delay_alu instid0(VALU_DEP_3)
	v_cmp_lt_u32_e32 vcc_lo, 20, v48
	s_wait_alu 0xfffe
	s_or_b32 s1, vcc_lo, s1
	s_wait_loadcnt_dscnt 0x0
	v_mul_f32_e32 v53, v56, v52
	v_mul_f32_e32 v52, v55, v52
	s_delay_alu instid0(VALU_DEP_2) | instskip(NEXT) | instid1(VALU_DEP_2)
	v_fma_f32 v53, v55, v51, -v53
	v_fmac_f32_e32 v52, v56, v51
	s_delay_alu instid0(VALU_DEP_1)
	v_dual_add_f32 v50, v50, v53 :: v_dual_add_f32 v49, v49, v52
	s_wait_alu 0xfffe
	s_and_not1_b32 exec_lo, exec_lo, s1
	s_cbranch_execnz .LBB86_101
; %bb.102:
	s_or_b32 exec_lo, exec_lo, s1
	v_mov_b32_e32 v47, 0
	ds_load_b64 v[47:48], v47 offset:176
	s_wait_dscnt 0x0
	v_mul_f32_e32 v52, v49, v48
	v_mul_f32_e32 v51, v50, v48
	s_delay_alu instid0(VALU_DEP_2) | instskip(NEXT) | instid1(VALU_DEP_2)
	v_fma_f32 v50, v50, v47, -v52
	v_fmac_f32_e32 v51, v49, v47
	scratch_store_b64 off, v[50:51], off offset:176
.LBB86_103:
	s_wait_alu 0xfffe
	s_or_b32 exec_lo, exec_lo, s0
	s_mov_b32 s1, -1
	s_wait_loadcnt 0x0
	s_wait_storecnt 0x0
	s_barrier_signal -1
	s_barrier_wait -1
	global_inv scope:SCOPE_SE
.LBB86_104:
	s_wait_alu 0xfffe
	s_and_b32 vcc_lo, exec_lo, s1
	s_wait_alu 0xfffe
	s_cbranch_vccz .LBB86_106
; %bb.105:
	v_mov_b32_e32 v47, 0
	s_lshl_b64 s[0:1], s[8:9], 2
	s_wait_alu 0xfffe
	s_add_nc_u64 s[0:1], s[6:7], s[0:1]
	global_load_b32 v47, v47, s[0:1]
	s_wait_loadcnt 0x0
	v_cmp_ne_u32_e32 vcc_lo, 0, v47
	s_cbranch_vccz .LBB86_107
.LBB86_106:
	s_nop 0
	s_sendmsg sendmsg(MSG_DEALLOC_VGPRS)
	s_endpgm
.LBB86_107:
	v_lshl_add_u32 v49, v0, 3, 0xc0
	s_mov_b32 s0, exec_lo
	v_cmpx_eq_u32_e32 22, v0
	s_cbranch_execz .LBB86_109
; %bb.108:
	scratch_load_b64 v[47:48], off, off offset:168
	v_mov_b32_e32 v50, 0
	s_delay_alu instid0(VALU_DEP_1)
	v_mov_b32_e32 v51, v50
	scratch_store_b64 off, v[50:51], off offset:168
	s_wait_loadcnt 0x0
	ds_store_b64 v49, v[47:48]
.LBB86_109:
	s_wait_alu 0xfffe
	s_or_b32 exec_lo, exec_lo, s0
	s_wait_storecnt_dscnt 0x0
	s_barrier_signal -1
	s_barrier_wait -1
	global_inv scope:SCOPE_SE
	s_clause 0x1
	scratch_load_b64 v[50:51], off, off offset:176
	scratch_load_b64 v[52:53], off, off offset:168
	v_mov_b32_e32 v47, 0
	s_mov_b32 s0, exec_lo
	ds_load_b64 v[54:55], v47 offset:368
	s_wait_loadcnt_dscnt 0x100
	v_mul_f32_e32 v48, v55, v51
	s_delay_alu instid0(VALU_DEP_1) | instskip(NEXT) | instid1(VALU_DEP_1)
	v_fma_f32 v48, v54, v50, -v48
	v_dual_mul_f32 v51, v54, v51 :: v_dual_add_f32 v48, 0, v48
	s_wait_loadcnt 0x0
	s_delay_alu instid0(VALU_DEP_1) | instskip(NEXT) | instid1(VALU_DEP_1)
	v_dual_fmac_f32 v51, v55, v50 :: v_dual_sub_f32 v50, v52, v48
	v_add_f32_e32 v51, 0, v51
	s_delay_alu instid0(VALU_DEP_1)
	v_sub_f32_e32 v51, v53, v51
	scratch_store_b64 off, v[50:51], off offset:168
	v_cmpx_lt_u32_e32 20, v0
	s_cbranch_execz .LBB86_111
; %bb.110:
	scratch_load_b64 v[50:51], off, off offset:160
	v_mov_b32_e32 v48, v47
	scratch_store_b64 off, v[47:48], off offset:160
	s_wait_loadcnt 0x0
	ds_store_b64 v49, v[50:51]
.LBB86_111:
	s_wait_alu 0xfffe
	s_or_b32 exec_lo, exec_lo, s0
	s_wait_storecnt_dscnt 0x0
	s_barrier_signal -1
	s_barrier_wait -1
	global_inv scope:SCOPE_SE
	s_clause 0x1
	scratch_load_b128 v[50:53], off, off offset:168
	scratch_load_b64 v[58:59], off, off offset:160
	ds_load_2addr_b64 v[54:57], v47 offset0:45 offset1:46
	s_mov_b32 s0, exec_lo
	s_wait_loadcnt_dscnt 0x100
	v_mul_f32_e32 v48, v54, v51
	s_delay_alu instid0(VALU_DEP_1) | instskip(SKIP_2) | instid1(VALU_DEP_1)
	v_fmac_f32_e32 v48, v55, v50
	v_mul_f32_e32 v47, v55, v51
	v_mul_f32_e32 v51, v56, v53
	v_fmac_f32_e32 v51, v57, v52
	s_delay_alu instid0(VALU_DEP_4) | instskip(NEXT) | instid1(VALU_DEP_4)
	v_dual_add_f32 v48, 0, v48 :: v_dual_mul_f32 v53, v57, v53
	v_fma_f32 v47, v54, v50, -v47
	s_delay_alu instid0(VALU_DEP_2) | instskip(NEXT) | instid1(VALU_DEP_3)
	v_add_f32_e32 v48, v48, v51
	v_fma_f32 v50, v56, v52, -v53
	s_wait_loadcnt 0x0
	s_delay_alu instid0(VALU_DEP_2) | instskip(NEXT) | instid1(VALU_DEP_1)
	v_dual_add_f32 v47, 0, v47 :: v_dual_sub_f32 v48, v59, v48
	v_add_f32_e32 v47, v47, v50
	s_delay_alu instid0(VALU_DEP_1)
	v_sub_f32_e32 v47, v58, v47
	scratch_store_b64 off, v[47:48], off offset:160
	v_cmpx_lt_u32_e32 19, v0
	s_cbranch_execz .LBB86_113
; %bb.112:
	scratch_load_b64 v[47:48], off, off offset:152
	v_mov_b32_e32 v50, 0
	s_delay_alu instid0(VALU_DEP_1)
	v_mov_b32_e32 v51, v50
	scratch_store_b64 off, v[50:51], off offset:152
	s_wait_loadcnt 0x0
	ds_store_b64 v49, v[47:48]
.LBB86_113:
	s_wait_alu 0xfffe
	s_or_b32 exec_lo, exec_lo, s0
	s_wait_storecnt_dscnt 0x0
	s_barrier_signal -1
	s_barrier_wait -1
	global_inv scope:SCOPE_SE
	s_clause 0x2
	scratch_load_b128 v[50:53], off, off offset:160
	scratch_load_b64 v[58:59], off, off offset:176
	scratch_load_b64 v[60:61], off, off offset:152
	v_mov_b32_e32 v47, 0
	ds_load_b128 v[54:57], v47 offset:352
	ds_load_b64 v[62:63], v47 offset:368
	s_mov_b32 s0, exec_lo
	s_wait_loadcnt_dscnt 0x201
	v_mul_f32_e32 v48, v55, v51
	v_dual_mul_f32 v51, v54, v51 :: v_dual_mul_f32 v64, v56, v53
	v_mul_f32_e32 v53, v57, v53
	s_wait_loadcnt_dscnt 0x100
	v_mul_f32_e32 v65, v62, v59
	v_fma_f32 v48, v54, v50, -v48
	v_fmac_f32_e32 v51, v55, v50
	v_mul_f32_e32 v50, v63, v59
	v_fmac_f32_e32 v64, v57, v52
	v_fma_f32 v52, v56, v52, -v53
	s_delay_alu instid0(VALU_DEP_4) | instskip(NEXT) | instid1(VALU_DEP_4)
	v_dual_add_f32 v48, 0, v48 :: v_dual_add_f32 v51, 0, v51
	v_fma_f32 v50, v62, v58, -v50
	s_delay_alu instid0(VALU_DEP_2) | instskip(NEXT) | instid1(VALU_DEP_1)
	v_add_f32_e32 v48, v48, v52
	v_dual_add_f32 v51, v51, v64 :: v_dual_add_f32 v48, v48, v50
	s_wait_loadcnt 0x0
	s_delay_alu instid0(VALU_DEP_1) | instskip(NEXT) | instid1(VALU_DEP_1)
	v_dual_fmac_f32 v65, v63, v58 :: v_dual_sub_f32 v50, v60, v48
	v_add_f32_e32 v51, v51, v65
	s_delay_alu instid0(VALU_DEP_1)
	v_sub_f32_e32 v51, v61, v51
	scratch_store_b64 off, v[50:51], off offset:152
	v_cmpx_lt_u32_e32 18, v0
	s_cbranch_execz .LBB86_115
; %bb.114:
	scratch_load_b64 v[50:51], off, off offset:144
	v_mov_b32_e32 v48, v47
	scratch_store_b64 off, v[47:48], off offset:144
	s_wait_loadcnt 0x0
	ds_store_b64 v49, v[50:51]
.LBB86_115:
	s_wait_alu 0xfffe
	s_or_b32 exec_lo, exec_lo, s0
	s_wait_storecnt_dscnt 0x0
	s_barrier_signal -1
	s_barrier_wait -1
	global_inv scope:SCOPE_SE
	s_clause 0x2
	scratch_load_b128 v[50:53], off, off offset:152
	scratch_load_b128 v[54:57], off, off offset:168
	scratch_load_b64 v[66:67], off, off offset:144
	ds_load_2addr_b64 v[58:61], v47 offset0:43 offset1:44
	ds_load_2addr_b64 v[62:65], v47 offset0:45 offset1:46
	s_mov_b32 s0, exec_lo
	s_wait_loadcnt_dscnt 0x201
	v_mul_f32_e32 v48, v59, v51
	s_wait_loadcnt_dscnt 0x100
	v_dual_mul_f32 v68, v62, v55 :: v_dual_mul_f32 v69, v64, v57
	s_delay_alu instid0(VALU_DEP_2) | instskip(SKIP_2) | instid1(VALU_DEP_4)
	v_fma_f32 v48, v58, v50, -v48
	v_mul_f32_e32 v47, v58, v51
	v_mul_f32_e32 v51, v60, v53
	v_dual_mul_f32 v53, v61, v53 :: v_dual_fmac_f32 v68, v63, v54
	s_delay_alu instid0(VALU_DEP_3) | instskip(NEXT) | instid1(VALU_DEP_3)
	v_dual_add_f32 v48, 0, v48 :: v_dual_fmac_f32 v47, v59, v50
	v_dual_mul_f32 v50, v63, v55 :: v_dual_fmac_f32 v51, v61, v52
	s_delay_alu instid0(VALU_DEP_3) | instskip(SKIP_1) | instid1(VALU_DEP_3)
	v_fma_f32 v52, v60, v52, -v53
	v_fmac_f32_e32 v69, v65, v56
	v_fma_f32 v50, v62, v54, -v50
	s_delay_alu instid0(VALU_DEP_3) | instskip(NEXT) | instid1(VALU_DEP_1)
	v_dual_add_f32 v48, v48, v52 :: v_dual_add_f32 v47, 0, v47
	v_dual_add_f32 v48, v48, v50 :: v_dual_mul_f32 v53, v65, v57
	s_delay_alu instid0(VALU_DEP_2) | instskip(NEXT) | instid1(VALU_DEP_2)
	v_add_f32_e32 v47, v47, v51
	v_fma_f32 v51, v64, v56, -v53
	s_delay_alu instid0(VALU_DEP_1) | instskip(SKIP_1) | instid1(VALU_DEP_1)
	v_dual_add_f32 v47, v47, v68 :: v_dual_add_f32 v48, v48, v51
	s_wait_loadcnt 0x0
	v_dual_add_f32 v50, v47, v69 :: v_dual_sub_f32 v47, v66, v48
	s_delay_alu instid0(VALU_DEP_1)
	v_sub_f32_e32 v48, v67, v50
	scratch_store_b64 off, v[47:48], off offset:144
	v_cmpx_lt_u32_e32 17, v0
	s_cbranch_execz .LBB86_117
; %bb.116:
	scratch_load_b64 v[47:48], off, off offset:136
	v_mov_b32_e32 v50, 0
	s_delay_alu instid0(VALU_DEP_1)
	v_mov_b32_e32 v51, v50
	scratch_store_b64 off, v[50:51], off offset:136
	s_wait_loadcnt 0x0
	ds_store_b64 v49, v[47:48]
.LBB86_117:
	s_wait_alu 0xfffe
	s_or_b32 exec_lo, exec_lo, s0
	s_wait_storecnt_dscnt 0x0
	s_barrier_signal -1
	s_barrier_wait -1
	global_inv scope:SCOPE_SE
	s_clause 0x3
	scratch_load_b128 v[50:53], off, off offset:144
	scratch_load_b128 v[54:57], off, off offset:160
	scratch_load_b64 v[66:67], off, off offset:176
	scratch_load_b64 v[68:69], off, off offset:136
	v_mov_b32_e32 v47, 0
	ds_load_b128 v[58:61], v47 offset:336
	ds_load_b128 v[62:65], v47 offset:352
	ds_load_b64 v[70:71], v47 offset:368
	s_mov_b32 s0, exec_lo
	s_wait_loadcnt_dscnt 0x302
	v_mul_f32_e32 v48, v58, v51
	v_dual_mul_f32 v72, v60, v53 :: v_dual_mul_f32 v51, v59, v51
	s_wait_loadcnt_dscnt 0x100
	v_mul_f32_e32 v75, v70, v67
	v_dual_mul_f32 v73, v62, v55 :: v_dual_mul_f32 v74, v64, v57
	v_dual_fmac_f32 v48, v59, v50 :: v_dual_mul_f32 v53, v61, v53
	v_fma_f32 v51, v58, v50, -v51
	v_fmac_f32_e32 v72, v61, v52
	v_mul_f32_e32 v50, v63, v55
	s_delay_alu instid0(VALU_DEP_4) | instskip(SKIP_3) | instid1(VALU_DEP_4)
	v_add_f32_e32 v48, 0, v48
	v_fma_f32 v52, v60, v52, -v53
	v_add_f32_e32 v51, 0, v51
	v_mul_f32_e32 v53, v65, v57
	v_dual_fmac_f32 v73, v63, v54 :: v_dual_add_f32 v48, v48, v72
	v_dual_fmac_f32 v74, v65, v56 :: v_dual_fmac_f32 v75, v71, v66
	s_delay_alu instid0(VALU_DEP_4) | instskip(SKIP_1) | instid1(VALU_DEP_4)
	v_add_f32_e32 v51, v51, v52
	v_fma_f32 v50, v62, v54, -v50
	v_add_f32_e32 v48, v48, v73
	v_fma_f32 v53, v64, v56, -v53
	s_delay_alu instid0(VALU_DEP_3) | instskip(NEXT) | instid1(VALU_DEP_3)
	v_add_f32_e32 v50, v51, v50
	v_add_f32_e32 v48, v48, v74
	s_delay_alu instid0(VALU_DEP_2) | instskip(NEXT) | instid1(VALU_DEP_2)
	v_add_f32_e32 v50, v50, v53
	v_add_f32_e32 v48, v48, v75
	v_mul_f32_e32 v52, v71, v67
	s_delay_alu instid0(VALU_DEP_1) | instskip(SKIP_1) | instid1(VALU_DEP_1)
	v_fma_f32 v51, v70, v66, -v52
	s_wait_loadcnt 0x0
	v_dual_add_f32 v50, v50, v51 :: v_dual_sub_f32 v51, v69, v48
	s_delay_alu instid0(VALU_DEP_1)
	v_sub_f32_e32 v50, v68, v50
	scratch_store_b64 off, v[50:51], off offset:136
	v_cmpx_lt_u32_e32 16, v0
	s_cbranch_execz .LBB86_119
; %bb.118:
	scratch_load_b64 v[50:51], off, off offset:128
	v_mov_b32_e32 v48, v47
	scratch_store_b64 off, v[47:48], off offset:128
	s_wait_loadcnt 0x0
	ds_store_b64 v49, v[50:51]
.LBB86_119:
	s_wait_alu 0xfffe
	s_or_b32 exec_lo, exec_lo, s0
	s_wait_storecnt_dscnt 0x0
	s_barrier_signal -1
	s_barrier_wait -1
	global_inv scope:SCOPE_SE
	s_clause 0x3
	scratch_load_b128 v[50:53], off, off offset:136
	scratch_load_b128 v[54:57], off, off offset:152
	;; [unrolled: 1-line block ×3, first 2 shown]
	scratch_load_b64 v[74:75], off, off offset:128
	ds_load_2addr_b64 v[62:65], v47 offset0:41 offset1:42
	ds_load_2addr_b64 v[66:69], v47 offset0:43 offset1:44
	;; [unrolled: 1-line block ×3, first 2 shown]
	s_mov_b32 s0, exec_lo
	s_wait_loadcnt_dscnt 0x302
	v_dual_mul_f32 v47, v62, v51 :: v_dual_mul_f32 v48, v64, v53
	v_mul_f32_e32 v51, v63, v51
	s_wait_loadcnt_dscnt 0x201
	v_dual_mul_f32 v53, v65, v53 :: v_dual_mul_f32 v76, v66, v55
	s_delay_alu instid0(VALU_DEP_3) | instskip(NEXT) | instid1(VALU_DEP_3)
	v_dual_mul_f32 v77, v68, v57 :: v_dual_fmac_f32 v48, v65, v52
	v_fma_f32 v51, v62, v50, -v51
	v_fmac_f32_e32 v47, v63, v50
	v_mul_f32_e32 v50, v67, v55
	v_fma_f32 v52, v64, v52, -v53
	v_mul_f32_e32 v53, v69, v57
	v_dual_add_f32 v51, 0, v51 :: v_dual_fmac_f32 v76, v67, v54
	s_delay_alu instid0(VALU_DEP_4) | instskip(SKIP_2) | instid1(VALU_DEP_3)
	v_fma_f32 v50, v66, v54, -v50
	s_wait_loadcnt_dscnt 0x100
	v_dual_mul_f32 v78, v70, v59 :: v_dual_mul_f32 v79, v72, v61
	v_add_f32_e32 v51, v51, v52
	v_fmac_f32_e32 v77, v69, v56
	v_fma_f32 v52, v68, v56, -v53
	s_delay_alu instid0(VALU_DEP_4) | instskip(NEXT) | instid1(VALU_DEP_4)
	v_dual_fmac_f32 v78, v71, v58 :: v_dual_fmac_f32 v79, v73, v60
	v_add_f32_e32 v50, v51, v50
	s_delay_alu instid0(VALU_DEP_1) | instskip(SKIP_1) | instid1(VALU_DEP_1)
	v_dual_add_f32 v50, v50, v52 :: v_dual_add_f32 v47, 0, v47
	v_mul_f32_e32 v51, v73, v61
	v_fma_f32 v51, v72, v60, -v51
	s_delay_alu instid0(VALU_DEP_3) | instskip(SKIP_1) | instid1(VALU_DEP_1)
	v_add_f32_e32 v47, v47, v48
	v_mul_f32_e32 v48, v71, v59
	v_fma_f32 v48, v70, v58, -v48
	s_delay_alu instid0(VALU_DEP_1) | instskip(NEXT) | instid1(VALU_DEP_1)
	v_add_f32_e32 v48, v50, v48
	v_dual_add_f32 v48, v48, v51 :: v_dual_add_f32 v47, v47, v76
	s_delay_alu instid0(VALU_DEP_1) | instskip(NEXT) | instid1(VALU_DEP_1)
	v_add_f32_e32 v47, v47, v77
	v_add_f32_e32 v47, v47, v78
	s_wait_loadcnt 0x0
	s_delay_alu instid0(VALU_DEP_1) | instskip(NEXT) | instid1(VALU_DEP_1)
	v_dual_add_f32 v50, v47, v79 :: v_dual_sub_f32 v47, v74, v48
	v_sub_f32_e32 v48, v75, v50
	scratch_store_b64 off, v[47:48], off offset:128
	v_cmpx_lt_u32_e32 15, v0
	s_cbranch_execz .LBB86_121
; %bb.120:
	scratch_load_b64 v[47:48], off, off offset:120
	v_mov_b32_e32 v50, 0
	s_delay_alu instid0(VALU_DEP_1)
	v_mov_b32_e32 v51, v50
	scratch_store_b64 off, v[50:51], off offset:120
	s_wait_loadcnt 0x0
	ds_store_b64 v49, v[47:48]
.LBB86_121:
	s_wait_alu 0xfffe
	s_or_b32 exec_lo, exec_lo, s0
	s_wait_storecnt_dscnt 0x0
	s_barrier_signal -1
	s_barrier_wait -1
	global_inv scope:SCOPE_SE
	s_clause 0x4
	scratch_load_b128 v[50:53], off, off offset:128
	scratch_load_b128 v[54:57], off, off offset:144
	;; [unrolled: 1-line block ×3, first 2 shown]
	scratch_load_b64 v[74:75], off, off offset:176
	scratch_load_b64 v[76:77], off, off offset:120
	v_mov_b32_e32 v47, 0
	ds_load_b128 v[62:65], v47 offset:320
	ds_load_b128 v[66:69], v47 offset:336
	;; [unrolled: 1-line block ×3, first 2 shown]
	ds_load_b64 v[78:79], v47 offset:368
	s_mov_b32 s0, exec_lo
	s_wait_loadcnt_dscnt 0x403
	v_mul_f32_e32 v48, v62, v51
	s_wait_loadcnt_dscnt 0x302
	v_dual_mul_f32 v80, v64, v53 :: v_dual_mul_f32 v81, v66, v55
	v_dual_mul_f32 v82, v68, v57 :: v_dual_mul_f32 v51, v63, v51
	s_wait_loadcnt_dscnt 0x100
	v_dual_mul_f32 v85, v78, v75 :: v_dual_fmac_f32 v48, v63, v50
	v_mul_f32_e32 v53, v65, v53
	v_dual_mul_f32 v83, v70, v59 :: v_dual_mul_f32 v84, v72, v61
	v_fma_f32 v51, v62, v50, -v51
	v_fmac_f32_e32 v80, v65, v52
	v_add_f32_e32 v48, 0, v48
	v_mul_f32_e32 v50, v67, v55
	v_fma_f32 v52, v64, v52, -v53
	v_add_f32_e32 v51, 0, v51
	v_mul_f32_e32 v53, v69, v57
	v_dual_fmac_f32 v81, v67, v54 :: v_dual_add_f32 v48, v48, v80
	v_dual_fmac_f32 v82, v69, v56 :: v_dual_fmac_f32 v83, v71, v58
	s_delay_alu instid0(VALU_DEP_4) | instskip(SKIP_1) | instid1(VALU_DEP_4)
	v_add_f32_e32 v51, v51, v52
	v_dual_fmac_f32 v84, v73, v60 :: v_dual_fmac_f32 v85, v79, v74
	v_add_f32_e32 v48, v48, v81
	v_fma_f32 v50, v66, v54, -v50
	v_mul_f32_e32 v52, v71, v59
	v_fma_f32 v53, v68, v56, -v53
	s_delay_alu instid0(VALU_DEP_4) | instskip(NEXT) | instid1(VALU_DEP_1)
	v_add_f32_e32 v48, v48, v82
	v_add_f32_e32 v48, v48, v83
	s_delay_alu instid0(VALU_DEP_1) | instskip(NEXT) | instid1(VALU_DEP_1)
	v_add_f32_e32 v48, v48, v84
	v_add_f32_e32 v48, v48, v85
	v_dual_add_f32 v50, v51, v50 :: v_dual_mul_f32 v51, v73, v61
	v_fma_f32 v52, v70, v58, -v52
	s_delay_alu instid0(VALU_DEP_2) | instskip(NEXT) | instid1(VALU_DEP_3)
	v_dual_add_f32 v50, v50, v53 :: v_dual_mul_f32 v53, v79, v75
	v_fma_f32 v51, v72, v60, -v51
	s_delay_alu instid0(VALU_DEP_2) | instskip(NEXT) | instid1(VALU_DEP_3)
	v_add_f32_e32 v50, v50, v52
	v_fma_f32 v52, v78, v74, -v53
	s_wait_loadcnt 0x0
	s_delay_alu instid0(VALU_DEP_2) | instskip(NEXT) | instid1(VALU_DEP_1)
	v_dual_add_f32 v50, v50, v51 :: v_dual_sub_f32 v51, v77, v48
	v_add_f32_e32 v50, v50, v52
	s_delay_alu instid0(VALU_DEP_1)
	v_sub_f32_e32 v50, v76, v50
	scratch_store_b64 off, v[50:51], off offset:120
	v_cmpx_lt_u32_e32 14, v0
	s_cbranch_execz .LBB86_123
; %bb.122:
	scratch_load_b64 v[50:51], off, off offset:112
	v_mov_b32_e32 v48, v47
	scratch_store_b64 off, v[47:48], off offset:112
	s_wait_loadcnt 0x0
	ds_store_b64 v49, v[50:51]
.LBB86_123:
	s_wait_alu 0xfffe
	s_or_b32 exec_lo, exec_lo, s0
	s_wait_storecnt_dscnt 0x0
	s_barrier_signal -1
	s_barrier_wait -1
	global_inv scope:SCOPE_SE
	s_clause 0x4
	scratch_load_b128 v[50:53], off, off offset:120
	scratch_load_b128 v[54:57], off, off offset:136
	;; [unrolled: 1-line block ×4, first 2 shown]
	scratch_load_b64 v[82:83], off, off offset:112
	ds_load_2addr_b64 v[66:69], v47 offset0:39 offset1:40
	ds_load_2addr_b64 v[70:73], v47 offset0:41 offset1:42
	;; [unrolled: 1-line block ×4, first 2 shown]
	s_mov_b32 s0, exec_lo
	s_wait_loadcnt_dscnt 0x403
	v_dual_mul_f32 v47, v66, v51 :: v_dual_mul_f32 v48, v68, v53
	v_mul_f32_e32 v51, v67, v51
	s_wait_loadcnt_dscnt 0x302
	v_dual_mul_f32 v53, v69, v53 :: v_dual_mul_f32 v84, v70, v55
	s_delay_alu instid0(VALU_DEP_3) | instskip(NEXT) | instid1(VALU_DEP_3)
	v_dual_mul_f32 v85, v72, v57 :: v_dual_fmac_f32 v48, v69, v52
	v_fma_f32 v51, v66, v50, -v51
	v_fmac_f32_e32 v47, v67, v50
	v_mul_f32_e32 v50, v71, v55
	v_fma_f32 v52, v68, v52, -v53
	v_mul_f32_e32 v53, v73, v57
	v_dual_add_f32 v51, 0, v51 :: v_dual_fmac_f32 v84, v71, v54
	s_delay_alu instid0(VALU_DEP_4) | instskip(SKIP_2) | instid1(VALU_DEP_3)
	v_fma_f32 v50, v70, v54, -v50
	s_wait_loadcnt_dscnt 0x201
	v_dual_mul_f32 v86, v74, v59 :: v_dual_mul_f32 v87, v76, v61
	v_add_f32_e32 v51, v51, v52
	v_fmac_f32_e32 v85, v73, v56
	v_fma_f32 v52, v72, v56, -v53
	s_wait_loadcnt_dscnt 0x100
	v_dual_mul_f32 v88, v78, v63 :: v_dual_mul_f32 v89, v80, v65
	v_dual_add_f32 v50, v51, v50 :: v_dual_mul_f32 v51, v77, v61
	v_dual_fmac_f32 v86, v75, v58 :: v_dual_fmac_f32 v87, v77, v60
	s_delay_alu instid0(VALU_DEP_3) | instskip(NEXT) | instid1(VALU_DEP_3)
	v_fmac_f32_e32 v88, v79, v62
	v_dual_add_f32 v50, v50, v52 :: v_dual_add_f32 v47, 0, v47
	v_mul_f32_e32 v52, v79, v63
	v_fma_f32 v51, v76, v60, -v51
	v_fmac_f32_e32 v89, v81, v64
	s_delay_alu instid0(VALU_DEP_4) | instskip(SKIP_2) | instid1(VALU_DEP_2)
	v_add_f32_e32 v47, v47, v48
	v_mul_f32_e32 v48, v75, v59
	v_fma_f32 v52, v78, v62, -v52
	v_fma_f32 v48, v74, v58, -v48
	s_delay_alu instid0(VALU_DEP_1) | instskip(SKIP_1) | instid1(VALU_DEP_2)
	v_add_f32_e32 v48, v50, v48
	v_mul_f32_e32 v50, v81, v65
	v_add_f32_e32 v48, v48, v51
	s_delay_alu instid0(VALU_DEP_2) | instskip(NEXT) | instid1(VALU_DEP_2)
	v_fma_f32 v50, v80, v64, -v50
	v_add_f32_e32 v48, v48, v52
	s_delay_alu instid0(VALU_DEP_1) | instskip(NEXT) | instid1(VALU_DEP_1)
	v_dual_add_f32 v47, v47, v84 :: v_dual_add_f32 v48, v48, v50
	v_add_f32_e32 v47, v47, v85
	s_delay_alu instid0(VALU_DEP_1) | instskip(NEXT) | instid1(VALU_DEP_1)
	v_add_f32_e32 v47, v47, v86
	v_add_f32_e32 v47, v47, v87
	s_delay_alu instid0(VALU_DEP_1) | instskip(SKIP_1) | instid1(VALU_DEP_1)
	v_add_f32_e32 v47, v47, v88
	s_wait_loadcnt 0x0
	v_dual_add_f32 v50, v47, v89 :: v_dual_sub_f32 v47, v82, v48
	s_delay_alu instid0(VALU_DEP_1)
	v_sub_f32_e32 v48, v83, v50
	scratch_store_b64 off, v[47:48], off offset:112
	v_cmpx_lt_u32_e32 13, v0
	s_cbranch_execz .LBB86_125
; %bb.124:
	scratch_load_b64 v[47:48], off, off offset:104
	v_mov_b32_e32 v50, 0
	s_delay_alu instid0(VALU_DEP_1)
	v_mov_b32_e32 v51, v50
	scratch_store_b64 off, v[50:51], off offset:104
	s_wait_loadcnt 0x0
	ds_store_b64 v49, v[47:48]
.LBB86_125:
	s_wait_alu 0xfffe
	s_or_b32 exec_lo, exec_lo, s0
	s_wait_storecnt_dscnt 0x0
	s_barrier_signal -1
	s_barrier_wait -1
	global_inv scope:SCOPE_SE
	s_clause 0x5
	scratch_load_b128 v[50:53], off, off offset:112
	scratch_load_b128 v[54:57], off, off offset:128
	;; [unrolled: 1-line block ×4, first 2 shown]
	scratch_load_b64 v[82:83], off, off offset:176
	scratch_load_b64 v[84:85], off, off offset:104
	v_mov_b32_e32 v47, 0
	ds_load_b128 v[66:69], v47 offset:304
	ds_load_b128 v[70:73], v47 offset:320
	ds_load_b128 v[74:77], v47 offset:336
	ds_load_b128 v[78:81], v47 offset:352
	ds_load_b64 v[86:87], v47 offset:368
	s_mov_b32 s0, exec_lo
	s_wait_loadcnt_dscnt 0x504
	v_mul_f32_e32 v48, v66, v51
	s_wait_loadcnt_dscnt 0x403
	v_dual_mul_f32 v88, v68, v53 :: v_dual_mul_f32 v89, v70, v55
	s_wait_loadcnt_dscnt 0x302
	v_dual_mul_f32 v92, v76, v61 :: v_dual_mul_f32 v51, v67, v51
	s_wait_loadcnt_dscnt 0x100
	v_dual_mul_f32 v95, v86, v83 :: v_dual_fmac_f32 v48, v67, v50
	v_mul_f32_e32 v53, v69, v53
	v_dual_mul_f32 v90, v72, v57 :: v_dual_mul_f32 v91, v74, v59
	v_fma_f32 v51, v66, v50, -v51
	v_fmac_f32_e32 v88, v69, v52
	v_add_f32_e32 v48, 0, v48
	v_mul_f32_e32 v50, v71, v55
	v_fma_f32 v52, v68, v52, -v53
	v_add_f32_e32 v51, 0, v51
	v_mul_f32_e32 v53, v73, v57
	v_dual_fmac_f32 v89, v71, v54 :: v_dual_add_f32 v48, v48, v88
	v_dual_fmac_f32 v90, v73, v56 :: v_dual_fmac_f32 v91, v75, v58
	s_delay_alu instid0(VALU_DEP_4) | instskip(SKIP_1) | instid1(VALU_DEP_4)
	v_add_f32_e32 v51, v51, v52
	v_dual_mul_f32 v93, v78, v63 :: v_dual_mul_f32 v94, v80, v65
	v_add_f32_e32 v48, v48, v89
	v_dual_fmac_f32 v92, v77, v60 :: v_dual_fmac_f32 v95, v87, v82
	s_delay_alu instid0(VALU_DEP_3) | instskip(NEXT) | instid1(VALU_DEP_3)
	v_dual_fmac_f32 v93, v79, v62 :: v_dual_fmac_f32 v94, v81, v64
	v_add_f32_e32 v48, v48, v90
	v_fma_f32 v50, v70, v54, -v50
	v_mul_f32_e32 v52, v75, v59
	v_fma_f32 v53, v72, v56, -v53
	s_delay_alu instid0(VALU_DEP_4) | instskip(NEXT) | instid1(VALU_DEP_1)
	v_add_f32_e32 v48, v48, v91
	v_add_f32_e32 v48, v48, v92
	s_delay_alu instid0(VALU_DEP_1) | instskip(NEXT) | instid1(VALU_DEP_1)
	v_add_f32_e32 v48, v48, v93
	v_add_f32_e32 v48, v48, v94
	s_delay_alu instid0(VALU_DEP_1) | instskip(SKIP_2) | instid1(VALU_DEP_2)
	v_add_f32_e32 v48, v48, v95
	v_dual_add_f32 v50, v51, v50 :: v_dual_mul_f32 v51, v77, v61
	v_fma_f32 v52, v74, v58, -v52
	v_dual_add_f32 v50, v50, v53 :: v_dual_mul_f32 v53, v79, v63
	s_delay_alu instid0(VALU_DEP_3) | instskip(NEXT) | instid1(VALU_DEP_2)
	v_fma_f32 v51, v76, v60, -v51
	v_add_f32_e32 v50, v50, v52
	v_mul_f32_e32 v52, v81, v65
	s_delay_alu instid0(VALU_DEP_4) | instskip(NEXT) | instid1(VALU_DEP_3)
	v_fma_f32 v53, v78, v62, -v53
	v_add_f32_e32 v50, v50, v51
	v_mul_f32_e32 v51, v87, v83
	s_delay_alu instid0(VALU_DEP_4) | instskip(NEXT) | instid1(VALU_DEP_3)
	v_fma_f32 v52, v80, v64, -v52
	v_add_f32_e32 v50, v50, v53
	s_delay_alu instid0(VALU_DEP_3) | instskip(NEXT) | instid1(VALU_DEP_2)
	v_fma_f32 v51, v86, v82, -v51
	v_add_f32_e32 v50, v50, v52
	s_wait_loadcnt 0x0
	s_delay_alu instid0(VALU_DEP_1) | instskip(NEXT) | instid1(VALU_DEP_1)
	v_dual_add_f32 v50, v50, v51 :: v_dual_sub_f32 v51, v85, v48
	v_sub_f32_e32 v50, v84, v50
	scratch_store_b64 off, v[50:51], off offset:104
	v_cmpx_lt_u32_e32 12, v0
	s_cbranch_execz .LBB86_127
; %bb.126:
	scratch_load_b64 v[50:51], off, off offset:96
	v_mov_b32_e32 v48, v47
	scratch_store_b64 off, v[47:48], off offset:96
	s_wait_loadcnt 0x0
	ds_store_b64 v49, v[50:51]
.LBB86_127:
	s_wait_alu 0xfffe
	s_or_b32 exec_lo, exec_lo, s0
	s_wait_storecnt_dscnt 0x0
	s_barrier_signal -1
	s_barrier_wait -1
	global_inv scope:SCOPE_SE
	s_clause 0x5
	scratch_load_b128 v[50:53], off, off offset:104
	scratch_load_b128 v[54:57], off, off offset:120
	;; [unrolled: 1-line block ×5, first 2 shown]
	scratch_load_b64 v[90:91], off, off offset:96
	ds_load_2addr_b64 v[70:73], v47 offset0:37 offset1:38
	ds_load_2addr_b64 v[74:77], v47 offset0:39 offset1:40
	;; [unrolled: 1-line block ×5, first 2 shown]
	s_mov_b32 s0, exec_lo
	s_wait_loadcnt_dscnt 0x504
	v_dual_mul_f32 v47, v70, v51 :: v_dual_mul_f32 v48, v72, v53
	v_mul_f32_e32 v51, v71, v51
	s_wait_loadcnt_dscnt 0x403
	v_dual_mul_f32 v53, v73, v53 :: v_dual_mul_f32 v92, v74, v55
	s_delay_alu instid0(VALU_DEP_3) | instskip(NEXT) | instid1(VALU_DEP_3)
	v_dual_mul_f32 v93, v76, v57 :: v_dual_fmac_f32 v48, v73, v52
	v_fma_f32 v51, v70, v50, -v51
	v_fmac_f32_e32 v47, v71, v50
	v_mul_f32_e32 v50, v75, v55
	v_fma_f32 v52, v72, v52, -v53
	v_mul_f32_e32 v53, v77, v57
	v_dual_add_f32 v51, 0, v51 :: v_dual_fmac_f32 v92, v75, v54
	s_delay_alu instid0(VALU_DEP_4) | instskip(SKIP_2) | instid1(VALU_DEP_3)
	v_fma_f32 v50, v74, v54, -v50
	s_wait_loadcnt_dscnt 0x302
	v_dual_mul_f32 v94, v78, v59 :: v_dual_mul_f32 v95, v80, v61
	v_add_f32_e32 v51, v51, v52
	v_fmac_f32_e32 v93, v77, v56
	v_fma_f32 v52, v76, v56, -v53
	s_wait_loadcnt_dscnt 0x201
	v_dual_mul_f32 v96, v82, v63 :: v_dual_mul_f32 v97, v84, v65
	v_dual_add_f32 v50, v51, v50 :: v_dual_mul_f32 v51, v81, v61
	v_fmac_f32_e32 v94, v79, v58
	s_wait_loadcnt_dscnt 0x100
	v_dual_mul_f32 v98, v86, v67 :: v_dual_mul_f32 v99, v88, v69
	s_delay_alu instid0(VALU_DEP_3) | instskip(SKIP_3) | instid1(VALU_DEP_4)
	v_dual_add_f32 v50, v50, v52 :: v_dual_add_f32 v47, 0, v47
	v_mul_f32_e32 v52, v83, v63
	v_fma_f32 v51, v80, v60, -v51
	v_dual_fmac_f32 v95, v81, v60 :: v_dual_fmac_f32 v96, v83, v62
	v_add_f32_e32 v47, v47, v48
	v_mul_f32_e32 v48, v79, v59
	v_fma_f32 v52, v82, v62, -v52
	v_dual_fmac_f32 v97, v85, v64 :: v_dual_fmac_f32 v98, v87, v66
	s_delay_alu instid0(VALU_DEP_3) | instskip(NEXT) | instid1(VALU_DEP_1)
	v_fma_f32 v48, v78, v58, -v48
	v_add_f32_e32 v48, v50, v48
	v_mul_f32_e32 v50, v85, v65
	s_delay_alu instid0(VALU_DEP_2) | instskip(SKIP_1) | instid1(VALU_DEP_3)
	v_dual_add_f32 v48, v48, v51 :: v_dual_add_f32 v47, v47, v92
	v_mul_f32_e32 v51, v87, v67
	v_fma_f32 v50, v84, v64, -v50
	s_delay_alu instid0(VALU_DEP_3) | instskip(SKIP_3) | instid1(VALU_DEP_4)
	v_add_f32_e32 v48, v48, v52
	v_mul_f32_e32 v52, v89, v69
	v_add_f32_e32 v47, v47, v93
	v_fma_f32 v51, v86, v66, -v51
	v_dual_add_f32 v48, v48, v50 :: v_dual_fmac_f32 v99, v89, v68
	s_delay_alu instid0(VALU_DEP_3) | instskip(SKIP_1) | instid1(VALU_DEP_3)
	v_add_f32_e32 v47, v47, v94
	v_fma_f32 v50, v88, v68, -v52
	v_add_f32_e32 v48, v48, v51
	s_delay_alu instid0(VALU_DEP_1) | instskip(NEXT) | instid1(VALU_DEP_1)
	v_dual_add_f32 v47, v47, v95 :: v_dual_add_f32 v48, v48, v50
	v_add_f32_e32 v47, v47, v96
	s_delay_alu instid0(VALU_DEP_1) | instskip(NEXT) | instid1(VALU_DEP_1)
	v_add_f32_e32 v47, v47, v97
	v_add_f32_e32 v47, v47, v98
	s_wait_loadcnt 0x0
	s_delay_alu instid0(VALU_DEP_1) | instskip(NEXT) | instid1(VALU_DEP_1)
	v_dual_add_f32 v50, v47, v99 :: v_dual_sub_f32 v47, v90, v48
	v_sub_f32_e32 v48, v91, v50
	scratch_store_b64 off, v[47:48], off offset:96
	v_cmpx_lt_u32_e32 11, v0
	s_cbranch_execz .LBB86_129
; %bb.128:
	scratch_load_b64 v[47:48], off, off offset:88
	v_mov_b32_e32 v50, 0
	s_delay_alu instid0(VALU_DEP_1)
	v_mov_b32_e32 v51, v50
	scratch_store_b64 off, v[50:51], off offset:88
	s_wait_loadcnt 0x0
	ds_store_b64 v49, v[47:48]
.LBB86_129:
	s_wait_alu 0xfffe
	s_or_b32 exec_lo, exec_lo, s0
	s_wait_storecnt_dscnt 0x0
	s_barrier_signal -1
	s_barrier_wait -1
	global_inv scope:SCOPE_SE
	s_clause 0x6
	scratch_load_b128 v[50:53], off, off offset:96
	scratch_load_b128 v[54:57], off, off offset:112
	;; [unrolled: 1-line block ×5, first 2 shown]
	scratch_load_b64 v[90:91], off, off offset:176
	scratch_load_b64 v[92:93], off, off offset:88
	v_mov_b32_e32 v47, 0
	ds_load_b128 v[70:73], v47 offset:288
	ds_load_b128 v[74:77], v47 offset:304
	;; [unrolled: 1-line block ×5, first 2 shown]
	ds_load_b64 v[94:95], v47 offset:368
	s_mov_b32 s0, exec_lo
	s_wait_loadcnt_dscnt 0x605
	v_mul_f32_e32 v48, v70, v51
	v_dual_mul_f32 v51, v71, v51 :: v_dual_mul_f32 v96, v72, v53
	s_wait_loadcnt_dscnt 0x302
	v_dual_mul_f32 v97, v74, v55 :: v_dual_mul_f32 v102, v84, v65
	s_wait_loadcnt_dscnt 0x100
	v_dual_mul_f32 v105, v94, v91 :: v_dual_fmac_f32 v48, v71, v50
	v_mul_f32_e32 v53, v73, v53
	v_fma_f32 v51, v70, v50, -v51
	v_mul_f32_e32 v50, v75, v55
	v_fmac_f32_e32 v96, v73, v52
	v_add_f32_e32 v48, 0, v48
	v_fma_f32 v52, v72, v52, -v53
	v_add_f32_e32 v51, 0, v51
	v_mul_f32_e32 v53, v77, v57
	s_delay_alu instid0(VALU_DEP_4) | instskip(SKIP_1) | instid1(VALU_DEP_4)
	v_dual_fmac_f32 v97, v75, v54 :: v_dual_add_f32 v48, v48, v96
	v_fma_f32 v50, v74, v54, -v50
	v_dual_add_f32 v51, v51, v52 :: v_dual_mul_f32 v98, v76, v57
	v_mul_f32_e32 v99, v78, v59
	v_mul_f32_e32 v52, v79, v59
	v_fma_f32 v53, v76, v56, -v53
	v_add_f32_e32 v48, v48, v97
	v_add_f32_e32 v50, v51, v50
	v_dual_fmac_f32 v98, v77, v56 :: v_dual_fmac_f32 v99, v79, v58
	v_mul_f32_e32 v51, v81, v61
	v_fma_f32 v52, v78, v58, -v52
	s_delay_alu instid0(VALU_DEP_4) | instskip(SKIP_4) | instid1(VALU_DEP_3)
	v_dual_add_f32 v50, v50, v53 :: v_dual_mul_f32 v53, v83, v63
	v_dual_mul_f32 v100, v80, v61 :: v_dual_mul_f32 v101, v82, v63
	v_dual_mul_f32 v103, v86, v67 :: v_dual_mul_f32 v104, v88, v69
	v_add_f32_e32 v48, v48, v98
	v_fma_f32 v51, v80, v60, -v51
	v_dual_add_f32 v50, v50, v52 :: v_dual_fmac_f32 v103, v87, v66
	v_dual_fmac_f32 v100, v81, v60 :: v_dual_fmac_f32 v101, v83, v62
	v_mul_f32_e32 v52, v85, v65
	s_delay_alu instid0(VALU_DEP_3)
	v_add_f32_e32 v50, v50, v51
	v_mul_f32_e32 v51, v87, v67
	v_dual_add_f32 v48, v48, v99 :: v_dual_fmac_f32 v105, v95, v90
	v_fma_f32 v53, v82, v62, -v53
	v_fmac_f32_e32 v102, v85, v64
	v_fma_f32 v52, v84, v64, -v52
	s_delay_alu instid0(VALU_DEP_4)
	v_add_f32_e32 v48, v48, v100
	v_fma_f32 v51, v86, v66, -v51
	v_add_f32_e32 v50, v50, v53
	v_mul_f32_e32 v53, v89, v69
	v_fmac_f32_e32 v104, v89, v68
	v_add_f32_e32 v48, v48, v101
	s_delay_alu instid0(VALU_DEP_4) | instskip(SKIP_2) | instid1(VALU_DEP_4)
	v_add_f32_e32 v50, v50, v52
	v_mul_f32_e32 v52, v95, v91
	v_fma_f32 v53, v88, v68, -v53
	v_add_f32_e32 v48, v48, v102
	s_delay_alu instid0(VALU_DEP_4) | instskip(NEXT) | instid1(VALU_DEP_4)
	v_add_f32_e32 v50, v50, v51
	v_fma_f32 v51, v94, v90, -v52
	s_delay_alu instid0(VALU_DEP_3) | instskip(NEXT) | instid1(VALU_DEP_3)
	v_add_f32_e32 v48, v48, v103
	v_add_f32_e32 v50, v50, v53
	s_delay_alu instid0(VALU_DEP_2) | instskip(NEXT) | instid1(VALU_DEP_2)
	v_add_f32_e32 v48, v48, v104
	v_add_f32_e32 v50, v50, v51
	s_delay_alu instid0(VALU_DEP_2) | instskip(SKIP_1) | instid1(VALU_DEP_1)
	v_add_f32_e32 v48, v48, v105
	s_wait_loadcnt 0x0
	v_dual_sub_f32 v50, v92, v50 :: v_dual_sub_f32 v51, v93, v48
	scratch_store_b64 off, v[50:51], off offset:88
	v_cmpx_lt_u32_e32 10, v0
	s_cbranch_execz .LBB86_131
; %bb.130:
	scratch_load_b64 v[50:51], off, off offset:80
	v_mov_b32_e32 v48, v47
	scratch_store_b64 off, v[47:48], off offset:80
	s_wait_loadcnt 0x0
	ds_store_b64 v49, v[50:51]
.LBB86_131:
	s_wait_alu 0xfffe
	s_or_b32 exec_lo, exec_lo, s0
	s_wait_storecnt_dscnt 0x0
	s_barrier_signal -1
	s_barrier_wait -1
	global_inv scope:SCOPE_SE
	s_clause 0x6
	scratch_load_b128 v[50:53], off, off offset:88
	scratch_load_b128 v[54:57], off, off offset:104
	;; [unrolled: 1-line block ×6, first 2 shown]
	scratch_load_b64 v[98:99], off, off offset:80
	ds_load_2addr_b64 v[74:77], v47 offset0:35 offset1:36
	ds_load_2addr_b64 v[78:81], v47 offset0:37 offset1:38
	;; [unrolled: 1-line block ×6, first 2 shown]
	s_mov_b32 s0, exec_lo
	s_wait_loadcnt_dscnt 0x605
	v_dual_mul_f32 v47, v74, v51 :: v_dual_mul_f32 v48, v76, v53
	v_mul_f32_e32 v51, v75, v51
	s_wait_loadcnt_dscnt 0x504
	v_dual_mul_f32 v53, v77, v53 :: v_dual_mul_f32 v100, v78, v55
	s_delay_alu instid0(VALU_DEP_3) | instskip(NEXT) | instid1(VALU_DEP_3)
	v_dual_mul_f32 v101, v80, v57 :: v_dual_fmac_f32 v48, v77, v52
	v_fma_f32 v51, v74, v50, -v51
	v_fmac_f32_e32 v47, v75, v50
	v_mul_f32_e32 v50, v79, v55
	v_fma_f32 v52, v76, v52, -v53
	v_mul_f32_e32 v53, v81, v57
	v_dual_add_f32 v51, 0, v51 :: v_dual_fmac_f32 v100, v79, v54
	s_delay_alu instid0(VALU_DEP_4) | instskip(SKIP_2) | instid1(VALU_DEP_3)
	v_fma_f32 v50, v78, v54, -v50
	s_wait_loadcnt_dscnt 0x403
	v_dual_mul_f32 v102, v82, v59 :: v_dual_mul_f32 v103, v84, v61
	v_add_f32_e32 v51, v51, v52
	v_fmac_f32_e32 v101, v81, v56
	v_fma_f32 v52, v80, v56, -v53
	s_wait_loadcnt_dscnt 0x302
	v_dual_mul_f32 v104, v86, v63 :: v_dual_mul_f32 v105, v88, v65
	v_dual_add_f32 v50, v51, v50 :: v_dual_mul_f32 v51, v85, v61
	v_fmac_f32_e32 v102, v83, v58
	s_wait_loadcnt_dscnt 0x201
	v_dual_mul_f32 v106, v90, v67 :: v_dual_mul_f32 v107, v92, v69
	s_delay_alu instid0(VALU_DEP_3) | instskip(SKIP_3) | instid1(VALU_DEP_4)
	v_dual_add_f32 v50, v50, v52 :: v_dual_add_f32 v47, 0, v47
	v_mul_f32_e32 v52, v87, v63
	v_fma_f32 v51, v84, v60, -v51
	v_dual_fmac_f32 v103, v85, v60 :: v_dual_fmac_f32 v104, v87, v62
	v_add_f32_e32 v47, v47, v48
	v_mul_f32_e32 v48, v83, v59
	v_fma_f32 v52, v86, v62, -v52
	v_dual_fmac_f32 v105, v89, v64 :: v_dual_fmac_f32 v106, v91, v66
	s_wait_loadcnt_dscnt 0x100
	v_dual_mul_f32 v108, v94, v71 :: v_dual_mul_f32 v109, v96, v73
	v_fma_f32 v48, v82, v58, -v48
	s_delay_alu instid0(VALU_DEP_2) | instskip(NEXT) | instid1(VALU_DEP_3)
	v_dual_fmac_f32 v107, v93, v68 :: v_dual_fmac_f32 v108, v95, v70
	v_fmac_f32_e32 v109, v97, v72
	s_delay_alu instid0(VALU_DEP_3) | instskip(SKIP_1) | instid1(VALU_DEP_2)
	v_add_f32_e32 v48, v50, v48
	v_mul_f32_e32 v50, v89, v65
	v_dual_add_f32 v48, v48, v51 :: v_dual_add_f32 v47, v47, v100
	v_mul_f32_e32 v51, v91, v67
	s_delay_alu instid0(VALU_DEP_3) | instskip(NEXT) | instid1(VALU_DEP_3)
	v_fma_f32 v50, v88, v64, -v50
	v_add_f32_e32 v48, v48, v52
	v_mul_f32_e32 v52, v93, v69
	v_add_f32_e32 v47, v47, v101
	v_fma_f32 v51, v90, v66, -v51
	s_delay_alu instid0(VALU_DEP_4) | instskip(SKIP_1) | instid1(VALU_DEP_4)
	v_add_f32_e32 v48, v48, v50
	v_mul_f32_e32 v50, v95, v71
	v_add_f32_e32 v47, v47, v102
	v_fma_f32 v52, v92, v68, -v52
	s_delay_alu instid0(VALU_DEP_4) | instskip(NEXT) | instid1(VALU_DEP_3)
	v_dual_add_f32 v48, v48, v51 :: v_dual_mul_f32 v51, v97, v73
	v_add_f32_e32 v47, v47, v103
	v_fma_f32 v50, v94, v70, -v50
	s_delay_alu instid0(VALU_DEP_3) | instskip(NEXT) | instid1(VALU_DEP_4)
	v_add_f32_e32 v48, v48, v52
	v_fma_f32 v51, v96, v72, -v51
	s_delay_alu instid0(VALU_DEP_2) | instskip(NEXT) | instid1(VALU_DEP_1)
	v_dual_add_f32 v47, v47, v104 :: v_dual_add_f32 v48, v48, v50
	v_dual_add_f32 v47, v47, v105 :: v_dual_add_f32 v48, v48, v51
	s_delay_alu instid0(VALU_DEP_1) | instskip(NEXT) | instid1(VALU_DEP_1)
	v_add_f32_e32 v47, v47, v106
	v_add_f32_e32 v47, v47, v107
	s_delay_alu instid0(VALU_DEP_1) | instskip(SKIP_1) | instid1(VALU_DEP_1)
	v_add_f32_e32 v47, v47, v108
	s_wait_loadcnt 0x0
	v_dual_add_f32 v50, v47, v109 :: v_dual_sub_f32 v47, v98, v48
	s_delay_alu instid0(VALU_DEP_1)
	v_sub_f32_e32 v48, v99, v50
	scratch_store_b64 off, v[47:48], off offset:80
	v_cmpx_lt_u32_e32 9, v0
	s_cbranch_execz .LBB86_133
; %bb.132:
	scratch_load_b64 v[47:48], off, off offset:72
	v_mov_b32_e32 v50, 0
	s_delay_alu instid0(VALU_DEP_1)
	v_mov_b32_e32 v51, v50
	scratch_store_b64 off, v[50:51], off offset:72
	s_wait_loadcnt 0x0
	ds_store_b64 v49, v[47:48]
.LBB86_133:
	s_wait_alu 0xfffe
	s_or_b32 exec_lo, exec_lo, s0
	s_wait_storecnt_dscnt 0x0
	s_barrier_signal -1
	s_barrier_wait -1
	global_inv scope:SCOPE_SE
	s_clause 0x7
	scratch_load_b128 v[50:53], off, off offset:80
	scratch_load_b128 v[54:57], off, off offset:96
	;; [unrolled: 1-line block ×6, first 2 shown]
	scratch_load_b64 v[98:99], off, off offset:176
	scratch_load_b64 v[100:101], off, off offset:72
	v_mov_b32_e32 v47, 0
	ds_load_b128 v[74:77], v47 offset:272
	ds_load_b128 v[78:81], v47 offset:288
	;; [unrolled: 1-line block ×6, first 2 shown]
	ds_load_b64 v[102:103], v47 offset:368
	s_mov_b32 s0, exec_lo
	s_wait_loadcnt_dscnt 0x706
	v_mul_f32_e32 v48, v74, v51
	v_dual_mul_f32 v51, v75, v51 :: v_dual_mul_f32 v104, v76, v53
	s_wait_loadcnt_dscnt 0x302
	v_dual_mul_f32 v105, v78, v55 :: v_dual_mul_f32 v112, v92, v69
	v_mul_f32_e32 v53, v77, v53
	s_wait_loadcnt_dscnt 0x100
	v_dual_mul_f32 v115, v102, v99 :: v_dual_fmac_f32 v48, v75, v50
	v_fma_f32 v51, v74, v50, -v51
	v_mul_f32_e32 v50, v79, v55
	v_fmac_f32_e32 v104, v77, v52
	v_fma_f32 v52, v76, v52, -v53
	v_dual_add_f32 v48, 0, v48 :: v_dual_mul_f32 v53, v81, v57
	v_add_f32_e32 v51, 0, v51
	v_fmac_f32_e32 v105, v79, v54
	v_fma_f32 v50, v78, v54, -v50
	s_delay_alu instid0(VALU_DEP_4)
	v_add_f32_e32 v48, v48, v104
	v_fma_f32 v53, v80, v56, -v53
	v_add_f32_e32 v51, v51, v52
	v_mul_f32_e32 v52, v83, v59
	v_dual_mul_f32 v106, v80, v57 :: v_dual_mul_f32 v107, v82, v59
	v_add_f32_e32 v48, v48, v105
	s_delay_alu instid0(VALU_DEP_4) | instskip(NEXT) | instid1(VALU_DEP_4)
	v_dual_add_f32 v50, v51, v50 :: v_dual_mul_f32 v51, v85, v61
	v_fma_f32 v52, v82, v58, -v52
	v_dual_mul_f32 v110, v88, v65 :: v_dual_mul_f32 v111, v90, v67
	s_delay_alu instid0(VALU_DEP_3) | instskip(NEXT) | instid1(VALU_DEP_4)
	v_dual_add_f32 v50, v50, v53 :: v_dual_mul_f32 v53, v87, v63
	v_fma_f32 v51, v84, v60, -v51
	v_dual_mul_f32 v113, v94, v71 :: v_dual_mul_f32 v114, v96, v73
	s_delay_alu instid0(VALU_DEP_3) | instskip(SKIP_1) | instid1(VALU_DEP_3)
	v_dual_add_f32 v50, v50, v52 :: v_dual_fmac_f32 v111, v91, v66
	v_dual_fmac_f32 v106, v81, v56 :: v_dual_fmac_f32 v107, v83, v58
	v_dual_mul_f32 v52, v89, v65 :: v_dual_fmac_f32 v113, v95, v70
	v_fma_f32 v53, v86, v62, -v53
	s_delay_alu instid0(VALU_DEP_4) | instskip(SKIP_3) | instid1(VALU_DEP_4)
	v_dual_add_f32 v50, v50, v51 :: v_dual_fmac_f32 v115, v103, v98
	v_dual_mul_f32 v108, v84, v61 :: v_dual_mul_f32 v109, v86, v63
	v_dual_add_f32 v48, v48, v106 :: v_dual_mul_f32 v51, v91, v67
	v_fma_f32 v52, v88, v64, -v52
	v_add_f32_e32 v50, v50, v53
	s_delay_alu instid0(VALU_DEP_4) | instskip(NEXT) | instid1(VALU_DEP_4)
	v_dual_fmac_f32 v108, v85, v60 :: v_dual_fmac_f32 v109, v87, v62
	v_dual_add_f32 v48, v48, v107 :: v_dual_mul_f32 v53, v93, v69
	v_fma_f32 v51, v90, v66, -v51
	s_delay_alu instid0(VALU_DEP_4)
	v_add_f32_e32 v50, v50, v52
	v_fmac_f32_e32 v110, v89, v64
	v_mul_f32_e32 v52, v95, v71
	v_fma_f32 v53, v92, v68, -v53
	v_fmac_f32_e32 v112, v93, v68
	v_dual_add_f32 v50, v50, v51 :: v_dual_mul_f32 v51, v97, v73
	v_add_f32_e32 v48, v48, v108
	v_fma_f32 v52, v94, v70, -v52
	v_fmac_f32_e32 v114, v97, v72
	s_delay_alu instid0(VALU_DEP_4) | instskip(NEXT) | instid1(VALU_DEP_4)
	v_dual_add_f32 v50, v50, v53 :: v_dual_mul_f32 v53, v103, v99
	v_add_f32_e32 v48, v48, v109
	v_fma_f32 v51, v96, v72, -v51
	s_delay_alu instid0(VALU_DEP_3) | instskip(NEXT) | instid1(VALU_DEP_4)
	v_add_f32_e32 v50, v50, v52
	v_fma_f32 v52, v102, v98, -v53
	s_delay_alu instid0(VALU_DEP_4) | instskip(NEXT) | instid1(VALU_DEP_3)
	v_add_f32_e32 v48, v48, v110
	v_add_f32_e32 v50, v50, v51
	s_delay_alu instid0(VALU_DEP_2) | instskip(NEXT) | instid1(VALU_DEP_2)
	v_add_f32_e32 v48, v48, v111
	v_add_f32_e32 v50, v50, v52
	s_delay_alu instid0(VALU_DEP_2) | instskip(SKIP_1) | instid1(VALU_DEP_2)
	v_add_f32_e32 v48, v48, v112
	s_wait_loadcnt 0x0
	v_sub_f32_e32 v50, v100, v50
	s_delay_alu instid0(VALU_DEP_2) | instskip(NEXT) | instid1(VALU_DEP_1)
	v_add_f32_e32 v48, v48, v113
	v_add_f32_e32 v48, v48, v114
	s_delay_alu instid0(VALU_DEP_1) | instskip(NEXT) | instid1(VALU_DEP_1)
	v_add_f32_e32 v48, v48, v115
	v_sub_f32_e32 v51, v101, v48
	scratch_store_b64 off, v[50:51], off offset:72
	v_cmpx_lt_u32_e32 8, v0
	s_cbranch_execz .LBB86_135
; %bb.134:
	scratch_load_b64 v[50:51], off, off offset:64
	v_mov_b32_e32 v48, v47
	scratch_store_b64 off, v[47:48], off offset:64
	s_wait_loadcnt 0x0
	ds_store_b64 v49, v[50:51]
.LBB86_135:
	s_wait_alu 0xfffe
	s_or_b32 exec_lo, exec_lo, s0
	s_wait_storecnt_dscnt 0x0
	s_barrier_signal -1
	s_barrier_wait -1
	global_inv scope:SCOPE_SE
	s_clause 0x7
	scratch_load_b128 v[50:53], off, off offset:72
	scratch_load_b128 v[54:57], off, off offset:88
	;; [unrolled: 1-line block ×7, first 2 shown]
	scratch_load_b64 v[106:107], off, off offset:64
	ds_load_2addr_b64 v[78:81], v47 offset0:33 offset1:34
	ds_load_2addr_b64 v[82:85], v47 offset0:35 offset1:36
	;; [unrolled: 1-line block ×7, first 2 shown]
	s_mov_b32 s0, exec_lo
	s_wait_loadcnt_dscnt 0x706
	v_dual_mul_f32 v47, v78, v51 :: v_dual_mul_f32 v48, v80, v53
	v_mul_f32_e32 v51, v79, v51
	s_wait_loadcnt_dscnt 0x605
	v_dual_mul_f32 v53, v81, v53 :: v_dual_mul_f32 v108, v82, v55
	s_delay_alu instid0(VALU_DEP_3) | instskip(NEXT) | instid1(VALU_DEP_3)
	v_dual_mul_f32 v109, v84, v57 :: v_dual_fmac_f32 v48, v81, v52
	v_fma_f32 v51, v78, v50, -v51
	v_fmac_f32_e32 v47, v79, v50
	v_mul_f32_e32 v50, v83, v55
	v_fma_f32 v52, v80, v52, -v53
	v_mul_f32_e32 v53, v85, v57
	v_dual_add_f32 v51, 0, v51 :: v_dual_fmac_f32 v108, v83, v54
	s_delay_alu instid0(VALU_DEP_4) | instskip(SKIP_2) | instid1(VALU_DEP_3)
	v_fma_f32 v50, v82, v54, -v50
	s_wait_loadcnt_dscnt 0x504
	v_dual_mul_f32 v110, v86, v59 :: v_dual_mul_f32 v111, v88, v61
	v_add_f32_e32 v51, v51, v52
	v_fmac_f32_e32 v109, v85, v56
	v_fma_f32 v52, v84, v56, -v53
	s_wait_loadcnt_dscnt 0x403
	v_dual_mul_f32 v112, v90, v63 :: v_dual_mul_f32 v113, v92, v65
	v_dual_add_f32 v50, v51, v50 :: v_dual_mul_f32 v51, v89, v61
	v_fmac_f32_e32 v110, v87, v58
	s_wait_loadcnt_dscnt 0x302
	v_dual_mul_f32 v114, v94, v67 :: v_dual_mul_f32 v115, v96, v69
	s_delay_alu instid0(VALU_DEP_3) | instskip(SKIP_3) | instid1(VALU_DEP_4)
	v_dual_add_f32 v50, v50, v52 :: v_dual_add_f32 v47, 0, v47
	v_mul_f32_e32 v52, v91, v63
	v_fma_f32 v51, v88, v60, -v51
	v_dual_fmac_f32 v111, v89, v60 :: v_dual_fmac_f32 v112, v91, v62
	v_add_f32_e32 v47, v47, v48
	v_mul_f32_e32 v48, v87, v59
	v_fma_f32 v52, v90, v62, -v52
	v_dual_fmac_f32 v113, v93, v64 :: v_dual_fmac_f32 v114, v95, v66
	s_wait_loadcnt_dscnt 0x201
	v_dual_mul_f32 v116, v98, v71 :: v_dual_mul_f32 v117, v100, v73
	v_fma_f32 v48, v86, v58, -v48
	s_wait_loadcnt_dscnt 0x100
	v_dual_mul_f32 v118, v102, v75 :: v_dual_mul_f32 v119, v104, v77
	s_delay_alu instid0(VALU_DEP_3) | instskip(NEXT) | instid1(VALU_DEP_3)
	v_dual_fmac_f32 v115, v97, v68 :: v_dual_fmac_f32 v116, v99, v70
	v_add_f32_e32 v48, v50, v48
	v_mul_f32_e32 v50, v93, v65
	s_delay_alu instid0(VALU_DEP_4) | instskip(NEXT) | instid1(VALU_DEP_3)
	v_dual_fmac_f32 v118, v103, v74 :: v_dual_fmac_f32 v119, v105, v76
	v_dual_fmac_f32 v117, v101, v72 :: v_dual_add_f32 v48, v48, v51
	v_add_f32_e32 v47, v47, v108
	v_mul_f32_e32 v51, v95, v67
	v_fma_f32 v50, v92, v64, -v50
	s_delay_alu instid0(VALU_DEP_4) | instskip(SKIP_3) | instid1(VALU_DEP_4)
	v_add_f32_e32 v48, v48, v52
	v_mul_f32_e32 v52, v97, v69
	v_add_f32_e32 v47, v47, v109
	v_fma_f32 v51, v94, v66, -v51
	v_add_f32_e32 v48, v48, v50
	v_mul_f32_e32 v50, v99, v71
	s_delay_alu instid0(VALU_DEP_4) | instskip(SKIP_1) | instid1(VALU_DEP_4)
	v_add_f32_e32 v47, v47, v110
	v_fma_f32 v52, v96, v68, -v52
	v_dual_add_f32 v48, v48, v51 :: v_dual_mul_f32 v51, v101, v73
	s_delay_alu instid0(VALU_DEP_3) | instskip(SKIP_1) | instid1(VALU_DEP_3)
	v_add_f32_e32 v47, v47, v111
	v_fma_f32 v50, v98, v70, -v50
	v_add_f32_e32 v48, v48, v52
	s_delay_alu instid0(VALU_DEP_4) | instskip(NEXT) | instid1(VALU_DEP_4)
	v_fma_f32 v51, v100, v72, -v51
	v_add_f32_e32 v47, v47, v112
	v_mul_f32_e32 v52, v103, v75
	s_delay_alu instid0(VALU_DEP_4) | instskip(SKIP_1) | instid1(VALU_DEP_4)
	v_add_f32_e32 v48, v48, v50
	v_mul_f32_e32 v50, v105, v77
	v_add_f32_e32 v47, v47, v113
	s_delay_alu instid0(VALU_DEP_4) | instskip(NEXT) | instid1(VALU_DEP_4)
	v_fma_f32 v52, v102, v74, -v52
	v_add_f32_e32 v48, v48, v51
	s_delay_alu instid0(VALU_DEP_4) | instskip(NEXT) | instid1(VALU_DEP_2)
	v_fma_f32 v50, v104, v76, -v50
	v_dual_add_f32 v47, v47, v114 :: v_dual_add_f32 v48, v48, v52
	s_delay_alu instid0(VALU_DEP_1) | instskip(NEXT) | instid1(VALU_DEP_1)
	v_dual_add_f32 v47, v47, v115 :: v_dual_add_f32 v48, v48, v50
	v_add_f32_e32 v47, v47, v116
	s_delay_alu instid0(VALU_DEP_1) | instskip(NEXT) | instid1(VALU_DEP_1)
	v_add_f32_e32 v47, v47, v117
	v_add_f32_e32 v47, v47, v118
	s_wait_loadcnt 0x0
	s_delay_alu instid0(VALU_DEP_1) | instskip(NEXT) | instid1(VALU_DEP_1)
	v_dual_add_f32 v50, v47, v119 :: v_dual_sub_f32 v47, v106, v48
	v_sub_f32_e32 v48, v107, v50
	scratch_store_b64 off, v[47:48], off offset:64
	v_cmpx_lt_u32_e32 7, v0
	s_cbranch_execz .LBB86_137
; %bb.136:
	scratch_load_b64 v[47:48], off, off offset:56
	v_mov_b32_e32 v50, 0
	s_delay_alu instid0(VALU_DEP_1)
	v_mov_b32_e32 v51, v50
	scratch_store_b64 off, v[50:51], off offset:56
	s_wait_loadcnt 0x0
	ds_store_b64 v49, v[47:48]
.LBB86_137:
	s_wait_alu 0xfffe
	s_or_b32 exec_lo, exec_lo, s0
	s_wait_storecnt_dscnt 0x0
	s_barrier_signal -1
	s_barrier_wait -1
	global_inv scope:SCOPE_SE
	s_clause 0x8
	scratch_load_b128 v[50:53], off, off offset:64
	scratch_load_b128 v[54:57], off, off offset:80
	;; [unrolled: 1-line block ×7, first 2 shown]
	scratch_load_b64 v[106:107], off, off offset:176
	scratch_load_b64 v[108:109], off, off offset:56
	v_mov_b32_e32 v47, 0
	ds_load_b128 v[78:81], v47 offset:256
	ds_load_b128 v[82:85], v47 offset:272
	;; [unrolled: 1-line block ×7, first 2 shown]
	ds_load_b64 v[110:111], v47 offset:368
	s_mov_b32 s0, exec_lo
	s_wait_loadcnt_dscnt 0x807
	v_mul_f32_e32 v48, v78, v51
	v_dual_mul_f32 v51, v79, v51 :: v_dual_mul_f32 v112, v80, v53
	s_wait_loadcnt_dscnt 0x706
	v_mul_f32_e32 v113, v82, v55
	v_mul_f32_e32 v53, v81, v53
	s_wait_loadcnt_dscnt 0x302
	v_mul_f32_e32 v122, v100, v73
	v_fma_f32 v51, v78, v50, -v51
	s_wait_loadcnt_dscnt 0x100
	v_dual_mul_f32 v125, v110, v107 :: v_dual_fmac_f32 v48, v79, v50
	v_mul_f32_e32 v50, v83, v55
	s_delay_alu instid0(VALU_DEP_3) | instskip(SKIP_1) | instid1(VALU_DEP_4)
	v_dual_fmac_f32 v112, v81, v52 :: v_dual_add_f32 v51, 0, v51
	v_fma_f32 v52, v80, v52, -v53
	v_dual_add_f32 v48, 0, v48 :: v_dual_mul_f32 v53, v85, v57
	v_fmac_f32_e32 v113, v83, v54
	v_fma_f32 v50, v82, v54, -v50
	v_dual_mul_f32 v114, v84, v57 :: v_dual_mul_f32 v115, v86, v59
	s_delay_alu instid0(VALU_DEP_4)
	v_add_f32_e32 v48, v48, v112
	v_add_f32_e32 v51, v51, v52
	v_mul_f32_e32 v52, v87, v59
	v_fma_f32 v53, v84, v56, -v53
	v_dual_mul_f32 v118, v92, v65 :: v_dual_mul_f32 v119, v94, v67
	v_add_f32_e32 v48, v48, v113
	v_dual_add_f32 v50, v51, v50 :: v_dual_mul_f32 v51, v89, v61
	v_fma_f32 v52, v86, v58, -v52
	v_dual_mul_f32 v120, v96, v69 :: v_dual_mul_f32 v121, v98, v71
	s_delay_alu instid0(VALU_DEP_3) | instskip(NEXT) | instid1(VALU_DEP_4)
	v_dual_add_f32 v50, v50, v53 :: v_dual_mul_f32 v53, v91, v63
	v_fma_f32 v51, v88, v60, -v51
	v_dual_mul_f32 v123, v102, v75 :: v_dual_mul_f32 v124, v104, v77
	s_delay_alu instid0(VALU_DEP_3) | instskip(SKIP_3) | instid1(VALU_DEP_4)
	v_dual_add_f32 v50, v50, v52 :: v_dual_fmac_f32 v119, v95, v66
	v_dual_fmac_f32 v114, v85, v56 :: v_dual_fmac_f32 v115, v87, v58
	v_dual_mul_f32 v52, v93, v65 :: v_dual_fmac_f32 v121, v99, v70
	v_fma_f32 v53, v90, v62, -v53
	v_dual_add_f32 v50, v50, v51 :: v_dual_fmac_f32 v123, v103, v74
	s_delay_alu instid0(VALU_DEP_4) | instskip(NEXT) | instid1(VALU_DEP_4)
	v_dual_add_f32 v48, v48, v114 :: v_dual_mul_f32 v51, v95, v67
	v_fma_f32 v52, v92, v64, -v52
	s_delay_alu instid0(VALU_DEP_3) | instskip(SKIP_3) | instid1(VALU_DEP_4)
	v_dual_add_f32 v50, v50, v53 :: v_dual_fmac_f32 v125, v111, v106
	v_dual_mul_f32 v116, v88, v61 :: v_dual_mul_f32 v117, v90, v63
	v_mul_f32_e32 v53, v97, v69
	v_fma_f32 v51, v94, v66, -v51
	v_add_f32_e32 v50, v50, v52
	s_delay_alu instid0(VALU_DEP_4) | instskip(SKIP_4) | instid1(VALU_DEP_4)
	v_dual_fmac_f32 v116, v89, v60 :: v_dual_fmac_f32 v117, v91, v62
	v_add_f32_e32 v48, v48, v115
	v_mul_f32_e32 v52, v99, v71
	v_fma_f32 v53, v96, v68, -v53
	v_dual_add_f32 v50, v50, v51 :: v_dual_mul_f32 v51, v101, v73
	v_add_f32_e32 v48, v48, v116
	s_delay_alu instid0(VALU_DEP_4) | instskip(SKIP_1) | instid1(VALU_DEP_4)
	v_fma_f32 v52, v98, v70, -v52
	v_fmac_f32_e32 v118, v93, v64
	v_dual_add_f32 v50, v50, v53 :: v_dual_mul_f32 v53, v103, v75
	s_delay_alu instid0(VALU_DEP_4) | instskip(SKIP_2) | instid1(VALU_DEP_4)
	v_add_f32_e32 v48, v48, v117
	v_fma_f32 v51, v100, v72, -v51
	v_fmac_f32_e32 v120, v97, v68
	v_add_f32_e32 v50, v50, v52
	v_fmac_f32_e32 v122, v101, v72
	v_mul_f32_e32 v52, v105, v77
	v_fma_f32 v53, v102, v74, -v53
	v_fmac_f32_e32 v124, v105, v76
	v_add_f32_e32 v50, v50, v51
	v_dual_mul_f32 v51, v111, v107 :: v_dual_add_f32 v48, v48, v118
	v_fma_f32 v52, v104, v76, -v52
	s_delay_alu instid0(VALU_DEP_3) | instskip(NEXT) | instid1(VALU_DEP_3)
	v_add_f32_e32 v50, v50, v53
	v_fma_f32 v51, v110, v106, -v51
	s_delay_alu instid0(VALU_DEP_4) | instskip(NEXT) | instid1(VALU_DEP_3)
	v_add_f32_e32 v48, v48, v119
	v_add_f32_e32 v50, v50, v52
	s_delay_alu instid0(VALU_DEP_2) | instskip(NEXT) | instid1(VALU_DEP_2)
	v_add_f32_e32 v48, v48, v120
	v_add_f32_e32 v50, v50, v51
	s_delay_alu instid0(VALU_DEP_2) | instskip(SKIP_1) | instid1(VALU_DEP_2)
	v_add_f32_e32 v48, v48, v121
	s_wait_loadcnt 0x0
	v_sub_f32_e32 v50, v108, v50
	s_delay_alu instid0(VALU_DEP_2) | instskip(NEXT) | instid1(VALU_DEP_1)
	v_add_f32_e32 v48, v48, v122
	v_add_f32_e32 v48, v48, v123
	s_delay_alu instid0(VALU_DEP_1) | instskip(NEXT) | instid1(VALU_DEP_1)
	v_add_f32_e32 v48, v48, v124
	v_add_f32_e32 v48, v48, v125
	s_delay_alu instid0(VALU_DEP_1)
	v_sub_f32_e32 v51, v109, v48
	scratch_store_b64 off, v[50:51], off offset:56
	v_cmpx_lt_u32_e32 6, v0
	s_cbranch_execz .LBB86_139
; %bb.138:
	scratch_load_b64 v[50:51], off, off offset:48
	v_mov_b32_e32 v48, v47
	scratch_store_b64 off, v[47:48], off offset:48
	s_wait_loadcnt 0x0
	ds_store_b64 v49, v[50:51]
.LBB86_139:
	s_wait_alu 0xfffe
	s_or_b32 exec_lo, exec_lo, s0
	s_wait_storecnt_dscnt 0x0
	s_barrier_signal -1
	s_barrier_wait -1
	global_inv scope:SCOPE_SE
	s_clause 0x8
	scratch_load_b128 v[50:53], off, off offset:56
	scratch_load_b128 v[54:57], off, off offset:72
	;; [unrolled: 1-line block ×8, first 2 shown]
	scratch_load_b64 v[114:115], off, off offset:48
	ds_load_2addr_b64 v[82:85], v47 offset0:31 offset1:32
	ds_load_2addr_b64 v[86:89], v47 offset0:33 offset1:34
	;; [unrolled: 1-line block ×8, first 2 shown]
	s_mov_b32 s0, exec_lo
	s_wait_loadcnt_dscnt 0x807
	v_dual_mul_f32 v47, v82, v51 :: v_dual_mul_f32 v48, v84, v53
	v_mul_f32_e32 v51, v83, v51
	s_wait_loadcnt_dscnt 0x706
	v_dual_mul_f32 v53, v85, v53 :: v_dual_mul_f32 v116, v86, v55
	s_delay_alu instid0(VALU_DEP_3) | instskip(NEXT) | instid1(VALU_DEP_3)
	v_dual_mul_f32 v117, v88, v57 :: v_dual_fmac_f32 v48, v85, v52
	v_fma_f32 v51, v82, v50, -v51
	v_fmac_f32_e32 v47, v83, v50
	v_mul_f32_e32 v50, v87, v55
	v_fma_f32 v52, v84, v52, -v53
	v_mul_f32_e32 v53, v89, v57
	v_dual_add_f32 v51, 0, v51 :: v_dual_fmac_f32 v116, v87, v54
	s_delay_alu instid0(VALU_DEP_4) | instskip(SKIP_2) | instid1(VALU_DEP_3)
	v_fma_f32 v50, v86, v54, -v50
	s_wait_loadcnt_dscnt 0x605
	v_dual_mul_f32 v118, v90, v59 :: v_dual_mul_f32 v119, v92, v61
	v_add_f32_e32 v51, v51, v52
	v_fmac_f32_e32 v117, v89, v56
	v_fma_f32 v52, v88, v56, -v53
	s_wait_loadcnt_dscnt 0x504
	v_dual_mul_f32 v120, v94, v63 :: v_dual_mul_f32 v121, v96, v65
	v_dual_add_f32 v50, v51, v50 :: v_dual_mul_f32 v51, v93, v61
	v_fmac_f32_e32 v118, v91, v58
	s_wait_loadcnt_dscnt 0x403
	v_dual_mul_f32 v122, v98, v67 :: v_dual_mul_f32 v123, v100, v69
	s_delay_alu instid0(VALU_DEP_3) | instskip(SKIP_3) | instid1(VALU_DEP_4)
	v_dual_add_f32 v50, v50, v52 :: v_dual_add_f32 v47, 0, v47
	v_mul_f32_e32 v52, v95, v63
	v_fma_f32 v51, v92, v60, -v51
	v_dual_fmac_f32 v119, v93, v60 :: v_dual_fmac_f32 v120, v95, v62
	v_add_f32_e32 v47, v47, v48
	v_mul_f32_e32 v48, v91, v59
	v_fma_f32 v52, v94, v62, -v52
	v_dual_fmac_f32 v121, v97, v64 :: v_dual_fmac_f32 v122, v99, v66
	s_wait_loadcnt_dscnt 0x302
	v_dual_mul_f32 v124, v102, v71 :: v_dual_mul_f32 v125, v104, v73
	v_fma_f32 v48, v90, v58, -v48
	s_wait_loadcnt_dscnt 0x201
	v_dual_mul_f32 v126, v106, v75 :: v_dual_mul_f32 v127, v108, v77
	s_wait_loadcnt_dscnt 0x100
	v_dual_mul_f32 v128, v110, v79 :: v_dual_mul_f32 v129, v112, v81
	v_add_f32_e32 v48, v50, v48
	v_mul_f32_e32 v50, v97, v65
	v_dual_fmac_f32 v126, v107, v74 :: v_dual_fmac_f32 v127, v109, v76
	s_delay_alu instid0(VALU_DEP_4) | instskip(NEXT) | instid1(VALU_DEP_4)
	v_dual_fmac_f32 v128, v111, v78 :: v_dual_fmac_f32 v129, v113, v80
	v_dual_add_f32 v48, v48, v51 :: v_dual_add_f32 v47, v47, v116
	v_mul_f32_e32 v51, v99, v67
	v_fma_f32 v50, v96, v64, -v50
	v_fmac_f32_e32 v123, v101, v68
	s_delay_alu instid0(VALU_DEP_4)
	v_add_f32_e32 v48, v48, v52
	v_mul_f32_e32 v52, v101, v69
	v_add_f32_e32 v47, v47, v117
	v_fma_f32 v51, v98, v66, -v51
	v_fmac_f32_e32 v124, v103, v70
	v_add_f32_e32 v48, v48, v50
	v_mul_f32_e32 v50, v103, v71
	v_add_f32_e32 v47, v47, v118
	v_fma_f32 v52, v100, v68, -v52
	s_delay_alu instid0(VALU_DEP_4) | instskip(SKIP_1) | instid1(VALU_DEP_4)
	v_dual_fmac_f32 v125, v105, v72 :: v_dual_add_f32 v48, v48, v51
	v_mul_f32_e32 v51, v105, v73
	v_add_f32_e32 v47, v47, v119
	v_fma_f32 v50, v102, v70, -v50
	s_delay_alu instid0(VALU_DEP_4) | instskip(NEXT) | instid1(VALU_DEP_4)
	v_add_f32_e32 v48, v48, v52
	v_fma_f32 v51, v104, v72, -v51
	s_delay_alu instid0(VALU_DEP_4) | instskip(SKIP_1) | instid1(VALU_DEP_4)
	v_add_f32_e32 v47, v47, v120
	v_mul_f32_e32 v52, v107, v75
	v_add_f32_e32 v48, v48, v50
	v_mul_f32_e32 v50, v109, v77
	s_delay_alu instid0(VALU_DEP_4) | instskip(NEXT) | instid1(VALU_DEP_4)
	v_add_f32_e32 v47, v47, v121
	v_fma_f32 v52, v106, v74, -v52
	s_delay_alu instid0(VALU_DEP_4) | instskip(SKIP_1) | instid1(VALU_DEP_4)
	v_add_f32_e32 v48, v48, v51
	v_mul_f32_e32 v51, v111, v79
	v_add_f32_e32 v47, v47, v122
	v_fma_f32 v50, v108, v76, -v50
	s_delay_alu instid0(VALU_DEP_4) | instskip(NEXT) | instid1(VALU_DEP_3)
	v_add_f32_e32 v48, v48, v52
	v_dual_mul_f32 v52, v113, v81 :: v_dual_add_f32 v47, v47, v123
	v_fma_f32 v51, v110, v78, -v51
	s_delay_alu instid0(VALU_DEP_3) | instskip(NEXT) | instid1(VALU_DEP_3)
	v_add_f32_e32 v48, v48, v50
	v_fma_f32 v50, v112, v80, -v52
	s_delay_alu instid0(VALU_DEP_2) | instskip(NEXT) | instid1(VALU_DEP_1)
	v_dual_add_f32 v47, v47, v124 :: v_dual_add_f32 v48, v48, v51
	v_dual_add_f32 v47, v47, v125 :: v_dual_add_f32 v48, v48, v50
	s_delay_alu instid0(VALU_DEP_1) | instskip(NEXT) | instid1(VALU_DEP_1)
	v_add_f32_e32 v47, v47, v126
	v_add_f32_e32 v47, v47, v127
	s_delay_alu instid0(VALU_DEP_1) | instskip(SKIP_1) | instid1(VALU_DEP_1)
	v_add_f32_e32 v47, v47, v128
	s_wait_loadcnt 0x0
	v_dual_add_f32 v50, v47, v129 :: v_dual_sub_f32 v47, v114, v48
	s_delay_alu instid0(VALU_DEP_1)
	v_sub_f32_e32 v48, v115, v50
	scratch_store_b64 off, v[47:48], off offset:48
	v_cmpx_lt_u32_e32 5, v0
	s_cbranch_execz .LBB86_141
; %bb.140:
	scratch_load_b64 v[47:48], off, off offset:40
	v_mov_b32_e32 v50, 0
	s_delay_alu instid0(VALU_DEP_1)
	v_mov_b32_e32 v51, v50
	scratch_store_b64 off, v[50:51], off offset:40
	s_wait_loadcnt 0x0
	ds_store_b64 v49, v[47:48]
.LBB86_141:
	s_wait_alu 0xfffe
	s_or_b32 exec_lo, exec_lo, s0
	s_wait_storecnt_dscnt 0x0
	s_barrier_signal -1
	s_barrier_wait -1
	global_inv scope:SCOPE_SE
	s_clause 0x9
	scratch_load_b128 v[50:53], off, off offset:48
	scratch_load_b128 v[54:57], off, off offset:64
	;; [unrolled: 1-line block ×8, first 2 shown]
	scratch_load_b64 v[114:115], off, off offset:176
	scratch_load_b64 v[116:117], off, off offset:40
	v_mov_b32_e32 v47, 0
	ds_load_b128 v[82:85], v47 offset:240
	ds_load_b128 v[86:89], v47 offset:256
	;; [unrolled: 1-line block ×8, first 2 shown]
	ds_load_b64 v[118:119], v47 offset:368
	s_mov_b32 s0, exec_lo
	s_wait_loadcnt_dscnt 0x908
	v_mul_f32_e32 v48, v82, v51
	s_wait_loadcnt_dscnt 0x807
	v_dual_mul_f32 v120, v84, v53 :: v_dual_mul_f32 v121, v86, v55
	v_mul_f32_e32 v51, v83, v51
	s_delay_alu instid0(VALU_DEP_3)
	v_dual_mul_f32 v53, v85, v53 :: v_dual_fmac_f32 v48, v83, v50
	s_wait_loadcnt_dscnt 0x302
	v_mul_f32_e32 v132, v108, v77
	v_dual_mul_f32 v122, v88, v57 :: v_dual_mul_f32 v123, v90, v59
	s_wait_loadcnt_dscnt 0x100
	v_mul_f32_e32 v135, v118, v115
	v_fma_f32 v51, v82, v50, -v51
	v_mul_f32_e32 v50, v87, v55
	v_fmac_f32_e32 v120, v85, v52
	v_fma_f32 v52, v84, v52, -v53
	v_dual_add_f32 v48, 0, v48 :: v_dual_mul_f32 v53, v89, v57
	v_add_f32_e32 v51, 0, v51
	v_fmac_f32_e32 v121, v87, v54
	v_fma_f32 v50, v86, v54, -v50
	s_delay_alu instid0(VALU_DEP_4)
	v_add_f32_e32 v48, v48, v120
	v_fma_f32 v53, v88, v56, -v53
	v_add_f32_e32 v51, v51, v52
	v_mul_f32_e32 v52, v91, v59
	v_dual_mul_f32 v126, v96, v65 :: v_dual_mul_f32 v127, v98, v67
	v_add_f32_e32 v48, v48, v121
	s_delay_alu instid0(VALU_DEP_4) | instskip(NEXT) | instid1(VALU_DEP_4)
	v_dual_add_f32 v50, v51, v50 :: v_dual_mul_f32 v51, v93, v61
	v_fma_f32 v52, v90, v58, -v52
	v_dual_mul_f32 v128, v100, v69 :: v_dual_mul_f32 v129, v102, v71
	s_delay_alu instid0(VALU_DEP_3) | instskip(NEXT) | instid1(VALU_DEP_4)
	v_dual_add_f32 v50, v50, v53 :: v_dual_mul_f32 v53, v95, v63
	v_fma_f32 v51, v92, v60, -v51
	v_dual_mul_f32 v130, v104, v73 :: v_dual_mul_f32 v131, v106, v75
	s_delay_alu instid0(VALU_DEP_3) | instskip(SKIP_3) | instid1(VALU_DEP_4)
	v_dual_add_f32 v50, v50, v52 :: v_dual_fmac_f32 v127, v99, v66
	v_dual_fmac_f32 v122, v89, v56 :: v_dual_fmac_f32 v123, v91, v58
	v_dual_mul_f32 v52, v97, v65 :: v_dual_fmac_f32 v129, v103, v70
	v_fma_f32 v53, v94, v62, -v53
	v_dual_add_f32 v50, v50, v51 :: v_dual_fmac_f32 v131, v107, v74
	v_dual_mul_f32 v133, v110, v79 :: v_dual_mul_f32 v134, v112, v81
	v_dual_add_f32 v48, v48, v122 :: v_dual_mul_f32 v51, v99, v67
	v_fma_f32 v52, v96, v64, -v52
	s_delay_alu instid0(VALU_DEP_3) | instskip(SKIP_3) | instid1(VALU_DEP_4)
	v_dual_add_f32 v50, v50, v53 :: v_dual_fmac_f32 v133, v111, v78
	v_dual_mul_f32 v124, v92, v61 :: v_dual_mul_f32 v125, v94, v63
	v_mul_f32_e32 v53, v101, v69
	v_fma_f32 v51, v98, v66, -v51
	v_add_f32_e32 v50, v50, v52
	s_delay_alu instid0(VALU_DEP_4) | instskip(SKIP_4) | instid1(VALU_DEP_4)
	v_dual_fmac_f32 v124, v93, v60 :: v_dual_fmac_f32 v125, v95, v62
	v_add_f32_e32 v48, v48, v123
	v_mul_f32_e32 v52, v103, v71
	v_fma_f32 v53, v100, v68, -v53
	v_dual_add_f32 v50, v50, v51 :: v_dual_mul_f32 v51, v105, v73
	v_add_f32_e32 v48, v48, v124
	s_delay_alu instid0(VALU_DEP_4) | instskip(SKIP_1) | instid1(VALU_DEP_4)
	v_fma_f32 v52, v102, v70, -v52
	v_fmac_f32_e32 v126, v97, v64
	v_dual_add_f32 v50, v50, v53 :: v_dual_mul_f32 v53, v107, v75
	s_delay_alu instid0(VALU_DEP_4) | instskip(SKIP_1) | instid1(VALU_DEP_3)
	v_dual_add_f32 v48, v48, v125 :: v_dual_fmac_f32 v135, v119, v114
	v_fma_f32 v51, v104, v72, -v51
	v_add_f32_e32 v50, v50, v52
	v_fmac_f32_e32 v128, v101, v68
	v_fmac_f32_e32 v130, v105, v72
	v_mul_f32_e32 v52, v109, v77
	v_fma_f32 v53, v106, v74, -v53
	v_add_f32_e32 v50, v50, v51
	v_dual_mul_f32 v51, v111, v79 :: v_dual_add_f32 v48, v48, v126
	v_fmac_f32_e32 v132, v109, v76
	v_fma_f32 v52, v108, v76, -v52
	s_delay_alu instid0(VALU_DEP_4) | instskip(NEXT) | instid1(VALU_DEP_4)
	v_add_f32_e32 v50, v50, v53
	v_dual_mul_f32 v53, v113, v81 :: v_dual_add_f32 v48, v48, v127
	v_fma_f32 v51, v110, v78, -v51
	v_fmac_f32_e32 v134, v113, v80
	s_delay_alu instid0(VALU_DEP_4) | instskip(SKIP_3) | instid1(VALU_DEP_4)
	v_add_f32_e32 v50, v50, v52
	v_mul_f32_e32 v52, v119, v115
	v_add_f32_e32 v48, v48, v128
	v_fma_f32 v53, v112, v80, -v53
	v_add_f32_e32 v50, v50, v51
	s_delay_alu instid0(VALU_DEP_4) | instskip(NEXT) | instid1(VALU_DEP_4)
	v_fma_f32 v51, v118, v114, -v52
	v_add_f32_e32 v48, v48, v129
	s_delay_alu instid0(VALU_DEP_3) | instskip(NEXT) | instid1(VALU_DEP_2)
	v_add_f32_e32 v50, v50, v53
	v_add_f32_e32 v48, v48, v130
	s_delay_alu instid0(VALU_DEP_2) | instskip(NEXT) | instid1(VALU_DEP_2)
	v_add_f32_e32 v50, v50, v51
	v_add_f32_e32 v48, v48, v131
	s_wait_loadcnt 0x0
	s_delay_alu instid0(VALU_DEP_2) | instskip(NEXT) | instid1(VALU_DEP_2)
	v_sub_f32_e32 v50, v116, v50
	v_add_f32_e32 v48, v48, v132
	s_delay_alu instid0(VALU_DEP_1) | instskip(NEXT) | instid1(VALU_DEP_1)
	v_add_f32_e32 v48, v48, v133
	v_add_f32_e32 v48, v48, v134
	s_delay_alu instid0(VALU_DEP_1) | instskip(NEXT) | instid1(VALU_DEP_1)
	v_add_f32_e32 v48, v48, v135
	v_sub_f32_e32 v51, v117, v48
	scratch_store_b64 off, v[50:51], off offset:40
	v_cmpx_lt_u32_e32 4, v0
	s_cbranch_execz .LBB86_143
; %bb.142:
	scratch_load_b64 v[50:51], off, off offset:32
	v_mov_b32_e32 v48, v47
	scratch_store_b64 off, v[47:48], off offset:32
	s_wait_loadcnt 0x0
	ds_store_b64 v49, v[50:51]
.LBB86_143:
	s_wait_alu 0xfffe
	s_or_b32 exec_lo, exec_lo, s0
	s_wait_storecnt_dscnt 0x0
	s_barrier_signal -1
	s_barrier_wait -1
	global_inv scope:SCOPE_SE
	s_clause 0x9
	scratch_load_b128 v[50:53], off, off offset:40
	scratch_load_b128 v[54:57], off, off offset:56
	;; [unrolled: 1-line block ×9, first 2 shown]
	scratch_load_b64 v[122:123], off, off offset:32
	ds_load_2addr_b64 v[86:89], v47 offset0:29 offset1:30
	ds_load_2addr_b64 v[90:93], v47 offset0:31 offset1:32
	;; [unrolled: 1-line block ×9, first 2 shown]
	s_mov_b32 s0, exec_lo
	s_wait_loadcnt_dscnt 0x908
	v_dual_mul_f32 v47, v86, v51 :: v_dual_mul_f32 v48, v88, v53
	v_mul_f32_e32 v51, v87, v51
	s_wait_loadcnt_dscnt 0x807
	v_dual_mul_f32 v53, v89, v53 :: v_dual_mul_f32 v124, v90, v55
	s_delay_alu instid0(VALU_DEP_3) | instskip(NEXT) | instid1(VALU_DEP_3)
	v_dual_mul_f32 v125, v92, v57 :: v_dual_fmac_f32 v48, v89, v52
	v_fma_f32 v51, v86, v50, -v51
	v_fmac_f32_e32 v47, v87, v50
	v_mul_f32_e32 v50, v91, v55
	v_fma_f32 v52, v88, v52, -v53
	v_mul_f32_e32 v53, v93, v57
	v_dual_add_f32 v51, 0, v51 :: v_dual_fmac_f32 v124, v91, v54
	s_delay_alu instid0(VALU_DEP_4) | instskip(SKIP_2) | instid1(VALU_DEP_3)
	v_fma_f32 v50, v90, v54, -v50
	s_wait_loadcnt_dscnt 0x706
	v_dual_mul_f32 v126, v94, v59 :: v_dual_mul_f32 v127, v96, v61
	v_add_f32_e32 v51, v51, v52
	v_fmac_f32_e32 v125, v93, v56
	v_fma_f32 v52, v92, v56, -v53
	s_wait_loadcnt_dscnt 0x605
	v_dual_mul_f32 v128, v98, v63 :: v_dual_mul_f32 v129, v100, v65
	v_dual_add_f32 v50, v51, v50 :: v_dual_mul_f32 v51, v97, v61
	v_fmac_f32_e32 v126, v95, v58
	s_wait_loadcnt_dscnt 0x504
	v_dual_mul_f32 v130, v102, v67 :: v_dual_mul_f32 v131, v104, v69
	s_delay_alu instid0(VALU_DEP_3) | instskip(SKIP_3) | instid1(VALU_DEP_4)
	v_dual_add_f32 v50, v50, v52 :: v_dual_add_f32 v47, 0, v47
	v_mul_f32_e32 v52, v99, v63
	v_fma_f32 v51, v96, v60, -v51
	v_dual_fmac_f32 v127, v97, v60 :: v_dual_fmac_f32 v128, v99, v62
	v_add_f32_e32 v47, v47, v48
	v_mul_f32_e32 v48, v95, v59
	v_fma_f32 v52, v98, v62, -v52
	v_dual_fmac_f32 v129, v101, v64 :: v_dual_fmac_f32 v130, v103, v66
	s_wait_loadcnt_dscnt 0x403
	v_dual_mul_f32 v132, v106, v71 :: v_dual_mul_f32 v133, v108, v73
	v_fma_f32 v48, v94, v58, -v48
	s_wait_loadcnt_dscnt 0x302
	v_dual_mul_f32 v134, v110, v75 :: v_dual_mul_f32 v135, v112, v77
	s_wait_loadcnt_dscnt 0x201
	v_dual_mul_f32 v136, v114, v79 :: v_dual_mul_f32 v137, v116, v81
	v_add_f32_e32 v48, v50, v48
	v_mul_f32_e32 v50, v101, v65
	v_dual_fmac_f32 v134, v111, v74 :: v_dual_fmac_f32 v135, v113, v76
	s_delay_alu instid0(VALU_DEP_4) | instskip(NEXT) | instid1(VALU_DEP_4)
	v_dual_fmac_f32 v136, v115, v78 :: v_dual_fmac_f32 v137, v117, v80
	v_dual_add_f32 v48, v48, v51 :: v_dual_add_f32 v47, v47, v124
	v_mul_f32_e32 v51, v103, v67
	v_fma_f32 v50, v100, v64, -v50
	v_fmac_f32_e32 v131, v105, v68
	s_delay_alu instid0(VALU_DEP_4)
	v_add_f32_e32 v48, v48, v52
	v_mul_f32_e32 v52, v105, v69
	v_add_f32_e32 v47, v47, v125
	v_fma_f32 v51, v102, v66, -v51
	v_fmac_f32_e32 v132, v107, v70
	v_add_f32_e32 v48, v48, v50
	v_mul_f32_e32 v50, v107, v71
	v_add_f32_e32 v47, v47, v126
	v_fma_f32 v52, v104, v68, -v52
	s_delay_alu instid0(VALU_DEP_4) | instskip(SKIP_1) | instid1(VALU_DEP_4)
	v_dual_fmac_f32 v133, v109, v72 :: v_dual_add_f32 v48, v48, v51
	v_mul_f32_e32 v51, v109, v73
	v_add_f32_e32 v47, v47, v127
	v_fma_f32 v50, v106, v70, -v50
	s_wait_loadcnt_dscnt 0x100
	v_dual_mul_f32 v138, v118, v83 :: v_dual_mul_f32 v139, v120, v85
	v_add_f32_e32 v48, v48, v52
	v_add_f32_e32 v47, v47, v128
	v_fma_f32 v51, v108, v72, -v51
	v_mul_f32_e32 v52, v111, v75
	v_dual_fmac_f32 v138, v119, v82 :: v_dual_fmac_f32 v139, v121, v84
	s_delay_alu instid0(VALU_DEP_4) | instskip(SKIP_1) | instid1(VALU_DEP_4)
	v_dual_add_f32 v48, v48, v50 :: v_dual_add_f32 v47, v47, v129
	v_mul_f32_e32 v50, v113, v77
	v_fma_f32 v52, v110, v74, -v52
	s_delay_alu instid0(VALU_DEP_3) | instskip(SKIP_1) | instid1(VALU_DEP_4)
	v_dual_add_f32 v48, v48, v51 :: v_dual_add_f32 v47, v47, v130
	v_mul_f32_e32 v51, v115, v79
	v_fma_f32 v50, v112, v76, -v50
	s_delay_alu instid0(VALU_DEP_3) | instskip(SKIP_1) | instid1(VALU_DEP_4)
	v_dual_add_f32 v48, v48, v52 :: v_dual_add_f32 v47, v47, v131
	v_mul_f32_e32 v52, v117, v81
	v_fma_f32 v51, v114, v78, -v51
	s_delay_alu instid0(VALU_DEP_3) | instskip(SKIP_1) | instid1(VALU_DEP_4)
	v_dual_add_f32 v48, v48, v50 :: v_dual_add_f32 v47, v47, v132
	v_mul_f32_e32 v50, v119, v83
	v_fma_f32 v52, v116, v80, -v52
	s_delay_alu instid0(VALU_DEP_3) | instskip(SKIP_1) | instid1(VALU_DEP_4)
	v_dual_add_f32 v48, v48, v51 :: v_dual_add_f32 v47, v47, v133
	v_mul_f32_e32 v51, v121, v85
	v_fma_f32 v50, v118, v82, -v50
	s_delay_alu instid0(VALU_DEP_3) | instskip(NEXT) | instid1(VALU_DEP_3)
	v_dual_add_f32 v48, v48, v52 :: v_dual_add_f32 v47, v47, v134
	v_fma_f32 v51, v120, v84, -v51
	s_delay_alu instid0(VALU_DEP_2) | instskip(NEXT) | instid1(VALU_DEP_1)
	v_dual_add_f32 v48, v48, v50 :: v_dual_add_f32 v47, v47, v135
	v_dual_add_f32 v48, v48, v51 :: v_dual_add_f32 v47, v47, v136
	s_delay_alu instid0(VALU_DEP_1) | instskip(NEXT) | instid1(VALU_DEP_1)
	v_add_f32_e32 v47, v47, v137
	v_add_f32_e32 v47, v47, v138
	s_wait_loadcnt 0x0
	s_delay_alu instid0(VALU_DEP_1) | instskip(NEXT) | instid1(VALU_DEP_1)
	v_dual_add_f32 v50, v47, v139 :: v_dual_sub_f32 v47, v122, v48
	v_sub_f32_e32 v48, v123, v50
	scratch_store_b64 off, v[47:48], off offset:32
	v_cmpx_lt_u32_e32 3, v0
	s_cbranch_execz .LBB86_145
; %bb.144:
	scratch_load_b64 v[47:48], off, off offset:24
	v_mov_b32_e32 v50, 0
	s_delay_alu instid0(VALU_DEP_1)
	v_mov_b32_e32 v51, v50
	scratch_store_b64 off, v[50:51], off offset:24
	s_wait_loadcnt 0x0
	ds_store_b64 v49, v[47:48]
.LBB86_145:
	s_wait_alu 0xfffe
	s_or_b32 exec_lo, exec_lo, s0
	s_wait_storecnt_dscnt 0x0
	s_barrier_signal -1
	s_barrier_wait -1
	global_inv scope:SCOPE_SE
	s_clause 0xa
	scratch_load_b128 v[50:53], off, off offset:32
	scratch_load_b128 v[54:57], off, off offset:48
	;; [unrolled: 1-line block ×9, first 2 shown]
	scratch_load_b64 v[122:123], off, off offset:176
	scratch_load_b64 v[124:125], off, off offset:24
	v_mov_b32_e32 v47, 0
	ds_load_b128 v[86:89], v47 offset:224
	ds_load_b128 v[90:93], v47 offset:240
	ds_load_b128 v[94:97], v47 offset:256
	ds_load_b128 v[98:101], v47 offset:272
	ds_load_b128 v[102:105], v47 offset:288
	ds_load_b128 v[106:109], v47 offset:304
	ds_load_b128 v[110:113], v47 offset:320
	ds_load_b128 v[114:117], v47 offset:336
	ds_load_b128 v[118:121], v47 offset:352
	ds_load_b64 v[126:127], v47 offset:368
	s_mov_b32 s0, exec_lo
	s_wait_loadcnt_dscnt 0xa09
	v_mul_f32_e32 v48, v86, v51
	s_wait_loadcnt_dscnt 0x908
	v_dual_mul_f32 v128, v88, v53 :: v_dual_mul_f32 v129, v90, v55
	v_mul_f32_e32 v51, v87, v51
	s_delay_alu instid0(VALU_DEP_3)
	v_dual_mul_f32 v53, v89, v53 :: v_dual_fmac_f32 v48, v87, v50
	s_wait_loadcnt_dscnt 0x807
	v_dual_mul_f32 v130, v92, v57 :: v_dual_mul_f32 v131, v94, v59
	s_wait_loadcnt_dscnt 0x100
	v_dual_mul_f32 v142, v116, v81 :: v_dual_mul_f32 v145, v126, v123
	v_fma_f32 v51, v86, v50, -v51
	v_mul_f32_e32 v50, v91, v55
	v_fmac_f32_e32 v128, v89, v52
	v_fma_f32 v52, v88, v52, -v53
	v_dual_add_f32 v48, 0, v48 :: v_dual_mul_f32 v53, v93, v57
	v_add_f32_e32 v51, 0, v51
	v_fmac_f32_e32 v129, v91, v54
	v_fma_f32 v50, v90, v54, -v50
	s_delay_alu instid0(VALU_DEP_4)
	v_add_f32_e32 v48, v48, v128
	v_fma_f32 v53, v92, v56, -v53
	v_add_f32_e32 v51, v51, v52
	v_mul_f32_e32 v52, v95, v59
	v_dual_mul_f32 v134, v100, v65 :: v_dual_mul_f32 v135, v102, v67
	v_add_f32_e32 v48, v48, v129
	s_delay_alu instid0(VALU_DEP_4) | instskip(NEXT) | instid1(VALU_DEP_4)
	v_dual_add_f32 v50, v51, v50 :: v_dual_mul_f32 v51, v97, v61
	v_fma_f32 v52, v94, v58, -v52
	v_dual_mul_f32 v136, v104, v69 :: v_dual_mul_f32 v137, v106, v71
	s_delay_alu instid0(VALU_DEP_3) | instskip(NEXT) | instid1(VALU_DEP_4)
	v_dual_add_f32 v50, v50, v53 :: v_dual_mul_f32 v53, v99, v63
	v_fma_f32 v51, v96, v60, -v51
	v_dual_mul_f32 v138, v108, v73 :: v_dual_mul_f32 v139, v110, v75
	s_delay_alu instid0(VALU_DEP_3) | instskip(SKIP_3) | instid1(VALU_DEP_4)
	v_dual_add_f32 v50, v50, v52 :: v_dual_fmac_f32 v135, v103, v66
	v_dual_fmac_f32 v130, v93, v56 :: v_dual_fmac_f32 v131, v95, v58
	v_dual_mul_f32 v52, v101, v65 :: v_dual_fmac_f32 v137, v107, v70
	v_fma_f32 v53, v98, v62, -v53
	v_dual_add_f32 v50, v50, v51 :: v_dual_fmac_f32 v139, v111, v74
	v_dual_mul_f32 v140, v112, v77 :: v_dual_mul_f32 v141, v114, v79
	v_dual_add_f32 v48, v48, v130 :: v_dual_mul_f32 v51, v103, v67
	v_fma_f32 v52, v100, v64, -v52
	s_delay_alu instid0(VALU_DEP_3) | instskip(SKIP_1) | instid1(VALU_DEP_4)
	v_dual_add_f32 v50, v50, v53 :: v_dual_fmac_f32 v141, v115, v78
	v_mul_f32_e32 v53, v105, v69
	v_fma_f32 v51, v102, v66, -v51
	v_dual_mul_f32 v132, v96, v61 :: v_dual_mul_f32 v133, v98, v63
	s_delay_alu instid0(VALU_DEP_4) | instskip(SKIP_2) | instid1(VALU_DEP_4)
	v_add_f32_e32 v50, v50, v52
	v_mul_f32_e32 v52, v107, v71
	v_fma_f32 v53, v104, v68, -v53
	v_dual_fmac_f32 v132, v97, v60 :: v_dual_fmac_f32 v133, v99, v62
	s_delay_alu instid0(VALU_DEP_4) | instskip(SKIP_2) | instid1(VALU_DEP_3)
	v_dual_add_f32 v50, v50, v51 :: v_dual_fmac_f32 v145, v127, v122
	v_dual_add_f32 v48, v48, v131 :: v_dual_mul_f32 v51, v109, v73
	v_fma_f32 v52, v106, v70, -v52
	v_dual_add_f32 v50, v50, v53 :: v_dual_mul_f32 v53, v111, v75
	s_delay_alu instid0(VALU_DEP_3) | instskip(NEXT) | instid1(VALU_DEP_4)
	v_add_f32_e32 v48, v48, v132
	v_fma_f32 v51, v108, v72, -v51
	v_dual_mul_f32 v143, v118, v83 :: v_dual_mul_f32 v144, v120, v85
	s_delay_alu instid0(VALU_DEP_4)
	v_add_f32_e32 v50, v50, v52
	v_mul_f32_e32 v52, v113, v77
	v_fma_f32 v53, v110, v74, -v53
	v_fmac_f32_e32 v134, v101, v64
	v_dual_add_f32 v48, v48, v133 :: v_dual_fmac_f32 v143, v119, v82
	v_add_f32_e32 v50, v50, v51
	v_mul_f32_e32 v51, v115, v79
	v_fma_f32 v52, v112, v76, -v52
	s_delay_alu instid0(VALU_DEP_4)
	v_add_f32_e32 v48, v48, v134
	v_fmac_f32_e32 v136, v105, v68
	v_add_f32_e32 v50, v50, v53
	v_mul_f32_e32 v53, v117, v81
	v_fma_f32 v51, v114, v78, -v51
	v_fmac_f32_e32 v138, v109, v72
	v_fmac_f32_e32 v140, v113, v76
	v_add_f32_e32 v50, v50, v52
	v_fma_f32 v53, v116, v80, -v53
	v_mul_f32_e32 v52, v119, v83
	v_fmac_f32_e32 v142, v117, v80
	v_fmac_f32_e32 v144, v121, v84
	v_dual_add_f32 v50, v50, v51 :: v_dual_mul_f32 v51, v121, v85
	v_add_f32_e32 v48, v48, v135
	v_fma_f32 v52, v118, v82, -v52
	s_delay_alu instid0(VALU_DEP_3) | instskip(NEXT) | instid1(VALU_DEP_3)
	v_dual_add_f32 v50, v50, v53 :: v_dual_mul_f32 v53, v127, v123
	v_add_f32_e32 v48, v48, v136
	v_fma_f32 v51, v120, v84, -v51
	s_delay_alu instid0(VALU_DEP_3) | instskip(NEXT) | instid1(VALU_DEP_4)
	v_add_f32_e32 v50, v50, v52
	v_fma_f32 v52, v126, v122, -v53
	s_delay_alu instid0(VALU_DEP_4) | instskip(NEXT) | instid1(VALU_DEP_3)
	v_add_f32_e32 v48, v48, v137
	v_add_f32_e32 v50, v50, v51
	s_delay_alu instid0(VALU_DEP_2) | instskip(NEXT) | instid1(VALU_DEP_2)
	v_add_f32_e32 v48, v48, v138
	v_add_f32_e32 v50, v50, v52
	s_delay_alu instid0(VALU_DEP_2) | instskip(SKIP_1) | instid1(VALU_DEP_2)
	v_add_f32_e32 v48, v48, v139
	s_wait_loadcnt 0x0
	v_sub_f32_e32 v50, v124, v50
	s_delay_alu instid0(VALU_DEP_2) | instskip(NEXT) | instid1(VALU_DEP_1)
	v_add_f32_e32 v48, v48, v140
	v_add_f32_e32 v48, v48, v141
	s_delay_alu instid0(VALU_DEP_1) | instskip(NEXT) | instid1(VALU_DEP_1)
	v_add_f32_e32 v48, v48, v142
	v_add_f32_e32 v48, v48, v143
	s_delay_alu instid0(VALU_DEP_1) | instskip(NEXT) | instid1(VALU_DEP_1)
	v_add_f32_e32 v48, v48, v144
	v_add_f32_e32 v48, v48, v145
	s_delay_alu instid0(VALU_DEP_1)
	v_sub_f32_e32 v51, v125, v48
	scratch_store_b64 off, v[50:51], off offset:24
	v_cmpx_lt_u32_e32 2, v0
	s_cbranch_execz .LBB86_147
; %bb.146:
	scratch_load_b64 v[50:51], off, off offset:16
	v_mov_b32_e32 v48, v47
	scratch_store_b64 off, v[47:48], off offset:16
	s_wait_loadcnt 0x0
	ds_store_b64 v49, v[50:51]
.LBB86_147:
	s_wait_alu 0xfffe
	s_or_b32 exec_lo, exec_lo, s0
	s_wait_storecnt_dscnt 0x0
	s_barrier_signal -1
	s_barrier_wait -1
	global_inv scope:SCOPE_SE
	s_clause 0xa
	scratch_load_b128 v[50:53], off, off offset:24
	scratch_load_b128 v[54:57], off, off offset:40
	;; [unrolled: 1-line block ×10, first 2 shown]
	scratch_load_b64 v[130:131], off, off offset:16
	ds_load_2addr_b64 v[90:93], v47 offset0:27 offset1:28
	ds_load_2addr_b64 v[94:97], v47 offset0:29 offset1:30
	;; [unrolled: 1-line block ×10, first 2 shown]
	s_mov_b32 s0, exec_lo
	s_wait_loadcnt_dscnt 0xa09
	v_dual_mul_f32 v47, v90, v51 :: v_dual_mul_f32 v48, v92, v53
	v_mul_f32_e32 v51, v91, v51
	s_wait_loadcnt_dscnt 0x908
	v_dual_mul_f32 v53, v93, v53 :: v_dual_mul_f32 v132, v94, v55
	s_delay_alu instid0(VALU_DEP_3) | instskip(NEXT) | instid1(VALU_DEP_3)
	v_dual_mul_f32 v133, v96, v57 :: v_dual_fmac_f32 v48, v93, v52
	v_fma_f32 v51, v90, v50, -v51
	v_fmac_f32_e32 v47, v91, v50
	v_mul_f32_e32 v50, v95, v55
	v_fma_f32 v52, v92, v52, -v53
	v_mul_f32_e32 v53, v97, v57
	v_dual_add_f32 v51, 0, v51 :: v_dual_fmac_f32 v132, v95, v54
	s_delay_alu instid0(VALU_DEP_4) | instskip(SKIP_2) | instid1(VALU_DEP_3)
	v_fma_f32 v50, v94, v54, -v50
	s_wait_loadcnt_dscnt 0x807
	v_dual_mul_f32 v134, v98, v59 :: v_dual_mul_f32 v135, v100, v61
	v_add_f32_e32 v51, v51, v52
	v_fmac_f32_e32 v133, v97, v56
	v_fma_f32 v52, v96, v56, -v53
	s_wait_loadcnt_dscnt 0x706
	v_dual_mul_f32 v136, v102, v63 :: v_dual_mul_f32 v137, v104, v65
	v_dual_add_f32 v50, v51, v50 :: v_dual_mul_f32 v51, v101, v61
	v_fmac_f32_e32 v134, v99, v58
	s_wait_loadcnt_dscnt 0x605
	v_dual_mul_f32 v138, v106, v67 :: v_dual_mul_f32 v139, v108, v69
	s_delay_alu instid0(VALU_DEP_3) | instskip(SKIP_3) | instid1(VALU_DEP_4)
	v_dual_add_f32 v50, v50, v52 :: v_dual_add_f32 v47, 0, v47
	v_mul_f32_e32 v52, v103, v63
	v_fma_f32 v51, v100, v60, -v51
	v_dual_fmac_f32 v135, v101, v60 :: v_dual_fmac_f32 v136, v103, v62
	v_add_f32_e32 v47, v47, v48
	v_mul_f32_e32 v48, v99, v59
	v_fma_f32 v52, v102, v62, -v52
	v_dual_fmac_f32 v137, v105, v64 :: v_dual_fmac_f32 v138, v107, v66
	s_wait_loadcnt_dscnt 0x504
	v_dual_mul_f32 v140, v110, v71 :: v_dual_mul_f32 v141, v112, v73
	v_fma_f32 v48, v98, v58, -v48
	s_wait_loadcnt_dscnt 0x403
	v_dual_mul_f32 v142, v114, v75 :: v_dual_mul_f32 v143, v116, v77
	s_wait_loadcnt_dscnt 0x302
	v_dual_mul_f32 v144, v118, v79 :: v_dual_mul_f32 v145, v120, v81
	v_add_f32_e32 v48, v50, v48
	v_mul_f32_e32 v50, v105, v65
	v_dual_fmac_f32 v142, v115, v74 :: v_dual_fmac_f32 v143, v117, v76
	s_delay_alu instid0(VALU_DEP_4) | instskip(NEXT) | instid1(VALU_DEP_4)
	v_dual_fmac_f32 v144, v119, v78 :: v_dual_fmac_f32 v145, v121, v80
	v_dual_add_f32 v48, v48, v51 :: v_dual_add_f32 v47, v47, v132
	v_mul_f32_e32 v51, v107, v67
	v_fma_f32 v50, v104, v64, -v50
	v_fmac_f32_e32 v139, v109, v68
	s_delay_alu instid0(VALU_DEP_4)
	v_add_f32_e32 v48, v48, v52
	v_mul_f32_e32 v52, v109, v69
	v_add_f32_e32 v47, v47, v133
	v_fma_f32 v51, v106, v66, -v51
	v_fmac_f32_e32 v140, v111, v70
	v_add_f32_e32 v48, v48, v50
	v_mul_f32_e32 v50, v111, v71
	v_add_f32_e32 v47, v47, v134
	v_fma_f32 v52, v108, v68, -v52
	s_delay_alu instid0(VALU_DEP_4) | instskip(SKIP_1) | instid1(VALU_DEP_4)
	v_dual_fmac_f32 v141, v113, v72 :: v_dual_add_f32 v48, v48, v51
	v_mul_f32_e32 v51, v113, v73
	v_add_f32_e32 v47, v47, v135
	v_fma_f32 v50, v110, v70, -v50
	s_wait_loadcnt_dscnt 0x201
	v_dual_mul_f32 v146, v122, v83 :: v_dual_mul_f32 v147, v124, v85
	v_add_f32_e32 v48, v48, v52
	v_add_f32_e32 v47, v47, v136
	v_fma_f32 v51, v112, v72, -v51
	v_mul_f32_e32 v52, v115, v75
	s_wait_loadcnt_dscnt 0x100
	v_dual_mul_f32 v148, v126, v87 :: v_dual_mul_f32 v149, v128, v89
	v_dual_add_f32 v48, v48, v50 :: v_dual_add_f32 v47, v47, v137
	v_mul_f32_e32 v50, v117, v77
	v_fma_f32 v52, v114, v74, -v52
	v_dual_fmac_f32 v146, v123, v82 :: v_dual_fmac_f32 v147, v125, v84
	s_delay_alu instid0(VALU_DEP_4) | instskip(SKIP_3) | instid1(VALU_DEP_4)
	v_dual_add_f32 v48, v48, v51 :: v_dual_add_f32 v47, v47, v138
	v_mul_f32_e32 v51, v119, v79
	v_fma_f32 v50, v116, v76, -v50
	v_fmac_f32_e32 v149, v129, v88
	v_dual_add_f32 v48, v48, v52 :: v_dual_add_f32 v47, v47, v139
	v_mul_f32_e32 v52, v121, v81
	v_fma_f32 v51, v118, v78, -v51
	s_delay_alu instid0(VALU_DEP_3) | instskip(SKIP_1) | instid1(VALU_DEP_4)
	v_dual_add_f32 v48, v48, v50 :: v_dual_add_f32 v47, v47, v140
	v_mul_f32_e32 v50, v123, v83
	v_fma_f32 v52, v120, v80, -v52
	s_delay_alu instid0(VALU_DEP_3) | instskip(SKIP_1) | instid1(VALU_DEP_4)
	v_dual_add_f32 v48, v48, v51 :: v_dual_add_f32 v47, v47, v141
	v_mul_f32_e32 v51, v125, v85
	v_fma_f32 v50, v122, v82, -v50
	s_delay_alu instid0(VALU_DEP_3) | instskip(SKIP_1) | instid1(VALU_DEP_4)
	v_dual_add_f32 v48, v48, v52 :: v_dual_add_f32 v47, v47, v142
	v_mul_f32_e32 v52, v127, v87
	v_fma_f32 v51, v124, v84, -v51
	s_delay_alu instid0(VALU_DEP_3) | instskip(SKIP_1) | instid1(VALU_DEP_4)
	v_dual_add_f32 v48, v48, v50 :: v_dual_add_f32 v47, v47, v143
	v_mul_f32_e32 v50, v129, v89
	v_fma_f32 v52, v126, v86, -v52
	s_delay_alu instid0(VALU_DEP_3) | instskip(NEXT) | instid1(VALU_DEP_3)
	v_dual_add_f32 v48, v48, v51 :: v_dual_add_f32 v47, v47, v144
	v_fma_f32 v50, v128, v88, -v50
	s_delay_alu instid0(VALU_DEP_2) | instskip(NEXT) | instid1(VALU_DEP_1)
	v_dual_add_f32 v48, v48, v52 :: v_dual_add_f32 v47, v47, v145
	v_add_f32_e32 v48, v48, v50
	s_delay_alu instid0(VALU_DEP_2) | instskip(SKIP_1) | instid1(VALU_DEP_2)
	v_add_f32_e32 v47, v47, v146
	v_fmac_f32_e32 v148, v127, v86
	v_add_f32_e32 v47, v47, v147
	s_delay_alu instid0(VALU_DEP_1) | instskip(SKIP_1) | instid1(VALU_DEP_1)
	v_add_f32_e32 v47, v47, v148
	s_wait_loadcnt 0x0
	v_dual_add_f32 v50, v47, v149 :: v_dual_sub_f32 v47, v130, v48
	s_delay_alu instid0(VALU_DEP_1)
	v_sub_f32_e32 v48, v131, v50
	scratch_store_b64 off, v[47:48], off offset:16
	v_cmpx_lt_u32_e32 1, v0
	s_cbranch_execz .LBB86_149
; %bb.148:
	scratch_load_b64 v[47:48], off, off offset:8
	v_mov_b32_e32 v50, 0
	s_delay_alu instid0(VALU_DEP_1)
	v_mov_b32_e32 v51, v50
	scratch_store_b64 off, v[50:51], off offset:8
	s_wait_loadcnt 0x0
	ds_store_b64 v49, v[47:48]
.LBB86_149:
	s_wait_alu 0xfffe
	s_or_b32 exec_lo, exec_lo, s0
	s_wait_storecnt_dscnt 0x0
	s_barrier_signal -1
	s_barrier_wait -1
	global_inv scope:SCOPE_SE
	s_clause 0xb
	scratch_load_b128 v[50:53], off, off offset:16
	scratch_load_b128 v[54:57], off, off offset:32
	;; [unrolled: 1-line block ×10, first 2 shown]
	scratch_load_b64 v[130:131], off, off offset:176
	scratch_load_b64 v[132:133], off, off offset:8
	v_mov_b32_e32 v47, 0
	ds_load_b128 v[90:93], v47 offset:208
	ds_load_b128 v[94:97], v47 offset:224
	;; [unrolled: 1-line block ×10, first 2 shown]
	ds_load_b64 v[134:135], v47 offset:368
	s_mov_b32 s0, exec_lo
	s_wait_loadcnt_dscnt 0xb0a
	v_mul_f32_e32 v48, v90, v51
	s_wait_loadcnt_dscnt 0xa09
	v_dual_mul_f32 v136, v92, v53 :: v_dual_mul_f32 v137, v94, v55
	v_mul_f32_e32 v53, v93, v53
	v_dual_mul_f32 v51, v91, v51 :: v_dual_mul_f32 v138, v96, v57
	s_wait_loadcnt_dscnt 0x908
	v_dual_mul_f32 v139, v98, v59 :: v_dual_fmac_f32 v48, v91, v50
	s_wait_loadcnt_dscnt 0x302
	v_mul_f32_e32 v152, v124, v85
	v_fma_f32 v51, v90, v50, -v51
	s_wait_loadcnt_dscnt 0x100
	v_mul_f32_e32 v155, v134, v131
	v_mul_f32_e32 v50, v95, v55
	v_fmac_f32_e32 v136, v93, v52
	v_fma_f32 v52, v92, v52, -v53
	v_dual_add_f32 v51, 0, v51 :: v_dual_add_f32 v48, 0, v48
	v_mul_f32_e32 v53, v97, v57
	v_fmac_f32_e32 v137, v95, v54
	v_fma_f32 v50, v94, v54, -v50
	v_dual_mul_f32 v142, v104, v65 :: v_dual_mul_f32 v143, v106, v67
	v_add_f32_e32 v48, v48, v136
	v_add_f32_e32 v51, v51, v52
	v_mul_f32_e32 v52, v99, v59
	v_fma_f32 v53, v96, v56, -v53
	v_dual_mul_f32 v144, v108, v69 :: v_dual_mul_f32 v145, v110, v71
	v_add_f32_e32 v48, v48, v137
	v_dual_add_f32 v50, v51, v50 :: v_dual_mul_f32 v51, v101, v61
	v_fma_f32 v52, v98, v58, -v52
	v_dual_mul_f32 v146, v112, v73 :: v_dual_mul_f32 v147, v114, v75
	s_delay_alu instid0(VALU_DEP_3) | instskip(NEXT) | instid1(VALU_DEP_4)
	v_dual_add_f32 v50, v50, v53 :: v_dual_mul_f32 v53, v103, v63
	v_fma_f32 v51, v100, v60, -v51
	v_dual_fmac_f32 v138, v97, v56 :: v_dual_fmac_f32 v139, v99, v58
	s_delay_alu instid0(VALU_DEP_3) | instskip(SKIP_2) | instid1(VALU_DEP_3)
	v_dual_add_f32 v50, v50, v52 :: v_dual_fmac_f32 v143, v107, v66
	v_dual_mul_f32 v52, v105, v65 :: v_dual_fmac_f32 v145, v111, v70
	v_fma_f32 v53, v102, v62, -v53
	v_dual_add_f32 v50, v50, v51 :: v_dual_fmac_f32 v147, v115, v74
	v_dual_mul_f32 v148, v116, v77 :: v_dual_mul_f32 v149, v118, v79
	v_dual_add_f32 v48, v48, v138 :: v_dual_mul_f32 v51, v107, v67
	v_fma_f32 v52, v104, v64, -v52
	s_delay_alu instid0(VALU_DEP_3) | instskip(SKIP_1) | instid1(VALU_DEP_4)
	v_dual_add_f32 v50, v50, v53 :: v_dual_fmac_f32 v149, v119, v78
	v_mul_f32_e32 v53, v109, v69
	v_fma_f32 v51, v106, v66, -v51
	v_dual_mul_f32 v140, v100, v61 :: v_dual_mul_f32 v141, v102, v63
	s_delay_alu instid0(VALU_DEP_4) | instskip(SKIP_3) | instid1(VALU_DEP_3)
	v_add_f32_e32 v50, v50, v52
	v_dual_mul_f32 v153, v126, v87 :: v_dual_mul_f32 v154, v128, v89
	v_mul_f32_e32 v52, v111, v71
	v_fma_f32 v53, v108, v68, -v53
	v_dual_add_f32 v50, v50, v51 :: v_dual_fmac_f32 v153, v127, v86
	v_dual_fmac_f32 v140, v101, v60 :: v_dual_fmac_f32 v141, v103, v62
	v_dual_add_f32 v48, v48, v139 :: v_dual_mul_f32 v51, v113, v73
	v_fma_f32 v52, v110, v70, -v52
	s_delay_alu instid0(VALU_DEP_4) | instskip(NEXT) | instid1(VALU_DEP_3)
	v_dual_add_f32 v50, v50, v53 :: v_dual_mul_f32 v53, v115, v75
	v_add_f32_e32 v48, v48, v140
	s_delay_alu instid0(VALU_DEP_4) | instskip(SKIP_1) | instid1(VALU_DEP_4)
	v_fma_f32 v51, v112, v72, -v51
	v_dual_mul_f32 v150, v120, v81 :: v_dual_mul_f32 v151, v122, v83
	v_add_f32_e32 v50, v50, v52
	v_mul_f32_e32 v52, v117, v77
	v_fma_f32 v53, v114, v74, -v53
	v_fmac_f32_e32 v142, v105, v64
	v_dual_add_f32 v48, v48, v141 :: v_dual_fmac_f32 v151, v123, v82
	v_add_f32_e32 v50, v50, v51
	v_mul_f32_e32 v51, v119, v79
	v_fma_f32 v52, v116, v76, -v52
	s_delay_alu instid0(VALU_DEP_4)
	v_add_f32_e32 v48, v48, v142
	v_fmac_f32_e32 v144, v109, v68
	v_add_f32_e32 v50, v50, v53
	v_mul_f32_e32 v53, v121, v81
	v_fma_f32 v51, v118, v78, -v51
	v_dual_fmac_f32 v155, v135, v130 :: v_dual_fmac_f32 v146, v113, v72
	s_delay_alu instid0(VALU_DEP_4) | instskip(NEXT) | instid1(VALU_DEP_4)
	v_add_f32_e32 v50, v50, v52
	v_fma_f32 v53, v120, v80, -v53
	v_fmac_f32_e32 v148, v117, v76
	v_mul_f32_e32 v52, v123, v83
	v_fmac_f32_e32 v150, v121, v80
	v_dual_add_f32 v50, v50, v51 :: v_dual_mul_f32 v51, v125, v85
	v_add_f32_e32 v48, v48, v143
	s_delay_alu instid0(VALU_DEP_4) | instskip(SKIP_1) | instid1(VALU_DEP_4)
	v_fma_f32 v52, v122, v82, -v52
	v_fmac_f32_e32 v152, v125, v84
	v_dual_add_f32 v50, v50, v53 :: v_dual_mul_f32 v53, v127, v87
	s_delay_alu instid0(VALU_DEP_4) | instskip(SKIP_2) | instid1(VALU_DEP_4)
	v_add_f32_e32 v48, v48, v144
	v_fma_f32 v51, v124, v84, -v51
	v_fmac_f32_e32 v154, v129, v88
	v_add_f32_e32 v50, v50, v52
	v_mul_f32_e32 v52, v129, v89
	v_add_f32_e32 v48, v48, v145
	v_fma_f32 v53, v126, v86, -v53
	s_delay_alu instid0(VALU_DEP_4) | instskip(NEXT) | instid1(VALU_DEP_3)
	v_add_f32_e32 v50, v50, v51
	v_dual_mul_f32 v51, v135, v131 :: v_dual_add_f32 v48, v48, v146
	v_fma_f32 v52, v128, v88, -v52
	s_delay_alu instid0(VALU_DEP_3) | instskip(NEXT) | instid1(VALU_DEP_3)
	v_add_f32_e32 v50, v50, v53
	v_fma_f32 v51, v134, v130, -v51
	s_delay_alu instid0(VALU_DEP_4) | instskip(NEXT) | instid1(VALU_DEP_3)
	v_add_f32_e32 v48, v48, v147
	v_add_f32_e32 v50, v50, v52
	s_delay_alu instid0(VALU_DEP_2) | instskip(NEXT) | instid1(VALU_DEP_2)
	v_add_f32_e32 v48, v48, v148
	v_add_f32_e32 v50, v50, v51
	s_delay_alu instid0(VALU_DEP_2) | instskip(SKIP_1) | instid1(VALU_DEP_2)
	v_add_f32_e32 v48, v48, v149
	s_wait_loadcnt 0x0
	v_sub_f32_e32 v50, v132, v50
	s_delay_alu instid0(VALU_DEP_2) | instskip(NEXT) | instid1(VALU_DEP_1)
	v_add_f32_e32 v48, v48, v150
	v_add_f32_e32 v48, v48, v151
	s_delay_alu instid0(VALU_DEP_1) | instskip(NEXT) | instid1(VALU_DEP_1)
	v_add_f32_e32 v48, v48, v152
	v_add_f32_e32 v48, v48, v153
	s_delay_alu instid0(VALU_DEP_1) | instskip(NEXT) | instid1(VALU_DEP_1)
	v_add_f32_e32 v48, v48, v154
	v_add_f32_e32 v48, v48, v155
	s_delay_alu instid0(VALU_DEP_1)
	v_sub_f32_e32 v51, v133, v48
	scratch_store_b64 off, v[50:51], off offset:8
	v_cmpx_ne_u32_e32 0, v0
	s_cbranch_execz .LBB86_151
; %bb.150:
	scratch_load_b64 v[50:51], off, off
	v_mov_b32_e32 v48, v47
	scratch_store_b64 off, v[47:48], off
	s_wait_loadcnt 0x0
	ds_store_b64 v49, v[50:51]
.LBB86_151:
	s_wait_alu 0xfffe
	s_or_b32 exec_lo, exec_lo, s0
	s_wait_storecnt_dscnt 0x0
	s_barrier_signal -1
	s_barrier_wait -1
	global_inv scope:SCOPE_SE
	s_clause 0xb
	scratch_load_b128 v[48:51], off, off offset:8
	scratch_load_b128 v[52:55], off, off offset:24
	;; [unrolled: 1-line block ×11, first 2 shown]
	scratch_load_b64 v[136:137], off, off
	ds_load_2addr_b64 v[92:95], v47 offset0:25 offset1:26
	ds_load_2addr_b64 v[96:99], v47 offset0:27 offset1:28
	;; [unrolled: 1-line block ×11, first 2 shown]
	s_and_b32 vcc_lo, exec_lo, s12
	s_wait_loadcnt_dscnt 0xb0a
	v_dual_mul_f32 v0, v92, v49 :: v_dual_mul_f32 v47, v94, v51
	s_wait_loadcnt_dscnt 0xa09
	v_dual_mul_f32 v51, v95, v51 :: v_dual_mul_f32 v138, v96, v53
	s_delay_alu instid0(VALU_DEP_2) | instskip(SKIP_2) | instid1(VALU_DEP_4)
	v_dual_mul_f32 v139, v98, v55 :: v_dual_fmac_f32 v0, v93, v48
	v_mul_f32_e32 v49, v93, v49
	v_fmac_f32_e32 v47, v95, v50
	v_fma_f32 v50, v94, v50, -v51
	s_wait_loadcnt_dscnt 0x908
	v_dual_mul_f32 v140, v100, v57 :: v_dual_mul_f32 v141, v102, v59
	v_add_f32_e32 v0, 0, v0
	v_fma_f32 v49, v92, v48, -v49
	v_mul_f32_e32 v48, v97, v53
	v_dual_fmac_f32 v138, v97, v52 :: v_dual_fmac_f32 v139, v99, v54
	s_delay_alu instid0(VALU_DEP_3) | instskip(NEXT) | instid1(VALU_DEP_3)
	v_dual_fmac_f32 v140, v101, v56 :: v_dual_add_f32 v49, 0, v49
	v_fma_f32 v48, v96, v52, -v48
	v_dual_add_f32 v0, v0, v47 :: v_dual_mul_f32 v47, v101, v57
	s_wait_loadcnt_dscnt 0x807
	v_dual_mul_f32 v142, v104, v61 :: v_dual_mul_f32 v143, v106, v63
	v_add_f32_e32 v49, v49, v50
	s_delay_alu instid0(VALU_DEP_3) | instskip(SKIP_1) | instid1(VALU_DEP_3)
	v_dual_mul_f32 v51, v99, v55 :: v_dual_add_f32 v0, v0, v138
	v_fma_f32 v47, v100, v56, -v47
	v_dual_fmac_f32 v141, v103, v58 :: v_dual_add_f32 v48, v49, v48
	s_delay_alu instid0(VALU_DEP_3) | instskip(SKIP_3) | instid1(VALU_DEP_4)
	v_fma_f32 v50, v98, v54, -v51
	v_mul_f32_e32 v49, v103, v59
	v_add_f32_e32 v0, v0, v139
	v_dual_fmac_f32 v142, v105, v60 :: v_dual_fmac_f32 v143, v107, v62
	v_add_f32_e32 v48, v48, v50
	v_mul_f32_e32 v50, v105, v61
	v_fma_f32 v49, v102, v58, -v49
	s_wait_loadcnt_dscnt 0x706
	v_dual_mul_f32 v144, v108, v65 :: v_dual_mul_f32 v145, v110, v67
	v_add_f32_e32 v47, v48, v47
	v_add_f32_e32 v0, v0, v140
	v_mul_f32_e32 v48, v107, v63
	v_fma_f32 v50, v104, v60, -v50
	v_dual_fmac_f32 v144, v109, v64 :: v_dual_fmac_f32 v145, v111, v66
	v_add_f32_e32 v47, v47, v49
	v_add_f32_e32 v0, v0, v141
	v_mul_f32_e32 v49, v109, v65
	v_fma_f32 v48, v106, v62, -v48
	s_wait_loadcnt_dscnt 0x605
	v_dual_mul_f32 v146, v112, v69 :: v_dual_mul_f32 v147, v114, v71
	v_add_f32_e32 v47, v47, v50
	v_add_f32_e32 v0, v0, v142
	v_mul_f32_e32 v50, v111, v67
	v_fma_f32 v49, v108, v64, -v49
	s_wait_loadcnt_dscnt 0x504
	v_dual_mul_f32 v148, v116, v73 :: v_dual_mul_f32 v149, v118, v75
	v_dual_add_f32 v47, v47, v48 :: v_dual_add_f32 v0, v0, v143
	v_mul_f32_e32 v48, v113, v69
	v_fma_f32 v50, v110, v66, -v50
	v_dual_fmac_f32 v146, v113, v68 :: v_dual_fmac_f32 v147, v115, v70
	s_delay_alu instid0(VALU_DEP_4) | instskip(SKIP_3) | instid1(VALU_DEP_4)
	v_dual_add_f32 v47, v47, v49 :: v_dual_add_f32 v0, v0, v144
	v_mul_f32_e32 v49, v115, v71
	v_fma_f32 v48, v112, v68, -v48
	v_fmac_f32_e32 v149, v119, v74
	v_dual_add_f32 v47, v47, v50 :: v_dual_add_f32 v0, v0, v145
	v_mul_f32_e32 v50, v117, v73
	v_fma_f32 v49, v114, v70, -v49
	s_wait_loadcnt_dscnt 0x403
	v_dual_mul_f32 v150, v120, v77 :: v_dual_mul_f32 v151, v122, v79
	v_dual_add_f32 v47, v47, v48 :: v_dual_add_f32 v0, v0, v146
	v_mul_f32_e32 v48, v119, v75
	v_fma_f32 v50, v116, v72, -v50
	s_delay_alu instid0(VALU_DEP_4) | instskip(NEXT) | instid1(VALU_DEP_4)
	v_fmac_f32_e32 v151, v123, v78
	v_dual_add_f32 v47, v47, v49 :: v_dual_fmac_f32 v148, v117, v72
	v_mul_f32_e32 v49, v121, v77
	v_fma_f32 v48, v118, v74, -v48
	s_wait_loadcnt_dscnt 0x302
	v_dual_mul_f32 v152, v124, v81 :: v_dual_mul_f32 v153, v126, v83
	v_dual_add_f32 v47, v47, v50 :: v_dual_add_f32 v0, v0, v147
	v_mul_f32_e32 v50, v123, v79
	v_fma_f32 v49, v120, v76, -v49
	s_wait_loadcnt_dscnt 0x201
	v_dual_mul_f32 v154, v128, v85 :: v_dual_mul_f32 v155, v130, v87
	v_add_f32_e32 v47, v47, v48
	v_add_f32_e32 v0, v0, v148
	v_fmac_f32_e32 v150, v121, v76
	v_fma_f32 v50, v122, v78, -v50
	v_dual_fmac_f32 v152, v125, v80 :: v_dual_fmac_f32 v153, v127, v82
	v_add_f32_e32 v47, v47, v49
	v_mul_f32_e32 v48, v125, v81
	v_dual_add_f32 v0, v0, v149 :: v_dual_mul_f32 v49, v127, v83
	v_fmac_f32_e32 v155, v131, v86
	s_delay_alu instid0(VALU_DEP_4) | instskip(NEXT) | instid1(VALU_DEP_4)
	v_add_f32_e32 v47, v47, v50
	v_fma_f32 v48, v124, v80, -v48
	s_delay_alu instid0(VALU_DEP_4)
	v_add_f32_e32 v0, v0, v150
	v_mul_f32_e32 v50, v129, v85
	v_fma_f32 v49, v126, v82, -v49
	s_wait_loadcnt_dscnt 0x100
	v_dual_mul_f32 v156, v132, v89 :: v_dual_mul_f32 v157, v134, v91
	v_dual_add_f32 v47, v47, v48 :: v_dual_add_f32 v0, v0, v151
	v_mul_f32_e32 v48, v131, v87
	v_fma_f32 v50, v128, v84, -v50
	s_delay_alu instid0(VALU_DEP_4) | instskip(NEXT) | instid1(VALU_DEP_4)
	v_dual_fmac_f32 v154, v129, v84 :: v_dual_fmac_f32 v157, v135, v90
	v_dual_add_f32 v47, v47, v49 :: v_dual_add_f32 v0, v0, v152
	v_mul_f32_e32 v49, v133, v89
	v_fma_f32 v48, v130, v86, -v48
	s_delay_alu instid0(VALU_DEP_3) | instskip(SKIP_1) | instid1(VALU_DEP_4)
	v_dual_add_f32 v47, v47, v50 :: v_dual_add_f32 v0, v0, v153
	v_mul_f32_e32 v50, v135, v91
	v_fma_f32 v49, v132, v88, -v49
	s_delay_alu instid0(VALU_DEP_3) | instskip(NEXT) | instid1(VALU_DEP_3)
	v_dual_add_f32 v47, v47, v48 :: v_dual_add_f32 v0, v0, v154
	v_fma_f32 v48, v134, v90, -v50
	s_delay_alu instid0(VALU_DEP_2) | instskip(NEXT) | instid1(VALU_DEP_1)
	v_dual_add_f32 v47, v47, v49 :: v_dual_add_f32 v0, v0, v155
	v_add_f32_e32 v47, v47, v48
	s_wait_loadcnt 0x0
	s_delay_alu instid0(VALU_DEP_1) | instskip(NEXT) | instid1(VALU_DEP_1)
	v_dual_fmac_f32 v156, v133, v88 :: v_dual_sub_f32 v47, v136, v47
	v_add_f32_e32 v0, v0, v156
	s_delay_alu instid0(VALU_DEP_1) | instskip(NEXT) | instid1(VALU_DEP_1)
	v_add_f32_e32 v0, v0, v157
	v_sub_f32_e32 v48, v137, v0
	scratch_store_b64 off, v[47:48], off
	s_wait_alu 0xfffe
	s_cbranch_vccz .LBB86_196
; %bb.152:
	v_mov_b32_e32 v0, 0
	global_load_b32 v47, v0, s[2:3] offset:84
	s_wait_loadcnt 0x0
	v_cmp_ne_u32_e32 vcc_lo, 22, v47
	s_cbranch_vccz .LBB86_154
; %bb.153:
	v_lshlrev_b32_e32 v47, 3, v47
	s_delay_alu instid0(VALU_DEP_1)
	v_mov_b32_e32 v51, v47
	scratch_load_b64 v[47:48], v51, off offset:-8
	scratch_load_b64 v[49:50], off, off offset:168
	s_wait_loadcnt 0x1
	scratch_store_b64 off, v[47:48], off offset:168
	s_wait_loadcnt 0x0
	scratch_store_b64 v51, v[49:50], off offset:-8
.LBB86_154:
	global_load_b32 v0, v0, s[2:3] offset:80
	s_wait_loadcnt 0x0
	v_cmp_eq_u32_e32 vcc_lo, 21, v0
	s_cbranch_vccnz .LBB86_156
; %bb.155:
	v_lshlrev_b32_e32 v0, 3, v0
	scratch_load_b64 v[47:48], v0, off offset:-8
	scratch_load_b64 v[49:50], off, off offset:160
	s_wait_loadcnt 0x1
	scratch_store_b64 off, v[47:48], off offset:160
	s_wait_loadcnt 0x0
	scratch_store_b64 v0, v[49:50], off offset:-8
.LBB86_156:
	v_mov_b32_e32 v0, 0
	global_load_b32 v47, v0, s[2:3] offset:76
	s_wait_loadcnt 0x0
	v_cmp_eq_u32_e32 vcc_lo, 20, v47
	s_cbranch_vccnz .LBB86_158
; %bb.157:
	v_lshlrev_b32_e32 v47, 3, v47
	s_delay_alu instid0(VALU_DEP_1)
	v_mov_b32_e32 v51, v47
	scratch_load_b64 v[47:48], v51, off offset:-8
	scratch_load_b64 v[49:50], off, off offset:152
	s_wait_loadcnt 0x1
	scratch_store_b64 off, v[47:48], off offset:152
	s_wait_loadcnt 0x0
	scratch_store_b64 v51, v[49:50], off offset:-8
.LBB86_158:
	global_load_b32 v0, v0, s[2:3] offset:72
	s_wait_loadcnt 0x0
	v_cmp_eq_u32_e32 vcc_lo, 19, v0
	s_cbranch_vccnz .LBB86_160
; %bb.159:
	v_lshlrev_b32_e32 v0, 3, v0
	scratch_load_b64 v[47:48], v0, off offset:-8
	scratch_load_b64 v[49:50], off, off offset:144
	s_wait_loadcnt 0x1
	scratch_store_b64 off, v[47:48], off offset:144
	s_wait_loadcnt 0x0
	scratch_store_b64 v0, v[49:50], off offset:-8
.LBB86_160:
	v_mov_b32_e32 v0, 0
	global_load_b32 v47, v0, s[2:3] offset:68
	s_wait_loadcnt 0x0
	v_cmp_eq_u32_e32 vcc_lo, 18, v47
	s_cbranch_vccnz .LBB86_162
; %bb.161:
	v_lshlrev_b32_e32 v47, 3, v47
	s_delay_alu instid0(VALU_DEP_1)
	v_mov_b32_e32 v51, v47
	scratch_load_b64 v[47:48], v51, off offset:-8
	scratch_load_b64 v[49:50], off, off offset:136
	s_wait_loadcnt 0x1
	scratch_store_b64 off, v[47:48], off offset:136
	s_wait_loadcnt 0x0
	scratch_store_b64 v51, v[49:50], off offset:-8
.LBB86_162:
	;; [unrolled: 29-line block ×10, first 2 shown]
	global_load_b32 v0, v0, s[2:3]
	s_wait_loadcnt 0x0
	v_cmp_eq_u32_e32 vcc_lo, 1, v0
	s_cbranch_vccnz .LBB86_196
; %bb.195:
	v_lshlrev_b32_e32 v0, 3, v0
	scratch_load_b64 v[47:48], v0, off offset:-8
	scratch_load_b64 v[49:50], off, off
	s_wait_loadcnt 0x1
	scratch_store_b64 off, v[47:48], off
	s_wait_loadcnt 0x0
	scratch_store_b64 v0, v[49:50], off offset:-8
.LBB86_196:
	scratch_load_b64 v[47:48], off, off
	s_wait_loadcnt 0x0
	flat_store_b64 v[1:2], v[47:48]
	scratch_load_b64 v[0:1], off, off offset:8
	s_wait_loadcnt 0x0
	flat_store_b64 v[3:4], v[0:1]
	scratch_load_b64 v[0:1], off, off offset:16
	;; [unrolled: 3-line block ×22, first 2 shown]
	s_wait_loadcnt 0x0
	flat_store_b64 v[45:46], v[0:1]
	s_nop 0
	s_sendmsg sendmsg(MSG_DEALLOC_VGPRS)
	s_endpgm
	.section	.rodata,"a",@progbits
	.p2align	6, 0x0
	.amdhsa_kernel _ZN9rocsolver6v33100L18getri_kernel_smallILi23E19rocblas_complex_numIfEPKPS3_EEvT1_iilPiilS8_bb
		.amdhsa_group_segment_fixed_size 376
		.amdhsa_private_segment_fixed_size 192
		.amdhsa_kernarg_size 60
		.amdhsa_user_sgpr_count 2
		.amdhsa_user_sgpr_dispatch_ptr 0
		.amdhsa_user_sgpr_queue_ptr 0
		.amdhsa_user_sgpr_kernarg_segment_ptr 1
		.amdhsa_user_sgpr_dispatch_id 0
		.amdhsa_user_sgpr_private_segment_size 0
		.amdhsa_wavefront_size32 1
		.amdhsa_uses_dynamic_stack 0
		.amdhsa_enable_private_segment 1
		.amdhsa_system_sgpr_workgroup_id_x 1
		.amdhsa_system_sgpr_workgroup_id_y 0
		.amdhsa_system_sgpr_workgroup_id_z 0
		.amdhsa_system_sgpr_workgroup_info 0
		.amdhsa_system_vgpr_workitem_id 0
		.amdhsa_next_free_vgpr 158
		.amdhsa_next_free_sgpr 19
		.amdhsa_reserve_vcc 1
		.amdhsa_float_round_mode_32 0
		.amdhsa_float_round_mode_16_64 0
		.amdhsa_float_denorm_mode_32 3
		.amdhsa_float_denorm_mode_16_64 3
		.amdhsa_fp16_overflow 0
		.amdhsa_workgroup_processor_mode 1
		.amdhsa_memory_ordered 1
		.amdhsa_forward_progress 1
		.amdhsa_inst_pref_size 199
		.amdhsa_round_robin_scheduling 0
		.amdhsa_exception_fp_ieee_invalid_op 0
		.amdhsa_exception_fp_denorm_src 0
		.amdhsa_exception_fp_ieee_div_zero 0
		.amdhsa_exception_fp_ieee_overflow 0
		.amdhsa_exception_fp_ieee_underflow 0
		.amdhsa_exception_fp_ieee_inexact 0
		.amdhsa_exception_int_div_zero 0
	.end_amdhsa_kernel
	.section	.text._ZN9rocsolver6v33100L18getri_kernel_smallILi23E19rocblas_complex_numIfEPKPS3_EEvT1_iilPiilS8_bb,"axG",@progbits,_ZN9rocsolver6v33100L18getri_kernel_smallILi23E19rocblas_complex_numIfEPKPS3_EEvT1_iilPiilS8_bb,comdat
.Lfunc_end86:
	.size	_ZN9rocsolver6v33100L18getri_kernel_smallILi23E19rocblas_complex_numIfEPKPS3_EEvT1_iilPiilS8_bb, .Lfunc_end86-_ZN9rocsolver6v33100L18getri_kernel_smallILi23E19rocblas_complex_numIfEPKPS3_EEvT1_iilPiilS8_bb
                                        ; -- End function
	.set _ZN9rocsolver6v33100L18getri_kernel_smallILi23E19rocblas_complex_numIfEPKPS3_EEvT1_iilPiilS8_bb.num_vgpr, 158
	.set _ZN9rocsolver6v33100L18getri_kernel_smallILi23E19rocblas_complex_numIfEPKPS3_EEvT1_iilPiilS8_bb.num_agpr, 0
	.set _ZN9rocsolver6v33100L18getri_kernel_smallILi23E19rocblas_complex_numIfEPKPS3_EEvT1_iilPiilS8_bb.numbered_sgpr, 19
	.set _ZN9rocsolver6v33100L18getri_kernel_smallILi23E19rocblas_complex_numIfEPKPS3_EEvT1_iilPiilS8_bb.num_named_barrier, 0
	.set _ZN9rocsolver6v33100L18getri_kernel_smallILi23E19rocblas_complex_numIfEPKPS3_EEvT1_iilPiilS8_bb.private_seg_size, 192
	.set _ZN9rocsolver6v33100L18getri_kernel_smallILi23E19rocblas_complex_numIfEPKPS3_EEvT1_iilPiilS8_bb.uses_vcc, 1
	.set _ZN9rocsolver6v33100L18getri_kernel_smallILi23E19rocblas_complex_numIfEPKPS3_EEvT1_iilPiilS8_bb.uses_flat_scratch, 1
	.set _ZN9rocsolver6v33100L18getri_kernel_smallILi23E19rocblas_complex_numIfEPKPS3_EEvT1_iilPiilS8_bb.has_dyn_sized_stack, 0
	.set _ZN9rocsolver6v33100L18getri_kernel_smallILi23E19rocblas_complex_numIfEPKPS3_EEvT1_iilPiilS8_bb.has_recursion, 0
	.set _ZN9rocsolver6v33100L18getri_kernel_smallILi23E19rocblas_complex_numIfEPKPS3_EEvT1_iilPiilS8_bb.has_indirect_call, 0
	.section	.AMDGPU.csdata,"",@progbits
; Kernel info:
; codeLenInByte = 25392
; TotalNumSgprs: 21
; NumVgprs: 158
; ScratchSize: 192
; MemoryBound: 0
; FloatMode: 240
; IeeeMode: 1
; LDSByteSize: 376 bytes/workgroup (compile time only)
; SGPRBlocks: 0
; VGPRBlocks: 19
; NumSGPRsForWavesPerEU: 21
; NumVGPRsForWavesPerEU: 158
; Occupancy: 9
; WaveLimiterHint : 1
; COMPUTE_PGM_RSRC2:SCRATCH_EN: 1
; COMPUTE_PGM_RSRC2:USER_SGPR: 2
; COMPUTE_PGM_RSRC2:TRAP_HANDLER: 0
; COMPUTE_PGM_RSRC2:TGID_X_EN: 1
; COMPUTE_PGM_RSRC2:TGID_Y_EN: 0
; COMPUTE_PGM_RSRC2:TGID_Z_EN: 0
; COMPUTE_PGM_RSRC2:TIDIG_COMP_CNT: 0
	.section	.text._ZN9rocsolver6v33100L18getri_kernel_smallILi24E19rocblas_complex_numIfEPKPS3_EEvT1_iilPiilS8_bb,"axG",@progbits,_ZN9rocsolver6v33100L18getri_kernel_smallILi24E19rocblas_complex_numIfEPKPS3_EEvT1_iilPiilS8_bb,comdat
	.globl	_ZN9rocsolver6v33100L18getri_kernel_smallILi24E19rocblas_complex_numIfEPKPS3_EEvT1_iilPiilS8_bb ; -- Begin function _ZN9rocsolver6v33100L18getri_kernel_smallILi24E19rocblas_complex_numIfEPKPS3_EEvT1_iilPiilS8_bb
	.p2align	8
	.type	_ZN9rocsolver6v33100L18getri_kernel_smallILi24E19rocblas_complex_numIfEPKPS3_EEvT1_iilPiilS8_bb,@function
_ZN9rocsolver6v33100L18getri_kernel_smallILi24E19rocblas_complex_numIfEPKPS3_EEvT1_iilPiilS8_bb: ; @_ZN9rocsolver6v33100L18getri_kernel_smallILi24E19rocblas_complex_numIfEPKPS3_EEvT1_iilPiilS8_bb
; %bb.0:
	s_mov_b32 s2, exec_lo
	v_cmpx_gt_u32_e32 24, v0
	s_cbranch_execz .LBB87_110
; %bb.1:
	s_clause 0x1
	s_load_b32 s13, s[0:1], 0x38
	s_load_b64 s[2:3], s[0:1], 0x0
	s_mov_b32 s8, ttmp9
	s_load_b128 s[4:7], s[0:1], 0x28
	s_wait_kmcnt 0x0
	s_bitcmp1_b32 s13, 8
	s_cselect_b32 s12, -1, 0
	s_ashr_i32 s9, ttmp9, 31
	s_delay_alu instid0(SALU_CYCLE_1) | instskip(NEXT) | instid1(SALU_CYCLE_1)
	s_lshl_b64 s[10:11], s[8:9], 3
	s_add_nc_u64 s[2:3], s[2:3], s[10:11]
	s_load_b64 s[10:11], s[2:3], 0x0
	s_bfe_u32 s2, s13, 0x10008
	s_delay_alu instid0(SALU_CYCLE_1)
	s_cmp_eq_u32 s2, 0
                                        ; implicit-def: $sgpr2_sgpr3
	s_cbranch_scc1 .LBB87_3
; %bb.2:
	s_load_b96 s[16:18], s[0:1], 0x18
	s_mul_u64 s[2:3], s[4:5], s[8:9]
	s_delay_alu instid0(SALU_CYCLE_1)
	s_lshl_b64 s[2:3], s[2:3], 2
	s_wait_kmcnt 0x0
	s_ashr_i32 s5, s18, 31
	s_mov_b32 s4, s18
	s_add_nc_u64 s[2:3], s[16:17], s[2:3]
	s_lshl_b64 s[4:5], s[4:5], 2
	s_delay_alu instid0(SALU_CYCLE_1)
	s_add_nc_u64 s[2:3], s[2:3], s[4:5]
.LBB87_3:
	s_clause 0x1
	s_load_b64 s[4:5], s[0:1], 0x8
	s_load_b32 s13, s[0:1], 0x38
	v_lshlrev_b32_e32 v55, 3, v0
	s_wait_kmcnt 0x0
	s_ashr_i32 s1, s4, 31
	s_mov_b32 s0, s4
	v_add3_u32 v9, s5, s5, v0
	s_lshl_b64 s[0:1], s[0:1], 3
	s_delay_alu instid0(SALU_CYCLE_1)
	s_add_nc_u64 s[0:1], s[10:11], s[0:1]
	s_ashr_i32 s11, s5, 31
	v_add_co_u32 v1, s4, s0, v55
	s_wait_alu 0xf1ff
	v_add_co_ci_u32_e64 v2, null, s1, 0, s4
	s_mov_b32 s10, s5
	v_ashrrev_i32_e32 v10, 31, v9
	s_lshl_b64 s[10:11], s[10:11], 3
	flat_load_b64 v[5:6], v[1:2]
	v_add_co_u32 v3, vcc_lo, v1, s10
	s_delay_alu instid0(VALU_DEP_1) | instskip(SKIP_2) | instid1(VALU_DEP_1)
	v_add_co_ci_u32_e64 v4, null, s11, v2, vcc_lo
	v_add_nc_u32_e32 v12, s5, v9
	s_bitcmp0_b32 s13, 0
	v_ashrrev_i32_e32 v13, 31, v12
	s_wait_loadcnt_dscnt 0x0
	scratch_store_b64 off, v[5:6], off
	flat_load_b64 v[7:8], v[3:4]
	v_lshlrev_b64_e32 v[5:6], 3, v[9:10]
	s_delay_alu instid0(VALU_DEP_1) | instskip(SKIP_1) | instid1(VALU_DEP_2)
	v_add_co_u32 v5, vcc_lo, s0, v5
	s_wait_alu 0xfffd
	v_add_co_ci_u32_e64 v6, null, s1, v6, vcc_lo
	s_wait_loadcnt_dscnt 0x0
	scratch_store_b64 off, v[7:8], off offset:8
	flat_load_b64 v[10:11], v[5:6]
	v_lshlrev_b64_e32 v[7:8], 3, v[12:13]
	s_delay_alu instid0(VALU_DEP_1) | instskip(SKIP_1) | instid1(VALU_DEP_2)
	v_add_co_u32 v7, vcc_lo, s0, v7
	s_wait_alu 0xfffd
	v_add_co_ci_u32_e64 v8, null, s1, v8, vcc_lo
	s_wait_loadcnt_dscnt 0x0
	scratch_store_b64 off, v[10:11], off offset:16
	flat_load_b64 v[13:14], v[7:8]
	v_add_nc_u32_e32 v11, s5, v12
	s_delay_alu instid0(VALU_DEP_1) | instskip(SKIP_1) | instid1(VALU_DEP_2)
	v_ashrrev_i32_e32 v12, 31, v11
	v_add_nc_u32_e32 v15, s5, v11
	v_lshlrev_b64_e32 v[9:10], 3, v[11:12]
	s_delay_alu instid0(VALU_DEP_2) | instskip(SKIP_1) | instid1(VALU_DEP_3)
	v_ashrrev_i32_e32 v16, 31, v15
	v_add_nc_u32_e32 v18, s5, v15
	v_add_co_u32 v9, vcc_lo, s0, v9
	s_wait_alu 0xfffd
	s_delay_alu instid0(VALU_DEP_4) | instskip(SKIP_2) | instid1(VALU_DEP_2)
	v_add_co_ci_u32_e64 v10, null, s1, v10, vcc_lo
	v_lshlrev_b64_e32 v[11:12], 3, v[15:16]
	v_ashrrev_i32_e32 v19, 31, v18
	v_add_co_u32 v11, vcc_lo, s0, v11
	s_wait_alu 0xfffd
	s_delay_alu instid0(VALU_DEP_3)
	v_add_co_ci_u32_e64 v12, null, s1, v12, vcc_lo
	s_wait_loadcnt_dscnt 0x0
	scratch_store_b64 off, v[13:14], off offset:24
	flat_load_b64 v[13:14], v[9:10]
	s_wait_loadcnt_dscnt 0x0
	scratch_store_b64 off, v[13:14], off offset:32
	flat_load_b64 v[16:17], v[11:12]
	v_lshlrev_b64_e32 v[13:14], 3, v[18:19]
	s_delay_alu instid0(VALU_DEP_1) | instskip(SKIP_1) | instid1(VALU_DEP_2)
	v_add_co_u32 v13, vcc_lo, s0, v13
	s_wait_alu 0xfffd
	v_add_co_ci_u32_e64 v14, null, s1, v14, vcc_lo
	s_wait_loadcnt_dscnt 0x0
	scratch_store_b64 off, v[16:17], off offset:40
	flat_load_b64 v[19:20], v[13:14]
	v_add_nc_u32_e32 v17, s5, v18
	s_delay_alu instid0(VALU_DEP_1) | instskip(SKIP_1) | instid1(VALU_DEP_2)
	v_ashrrev_i32_e32 v18, 31, v17
	v_add_nc_u32_e32 v21, s5, v17
	v_lshlrev_b64_e32 v[15:16], 3, v[17:18]
	s_delay_alu instid0(VALU_DEP_2) | instskip(SKIP_1) | instid1(VALU_DEP_3)
	v_ashrrev_i32_e32 v22, 31, v21
	v_add_nc_u32_e32 v24, s5, v21
	v_add_co_u32 v15, vcc_lo, s0, v15
	s_wait_alu 0xfffd
	s_delay_alu instid0(VALU_DEP_4) | instskip(SKIP_2) | instid1(VALU_DEP_2)
	v_add_co_ci_u32_e64 v16, null, s1, v16, vcc_lo
	v_lshlrev_b64_e32 v[17:18], 3, v[21:22]
	v_ashrrev_i32_e32 v25, 31, v24
	v_add_co_u32 v17, vcc_lo, s0, v17
	s_wait_alu 0xfffd
	s_delay_alu instid0(VALU_DEP_3)
	v_add_co_ci_u32_e64 v18, null, s1, v18, vcc_lo
	s_wait_loadcnt_dscnt 0x0
	scratch_store_b64 off, v[19:20], off offset:48
	flat_load_b64 v[19:20], v[15:16]
	s_wait_loadcnt_dscnt 0x0
	scratch_store_b64 off, v[19:20], off offset:56
	flat_load_b64 v[22:23], v[17:18]
	v_lshlrev_b64_e32 v[19:20], 3, v[24:25]
	s_delay_alu instid0(VALU_DEP_1) | instskip(SKIP_1) | instid1(VALU_DEP_2)
	v_add_co_u32 v19, vcc_lo, s0, v19
	s_wait_alu 0xfffd
	v_add_co_ci_u32_e64 v20, null, s1, v20, vcc_lo
	s_wait_loadcnt_dscnt 0x0
	scratch_store_b64 off, v[22:23], off offset:64
	flat_load_b64 v[25:26], v[19:20]
	v_add_nc_u32_e32 v23, s5, v24
	s_delay_alu instid0(VALU_DEP_1) | instskip(SKIP_1) | instid1(VALU_DEP_2)
	v_ashrrev_i32_e32 v24, 31, v23
	v_add_nc_u32_e32 v27, s5, v23
	v_lshlrev_b64_e32 v[21:22], 3, v[23:24]
	s_delay_alu instid0(VALU_DEP_2) | instskip(SKIP_1) | instid1(VALU_DEP_3)
	v_ashrrev_i32_e32 v28, 31, v27
	v_add_nc_u32_e32 v30, s5, v27
	v_add_co_u32 v21, vcc_lo, s0, v21
	s_wait_alu 0xfffd
	s_delay_alu instid0(VALU_DEP_4) | instskip(SKIP_2) | instid1(VALU_DEP_2)
	v_add_co_ci_u32_e64 v22, null, s1, v22, vcc_lo
	v_lshlrev_b64_e32 v[23:24], 3, v[27:28]
	v_ashrrev_i32_e32 v31, 31, v30
	v_add_co_u32 v23, vcc_lo, s0, v23
	s_wait_alu 0xfffd
	s_delay_alu instid0(VALU_DEP_3)
	v_add_co_ci_u32_e64 v24, null, s1, v24, vcc_lo
	s_wait_loadcnt_dscnt 0x0
	scratch_store_b64 off, v[25:26], off offset:72
	flat_load_b64 v[25:26], v[21:22]
	s_wait_loadcnt_dscnt 0x0
	scratch_store_b64 off, v[25:26], off offset:80
	flat_load_b64 v[28:29], v[23:24]
	v_lshlrev_b64_e32 v[25:26], 3, v[30:31]
	s_delay_alu instid0(VALU_DEP_1) | instskip(SKIP_1) | instid1(VALU_DEP_2)
	v_add_co_u32 v25, vcc_lo, s0, v25
	s_wait_alu 0xfffd
	v_add_co_ci_u32_e64 v26, null, s1, v26, vcc_lo
	s_wait_loadcnt_dscnt 0x0
	scratch_store_b64 off, v[28:29], off offset:88
	flat_load_b64 v[31:32], v[25:26]
	v_add_nc_u32_e32 v29, s5, v30
	s_delay_alu instid0(VALU_DEP_1) | instskip(SKIP_1) | instid1(VALU_DEP_2)
	v_ashrrev_i32_e32 v30, 31, v29
	v_add_nc_u32_e32 v33, s5, v29
	v_lshlrev_b64_e32 v[27:28], 3, v[29:30]
	s_delay_alu instid0(VALU_DEP_2) | instskip(SKIP_1) | instid1(VALU_DEP_3)
	v_ashrrev_i32_e32 v34, 31, v33
	v_add_nc_u32_e32 v36, s5, v33
	v_add_co_u32 v27, vcc_lo, s0, v27
	s_wait_alu 0xfffd
	s_delay_alu instid0(VALU_DEP_4) | instskip(SKIP_2) | instid1(VALU_DEP_2)
	v_add_co_ci_u32_e64 v28, null, s1, v28, vcc_lo
	v_lshlrev_b64_e32 v[29:30], 3, v[33:34]
	v_ashrrev_i32_e32 v37, 31, v36
	v_add_co_u32 v29, vcc_lo, s0, v29
	s_wait_alu 0xfffd
	s_delay_alu instid0(VALU_DEP_3)
	v_add_co_ci_u32_e64 v30, null, s1, v30, vcc_lo
	s_wait_loadcnt_dscnt 0x0
	scratch_store_b64 off, v[31:32], off offset:96
	flat_load_b64 v[31:32], v[27:28]
	s_wait_loadcnt_dscnt 0x0
	scratch_store_b64 off, v[31:32], off offset:104
	flat_load_b64 v[34:35], v[29:30]
	v_lshlrev_b64_e32 v[31:32], 3, v[36:37]
	s_delay_alu instid0(VALU_DEP_1) | instskip(SKIP_1) | instid1(VALU_DEP_2)
	v_add_co_u32 v31, vcc_lo, s0, v31
	s_wait_alu 0xfffd
	v_add_co_ci_u32_e64 v32, null, s1, v32, vcc_lo
	s_wait_loadcnt_dscnt 0x0
	scratch_store_b64 off, v[34:35], off offset:112
	flat_load_b64 v[37:38], v[31:32]
	v_add_nc_u32_e32 v35, s5, v36
	s_delay_alu instid0(VALU_DEP_1) | instskip(SKIP_1) | instid1(VALU_DEP_2)
	v_ashrrev_i32_e32 v36, 31, v35
	v_add_nc_u32_e32 v39, s5, v35
	v_lshlrev_b64_e32 v[33:34], 3, v[35:36]
	s_delay_alu instid0(VALU_DEP_2) | instskip(SKIP_1) | instid1(VALU_DEP_3)
	v_ashrrev_i32_e32 v40, 31, v39
	v_add_nc_u32_e32 v42, s5, v39
	v_add_co_u32 v33, vcc_lo, s0, v33
	s_wait_alu 0xfffd
	s_delay_alu instid0(VALU_DEP_4) | instskip(SKIP_2) | instid1(VALU_DEP_2)
	v_add_co_ci_u32_e64 v34, null, s1, v34, vcc_lo
	v_lshlrev_b64_e32 v[35:36], 3, v[39:40]
	v_ashrrev_i32_e32 v43, 31, v42
	v_add_co_u32 v35, vcc_lo, s0, v35
	s_wait_alu 0xfffd
	s_delay_alu instid0(VALU_DEP_3)
	v_add_co_ci_u32_e64 v36, null, s1, v36, vcc_lo
	s_wait_loadcnt_dscnt 0x0
	scratch_store_b64 off, v[37:38], off offset:120
	flat_load_b64 v[37:38], v[33:34]
	s_wait_loadcnt_dscnt 0x0
	scratch_store_b64 off, v[37:38], off offset:128
	flat_load_b64 v[40:41], v[35:36]
	v_lshlrev_b64_e32 v[37:38], 3, v[42:43]
	s_delay_alu instid0(VALU_DEP_1) | instskip(SKIP_1) | instid1(VALU_DEP_2)
	v_add_co_u32 v37, vcc_lo, s0, v37
	s_wait_alu 0xfffd
	v_add_co_ci_u32_e64 v38, null, s1, v38, vcc_lo
	s_wait_loadcnt_dscnt 0x0
	scratch_store_b64 off, v[40:41], off offset:136
	flat_load_b64 v[43:44], v[37:38]
	v_add_nc_u32_e32 v41, s5, v42
	s_delay_alu instid0(VALU_DEP_1) | instskip(SKIP_1) | instid1(VALU_DEP_2)
	v_ashrrev_i32_e32 v42, 31, v41
	v_add_nc_u32_e32 v45, s5, v41
	v_lshlrev_b64_e32 v[39:40], 3, v[41:42]
	s_delay_alu instid0(VALU_DEP_2) | instskip(SKIP_1) | instid1(VALU_DEP_3)
	v_ashrrev_i32_e32 v46, 31, v45
	v_add_nc_u32_e32 v48, s5, v45
	v_add_co_u32 v39, vcc_lo, s0, v39
	s_wait_alu 0xfffd
	s_delay_alu instid0(VALU_DEP_4) | instskip(SKIP_2) | instid1(VALU_DEP_2)
	v_add_co_ci_u32_e64 v40, null, s1, v40, vcc_lo
	v_lshlrev_b64_e32 v[41:42], 3, v[45:46]
	v_ashrrev_i32_e32 v49, 31, v48
	v_add_co_u32 v41, vcc_lo, s0, v41
	s_wait_alu 0xfffd
	s_delay_alu instid0(VALU_DEP_3)
	v_add_co_ci_u32_e64 v42, null, s1, v42, vcc_lo
	s_wait_loadcnt_dscnt 0x0
	scratch_store_b64 off, v[43:44], off offset:144
	flat_load_b64 v[43:44], v[39:40]
	s_wait_loadcnt_dscnt 0x0
	scratch_store_b64 off, v[43:44], off offset:152
	flat_load_b64 v[46:47], v[41:42]
	v_lshlrev_b64_e32 v[43:44], 3, v[48:49]
	s_delay_alu instid0(VALU_DEP_1) | instskip(SKIP_1) | instid1(VALU_DEP_2)
	v_add_co_u32 v43, vcc_lo, s0, v43
	s_wait_alu 0xfffd
	v_add_co_ci_u32_e64 v44, null, s1, v44, vcc_lo
	s_wait_loadcnt_dscnt 0x0
	scratch_store_b64 off, v[46:47], off offset:160
	flat_load_b64 v[49:50], v[43:44]
	v_add_nc_u32_e32 v47, s5, v48
	s_delay_alu instid0(VALU_DEP_1) | instskip(NEXT) | instid1(VALU_DEP_1)
	v_ashrrev_i32_e32 v48, 31, v47
	v_lshlrev_b64_e32 v[45:46], 3, v[47:48]
	v_add_nc_u32_e32 v47, s5, v47
	s_delay_alu instid0(VALU_DEP_1) | instskip(NEXT) | instid1(VALU_DEP_3)
	v_ashrrev_i32_e32 v48, 31, v47
	v_add_co_u32 v45, vcc_lo, s0, v45
	s_wait_alu 0xfffd
	s_delay_alu instid0(VALU_DEP_4) | instskip(NEXT) | instid1(VALU_DEP_3)
	v_add_co_ci_u32_e64 v46, null, s1, v46, vcc_lo
	v_lshlrev_b64_e32 v[47:48], 3, v[47:48]
	s_delay_alu instid0(VALU_DEP_1) | instskip(SKIP_1) | instid1(VALU_DEP_2)
	v_add_co_u32 v47, vcc_lo, s0, v47
	s_wait_alu 0xfffd
	v_add_co_ci_u32_e64 v48, null, s1, v48, vcc_lo
	s_mov_b32 s1, -1
	s_wait_loadcnt_dscnt 0x0
	scratch_store_b64 off, v[49:50], off offset:168
	flat_load_b64 v[49:50], v[45:46]
	s_wait_loadcnt_dscnt 0x0
	scratch_store_b64 off, v[49:50], off offset:176
	flat_load_b64 v[49:50], v[47:48]
	s_wait_loadcnt_dscnt 0x0
	scratch_store_b64 off, v[49:50], off offset:184
	s_cbranch_scc1 .LBB87_108
; %bb.4:
	v_cmp_eq_u32_e64 s0, 0, v0
	s_and_saveexec_b32 s1, s0
; %bb.5:
	v_mov_b32_e32 v49, 0
	ds_store_b32 v49, v49 offset:384
; %bb.6:
	s_wait_alu 0xfffe
	s_or_b32 exec_lo, exec_lo, s1
	s_wait_storecnt_dscnt 0x0
	s_barrier_signal -1
	s_barrier_wait -1
	global_inv scope:SCOPE_SE
	scratch_load_b64 v[49:50], v55, off
	s_wait_loadcnt 0x0
	v_cmp_eq_f32_e32 vcc_lo, 0, v49
	v_cmp_eq_f32_e64 s1, 0, v50
	s_and_b32 s1, vcc_lo, s1
	s_wait_alu 0xfffe
	s_and_saveexec_b32 s4, s1
	s_cbranch_execz .LBB87_10
; %bb.7:
	v_mov_b32_e32 v49, 0
	s_mov_b32 s5, 0
	ds_load_b32 v50, v49 offset:384
	s_wait_dscnt 0x0
	v_readfirstlane_b32 s1, v50
	v_add_nc_u32_e32 v50, 1, v0
	s_cmp_eq_u32 s1, 0
	s_delay_alu instid0(VALU_DEP_1)
	v_cmp_gt_i32_e32 vcc_lo, s1, v50
	s_cselect_b32 s10, -1, 0
	s_wait_alu 0xfffe
	s_or_b32 s10, s10, vcc_lo
	s_wait_alu 0xfffe
	s_and_b32 exec_lo, exec_lo, s10
	s_cbranch_execz .LBB87_10
; %bb.8:
	v_mov_b32_e32 v51, s1
.LBB87_9:                               ; =>This Inner Loop Header: Depth=1
	ds_cmpstore_rtn_b32 v51, v49, v50, v51 offset:384
	s_wait_dscnt 0x0
	v_cmp_ne_u32_e32 vcc_lo, 0, v51
	v_cmp_le_i32_e64 s1, v51, v50
	s_and_b32 s1, vcc_lo, s1
	s_wait_alu 0xfffe
	s_and_b32 s1, exec_lo, s1
	s_wait_alu 0xfffe
	s_or_b32 s5, s1, s5
	s_wait_alu 0xfffe
	s_and_not1_b32 exec_lo, exec_lo, s5
	s_cbranch_execnz .LBB87_9
.LBB87_10:
	s_wait_alu 0xfffe
	s_or_b32 exec_lo, exec_lo, s4
	v_mov_b32_e32 v49, 0
	s_barrier_signal -1
	s_barrier_wait -1
	global_inv scope:SCOPE_SE
	ds_load_b32 v50, v49 offset:384
	s_and_saveexec_b32 s1, s0
	s_cbranch_execz .LBB87_12
; %bb.11:
	s_lshl_b64 s[4:5], s[8:9], 2
	s_wait_alu 0xfffe
	s_add_nc_u64 s[4:5], s[6:7], s[4:5]
	s_wait_dscnt 0x0
	global_store_b32 v49, v50, s[4:5]
.LBB87_12:
	s_wait_alu 0xfffe
	s_or_b32 exec_lo, exec_lo, s1
	s_wait_dscnt 0x0
	v_cmp_ne_u32_e32 vcc_lo, 0, v50
	s_mov_b32 s1, 0
	s_cbranch_vccnz .LBB87_108
; %bb.13:
	v_mov_b32_e32 v56, v55
                                        ; implicit-def: $vgpr51
                                        ; implicit-def: $vgpr53
	scratch_load_b64 v[49:50], v56, off
	s_wait_loadcnt 0x0
	v_cmp_ngt_f32_e64 s1, |v49|, |v50|
	s_wait_alu 0xfffe
	s_and_saveexec_b32 s4, s1
	s_wait_alu 0xfffe
	s_xor_b32 s1, exec_lo, s4
	s_cbranch_execz .LBB87_15
; %bb.14:
	v_div_scale_f32 v51, null, v50, v50, v49
	v_div_scale_f32 v54, vcc_lo, v49, v50, v49
	s_delay_alu instid0(VALU_DEP_2) | instskip(NEXT) | instid1(TRANS32_DEP_1)
	v_rcp_f32_e32 v52, v51
	v_fma_f32 v53, -v51, v52, 1.0
	s_delay_alu instid0(VALU_DEP_1) | instskip(NEXT) | instid1(VALU_DEP_1)
	v_fmac_f32_e32 v52, v53, v52
	v_mul_f32_e32 v53, v54, v52
	s_delay_alu instid0(VALU_DEP_1) | instskip(NEXT) | instid1(VALU_DEP_1)
	v_fma_f32 v57, -v51, v53, v54
	v_fmac_f32_e32 v53, v57, v52
	s_delay_alu instid0(VALU_DEP_1) | instskip(SKIP_1) | instid1(VALU_DEP_1)
	v_fma_f32 v51, -v51, v53, v54
	s_wait_alu 0xfffd
	v_div_fmas_f32 v51, v51, v52, v53
	s_delay_alu instid0(VALU_DEP_1) | instskip(NEXT) | instid1(VALU_DEP_1)
	v_div_fixup_f32 v51, v51, v50, v49
	v_fmac_f32_e32 v50, v49, v51
	s_delay_alu instid0(VALU_DEP_1) | instskip(NEXT) | instid1(VALU_DEP_1)
	v_div_scale_f32 v49, null, v50, v50, 1.0
	v_rcp_f32_e32 v52, v49
	s_delay_alu instid0(TRANS32_DEP_1) | instskip(NEXT) | instid1(VALU_DEP_1)
	v_fma_f32 v53, -v49, v52, 1.0
	v_fmac_f32_e32 v52, v53, v52
	v_div_scale_f32 v53, vcc_lo, 1.0, v50, 1.0
	s_delay_alu instid0(VALU_DEP_1) | instskip(NEXT) | instid1(VALU_DEP_1)
	v_mul_f32_e32 v54, v53, v52
	v_fma_f32 v57, -v49, v54, v53
	s_delay_alu instid0(VALU_DEP_1) | instskip(NEXT) | instid1(VALU_DEP_1)
	v_fmac_f32_e32 v54, v57, v52
	v_fma_f32 v49, -v49, v54, v53
	s_wait_alu 0xfffd
	s_delay_alu instid0(VALU_DEP_1) | instskip(NEXT) | instid1(VALU_DEP_1)
	v_div_fmas_f32 v49, v49, v52, v54
	v_div_fixup_f32 v49, v49, v50, 1.0
	s_delay_alu instid0(VALU_DEP_1) | instskip(SKIP_1) | instid1(VALU_DEP_2)
	v_mul_f32_e32 v51, v51, v49
	v_xor_b32_e32 v52, 0x80000000, v49
                                        ; implicit-def: $vgpr49_vgpr50
	v_xor_b32_e32 v53, 0x80000000, v51
.LBB87_15:
	s_wait_alu 0xfffe
	s_and_not1_saveexec_b32 s1, s1
	s_cbranch_execz .LBB87_17
; %bb.16:
	v_div_scale_f32 v51, null, v49, v49, v50
	v_div_scale_f32 v54, vcc_lo, v50, v49, v50
	s_delay_alu instid0(VALU_DEP_2) | instskip(NEXT) | instid1(TRANS32_DEP_1)
	v_rcp_f32_e32 v52, v51
	v_fma_f32 v53, -v51, v52, 1.0
	s_delay_alu instid0(VALU_DEP_1) | instskip(NEXT) | instid1(VALU_DEP_1)
	v_fmac_f32_e32 v52, v53, v52
	v_mul_f32_e32 v53, v54, v52
	s_delay_alu instid0(VALU_DEP_1) | instskip(NEXT) | instid1(VALU_DEP_1)
	v_fma_f32 v57, -v51, v53, v54
	v_fmac_f32_e32 v53, v57, v52
	s_delay_alu instid0(VALU_DEP_1) | instskip(SKIP_1) | instid1(VALU_DEP_1)
	v_fma_f32 v51, -v51, v53, v54
	s_wait_alu 0xfffd
	v_div_fmas_f32 v51, v51, v52, v53
	s_delay_alu instid0(VALU_DEP_1) | instskip(NEXT) | instid1(VALU_DEP_1)
	v_div_fixup_f32 v52, v51, v49, v50
	v_fmac_f32_e32 v49, v50, v52
	s_delay_alu instid0(VALU_DEP_1) | instskip(SKIP_1) | instid1(VALU_DEP_2)
	v_div_scale_f32 v50, null, v49, v49, 1.0
	v_div_scale_f32 v54, vcc_lo, 1.0, v49, 1.0
	v_rcp_f32_e32 v51, v50
	s_delay_alu instid0(TRANS32_DEP_1) | instskip(NEXT) | instid1(VALU_DEP_1)
	v_fma_f32 v53, -v50, v51, 1.0
	v_fmac_f32_e32 v51, v53, v51
	s_delay_alu instid0(VALU_DEP_1) | instskip(NEXT) | instid1(VALU_DEP_1)
	v_mul_f32_e32 v53, v54, v51
	v_fma_f32 v57, -v50, v53, v54
	s_delay_alu instid0(VALU_DEP_1) | instskip(NEXT) | instid1(VALU_DEP_1)
	v_fmac_f32_e32 v53, v57, v51
	v_fma_f32 v50, -v50, v53, v54
	s_wait_alu 0xfffd
	s_delay_alu instid0(VALU_DEP_1) | instskip(NEXT) | instid1(VALU_DEP_1)
	v_div_fmas_f32 v50, v50, v51, v53
	v_div_fixup_f32 v51, v50, v49, 1.0
	s_delay_alu instid0(VALU_DEP_1)
	v_xor_b32_e32 v53, 0x80000000, v51
	v_mul_f32_e64 v52, v52, -v51
.LBB87_17:
	s_wait_alu 0xfffe
	s_or_b32 exec_lo, exec_lo, s1
	scratch_store_b64 v56, v[51:52], off
	scratch_load_b64 v[50:51], off, off offset:8
	v_xor_b32_e32 v54, 0x80000000, v52
	v_add_nc_u32_e32 v49, 0xc0, v55
	s_wait_loadcnt 0x0
	ds_store_2addr_b64 v55, v[53:54], v[50:51] offset1:24
	s_wait_storecnt_dscnt 0x0
	s_barrier_signal -1
	s_barrier_wait -1
	global_inv scope:SCOPE_SE
	s_and_saveexec_b32 s1, s0
	s_cbranch_execz .LBB87_19
; %bb.18:
	scratch_load_b64 v[50:51], v56, off
	ds_load_b64 v[52:53], v49
	v_mov_b32_e32 v54, 0
	ds_load_b64 v[57:58], v54 offset:8
	s_wait_loadcnt_dscnt 0x1
	v_mul_f32_e32 v54, v52, v51
	v_mul_f32_e32 v51, v53, v51
	s_delay_alu instid0(VALU_DEP_2) | instskip(NEXT) | instid1(VALU_DEP_2)
	v_fmac_f32_e32 v54, v53, v50
	v_fma_f32 v50, v52, v50, -v51
	s_delay_alu instid0(VALU_DEP_2) | instskip(NEXT) | instid1(VALU_DEP_2)
	v_add_f32_e32 v52, 0, v54
	v_add_f32_e32 v50, 0, v50
	s_wait_dscnt 0x0
	s_delay_alu instid0(VALU_DEP_2) | instskip(NEXT) | instid1(VALU_DEP_2)
	v_mul_f32_e32 v53, v52, v58
	v_mul_f32_e32 v51, v50, v58
	s_delay_alu instid0(VALU_DEP_2) | instskip(NEXT) | instid1(VALU_DEP_2)
	v_fma_f32 v50, v50, v57, -v53
	v_fmac_f32_e32 v51, v52, v57
	scratch_store_b64 off, v[50:51], off offset:8
.LBB87_19:
	s_wait_alu 0xfffe
	s_or_b32 exec_lo, exec_lo, s1
	s_wait_loadcnt 0x0
	s_wait_storecnt 0x0
	s_barrier_signal -1
	s_barrier_wait -1
	global_inv scope:SCOPE_SE
	scratch_load_b64 v[50:51], off, off offset:16
	s_mov_b32 s1, exec_lo
	s_wait_loadcnt 0x0
	ds_store_b64 v49, v[50:51]
	s_wait_dscnt 0x0
	s_barrier_signal -1
	s_barrier_wait -1
	global_inv scope:SCOPE_SE
	v_cmpx_gt_u32_e32 2, v0
	s_cbranch_execz .LBB87_23
; %bb.20:
	scratch_load_b64 v[50:51], v56, off
	ds_load_b64 v[52:53], v49
	s_wait_loadcnt_dscnt 0x0
	v_mul_f32_e32 v54, v53, v51
	v_mul_f32_e32 v57, v52, v51
	s_delay_alu instid0(VALU_DEP_2) | instskip(NEXT) | instid1(VALU_DEP_2)
	v_fma_f32 v51, v52, v50, -v54
	v_fmac_f32_e32 v57, v53, v50
	s_delay_alu instid0(VALU_DEP_1)
	v_dual_add_f32 v51, 0, v51 :: v_dual_add_f32 v50, 0, v57
	s_and_saveexec_b32 s4, s0
	s_cbranch_execz .LBB87_22
; %bb.21:
	scratch_load_b64 v[52:53], off, off offset:8
	v_mov_b32_e32 v54, 0
	ds_load_b64 v[57:58], v54 offset:200
	s_wait_loadcnt_dscnt 0x0
	v_mul_f32_e32 v54, v57, v53
	v_mul_f32_e32 v53, v58, v53
	s_delay_alu instid0(VALU_DEP_2) | instskip(NEXT) | instid1(VALU_DEP_2)
	v_fmac_f32_e32 v54, v58, v52
	v_fma_f32 v52, v57, v52, -v53
	s_delay_alu instid0(VALU_DEP_1)
	v_dual_add_f32 v50, v50, v54 :: v_dual_add_f32 v51, v51, v52
.LBB87_22:
	s_wait_alu 0xfffe
	s_or_b32 exec_lo, exec_lo, s4
	v_mov_b32_e32 v52, 0
	ds_load_b64 v[52:53], v52 offset:16
	s_wait_dscnt 0x0
	v_mul_f32_e32 v57, v50, v53
	v_mul_f32_e32 v54, v51, v53
	s_delay_alu instid0(VALU_DEP_2) | instskip(NEXT) | instid1(VALU_DEP_2)
	v_fma_f32 v53, v51, v52, -v57
	v_fmac_f32_e32 v54, v50, v52
	scratch_store_b64 off, v[53:54], off offset:16
.LBB87_23:
	s_wait_alu 0xfffe
	s_or_b32 exec_lo, exec_lo, s1
	s_wait_loadcnt 0x0
	s_wait_storecnt 0x0
	s_barrier_signal -1
	s_barrier_wait -1
	global_inv scope:SCOPE_SE
	scratch_load_b64 v[51:52], off, off offset:24
	v_add_nc_u32_e32 v50, -1, v0
	s_mov_b32 s0, exec_lo
	s_wait_loadcnt 0x0
	ds_store_b64 v49, v[51:52]
	s_wait_dscnt 0x0
	s_barrier_signal -1
	s_barrier_wait -1
	global_inv scope:SCOPE_SE
	v_cmpx_gt_u32_e32 3, v0
	s_cbranch_execz .LBB87_27
; %bb.24:
	v_dual_mov_b32 v51, 0 :: v_dual_add_nc_u32 v52, -1, v0
	v_dual_mov_b32 v54, v55 :: v_dual_add_nc_u32 v53, 0xc0, v55
	v_mov_b32_e32 v57, 0
	s_mov_b32 s1, 0
.LBB87_25:                              ; =>This Inner Loop Header: Depth=1
	scratch_load_b64 v[58:59], v54, off
	ds_load_b64 v[60:61], v53
	v_add_nc_u32_e32 v52, 1, v52
	v_add_nc_u32_e32 v53, 8, v53
	s_delay_alu instid0(VALU_DEP_2)
	v_cmp_lt_u32_e32 vcc_lo, 1, v52
	s_wait_alu 0xfffe
	s_or_b32 s1, vcc_lo, s1
	s_wait_loadcnt_dscnt 0x0
	v_mul_f32_e32 v62, v61, v59
	v_mul_f32_e32 v59, v60, v59
	s_delay_alu instid0(VALU_DEP_2) | instskip(NEXT) | instid1(VALU_DEP_2)
	v_fma_f32 v60, v60, v58, -v62
	v_fmac_f32_e32 v59, v61, v58
	s_delay_alu instid0(VALU_DEP_2) | instskip(NEXT) | instid1(VALU_DEP_2)
	v_dual_add_f32 v57, v57, v60 :: v_dual_add_nc_u32 v54, 8, v54
	v_add_f32_e32 v51, v51, v59
	s_wait_alu 0xfffe
	s_and_not1_b32 exec_lo, exec_lo, s1
	s_cbranch_execnz .LBB87_25
; %bb.26:
	s_or_b32 exec_lo, exec_lo, s1
	v_mov_b32_e32 v52, 0
	ds_load_b64 v[52:53], v52 offset:24
	s_wait_dscnt 0x0
	v_mul_f32_e32 v58, v51, v53
	v_mul_f32_e32 v54, v57, v53
	s_delay_alu instid0(VALU_DEP_2) | instskip(NEXT) | instid1(VALU_DEP_2)
	v_fma_f32 v53, v57, v52, -v58
	v_fmac_f32_e32 v54, v51, v52
	scratch_store_b64 off, v[53:54], off offset:24
.LBB87_27:
	s_wait_alu 0xfffe
	s_or_b32 exec_lo, exec_lo, s0
	s_wait_loadcnt 0x0
	s_wait_storecnt 0x0
	s_barrier_signal -1
	s_barrier_wait -1
	global_inv scope:SCOPE_SE
	scratch_load_b64 v[51:52], off, off offset:32
	s_mov_b32 s0, exec_lo
	s_wait_loadcnt 0x0
	ds_store_b64 v49, v[51:52]
	s_wait_dscnt 0x0
	s_barrier_signal -1
	s_barrier_wait -1
	global_inv scope:SCOPE_SE
	v_cmpx_gt_u32_e32 4, v0
	s_cbranch_execz .LBB87_31
; %bb.28:
	v_dual_mov_b32 v51, 0 :: v_dual_add_nc_u32 v52, -1, v0
	v_dual_mov_b32 v54, v55 :: v_dual_add_nc_u32 v53, 0xc0, v55
	v_mov_b32_e32 v57, 0
	s_mov_b32 s1, 0
.LBB87_29:                              ; =>This Inner Loop Header: Depth=1
	scratch_load_b64 v[58:59], v54, off
	ds_load_b64 v[60:61], v53
	v_add_nc_u32_e32 v52, 1, v52
	v_add_nc_u32_e32 v53, 8, v53
	s_delay_alu instid0(VALU_DEP_2)
	v_cmp_lt_u32_e32 vcc_lo, 2, v52
	s_wait_alu 0xfffe
	s_or_b32 s1, vcc_lo, s1
	s_wait_loadcnt_dscnt 0x0
	v_mul_f32_e32 v62, v61, v59
	v_mul_f32_e32 v59, v60, v59
	s_delay_alu instid0(VALU_DEP_2) | instskip(NEXT) | instid1(VALU_DEP_2)
	v_fma_f32 v60, v60, v58, -v62
	v_fmac_f32_e32 v59, v61, v58
	s_delay_alu instid0(VALU_DEP_2) | instskip(NEXT) | instid1(VALU_DEP_2)
	v_dual_add_f32 v57, v57, v60 :: v_dual_add_nc_u32 v54, 8, v54
	v_add_f32_e32 v51, v51, v59
	s_wait_alu 0xfffe
	s_and_not1_b32 exec_lo, exec_lo, s1
	s_cbranch_execnz .LBB87_29
; %bb.30:
	s_or_b32 exec_lo, exec_lo, s1
	v_mov_b32_e32 v52, 0
	ds_load_b64 v[52:53], v52 offset:32
	s_wait_dscnt 0x0
	v_mul_f32_e32 v58, v51, v53
	v_mul_f32_e32 v54, v57, v53
	s_delay_alu instid0(VALU_DEP_2) | instskip(NEXT) | instid1(VALU_DEP_2)
	v_fma_f32 v53, v57, v52, -v58
	v_fmac_f32_e32 v54, v51, v52
	scratch_store_b64 off, v[53:54], off offset:32
.LBB87_31:
	s_wait_alu 0xfffe
	s_or_b32 exec_lo, exec_lo, s0
	s_wait_loadcnt 0x0
	s_wait_storecnt 0x0
	s_barrier_signal -1
	s_barrier_wait -1
	global_inv scope:SCOPE_SE
	scratch_load_b64 v[51:52], off, off offset:40
	;; [unrolled: 55-line block ×19, first 2 shown]
	s_mov_b32 s0, exec_lo
	s_wait_loadcnt 0x0
	ds_store_b64 v49, v[51:52]
	s_wait_dscnt 0x0
	s_barrier_signal -1
	s_barrier_wait -1
	global_inv scope:SCOPE_SE
	v_cmpx_gt_u32_e32 22, v0
	s_cbranch_execz .LBB87_103
; %bb.100:
	v_dual_mov_b32 v51, 0 :: v_dual_add_nc_u32 v52, -1, v0
	v_dual_mov_b32 v54, v55 :: v_dual_add_nc_u32 v53, 0xc0, v55
	v_mov_b32_e32 v55, 0
	s_mov_b32 s1, 0
.LBB87_101:                             ; =>This Inner Loop Header: Depth=1
	scratch_load_b64 v[57:58], v54, off
	ds_load_b64 v[59:60], v53
	v_add_nc_u32_e32 v54, 8, v54
	v_add_nc_u32_e32 v52, 1, v52
	;; [unrolled: 1-line block ×3, first 2 shown]
	s_delay_alu instid0(VALU_DEP_2)
	v_cmp_lt_u32_e32 vcc_lo, 20, v52
	s_wait_alu 0xfffe
	s_or_b32 s1, vcc_lo, s1
	s_wait_loadcnt_dscnt 0x0
	v_mul_f32_e32 v61, v60, v58
	v_mul_f32_e32 v58, v59, v58
	s_delay_alu instid0(VALU_DEP_2) | instskip(NEXT) | instid1(VALU_DEP_1)
	v_fma_f32 v59, v59, v57, -v61
	v_dual_fmac_f32 v58, v60, v57 :: v_dual_add_f32 v55, v55, v59
	s_delay_alu instid0(VALU_DEP_1)
	v_add_f32_e32 v51, v51, v58
	s_wait_alu 0xfffe
	s_and_not1_b32 exec_lo, exec_lo, s1
	s_cbranch_execnz .LBB87_101
; %bb.102:
	s_or_b32 exec_lo, exec_lo, s1
	v_mov_b32_e32 v52, 0
	ds_load_b64 v[52:53], v52 offset:176
	s_wait_dscnt 0x0
	v_mul_f32_e32 v57, v51, v53
	v_mul_f32_e32 v54, v55, v53
	s_delay_alu instid0(VALU_DEP_2) | instskip(NEXT) | instid1(VALU_DEP_2)
	v_fma_f32 v53, v55, v52, -v57
	v_fmac_f32_e32 v54, v51, v52
	scratch_store_b64 off, v[53:54], off offset:176
.LBB87_103:
	s_wait_alu 0xfffe
	s_or_b32 exec_lo, exec_lo, s0
	s_wait_loadcnt 0x0
	s_wait_storecnt 0x0
	s_barrier_signal -1
	s_barrier_wait -1
	global_inv scope:SCOPE_SE
	scratch_load_b64 v[51:52], off, off offset:184
	s_mov_b32 s0, exec_lo
	s_wait_loadcnt 0x0
	ds_store_b64 v49, v[51:52]
	s_wait_dscnt 0x0
	s_barrier_signal -1
	s_barrier_wait -1
	global_inv scope:SCOPE_SE
	v_cmpx_ne_u32_e32 23, v0
	s_cbranch_execz .LBB87_107
; %bb.104:
	v_dual_mov_b32 v51, 0 :: v_dual_mov_b32 v52, 0
	s_mov_b32 s1, 0
.LBB87_105:                             ; =>This Inner Loop Header: Depth=1
	scratch_load_b64 v[53:54], v56, off
	ds_load_b64 v[57:58], v49
	v_add_nc_u32_e32 v50, 1, v50
	v_add_nc_u32_e32 v49, 8, v49
	;; [unrolled: 1-line block ×3, first 2 shown]
	s_delay_alu instid0(VALU_DEP_3)
	v_cmp_lt_u32_e32 vcc_lo, 21, v50
	s_wait_alu 0xfffe
	s_or_b32 s1, vcc_lo, s1
	s_wait_loadcnt_dscnt 0x0
	v_mul_f32_e32 v55, v58, v54
	v_mul_f32_e32 v54, v57, v54
	s_delay_alu instid0(VALU_DEP_2) | instskip(NEXT) | instid1(VALU_DEP_2)
	v_fma_f32 v55, v57, v53, -v55
	v_fmac_f32_e32 v54, v58, v53
	s_delay_alu instid0(VALU_DEP_1)
	v_dual_add_f32 v52, v52, v55 :: v_dual_add_f32 v51, v51, v54
	s_wait_alu 0xfffe
	s_and_not1_b32 exec_lo, exec_lo, s1
	s_cbranch_execnz .LBB87_105
; %bb.106:
	s_or_b32 exec_lo, exec_lo, s1
	v_mov_b32_e32 v49, 0
	ds_load_b64 v[49:50], v49 offset:184
	s_wait_dscnt 0x0
	v_mul_f32_e32 v54, v51, v50
	v_mul_f32_e32 v53, v52, v50
	s_delay_alu instid0(VALU_DEP_2) | instskip(NEXT) | instid1(VALU_DEP_2)
	v_fma_f32 v52, v52, v49, -v54
	v_fmac_f32_e32 v53, v51, v49
	scratch_store_b64 off, v[52:53], off offset:184
.LBB87_107:
	s_wait_alu 0xfffe
	s_or_b32 exec_lo, exec_lo, s0
	s_mov_b32 s1, -1
	s_wait_loadcnt 0x0
	s_wait_storecnt 0x0
	s_barrier_signal -1
	s_barrier_wait -1
	global_inv scope:SCOPE_SE
.LBB87_108:
	s_wait_alu 0xfffe
	s_and_b32 vcc_lo, exec_lo, s1
	s_wait_alu 0xfffe
	s_cbranch_vccz .LBB87_110
; %bb.109:
	v_mov_b32_e32 v49, 0
	s_lshl_b64 s[0:1], s[8:9], 2
	s_wait_alu 0xfffe
	s_add_nc_u64 s[0:1], s[6:7], s[0:1]
	global_load_b32 v49, v49, s[0:1]
	s_wait_loadcnt 0x0
	v_cmp_ne_u32_e32 vcc_lo, 0, v49
	s_cbranch_vccz .LBB87_111
.LBB87_110:
	s_nop 0
	s_sendmsg sendmsg(MSG_DEALLOC_VGPRS)
	s_endpgm
.LBB87_111:
	v_lshl_add_u32 v51, v0, 3, 0xc0
	s_mov_b32 s0, exec_lo
	v_cmpx_eq_u32_e32 23, v0
	s_cbranch_execz .LBB87_113
; %bb.112:
	scratch_load_b64 v[49:50], off, off offset:176
	v_mov_b32_e32 v52, 0
	s_delay_alu instid0(VALU_DEP_1)
	v_mov_b32_e32 v53, v52
	scratch_store_b64 off, v[52:53], off offset:176
	s_wait_loadcnt 0x0
	ds_store_b64 v51, v[49:50]
.LBB87_113:
	s_wait_alu 0xfffe
	s_or_b32 exec_lo, exec_lo, s0
	s_wait_storecnt_dscnt 0x0
	s_barrier_signal -1
	s_barrier_wait -1
	global_inv scope:SCOPE_SE
	s_clause 0x1
	scratch_load_b64 v[52:53], off, off offset:184
	scratch_load_b64 v[54:55], off, off offset:176
	v_mov_b32_e32 v49, 0
	s_mov_b32 s0, exec_lo
	ds_load_b64 v[56:57], v49 offset:376
	s_wait_loadcnt_dscnt 0x100
	v_mul_f32_e32 v50, v57, v53
	s_delay_alu instid0(VALU_DEP_1) | instskip(NEXT) | instid1(VALU_DEP_1)
	v_fma_f32 v50, v56, v52, -v50
	v_dual_mul_f32 v53, v56, v53 :: v_dual_add_f32 v50, 0, v50
	s_wait_loadcnt 0x0
	s_delay_alu instid0(VALU_DEP_1) | instskip(NEXT) | instid1(VALU_DEP_1)
	v_dual_fmac_f32 v53, v57, v52 :: v_dual_sub_f32 v52, v54, v50
	v_add_f32_e32 v53, 0, v53
	s_delay_alu instid0(VALU_DEP_1)
	v_sub_f32_e32 v53, v55, v53
	scratch_store_b64 off, v[52:53], off offset:176
	v_cmpx_lt_u32_e32 21, v0
	s_cbranch_execz .LBB87_115
; %bb.114:
	scratch_load_b64 v[52:53], off, off offset:168
	v_mov_b32_e32 v50, v49
	scratch_store_b64 off, v[49:50], off offset:168
	s_wait_loadcnt 0x0
	ds_store_b64 v51, v[52:53]
.LBB87_115:
	s_wait_alu 0xfffe
	s_or_b32 exec_lo, exec_lo, s0
	s_wait_storecnt_dscnt 0x0
	s_barrier_signal -1
	s_barrier_wait -1
	global_inv scope:SCOPE_SE
	s_clause 0x1
	scratch_load_b128 v[52:55], off, off offset:176
	scratch_load_b64 v[60:61], off, off offset:168
	ds_load_b128 v[56:59], v49 offset:368
	s_mov_b32 s0, exec_lo
	s_wait_loadcnt_dscnt 0x100
	v_mul_f32_e32 v50, v56, v53
	s_delay_alu instid0(VALU_DEP_1) | instskip(SKIP_2) | instid1(VALU_DEP_1)
	v_fmac_f32_e32 v50, v57, v52
	v_mul_f32_e32 v49, v57, v53
	v_mul_f32_e32 v53, v58, v55
	v_fmac_f32_e32 v53, v59, v54
	s_delay_alu instid0(VALU_DEP_4) | instskip(NEXT) | instid1(VALU_DEP_4)
	v_dual_add_f32 v50, 0, v50 :: v_dual_mul_f32 v55, v59, v55
	v_fma_f32 v49, v56, v52, -v49
	s_delay_alu instid0(VALU_DEP_2) | instskip(NEXT) | instid1(VALU_DEP_3)
	v_add_f32_e32 v50, v50, v53
	v_fma_f32 v52, v58, v54, -v55
	s_wait_loadcnt 0x0
	s_delay_alu instid0(VALU_DEP_2) | instskip(NEXT) | instid1(VALU_DEP_1)
	v_dual_add_f32 v49, 0, v49 :: v_dual_sub_f32 v50, v61, v50
	v_add_f32_e32 v49, v49, v52
	s_delay_alu instid0(VALU_DEP_1)
	v_sub_f32_e32 v49, v60, v49
	scratch_store_b64 off, v[49:50], off offset:168
	v_cmpx_lt_u32_e32 20, v0
	s_cbranch_execz .LBB87_117
; %bb.116:
	scratch_load_b64 v[49:50], off, off offset:160
	v_mov_b32_e32 v52, 0
	s_delay_alu instid0(VALU_DEP_1)
	v_mov_b32_e32 v53, v52
	scratch_store_b64 off, v[52:53], off offset:160
	s_wait_loadcnt 0x0
	ds_store_b64 v51, v[49:50]
.LBB87_117:
	s_wait_alu 0xfffe
	s_or_b32 exec_lo, exec_lo, s0
	s_wait_storecnt_dscnt 0x0
	s_barrier_signal -1
	s_barrier_wait -1
	global_inv scope:SCOPE_SE
	s_clause 0x2
	scratch_load_b128 v[52:55], off, off offset:168
	scratch_load_b64 v[60:61], off, off offset:184
	scratch_load_b64 v[62:63], off, off offset:160
	v_mov_b32_e32 v49, 0
	ds_load_2addr_b64 v[56:59], v49 offset0:45 offset1:46
	ds_load_b64 v[64:65], v49 offset:376
	s_mov_b32 s0, exec_lo
	s_wait_loadcnt_dscnt 0x201
	v_mul_f32_e32 v50, v57, v53
	v_dual_mul_f32 v53, v56, v53 :: v_dual_mul_f32 v66, v58, v55
	v_mul_f32_e32 v55, v59, v55
	s_wait_loadcnt_dscnt 0x100
	v_mul_f32_e32 v67, v64, v61
	v_fma_f32 v50, v56, v52, -v50
	v_fmac_f32_e32 v53, v57, v52
	v_mul_f32_e32 v52, v65, v61
	v_fmac_f32_e32 v66, v59, v54
	v_fma_f32 v54, v58, v54, -v55
	s_delay_alu instid0(VALU_DEP_4) | instskip(NEXT) | instid1(VALU_DEP_4)
	v_dual_add_f32 v50, 0, v50 :: v_dual_add_f32 v53, 0, v53
	v_fma_f32 v52, v64, v60, -v52
	s_delay_alu instid0(VALU_DEP_2) | instskip(NEXT) | instid1(VALU_DEP_1)
	v_add_f32_e32 v50, v50, v54
	v_dual_add_f32 v53, v53, v66 :: v_dual_add_f32 v50, v50, v52
	s_wait_loadcnt 0x0
	s_delay_alu instid0(VALU_DEP_1) | instskip(NEXT) | instid1(VALU_DEP_1)
	v_dual_fmac_f32 v67, v65, v60 :: v_dual_sub_f32 v52, v62, v50
	v_add_f32_e32 v53, v53, v67
	s_delay_alu instid0(VALU_DEP_1)
	v_sub_f32_e32 v53, v63, v53
	scratch_store_b64 off, v[52:53], off offset:160
	v_cmpx_lt_u32_e32 19, v0
	s_cbranch_execz .LBB87_119
; %bb.118:
	scratch_load_b64 v[52:53], off, off offset:152
	v_mov_b32_e32 v50, v49
	scratch_store_b64 off, v[49:50], off offset:152
	s_wait_loadcnt 0x0
	ds_store_b64 v51, v[52:53]
.LBB87_119:
	s_wait_alu 0xfffe
	s_or_b32 exec_lo, exec_lo, s0
	s_wait_storecnt_dscnt 0x0
	s_barrier_signal -1
	s_barrier_wait -1
	global_inv scope:SCOPE_SE
	s_clause 0x2
	scratch_load_b128 v[52:55], off, off offset:160
	scratch_load_b128 v[56:59], off, off offset:176
	scratch_load_b64 v[68:69], off, off offset:152
	ds_load_b128 v[60:63], v49 offset:352
	ds_load_b128 v[64:67], v49 offset:368
	s_mov_b32 s0, exec_lo
	s_wait_loadcnt_dscnt 0x201
	v_mul_f32_e32 v50, v61, v53
	s_wait_loadcnt_dscnt 0x100
	v_dual_mul_f32 v70, v64, v57 :: v_dual_mul_f32 v71, v66, v59
	s_delay_alu instid0(VALU_DEP_2) | instskip(SKIP_2) | instid1(VALU_DEP_4)
	v_fma_f32 v50, v60, v52, -v50
	v_mul_f32_e32 v49, v60, v53
	v_mul_f32_e32 v53, v62, v55
	v_dual_mul_f32 v55, v63, v55 :: v_dual_fmac_f32 v70, v65, v56
	s_delay_alu instid0(VALU_DEP_3) | instskip(NEXT) | instid1(VALU_DEP_3)
	v_dual_add_f32 v50, 0, v50 :: v_dual_fmac_f32 v49, v61, v52
	v_dual_mul_f32 v52, v65, v57 :: v_dual_fmac_f32 v53, v63, v54
	s_delay_alu instid0(VALU_DEP_3) | instskip(SKIP_1) | instid1(VALU_DEP_3)
	v_fma_f32 v54, v62, v54, -v55
	v_fmac_f32_e32 v71, v67, v58
	v_fma_f32 v52, v64, v56, -v52
	s_delay_alu instid0(VALU_DEP_3) | instskip(NEXT) | instid1(VALU_DEP_1)
	v_dual_add_f32 v50, v50, v54 :: v_dual_add_f32 v49, 0, v49
	v_dual_add_f32 v50, v50, v52 :: v_dual_mul_f32 v55, v67, v59
	s_delay_alu instid0(VALU_DEP_2) | instskip(NEXT) | instid1(VALU_DEP_2)
	v_add_f32_e32 v49, v49, v53
	v_fma_f32 v53, v66, v58, -v55
	s_delay_alu instid0(VALU_DEP_1) | instskip(SKIP_1) | instid1(VALU_DEP_1)
	v_dual_add_f32 v49, v49, v70 :: v_dual_add_f32 v50, v50, v53
	s_wait_loadcnt 0x0
	v_dual_add_f32 v52, v49, v71 :: v_dual_sub_f32 v49, v68, v50
	s_delay_alu instid0(VALU_DEP_1)
	v_sub_f32_e32 v50, v69, v52
	scratch_store_b64 off, v[49:50], off offset:152
	v_cmpx_lt_u32_e32 18, v0
	s_cbranch_execz .LBB87_121
; %bb.120:
	scratch_load_b64 v[49:50], off, off offset:144
	v_mov_b32_e32 v52, 0
	s_delay_alu instid0(VALU_DEP_1)
	v_mov_b32_e32 v53, v52
	scratch_store_b64 off, v[52:53], off offset:144
	s_wait_loadcnt 0x0
	ds_store_b64 v51, v[49:50]
.LBB87_121:
	s_wait_alu 0xfffe
	s_or_b32 exec_lo, exec_lo, s0
	s_wait_storecnt_dscnt 0x0
	s_barrier_signal -1
	s_barrier_wait -1
	global_inv scope:SCOPE_SE
	s_clause 0x3
	scratch_load_b128 v[52:55], off, off offset:152
	scratch_load_b128 v[56:59], off, off offset:168
	scratch_load_b64 v[68:69], off, off offset:184
	scratch_load_b64 v[70:71], off, off offset:144
	v_mov_b32_e32 v49, 0
	ds_load_2addr_b64 v[60:63], v49 offset0:43 offset1:44
	ds_load_2addr_b64 v[64:67], v49 offset0:45 offset1:46
	ds_load_b64 v[72:73], v49 offset:376
	s_mov_b32 s0, exec_lo
	s_wait_loadcnt_dscnt 0x302
	v_mul_f32_e32 v50, v60, v53
	v_dual_mul_f32 v74, v62, v55 :: v_dual_mul_f32 v53, v61, v53
	s_wait_loadcnt_dscnt 0x100
	v_mul_f32_e32 v77, v72, v69
	v_dual_mul_f32 v75, v64, v57 :: v_dual_mul_f32 v76, v66, v59
	v_dual_fmac_f32 v50, v61, v52 :: v_dual_mul_f32 v55, v63, v55
	v_fma_f32 v53, v60, v52, -v53
	v_fmac_f32_e32 v74, v63, v54
	v_mul_f32_e32 v52, v65, v57
	s_delay_alu instid0(VALU_DEP_4) | instskip(SKIP_3) | instid1(VALU_DEP_4)
	v_add_f32_e32 v50, 0, v50
	v_fma_f32 v54, v62, v54, -v55
	v_add_f32_e32 v53, 0, v53
	v_mul_f32_e32 v55, v67, v59
	v_dual_fmac_f32 v75, v65, v56 :: v_dual_add_f32 v50, v50, v74
	v_dual_fmac_f32 v76, v67, v58 :: v_dual_fmac_f32 v77, v73, v68
	s_delay_alu instid0(VALU_DEP_4) | instskip(SKIP_1) | instid1(VALU_DEP_4)
	v_add_f32_e32 v53, v53, v54
	v_fma_f32 v52, v64, v56, -v52
	v_add_f32_e32 v50, v50, v75
	v_fma_f32 v55, v66, v58, -v55
	s_delay_alu instid0(VALU_DEP_3) | instskip(NEXT) | instid1(VALU_DEP_3)
	v_add_f32_e32 v52, v53, v52
	v_add_f32_e32 v50, v50, v76
	s_delay_alu instid0(VALU_DEP_2) | instskip(NEXT) | instid1(VALU_DEP_2)
	v_add_f32_e32 v52, v52, v55
	v_add_f32_e32 v50, v50, v77
	v_mul_f32_e32 v54, v73, v69
	s_delay_alu instid0(VALU_DEP_1) | instskip(SKIP_1) | instid1(VALU_DEP_1)
	v_fma_f32 v53, v72, v68, -v54
	s_wait_loadcnt 0x0
	v_dual_add_f32 v52, v52, v53 :: v_dual_sub_f32 v53, v71, v50
	s_delay_alu instid0(VALU_DEP_1)
	v_sub_f32_e32 v52, v70, v52
	scratch_store_b64 off, v[52:53], off offset:144
	v_cmpx_lt_u32_e32 17, v0
	s_cbranch_execz .LBB87_123
; %bb.122:
	scratch_load_b64 v[52:53], off, off offset:136
	v_mov_b32_e32 v50, v49
	scratch_store_b64 off, v[49:50], off offset:136
	s_wait_loadcnt 0x0
	ds_store_b64 v51, v[52:53]
.LBB87_123:
	s_wait_alu 0xfffe
	s_or_b32 exec_lo, exec_lo, s0
	s_wait_storecnt_dscnt 0x0
	s_barrier_signal -1
	s_barrier_wait -1
	global_inv scope:SCOPE_SE
	s_clause 0x3
	scratch_load_b128 v[52:55], off, off offset:144
	scratch_load_b128 v[56:59], off, off offset:160
	;; [unrolled: 1-line block ×3, first 2 shown]
	scratch_load_b64 v[76:77], off, off offset:136
	ds_load_b128 v[64:67], v49 offset:336
	ds_load_b128 v[68:71], v49 offset:352
	;; [unrolled: 1-line block ×3, first 2 shown]
	s_mov_b32 s0, exec_lo
	s_wait_loadcnt_dscnt 0x302
	v_dual_mul_f32 v49, v64, v53 :: v_dual_mul_f32 v50, v66, v55
	v_mul_f32_e32 v53, v65, v53
	s_wait_loadcnt_dscnt 0x201
	v_dual_mul_f32 v55, v67, v55 :: v_dual_mul_f32 v78, v68, v57
	s_delay_alu instid0(VALU_DEP_3) | instskip(NEXT) | instid1(VALU_DEP_3)
	v_dual_mul_f32 v79, v70, v59 :: v_dual_fmac_f32 v50, v67, v54
	v_fma_f32 v53, v64, v52, -v53
	v_fmac_f32_e32 v49, v65, v52
	v_mul_f32_e32 v52, v69, v57
	v_fma_f32 v54, v66, v54, -v55
	v_mul_f32_e32 v55, v71, v59
	v_dual_add_f32 v53, 0, v53 :: v_dual_fmac_f32 v78, v69, v56
	s_delay_alu instid0(VALU_DEP_4) | instskip(SKIP_2) | instid1(VALU_DEP_3)
	v_fma_f32 v52, v68, v56, -v52
	s_wait_loadcnt_dscnt 0x100
	v_dual_mul_f32 v80, v72, v61 :: v_dual_mul_f32 v81, v74, v63
	v_add_f32_e32 v53, v53, v54
	v_fmac_f32_e32 v79, v71, v58
	v_fma_f32 v54, v70, v58, -v55
	s_delay_alu instid0(VALU_DEP_4) | instskip(NEXT) | instid1(VALU_DEP_4)
	v_dual_fmac_f32 v80, v73, v60 :: v_dual_fmac_f32 v81, v75, v62
	v_add_f32_e32 v52, v53, v52
	s_delay_alu instid0(VALU_DEP_1) | instskip(SKIP_1) | instid1(VALU_DEP_1)
	v_dual_add_f32 v52, v52, v54 :: v_dual_add_f32 v49, 0, v49
	v_mul_f32_e32 v53, v75, v63
	v_fma_f32 v53, v74, v62, -v53
	s_delay_alu instid0(VALU_DEP_3) | instskip(SKIP_1) | instid1(VALU_DEP_1)
	v_add_f32_e32 v49, v49, v50
	v_mul_f32_e32 v50, v73, v61
	v_fma_f32 v50, v72, v60, -v50
	s_delay_alu instid0(VALU_DEP_1) | instskip(NEXT) | instid1(VALU_DEP_1)
	v_add_f32_e32 v50, v52, v50
	v_dual_add_f32 v50, v50, v53 :: v_dual_add_f32 v49, v49, v78
	s_delay_alu instid0(VALU_DEP_1) | instskip(NEXT) | instid1(VALU_DEP_1)
	v_add_f32_e32 v49, v49, v79
	v_add_f32_e32 v49, v49, v80
	s_wait_loadcnt 0x0
	s_delay_alu instid0(VALU_DEP_1) | instskip(NEXT) | instid1(VALU_DEP_1)
	v_dual_add_f32 v52, v49, v81 :: v_dual_sub_f32 v49, v76, v50
	v_sub_f32_e32 v50, v77, v52
	scratch_store_b64 off, v[49:50], off offset:136
	v_cmpx_lt_u32_e32 16, v0
	s_cbranch_execz .LBB87_125
; %bb.124:
	scratch_load_b64 v[49:50], off, off offset:128
	v_mov_b32_e32 v52, 0
	s_delay_alu instid0(VALU_DEP_1)
	v_mov_b32_e32 v53, v52
	scratch_store_b64 off, v[52:53], off offset:128
	s_wait_loadcnt 0x0
	ds_store_b64 v51, v[49:50]
.LBB87_125:
	s_wait_alu 0xfffe
	s_or_b32 exec_lo, exec_lo, s0
	s_wait_storecnt_dscnt 0x0
	s_barrier_signal -1
	s_barrier_wait -1
	global_inv scope:SCOPE_SE
	s_clause 0x4
	scratch_load_b128 v[52:55], off, off offset:136
	scratch_load_b128 v[56:59], off, off offset:152
	;; [unrolled: 1-line block ×3, first 2 shown]
	scratch_load_b64 v[76:77], off, off offset:184
	scratch_load_b64 v[78:79], off, off offset:128
	v_mov_b32_e32 v49, 0
	ds_load_2addr_b64 v[64:67], v49 offset0:41 offset1:42
	ds_load_2addr_b64 v[68:71], v49 offset0:43 offset1:44
	;; [unrolled: 1-line block ×3, first 2 shown]
	ds_load_b64 v[80:81], v49 offset:376
	s_mov_b32 s0, exec_lo
	s_wait_loadcnt_dscnt 0x403
	v_mul_f32_e32 v50, v64, v53
	s_wait_loadcnt_dscnt 0x302
	v_dual_mul_f32 v82, v66, v55 :: v_dual_mul_f32 v83, v68, v57
	v_dual_mul_f32 v84, v70, v59 :: v_dual_mul_f32 v53, v65, v53
	s_wait_loadcnt_dscnt 0x100
	v_dual_mul_f32 v87, v80, v77 :: v_dual_fmac_f32 v50, v65, v52
	v_mul_f32_e32 v55, v67, v55
	v_dual_mul_f32 v85, v72, v61 :: v_dual_mul_f32 v86, v74, v63
	v_fma_f32 v53, v64, v52, -v53
	v_fmac_f32_e32 v82, v67, v54
	v_add_f32_e32 v50, 0, v50
	v_mul_f32_e32 v52, v69, v57
	v_fma_f32 v54, v66, v54, -v55
	v_add_f32_e32 v53, 0, v53
	v_mul_f32_e32 v55, v71, v59
	v_dual_fmac_f32 v83, v69, v56 :: v_dual_add_f32 v50, v50, v82
	v_dual_fmac_f32 v84, v71, v58 :: v_dual_fmac_f32 v85, v73, v60
	s_delay_alu instid0(VALU_DEP_4) | instskip(SKIP_1) | instid1(VALU_DEP_4)
	v_add_f32_e32 v53, v53, v54
	v_dual_fmac_f32 v86, v75, v62 :: v_dual_fmac_f32 v87, v81, v76
	v_add_f32_e32 v50, v50, v83
	v_fma_f32 v52, v68, v56, -v52
	v_mul_f32_e32 v54, v73, v61
	v_fma_f32 v55, v70, v58, -v55
	s_delay_alu instid0(VALU_DEP_4) | instskip(NEXT) | instid1(VALU_DEP_1)
	v_add_f32_e32 v50, v50, v84
	v_add_f32_e32 v50, v50, v85
	s_delay_alu instid0(VALU_DEP_1) | instskip(NEXT) | instid1(VALU_DEP_1)
	v_add_f32_e32 v50, v50, v86
	v_add_f32_e32 v50, v50, v87
	v_dual_add_f32 v52, v53, v52 :: v_dual_mul_f32 v53, v75, v63
	v_fma_f32 v54, v72, v60, -v54
	s_delay_alu instid0(VALU_DEP_2) | instskip(NEXT) | instid1(VALU_DEP_3)
	v_dual_add_f32 v52, v52, v55 :: v_dual_mul_f32 v55, v81, v77
	v_fma_f32 v53, v74, v62, -v53
	s_delay_alu instid0(VALU_DEP_2) | instskip(NEXT) | instid1(VALU_DEP_3)
	v_add_f32_e32 v52, v52, v54
	v_fma_f32 v54, v80, v76, -v55
	s_wait_loadcnt 0x0
	s_delay_alu instid0(VALU_DEP_2) | instskip(NEXT) | instid1(VALU_DEP_1)
	v_dual_add_f32 v52, v52, v53 :: v_dual_sub_f32 v53, v79, v50
	v_add_f32_e32 v52, v52, v54
	s_delay_alu instid0(VALU_DEP_1)
	v_sub_f32_e32 v52, v78, v52
	scratch_store_b64 off, v[52:53], off offset:128
	v_cmpx_lt_u32_e32 15, v0
	s_cbranch_execz .LBB87_127
; %bb.126:
	scratch_load_b64 v[52:53], off, off offset:120
	v_mov_b32_e32 v50, v49
	scratch_store_b64 off, v[49:50], off offset:120
	s_wait_loadcnt 0x0
	ds_store_b64 v51, v[52:53]
.LBB87_127:
	s_wait_alu 0xfffe
	s_or_b32 exec_lo, exec_lo, s0
	s_wait_storecnt_dscnt 0x0
	s_barrier_signal -1
	s_barrier_wait -1
	global_inv scope:SCOPE_SE
	s_clause 0x4
	scratch_load_b128 v[52:55], off, off offset:128
	scratch_load_b128 v[56:59], off, off offset:144
	scratch_load_b128 v[60:63], off, off offset:160
	scratch_load_b128 v[64:67], off, off offset:176
	scratch_load_b64 v[84:85], off, off offset:120
	ds_load_b128 v[68:71], v49 offset:320
	ds_load_b128 v[72:75], v49 offset:336
	;; [unrolled: 1-line block ×4, first 2 shown]
	s_mov_b32 s0, exec_lo
	s_wait_loadcnt_dscnt 0x403
	v_dual_mul_f32 v49, v68, v53 :: v_dual_mul_f32 v50, v70, v55
	v_mul_f32_e32 v53, v69, v53
	s_wait_loadcnt_dscnt 0x302
	v_dual_mul_f32 v55, v71, v55 :: v_dual_mul_f32 v86, v72, v57
	s_delay_alu instid0(VALU_DEP_3) | instskip(NEXT) | instid1(VALU_DEP_3)
	v_dual_mul_f32 v87, v74, v59 :: v_dual_fmac_f32 v50, v71, v54
	v_fma_f32 v53, v68, v52, -v53
	v_fmac_f32_e32 v49, v69, v52
	v_mul_f32_e32 v52, v73, v57
	v_fma_f32 v54, v70, v54, -v55
	v_mul_f32_e32 v55, v75, v59
	v_dual_add_f32 v53, 0, v53 :: v_dual_fmac_f32 v86, v73, v56
	s_delay_alu instid0(VALU_DEP_4) | instskip(SKIP_2) | instid1(VALU_DEP_3)
	v_fma_f32 v52, v72, v56, -v52
	s_wait_loadcnt_dscnt 0x201
	v_dual_mul_f32 v88, v76, v61 :: v_dual_mul_f32 v89, v78, v63
	v_add_f32_e32 v53, v53, v54
	v_fmac_f32_e32 v87, v75, v58
	v_fma_f32 v54, v74, v58, -v55
	s_wait_loadcnt_dscnt 0x100
	v_dual_mul_f32 v90, v80, v65 :: v_dual_mul_f32 v91, v82, v67
	v_dual_add_f32 v52, v53, v52 :: v_dual_mul_f32 v53, v79, v63
	v_dual_fmac_f32 v88, v77, v60 :: v_dual_fmac_f32 v89, v79, v62
	s_delay_alu instid0(VALU_DEP_3) | instskip(NEXT) | instid1(VALU_DEP_3)
	v_fmac_f32_e32 v90, v81, v64
	v_dual_add_f32 v52, v52, v54 :: v_dual_add_f32 v49, 0, v49
	v_mul_f32_e32 v54, v81, v65
	v_fma_f32 v53, v78, v62, -v53
	v_fmac_f32_e32 v91, v83, v66
	s_delay_alu instid0(VALU_DEP_4) | instskip(SKIP_2) | instid1(VALU_DEP_2)
	v_add_f32_e32 v49, v49, v50
	v_mul_f32_e32 v50, v77, v61
	v_fma_f32 v54, v80, v64, -v54
	v_fma_f32 v50, v76, v60, -v50
	s_delay_alu instid0(VALU_DEP_1) | instskip(SKIP_1) | instid1(VALU_DEP_2)
	v_add_f32_e32 v50, v52, v50
	v_mul_f32_e32 v52, v83, v67
	v_add_f32_e32 v50, v50, v53
	s_delay_alu instid0(VALU_DEP_2) | instskip(NEXT) | instid1(VALU_DEP_2)
	v_fma_f32 v52, v82, v66, -v52
	v_add_f32_e32 v50, v50, v54
	s_delay_alu instid0(VALU_DEP_1) | instskip(NEXT) | instid1(VALU_DEP_1)
	v_dual_add_f32 v49, v49, v86 :: v_dual_add_f32 v50, v50, v52
	v_add_f32_e32 v49, v49, v87
	s_delay_alu instid0(VALU_DEP_1) | instskip(NEXT) | instid1(VALU_DEP_1)
	v_add_f32_e32 v49, v49, v88
	v_add_f32_e32 v49, v49, v89
	s_delay_alu instid0(VALU_DEP_1) | instskip(SKIP_1) | instid1(VALU_DEP_1)
	v_add_f32_e32 v49, v49, v90
	s_wait_loadcnt 0x0
	v_dual_add_f32 v52, v49, v91 :: v_dual_sub_f32 v49, v84, v50
	s_delay_alu instid0(VALU_DEP_1)
	v_sub_f32_e32 v50, v85, v52
	scratch_store_b64 off, v[49:50], off offset:120
	v_cmpx_lt_u32_e32 14, v0
	s_cbranch_execz .LBB87_129
; %bb.128:
	scratch_load_b64 v[49:50], off, off offset:112
	v_mov_b32_e32 v52, 0
	s_delay_alu instid0(VALU_DEP_1)
	v_mov_b32_e32 v53, v52
	scratch_store_b64 off, v[52:53], off offset:112
	s_wait_loadcnt 0x0
	ds_store_b64 v51, v[49:50]
.LBB87_129:
	s_wait_alu 0xfffe
	s_or_b32 exec_lo, exec_lo, s0
	s_wait_storecnt_dscnt 0x0
	s_barrier_signal -1
	s_barrier_wait -1
	global_inv scope:SCOPE_SE
	s_clause 0x5
	scratch_load_b128 v[52:55], off, off offset:120
	scratch_load_b128 v[56:59], off, off offset:136
	;; [unrolled: 1-line block ×4, first 2 shown]
	scratch_load_b64 v[84:85], off, off offset:184
	scratch_load_b64 v[86:87], off, off offset:112
	v_mov_b32_e32 v49, 0
	ds_load_2addr_b64 v[68:71], v49 offset0:39 offset1:40
	ds_load_2addr_b64 v[72:75], v49 offset0:41 offset1:42
	;; [unrolled: 1-line block ×4, first 2 shown]
	ds_load_b64 v[88:89], v49 offset:376
	s_mov_b32 s0, exec_lo
	s_wait_loadcnt_dscnt 0x504
	v_mul_f32_e32 v50, v68, v53
	s_wait_loadcnt_dscnt 0x403
	v_dual_mul_f32 v90, v70, v55 :: v_dual_mul_f32 v91, v72, v57
	s_wait_loadcnt_dscnt 0x302
	v_dual_mul_f32 v94, v78, v63 :: v_dual_mul_f32 v53, v69, v53
	s_wait_loadcnt_dscnt 0x100
	v_dual_mul_f32 v97, v88, v85 :: v_dual_fmac_f32 v50, v69, v52
	v_mul_f32_e32 v55, v71, v55
	v_dual_mul_f32 v92, v74, v59 :: v_dual_mul_f32 v93, v76, v61
	v_fma_f32 v53, v68, v52, -v53
	v_fmac_f32_e32 v90, v71, v54
	v_add_f32_e32 v50, 0, v50
	v_mul_f32_e32 v52, v73, v57
	v_fma_f32 v54, v70, v54, -v55
	v_add_f32_e32 v53, 0, v53
	v_mul_f32_e32 v55, v75, v59
	v_dual_fmac_f32 v91, v73, v56 :: v_dual_add_f32 v50, v50, v90
	v_dual_fmac_f32 v92, v75, v58 :: v_dual_fmac_f32 v93, v77, v60
	s_delay_alu instid0(VALU_DEP_4) | instskip(SKIP_1) | instid1(VALU_DEP_4)
	v_add_f32_e32 v53, v53, v54
	v_dual_mul_f32 v95, v80, v65 :: v_dual_mul_f32 v96, v82, v67
	v_add_f32_e32 v50, v50, v91
	v_dual_fmac_f32 v94, v79, v62 :: v_dual_fmac_f32 v97, v89, v84
	s_delay_alu instid0(VALU_DEP_3) | instskip(NEXT) | instid1(VALU_DEP_3)
	v_dual_fmac_f32 v95, v81, v64 :: v_dual_fmac_f32 v96, v83, v66
	v_add_f32_e32 v50, v50, v92
	v_fma_f32 v52, v72, v56, -v52
	v_mul_f32_e32 v54, v77, v61
	v_fma_f32 v55, v74, v58, -v55
	s_delay_alu instid0(VALU_DEP_4) | instskip(NEXT) | instid1(VALU_DEP_1)
	v_add_f32_e32 v50, v50, v93
	v_add_f32_e32 v50, v50, v94
	s_delay_alu instid0(VALU_DEP_1) | instskip(NEXT) | instid1(VALU_DEP_1)
	v_add_f32_e32 v50, v50, v95
	v_add_f32_e32 v50, v50, v96
	s_delay_alu instid0(VALU_DEP_1) | instskip(SKIP_2) | instid1(VALU_DEP_2)
	v_add_f32_e32 v50, v50, v97
	v_dual_add_f32 v52, v53, v52 :: v_dual_mul_f32 v53, v79, v63
	v_fma_f32 v54, v76, v60, -v54
	v_dual_add_f32 v52, v52, v55 :: v_dual_mul_f32 v55, v81, v65
	s_delay_alu instid0(VALU_DEP_3) | instskip(NEXT) | instid1(VALU_DEP_2)
	v_fma_f32 v53, v78, v62, -v53
	v_add_f32_e32 v52, v52, v54
	v_mul_f32_e32 v54, v83, v67
	s_delay_alu instid0(VALU_DEP_4) | instskip(NEXT) | instid1(VALU_DEP_3)
	v_fma_f32 v55, v80, v64, -v55
	v_add_f32_e32 v52, v52, v53
	v_mul_f32_e32 v53, v89, v85
	s_delay_alu instid0(VALU_DEP_4) | instskip(NEXT) | instid1(VALU_DEP_3)
	v_fma_f32 v54, v82, v66, -v54
	v_add_f32_e32 v52, v52, v55
	s_delay_alu instid0(VALU_DEP_3) | instskip(NEXT) | instid1(VALU_DEP_2)
	v_fma_f32 v53, v88, v84, -v53
	v_add_f32_e32 v52, v52, v54
	s_wait_loadcnt 0x0
	s_delay_alu instid0(VALU_DEP_1) | instskip(NEXT) | instid1(VALU_DEP_1)
	v_dual_add_f32 v52, v52, v53 :: v_dual_sub_f32 v53, v87, v50
	v_sub_f32_e32 v52, v86, v52
	scratch_store_b64 off, v[52:53], off offset:112
	v_cmpx_lt_u32_e32 13, v0
	s_cbranch_execz .LBB87_131
; %bb.130:
	scratch_load_b64 v[52:53], off, off offset:104
	v_mov_b32_e32 v50, v49
	scratch_store_b64 off, v[49:50], off offset:104
	s_wait_loadcnt 0x0
	ds_store_b64 v51, v[52:53]
.LBB87_131:
	s_wait_alu 0xfffe
	s_or_b32 exec_lo, exec_lo, s0
	s_wait_storecnt_dscnt 0x0
	s_barrier_signal -1
	s_barrier_wait -1
	global_inv scope:SCOPE_SE
	s_clause 0x5
	scratch_load_b128 v[52:55], off, off offset:112
	scratch_load_b128 v[56:59], off, off offset:128
	;; [unrolled: 1-line block ×5, first 2 shown]
	scratch_load_b64 v[92:93], off, off offset:104
	ds_load_b128 v[72:75], v49 offset:304
	ds_load_b128 v[76:79], v49 offset:320
	;; [unrolled: 1-line block ×5, first 2 shown]
	s_mov_b32 s0, exec_lo
	s_wait_loadcnt_dscnt 0x504
	v_dual_mul_f32 v49, v72, v53 :: v_dual_mul_f32 v50, v74, v55
	v_mul_f32_e32 v53, v73, v53
	s_wait_loadcnt_dscnt 0x403
	v_dual_mul_f32 v55, v75, v55 :: v_dual_mul_f32 v94, v76, v57
	s_delay_alu instid0(VALU_DEP_3) | instskip(NEXT) | instid1(VALU_DEP_3)
	v_dual_mul_f32 v95, v78, v59 :: v_dual_fmac_f32 v50, v75, v54
	v_fma_f32 v53, v72, v52, -v53
	v_fmac_f32_e32 v49, v73, v52
	v_mul_f32_e32 v52, v77, v57
	v_fma_f32 v54, v74, v54, -v55
	v_mul_f32_e32 v55, v79, v59
	v_dual_add_f32 v53, 0, v53 :: v_dual_fmac_f32 v94, v77, v56
	s_delay_alu instid0(VALU_DEP_4) | instskip(SKIP_2) | instid1(VALU_DEP_3)
	v_fma_f32 v52, v76, v56, -v52
	s_wait_loadcnt_dscnt 0x302
	v_dual_mul_f32 v96, v80, v61 :: v_dual_mul_f32 v97, v82, v63
	v_add_f32_e32 v53, v53, v54
	v_fmac_f32_e32 v95, v79, v58
	v_fma_f32 v54, v78, v58, -v55
	s_wait_loadcnt_dscnt 0x201
	v_dual_mul_f32 v98, v84, v65 :: v_dual_mul_f32 v99, v86, v67
	v_dual_add_f32 v52, v53, v52 :: v_dual_mul_f32 v53, v83, v63
	v_fmac_f32_e32 v96, v81, v60
	s_wait_loadcnt_dscnt 0x100
	v_dual_mul_f32 v100, v88, v69 :: v_dual_mul_f32 v101, v90, v71
	s_delay_alu instid0(VALU_DEP_3) | instskip(SKIP_3) | instid1(VALU_DEP_4)
	v_dual_add_f32 v52, v52, v54 :: v_dual_add_f32 v49, 0, v49
	v_mul_f32_e32 v54, v85, v65
	v_fma_f32 v53, v82, v62, -v53
	v_dual_fmac_f32 v97, v83, v62 :: v_dual_fmac_f32 v98, v85, v64
	v_add_f32_e32 v49, v49, v50
	v_mul_f32_e32 v50, v81, v61
	v_fma_f32 v54, v84, v64, -v54
	v_dual_fmac_f32 v99, v87, v66 :: v_dual_fmac_f32 v100, v89, v68
	s_delay_alu instid0(VALU_DEP_3) | instskip(NEXT) | instid1(VALU_DEP_1)
	v_fma_f32 v50, v80, v60, -v50
	v_add_f32_e32 v50, v52, v50
	v_mul_f32_e32 v52, v87, v67
	s_delay_alu instid0(VALU_DEP_2) | instskip(SKIP_1) | instid1(VALU_DEP_3)
	v_dual_add_f32 v50, v50, v53 :: v_dual_add_f32 v49, v49, v94
	v_mul_f32_e32 v53, v89, v69
	v_fma_f32 v52, v86, v66, -v52
	s_delay_alu instid0(VALU_DEP_3) | instskip(SKIP_3) | instid1(VALU_DEP_4)
	v_add_f32_e32 v50, v50, v54
	v_mul_f32_e32 v54, v91, v71
	v_add_f32_e32 v49, v49, v95
	v_fma_f32 v53, v88, v68, -v53
	v_dual_add_f32 v50, v50, v52 :: v_dual_fmac_f32 v101, v91, v70
	s_delay_alu instid0(VALU_DEP_3) | instskip(SKIP_1) | instid1(VALU_DEP_3)
	v_add_f32_e32 v49, v49, v96
	v_fma_f32 v52, v90, v70, -v54
	v_add_f32_e32 v50, v50, v53
	s_delay_alu instid0(VALU_DEP_1) | instskip(NEXT) | instid1(VALU_DEP_1)
	v_dual_add_f32 v49, v49, v97 :: v_dual_add_f32 v50, v50, v52
	v_add_f32_e32 v49, v49, v98
	s_delay_alu instid0(VALU_DEP_1) | instskip(NEXT) | instid1(VALU_DEP_1)
	v_add_f32_e32 v49, v49, v99
	v_add_f32_e32 v49, v49, v100
	s_wait_loadcnt 0x0
	s_delay_alu instid0(VALU_DEP_1) | instskip(NEXT) | instid1(VALU_DEP_1)
	v_dual_add_f32 v52, v49, v101 :: v_dual_sub_f32 v49, v92, v50
	v_sub_f32_e32 v50, v93, v52
	scratch_store_b64 off, v[49:50], off offset:104
	v_cmpx_lt_u32_e32 12, v0
	s_cbranch_execz .LBB87_133
; %bb.132:
	scratch_load_b64 v[49:50], off, off offset:96
	v_mov_b32_e32 v52, 0
	s_delay_alu instid0(VALU_DEP_1)
	v_mov_b32_e32 v53, v52
	scratch_store_b64 off, v[52:53], off offset:96
	s_wait_loadcnt 0x0
	ds_store_b64 v51, v[49:50]
.LBB87_133:
	s_wait_alu 0xfffe
	s_or_b32 exec_lo, exec_lo, s0
	s_wait_storecnt_dscnt 0x0
	s_barrier_signal -1
	s_barrier_wait -1
	global_inv scope:SCOPE_SE
	s_clause 0x6
	scratch_load_b128 v[52:55], off, off offset:104
	scratch_load_b128 v[56:59], off, off offset:120
	;; [unrolled: 1-line block ×5, first 2 shown]
	scratch_load_b64 v[92:93], off, off offset:184
	scratch_load_b64 v[94:95], off, off offset:96
	v_mov_b32_e32 v49, 0
	ds_load_2addr_b64 v[72:75], v49 offset0:37 offset1:38
	ds_load_2addr_b64 v[76:79], v49 offset0:39 offset1:40
	;; [unrolled: 1-line block ×5, first 2 shown]
	ds_load_b64 v[96:97], v49 offset:376
	s_mov_b32 s0, exec_lo
	s_wait_loadcnt_dscnt 0x605
	v_mul_f32_e32 v50, v72, v53
	v_dual_mul_f32 v53, v73, v53 :: v_dual_mul_f32 v98, v74, v55
	s_wait_loadcnt_dscnt 0x302
	v_dual_mul_f32 v99, v76, v57 :: v_dual_mul_f32 v104, v86, v67
	s_wait_loadcnt_dscnt 0x100
	v_dual_mul_f32 v107, v96, v93 :: v_dual_fmac_f32 v50, v73, v52
	v_mul_f32_e32 v55, v75, v55
	v_fma_f32 v53, v72, v52, -v53
	v_mul_f32_e32 v52, v77, v57
	v_fmac_f32_e32 v98, v75, v54
	v_add_f32_e32 v50, 0, v50
	v_fma_f32 v54, v74, v54, -v55
	v_add_f32_e32 v53, 0, v53
	v_mul_f32_e32 v55, v79, v59
	s_delay_alu instid0(VALU_DEP_4) | instskip(SKIP_1) | instid1(VALU_DEP_4)
	v_dual_fmac_f32 v99, v77, v56 :: v_dual_add_f32 v50, v50, v98
	v_fma_f32 v52, v76, v56, -v52
	v_dual_add_f32 v53, v53, v54 :: v_dual_mul_f32 v100, v78, v59
	v_mul_f32_e32 v101, v80, v61
	v_mul_f32_e32 v54, v81, v61
	v_fma_f32 v55, v78, v58, -v55
	v_add_f32_e32 v50, v50, v99
	v_add_f32_e32 v52, v53, v52
	v_dual_fmac_f32 v100, v79, v58 :: v_dual_fmac_f32 v101, v81, v60
	v_mul_f32_e32 v53, v83, v63
	v_fma_f32 v54, v80, v60, -v54
	s_delay_alu instid0(VALU_DEP_4) | instskip(SKIP_4) | instid1(VALU_DEP_3)
	v_dual_add_f32 v52, v52, v55 :: v_dual_mul_f32 v55, v85, v65
	v_dual_mul_f32 v102, v82, v63 :: v_dual_mul_f32 v103, v84, v65
	v_dual_mul_f32 v105, v88, v69 :: v_dual_mul_f32 v106, v90, v71
	v_add_f32_e32 v50, v50, v100
	v_fma_f32 v53, v82, v62, -v53
	v_dual_add_f32 v52, v52, v54 :: v_dual_fmac_f32 v105, v89, v68
	v_dual_fmac_f32 v102, v83, v62 :: v_dual_fmac_f32 v103, v85, v64
	v_mul_f32_e32 v54, v87, v67
	s_delay_alu instid0(VALU_DEP_3)
	v_add_f32_e32 v52, v52, v53
	v_mul_f32_e32 v53, v89, v69
	v_dual_add_f32 v50, v50, v101 :: v_dual_fmac_f32 v107, v97, v92
	v_fma_f32 v55, v84, v64, -v55
	v_fmac_f32_e32 v104, v87, v66
	v_fma_f32 v54, v86, v66, -v54
	s_delay_alu instid0(VALU_DEP_4)
	v_add_f32_e32 v50, v50, v102
	v_fma_f32 v53, v88, v68, -v53
	v_add_f32_e32 v52, v52, v55
	v_mul_f32_e32 v55, v91, v71
	v_fmac_f32_e32 v106, v91, v70
	v_add_f32_e32 v50, v50, v103
	s_delay_alu instid0(VALU_DEP_4) | instskip(SKIP_2) | instid1(VALU_DEP_4)
	v_add_f32_e32 v52, v52, v54
	v_mul_f32_e32 v54, v97, v93
	v_fma_f32 v55, v90, v70, -v55
	v_add_f32_e32 v50, v50, v104
	s_delay_alu instid0(VALU_DEP_4) | instskip(NEXT) | instid1(VALU_DEP_4)
	v_add_f32_e32 v52, v52, v53
	v_fma_f32 v53, v96, v92, -v54
	s_delay_alu instid0(VALU_DEP_3) | instskip(NEXT) | instid1(VALU_DEP_3)
	v_add_f32_e32 v50, v50, v105
	v_add_f32_e32 v52, v52, v55
	s_delay_alu instid0(VALU_DEP_2) | instskip(NEXT) | instid1(VALU_DEP_2)
	v_add_f32_e32 v50, v50, v106
	v_add_f32_e32 v52, v52, v53
	s_delay_alu instid0(VALU_DEP_2) | instskip(SKIP_1) | instid1(VALU_DEP_1)
	v_add_f32_e32 v50, v50, v107
	s_wait_loadcnt 0x0
	v_dual_sub_f32 v52, v94, v52 :: v_dual_sub_f32 v53, v95, v50
	scratch_store_b64 off, v[52:53], off offset:96
	v_cmpx_lt_u32_e32 11, v0
	s_cbranch_execz .LBB87_135
; %bb.134:
	scratch_load_b64 v[52:53], off, off offset:88
	v_mov_b32_e32 v50, v49
	scratch_store_b64 off, v[49:50], off offset:88
	s_wait_loadcnt 0x0
	ds_store_b64 v51, v[52:53]
.LBB87_135:
	s_wait_alu 0xfffe
	s_or_b32 exec_lo, exec_lo, s0
	s_wait_storecnt_dscnt 0x0
	s_barrier_signal -1
	s_barrier_wait -1
	global_inv scope:SCOPE_SE
	s_clause 0x6
	scratch_load_b128 v[52:55], off, off offset:96
	scratch_load_b128 v[56:59], off, off offset:112
	;; [unrolled: 1-line block ×6, first 2 shown]
	scratch_load_b64 v[100:101], off, off offset:88
	ds_load_b128 v[76:79], v49 offset:288
	ds_load_b128 v[80:83], v49 offset:304
	ds_load_b128 v[84:87], v49 offset:320
	ds_load_b128 v[88:91], v49 offset:336
	ds_load_b128 v[92:95], v49 offset:352
	ds_load_b128 v[96:99], v49 offset:368
	s_mov_b32 s0, exec_lo
	s_wait_loadcnt_dscnt 0x605
	v_dual_mul_f32 v49, v76, v53 :: v_dual_mul_f32 v50, v78, v55
	v_mul_f32_e32 v53, v77, v53
	s_wait_loadcnt_dscnt 0x504
	v_dual_mul_f32 v55, v79, v55 :: v_dual_mul_f32 v102, v80, v57
	s_delay_alu instid0(VALU_DEP_3) | instskip(NEXT) | instid1(VALU_DEP_3)
	v_dual_mul_f32 v103, v82, v59 :: v_dual_fmac_f32 v50, v79, v54
	v_fma_f32 v53, v76, v52, -v53
	v_fmac_f32_e32 v49, v77, v52
	v_mul_f32_e32 v52, v81, v57
	v_fma_f32 v54, v78, v54, -v55
	v_mul_f32_e32 v55, v83, v59
	v_dual_add_f32 v53, 0, v53 :: v_dual_fmac_f32 v102, v81, v56
	s_delay_alu instid0(VALU_DEP_4) | instskip(SKIP_2) | instid1(VALU_DEP_3)
	v_fma_f32 v52, v80, v56, -v52
	s_wait_loadcnt_dscnt 0x403
	v_dual_mul_f32 v104, v84, v61 :: v_dual_mul_f32 v105, v86, v63
	v_add_f32_e32 v53, v53, v54
	v_fmac_f32_e32 v103, v83, v58
	v_fma_f32 v54, v82, v58, -v55
	s_wait_loadcnt_dscnt 0x302
	v_dual_mul_f32 v106, v88, v65 :: v_dual_mul_f32 v107, v90, v67
	v_dual_add_f32 v52, v53, v52 :: v_dual_mul_f32 v53, v87, v63
	v_fmac_f32_e32 v104, v85, v60
	s_wait_loadcnt_dscnt 0x201
	v_dual_mul_f32 v108, v92, v69 :: v_dual_mul_f32 v109, v94, v71
	s_delay_alu instid0(VALU_DEP_3) | instskip(SKIP_3) | instid1(VALU_DEP_4)
	v_dual_add_f32 v52, v52, v54 :: v_dual_add_f32 v49, 0, v49
	v_mul_f32_e32 v54, v89, v65
	v_fma_f32 v53, v86, v62, -v53
	v_dual_fmac_f32 v105, v87, v62 :: v_dual_fmac_f32 v106, v89, v64
	v_add_f32_e32 v49, v49, v50
	v_mul_f32_e32 v50, v85, v61
	v_fma_f32 v54, v88, v64, -v54
	v_dual_fmac_f32 v107, v91, v66 :: v_dual_fmac_f32 v108, v93, v68
	s_wait_loadcnt_dscnt 0x100
	v_dual_mul_f32 v110, v96, v73 :: v_dual_mul_f32 v111, v98, v75
	v_fma_f32 v50, v84, v60, -v50
	s_delay_alu instid0(VALU_DEP_2) | instskip(NEXT) | instid1(VALU_DEP_3)
	v_dual_fmac_f32 v109, v95, v70 :: v_dual_fmac_f32 v110, v97, v72
	v_fmac_f32_e32 v111, v99, v74
	s_delay_alu instid0(VALU_DEP_3) | instskip(SKIP_1) | instid1(VALU_DEP_2)
	v_add_f32_e32 v50, v52, v50
	v_mul_f32_e32 v52, v91, v67
	v_dual_add_f32 v50, v50, v53 :: v_dual_add_f32 v49, v49, v102
	v_mul_f32_e32 v53, v93, v69
	s_delay_alu instid0(VALU_DEP_3) | instskip(NEXT) | instid1(VALU_DEP_3)
	v_fma_f32 v52, v90, v66, -v52
	v_add_f32_e32 v50, v50, v54
	v_mul_f32_e32 v54, v95, v71
	v_add_f32_e32 v49, v49, v103
	v_fma_f32 v53, v92, v68, -v53
	s_delay_alu instid0(VALU_DEP_4) | instskip(SKIP_1) | instid1(VALU_DEP_4)
	v_add_f32_e32 v50, v50, v52
	v_mul_f32_e32 v52, v97, v73
	v_add_f32_e32 v49, v49, v104
	v_fma_f32 v54, v94, v70, -v54
	s_delay_alu instid0(VALU_DEP_4) | instskip(NEXT) | instid1(VALU_DEP_3)
	v_dual_add_f32 v50, v50, v53 :: v_dual_mul_f32 v53, v99, v75
	v_add_f32_e32 v49, v49, v105
	v_fma_f32 v52, v96, v72, -v52
	s_delay_alu instid0(VALU_DEP_3) | instskip(NEXT) | instid1(VALU_DEP_4)
	v_add_f32_e32 v50, v50, v54
	v_fma_f32 v53, v98, v74, -v53
	s_delay_alu instid0(VALU_DEP_2) | instskip(NEXT) | instid1(VALU_DEP_1)
	v_dual_add_f32 v49, v49, v106 :: v_dual_add_f32 v50, v50, v52
	v_dual_add_f32 v49, v49, v107 :: v_dual_add_f32 v50, v50, v53
	s_delay_alu instid0(VALU_DEP_1) | instskip(NEXT) | instid1(VALU_DEP_1)
	v_add_f32_e32 v49, v49, v108
	v_add_f32_e32 v49, v49, v109
	s_delay_alu instid0(VALU_DEP_1) | instskip(SKIP_1) | instid1(VALU_DEP_1)
	v_add_f32_e32 v49, v49, v110
	s_wait_loadcnt 0x0
	v_dual_add_f32 v52, v49, v111 :: v_dual_sub_f32 v49, v100, v50
	s_delay_alu instid0(VALU_DEP_1)
	v_sub_f32_e32 v50, v101, v52
	scratch_store_b64 off, v[49:50], off offset:88
	v_cmpx_lt_u32_e32 10, v0
	s_cbranch_execz .LBB87_137
; %bb.136:
	scratch_load_b64 v[49:50], off, off offset:80
	v_mov_b32_e32 v52, 0
	s_delay_alu instid0(VALU_DEP_1)
	v_mov_b32_e32 v53, v52
	scratch_store_b64 off, v[52:53], off offset:80
	s_wait_loadcnt 0x0
	ds_store_b64 v51, v[49:50]
.LBB87_137:
	s_wait_alu 0xfffe
	s_or_b32 exec_lo, exec_lo, s0
	s_wait_storecnt_dscnt 0x0
	s_barrier_signal -1
	s_barrier_wait -1
	global_inv scope:SCOPE_SE
	s_clause 0x7
	scratch_load_b128 v[52:55], off, off offset:88
	scratch_load_b128 v[56:59], off, off offset:104
	;; [unrolled: 1-line block ×6, first 2 shown]
	scratch_load_b64 v[100:101], off, off offset:184
	scratch_load_b64 v[102:103], off, off offset:80
	v_mov_b32_e32 v49, 0
	ds_load_2addr_b64 v[76:79], v49 offset0:35 offset1:36
	ds_load_2addr_b64 v[80:83], v49 offset0:37 offset1:38
	;; [unrolled: 1-line block ×6, first 2 shown]
	ds_load_b64 v[104:105], v49 offset:376
	s_mov_b32 s0, exec_lo
	s_wait_loadcnt_dscnt 0x706
	v_mul_f32_e32 v50, v76, v53
	v_dual_mul_f32 v53, v77, v53 :: v_dual_mul_f32 v106, v78, v55
	s_wait_loadcnt_dscnt 0x302
	v_dual_mul_f32 v107, v80, v57 :: v_dual_mul_f32 v114, v94, v71
	v_mul_f32_e32 v55, v79, v55
	s_wait_loadcnt_dscnt 0x100
	v_dual_mul_f32 v117, v104, v101 :: v_dual_fmac_f32 v50, v77, v52
	v_fma_f32 v53, v76, v52, -v53
	v_mul_f32_e32 v52, v81, v57
	v_fmac_f32_e32 v106, v79, v54
	v_fma_f32 v54, v78, v54, -v55
	v_dual_add_f32 v50, 0, v50 :: v_dual_mul_f32 v55, v83, v59
	v_add_f32_e32 v53, 0, v53
	v_fmac_f32_e32 v107, v81, v56
	v_fma_f32 v52, v80, v56, -v52
	s_delay_alu instid0(VALU_DEP_4)
	v_add_f32_e32 v50, v50, v106
	v_fma_f32 v55, v82, v58, -v55
	v_add_f32_e32 v53, v53, v54
	v_mul_f32_e32 v54, v85, v61
	v_dual_mul_f32 v108, v82, v59 :: v_dual_mul_f32 v109, v84, v61
	v_add_f32_e32 v50, v50, v107
	s_delay_alu instid0(VALU_DEP_4) | instskip(NEXT) | instid1(VALU_DEP_4)
	v_dual_add_f32 v52, v53, v52 :: v_dual_mul_f32 v53, v87, v63
	v_fma_f32 v54, v84, v60, -v54
	v_dual_mul_f32 v112, v90, v67 :: v_dual_mul_f32 v113, v92, v69
	s_delay_alu instid0(VALU_DEP_3) | instskip(NEXT) | instid1(VALU_DEP_4)
	v_dual_add_f32 v52, v52, v55 :: v_dual_mul_f32 v55, v89, v65
	v_fma_f32 v53, v86, v62, -v53
	v_dual_mul_f32 v115, v96, v73 :: v_dual_mul_f32 v116, v98, v75
	s_delay_alu instid0(VALU_DEP_3) | instskip(SKIP_1) | instid1(VALU_DEP_3)
	v_dual_add_f32 v52, v52, v54 :: v_dual_fmac_f32 v113, v93, v68
	v_dual_fmac_f32 v108, v83, v58 :: v_dual_fmac_f32 v109, v85, v60
	v_dual_mul_f32 v54, v91, v67 :: v_dual_fmac_f32 v115, v97, v72
	v_fma_f32 v55, v88, v64, -v55
	s_delay_alu instid0(VALU_DEP_4) | instskip(SKIP_3) | instid1(VALU_DEP_4)
	v_dual_add_f32 v52, v52, v53 :: v_dual_fmac_f32 v117, v105, v100
	v_dual_mul_f32 v110, v86, v63 :: v_dual_mul_f32 v111, v88, v65
	v_dual_add_f32 v50, v50, v108 :: v_dual_mul_f32 v53, v93, v69
	v_fma_f32 v54, v90, v66, -v54
	v_add_f32_e32 v52, v52, v55
	s_delay_alu instid0(VALU_DEP_4) | instskip(NEXT) | instid1(VALU_DEP_4)
	v_dual_fmac_f32 v110, v87, v62 :: v_dual_fmac_f32 v111, v89, v64
	v_dual_add_f32 v50, v50, v109 :: v_dual_mul_f32 v55, v95, v71
	v_fma_f32 v53, v92, v68, -v53
	s_delay_alu instid0(VALU_DEP_4)
	v_add_f32_e32 v52, v52, v54
	v_fmac_f32_e32 v112, v91, v66
	v_mul_f32_e32 v54, v97, v73
	v_fma_f32 v55, v94, v70, -v55
	v_fmac_f32_e32 v114, v95, v70
	v_dual_add_f32 v52, v52, v53 :: v_dual_mul_f32 v53, v99, v75
	v_add_f32_e32 v50, v50, v110
	v_fma_f32 v54, v96, v72, -v54
	v_fmac_f32_e32 v116, v99, v74
	s_delay_alu instid0(VALU_DEP_4) | instskip(NEXT) | instid1(VALU_DEP_4)
	v_dual_add_f32 v52, v52, v55 :: v_dual_mul_f32 v55, v105, v101
	v_add_f32_e32 v50, v50, v111
	v_fma_f32 v53, v98, v74, -v53
	s_delay_alu instid0(VALU_DEP_3) | instskip(NEXT) | instid1(VALU_DEP_4)
	v_add_f32_e32 v52, v52, v54
	v_fma_f32 v54, v104, v100, -v55
	s_delay_alu instid0(VALU_DEP_4) | instskip(NEXT) | instid1(VALU_DEP_3)
	v_add_f32_e32 v50, v50, v112
	v_add_f32_e32 v52, v52, v53
	s_delay_alu instid0(VALU_DEP_2) | instskip(NEXT) | instid1(VALU_DEP_2)
	v_add_f32_e32 v50, v50, v113
	v_add_f32_e32 v52, v52, v54
	s_delay_alu instid0(VALU_DEP_2) | instskip(SKIP_1) | instid1(VALU_DEP_2)
	v_add_f32_e32 v50, v50, v114
	s_wait_loadcnt 0x0
	v_sub_f32_e32 v52, v102, v52
	s_delay_alu instid0(VALU_DEP_2) | instskip(NEXT) | instid1(VALU_DEP_1)
	v_add_f32_e32 v50, v50, v115
	v_add_f32_e32 v50, v50, v116
	s_delay_alu instid0(VALU_DEP_1) | instskip(NEXT) | instid1(VALU_DEP_1)
	v_add_f32_e32 v50, v50, v117
	v_sub_f32_e32 v53, v103, v50
	scratch_store_b64 off, v[52:53], off offset:80
	v_cmpx_lt_u32_e32 9, v0
	s_cbranch_execz .LBB87_139
; %bb.138:
	scratch_load_b64 v[52:53], off, off offset:72
	v_mov_b32_e32 v50, v49
	scratch_store_b64 off, v[49:50], off offset:72
	s_wait_loadcnt 0x0
	ds_store_b64 v51, v[52:53]
.LBB87_139:
	s_wait_alu 0xfffe
	s_or_b32 exec_lo, exec_lo, s0
	s_wait_storecnt_dscnt 0x0
	s_barrier_signal -1
	s_barrier_wait -1
	global_inv scope:SCOPE_SE
	s_clause 0x7
	scratch_load_b128 v[52:55], off, off offset:80
	scratch_load_b128 v[56:59], off, off offset:96
	;; [unrolled: 1-line block ×7, first 2 shown]
	scratch_load_b64 v[108:109], off, off offset:72
	ds_load_b128 v[80:83], v49 offset:272
	ds_load_b128 v[84:87], v49 offset:288
	;; [unrolled: 1-line block ×7, first 2 shown]
	s_mov_b32 s0, exec_lo
	s_wait_loadcnt_dscnt 0x706
	v_dual_mul_f32 v49, v80, v53 :: v_dual_mul_f32 v50, v82, v55
	v_mul_f32_e32 v53, v81, v53
	s_wait_loadcnt_dscnt 0x605
	v_dual_mul_f32 v55, v83, v55 :: v_dual_mul_f32 v110, v84, v57
	s_delay_alu instid0(VALU_DEP_3) | instskip(NEXT) | instid1(VALU_DEP_3)
	v_dual_mul_f32 v111, v86, v59 :: v_dual_fmac_f32 v50, v83, v54
	v_fma_f32 v53, v80, v52, -v53
	v_fmac_f32_e32 v49, v81, v52
	v_mul_f32_e32 v52, v85, v57
	v_fma_f32 v54, v82, v54, -v55
	v_mul_f32_e32 v55, v87, v59
	v_dual_add_f32 v53, 0, v53 :: v_dual_fmac_f32 v110, v85, v56
	s_delay_alu instid0(VALU_DEP_4) | instskip(SKIP_2) | instid1(VALU_DEP_3)
	v_fma_f32 v52, v84, v56, -v52
	s_wait_loadcnt_dscnt 0x504
	v_dual_mul_f32 v112, v88, v61 :: v_dual_mul_f32 v113, v90, v63
	v_add_f32_e32 v53, v53, v54
	v_fmac_f32_e32 v111, v87, v58
	v_fma_f32 v54, v86, v58, -v55
	s_wait_loadcnt_dscnt 0x403
	v_dual_mul_f32 v114, v92, v65 :: v_dual_mul_f32 v115, v94, v67
	v_dual_add_f32 v52, v53, v52 :: v_dual_mul_f32 v53, v91, v63
	v_fmac_f32_e32 v112, v89, v60
	s_wait_loadcnt_dscnt 0x302
	v_dual_mul_f32 v116, v96, v69 :: v_dual_mul_f32 v117, v98, v71
	s_delay_alu instid0(VALU_DEP_3) | instskip(SKIP_3) | instid1(VALU_DEP_4)
	v_dual_add_f32 v52, v52, v54 :: v_dual_add_f32 v49, 0, v49
	v_mul_f32_e32 v54, v93, v65
	v_fma_f32 v53, v90, v62, -v53
	v_dual_fmac_f32 v113, v91, v62 :: v_dual_fmac_f32 v114, v93, v64
	v_add_f32_e32 v49, v49, v50
	v_mul_f32_e32 v50, v89, v61
	v_fma_f32 v54, v92, v64, -v54
	v_dual_fmac_f32 v115, v95, v66 :: v_dual_fmac_f32 v116, v97, v68
	s_wait_loadcnt_dscnt 0x201
	v_dual_mul_f32 v118, v100, v73 :: v_dual_mul_f32 v119, v102, v75
	v_fma_f32 v50, v88, v60, -v50
	s_wait_loadcnt_dscnt 0x100
	v_dual_mul_f32 v120, v104, v77 :: v_dual_mul_f32 v121, v106, v79
	s_delay_alu instid0(VALU_DEP_3) | instskip(NEXT) | instid1(VALU_DEP_3)
	v_dual_fmac_f32 v117, v99, v70 :: v_dual_fmac_f32 v118, v101, v72
	v_add_f32_e32 v50, v52, v50
	v_mul_f32_e32 v52, v95, v67
	s_delay_alu instid0(VALU_DEP_4) | instskip(NEXT) | instid1(VALU_DEP_3)
	v_dual_fmac_f32 v120, v105, v76 :: v_dual_fmac_f32 v121, v107, v78
	v_dual_fmac_f32 v119, v103, v74 :: v_dual_add_f32 v50, v50, v53
	v_add_f32_e32 v49, v49, v110
	v_mul_f32_e32 v53, v97, v69
	v_fma_f32 v52, v94, v66, -v52
	s_delay_alu instid0(VALU_DEP_4) | instskip(SKIP_3) | instid1(VALU_DEP_4)
	v_add_f32_e32 v50, v50, v54
	v_mul_f32_e32 v54, v99, v71
	v_add_f32_e32 v49, v49, v111
	v_fma_f32 v53, v96, v68, -v53
	v_add_f32_e32 v50, v50, v52
	v_mul_f32_e32 v52, v101, v73
	s_delay_alu instid0(VALU_DEP_4) | instskip(SKIP_1) | instid1(VALU_DEP_4)
	v_add_f32_e32 v49, v49, v112
	v_fma_f32 v54, v98, v70, -v54
	v_dual_add_f32 v50, v50, v53 :: v_dual_mul_f32 v53, v103, v75
	s_delay_alu instid0(VALU_DEP_3) | instskip(SKIP_1) | instid1(VALU_DEP_3)
	v_add_f32_e32 v49, v49, v113
	v_fma_f32 v52, v100, v72, -v52
	v_add_f32_e32 v50, v50, v54
	s_delay_alu instid0(VALU_DEP_4) | instskip(NEXT) | instid1(VALU_DEP_4)
	v_fma_f32 v53, v102, v74, -v53
	v_add_f32_e32 v49, v49, v114
	v_mul_f32_e32 v54, v105, v77
	s_delay_alu instid0(VALU_DEP_4) | instskip(SKIP_1) | instid1(VALU_DEP_4)
	v_add_f32_e32 v50, v50, v52
	v_mul_f32_e32 v52, v107, v79
	v_add_f32_e32 v49, v49, v115
	s_delay_alu instid0(VALU_DEP_4) | instskip(NEXT) | instid1(VALU_DEP_4)
	v_fma_f32 v54, v104, v76, -v54
	v_add_f32_e32 v50, v50, v53
	s_delay_alu instid0(VALU_DEP_4) | instskip(NEXT) | instid1(VALU_DEP_2)
	v_fma_f32 v52, v106, v78, -v52
	v_dual_add_f32 v49, v49, v116 :: v_dual_add_f32 v50, v50, v54
	s_delay_alu instid0(VALU_DEP_1) | instskip(NEXT) | instid1(VALU_DEP_1)
	v_dual_add_f32 v49, v49, v117 :: v_dual_add_f32 v50, v50, v52
	v_add_f32_e32 v49, v49, v118
	s_delay_alu instid0(VALU_DEP_1) | instskip(NEXT) | instid1(VALU_DEP_1)
	v_add_f32_e32 v49, v49, v119
	v_add_f32_e32 v49, v49, v120
	s_wait_loadcnt 0x0
	s_delay_alu instid0(VALU_DEP_1) | instskip(NEXT) | instid1(VALU_DEP_1)
	v_dual_add_f32 v52, v49, v121 :: v_dual_sub_f32 v49, v108, v50
	v_sub_f32_e32 v50, v109, v52
	scratch_store_b64 off, v[49:50], off offset:72
	v_cmpx_lt_u32_e32 8, v0
	s_cbranch_execz .LBB87_141
; %bb.140:
	scratch_load_b64 v[49:50], off, off offset:64
	v_mov_b32_e32 v52, 0
	s_delay_alu instid0(VALU_DEP_1)
	v_mov_b32_e32 v53, v52
	scratch_store_b64 off, v[52:53], off offset:64
	s_wait_loadcnt 0x0
	ds_store_b64 v51, v[49:50]
.LBB87_141:
	s_wait_alu 0xfffe
	s_or_b32 exec_lo, exec_lo, s0
	s_wait_storecnt_dscnt 0x0
	s_barrier_signal -1
	s_barrier_wait -1
	global_inv scope:SCOPE_SE
	s_clause 0x8
	scratch_load_b128 v[52:55], off, off offset:72
	scratch_load_b128 v[56:59], off, off offset:88
	;; [unrolled: 1-line block ×7, first 2 shown]
	scratch_load_b64 v[108:109], off, off offset:184
	scratch_load_b64 v[110:111], off, off offset:64
	v_mov_b32_e32 v49, 0
	ds_load_2addr_b64 v[80:83], v49 offset0:33 offset1:34
	ds_load_2addr_b64 v[84:87], v49 offset0:35 offset1:36
	;; [unrolled: 1-line block ×7, first 2 shown]
	ds_load_b64 v[112:113], v49 offset:376
	s_mov_b32 s0, exec_lo
	s_wait_loadcnt_dscnt 0x807
	v_mul_f32_e32 v50, v80, v53
	v_dual_mul_f32 v53, v81, v53 :: v_dual_mul_f32 v114, v82, v55
	s_wait_loadcnt_dscnt 0x706
	v_mul_f32_e32 v115, v84, v57
	v_mul_f32_e32 v55, v83, v55
	s_wait_loadcnt_dscnt 0x302
	v_mul_f32_e32 v124, v102, v75
	v_fma_f32 v53, v80, v52, -v53
	s_wait_loadcnt_dscnt 0x100
	v_dual_mul_f32 v127, v112, v109 :: v_dual_fmac_f32 v50, v81, v52
	v_mul_f32_e32 v52, v85, v57
	s_delay_alu instid0(VALU_DEP_3) | instskip(SKIP_1) | instid1(VALU_DEP_4)
	v_dual_fmac_f32 v114, v83, v54 :: v_dual_add_f32 v53, 0, v53
	v_fma_f32 v54, v82, v54, -v55
	v_dual_add_f32 v50, 0, v50 :: v_dual_mul_f32 v55, v87, v59
	v_fmac_f32_e32 v115, v85, v56
	v_fma_f32 v52, v84, v56, -v52
	v_dual_mul_f32 v116, v86, v59 :: v_dual_mul_f32 v117, v88, v61
	s_delay_alu instid0(VALU_DEP_4)
	v_add_f32_e32 v50, v50, v114
	v_add_f32_e32 v53, v53, v54
	v_mul_f32_e32 v54, v89, v61
	v_fma_f32 v55, v86, v58, -v55
	v_dual_mul_f32 v120, v94, v67 :: v_dual_mul_f32 v121, v96, v69
	v_add_f32_e32 v50, v50, v115
	v_dual_add_f32 v52, v53, v52 :: v_dual_mul_f32 v53, v91, v63
	v_fma_f32 v54, v88, v60, -v54
	v_dual_mul_f32 v122, v98, v71 :: v_dual_mul_f32 v123, v100, v73
	s_delay_alu instid0(VALU_DEP_3) | instskip(NEXT) | instid1(VALU_DEP_4)
	v_dual_add_f32 v52, v52, v55 :: v_dual_mul_f32 v55, v93, v65
	v_fma_f32 v53, v90, v62, -v53
	v_dual_mul_f32 v125, v104, v77 :: v_dual_mul_f32 v126, v106, v79
	s_delay_alu instid0(VALU_DEP_3) | instskip(SKIP_3) | instid1(VALU_DEP_4)
	v_dual_add_f32 v52, v52, v54 :: v_dual_fmac_f32 v121, v97, v68
	v_dual_fmac_f32 v116, v87, v58 :: v_dual_fmac_f32 v117, v89, v60
	v_dual_mul_f32 v54, v95, v67 :: v_dual_fmac_f32 v123, v101, v72
	v_fma_f32 v55, v92, v64, -v55
	v_dual_add_f32 v52, v52, v53 :: v_dual_fmac_f32 v125, v105, v76
	s_delay_alu instid0(VALU_DEP_4) | instskip(NEXT) | instid1(VALU_DEP_4)
	v_dual_add_f32 v50, v50, v116 :: v_dual_mul_f32 v53, v97, v69
	v_fma_f32 v54, v94, v66, -v54
	s_delay_alu instid0(VALU_DEP_3) | instskip(SKIP_3) | instid1(VALU_DEP_4)
	v_dual_add_f32 v52, v52, v55 :: v_dual_fmac_f32 v127, v113, v108
	v_dual_mul_f32 v118, v90, v63 :: v_dual_mul_f32 v119, v92, v65
	v_mul_f32_e32 v55, v99, v71
	v_fma_f32 v53, v96, v68, -v53
	v_add_f32_e32 v52, v52, v54
	s_delay_alu instid0(VALU_DEP_4) | instskip(SKIP_4) | instid1(VALU_DEP_4)
	v_dual_fmac_f32 v118, v91, v62 :: v_dual_fmac_f32 v119, v93, v64
	v_add_f32_e32 v50, v50, v117
	v_mul_f32_e32 v54, v101, v73
	v_fma_f32 v55, v98, v70, -v55
	v_dual_add_f32 v52, v52, v53 :: v_dual_mul_f32 v53, v103, v75
	v_add_f32_e32 v50, v50, v118
	s_delay_alu instid0(VALU_DEP_4) | instskip(SKIP_1) | instid1(VALU_DEP_4)
	v_fma_f32 v54, v100, v72, -v54
	v_fmac_f32_e32 v120, v95, v66
	v_dual_add_f32 v52, v52, v55 :: v_dual_mul_f32 v55, v105, v77
	s_delay_alu instid0(VALU_DEP_4) | instskip(SKIP_2) | instid1(VALU_DEP_4)
	v_add_f32_e32 v50, v50, v119
	v_fma_f32 v53, v102, v74, -v53
	v_fmac_f32_e32 v122, v99, v70
	v_add_f32_e32 v52, v52, v54
	v_fmac_f32_e32 v124, v103, v74
	v_mul_f32_e32 v54, v107, v79
	v_fma_f32 v55, v104, v76, -v55
	v_fmac_f32_e32 v126, v107, v78
	v_add_f32_e32 v52, v52, v53
	v_dual_mul_f32 v53, v113, v109 :: v_dual_add_f32 v50, v50, v120
	v_fma_f32 v54, v106, v78, -v54
	s_delay_alu instid0(VALU_DEP_3) | instskip(NEXT) | instid1(VALU_DEP_3)
	v_add_f32_e32 v52, v52, v55
	v_fma_f32 v53, v112, v108, -v53
	s_delay_alu instid0(VALU_DEP_4) | instskip(NEXT) | instid1(VALU_DEP_3)
	v_add_f32_e32 v50, v50, v121
	v_add_f32_e32 v52, v52, v54
	s_delay_alu instid0(VALU_DEP_2) | instskip(NEXT) | instid1(VALU_DEP_2)
	v_add_f32_e32 v50, v50, v122
	v_add_f32_e32 v52, v52, v53
	s_delay_alu instid0(VALU_DEP_2) | instskip(SKIP_1) | instid1(VALU_DEP_2)
	v_add_f32_e32 v50, v50, v123
	s_wait_loadcnt 0x0
	v_sub_f32_e32 v52, v110, v52
	s_delay_alu instid0(VALU_DEP_2) | instskip(NEXT) | instid1(VALU_DEP_1)
	v_add_f32_e32 v50, v50, v124
	v_add_f32_e32 v50, v50, v125
	s_delay_alu instid0(VALU_DEP_1) | instskip(NEXT) | instid1(VALU_DEP_1)
	v_add_f32_e32 v50, v50, v126
	v_add_f32_e32 v50, v50, v127
	s_delay_alu instid0(VALU_DEP_1)
	v_sub_f32_e32 v53, v111, v50
	scratch_store_b64 off, v[52:53], off offset:64
	v_cmpx_lt_u32_e32 7, v0
	s_cbranch_execz .LBB87_143
; %bb.142:
	scratch_load_b64 v[52:53], off, off offset:56
	v_mov_b32_e32 v50, v49
	scratch_store_b64 off, v[49:50], off offset:56
	s_wait_loadcnt 0x0
	ds_store_b64 v51, v[52:53]
.LBB87_143:
	s_wait_alu 0xfffe
	s_or_b32 exec_lo, exec_lo, s0
	s_wait_storecnt_dscnt 0x0
	s_barrier_signal -1
	s_barrier_wait -1
	global_inv scope:SCOPE_SE
	s_clause 0x8
	scratch_load_b128 v[52:55], off, off offset:64
	scratch_load_b128 v[56:59], off, off offset:80
	;; [unrolled: 1-line block ×8, first 2 shown]
	scratch_load_b64 v[116:117], off, off offset:56
	ds_load_b128 v[84:87], v49 offset:256
	ds_load_b128 v[88:91], v49 offset:272
	;; [unrolled: 1-line block ×8, first 2 shown]
	s_mov_b32 s0, exec_lo
	s_wait_loadcnt_dscnt 0x807
	v_dual_mul_f32 v49, v84, v53 :: v_dual_mul_f32 v50, v86, v55
	v_mul_f32_e32 v53, v85, v53
	s_wait_loadcnt_dscnt 0x706
	v_dual_mul_f32 v55, v87, v55 :: v_dual_mul_f32 v118, v88, v57
	s_delay_alu instid0(VALU_DEP_3) | instskip(NEXT) | instid1(VALU_DEP_3)
	v_dual_mul_f32 v119, v90, v59 :: v_dual_fmac_f32 v50, v87, v54
	v_fma_f32 v53, v84, v52, -v53
	v_fmac_f32_e32 v49, v85, v52
	v_mul_f32_e32 v52, v89, v57
	v_fma_f32 v54, v86, v54, -v55
	v_mul_f32_e32 v55, v91, v59
	v_dual_add_f32 v53, 0, v53 :: v_dual_fmac_f32 v118, v89, v56
	s_delay_alu instid0(VALU_DEP_4) | instskip(SKIP_2) | instid1(VALU_DEP_3)
	v_fma_f32 v52, v88, v56, -v52
	s_wait_loadcnt_dscnt 0x605
	v_dual_mul_f32 v120, v92, v61 :: v_dual_mul_f32 v121, v94, v63
	v_add_f32_e32 v53, v53, v54
	v_fmac_f32_e32 v119, v91, v58
	v_fma_f32 v54, v90, v58, -v55
	s_wait_loadcnt_dscnt 0x504
	v_dual_mul_f32 v122, v96, v65 :: v_dual_mul_f32 v123, v98, v67
	v_dual_add_f32 v52, v53, v52 :: v_dual_mul_f32 v53, v95, v63
	v_fmac_f32_e32 v120, v93, v60
	s_wait_loadcnt_dscnt 0x403
	v_dual_mul_f32 v124, v100, v69 :: v_dual_mul_f32 v125, v102, v71
	s_delay_alu instid0(VALU_DEP_3) | instskip(SKIP_3) | instid1(VALU_DEP_4)
	v_dual_add_f32 v52, v52, v54 :: v_dual_add_f32 v49, 0, v49
	v_mul_f32_e32 v54, v97, v65
	v_fma_f32 v53, v94, v62, -v53
	v_dual_fmac_f32 v121, v95, v62 :: v_dual_fmac_f32 v122, v97, v64
	v_add_f32_e32 v49, v49, v50
	v_mul_f32_e32 v50, v93, v61
	v_fma_f32 v54, v96, v64, -v54
	v_dual_fmac_f32 v123, v99, v66 :: v_dual_fmac_f32 v124, v101, v68
	s_wait_loadcnt_dscnt 0x302
	v_dual_mul_f32 v126, v104, v73 :: v_dual_mul_f32 v127, v106, v75
	v_fma_f32 v50, v92, v60, -v50
	s_wait_loadcnt_dscnt 0x201
	v_dual_mul_f32 v128, v108, v77 :: v_dual_mul_f32 v129, v110, v79
	s_wait_loadcnt_dscnt 0x100
	v_dual_mul_f32 v130, v112, v81 :: v_dual_mul_f32 v131, v114, v83
	v_add_f32_e32 v50, v52, v50
	v_mul_f32_e32 v52, v99, v67
	v_dual_fmac_f32 v128, v109, v76 :: v_dual_fmac_f32 v129, v111, v78
	s_delay_alu instid0(VALU_DEP_4) | instskip(NEXT) | instid1(VALU_DEP_4)
	v_dual_fmac_f32 v130, v113, v80 :: v_dual_fmac_f32 v131, v115, v82
	v_dual_add_f32 v50, v50, v53 :: v_dual_add_f32 v49, v49, v118
	v_mul_f32_e32 v53, v101, v69
	v_fma_f32 v52, v98, v66, -v52
	v_fmac_f32_e32 v125, v103, v70
	s_delay_alu instid0(VALU_DEP_4)
	v_add_f32_e32 v50, v50, v54
	v_mul_f32_e32 v54, v103, v71
	v_add_f32_e32 v49, v49, v119
	v_fma_f32 v53, v100, v68, -v53
	v_fmac_f32_e32 v126, v105, v72
	v_add_f32_e32 v50, v50, v52
	v_mul_f32_e32 v52, v105, v73
	v_add_f32_e32 v49, v49, v120
	v_fma_f32 v54, v102, v70, -v54
	s_delay_alu instid0(VALU_DEP_4) | instskip(SKIP_1) | instid1(VALU_DEP_4)
	v_dual_fmac_f32 v127, v107, v74 :: v_dual_add_f32 v50, v50, v53
	v_mul_f32_e32 v53, v107, v75
	v_add_f32_e32 v49, v49, v121
	v_fma_f32 v52, v104, v72, -v52
	s_delay_alu instid0(VALU_DEP_4) | instskip(NEXT) | instid1(VALU_DEP_4)
	v_add_f32_e32 v50, v50, v54
	v_fma_f32 v53, v106, v74, -v53
	s_delay_alu instid0(VALU_DEP_4) | instskip(SKIP_1) | instid1(VALU_DEP_4)
	v_add_f32_e32 v49, v49, v122
	v_mul_f32_e32 v54, v109, v77
	v_add_f32_e32 v50, v50, v52
	v_mul_f32_e32 v52, v111, v79
	s_delay_alu instid0(VALU_DEP_4) | instskip(NEXT) | instid1(VALU_DEP_4)
	v_add_f32_e32 v49, v49, v123
	v_fma_f32 v54, v108, v76, -v54
	s_delay_alu instid0(VALU_DEP_4) | instskip(SKIP_1) | instid1(VALU_DEP_4)
	v_add_f32_e32 v50, v50, v53
	v_mul_f32_e32 v53, v113, v81
	v_add_f32_e32 v49, v49, v124
	v_fma_f32 v52, v110, v78, -v52
	s_delay_alu instid0(VALU_DEP_4) | instskip(NEXT) | instid1(VALU_DEP_3)
	v_add_f32_e32 v50, v50, v54
	v_dual_mul_f32 v54, v115, v83 :: v_dual_add_f32 v49, v49, v125
	v_fma_f32 v53, v112, v80, -v53
	s_delay_alu instid0(VALU_DEP_3) | instskip(NEXT) | instid1(VALU_DEP_3)
	v_add_f32_e32 v50, v50, v52
	v_fma_f32 v52, v114, v82, -v54
	s_delay_alu instid0(VALU_DEP_2) | instskip(NEXT) | instid1(VALU_DEP_1)
	v_dual_add_f32 v49, v49, v126 :: v_dual_add_f32 v50, v50, v53
	v_dual_add_f32 v49, v49, v127 :: v_dual_add_f32 v50, v50, v52
	s_delay_alu instid0(VALU_DEP_1) | instskip(NEXT) | instid1(VALU_DEP_1)
	v_add_f32_e32 v49, v49, v128
	v_add_f32_e32 v49, v49, v129
	s_delay_alu instid0(VALU_DEP_1) | instskip(SKIP_1) | instid1(VALU_DEP_1)
	v_add_f32_e32 v49, v49, v130
	s_wait_loadcnt 0x0
	v_dual_add_f32 v52, v49, v131 :: v_dual_sub_f32 v49, v116, v50
	s_delay_alu instid0(VALU_DEP_1)
	v_sub_f32_e32 v50, v117, v52
	scratch_store_b64 off, v[49:50], off offset:56
	v_cmpx_lt_u32_e32 6, v0
	s_cbranch_execz .LBB87_145
; %bb.144:
	scratch_load_b64 v[49:50], off, off offset:48
	v_mov_b32_e32 v52, 0
	s_delay_alu instid0(VALU_DEP_1)
	v_mov_b32_e32 v53, v52
	scratch_store_b64 off, v[52:53], off offset:48
	s_wait_loadcnt 0x0
	ds_store_b64 v51, v[49:50]
.LBB87_145:
	s_wait_alu 0xfffe
	s_or_b32 exec_lo, exec_lo, s0
	s_wait_storecnt_dscnt 0x0
	s_barrier_signal -1
	s_barrier_wait -1
	global_inv scope:SCOPE_SE
	s_clause 0x9
	scratch_load_b128 v[52:55], off, off offset:56
	scratch_load_b128 v[56:59], off, off offset:72
	;; [unrolled: 1-line block ×8, first 2 shown]
	scratch_load_b64 v[116:117], off, off offset:184
	scratch_load_b64 v[118:119], off, off offset:48
	v_mov_b32_e32 v49, 0
	ds_load_2addr_b64 v[84:87], v49 offset0:31 offset1:32
	ds_load_2addr_b64 v[88:91], v49 offset0:33 offset1:34
	;; [unrolled: 1-line block ×8, first 2 shown]
	ds_load_b64 v[120:121], v49 offset:376
	s_mov_b32 s0, exec_lo
	s_wait_loadcnt_dscnt 0x908
	v_mul_f32_e32 v50, v84, v53
	s_wait_loadcnt_dscnt 0x807
	v_dual_mul_f32 v122, v86, v55 :: v_dual_mul_f32 v123, v88, v57
	v_mul_f32_e32 v53, v85, v53
	s_delay_alu instid0(VALU_DEP_3)
	v_dual_mul_f32 v55, v87, v55 :: v_dual_fmac_f32 v50, v85, v52
	s_wait_loadcnt_dscnt 0x302
	v_mul_f32_e32 v134, v110, v79
	v_dual_mul_f32 v124, v90, v59 :: v_dual_mul_f32 v125, v92, v61
	s_wait_loadcnt_dscnt 0x100
	v_mul_f32_e32 v137, v120, v117
	v_fma_f32 v53, v84, v52, -v53
	v_mul_f32_e32 v52, v89, v57
	v_fmac_f32_e32 v122, v87, v54
	v_fma_f32 v54, v86, v54, -v55
	v_dual_add_f32 v50, 0, v50 :: v_dual_mul_f32 v55, v91, v59
	v_add_f32_e32 v53, 0, v53
	v_fmac_f32_e32 v123, v89, v56
	v_fma_f32 v52, v88, v56, -v52
	s_delay_alu instid0(VALU_DEP_4)
	v_add_f32_e32 v50, v50, v122
	v_fma_f32 v55, v90, v58, -v55
	v_add_f32_e32 v53, v53, v54
	v_mul_f32_e32 v54, v93, v61
	v_dual_mul_f32 v128, v98, v67 :: v_dual_mul_f32 v129, v100, v69
	v_add_f32_e32 v50, v50, v123
	s_delay_alu instid0(VALU_DEP_4) | instskip(NEXT) | instid1(VALU_DEP_4)
	v_dual_add_f32 v52, v53, v52 :: v_dual_mul_f32 v53, v95, v63
	v_fma_f32 v54, v92, v60, -v54
	v_dual_mul_f32 v130, v102, v71 :: v_dual_mul_f32 v131, v104, v73
	s_delay_alu instid0(VALU_DEP_3) | instskip(NEXT) | instid1(VALU_DEP_4)
	v_dual_add_f32 v52, v52, v55 :: v_dual_mul_f32 v55, v97, v65
	v_fma_f32 v53, v94, v62, -v53
	v_dual_mul_f32 v132, v106, v75 :: v_dual_mul_f32 v133, v108, v77
	s_delay_alu instid0(VALU_DEP_3) | instskip(SKIP_3) | instid1(VALU_DEP_4)
	v_dual_add_f32 v52, v52, v54 :: v_dual_fmac_f32 v129, v101, v68
	v_dual_fmac_f32 v124, v91, v58 :: v_dual_fmac_f32 v125, v93, v60
	v_dual_mul_f32 v54, v99, v67 :: v_dual_fmac_f32 v131, v105, v72
	v_fma_f32 v55, v96, v64, -v55
	v_dual_add_f32 v52, v52, v53 :: v_dual_fmac_f32 v133, v109, v76
	v_dual_mul_f32 v135, v112, v81 :: v_dual_mul_f32 v136, v114, v83
	v_dual_add_f32 v50, v50, v124 :: v_dual_mul_f32 v53, v101, v69
	v_fma_f32 v54, v98, v66, -v54
	s_delay_alu instid0(VALU_DEP_3) | instskip(SKIP_3) | instid1(VALU_DEP_4)
	v_dual_add_f32 v52, v52, v55 :: v_dual_fmac_f32 v135, v113, v80
	v_dual_mul_f32 v126, v94, v63 :: v_dual_mul_f32 v127, v96, v65
	v_mul_f32_e32 v55, v103, v71
	v_fma_f32 v53, v100, v68, -v53
	v_add_f32_e32 v52, v52, v54
	s_delay_alu instid0(VALU_DEP_4) | instskip(SKIP_4) | instid1(VALU_DEP_4)
	v_dual_fmac_f32 v126, v95, v62 :: v_dual_fmac_f32 v127, v97, v64
	v_add_f32_e32 v50, v50, v125
	v_mul_f32_e32 v54, v105, v73
	v_fma_f32 v55, v102, v70, -v55
	v_dual_add_f32 v52, v52, v53 :: v_dual_mul_f32 v53, v107, v75
	v_add_f32_e32 v50, v50, v126
	s_delay_alu instid0(VALU_DEP_4) | instskip(SKIP_1) | instid1(VALU_DEP_4)
	v_fma_f32 v54, v104, v72, -v54
	v_fmac_f32_e32 v128, v99, v66
	v_dual_add_f32 v52, v52, v55 :: v_dual_mul_f32 v55, v109, v77
	s_delay_alu instid0(VALU_DEP_4) | instskip(SKIP_1) | instid1(VALU_DEP_3)
	v_dual_add_f32 v50, v50, v127 :: v_dual_fmac_f32 v137, v121, v116
	v_fma_f32 v53, v106, v74, -v53
	v_add_f32_e32 v52, v52, v54
	v_fmac_f32_e32 v130, v103, v70
	v_fmac_f32_e32 v132, v107, v74
	v_mul_f32_e32 v54, v111, v79
	v_fma_f32 v55, v108, v76, -v55
	v_add_f32_e32 v52, v52, v53
	v_dual_mul_f32 v53, v113, v81 :: v_dual_add_f32 v50, v50, v128
	v_fmac_f32_e32 v134, v111, v78
	v_fma_f32 v54, v110, v78, -v54
	s_delay_alu instid0(VALU_DEP_4) | instskip(NEXT) | instid1(VALU_DEP_4)
	v_add_f32_e32 v52, v52, v55
	v_dual_mul_f32 v55, v115, v83 :: v_dual_add_f32 v50, v50, v129
	v_fma_f32 v53, v112, v80, -v53
	v_fmac_f32_e32 v136, v115, v82
	s_delay_alu instid0(VALU_DEP_4) | instskip(SKIP_3) | instid1(VALU_DEP_4)
	v_add_f32_e32 v52, v52, v54
	v_mul_f32_e32 v54, v121, v117
	v_add_f32_e32 v50, v50, v130
	v_fma_f32 v55, v114, v82, -v55
	v_add_f32_e32 v52, v52, v53
	s_delay_alu instid0(VALU_DEP_4) | instskip(NEXT) | instid1(VALU_DEP_4)
	v_fma_f32 v53, v120, v116, -v54
	v_add_f32_e32 v50, v50, v131
	s_delay_alu instid0(VALU_DEP_3) | instskip(NEXT) | instid1(VALU_DEP_2)
	v_add_f32_e32 v52, v52, v55
	v_add_f32_e32 v50, v50, v132
	s_delay_alu instid0(VALU_DEP_2) | instskip(NEXT) | instid1(VALU_DEP_2)
	v_add_f32_e32 v52, v52, v53
	v_add_f32_e32 v50, v50, v133
	s_wait_loadcnt 0x0
	s_delay_alu instid0(VALU_DEP_2) | instskip(NEXT) | instid1(VALU_DEP_2)
	v_sub_f32_e32 v52, v118, v52
	v_add_f32_e32 v50, v50, v134
	s_delay_alu instid0(VALU_DEP_1) | instskip(NEXT) | instid1(VALU_DEP_1)
	v_add_f32_e32 v50, v50, v135
	v_add_f32_e32 v50, v50, v136
	s_delay_alu instid0(VALU_DEP_1) | instskip(NEXT) | instid1(VALU_DEP_1)
	v_add_f32_e32 v50, v50, v137
	v_sub_f32_e32 v53, v119, v50
	scratch_store_b64 off, v[52:53], off offset:48
	v_cmpx_lt_u32_e32 5, v0
	s_cbranch_execz .LBB87_147
; %bb.146:
	scratch_load_b64 v[52:53], off, off offset:40
	v_mov_b32_e32 v50, v49
	scratch_store_b64 off, v[49:50], off offset:40
	s_wait_loadcnt 0x0
	ds_store_b64 v51, v[52:53]
.LBB87_147:
	s_wait_alu 0xfffe
	s_or_b32 exec_lo, exec_lo, s0
	s_wait_storecnt_dscnt 0x0
	s_barrier_signal -1
	s_barrier_wait -1
	global_inv scope:SCOPE_SE
	s_clause 0x9
	scratch_load_b128 v[52:55], off, off offset:48
	scratch_load_b128 v[56:59], off, off offset:64
	;; [unrolled: 1-line block ×9, first 2 shown]
	scratch_load_b64 v[124:125], off, off offset:40
	ds_load_b128 v[88:91], v49 offset:240
	ds_load_b128 v[92:95], v49 offset:256
	ds_load_b128 v[96:99], v49 offset:272
	ds_load_b128 v[100:103], v49 offset:288
	ds_load_b128 v[104:107], v49 offset:304
	ds_load_b128 v[108:111], v49 offset:320
	ds_load_b128 v[112:115], v49 offset:336
	ds_load_b128 v[116:119], v49 offset:352
	ds_load_b128 v[120:123], v49 offset:368
	s_mov_b32 s0, exec_lo
	s_wait_loadcnt_dscnt 0x908
	v_dual_mul_f32 v49, v88, v53 :: v_dual_mul_f32 v50, v90, v55
	v_mul_f32_e32 v53, v89, v53
	s_wait_loadcnt_dscnt 0x807
	v_dual_mul_f32 v55, v91, v55 :: v_dual_mul_f32 v126, v92, v57
	s_delay_alu instid0(VALU_DEP_3) | instskip(NEXT) | instid1(VALU_DEP_3)
	v_dual_mul_f32 v127, v94, v59 :: v_dual_fmac_f32 v50, v91, v54
	v_fma_f32 v53, v88, v52, -v53
	v_fmac_f32_e32 v49, v89, v52
	v_mul_f32_e32 v52, v93, v57
	v_fma_f32 v54, v90, v54, -v55
	v_mul_f32_e32 v55, v95, v59
	v_dual_add_f32 v53, 0, v53 :: v_dual_fmac_f32 v126, v93, v56
	s_delay_alu instid0(VALU_DEP_4) | instskip(SKIP_2) | instid1(VALU_DEP_3)
	v_fma_f32 v52, v92, v56, -v52
	s_wait_loadcnt_dscnt 0x706
	v_dual_mul_f32 v128, v96, v61 :: v_dual_mul_f32 v129, v98, v63
	v_add_f32_e32 v53, v53, v54
	v_fmac_f32_e32 v127, v95, v58
	v_fma_f32 v54, v94, v58, -v55
	s_wait_loadcnt_dscnt 0x605
	v_dual_mul_f32 v130, v100, v65 :: v_dual_mul_f32 v131, v102, v67
	v_dual_add_f32 v52, v53, v52 :: v_dual_mul_f32 v53, v99, v63
	v_fmac_f32_e32 v128, v97, v60
	s_wait_loadcnt_dscnt 0x504
	v_dual_mul_f32 v132, v104, v69 :: v_dual_mul_f32 v133, v106, v71
	s_delay_alu instid0(VALU_DEP_3) | instskip(SKIP_3) | instid1(VALU_DEP_4)
	v_dual_add_f32 v52, v52, v54 :: v_dual_add_f32 v49, 0, v49
	v_mul_f32_e32 v54, v101, v65
	v_fma_f32 v53, v98, v62, -v53
	v_dual_fmac_f32 v129, v99, v62 :: v_dual_fmac_f32 v130, v101, v64
	v_add_f32_e32 v49, v49, v50
	v_mul_f32_e32 v50, v97, v61
	v_fma_f32 v54, v100, v64, -v54
	v_dual_fmac_f32 v131, v103, v66 :: v_dual_fmac_f32 v132, v105, v68
	s_wait_loadcnt_dscnt 0x403
	v_dual_mul_f32 v134, v108, v73 :: v_dual_mul_f32 v135, v110, v75
	v_fma_f32 v50, v96, v60, -v50
	s_wait_loadcnt_dscnt 0x302
	v_dual_mul_f32 v136, v112, v77 :: v_dual_mul_f32 v137, v114, v79
	s_wait_loadcnt_dscnt 0x201
	v_dual_mul_f32 v138, v116, v81 :: v_dual_mul_f32 v139, v118, v83
	v_add_f32_e32 v50, v52, v50
	v_mul_f32_e32 v52, v103, v67
	v_dual_fmac_f32 v136, v113, v76 :: v_dual_fmac_f32 v137, v115, v78
	s_delay_alu instid0(VALU_DEP_4) | instskip(NEXT) | instid1(VALU_DEP_4)
	v_dual_fmac_f32 v138, v117, v80 :: v_dual_fmac_f32 v139, v119, v82
	v_dual_add_f32 v50, v50, v53 :: v_dual_add_f32 v49, v49, v126
	v_mul_f32_e32 v53, v105, v69
	v_fma_f32 v52, v102, v66, -v52
	v_fmac_f32_e32 v133, v107, v70
	s_delay_alu instid0(VALU_DEP_4)
	v_add_f32_e32 v50, v50, v54
	v_mul_f32_e32 v54, v107, v71
	v_add_f32_e32 v49, v49, v127
	v_fma_f32 v53, v104, v68, -v53
	v_fmac_f32_e32 v134, v109, v72
	v_add_f32_e32 v50, v50, v52
	v_mul_f32_e32 v52, v109, v73
	v_add_f32_e32 v49, v49, v128
	v_fma_f32 v54, v106, v70, -v54
	s_delay_alu instid0(VALU_DEP_4) | instskip(SKIP_1) | instid1(VALU_DEP_4)
	v_dual_fmac_f32 v135, v111, v74 :: v_dual_add_f32 v50, v50, v53
	v_mul_f32_e32 v53, v111, v75
	v_add_f32_e32 v49, v49, v129
	v_fma_f32 v52, v108, v72, -v52
	s_wait_loadcnt_dscnt 0x100
	v_dual_mul_f32 v140, v120, v85 :: v_dual_mul_f32 v141, v122, v87
	v_add_f32_e32 v50, v50, v54
	v_add_f32_e32 v49, v49, v130
	v_fma_f32 v53, v110, v74, -v53
	v_mul_f32_e32 v54, v113, v77
	v_dual_fmac_f32 v140, v121, v84 :: v_dual_fmac_f32 v141, v123, v86
	s_delay_alu instid0(VALU_DEP_4) | instskip(SKIP_1) | instid1(VALU_DEP_4)
	v_dual_add_f32 v50, v50, v52 :: v_dual_add_f32 v49, v49, v131
	v_mul_f32_e32 v52, v115, v79
	v_fma_f32 v54, v112, v76, -v54
	s_delay_alu instid0(VALU_DEP_3) | instskip(SKIP_1) | instid1(VALU_DEP_4)
	v_dual_add_f32 v50, v50, v53 :: v_dual_add_f32 v49, v49, v132
	v_mul_f32_e32 v53, v117, v81
	v_fma_f32 v52, v114, v78, -v52
	s_delay_alu instid0(VALU_DEP_3) | instskip(SKIP_1) | instid1(VALU_DEP_4)
	;; [unrolled: 4-line block ×4, first 2 shown]
	v_dual_add_f32 v50, v50, v53 :: v_dual_add_f32 v49, v49, v135
	v_mul_f32_e32 v53, v123, v87
	v_fma_f32 v52, v120, v84, -v52
	s_delay_alu instid0(VALU_DEP_3) | instskip(NEXT) | instid1(VALU_DEP_3)
	v_dual_add_f32 v50, v50, v54 :: v_dual_add_f32 v49, v49, v136
	v_fma_f32 v53, v122, v86, -v53
	s_delay_alu instid0(VALU_DEP_2) | instskip(NEXT) | instid1(VALU_DEP_1)
	v_dual_add_f32 v50, v50, v52 :: v_dual_add_f32 v49, v49, v137
	v_dual_add_f32 v50, v50, v53 :: v_dual_add_f32 v49, v49, v138
	s_delay_alu instid0(VALU_DEP_1) | instskip(NEXT) | instid1(VALU_DEP_1)
	v_add_f32_e32 v49, v49, v139
	v_add_f32_e32 v49, v49, v140
	s_wait_loadcnt 0x0
	s_delay_alu instid0(VALU_DEP_1) | instskip(NEXT) | instid1(VALU_DEP_1)
	v_dual_add_f32 v52, v49, v141 :: v_dual_sub_f32 v49, v124, v50
	v_sub_f32_e32 v50, v125, v52
	scratch_store_b64 off, v[49:50], off offset:40
	v_cmpx_lt_u32_e32 4, v0
	s_cbranch_execz .LBB87_149
; %bb.148:
	scratch_load_b64 v[49:50], off, off offset:32
	v_mov_b32_e32 v52, 0
	s_delay_alu instid0(VALU_DEP_1)
	v_mov_b32_e32 v53, v52
	scratch_store_b64 off, v[52:53], off offset:32
	s_wait_loadcnt 0x0
	ds_store_b64 v51, v[49:50]
.LBB87_149:
	s_wait_alu 0xfffe
	s_or_b32 exec_lo, exec_lo, s0
	s_wait_storecnt_dscnt 0x0
	s_barrier_signal -1
	s_barrier_wait -1
	global_inv scope:SCOPE_SE
	s_clause 0xa
	scratch_load_b128 v[52:55], off, off offset:40
	scratch_load_b128 v[56:59], off, off offset:56
	;; [unrolled: 1-line block ×9, first 2 shown]
	scratch_load_b64 v[124:125], off, off offset:184
	scratch_load_b64 v[126:127], off, off offset:32
	v_mov_b32_e32 v49, 0
	ds_load_2addr_b64 v[88:91], v49 offset0:29 offset1:30
	ds_load_2addr_b64 v[92:95], v49 offset0:31 offset1:32
	;; [unrolled: 1-line block ×9, first 2 shown]
	ds_load_b64 v[128:129], v49 offset:376
	s_mov_b32 s0, exec_lo
	s_wait_loadcnt_dscnt 0xa09
	v_mul_f32_e32 v50, v88, v53
	s_wait_loadcnt_dscnt 0x908
	v_dual_mul_f32 v130, v90, v55 :: v_dual_mul_f32 v131, v92, v57
	v_mul_f32_e32 v53, v89, v53
	s_delay_alu instid0(VALU_DEP_3)
	v_dual_mul_f32 v55, v91, v55 :: v_dual_fmac_f32 v50, v89, v52
	s_wait_loadcnt_dscnt 0x807
	v_dual_mul_f32 v132, v94, v59 :: v_dual_mul_f32 v133, v96, v61
	s_wait_loadcnt_dscnt 0x100
	v_dual_mul_f32 v144, v118, v83 :: v_dual_mul_f32 v147, v128, v125
	v_fma_f32 v53, v88, v52, -v53
	v_mul_f32_e32 v52, v93, v57
	v_fmac_f32_e32 v130, v91, v54
	v_fma_f32 v54, v90, v54, -v55
	v_dual_add_f32 v50, 0, v50 :: v_dual_mul_f32 v55, v95, v59
	v_add_f32_e32 v53, 0, v53
	v_fmac_f32_e32 v131, v93, v56
	v_fma_f32 v52, v92, v56, -v52
	s_delay_alu instid0(VALU_DEP_4)
	v_add_f32_e32 v50, v50, v130
	v_fma_f32 v55, v94, v58, -v55
	v_add_f32_e32 v53, v53, v54
	v_mul_f32_e32 v54, v97, v61
	v_dual_mul_f32 v136, v102, v67 :: v_dual_mul_f32 v137, v104, v69
	v_add_f32_e32 v50, v50, v131
	s_delay_alu instid0(VALU_DEP_4) | instskip(NEXT) | instid1(VALU_DEP_4)
	v_dual_add_f32 v52, v53, v52 :: v_dual_mul_f32 v53, v99, v63
	v_fma_f32 v54, v96, v60, -v54
	v_dual_mul_f32 v138, v106, v71 :: v_dual_mul_f32 v139, v108, v73
	s_delay_alu instid0(VALU_DEP_3) | instskip(NEXT) | instid1(VALU_DEP_4)
	v_dual_add_f32 v52, v52, v55 :: v_dual_mul_f32 v55, v101, v65
	v_fma_f32 v53, v98, v62, -v53
	v_dual_mul_f32 v140, v110, v75 :: v_dual_mul_f32 v141, v112, v77
	s_delay_alu instid0(VALU_DEP_3) | instskip(SKIP_3) | instid1(VALU_DEP_4)
	v_dual_add_f32 v52, v52, v54 :: v_dual_fmac_f32 v137, v105, v68
	v_dual_fmac_f32 v132, v95, v58 :: v_dual_fmac_f32 v133, v97, v60
	v_dual_mul_f32 v54, v103, v67 :: v_dual_fmac_f32 v139, v109, v72
	v_fma_f32 v55, v100, v64, -v55
	v_dual_add_f32 v52, v52, v53 :: v_dual_fmac_f32 v141, v113, v76
	v_dual_mul_f32 v142, v114, v79 :: v_dual_mul_f32 v143, v116, v81
	v_dual_add_f32 v50, v50, v132 :: v_dual_mul_f32 v53, v105, v69
	v_fma_f32 v54, v102, v66, -v54
	s_delay_alu instid0(VALU_DEP_3) | instskip(SKIP_1) | instid1(VALU_DEP_4)
	v_dual_add_f32 v52, v52, v55 :: v_dual_fmac_f32 v143, v117, v80
	v_mul_f32_e32 v55, v107, v71
	v_fma_f32 v53, v104, v68, -v53
	v_dual_mul_f32 v134, v98, v63 :: v_dual_mul_f32 v135, v100, v65
	s_delay_alu instid0(VALU_DEP_4) | instskip(SKIP_2) | instid1(VALU_DEP_4)
	v_add_f32_e32 v52, v52, v54
	v_mul_f32_e32 v54, v109, v73
	v_fma_f32 v55, v106, v70, -v55
	v_dual_fmac_f32 v134, v99, v62 :: v_dual_fmac_f32 v135, v101, v64
	s_delay_alu instid0(VALU_DEP_4) | instskip(SKIP_2) | instid1(VALU_DEP_3)
	v_dual_add_f32 v52, v52, v53 :: v_dual_fmac_f32 v147, v129, v124
	v_dual_add_f32 v50, v50, v133 :: v_dual_mul_f32 v53, v111, v75
	v_fma_f32 v54, v108, v72, -v54
	v_dual_add_f32 v52, v52, v55 :: v_dual_mul_f32 v55, v113, v77
	s_delay_alu instid0(VALU_DEP_3) | instskip(NEXT) | instid1(VALU_DEP_4)
	v_add_f32_e32 v50, v50, v134
	v_fma_f32 v53, v110, v74, -v53
	v_dual_mul_f32 v145, v120, v85 :: v_dual_mul_f32 v146, v122, v87
	s_delay_alu instid0(VALU_DEP_4)
	v_add_f32_e32 v52, v52, v54
	v_mul_f32_e32 v54, v115, v79
	v_fma_f32 v55, v112, v76, -v55
	v_fmac_f32_e32 v136, v103, v66
	v_dual_add_f32 v50, v50, v135 :: v_dual_fmac_f32 v145, v121, v84
	v_add_f32_e32 v52, v52, v53
	v_mul_f32_e32 v53, v117, v81
	v_fma_f32 v54, v114, v78, -v54
	s_delay_alu instid0(VALU_DEP_4)
	v_add_f32_e32 v50, v50, v136
	v_fmac_f32_e32 v138, v107, v70
	v_add_f32_e32 v52, v52, v55
	v_mul_f32_e32 v55, v119, v83
	v_fma_f32 v53, v116, v80, -v53
	v_fmac_f32_e32 v140, v111, v74
	v_fmac_f32_e32 v142, v115, v78
	v_add_f32_e32 v52, v52, v54
	v_fma_f32 v55, v118, v82, -v55
	v_mul_f32_e32 v54, v121, v85
	v_fmac_f32_e32 v144, v119, v82
	v_fmac_f32_e32 v146, v123, v86
	v_dual_add_f32 v52, v52, v53 :: v_dual_mul_f32 v53, v123, v87
	v_add_f32_e32 v50, v50, v137
	v_fma_f32 v54, v120, v84, -v54
	s_delay_alu instid0(VALU_DEP_3) | instskip(NEXT) | instid1(VALU_DEP_3)
	v_dual_add_f32 v52, v52, v55 :: v_dual_mul_f32 v55, v129, v125
	v_add_f32_e32 v50, v50, v138
	v_fma_f32 v53, v122, v86, -v53
	s_delay_alu instid0(VALU_DEP_3) | instskip(NEXT) | instid1(VALU_DEP_4)
	v_add_f32_e32 v52, v52, v54
	v_fma_f32 v54, v128, v124, -v55
	s_delay_alu instid0(VALU_DEP_4) | instskip(NEXT) | instid1(VALU_DEP_3)
	v_add_f32_e32 v50, v50, v139
	v_add_f32_e32 v52, v52, v53
	s_delay_alu instid0(VALU_DEP_2) | instskip(NEXT) | instid1(VALU_DEP_2)
	v_add_f32_e32 v50, v50, v140
	v_add_f32_e32 v52, v52, v54
	s_delay_alu instid0(VALU_DEP_2) | instskip(SKIP_1) | instid1(VALU_DEP_2)
	v_add_f32_e32 v50, v50, v141
	s_wait_loadcnt 0x0
	v_sub_f32_e32 v52, v126, v52
	s_delay_alu instid0(VALU_DEP_2) | instskip(NEXT) | instid1(VALU_DEP_1)
	v_add_f32_e32 v50, v50, v142
	v_add_f32_e32 v50, v50, v143
	s_delay_alu instid0(VALU_DEP_1) | instskip(NEXT) | instid1(VALU_DEP_1)
	v_add_f32_e32 v50, v50, v144
	v_add_f32_e32 v50, v50, v145
	s_delay_alu instid0(VALU_DEP_1) | instskip(NEXT) | instid1(VALU_DEP_1)
	v_add_f32_e32 v50, v50, v146
	v_add_f32_e32 v50, v50, v147
	s_delay_alu instid0(VALU_DEP_1)
	v_sub_f32_e32 v53, v127, v50
	scratch_store_b64 off, v[52:53], off offset:32
	v_cmpx_lt_u32_e32 3, v0
	s_cbranch_execz .LBB87_151
; %bb.150:
	scratch_load_b64 v[52:53], off, off offset:24
	v_mov_b32_e32 v50, v49
	scratch_store_b64 off, v[49:50], off offset:24
	s_wait_loadcnt 0x0
	ds_store_b64 v51, v[52:53]
.LBB87_151:
	s_wait_alu 0xfffe
	s_or_b32 exec_lo, exec_lo, s0
	s_wait_storecnt_dscnt 0x0
	s_barrier_signal -1
	s_barrier_wait -1
	global_inv scope:SCOPE_SE
	s_clause 0xa
	scratch_load_b128 v[52:55], off, off offset:32
	scratch_load_b128 v[56:59], off, off offset:48
	;; [unrolled: 1-line block ×10, first 2 shown]
	scratch_load_b64 v[132:133], off, off offset:24
	ds_load_b128 v[92:95], v49 offset:224
	ds_load_b128 v[96:99], v49 offset:240
	;; [unrolled: 1-line block ×10, first 2 shown]
	s_mov_b32 s0, exec_lo
	s_wait_loadcnt_dscnt 0xa09
	v_dual_mul_f32 v49, v92, v53 :: v_dual_mul_f32 v50, v94, v55
	v_mul_f32_e32 v53, v93, v53
	s_wait_loadcnt_dscnt 0x908
	v_dual_mul_f32 v55, v95, v55 :: v_dual_mul_f32 v134, v96, v57
	s_delay_alu instid0(VALU_DEP_3) | instskip(NEXT) | instid1(VALU_DEP_3)
	v_dual_mul_f32 v135, v98, v59 :: v_dual_fmac_f32 v50, v95, v54
	v_fma_f32 v53, v92, v52, -v53
	v_fmac_f32_e32 v49, v93, v52
	v_mul_f32_e32 v52, v97, v57
	v_fma_f32 v54, v94, v54, -v55
	v_mul_f32_e32 v55, v99, v59
	v_dual_add_f32 v53, 0, v53 :: v_dual_fmac_f32 v134, v97, v56
	s_delay_alu instid0(VALU_DEP_4) | instskip(SKIP_2) | instid1(VALU_DEP_3)
	v_fma_f32 v52, v96, v56, -v52
	s_wait_loadcnt_dscnt 0x807
	v_dual_mul_f32 v136, v100, v61 :: v_dual_mul_f32 v137, v102, v63
	v_add_f32_e32 v53, v53, v54
	v_fmac_f32_e32 v135, v99, v58
	v_fma_f32 v54, v98, v58, -v55
	s_wait_loadcnt_dscnt 0x706
	v_dual_mul_f32 v138, v104, v65 :: v_dual_mul_f32 v139, v106, v67
	v_dual_add_f32 v52, v53, v52 :: v_dual_mul_f32 v53, v103, v63
	v_fmac_f32_e32 v136, v101, v60
	s_wait_loadcnt_dscnt 0x605
	v_dual_mul_f32 v140, v108, v69 :: v_dual_mul_f32 v141, v110, v71
	s_delay_alu instid0(VALU_DEP_3) | instskip(SKIP_3) | instid1(VALU_DEP_4)
	v_dual_add_f32 v52, v52, v54 :: v_dual_add_f32 v49, 0, v49
	v_mul_f32_e32 v54, v105, v65
	v_fma_f32 v53, v102, v62, -v53
	v_dual_fmac_f32 v137, v103, v62 :: v_dual_fmac_f32 v138, v105, v64
	v_add_f32_e32 v49, v49, v50
	v_mul_f32_e32 v50, v101, v61
	v_fma_f32 v54, v104, v64, -v54
	v_dual_fmac_f32 v139, v107, v66 :: v_dual_fmac_f32 v140, v109, v68
	s_wait_loadcnt_dscnt 0x504
	v_dual_mul_f32 v142, v112, v73 :: v_dual_mul_f32 v143, v114, v75
	v_fma_f32 v50, v100, v60, -v50
	s_wait_loadcnt_dscnt 0x403
	v_dual_mul_f32 v144, v116, v77 :: v_dual_mul_f32 v145, v118, v79
	s_wait_loadcnt_dscnt 0x302
	v_dual_mul_f32 v146, v120, v81 :: v_dual_mul_f32 v147, v122, v83
	v_add_f32_e32 v50, v52, v50
	v_mul_f32_e32 v52, v107, v67
	v_dual_fmac_f32 v144, v117, v76 :: v_dual_fmac_f32 v145, v119, v78
	s_delay_alu instid0(VALU_DEP_4) | instskip(NEXT) | instid1(VALU_DEP_4)
	v_dual_fmac_f32 v146, v121, v80 :: v_dual_fmac_f32 v147, v123, v82
	v_dual_add_f32 v50, v50, v53 :: v_dual_add_f32 v49, v49, v134
	v_mul_f32_e32 v53, v109, v69
	v_fma_f32 v52, v106, v66, -v52
	v_fmac_f32_e32 v141, v111, v70
	s_delay_alu instid0(VALU_DEP_4)
	v_add_f32_e32 v50, v50, v54
	v_mul_f32_e32 v54, v111, v71
	v_add_f32_e32 v49, v49, v135
	v_fma_f32 v53, v108, v68, -v53
	v_fmac_f32_e32 v142, v113, v72
	v_add_f32_e32 v50, v50, v52
	v_mul_f32_e32 v52, v113, v73
	v_add_f32_e32 v49, v49, v136
	v_fma_f32 v54, v110, v70, -v54
	s_delay_alu instid0(VALU_DEP_4) | instskip(SKIP_1) | instid1(VALU_DEP_4)
	v_dual_fmac_f32 v143, v115, v74 :: v_dual_add_f32 v50, v50, v53
	v_mul_f32_e32 v53, v115, v75
	v_add_f32_e32 v49, v49, v137
	v_fma_f32 v52, v112, v72, -v52
	s_wait_loadcnt_dscnt 0x201
	v_dual_mul_f32 v148, v124, v85 :: v_dual_mul_f32 v149, v126, v87
	v_add_f32_e32 v50, v50, v54
	v_add_f32_e32 v49, v49, v138
	v_fma_f32 v53, v114, v74, -v53
	v_mul_f32_e32 v54, v117, v77
	s_wait_loadcnt_dscnt 0x100
	v_dual_mul_f32 v150, v128, v89 :: v_dual_mul_f32 v151, v130, v91
	v_dual_add_f32 v50, v50, v52 :: v_dual_add_f32 v49, v49, v139
	v_mul_f32_e32 v52, v119, v79
	v_fma_f32 v54, v116, v76, -v54
	v_dual_fmac_f32 v148, v125, v84 :: v_dual_fmac_f32 v149, v127, v86
	s_delay_alu instid0(VALU_DEP_4) | instskip(SKIP_3) | instid1(VALU_DEP_4)
	v_dual_add_f32 v50, v50, v53 :: v_dual_add_f32 v49, v49, v140
	v_mul_f32_e32 v53, v121, v81
	v_fma_f32 v52, v118, v78, -v52
	v_fmac_f32_e32 v151, v131, v90
	v_dual_add_f32 v50, v50, v54 :: v_dual_add_f32 v49, v49, v141
	v_mul_f32_e32 v54, v123, v83
	v_fma_f32 v53, v120, v80, -v53
	s_delay_alu instid0(VALU_DEP_3) | instskip(SKIP_1) | instid1(VALU_DEP_4)
	v_dual_add_f32 v50, v50, v52 :: v_dual_add_f32 v49, v49, v142
	v_mul_f32_e32 v52, v125, v85
	v_fma_f32 v54, v122, v82, -v54
	s_delay_alu instid0(VALU_DEP_3) | instskip(SKIP_1) | instid1(VALU_DEP_4)
	;; [unrolled: 4-line block ×4, first 2 shown]
	v_dual_add_f32 v50, v50, v52 :: v_dual_add_f32 v49, v49, v145
	v_mul_f32_e32 v52, v131, v91
	v_fma_f32 v54, v128, v88, -v54
	s_delay_alu instid0(VALU_DEP_3) | instskip(NEXT) | instid1(VALU_DEP_3)
	v_dual_add_f32 v50, v50, v53 :: v_dual_add_f32 v49, v49, v146
	v_fma_f32 v52, v130, v90, -v52
	s_delay_alu instid0(VALU_DEP_2) | instskip(NEXT) | instid1(VALU_DEP_1)
	v_dual_add_f32 v50, v50, v54 :: v_dual_add_f32 v49, v49, v147
	v_add_f32_e32 v50, v50, v52
	s_delay_alu instid0(VALU_DEP_2) | instskip(SKIP_1) | instid1(VALU_DEP_2)
	v_add_f32_e32 v49, v49, v148
	v_fmac_f32_e32 v150, v129, v88
	v_add_f32_e32 v49, v49, v149
	s_delay_alu instid0(VALU_DEP_1) | instskip(SKIP_1) | instid1(VALU_DEP_1)
	v_add_f32_e32 v49, v49, v150
	s_wait_loadcnt 0x0
	v_dual_add_f32 v52, v49, v151 :: v_dual_sub_f32 v49, v132, v50
	s_delay_alu instid0(VALU_DEP_1)
	v_sub_f32_e32 v50, v133, v52
	scratch_store_b64 off, v[49:50], off offset:24
	v_cmpx_lt_u32_e32 2, v0
	s_cbranch_execz .LBB87_153
; %bb.152:
	scratch_load_b64 v[49:50], off, off offset:16
	v_mov_b32_e32 v52, 0
	s_delay_alu instid0(VALU_DEP_1)
	v_mov_b32_e32 v53, v52
	scratch_store_b64 off, v[52:53], off offset:16
	s_wait_loadcnt 0x0
	ds_store_b64 v51, v[49:50]
.LBB87_153:
	s_wait_alu 0xfffe
	s_or_b32 exec_lo, exec_lo, s0
	s_wait_storecnt_dscnt 0x0
	s_barrier_signal -1
	s_barrier_wait -1
	global_inv scope:SCOPE_SE
	s_clause 0xb
	scratch_load_b128 v[52:55], off, off offset:24
	scratch_load_b128 v[56:59], off, off offset:40
	scratch_load_b128 v[60:63], off, off offset:56
	scratch_load_b128 v[64:67], off, off offset:72
	scratch_load_b128 v[68:71], off, off offset:88
	scratch_load_b128 v[72:75], off, off offset:104
	scratch_load_b128 v[76:79], off, off offset:120
	scratch_load_b128 v[80:83], off, off offset:136
	scratch_load_b128 v[84:87], off, off offset:152
	scratch_load_b128 v[88:91], off, off offset:168
	scratch_load_b64 v[132:133], off, off offset:184
	scratch_load_b64 v[134:135], off, off offset:16
	v_mov_b32_e32 v49, 0
	ds_load_2addr_b64 v[92:95], v49 offset0:27 offset1:28
	ds_load_2addr_b64 v[96:99], v49 offset0:29 offset1:30
	;; [unrolled: 1-line block ×10, first 2 shown]
	ds_load_b64 v[136:137], v49 offset:376
	s_mov_b32 s0, exec_lo
	s_wait_loadcnt_dscnt 0xb0a
	v_mul_f32_e32 v50, v92, v53
	s_wait_loadcnt_dscnt 0xa09
	v_dual_mul_f32 v138, v94, v55 :: v_dual_mul_f32 v139, v96, v57
	v_mul_f32_e32 v55, v95, v55
	v_dual_mul_f32 v53, v93, v53 :: v_dual_mul_f32 v140, v98, v59
	s_wait_loadcnt_dscnt 0x908
	v_dual_mul_f32 v141, v100, v61 :: v_dual_fmac_f32 v50, v93, v52
	s_wait_loadcnt_dscnt 0x302
	v_mul_f32_e32 v154, v126, v87
	v_fma_f32 v53, v92, v52, -v53
	s_wait_loadcnt_dscnt 0x100
	v_mul_f32_e32 v157, v136, v133
	v_mul_f32_e32 v52, v97, v57
	v_fmac_f32_e32 v138, v95, v54
	v_fma_f32 v54, v94, v54, -v55
	v_dual_add_f32 v53, 0, v53 :: v_dual_add_f32 v50, 0, v50
	v_mul_f32_e32 v55, v99, v59
	v_fmac_f32_e32 v139, v97, v56
	v_fma_f32 v52, v96, v56, -v52
	v_dual_mul_f32 v144, v106, v67 :: v_dual_mul_f32 v145, v108, v69
	v_add_f32_e32 v50, v50, v138
	v_add_f32_e32 v53, v53, v54
	v_mul_f32_e32 v54, v101, v61
	v_fma_f32 v55, v98, v58, -v55
	v_dual_mul_f32 v146, v110, v71 :: v_dual_mul_f32 v147, v112, v73
	v_add_f32_e32 v50, v50, v139
	v_dual_add_f32 v52, v53, v52 :: v_dual_mul_f32 v53, v103, v63
	v_fma_f32 v54, v100, v60, -v54
	v_dual_mul_f32 v148, v114, v75 :: v_dual_mul_f32 v149, v116, v77
	s_delay_alu instid0(VALU_DEP_3) | instskip(NEXT) | instid1(VALU_DEP_4)
	v_dual_add_f32 v52, v52, v55 :: v_dual_mul_f32 v55, v105, v65
	v_fma_f32 v53, v102, v62, -v53
	v_dual_fmac_f32 v140, v99, v58 :: v_dual_fmac_f32 v141, v101, v60
	s_delay_alu instid0(VALU_DEP_3) | instskip(SKIP_2) | instid1(VALU_DEP_3)
	v_dual_add_f32 v52, v52, v54 :: v_dual_fmac_f32 v145, v109, v68
	v_dual_mul_f32 v54, v107, v67 :: v_dual_fmac_f32 v147, v113, v72
	v_fma_f32 v55, v104, v64, -v55
	v_dual_add_f32 v52, v52, v53 :: v_dual_fmac_f32 v149, v117, v76
	v_dual_mul_f32 v150, v118, v79 :: v_dual_mul_f32 v151, v120, v81
	v_dual_add_f32 v50, v50, v140 :: v_dual_mul_f32 v53, v109, v69
	v_fma_f32 v54, v106, v66, -v54
	s_delay_alu instid0(VALU_DEP_3) | instskip(SKIP_1) | instid1(VALU_DEP_4)
	v_dual_add_f32 v52, v52, v55 :: v_dual_fmac_f32 v151, v121, v80
	v_mul_f32_e32 v55, v111, v71
	v_fma_f32 v53, v108, v68, -v53
	v_dual_mul_f32 v142, v102, v63 :: v_dual_mul_f32 v143, v104, v65
	s_delay_alu instid0(VALU_DEP_4) | instskip(SKIP_3) | instid1(VALU_DEP_3)
	v_add_f32_e32 v52, v52, v54
	v_dual_mul_f32 v155, v128, v89 :: v_dual_mul_f32 v156, v130, v91
	v_mul_f32_e32 v54, v113, v73
	v_fma_f32 v55, v110, v70, -v55
	v_dual_add_f32 v52, v52, v53 :: v_dual_fmac_f32 v155, v129, v88
	v_dual_fmac_f32 v142, v103, v62 :: v_dual_fmac_f32 v143, v105, v64
	v_dual_add_f32 v50, v50, v141 :: v_dual_mul_f32 v53, v115, v75
	v_fma_f32 v54, v112, v72, -v54
	s_delay_alu instid0(VALU_DEP_4) | instskip(NEXT) | instid1(VALU_DEP_3)
	v_dual_add_f32 v52, v52, v55 :: v_dual_mul_f32 v55, v117, v77
	v_add_f32_e32 v50, v50, v142
	s_delay_alu instid0(VALU_DEP_4) | instskip(SKIP_1) | instid1(VALU_DEP_4)
	v_fma_f32 v53, v114, v74, -v53
	v_dual_mul_f32 v152, v122, v83 :: v_dual_mul_f32 v153, v124, v85
	v_add_f32_e32 v52, v52, v54
	v_mul_f32_e32 v54, v119, v79
	v_fma_f32 v55, v116, v76, -v55
	v_fmac_f32_e32 v144, v107, v66
	v_dual_add_f32 v50, v50, v143 :: v_dual_fmac_f32 v153, v125, v84
	v_add_f32_e32 v52, v52, v53
	v_mul_f32_e32 v53, v121, v81
	v_fma_f32 v54, v118, v78, -v54
	s_delay_alu instid0(VALU_DEP_4)
	v_add_f32_e32 v50, v50, v144
	v_fmac_f32_e32 v146, v111, v70
	v_add_f32_e32 v52, v52, v55
	v_mul_f32_e32 v55, v123, v83
	v_fma_f32 v53, v120, v80, -v53
	v_dual_fmac_f32 v157, v137, v132 :: v_dual_fmac_f32 v148, v115, v74
	s_delay_alu instid0(VALU_DEP_4) | instskip(NEXT) | instid1(VALU_DEP_4)
	v_add_f32_e32 v52, v52, v54
	v_fma_f32 v55, v122, v82, -v55
	v_fmac_f32_e32 v150, v119, v78
	v_mul_f32_e32 v54, v125, v85
	v_fmac_f32_e32 v152, v123, v82
	v_dual_add_f32 v52, v52, v53 :: v_dual_mul_f32 v53, v127, v87
	v_add_f32_e32 v50, v50, v145
	s_delay_alu instid0(VALU_DEP_4) | instskip(SKIP_1) | instid1(VALU_DEP_4)
	v_fma_f32 v54, v124, v84, -v54
	v_fmac_f32_e32 v154, v127, v86
	v_dual_add_f32 v52, v52, v55 :: v_dual_mul_f32 v55, v129, v89
	s_delay_alu instid0(VALU_DEP_4) | instskip(SKIP_2) | instid1(VALU_DEP_4)
	v_add_f32_e32 v50, v50, v146
	v_fma_f32 v53, v126, v86, -v53
	v_fmac_f32_e32 v156, v131, v90
	v_add_f32_e32 v52, v52, v54
	v_mul_f32_e32 v54, v131, v91
	v_add_f32_e32 v50, v50, v147
	v_fma_f32 v55, v128, v88, -v55
	s_delay_alu instid0(VALU_DEP_4) | instskip(NEXT) | instid1(VALU_DEP_3)
	v_add_f32_e32 v52, v52, v53
	v_dual_mul_f32 v53, v137, v133 :: v_dual_add_f32 v50, v50, v148
	v_fma_f32 v54, v130, v90, -v54
	s_delay_alu instid0(VALU_DEP_3) | instskip(NEXT) | instid1(VALU_DEP_3)
	v_add_f32_e32 v52, v52, v55
	v_fma_f32 v53, v136, v132, -v53
	s_delay_alu instid0(VALU_DEP_4) | instskip(NEXT) | instid1(VALU_DEP_3)
	v_add_f32_e32 v50, v50, v149
	v_add_f32_e32 v52, v52, v54
	s_delay_alu instid0(VALU_DEP_2) | instskip(NEXT) | instid1(VALU_DEP_2)
	v_add_f32_e32 v50, v50, v150
	v_add_f32_e32 v52, v52, v53
	s_delay_alu instid0(VALU_DEP_2) | instskip(SKIP_1) | instid1(VALU_DEP_2)
	v_add_f32_e32 v50, v50, v151
	s_wait_loadcnt 0x0
	v_sub_f32_e32 v52, v134, v52
	s_delay_alu instid0(VALU_DEP_2) | instskip(NEXT) | instid1(VALU_DEP_1)
	v_add_f32_e32 v50, v50, v152
	v_add_f32_e32 v50, v50, v153
	s_delay_alu instid0(VALU_DEP_1) | instskip(NEXT) | instid1(VALU_DEP_1)
	v_add_f32_e32 v50, v50, v154
	v_add_f32_e32 v50, v50, v155
	s_delay_alu instid0(VALU_DEP_1) | instskip(NEXT) | instid1(VALU_DEP_1)
	v_add_f32_e32 v50, v50, v156
	v_add_f32_e32 v50, v50, v157
	s_delay_alu instid0(VALU_DEP_1)
	v_sub_f32_e32 v53, v135, v50
	scratch_store_b64 off, v[52:53], off offset:16
	v_cmpx_lt_u32_e32 1, v0
	s_cbranch_execz .LBB87_155
; %bb.154:
	scratch_load_b64 v[52:53], off, off offset:8
	v_mov_b32_e32 v50, v49
	scratch_store_b64 off, v[49:50], off offset:8
	s_wait_loadcnt 0x0
	ds_store_b64 v51, v[52:53]
.LBB87_155:
	s_wait_alu 0xfffe
	s_or_b32 exec_lo, exec_lo, s0
	s_wait_storecnt_dscnt 0x0
	s_barrier_signal -1
	s_barrier_wait -1
	global_inv scope:SCOPE_SE
	s_clause 0xb
	scratch_load_b128 v[52:55], off, off offset:16
	scratch_load_b128 v[56:59], off, off offset:32
	;; [unrolled: 1-line block ×11, first 2 shown]
	scratch_load_b64 v[140:141], off, off offset:8
	ds_load_b128 v[96:99], v49 offset:208
	ds_load_b128 v[100:103], v49 offset:224
	;; [unrolled: 1-line block ×11, first 2 shown]
	s_mov_b32 s0, exec_lo
	s_wait_loadcnt_dscnt 0xb0a
	v_dual_mul_f32 v49, v96, v53 :: v_dual_mul_f32 v50, v98, v55
	v_mul_f32_e32 v53, v97, v53
	s_wait_loadcnt_dscnt 0xa09
	v_dual_mul_f32 v55, v99, v55 :: v_dual_mul_f32 v142, v100, v57
	s_delay_alu instid0(VALU_DEP_3) | instskip(NEXT) | instid1(VALU_DEP_3)
	v_dual_mul_f32 v143, v102, v59 :: v_dual_fmac_f32 v50, v99, v54
	v_fma_f32 v53, v96, v52, -v53
	v_fmac_f32_e32 v49, v97, v52
	v_mul_f32_e32 v52, v101, v57
	v_fma_f32 v54, v98, v54, -v55
	v_mul_f32_e32 v55, v103, v59
	v_dual_add_f32 v53, 0, v53 :: v_dual_fmac_f32 v142, v101, v56
	s_delay_alu instid0(VALU_DEP_4) | instskip(SKIP_2) | instid1(VALU_DEP_3)
	v_fma_f32 v52, v100, v56, -v52
	s_wait_loadcnt_dscnt 0x908
	v_dual_mul_f32 v144, v104, v61 :: v_dual_mul_f32 v145, v106, v63
	v_add_f32_e32 v53, v53, v54
	v_fmac_f32_e32 v143, v103, v58
	v_fma_f32 v54, v102, v58, -v55
	s_wait_loadcnt_dscnt 0x807
	v_dual_mul_f32 v146, v108, v65 :: v_dual_mul_f32 v147, v110, v67
	v_dual_add_f32 v52, v53, v52 :: v_dual_mul_f32 v53, v107, v63
	v_fmac_f32_e32 v144, v105, v60
	s_wait_loadcnt_dscnt 0x706
	v_dual_mul_f32 v148, v112, v69 :: v_dual_mul_f32 v149, v114, v71
	s_delay_alu instid0(VALU_DEP_3) | instskip(SKIP_3) | instid1(VALU_DEP_4)
	v_dual_add_f32 v52, v52, v54 :: v_dual_add_f32 v49, 0, v49
	v_mul_f32_e32 v54, v109, v65
	v_fma_f32 v53, v106, v62, -v53
	v_dual_fmac_f32 v145, v107, v62 :: v_dual_fmac_f32 v146, v109, v64
	v_add_f32_e32 v49, v49, v50
	v_mul_f32_e32 v50, v105, v61
	v_fma_f32 v54, v108, v64, -v54
	v_dual_fmac_f32 v147, v111, v66 :: v_dual_fmac_f32 v148, v113, v68
	s_wait_loadcnt_dscnt 0x605
	v_dual_mul_f32 v150, v116, v73 :: v_dual_mul_f32 v151, v118, v75
	v_fma_f32 v50, v104, v60, -v50
	s_wait_loadcnt_dscnt 0x504
	v_dual_mul_f32 v152, v120, v77 :: v_dual_mul_f32 v153, v122, v79
	s_wait_loadcnt_dscnt 0x403
	v_dual_mul_f32 v154, v124, v81 :: v_dual_mul_f32 v155, v126, v83
	v_add_f32_e32 v50, v52, v50
	v_mul_f32_e32 v52, v111, v67
	v_dual_fmac_f32 v152, v121, v76 :: v_dual_fmac_f32 v153, v123, v78
	s_delay_alu instid0(VALU_DEP_4) | instskip(NEXT) | instid1(VALU_DEP_4)
	v_dual_fmac_f32 v154, v125, v80 :: v_dual_fmac_f32 v155, v127, v82
	v_dual_add_f32 v50, v50, v53 :: v_dual_add_f32 v49, v49, v142
	v_mul_f32_e32 v53, v113, v69
	v_fma_f32 v52, v110, v66, -v52
	v_fmac_f32_e32 v149, v115, v70
	s_delay_alu instid0(VALU_DEP_4)
	v_add_f32_e32 v50, v50, v54
	v_mul_f32_e32 v54, v115, v71
	v_add_f32_e32 v49, v49, v143
	v_fma_f32 v53, v112, v68, -v53
	v_fmac_f32_e32 v150, v117, v72
	v_add_f32_e32 v50, v50, v52
	v_mul_f32_e32 v52, v117, v73
	v_add_f32_e32 v49, v49, v144
	v_fma_f32 v54, v114, v70, -v54
	s_delay_alu instid0(VALU_DEP_4) | instskip(SKIP_1) | instid1(VALU_DEP_4)
	v_dual_fmac_f32 v151, v119, v74 :: v_dual_add_f32 v50, v50, v53
	v_mul_f32_e32 v53, v119, v75
	v_add_f32_e32 v49, v49, v145
	v_fma_f32 v52, v116, v72, -v52
	s_wait_loadcnt_dscnt 0x302
	v_dual_mul_f32 v156, v128, v85 :: v_dual_mul_f32 v157, v130, v87
	v_add_f32_e32 v50, v50, v54
	v_add_f32_e32 v49, v49, v146
	v_fma_f32 v53, v118, v74, -v53
	v_mul_f32_e32 v54, v121, v77
	s_wait_loadcnt_dscnt 0x201
	v_dual_mul_f32 v158, v132, v89 :: v_dual_mul_f32 v159, v134, v91
	v_dual_add_f32 v50, v50, v52 :: v_dual_add_f32 v49, v49, v147
	v_mul_f32_e32 v52, v123, v79
	v_fma_f32 v54, v120, v76, -v54
	v_dual_fmac_f32 v156, v129, v84 :: v_dual_fmac_f32 v157, v131, v86
	s_delay_alu instid0(VALU_DEP_4)
	v_dual_add_f32 v50, v50, v53 :: v_dual_add_f32 v49, v49, v148
	v_mul_f32_e32 v53, v125, v81
	v_fma_f32 v52, v122, v78, -v52
	s_wait_loadcnt_dscnt 0x100
	v_dual_mul_f32 v160, v136, v93 :: v_dual_mul_f32 v161, v138, v95
	v_dual_add_f32 v49, v49, v149 :: v_dual_add_f32 v50, v50, v54
	v_mul_f32_e32 v54, v127, v83
	v_fma_f32 v53, v124, v80, -v53
	s_delay_alu instid0(VALU_DEP_4) | instskip(NEXT) | instid1(VALU_DEP_4)
	v_dual_fmac_f32 v158, v133, v88 :: v_dual_fmac_f32 v161, v139, v94
	v_dual_add_f32 v49, v49, v150 :: v_dual_add_f32 v50, v50, v52
	v_mul_f32_e32 v52, v129, v85
	v_fma_f32 v54, v126, v82, -v54
	v_fmac_f32_e32 v159, v135, v90
	s_delay_alu instid0(VALU_DEP_4) | instskip(SKIP_2) | instid1(VALU_DEP_3)
	v_dual_add_f32 v49, v49, v151 :: v_dual_add_f32 v50, v50, v53
	v_mul_f32_e32 v53, v131, v87
	v_fma_f32 v52, v128, v84, -v52
	v_dual_add_f32 v49, v49, v152 :: v_dual_add_f32 v50, v50, v54
	v_mul_f32_e32 v54, v133, v89
	s_delay_alu instid0(VALU_DEP_4) | instskip(NEXT) | instid1(VALU_DEP_3)
	v_fma_f32 v53, v130, v86, -v53
	v_dual_add_f32 v49, v49, v153 :: v_dual_add_f32 v50, v50, v52
	v_mul_f32_e32 v52, v135, v91
	s_delay_alu instid0(VALU_DEP_4) | instskip(NEXT) | instid1(VALU_DEP_3)
	;; [unrolled: 4-line block ×4, first 2 shown]
	v_fma_f32 v53, v136, v92, -v53
	v_add_f32_e32 v49, v49, v156
	s_delay_alu instid0(VALU_DEP_4) | instskip(NEXT) | instid1(VALU_DEP_4)
	v_add_f32_e32 v50, v50, v52
	v_fma_f32 v52, v138, v94, -v54
	s_delay_alu instid0(VALU_DEP_3) | instskip(NEXT) | instid1(VALU_DEP_1)
	v_add_f32_e32 v49, v49, v157
	v_dual_add_f32 v50, v50, v53 :: v_dual_add_f32 v49, v49, v158
	s_delay_alu instid0(VALU_DEP_1) | instskip(SKIP_1) | instid1(VALU_DEP_3)
	v_add_f32_e32 v50, v50, v52
	v_fmac_f32_e32 v160, v137, v92
	v_add_f32_e32 v49, v49, v159
	s_delay_alu instid0(VALU_DEP_1) | instskip(SKIP_1) | instid1(VALU_DEP_1)
	v_add_f32_e32 v49, v49, v160
	s_wait_loadcnt 0x0
	v_dual_add_f32 v52, v49, v161 :: v_dual_sub_f32 v49, v140, v50
	s_delay_alu instid0(VALU_DEP_1)
	v_sub_f32_e32 v50, v141, v52
	scratch_store_b64 off, v[49:50], off offset:8
	v_cmpx_ne_u32_e32 0, v0
	s_cbranch_execz .LBB87_157
; %bb.156:
	scratch_load_b64 v[49:50], off, off
	v_mov_b32_e32 v52, 0
	s_delay_alu instid0(VALU_DEP_1)
	v_mov_b32_e32 v53, v52
	scratch_store_b64 off, v[52:53], off
	s_wait_loadcnt 0x0
	ds_store_b64 v51, v[49:50]
.LBB87_157:
	s_wait_alu 0xfffe
	s_or_b32 exec_lo, exec_lo, s0
	s_wait_storecnt_dscnt 0x0
	s_barrier_signal -1
	s_barrier_wait -1
	global_inv scope:SCOPE_SE
	s_clause 0xc
	scratch_load_b128 v[49:52], off, off offset:8
	scratch_load_b128 v[53:56], off, off offset:24
	scratch_load_b128 v[57:60], off, off offset:40
	scratch_load_b128 v[61:64], off, off offset:56
	scratch_load_b128 v[65:68], off, off offset:72
	scratch_load_b128 v[69:72], off, off offset:88
	scratch_load_b128 v[73:76], off, off offset:104
	scratch_load_b128 v[77:80], off, off offset:120
	scratch_load_b128 v[81:84], off, off offset:136
	scratch_load_b128 v[85:88], off, off offset:152
	scratch_load_b128 v[89:92], off, off offset:168
	scratch_load_b64 v[137:138], off, off offset:184
	scratch_load_b64 v[139:140], off, off
	v_mov_b32_e32 v0, 0
	ds_load_2addr_b64 v[93:96], v0 offset0:25 offset1:26
	ds_load_2addr_b64 v[97:100], v0 offset0:27 offset1:28
	;; [unrolled: 1-line block ×11, first 2 shown]
	ds_load_b64 v[141:142], v0 offset:376
	s_and_b32 vcc_lo, exec_lo, s12
	s_wait_loadcnt_dscnt 0xc0b
	v_dual_mul_f32 v143, v93, v50 :: v_dual_mul_f32 v144, v95, v52
	s_wait_loadcnt_dscnt 0xb0a
	v_dual_mul_f32 v145, v97, v54 :: v_dual_mul_f32 v52, v96, v52
	;; [unrolled: 2-line block ×3, first 2 shown]
	v_dual_fmac_f32 v143, v94, v49 :: v_dual_fmac_f32 v144, v96, v51
	s_delay_alu instid0(VALU_DEP_3) | instskip(SKIP_1) | instid1(VALU_DEP_4)
	v_fmac_f32_e32 v145, v98, v53
	v_fma_f32 v51, v95, v51, -v52
	v_dual_fmac_f32 v146, v100, v55 :: v_dual_fmac_f32 v147, v102, v57
	s_delay_alu instid0(VALU_DEP_4)
	v_add_f32_e32 v52, 0, v143
	v_mul_f32_e32 v50, v94, v50
	s_wait_loadcnt_dscnt 0x908
	v_dual_mul_f32 v148, v103, v60 :: v_dual_mul_f32 v149, v105, v62
	s_wait_loadcnt_dscnt 0x807
	v_dual_mul_f32 v150, v107, v64 :: v_dual_mul_f32 v151, v109, v66
	v_fma_f32 v50, v93, v49, -v50
	v_dual_mul_f32 v49, v98, v54 :: v_dual_mul_f32 v54, v100, v56
	v_dual_fmac_f32 v148, v104, v59 :: v_dual_fmac_f32 v149, v106, v61
	s_delay_alu instid0(VALU_DEP_3) | instskip(NEXT) | instid1(VALU_DEP_3)
	v_add_f32_e32 v50, 0, v50
	v_fma_f32 v49, v97, v53, -v49
	s_delay_alu instid0(VALU_DEP_4) | instskip(SKIP_1) | instid1(VALU_DEP_4)
	v_fma_f32 v53, v99, v55, -v54
	v_dual_fmac_f32 v150, v108, v63 :: v_dual_fmac_f32 v151, v110, v65
	v_add_f32_e32 v50, v50, v51
	s_wait_loadcnt_dscnt 0x706
	v_dual_mul_f32 v152, v111, v68 :: v_dual_mul_f32 v153, v113, v70
	s_wait_loadcnt_dscnt 0x605
	v_dual_mul_f32 v154, v115, v72 :: v_dual_mul_f32 v155, v117, v74
	v_add_f32_e32 v49, v50, v49
	v_add_f32_e32 v51, v52, v144
	v_dual_fmac_f32 v152, v112, v67 :: v_dual_fmac_f32 v153, v114, v69
	s_wait_loadcnt_dscnt 0x504
	v_dual_mul_f32 v156, v119, v76 :: v_dual_mul_f32 v157, v121, v78
	s_delay_alu instid0(VALU_DEP_3)
	v_dual_add_f32 v50, v51, v145 :: v_dual_mul_f32 v51, v104, v60
	v_add_f32_e32 v49, v49, v53
	v_dual_mul_f32 v53, v106, v62 :: v_dual_mul_f32 v158, v123, v80
	s_wait_loadcnt_dscnt 0x403
	v_mul_f32_e32 v159, v125, v82
	v_fma_f32 v51, v103, v59, -v51
	v_mul_f32_e32 v52, v102, v58
	v_fma_f32 v53, v105, v61, -v53
	v_dual_fmac_f32 v157, v122, v77 :: v_dual_fmac_f32 v158, v124, v79
	s_wait_loadcnt_dscnt 0x302
	v_dual_mul_f32 v160, v127, v84 :: v_dual_mul_f32 v161, v129, v86
	v_fma_f32 v52, v101, v57, -v52
	v_add_f32_e32 v50, v50, v146
	s_delay_alu instid0(VALU_DEP_3) | instskip(SKIP_4) | instid1(VALU_DEP_3)
	v_dual_fmac_f32 v159, v126, v81 :: v_dual_fmac_f32 v160, v128, v83
	s_wait_loadcnt_dscnt 0x201
	v_dual_mul_f32 v162, v131, v88 :: v_dual_mul_f32 v163, v133, v90
	v_add_f32_e32 v49, v49, v52
	v_dual_mul_f32 v52, v108, v64 :: v_dual_fmac_f32 v161, v130, v85
	v_fmac_f32_e32 v162, v132, v87
	s_wait_loadcnt_dscnt 0x100
	v_dual_mul_f32 v164, v135, v92 :: v_dual_mul_f32 v165, v141, v138
	v_add_f32_e32 v49, v49, v51
	v_add_f32_e32 v50, v50, v147
	v_mul_f32_e32 v51, v110, v66
	v_fma_f32 v52, v107, v63, -v52
	v_fmac_f32_e32 v163, v134, v89
	v_add_f32_e32 v49, v49, v53
	v_mul_f32_e32 v53, v112, v68
	v_fma_f32 v51, v109, v65, -v51
	v_dual_fmac_f32 v165, v142, v137 :: v_dual_fmac_f32 v154, v116, v71
	s_delay_alu instid0(VALU_DEP_4) | instskip(SKIP_4) | instid1(VALU_DEP_4)
	v_add_f32_e32 v49, v49, v52
	v_add_f32_e32 v50, v50, v148
	v_mul_f32_e32 v52, v114, v70
	v_fma_f32 v53, v111, v67, -v53
	v_fmac_f32_e32 v155, v118, v73
	v_dual_add_f32 v49, v49, v51 :: v_dual_add_f32 v50, v50, v149
	v_mul_f32_e32 v51, v116, v72
	v_fma_f32 v52, v113, v69, -v52
	s_delay_alu instid0(VALU_DEP_3) | instskip(NEXT) | instid1(VALU_DEP_4)
	v_dual_fmac_f32 v156, v120, v75 :: v_dual_add_f32 v49, v49, v53
	v_add_f32_e32 v50, v50, v150
	s_delay_alu instid0(VALU_DEP_4) | instskip(SKIP_1) | instid1(VALU_DEP_3)
	v_fma_f32 v51, v115, v71, -v51
	v_dual_mul_f32 v53, v118, v74 :: v_dual_fmac_f32 v164, v136, v91
	v_dual_add_f32 v49, v49, v52 :: v_dual_add_f32 v50, v50, v151
	v_mul_f32_e32 v52, v120, v76
	s_delay_alu instid0(VALU_DEP_3) | instskip(NEXT) | instid1(VALU_DEP_3)
	v_fma_f32 v53, v117, v73, -v53
	v_dual_add_f32 v49, v49, v51 :: v_dual_add_f32 v50, v50, v152
	v_mul_f32_e32 v51, v122, v78
	s_delay_alu instid0(VALU_DEP_4) | instskip(NEXT) | instid1(VALU_DEP_3)
	v_fma_f32 v52, v119, v75, -v52
	v_add_f32_e32 v49, v49, v53
	s_delay_alu instid0(VALU_DEP_4) | instskip(NEXT) | instid1(VALU_DEP_4)
	v_dual_add_f32 v50, v50, v153 :: v_dual_mul_f32 v53, v124, v80
	v_fma_f32 v51, v121, v77, -v51
	s_delay_alu instid0(VALU_DEP_3) | instskip(NEXT) | instid1(VALU_DEP_3)
	v_dual_add_f32 v49, v49, v52 :: v_dual_mul_f32 v52, v126, v82
	v_add_f32_e32 v50, v50, v154
	s_delay_alu instid0(VALU_DEP_4) | instskip(NEXT) | instid1(VALU_DEP_3)
	v_fma_f32 v53, v123, v79, -v53
	v_add_f32_e32 v49, v49, v51
	s_delay_alu instid0(VALU_DEP_3) | instskip(SKIP_1) | instid1(VALU_DEP_2)
	v_dual_mul_f32 v51, v128, v84 :: v_dual_add_f32 v50, v50, v155
	v_fma_f32 v52, v125, v81, -v52
	v_fma_f32 v51, v127, v83, -v51
	s_delay_alu instid0(VALU_DEP_3) | instskip(NEXT) | instid1(VALU_DEP_1)
	v_add_f32_e32 v50, v50, v156
	v_add_f32_e32 v50, v50, v157
	;; [unrolled: 1-line block ×3, first 2 shown]
	v_mul_f32_e32 v53, v130, v86
	s_delay_alu instid0(VALU_DEP_2) | instskip(SKIP_1) | instid1(VALU_DEP_3)
	v_dual_add_f32 v50, v50, v158 :: v_dual_add_f32 v49, v49, v52
	v_mul_f32_e32 v52, v132, v88
	v_fma_f32 v53, v129, v85, -v53
	s_delay_alu instid0(VALU_DEP_3) | instskip(NEXT) | instid1(VALU_DEP_4)
	v_add_f32_e32 v50, v50, v159
	v_add_f32_e32 v49, v49, v51
	v_mul_f32_e32 v51, v134, v90
	v_fma_f32 v52, v131, v87, -v52
	s_delay_alu instid0(VALU_DEP_4) | instskip(NEXT) | instid1(VALU_DEP_3)
	v_add_f32_e32 v50, v50, v160
	v_fma_f32 v51, v133, v89, -v51
	s_delay_alu instid0(VALU_DEP_2) | instskip(SKIP_1) | instid1(VALU_DEP_2)
	v_add_f32_e32 v50, v50, v161
	v_add_f32_e32 v49, v49, v53
	v_dual_mul_f32 v53, v136, v92 :: v_dual_add_f32 v50, v50, v162
	s_delay_alu instid0(VALU_DEP_2) | instskip(NEXT) | instid1(VALU_DEP_2)
	v_dual_add_f32 v49, v49, v52 :: v_dual_mul_f32 v52, v142, v138
	v_fma_f32 v53, v135, v91, -v53
	s_delay_alu instid0(VALU_DEP_3) | instskip(NEXT) | instid1(VALU_DEP_3)
	v_add_f32_e32 v50, v50, v163
	v_add_f32_e32 v49, v49, v51
	s_delay_alu instid0(VALU_DEP_4) | instskip(NEXT) | instid1(VALU_DEP_2)
	v_fma_f32 v51, v141, v137, -v52
	v_dual_add_f32 v50, v50, v164 :: v_dual_add_f32 v49, v49, v53
	s_delay_alu instid0(VALU_DEP_1) | instskip(SKIP_1) | instid1(VALU_DEP_1)
	v_dual_add_f32 v50, v50, v165 :: v_dual_add_f32 v49, v49, v51
	s_wait_loadcnt 0x0
	v_dual_sub_f32 v50, v140, v50 :: v_dual_sub_f32 v49, v139, v49
	scratch_store_b64 off, v[49:50], off
	s_wait_alu 0xfffe
	s_cbranch_vccz .LBB87_204
; %bb.158:
	global_load_b32 v0, v0, s[2:3] offset:88
	s_wait_loadcnt 0x0
	v_cmp_ne_u32_e32 vcc_lo, 23, v0
	s_cbranch_vccz .LBB87_160
; %bb.159:
	v_lshlrev_b32_e32 v0, 3, v0
	scratch_load_b64 v[49:50], v0, off offset:-8
	scratch_load_b64 v[51:52], off, off offset:176
	s_wait_loadcnt 0x1
	scratch_store_b64 off, v[49:50], off offset:176
	s_wait_loadcnt 0x0
	scratch_store_b64 v0, v[51:52], off offset:-8
.LBB87_160:
	v_mov_b32_e32 v0, 0
	global_load_b32 v49, v0, s[2:3] offset:84
	s_wait_loadcnt 0x0
	v_cmp_eq_u32_e32 vcc_lo, 22, v49
	s_cbranch_vccnz .LBB87_162
; %bb.161:
	v_lshlrev_b32_e32 v49, 3, v49
	s_delay_alu instid0(VALU_DEP_1)
	v_mov_b32_e32 v53, v49
	scratch_load_b64 v[49:50], v53, off offset:-8
	scratch_load_b64 v[51:52], off, off offset:168
	s_wait_loadcnt 0x1
	scratch_store_b64 off, v[49:50], off offset:168
	s_wait_loadcnt 0x0
	scratch_store_b64 v53, v[51:52], off offset:-8
.LBB87_162:
	global_load_b32 v0, v0, s[2:3] offset:80
	s_wait_loadcnt 0x0
	v_cmp_eq_u32_e32 vcc_lo, 21, v0
	s_cbranch_vccnz .LBB87_164
; %bb.163:
	v_lshlrev_b32_e32 v0, 3, v0
	scratch_load_b64 v[49:50], v0, off offset:-8
	scratch_load_b64 v[51:52], off, off offset:160
	s_wait_loadcnt 0x1
	scratch_store_b64 off, v[49:50], off offset:160
	s_wait_loadcnt 0x0
	scratch_store_b64 v0, v[51:52], off offset:-8
.LBB87_164:
	v_mov_b32_e32 v0, 0
	global_load_b32 v49, v0, s[2:3] offset:76
	s_wait_loadcnt 0x0
	v_cmp_eq_u32_e32 vcc_lo, 20, v49
	s_cbranch_vccnz .LBB87_166
; %bb.165:
	v_lshlrev_b32_e32 v49, 3, v49
	s_delay_alu instid0(VALU_DEP_1)
	v_mov_b32_e32 v53, v49
	scratch_load_b64 v[49:50], v53, off offset:-8
	scratch_load_b64 v[51:52], off, off offset:152
	s_wait_loadcnt 0x1
	scratch_store_b64 off, v[49:50], off offset:152
	s_wait_loadcnt 0x0
	scratch_store_b64 v53, v[51:52], off offset:-8
.LBB87_166:
	global_load_b32 v0, v0, s[2:3] offset:72
	s_wait_loadcnt 0x0
	v_cmp_eq_u32_e32 vcc_lo, 19, v0
	s_cbranch_vccnz .LBB87_168
; %bb.167:
	v_lshlrev_b32_e32 v0, 3, v0
	scratch_load_b64 v[49:50], v0, off offset:-8
	scratch_load_b64 v[51:52], off, off offset:144
	s_wait_loadcnt 0x1
	scratch_store_b64 off, v[49:50], off offset:144
	s_wait_loadcnt 0x0
	scratch_store_b64 v0, v[51:52], off offset:-8
.LBB87_168:
	;; [unrolled: 29-line block ×10, first 2 shown]
	v_mov_b32_e32 v0, 0
	global_load_b32 v49, v0, s[2:3] offset:4
	s_wait_loadcnt 0x0
	v_cmp_eq_u32_e32 vcc_lo, 2, v49
	s_cbranch_vccnz .LBB87_202
; %bb.201:
	v_lshlrev_b32_e32 v49, 3, v49
	s_delay_alu instid0(VALU_DEP_1)
	v_mov_b32_e32 v53, v49
	scratch_load_b64 v[49:50], v53, off offset:-8
	scratch_load_b64 v[51:52], off, off offset:8
	s_wait_loadcnt 0x1
	scratch_store_b64 off, v[49:50], off offset:8
	s_wait_loadcnt 0x0
	scratch_store_b64 v53, v[51:52], off offset:-8
.LBB87_202:
	global_load_b32 v0, v0, s[2:3]
	s_wait_loadcnt 0x0
	v_cmp_eq_u32_e32 vcc_lo, 1, v0
	s_cbranch_vccnz .LBB87_204
; %bb.203:
	v_lshlrev_b32_e32 v0, 3, v0
	scratch_load_b64 v[49:50], v0, off offset:-8
	scratch_load_b64 v[51:52], off, off
	s_wait_loadcnt 0x1
	scratch_store_b64 off, v[49:50], off
	s_wait_loadcnt 0x0
	scratch_store_b64 v0, v[51:52], off offset:-8
.LBB87_204:
	scratch_load_b64 v[49:50], off, off
	s_wait_loadcnt 0x0
	flat_store_b64 v[1:2], v[49:50]
	scratch_load_b64 v[0:1], off, off offset:8
	s_wait_loadcnt 0x0
	flat_store_b64 v[3:4], v[0:1]
	scratch_load_b64 v[0:1], off, off offset:16
	;; [unrolled: 3-line block ×23, first 2 shown]
	s_wait_loadcnt 0x0
	flat_store_b64 v[47:48], v[0:1]
	s_nop 0
	s_sendmsg sendmsg(MSG_DEALLOC_VGPRS)
	s_endpgm
	.section	.rodata,"a",@progbits
	.p2align	6, 0x0
	.amdhsa_kernel _ZN9rocsolver6v33100L18getri_kernel_smallILi24E19rocblas_complex_numIfEPKPS3_EEvT1_iilPiilS8_bb
		.amdhsa_group_segment_fixed_size 388
		.amdhsa_private_segment_fixed_size 208
		.amdhsa_kernarg_size 60
		.amdhsa_user_sgpr_count 2
		.amdhsa_user_sgpr_dispatch_ptr 0
		.amdhsa_user_sgpr_queue_ptr 0
		.amdhsa_user_sgpr_kernarg_segment_ptr 1
		.amdhsa_user_sgpr_dispatch_id 0
		.amdhsa_user_sgpr_private_segment_size 0
		.amdhsa_wavefront_size32 1
		.amdhsa_uses_dynamic_stack 0
		.amdhsa_enable_private_segment 1
		.amdhsa_system_sgpr_workgroup_id_x 1
		.amdhsa_system_sgpr_workgroup_id_y 0
		.amdhsa_system_sgpr_workgroup_id_z 0
		.amdhsa_system_sgpr_workgroup_info 0
		.amdhsa_system_vgpr_workitem_id 0
		.amdhsa_next_free_vgpr 166
		.amdhsa_next_free_sgpr 19
		.amdhsa_reserve_vcc 1
		.amdhsa_float_round_mode_32 0
		.amdhsa_float_round_mode_16_64 0
		.amdhsa_float_denorm_mode_32 3
		.amdhsa_float_denorm_mode_16_64 3
		.amdhsa_fp16_overflow 0
		.amdhsa_workgroup_processor_mode 1
		.amdhsa_memory_ordered 1
		.amdhsa_forward_progress 1
		.amdhsa_inst_pref_size 212
		.amdhsa_round_robin_scheduling 0
		.amdhsa_exception_fp_ieee_invalid_op 0
		.amdhsa_exception_fp_denorm_src 0
		.amdhsa_exception_fp_ieee_div_zero 0
		.amdhsa_exception_fp_ieee_overflow 0
		.amdhsa_exception_fp_ieee_underflow 0
		.amdhsa_exception_fp_ieee_inexact 0
		.amdhsa_exception_int_div_zero 0
	.end_amdhsa_kernel
	.section	.text._ZN9rocsolver6v33100L18getri_kernel_smallILi24E19rocblas_complex_numIfEPKPS3_EEvT1_iilPiilS8_bb,"axG",@progbits,_ZN9rocsolver6v33100L18getri_kernel_smallILi24E19rocblas_complex_numIfEPKPS3_EEvT1_iilPiilS8_bb,comdat
.Lfunc_end87:
	.size	_ZN9rocsolver6v33100L18getri_kernel_smallILi24E19rocblas_complex_numIfEPKPS3_EEvT1_iilPiilS8_bb, .Lfunc_end87-_ZN9rocsolver6v33100L18getri_kernel_smallILi24E19rocblas_complex_numIfEPKPS3_EEvT1_iilPiilS8_bb
                                        ; -- End function
	.set _ZN9rocsolver6v33100L18getri_kernel_smallILi24E19rocblas_complex_numIfEPKPS3_EEvT1_iilPiilS8_bb.num_vgpr, 166
	.set _ZN9rocsolver6v33100L18getri_kernel_smallILi24E19rocblas_complex_numIfEPKPS3_EEvT1_iilPiilS8_bb.num_agpr, 0
	.set _ZN9rocsolver6v33100L18getri_kernel_smallILi24E19rocblas_complex_numIfEPKPS3_EEvT1_iilPiilS8_bb.numbered_sgpr, 19
	.set _ZN9rocsolver6v33100L18getri_kernel_smallILi24E19rocblas_complex_numIfEPKPS3_EEvT1_iilPiilS8_bb.num_named_barrier, 0
	.set _ZN9rocsolver6v33100L18getri_kernel_smallILi24E19rocblas_complex_numIfEPKPS3_EEvT1_iilPiilS8_bb.private_seg_size, 208
	.set _ZN9rocsolver6v33100L18getri_kernel_smallILi24E19rocblas_complex_numIfEPKPS3_EEvT1_iilPiilS8_bb.uses_vcc, 1
	.set _ZN9rocsolver6v33100L18getri_kernel_smallILi24E19rocblas_complex_numIfEPKPS3_EEvT1_iilPiilS8_bb.uses_flat_scratch, 1
	.set _ZN9rocsolver6v33100L18getri_kernel_smallILi24E19rocblas_complex_numIfEPKPS3_EEvT1_iilPiilS8_bb.has_dyn_sized_stack, 0
	.set _ZN9rocsolver6v33100L18getri_kernel_smallILi24E19rocblas_complex_numIfEPKPS3_EEvT1_iilPiilS8_bb.has_recursion, 0
	.set _ZN9rocsolver6v33100L18getri_kernel_smallILi24E19rocblas_complex_numIfEPKPS3_EEvT1_iilPiilS8_bb.has_indirect_call, 0
	.section	.AMDGPU.csdata,"",@progbits
; Kernel info:
; codeLenInByte = 27032
; TotalNumSgprs: 21
; NumVgprs: 166
; ScratchSize: 208
; MemoryBound: 0
; FloatMode: 240
; IeeeMode: 1
; LDSByteSize: 388 bytes/workgroup (compile time only)
; SGPRBlocks: 0
; VGPRBlocks: 20
; NumSGPRsForWavesPerEU: 21
; NumVGPRsForWavesPerEU: 166
; Occupancy: 9
; WaveLimiterHint : 1
; COMPUTE_PGM_RSRC2:SCRATCH_EN: 1
; COMPUTE_PGM_RSRC2:USER_SGPR: 2
; COMPUTE_PGM_RSRC2:TRAP_HANDLER: 0
; COMPUTE_PGM_RSRC2:TGID_X_EN: 1
; COMPUTE_PGM_RSRC2:TGID_Y_EN: 0
; COMPUTE_PGM_RSRC2:TGID_Z_EN: 0
; COMPUTE_PGM_RSRC2:TIDIG_COMP_CNT: 0
	.section	.text._ZN9rocsolver6v33100L18getri_kernel_smallILi25E19rocblas_complex_numIfEPKPS3_EEvT1_iilPiilS8_bb,"axG",@progbits,_ZN9rocsolver6v33100L18getri_kernel_smallILi25E19rocblas_complex_numIfEPKPS3_EEvT1_iilPiilS8_bb,comdat
	.globl	_ZN9rocsolver6v33100L18getri_kernel_smallILi25E19rocblas_complex_numIfEPKPS3_EEvT1_iilPiilS8_bb ; -- Begin function _ZN9rocsolver6v33100L18getri_kernel_smallILi25E19rocblas_complex_numIfEPKPS3_EEvT1_iilPiilS8_bb
	.p2align	8
	.type	_ZN9rocsolver6v33100L18getri_kernel_smallILi25E19rocblas_complex_numIfEPKPS3_EEvT1_iilPiilS8_bb,@function
_ZN9rocsolver6v33100L18getri_kernel_smallILi25E19rocblas_complex_numIfEPKPS3_EEvT1_iilPiilS8_bb: ; @_ZN9rocsolver6v33100L18getri_kernel_smallILi25E19rocblas_complex_numIfEPKPS3_EEvT1_iilPiilS8_bb
; %bb.0:
	s_mov_b32 s2, exec_lo
	v_cmpx_gt_u32_e32 25, v0
	s_cbranch_execz .LBB88_114
; %bb.1:
	s_clause 0x1
	s_load_b32 s13, s[0:1], 0x38
	s_load_b64 s[2:3], s[0:1], 0x0
	s_mov_b32 s8, ttmp9
	s_load_b128 s[4:7], s[0:1], 0x28
	s_wait_kmcnt 0x0
	s_bitcmp1_b32 s13, 8
	s_cselect_b32 s12, -1, 0
	s_ashr_i32 s9, ttmp9, 31
	s_delay_alu instid0(SALU_CYCLE_1) | instskip(NEXT) | instid1(SALU_CYCLE_1)
	s_lshl_b64 s[10:11], s[8:9], 3
	s_add_nc_u64 s[2:3], s[2:3], s[10:11]
	s_load_b64 s[10:11], s[2:3], 0x0
	s_bfe_u32 s2, s13, 0x10008
	s_delay_alu instid0(SALU_CYCLE_1)
	s_cmp_eq_u32 s2, 0
                                        ; implicit-def: $sgpr2_sgpr3
	s_cbranch_scc1 .LBB88_3
; %bb.2:
	s_load_b96 s[16:18], s[0:1], 0x18
	s_mul_u64 s[2:3], s[4:5], s[8:9]
	s_delay_alu instid0(SALU_CYCLE_1)
	s_lshl_b64 s[2:3], s[2:3], 2
	s_wait_kmcnt 0x0
	s_ashr_i32 s5, s18, 31
	s_mov_b32 s4, s18
	s_add_nc_u64 s[2:3], s[16:17], s[2:3]
	s_lshl_b64 s[4:5], s[4:5], 2
	s_delay_alu instid0(SALU_CYCLE_1)
	s_add_nc_u64 s[2:3], s[2:3], s[4:5]
.LBB88_3:
	s_clause 0x1
	s_load_b64 s[4:5], s[0:1], 0x8
	s_load_b32 s13, s[0:1], 0x38
	v_lshlrev_b32_e32 v57, 3, v0
	s_wait_kmcnt 0x0
	s_ashr_i32 s1, s4, 31
	s_mov_b32 s0, s4
	v_add3_u32 v9, s5, s5, v0
	s_lshl_b64 s[0:1], s[0:1], 3
	s_delay_alu instid0(SALU_CYCLE_1)
	s_add_nc_u64 s[0:1], s[10:11], s[0:1]
	s_ashr_i32 s11, s5, 31
	v_add_co_u32 v1, s4, s0, v57
	s_wait_alu 0xf1ff
	v_add_co_ci_u32_e64 v2, null, s1, 0, s4
	s_mov_b32 s10, s5
	v_ashrrev_i32_e32 v10, 31, v9
	s_lshl_b64 s[10:11], s[10:11], 3
	flat_load_b64 v[5:6], v[1:2]
	v_add_co_u32 v3, vcc_lo, v1, s10
	s_delay_alu instid0(VALU_DEP_1) | instskip(SKIP_2) | instid1(VALU_DEP_1)
	v_add_co_ci_u32_e64 v4, null, s11, v2, vcc_lo
	v_add_nc_u32_e32 v12, s5, v9
	s_bitcmp0_b32 s13, 0
	v_ashrrev_i32_e32 v13, 31, v12
	s_wait_loadcnt_dscnt 0x0
	scratch_store_b64 off, v[5:6], off
	flat_load_b64 v[7:8], v[3:4]
	v_lshlrev_b64_e32 v[5:6], 3, v[9:10]
	s_delay_alu instid0(VALU_DEP_1) | instskip(SKIP_1) | instid1(VALU_DEP_2)
	v_add_co_u32 v5, vcc_lo, s0, v5
	s_wait_alu 0xfffd
	v_add_co_ci_u32_e64 v6, null, s1, v6, vcc_lo
	s_wait_loadcnt_dscnt 0x0
	scratch_store_b64 off, v[7:8], off offset:8
	flat_load_b64 v[10:11], v[5:6]
	v_lshlrev_b64_e32 v[7:8], 3, v[12:13]
	s_delay_alu instid0(VALU_DEP_1) | instskip(SKIP_1) | instid1(VALU_DEP_2)
	v_add_co_u32 v7, vcc_lo, s0, v7
	s_wait_alu 0xfffd
	v_add_co_ci_u32_e64 v8, null, s1, v8, vcc_lo
	s_wait_loadcnt_dscnt 0x0
	scratch_store_b64 off, v[10:11], off offset:16
	flat_load_b64 v[13:14], v[7:8]
	v_add_nc_u32_e32 v11, s5, v12
	s_delay_alu instid0(VALU_DEP_1) | instskip(SKIP_1) | instid1(VALU_DEP_2)
	v_ashrrev_i32_e32 v12, 31, v11
	v_add_nc_u32_e32 v15, s5, v11
	v_lshlrev_b64_e32 v[9:10], 3, v[11:12]
	s_delay_alu instid0(VALU_DEP_2) | instskip(SKIP_1) | instid1(VALU_DEP_3)
	v_ashrrev_i32_e32 v16, 31, v15
	v_add_nc_u32_e32 v18, s5, v15
	v_add_co_u32 v9, vcc_lo, s0, v9
	s_wait_alu 0xfffd
	s_delay_alu instid0(VALU_DEP_4) | instskip(SKIP_2) | instid1(VALU_DEP_2)
	v_add_co_ci_u32_e64 v10, null, s1, v10, vcc_lo
	v_lshlrev_b64_e32 v[11:12], 3, v[15:16]
	v_ashrrev_i32_e32 v19, 31, v18
	v_add_co_u32 v11, vcc_lo, s0, v11
	s_wait_alu 0xfffd
	s_delay_alu instid0(VALU_DEP_3)
	v_add_co_ci_u32_e64 v12, null, s1, v12, vcc_lo
	s_wait_loadcnt_dscnt 0x0
	scratch_store_b64 off, v[13:14], off offset:24
	flat_load_b64 v[13:14], v[9:10]
	s_wait_loadcnt_dscnt 0x0
	scratch_store_b64 off, v[13:14], off offset:32
	flat_load_b64 v[16:17], v[11:12]
	v_lshlrev_b64_e32 v[13:14], 3, v[18:19]
	s_delay_alu instid0(VALU_DEP_1) | instskip(SKIP_1) | instid1(VALU_DEP_2)
	v_add_co_u32 v13, vcc_lo, s0, v13
	s_wait_alu 0xfffd
	v_add_co_ci_u32_e64 v14, null, s1, v14, vcc_lo
	s_wait_loadcnt_dscnt 0x0
	scratch_store_b64 off, v[16:17], off offset:40
	flat_load_b64 v[19:20], v[13:14]
	v_add_nc_u32_e32 v17, s5, v18
	s_delay_alu instid0(VALU_DEP_1) | instskip(SKIP_1) | instid1(VALU_DEP_2)
	v_ashrrev_i32_e32 v18, 31, v17
	v_add_nc_u32_e32 v21, s5, v17
	v_lshlrev_b64_e32 v[15:16], 3, v[17:18]
	s_delay_alu instid0(VALU_DEP_2) | instskip(SKIP_1) | instid1(VALU_DEP_3)
	v_ashrrev_i32_e32 v22, 31, v21
	v_add_nc_u32_e32 v24, s5, v21
	v_add_co_u32 v15, vcc_lo, s0, v15
	s_wait_alu 0xfffd
	s_delay_alu instid0(VALU_DEP_4) | instskip(SKIP_2) | instid1(VALU_DEP_2)
	v_add_co_ci_u32_e64 v16, null, s1, v16, vcc_lo
	v_lshlrev_b64_e32 v[17:18], 3, v[21:22]
	v_ashrrev_i32_e32 v25, 31, v24
	v_add_co_u32 v17, vcc_lo, s0, v17
	s_wait_alu 0xfffd
	s_delay_alu instid0(VALU_DEP_3)
	v_add_co_ci_u32_e64 v18, null, s1, v18, vcc_lo
	s_wait_loadcnt_dscnt 0x0
	scratch_store_b64 off, v[19:20], off offset:48
	flat_load_b64 v[19:20], v[15:16]
	;; [unrolled: 32-line block ×6, first 2 shown]
	s_wait_loadcnt_dscnt 0x0
	scratch_store_b64 off, v[43:44], off offset:152
	flat_load_b64 v[46:47], v[41:42]
	v_lshlrev_b64_e32 v[43:44], 3, v[48:49]
	s_delay_alu instid0(VALU_DEP_1) | instskip(SKIP_1) | instid1(VALU_DEP_2)
	v_add_co_u32 v43, vcc_lo, s0, v43
	s_wait_alu 0xfffd
	v_add_co_ci_u32_e64 v44, null, s1, v44, vcc_lo
	s_wait_loadcnt_dscnt 0x0
	scratch_store_b64 off, v[46:47], off offset:160
	flat_load_b64 v[49:50], v[43:44]
	v_add_nc_u32_e32 v47, s5, v48
	s_delay_alu instid0(VALU_DEP_1) | instskip(SKIP_1) | instid1(VALU_DEP_2)
	v_ashrrev_i32_e32 v48, 31, v47
	v_add_nc_u32_e32 v51, s5, v47
	v_lshlrev_b64_e32 v[45:46], 3, v[47:48]
	s_delay_alu instid0(VALU_DEP_2) | instskip(NEXT) | instid1(VALU_DEP_1)
	v_ashrrev_i32_e32 v52, 31, v51
	v_lshlrev_b64_e32 v[47:48], 3, v[51:52]
	s_delay_alu instid0(VALU_DEP_3) | instskip(SKIP_1) | instid1(VALU_DEP_4)
	v_add_co_u32 v45, vcc_lo, s0, v45
	s_wait_alu 0xfffd
	v_add_co_ci_u32_e64 v46, null, s1, v46, vcc_lo
	s_delay_alu instid0(VALU_DEP_3)
	v_add_co_u32 v47, vcc_lo, s0, v47
	s_wait_alu 0xfffd
	v_add_co_ci_u32_e64 v48, null, s1, v48, vcc_lo
	s_wait_loadcnt_dscnt 0x0
	scratch_store_b64 off, v[49:50], off offset:168
	flat_load_b64 v[49:50], v[45:46]
	s_wait_loadcnt_dscnt 0x0
	scratch_store_b64 off, v[49:50], off offset:176
	flat_load_b64 v[52:53], v[47:48]
	v_add_nc_u32_e32 v49, s5, v51
	s_delay_alu instid0(VALU_DEP_1) | instskip(NEXT) | instid1(VALU_DEP_1)
	v_ashrrev_i32_e32 v50, 31, v49
	v_lshlrev_b64_e32 v[49:50], 3, v[49:50]
	s_delay_alu instid0(VALU_DEP_1) | instskip(SKIP_1) | instid1(VALU_DEP_2)
	v_add_co_u32 v49, vcc_lo, s0, v49
	s_wait_alu 0xfffd
	v_add_co_ci_u32_e64 v50, null, s1, v50, vcc_lo
	s_mov_b32 s1, -1
	s_wait_loadcnt_dscnt 0x0
	scratch_store_b64 off, v[52:53], off offset:184
	flat_load_b64 v[51:52], v[49:50]
	s_wait_loadcnt_dscnt 0x0
	scratch_store_b64 off, v[51:52], off offset:192
	s_cbranch_scc1 .LBB88_112
; %bb.4:
	v_cmp_eq_u32_e64 s0, 0, v0
	s_and_saveexec_b32 s1, s0
; %bb.5:
	v_mov_b32_e32 v51, 0
	ds_store_b32 v51, v51 offset:200
; %bb.6:
	s_wait_alu 0xfffe
	s_or_b32 exec_lo, exec_lo, s1
	s_wait_storecnt_dscnt 0x0
	s_barrier_signal -1
	s_barrier_wait -1
	global_inv scope:SCOPE_SE
	scratch_load_b64 v[51:52], v57, off
	s_wait_loadcnt 0x0
	v_cmp_eq_f32_e32 vcc_lo, 0, v51
	v_cmp_eq_f32_e64 s1, 0, v52
	s_and_b32 s1, vcc_lo, s1
	s_wait_alu 0xfffe
	s_and_saveexec_b32 s4, s1
	s_cbranch_execz .LBB88_10
; %bb.7:
	v_mov_b32_e32 v51, 0
	s_mov_b32 s5, 0
	ds_load_b32 v52, v51 offset:200
	s_wait_dscnt 0x0
	v_readfirstlane_b32 s1, v52
	v_add_nc_u32_e32 v52, 1, v0
	s_cmp_eq_u32 s1, 0
	s_delay_alu instid0(VALU_DEP_1)
	v_cmp_gt_i32_e32 vcc_lo, s1, v52
	s_cselect_b32 s10, -1, 0
	s_wait_alu 0xfffe
	s_or_b32 s10, s10, vcc_lo
	s_wait_alu 0xfffe
	s_and_b32 exec_lo, exec_lo, s10
	s_cbranch_execz .LBB88_10
; %bb.8:
	v_mov_b32_e32 v53, s1
.LBB88_9:                               ; =>This Inner Loop Header: Depth=1
	ds_cmpstore_rtn_b32 v53, v51, v52, v53 offset:200
	s_wait_dscnt 0x0
	v_cmp_ne_u32_e32 vcc_lo, 0, v53
	v_cmp_le_i32_e64 s1, v53, v52
	s_and_b32 s1, vcc_lo, s1
	s_wait_alu 0xfffe
	s_and_b32 s1, exec_lo, s1
	s_wait_alu 0xfffe
	s_or_b32 s5, s1, s5
	s_wait_alu 0xfffe
	s_and_not1_b32 exec_lo, exec_lo, s5
	s_cbranch_execnz .LBB88_9
.LBB88_10:
	s_wait_alu 0xfffe
	s_or_b32 exec_lo, exec_lo, s4
	v_mov_b32_e32 v51, 0
	s_barrier_signal -1
	s_barrier_wait -1
	global_inv scope:SCOPE_SE
	ds_load_b32 v52, v51 offset:200
	s_and_saveexec_b32 s1, s0
	s_cbranch_execz .LBB88_12
; %bb.11:
	s_lshl_b64 s[4:5], s[8:9], 2
	s_wait_alu 0xfffe
	s_add_nc_u64 s[4:5], s[6:7], s[4:5]
	s_wait_dscnt 0x0
	global_store_b32 v51, v52, s[4:5]
.LBB88_12:
	s_wait_alu 0xfffe
	s_or_b32 exec_lo, exec_lo, s1
	s_wait_dscnt 0x0
	v_cmp_ne_u32_e32 vcc_lo, 0, v52
	s_mov_b32 s1, 0
	s_cbranch_vccnz .LBB88_112
; %bb.13:
	v_mov_b32_e32 v58, v57
                                        ; implicit-def: $vgpr53
                                        ; implicit-def: $vgpr55
	scratch_load_b64 v[51:52], v58, off
	s_wait_loadcnt 0x0
	v_cmp_ngt_f32_e64 s1, |v51|, |v52|
	s_wait_alu 0xfffe
	s_and_saveexec_b32 s4, s1
	s_wait_alu 0xfffe
	s_xor_b32 s1, exec_lo, s4
	s_cbranch_execz .LBB88_15
; %bb.14:
	v_div_scale_f32 v53, null, v52, v52, v51
	v_div_scale_f32 v56, vcc_lo, v51, v52, v51
	s_delay_alu instid0(VALU_DEP_2) | instskip(NEXT) | instid1(TRANS32_DEP_1)
	v_rcp_f32_e32 v54, v53
	v_fma_f32 v55, -v53, v54, 1.0
	s_delay_alu instid0(VALU_DEP_1) | instskip(NEXT) | instid1(VALU_DEP_1)
	v_fmac_f32_e32 v54, v55, v54
	v_mul_f32_e32 v55, v56, v54
	s_delay_alu instid0(VALU_DEP_1) | instskip(NEXT) | instid1(VALU_DEP_1)
	v_fma_f32 v59, -v53, v55, v56
	v_fmac_f32_e32 v55, v59, v54
	s_delay_alu instid0(VALU_DEP_1) | instskip(SKIP_1) | instid1(VALU_DEP_1)
	v_fma_f32 v53, -v53, v55, v56
	s_wait_alu 0xfffd
	v_div_fmas_f32 v53, v53, v54, v55
	s_delay_alu instid0(VALU_DEP_1) | instskip(NEXT) | instid1(VALU_DEP_1)
	v_div_fixup_f32 v53, v53, v52, v51
	v_fmac_f32_e32 v52, v51, v53
	s_delay_alu instid0(VALU_DEP_1) | instskip(NEXT) | instid1(VALU_DEP_1)
	v_div_scale_f32 v51, null, v52, v52, 1.0
	v_rcp_f32_e32 v54, v51
	s_delay_alu instid0(TRANS32_DEP_1) | instskip(NEXT) | instid1(VALU_DEP_1)
	v_fma_f32 v55, -v51, v54, 1.0
	v_fmac_f32_e32 v54, v55, v54
	v_div_scale_f32 v55, vcc_lo, 1.0, v52, 1.0
	s_delay_alu instid0(VALU_DEP_1) | instskip(NEXT) | instid1(VALU_DEP_1)
	v_mul_f32_e32 v56, v55, v54
	v_fma_f32 v59, -v51, v56, v55
	s_delay_alu instid0(VALU_DEP_1) | instskip(NEXT) | instid1(VALU_DEP_1)
	v_fmac_f32_e32 v56, v59, v54
	v_fma_f32 v51, -v51, v56, v55
	s_wait_alu 0xfffd
	s_delay_alu instid0(VALU_DEP_1) | instskip(NEXT) | instid1(VALU_DEP_1)
	v_div_fmas_f32 v51, v51, v54, v56
	v_div_fixup_f32 v51, v51, v52, 1.0
	s_delay_alu instid0(VALU_DEP_1) | instskip(SKIP_1) | instid1(VALU_DEP_2)
	v_mul_f32_e32 v53, v53, v51
	v_xor_b32_e32 v54, 0x80000000, v51
                                        ; implicit-def: $vgpr51_vgpr52
	v_xor_b32_e32 v55, 0x80000000, v53
.LBB88_15:
	s_wait_alu 0xfffe
	s_and_not1_saveexec_b32 s1, s1
	s_cbranch_execz .LBB88_17
; %bb.16:
	v_div_scale_f32 v53, null, v51, v51, v52
	v_div_scale_f32 v56, vcc_lo, v52, v51, v52
	s_delay_alu instid0(VALU_DEP_2) | instskip(NEXT) | instid1(TRANS32_DEP_1)
	v_rcp_f32_e32 v54, v53
	v_fma_f32 v55, -v53, v54, 1.0
	s_delay_alu instid0(VALU_DEP_1) | instskip(NEXT) | instid1(VALU_DEP_1)
	v_fmac_f32_e32 v54, v55, v54
	v_mul_f32_e32 v55, v56, v54
	s_delay_alu instid0(VALU_DEP_1) | instskip(NEXT) | instid1(VALU_DEP_1)
	v_fma_f32 v59, -v53, v55, v56
	v_fmac_f32_e32 v55, v59, v54
	s_delay_alu instid0(VALU_DEP_1) | instskip(SKIP_1) | instid1(VALU_DEP_1)
	v_fma_f32 v53, -v53, v55, v56
	s_wait_alu 0xfffd
	v_div_fmas_f32 v53, v53, v54, v55
	s_delay_alu instid0(VALU_DEP_1) | instskip(NEXT) | instid1(VALU_DEP_1)
	v_div_fixup_f32 v54, v53, v51, v52
	v_fmac_f32_e32 v51, v52, v54
	s_delay_alu instid0(VALU_DEP_1) | instskip(SKIP_1) | instid1(VALU_DEP_2)
	v_div_scale_f32 v52, null, v51, v51, 1.0
	v_div_scale_f32 v56, vcc_lo, 1.0, v51, 1.0
	v_rcp_f32_e32 v53, v52
	s_delay_alu instid0(TRANS32_DEP_1) | instskip(NEXT) | instid1(VALU_DEP_1)
	v_fma_f32 v55, -v52, v53, 1.0
	v_fmac_f32_e32 v53, v55, v53
	s_delay_alu instid0(VALU_DEP_1) | instskip(NEXT) | instid1(VALU_DEP_1)
	v_mul_f32_e32 v55, v56, v53
	v_fma_f32 v59, -v52, v55, v56
	s_delay_alu instid0(VALU_DEP_1) | instskip(NEXT) | instid1(VALU_DEP_1)
	v_fmac_f32_e32 v55, v59, v53
	v_fma_f32 v52, -v52, v55, v56
	s_wait_alu 0xfffd
	s_delay_alu instid0(VALU_DEP_1) | instskip(NEXT) | instid1(VALU_DEP_1)
	v_div_fmas_f32 v52, v52, v53, v55
	v_div_fixup_f32 v53, v52, v51, 1.0
	s_delay_alu instid0(VALU_DEP_1)
	v_xor_b32_e32 v55, 0x80000000, v53
	v_mul_f32_e64 v54, v54, -v53
.LBB88_17:
	s_wait_alu 0xfffe
	s_or_b32 exec_lo, exec_lo, s1
	scratch_store_b64 v58, v[53:54], off
	scratch_load_b64 v[52:53], off, off offset:8
	v_xor_b32_e32 v56, 0x80000000, v54
	v_add_nc_u32_e32 v51, 0xd0, v57
	s_wait_loadcnt 0x0
	ds_store_2addr_b64 v57, v[55:56], v[52:53] offset1:26
	s_wait_storecnt_dscnt 0x0
	s_barrier_signal -1
	s_barrier_wait -1
	global_inv scope:SCOPE_SE
	s_and_saveexec_b32 s1, s0
	s_cbranch_execz .LBB88_19
; %bb.18:
	scratch_load_b64 v[52:53], v58, off
	ds_load_b64 v[54:55], v51
	v_mov_b32_e32 v56, 0
	ds_load_b64 v[59:60], v56 offset:8
	s_wait_loadcnt_dscnt 0x1
	v_mul_f32_e32 v56, v54, v53
	v_mul_f32_e32 v53, v55, v53
	s_delay_alu instid0(VALU_DEP_2) | instskip(NEXT) | instid1(VALU_DEP_2)
	v_fmac_f32_e32 v56, v55, v52
	v_fma_f32 v52, v54, v52, -v53
	s_delay_alu instid0(VALU_DEP_2) | instskip(NEXT) | instid1(VALU_DEP_2)
	v_add_f32_e32 v54, 0, v56
	v_add_f32_e32 v52, 0, v52
	s_wait_dscnt 0x0
	s_delay_alu instid0(VALU_DEP_2) | instskip(NEXT) | instid1(VALU_DEP_2)
	v_mul_f32_e32 v55, v54, v60
	v_mul_f32_e32 v53, v52, v60
	s_delay_alu instid0(VALU_DEP_2) | instskip(NEXT) | instid1(VALU_DEP_2)
	v_fma_f32 v52, v52, v59, -v55
	v_fmac_f32_e32 v53, v54, v59
	scratch_store_b64 off, v[52:53], off offset:8
.LBB88_19:
	s_wait_alu 0xfffe
	s_or_b32 exec_lo, exec_lo, s1
	s_wait_loadcnt 0x0
	s_wait_storecnt 0x0
	s_barrier_signal -1
	s_barrier_wait -1
	global_inv scope:SCOPE_SE
	scratch_load_b64 v[52:53], off, off offset:16
	s_mov_b32 s1, exec_lo
	s_wait_loadcnt 0x0
	ds_store_b64 v51, v[52:53]
	s_wait_dscnt 0x0
	s_barrier_signal -1
	s_barrier_wait -1
	global_inv scope:SCOPE_SE
	v_cmpx_gt_u32_e32 2, v0
	s_cbranch_execz .LBB88_23
; %bb.20:
	scratch_load_b64 v[52:53], v58, off
	ds_load_b64 v[54:55], v51
	s_wait_loadcnt_dscnt 0x0
	v_mul_f32_e32 v56, v55, v53
	v_mul_f32_e32 v59, v54, v53
	s_delay_alu instid0(VALU_DEP_2) | instskip(NEXT) | instid1(VALU_DEP_2)
	v_fma_f32 v53, v54, v52, -v56
	v_fmac_f32_e32 v59, v55, v52
	s_delay_alu instid0(VALU_DEP_1)
	v_dual_add_f32 v53, 0, v53 :: v_dual_add_f32 v52, 0, v59
	s_and_saveexec_b32 s4, s0
	s_cbranch_execz .LBB88_22
; %bb.21:
	scratch_load_b64 v[54:55], off, off offset:8
	v_mov_b32_e32 v56, 0
	ds_load_b64 v[59:60], v56 offset:216
	s_wait_loadcnt_dscnt 0x0
	v_mul_f32_e32 v56, v59, v55
	v_mul_f32_e32 v55, v60, v55
	s_delay_alu instid0(VALU_DEP_2) | instskip(NEXT) | instid1(VALU_DEP_2)
	v_fmac_f32_e32 v56, v60, v54
	v_fma_f32 v54, v59, v54, -v55
	s_delay_alu instid0(VALU_DEP_1)
	v_dual_add_f32 v52, v52, v56 :: v_dual_add_f32 v53, v53, v54
.LBB88_22:
	s_wait_alu 0xfffe
	s_or_b32 exec_lo, exec_lo, s4
	v_mov_b32_e32 v54, 0
	ds_load_b64 v[54:55], v54 offset:16
	s_wait_dscnt 0x0
	v_mul_f32_e32 v59, v52, v55
	v_mul_f32_e32 v56, v53, v55
	s_delay_alu instid0(VALU_DEP_2) | instskip(NEXT) | instid1(VALU_DEP_2)
	v_fma_f32 v55, v53, v54, -v59
	v_fmac_f32_e32 v56, v52, v54
	scratch_store_b64 off, v[55:56], off offset:16
.LBB88_23:
	s_wait_alu 0xfffe
	s_or_b32 exec_lo, exec_lo, s1
	s_wait_loadcnt 0x0
	s_wait_storecnt 0x0
	s_barrier_signal -1
	s_barrier_wait -1
	global_inv scope:SCOPE_SE
	scratch_load_b64 v[53:54], off, off offset:24
	v_add_nc_u32_e32 v52, -1, v0
	s_mov_b32 s0, exec_lo
	s_wait_loadcnt 0x0
	ds_store_b64 v51, v[53:54]
	s_wait_dscnt 0x0
	s_barrier_signal -1
	s_barrier_wait -1
	global_inv scope:SCOPE_SE
	v_cmpx_gt_u32_e32 3, v0
	s_cbranch_execz .LBB88_27
; %bb.24:
	v_dual_mov_b32 v53, 0 :: v_dual_add_nc_u32 v54, -1, v0
	v_dual_mov_b32 v56, v57 :: v_dual_add_nc_u32 v55, 0xd0, v57
	v_mov_b32_e32 v59, 0
	s_mov_b32 s1, 0
.LBB88_25:                              ; =>This Inner Loop Header: Depth=1
	scratch_load_b64 v[60:61], v56, off
	ds_load_b64 v[62:63], v55
	v_add_nc_u32_e32 v54, 1, v54
	v_add_nc_u32_e32 v55, 8, v55
	s_delay_alu instid0(VALU_DEP_2)
	v_cmp_lt_u32_e32 vcc_lo, 1, v54
	s_wait_alu 0xfffe
	s_or_b32 s1, vcc_lo, s1
	s_wait_loadcnt_dscnt 0x0
	v_mul_f32_e32 v64, v63, v61
	v_mul_f32_e32 v61, v62, v61
	s_delay_alu instid0(VALU_DEP_2) | instskip(NEXT) | instid1(VALU_DEP_2)
	v_fma_f32 v62, v62, v60, -v64
	v_fmac_f32_e32 v61, v63, v60
	s_delay_alu instid0(VALU_DEP_2) | instskip(NEXT) | instid1(VALU_DEP_2)
	v_dual_add_f32 v59, v59, v62 :: v_dual_add_nc_u32 v56, 8, v56
	v_add_f32_e32 v53, v53, v61
	s_wait_alu 0xfffe
	s_and_not1_b32 exec_lo, exec_lo, s1
	s_cbranch_execnz .LBB88_25
; %bb.26:
	s_or_b32 exec_lo, exec_lo, s1
	v_mov_b32_e32 v54, 0
	ds_load_b64 v[54:55], v54 offset:24
	s_wait_dscnt 0x0
	v_mul_f32_e32 v60, v53, v55
	v_mul_f32_e32 v56, v59, v55
	s_delay_alu instid0(VALU_DEP_2) | instskip(NEXT) | instid1(VALU_DEP_2)
	v_fma_f32 v55, v59, v54, -v60
	v_fmac_f32_e32 v56, v53, v54
	scratch_store_b64 off, v[55:56], off offset:24
.LBB88_27:
	s_wait_alu 0xfffe
	s_or_b32 exec_lo, exec_lo, s0
	s_wait_loadcnt 0x0
	s_wait_storecnt 0x0
	s_barrier_signal -1
	s_barrier_wait -1
	global_inv scope:SCOPE_SE
	scratch_load_b64 v[53:54], off, off offset:32
	s_mov_b32 s0, exec_lo
	s_wait_loadcnt 0x0
	ds_store_b64 v51, v[53:54]
	s_wait_dscnt 0x0
	s_barrier_signal -1
	s_barrier_wait -1
	global_inv scope:SCOPE_SE
	v_cmpx_gt_u32_e32 4, v0
	s_cbranch_execz .LBB88_31
; %bb.28:
	v_dual_mov_b32 v53, 0 :: v_dual_add_nc_u32 v54, -1, v0
	v_dual_mov_b32 v56, v57 :: v_dual_add_nc_u32 v55, 0xd0, v57
	v_mov_b32_e32 v59, 0
	s_mov_b32 s1, 0
.LBB88_29:                              ; =>This Inner Loop Header: Depth=1
	scratch_load_b64 v[60:61], v56, off
	ds_load_b64 v[62:63], v55
	v_add_nc_u32_e32 v54, 1, v54
	v_add_nc_u32_e32 v55, 8, v55
	s_delay_alu instid0(VALU_DEP_2)
	v_cmp_lt_u32_e32 vcc_lo, 2, v54
	s_wait_alu 0xfffe
	s_or_b32 s1, vcc_lo, s1
	s_wait_loadcnt_dscnt 0x0
	v_mul_f32_e32 v64, v63, v61
	v_mul_f32_e32 v61, v62, v61
	s_delay_alu instid0(VALU_DEP_2) | instskip(NEXT) | instid1(VALU_DEP_2)
	v_fma_f32 v62, v62, v60, -v64
	v_fmac_f32_e32 v61, v63, v60
	s_delay_alu instid0(VALU_DEP_2) | instskip(NEXT) | instid1(VALU_DEP_2)
	v_dual_add_f32 v59, v59, v62 :: v_dual_add_nc_u32 v56, 8, v56
	v_add_f32_e32 v53, v53, v61
	s_wait_alu 0xfffe
	s_and_not1_b32 exec_lo, exec_lo, s1
	s_cbranch_execnz .LBB88_29
; %bb.30:
	s_or_b32 exec_lo, exec_lo, s1
	v_mov_b32_e32 v54, 0
	ds_load_b64 v[54:55], v54 offset:32
	s_wait_dscnt 0x0
	v_mul_f32_e32 v60, v53, v55
	v_mul_f32_e32 v56, v59, v55
	s_delay_alu instid0(VALU_DEP_2) | instskip(NEXT) | instid1(VALU_DEP_2)
	v_fma_f32 v55, v59, v54, -v60
	v_fmac_f32_e32 v56, v53, v54
	scratch_store_b64 off, v[55:56], off offset:32
.LBB88_31:
	s_wait_alu 0xfffe
	s_or_b32 exec_lo, exec_lo, s0
	s_wait_loadcnt 0x0
	s_wait_storecnt 0x0
	s_barrier_signal -1
	s_barrier_wait -1
	global_inv scope:SCOPE_SE
	scratch_load_b64 v[53:54], off, off offset:40
	;; [unrolled: 55-line block ×19, first 2 shown]
	s_mov_b32 s0, exec_lo
	s_wait_loadcnt 0x0
	ds_store_b64 v51, v[53:54]
	s_wait_dscnt 0x0
	s_barrier_signal -1
	s_barrier_wait -1
	global_inv scope:SCOPE_SE
	v_cmpx_gt_u32_e32 22, v0
	s_cbranch_execz .LBB88_103
; %bb.100:
	v_dual_mov_b32 v53, 0 :: v_dual_add_nc_u32 v54, -1, v0
	v_dual_mov_b32 v56, v57 :: v_dual_add_nc_u32 v55, 0xd0, v57
	v_mov_b32_e32 v59, 0
	s_mov_b32 s1, 0
.LBB88_101:                             ; =>This Inner Loop Header: Depth=1
	scratch_load_b64 v[60:61], v56, off
	ds_load_b64 v[62:63], v55
	v_add_nc_u32_e32 v54, 1, v54
	v_add_nc_u32_e32 v55, 8, v55
	s_delay_alu instid0(VALU_DEP_2)
	v_cmp_lt_u32_e32 vcc_lo, 20, v54
	s_wait_alu 0xfffe
	s_or_b32 s1, vcc_lo, s1
	s_wait_loadcnt_dscnt 0x0
	v_mul_f32_e32 v64, v63, v61
	v_mul_f32_e32 v61, v62, v61
	s_delay_alu instid0(VALU_DEP_2) | instskip(NEXT) | instid1(VALU_DEP_2)
	v_fma_f32 v62, v62, v60, -v64
	v_fmac_f32_e32 v61, v63, v60
	s_delay_alu instid0(VALU_DEP_2) | instskip(NEXT) | instid1(VALU_DEP_2)
	v_dual_add_f32 v59, v59, v62 :: v_dual_add_nc_u32 v56, 8, v56
	v_add_f32_e32 v53, v53, v61
	s_wait_alu 0xfffe
	s_and_not1_b32 exec_lo, exec_lo, s1
	s_cbranch_execnz .LBB88_101
; %bb.102:
	s_or_b32 exec_lo, exec_lo, s1
	v_mov_b32_e32 v54, 0
	ds_load_b64 v[54:55], v54 offset:176
	s_wait_dscnt 0x0
	v_mul_f32_e32 v60, v53, v55
	v_mul_f32_e32 v56, v59, v55
	s_delay_alu instid0(VALU_DEP_2) | instskip(NEXT) | instid1(VALU_DEP_2)
	v_fma_f32 v55, v59, v54, -v60
	v_fmac_f32_e32 v56, v53, v54
	scratch_store_b64 off, v[55:56], off offset:176
.LBB88_103:
	s_wait_alu 0xfffe
	s_or_b32 exec_lo, exec_lo, s0
	s_wait_loadcnt 0x0
	s_wait_storecnt 0x0
	s_barrier_signal -1
	s_barrier_wait -1
	global_inv scope:SCOPE_SE
	scratch_load_b64 v[53:54], off, off offset:184
	s_mov_b32 s0, exec_lo
	s_wait_loadcnt 0x0
	ds_store_b64 v51, v[53:54]
	s_wait_dscnt 0x0
	s_barrier_signal -1
	s_barrier_wait -1
	global_inv scope:SCOPE_SE
	v_cmpx_gt_u32_e32 23, v0
	s_cbranch_execz .LBB88_107
; %bb.104:
	v_dual_mov_b32 v53, 0 :: v_dual_add_nc_u32 v54, -1, v0
	v_dual_mov_b32 v56, v57 :: v_dual_add_nc_u32 v55, 0xd0, v57
	v_mov_b32_e32 v57, 0
	s_mov_b32 s1, 0
.LBB88_105:                             ; =>This Inner Loop Header: Depth=1
	scratch_load_b64 v[59:60], v56, off
	ds_load_b64 v[61:62], v55
	v_add_nc_u32_e32 v56, 8, v56
	v_add_nc_u32_e32 v54, 1, v54
	;; [unrolled: 1-line block ×3, first 2 shown]
	s_delay_alu instid0(VALU_DEP_2)
	v_cmp_lt_u32_e32 vcc_lo, 21, v54
	s_wait_alu 0xfffe
	s_or_b32 s1, vcc_lo, s1
	s_wait_loadcnt_dscnt 0x0
	v_mul_f32_e32 v63, v62, v60
	v_mul_f32_e32 v60, v61, v60
	s_delay_alu instid0(VALU_DEP_2) | instskip(NEXT) | instid1(VALU_DEP_1)
	v_fma_f32 v61, v61, v59, -v63
	v_dual_fmac_f32 v60, v62, v59 :: v_dual_add_f32 v57, v57, v61
	s_delay_alu instid0(VALU_DEP_1)
	v_add_f32_e32 v53, v53, v60
	s_wait_alu 0xfffe
	s_and_not1_b32 exec_lo, exec_lo, s1
	s_cbranch_execnz .LBB88_105
; %bb.106:
	s_or_b32 exec_lo, exec_lo, s1
	v_mov_b32_e32 v54, 0
	ds_load_b64 v[54:55], v54 offset:184
	s_wait_dscnt 0x0
	v_mul_f32_e32 v59, v53, v55
	v_mul_f32_e32 v56, v57, v55
	s_delay_alu instid0(VALU_DEP_2) | instskip(NEXT) | instid1(VALU_DEP_2)
	v_fma_f32 v55, v57, v54, -v59
	v_fmac_f32_e32 v56, v53, v54
	scratch_store_b64 off, v[55:56], off offset:184
.LBB88_107:
	s_wait_alu 0xfffe
	s_or_b32 exec_lo, exec_lo, s0
	s_wait_loadcnt 0x0
	s_wait_storecnt 0x0
	s_barrier_signal -1
	s_barrier_wait -1
	global_inv scope:SCOPE_SE
	scratch_load_b64 v[53:54], off, off offset:192
	s_mov_b32 s0, exec_lo
	s_wait_loadcnt 0x0
	ds_store_b64 v51, v[53:54]
	s_wait_dscnt 0x0
	s_barrier_signal -1
	s_barrier_wait -1
	global_inv scope:SCOPE_SE
	v_cmpx_ne_u32_e32 24, v0
	s_cbranch_execz .LBB88_111
; %bb.108:
	v_dual_mov_b32 v53, 0 :: v_dual_mov_b32 v54, 0
	s_mov_b32 s1, 0
.LBB88_109:                             ; =>This Inner Loop Header: Depth=1
	scratch_load_b64 v[55:56], v58, off
	ds_load_b64 v[59:60], v51
	v_add_nc_u32_e32 v52, 1, v52
	v_add_nc_u32_e32 v51, 8, v51
	;; [unrolled: 1-line block ×3, first 2 shown]
	s_delay_alu instid0(VALU_DEP_3)
	v_cmp_lt_u32_e32 vcc_lo, 22, v52
	s_wait_alu 0xfffe
	s_or_b32 s1, vcc_lo, s1
	s_wait_loadcnt_dscnt 0x0
	v_mul_f32_e32 v57, v60, v56
	v_mul_f32_e32 v56, v59, v56
	s_delay_alu instid0(VALU_DEP_2) | instskip(NEXT) | instid1(VALU_DEP_2)
	v_fma_f32 v57, v59, v55, -v57
	v_fmac_f32_e32 v56, v60, v55
	s_delay_alu instid0(VALU_DEP_1)
	v_dual_add_f32 v54, v54, v57 :: v_dual_add_f32 v53, v53, v56
	s_wait_alu 0xfffe
	s_and_not1_b32 exec_lo, exec_lo, s1
	s_cbranch_execnz .LBB88_109
; %bb.110:
	s_or_b32 exec_lo, exec_lo, s1
	v_mov_b32_e32 v51, 0
	ds_load_b64 v[51:52], v51 offset:192
	s_wait_dscnt 0x0
	v_mul_f32_e32 v56, v53, v52
	v_mul_f32_e32 v55, v54, v52
	s_delay_alu instid0(VALU_DEP_2) | instskip(NEXT) | instid1(VALU_DEP_2)
	v_fma_f32 v54, v54, v51, -v56
	v_fmac_f32_e32 v55, v53, v51
	scratch_store_b64 off, v[54:55], off offset:192
.LBB88_111:
	s_wait_alu 0xfffe
	s_or_b32 exec_lo, exec_lo, s0
	s_mov_b32 s1, -1
	s_wait_loadcnt 0x0
	s_wait_storecnt 0x0
	s_barrier_signal -1
	s_barrier_wait -1
	global_inv scope:SCOPE_SE
.LBB88_112:
	s_wait_alu 0xfffe
	s_and_b32 vcc_lo, exec_lo, s1
	s_wait_alu 0xfffe
	s_cbranch_vccz .LBB88_114
; %bb.113:
	v_mov_b32_e32 v51, 0
	s_lshl_b64 s[0:1], s[8:9], 2
	s_wait_alu 0xfffe
	s_add_nc_u64 s[0:1], s[6:7], s[0:1]
	global_load_b32 v51, v51, s[0:1]
	s_wait_loadcnt 0x0
	v_cmp_ne_u32_e32 vcc_lo, 0, v51
	s_cbranch_vccz .LBB88_115
.LBB88_114:
	s_nop 0
	s_sendmsg sendmsg(MSG_DEALLOC_VGPRS)
	s_endpgm
.LBB88_115:
	v_lshl_add_u32 v53, v0, 3, 0xd0
	s_mov_b32 s0, exec_lo
	v_cmpx_eq_u32_e32 24, v0
	s_cbranch_execz .LBB88_117
; %bb.116:
	scratch_load_b64 v[51:52], off, off offset:184
	v_mov_b32_e32 v54, 0
	s_delay_alu instid0(VALU_DEP_1)
	v_mov_b32_e32 v55, v54
	scratch_store_b64 off, v[54:55], off offset:184
	s_wait_loadcnt 0x0
	ds_store_b64 v53, v[51:52]
.LBB88_117:
	s_wait_alu 0xfffe
	s_or_b32 exec_lo, exec_lo, s0
	s_wait_storecnt_dscnt 0x0
	s_barrier_signal -1
	s_barrier_wait -1
	global_inv scope:SCOPE_SE
	s_clause 0x1
	scratch_load_b64 v[54:55], off, off offset:192
	scratch_load_b64 v[56:57], off, off offset:184
	v_mov_b32_e32 v51, 0
	s_mov_b32 s0, exec_lo
	ds_load_b64 v[58:59], v51 offset:400
	s_wait_loadcnt_dscnt 0x100
	v_mul_f32_e32 v52, v59, v55
	s_delay_alu instid0(VALU_DEP_1) | instskip(NEXT) | instid1(VALU_DEP_1)
	v_fma_f32 v52, v58, v54, -v52
	v_dual_mul_f32 v55, v58, v55 :: v_dual_add_f32 v52, 0, v52
	s_wait_loadcnt 0x0
	s_delay_alu instid0(VALU_DEP_1) | instskip(NEXT) | instid1(VALU_DEP_1)
	v_dual_fmac_f32 v55, v59, v54 :: v_dual_sub_f32 v54, v56, v52
	v_add_f32_e32 v55, 0, v55
	s_delay_alu instid0(VALU_DEP_1)
	v_sub_f32_e32 v55, v57, v55
	scratch_store_b64 off, v[54:55], off offset:184
	v_cmpx_lt_u32_e32 22, v0
	s_cbranch_execz .LBB88_119
; %bb.118:
	scratch_load_b64 v[54:55], off, off offset:176
	v_mov_b32_e32 v52, v51
	scratch_store_b64 off, v[51:52], off offset:176
	s_wait_loadcnt 0x0
	ds_store_b64 v53, v[54:55]
.LBB88_119:
	s_wait_alu 0xfffe
	s_or_b32 exec_lo, exec_lo, s0
	s_wait_storecnt_dscnt 0x0
	s_barrier_signal -1
	s_barrier_wait -1
	global_inv scope:SCOPE_SE
	s_clause 0x1
	scratch_load_b128 v[54:57], off, off offset:184
	scratch_load_b64 v[62:63], off, off offset:176
	ds_load_2addr_b64 v[58:61], v51 offset0:49 offset1:50
	s_mov_b32 s0, exec_lo
	s_wait_loadcnt_dscnt 0x100
	v_mul_f32_e32 v52, v58, v55
	s_delay_alu instid0(VALU_DEP_1) | instskip(SKIP_2) | instid1(VALU_DEP_1)
	v_fmac_f32_e32 v52, v59, v54
	v_mul_f32_e32 v51, v59, v55
	v_mul_f32_e32 v55, v60, v57
	v_fmac_f32_e32 v55, v61, v56
	s_delay_alu instid0(VALU_DEP_4) | instskip(NEXT) | instid1(VALU_DEP_4)
	v_dual_add_f32 v52, 0, v52 :: v_dual_mul_f32 v57, v61, v57
	v_fma_f32 v51, v58, v54, -v51
	s_delay_alu instid0(VALU_DEP_2) | instskip(NEXT) | instid1(VALU_DEP_3)
	v_add_f32_e32 v52, v52, v55
	v_fma_f32 v54, v60, v56, -v57
	s_wait_loadcnt 0x0
	s_delay_alu instid0(VALU_DEP_2) | instskip(NEXT) | instid1(VALU_DEP_1)
	v_dual_add_f32 v51, 0, v51 :: v_dual_sub_f32 v52, v63, v52
	v_add_f32_e32 v51, v51, v54
	s_delay_alu instid0(VALU_DEP_1)
	v_sub_f32_e32 v51, v62, v51
	scratch_store_b64 off, v[51:52], off offset:176
	v_cmpx_lt_u32_e32 21, v0
	s_cbranch_execz .LBB88_121
; %bb.120:
	scratch_load_b64 v[51:52], off, off offset:168
	v_mov_b32_e32 v54, 0
	s_delay_alu instid0(VALU_DEP_1)
	v_mov_b32_e32 v55, v54
	scratch_store_b64 off, v[54:55], off offset:168
	s_wait_loadcnt 0x0
	ds_store_b64 v53, v[51:52]
.LBB88_121:
	s_wait_alu 0xfffe
	s_or_b32 exec_lo, exec_lo, s0
	s_wait_storecnt_dscnt 0x0
	s_barrier_signal -1
	s_barrier_wait -1
	global_inv scope:SCOPE_SE
	s_clause 0x2
	scratch_load_b128 v[54:57], off, off offset:176
	scratch_load_b64 v[62:63], off, off offset:192
	scratch_load_b64 v[64:65], off, off offset:168
	v_mov_b32_e32 v51, 0
	ds_load_b128 v[58:61], v51 offset:384
	ds_load_b64 v[66:67], v51 offset:400
	s_mov_b32 s0, exec_lo
	s_wait_loadcnt_dscnt 0x201
	v_mul_f32_e32 v52, v59, v55
	v_dual_mul_f32 v55, v58, v55 :: v_dual_mul_f32 v68, v60, v57
	v_mul_f32_e32 v57, v61, v57
	s_wait_loadcnt_dscnt 0x100
	v_mul_f32_e32 v69, v66, v63
	v_fma_f32 v52, v58, v54, -v52
	v_fmac_f32_e32 v55, v59, v54
	v_mul_f32_e32 v54, v67, v63
	v_fmac_f32_e32 v68, v61, v56
	v_fma_f32 v56, v60, v56, -v57
	s_delay_alu instid0(VALU_DEP_4) | instskip(NEXT) | instid1(VALU_DEP_4)
	v_dual_add_f32 v52, 0, v52 :: v_dual_add_f32 v55, 0, v55
	v_fma_f32 v54, v66, v62, -v54
	s_delay_alu instid0(VALU_DEP_2) | instskip(NEXT) | instid1(VALU_DEP_1)
	v_add_f32_e32 v52, v52, v56
	v_dual_add_f32 v55, v55, v68 :: v_dual_add_f32 v52, v52, v54
	s_wait_loadcnt 0x0
	s_delay_alu instid0(VALU_DEP_1) | instskip(NEXT) | instid1(VALU_DEP_1)
	v_dual_fmac_f32 v69, v67, v62 :: v_dual_sub_f32 v54, v64, v52
	v_add_f32_e32 v55, v55, v69
	s_delay_alu instid0(VALU_DEP_1)
	v_sub_f32_e32 v55, v65, v55
	scratch_store_b64 off, v[54:55], off offset:168
	v_cmpx_lt_u32_e32 20, v0
	s_cbranch_execz .LBB88_123
; %bb.122:
	scratch_load_b64 v[54:55], off, off offset:160
	v_mov_b32_e32 v52, v51
	scratch_store_b64 off, v[51:52], off offset:160
	s_wait_loadcnt 0x0
	ds_store_b64 v53, v[54:55]
.LBB88_123:
	s_wait_alu 0xfffe
	s_or_b32 exec_lo, exec_lo, s0
	s_wait_storecnt_dscnt 0x0
	s_barrier_signal -1
	s_barrier_wait -1
	global_inv scope:SCOPE_SE
	s_clause 0x2
	scratch_load_b128 v[54:57], off, off offset:168
	scratch_load_b128 v[58:61], off, off offset:184
	scratch_load_b64 v[70:71], off, off offset:160
	ds_load_2addr_b64 v[62:65], v51 offset0:47 offset1:48
	ds_load_2addr_b64 v[66:69], v51 offset0:49 offset1:50
	s_mov_b32 s0, exec_lo
	s_wait_loadcnt_dscnt 0x201
	v_mul_f32_e32 v52, v63, v55
	s_wait_loadcnt_dscnt 0x100
	v_dual_mul_f32 v72, v66, v59 :: v_dual_mul_f32 v73, v68, v61
	s_delay_alu instid0(VALU_DEP_2) | instskip(SKIP_2) | instid1(VALU_DEP_4)
	v_fma_f32 v52, v62, v54, -v52
	v_mul_f32_e32 v51, v62, v55
	v_mul_f32_e32 v55, v64, v57
	v_dual_mul_f32 v57, v65, v57 :: v_dual_fmac_f32 v72, v67, v58
	s_delay_alu instid0(VALU_DEP_3) | instskip(NEXT) | instid1(VALU_DEP_3)
	v_dual_add_f32 v52, 0, v52 :: v_dual_fmac_f32 v51, v63, v54
	v_dual_mul_f32 v54, v67, v59 :: v_dual_fmac_f32 v55, v65, v56
	s_delay_alu instid0(VALU_DEP_3) | instskip(SKIP_1) | instid1(VALU_DEP_3)
	v_fma_f32 v56, v64, v56, -v57
	v_fmac_f32_e32 v73, v69, v60
	v_fma_f32 v54, v66, v58, -v54
	s_delay_alu instid0(VALU_DEP_3) | instskip(NEXT) | instid1(VALU_DEP_1)
	v_dual_add_f32 v52, v52, v56 :: v_dual_add_f32 v51, 0, v51
	v_dual_add_f32 v52, v52, v54 :: v_dual_mul_f32 v57, v69, v61
	s_delay_alu instid0(VALU_DEP_2) | instskip(NEXT) | instid1(VALU_DEP_2)
	v_add_f32_e32 v51, v51, v55
	v_fma_f32 v55, v68, v60, -v57
	s_delay_alu instid0(VALU_DEP_1) | instskip(SKIP_1) | instid1(VALU_DEP_1)
	v_dual_add_f32 v51, v51, v72 :: v_dual_add_f32 v52, v52, v55
	s_wait_loadcnt 0x0
	v_dual_add_f32 v54, v51, v73 :: v_dual_sub_f32 v51, v70, v52
	s_delay_alu instid0(VALU_DEP_1)
	v_sub_f32_e32 v52, v71, v54
	scratch_store_b64 off, v[51:52], off offset:160
	v_cmpx_lt_u32_e32 19, v0
	s_cbranch_execz .LBB88_125
; %bb.124:
	scratch_load_b64 v[51:52], off, off offset:152
	v_mov_b32_e32 v54, 0
	s_delay_alu instid0(VALU_DEP_1)
	v_mov_b32_e32 v55, v54
	scratch_store_b64 off, v[54:55], off offset:152
	s_wait_loadcnt 0x0
	ds_store_b64 v53, v[51:52]
.LBB88_125:
	s_wait_alu 0xfffe
	s_or_b32 exec_lo, exec_lo, s0
	s_wait_storecnt_dscnt 0x0
	s_barrier_signal -1
	s_barrier_wait -1
	global_inv scope:SCOPE_SE
	s_clause 0x3
	scratch_load_b128 v[54:57], off, off offset:160
	scratch_load_b128 v[58:61], off, off offset:176
	scratch_load_b64 v[70:71], off, off offset:192
	scratch_load_b64 v[72:73], off, off offset:152
	v_mov_b32_e32 v51, 0
	ds_load_b128 v[62:65], v51 offset:368
	ds_load_b128 v[66:69], v51 offset:384
	ds_load_b64 v[74:75], v51 offset:400
	s_mov_b32 s0, exec_lo
	s_wait_loadcnt_dscnt 0x302
	v_mul_f32_e32 v52, v62, v55
	v_dual_mul_f32 v76, v64, v57 :: v_dual_mul_f32 v55, v63, v55
	s_wait_loadcnt_dscnt 0x100
	v_mul_f32_e32 v79, v74, v71
	v_dual_mul_f32 v77, v66, v59 :: v_dual_mul_f32 v78, v68, v61
	v_dual_fmac_f32 v52, v63, v54 :: v_dual_mul_f32 v57, v65, v57
	v_fma_f32 v55, v62, v54, -v55
	v_fmac_f32_e32 v76, v65, v56
	v_mul_f32_e32 v54, v67, v59
	s_delay_alu instid0(VALU_DEP_4) | instskip(SKIP_3) | instid1(VALU_DEP_4)
	v_add_f32_e32 v52, 0, v52
	v_fma_f32 v56, v64, v56, -v57
	v_add_f32_e32 v55, 0, v55
	v_mul_f32_e32 v57, v69, v61
	v_dual_fmac_f32 v77, v67, v58 :: v_dual_add_f32 v52, v52, v76
	v_dual_fmac_f32 v78, v69, v60 :: v_dual_fmac_f32 v79, v75, v70
	s_delay_alu instid0(VALU_DEP_4) | instskip(SKIP_1) | instid1(VALU_DEP_4)
	v_add_f32_e32 v55, v55, v56
	v_fma_f32 v54, v66, v58, -v54
	v_add_f32_e32 v52, v52, v77
	v_fma_f32 v57, v68, v60, -v57
	s_delay_alu instid0(VALU_DEP_3) | instskip(NEXT) | instid1(VALU_DEP_3)
	v_add_f32_e32 v54, v55, v54
	v_add_f32_e32 v52, v52, v78
	s_delay_alu instid0(VALU_DEP_2) | instskip(NEXT) | instid1(VALU_DEP_2)
	v_add_f32_e32 v54, v54, v57
	v_add_f32_e32 v52, v52, v79
	v_mul_f32_e32 v56, v75, v71
	s_delay_alu instid0(VALU_DEP_1) | instskip(SKIP_1) | instid1(VALU_DEP_1)
	v_fma_f32 v55, v74, v70, -v56
	s_wait_loadcnt 0x0
	v_dual_add_f32 v54, v54, v55 :: v_dual_sub_f32 v55, v73, v52
	s_delay_alu instid0(VALU_DEP_1)
	v_sub_f32_e32 v54, v72, v54
	scratch_store_b64 off, v[54:55], off offset:152
	v_cmpx_lt_u32_e32 18, v0
	s_cbranch_execz .LBB88_127
; %bb.126:
	scratch_load_b64 v[54:55], off, off offset:144
	v_mov_b32_e32 v52, v51
	scratch_store_b64 off, v[51:52], off offset:144
	s_wait_loadcnt 0x0
	ds_store_b64 v53, v[54:55]
.LBB88_127:
	s_wait_alu 0xfffe
	s_or_b32 exec_lo, exec_lo, s0
	s_wait_storecnt_dscnt 0x0
	s_barrier_signal -1
	s_barrier_wait -1
	global_inv scope:SCOPE_SE
	s_clause 0x3
	scratch_load_b128 v[54:57], off, off offset:152
	scratch_load_b128 v[58:61], off, off offset:168
	;; [unrolled: 1-line block ×3, first 2 shown]
	scratch_load_b64 v[78:79], off, off offset:144
	ds_load_2addr_b64 v[66:69], v51 offset0:45 offset1:46
	ds_load_2addr_b64 v[70:73], v51 offset0:47 offset1:48
	;; [unrolled: 1-line block ×3, first 2 shown]
	s_mov_b32 s0, exec_lo
	s_wait_loadcnt_dscnt 0x302
	v_dual_mul_f32 v51, v66, v55 :: v_dual_mul_f32 v52, v68, v57
	v_mul_f32_e32 v55, v67, v55
	s_wait_loadcnt_dscnt 0x201
	v_dual_mul_f32 v57, v69, v57 :: v_dual_mul_f32 v80, v70, v59
	s_delay_alu instid0(VALU_DEP_3) | instskip(NEXT) | instid1(VALU_DEP_3)
	v_dual_mul_f32 v81, v72, v61 :: v_dual_fmac_f32 v52, v69, v56
	v_fma_f32 v55, v66, v54, -v55
	v_fmac_f32_e32 v51, v67, v54
	v_mul_f32_e32 v54, v71, v59
	v_fma_f32 v56, v68, v56, -v57
	v_mul_f32_e32 v57, v73, v61
	v_dual_add_f32 v55, 0, v55 :: v_dual_fmac_f32 v80, v71, v58
	s_delay_alu instid0(VALU_DEP_4) | instskip(SKIP_2) | instid1(VALU_DEP_3)
	v_fma_f32 v54, v70, v58, -v54
	s_wait_loadcnt_dscnt 0x100
	v_dual_mul_f32 v82, v74, v63 :: v_dual_mul_f32 v83, v76, v65
	v_add_f32_e32 v55, v55, v56
	v_fmac_f32_e32 v81, v73, v60
	v_fma_f32 v56, v72, v60, -v57
	s_delay_alu instid0(VALU_DEP_4) | instskip(NEXT) | instid1(VALU_DEP_4)
	v_dual_fmac_f32 v82, v75, v62 :: v_dual_fmac_f32 v83, v77, v64
	v_add_f32_e32 v54, v55, v54
	s_delay_alu instid0(VALU_DEP_1) | instskip(SKIP_1) | instid1(VALU_DEP_1)
	v_dual_add_f32 v54, v54, v56 :: v_dual_add_f32 v51, 0, v51
	v_mul_f32_e32 v55, v77, v65
	v_fma_f32 v55, v76, v64, -v55
	s_delay_alu instid0(VALU_DEP_3) | instskip(SKIP_1) | instid1(VALU_DEP_1)
	v_add_f32_e32 v51, v51, v52
	v_mul_f32_e32 v52, v75, v63
	v_fma_f32 v52, v74, v62, -v52
	s_delay_alu instid0(VALU_DEP_1) | instskip(NEXT) | instid1(VALU_DEP_1)
	v_add_f32_e32 v52, v54, v52
	v_dual_add_f32 v52, v52, v55 :: v_dual_add_f32 v51, v51, v80
	s_delay_alu instid0(VALU_DEP_1) | instskip(NEXT) | instid1(VALU_DEP_1)
	v_add_f32_e32 v51, v51, v81
	v_add_f32_e32 v51, v51, v82
	s_wait_loadcnt 0x0
	s_delay_alu instid0(VALU_DEP_1) | instskip(NEXT) | instid1(VALU_DEP_1)
	v_dual_add_f32 v54, v51, v83 :: v_dual_sub_f32 v51, v78, v52
	v_sub_f32_e32 v52, v79, v54
	scratch_store_b64 off, v[51:52], off offset:144
	v_cmpx_lt_u32_e32 17, v0
	s_cbranch_execz .LBB88_129
; %bb.128:
	scratch_load_b64 v[51:52], off, off offset:136
	v_mov_b32_e32 v54, 0
	s_delay_alu instid0(VALU_DEP_1)
	v_mov_b32_e32 v55, v54
	scratch_store_b64 off, v[54:55], off offset:136
	s_wait_loadcnt 0x0
	ds_store_b64 v53, v[51:52]
.LBB88_129:
	s_wait_alu 0xfffe
	s_or_b32 exec_lo, exec_lo, s0
	s_wait_storecnt_dscnt 0x0
	s_barrier_signal -1
	s_barrier_wait -1
	global_inv scope:SCOPE_SE
	s_clause 0x4
	scratch_load_b128 v[54:57], off, off offset:144
	scratch_load_b128 v[58:61], off, off offset:160
	;; [unrolled: 1-line block ×3, first 2 shown]
	scratch_load_b64 v[78:79], off, off offset:192
	scratch_load_b64 v[80:81], off, off offset:136
	v_mov_b32_e32 v51, 0
	ds_load_b128 v[66:69], v51 offset:352
	ds_load_b128 v[70:73], v51 offset:368
	;; [unrolled: 1-line block ×3, first 2 shown]
	ds_load_b64 v[82:83], v51 offset:400
	s_mov_b32 s0, exec_lo
	s_wait_loadcnt_dscnt 0x403
	v_mul_f32_e32 v52, v66, v55
	s_wait_loadcnt_dscnt 0x302
	v_dual_mul_f32 v84, v68, v57 :: v_dual_mul_f32 v85, v70, v59
	v_dual_mul_f32 v86, v72, v61 :: v_dual_mul_f32 v55, v67, v55
	s_wait_loadcnt_dscnt 0x100
	v_dual_mul_f32 v89, v82, v79 :: v_dual_fmac_f32 v52, v67, v54
	v_mul_f32_e32 v57, v69, v57
	v_dual_mul_f32 v87, v74, v63 :: v_dual_mul_f32 v88, v76, v65
	v_fma_f32 v55, v66, v54, -v55
	v_fmac_f32_e32 v84, v69, v56
	v_add_f32_e32 v52, 0, v52
	v_mul_f32_e32 v54, v71, v59
	v_fma_f32 v56, v68, v56, -v57
	v_add_f32_e32 v55, 0, v55
	v_mul_f32_e32 v57, v73, v61
	v_dual_fmac_f32 v85, v71, v58 :: v_dual_add_f32 v52, v52, v84
	v_dual_fmac_f32 v86, v73, v60 :: v_dual_fmac_f32 v87, v75, v62
	s_delay_alu instid0(VALU_DEP_4) | instskip(SKIP_1) | instid1(VALU_DEP_4)
	v_add_f32_e32 v55, v55, v56
	v_dual_fmac_f32 v88, v77, v64 :: v_dual_fmac_f32 v89, v83, v78
	v_add_f32_e32 v52, v52, v85
	v_fma_f32 v54, v70, v58, -v54
	v_mul_f32_e32 v56, v75, v63
	v_fma_f32 v57, v72, v60, -v57
	s_delay_alu instid0(VALU_DEP_4) | instskip(NEXT) | instid1(VALU_DEP_1)
	v_add_f32_e32 v52, v52, v86
	v_add_f32_e32 v52, v52, v87
	s_delay_alu instid0(VALU_DEP_1) | instskip(NEXT) | instid1(VALU_DEP_1)
	v_add_f32_e32 v52, v52, v88
	v_add_f32_e32 v52, v52, v89
	v_dual_add_f32 v54, v55, v54 :: v_dual_mul_f32 v55, v77, v65
	v_fma_f32 v56, v74, v62, -v56
	s_delay_alu instid0(VALU_DEP_2) | instskip(NEXT) | instid1(VALU_DEP_3)
	v_dual_add_f32 v54, v54, v57 :: v_dual_mul_f32 v57, v83, v79
	v_fma_f32 v55, v76, v64, -v55
	s_delay_alu instid0(VALU_DEP_2) | instskip(NEXT) | instid1(VALU_DEP_3)
	v_add_f32_e32 v54, v54, v56
	v_fma_f32 v56, v82, v78, -v57
	s_wait_loadcnt 0x0
	s_delay_alu instid0(VALU_DEP_2) | instskip(NEXT) | instid1(VALU_DEP_1)
	v_dual_add_f32 v54, v54, v55 :: v_dual_sub_f32 v55, v81, v52
	v_add_f32_e32 v54, v54, v56
	s_delay_alu instid0(VALU_DEP_1)
	v_sub_f32_e32 v54, v80, v54
	scratch_store_b64 off, v[54:55], off offset:136
	v_cmpx_lt_u32_e32 16, v0
	s_cbranch_execz .LBB88_131
; %bb.130:
	scratch_load_b64 v[54:55], off, off offset:128
	v_mov_b32_e32 v52, v51
	scratch_store_b64 off, v[51:52], off offset:128
	s_wait_loadcnt 0x0
	ds_store_b64 v53, v[54:55]
.LBB88_131:
	s_wait_alu 0xfffe
	s_or_b32 exec_lo, exec_lo, s0
	s_wait_storecnt_dscnt 0x0
	s_barrier_signal -1
	s_barrier_wait -1
	global_inv scope:SCOPE_SE
	s_clause 0x4
	scratch_load_b128 v[54:57], off, off offset:136
	scratch_load_b128 v[58:61], off, off offset:152
	scratch_load_b128 v[62:65], off, off offset:168
	scratch_load_b128 v[66:69], off, off offset:184
	scratch_load_b64 v[86:87], off, off offset:128
	ds_load_2addr_b64 v[70:73], v51 offset0:43 offset1:44
	ds_load_2addr_b64 v[74:77], v51 offset0:45 offset1:46
	;; [unrolled: 1-line block ×4, first 2 shown]
	s_mov_b32 s0, exec_lo
	s_wait_loadcnt_dscnt 0x403
	v_dual_mul_f32 v51, v70, v55 :: v_dual_mul_f32 v52, v72, v57
	v_mul_f32_e32 v55, v71, v55
	s_wait_loadcnt_dscnt 0x302
	v_dual_mul_f32 v57, v73, v57 :: v_dual_mul_f32 v88, v74, v59
	s_delay_alu instid0(VALU_DEP_3) | instskip(NEXT) | instid1(VALU_DEP_3)
	v_dual_mul_f32 v89, v76, v61 :: v_dual_fmac_f32 v52, v73, v56
	v_fma_f32 v55, v70, v54, -v55
	v_fmac_f32_e32 v51, v71, v54
	v_mul_f32_e32 v54, v75, v59
	v_fma_f32 v56, v72, v56, -v57
	v_mul_f32_e32 v57, v77, v61
	v_dual_add_f32 v55, 0, v55 :: v_dual_fmac_f32 v88, v75, v58
	s_delay_alu instid0(VALU_DEP_4) | instskip(SKIP_2) | instid1(VALU_DEP_3)
	v_fma_f32 v54, v74, v58, -v54
	s_wait_loadcnt_dscnt 0x201
	v_dual_mul_f32 v90, v78, v63 :: v_dual_mul_f32 v91, v80, v65
	v_add_f32_e32 v55, v55, v56
	v_fmac_f32_e32 v89, v77, v60
	v_fma_f32 v56, v76, v60, -v57
	s_wait_loadcnt_dscnt 0x100
	v_dual_mul_f32 v92, v82, v67 :: v_dual_mul_f32 v93, v84, v69
	v_dual_add_f32 v54, v55, v54 :: v_dual_mul_f32 v55, v81, v65
	v_dual_fmac_f32 v90, v79, v62 :: v_dual_fmac_f32 v91, v81, v64
	s_delay_alu instid0(VALU_DEP_3) | instskip(NEXT) | instid1(VALU_DEP_3)
	v_fmac_f32_e32 v92, v83, v66
	v_dual_add_f32 v54, v54, v56 :: v_dual_add_f32 v51, 0, v51
	v_mul_f32_e32 v56, v83, v67
	v_fma_f32 v55, v80, v64, -v55
	v_fmac_f32_e32 v93, v85, v68
	s_delay_alu instid0(VALU_DEP_4) | instskip(SKIP_2) | instid1(VALU_DEP_2)
	v_add_f32_e32 v51, v51, v52
	v_mul_f32_e32 v52, v79, v63
	v_fma_f32 v56, v82, v66, -v56
	v_fma_f32 v52, v78, v62, -v52
	s_delay_alu instid0(VALU_DEP_1) | instskip(SKIP_1) | instid1(VALU_DEP_2)
	v_add_f32_e32 v52, v54, v52
	v_mul_f32_e32 v54, v85, v69
	v_add_f32_e32 v52, v52, v55
	s_delay_alu instid0(VALU_DEP_2) | instskip(NEXT) | instid1(VALU_DEP_2)
	v_fma_f32 v54, v84, v68, -v54
	v_add_f32_e32 v52, v52, v56
	s_delay_alu instid0(VALU_DEP_1) | instskip(NEXT) | instid1(VALU_DEP_1)
	v_dual_add_f32 v51, v51, v88 :: v_dual_add_f32 v52, v52, v54
	v_add_f32_e32 v51, v51, v89
	s_delay_alu instid0(VALU_DEP_1) | instskip(NEXT) | instid1(VALU_DEP_1)
	v_add_f32_e32 v51, v51, v90
	v_add_f32_e32 v51, v51, v91
	s_delay_alu instid0(VALU_DEP_1) | instskip(SKIP_1) | instid1(VALU_DEP_1)
	v_add_f32_e32 v51, v51, v92
	s_wait_loadcnt 0x0
	v_dual_add_f32 v54, v51, v93 :: v_dual_sub_f32 v51, v86, v52
	s_delay_alu instid0(VALU_DEP_1)
	v_sub_f32_e32 v52, v87, v54
	scratch_store_b64 off, v[51:52], off offset:128
	v_cmpx_lt_u32_e32 15, v0
	s_cbranch_execz .LBB88_133
; %bb.132:
	scratch_load_b64 v[51:52], off, off offset:120
	v_mov_b32_e32 v54, 0
	s_delay_alu instid0(VALU_DEP_1)
	v_mov_b32_e32 v55, v54
	scratch_store_b64 off, v[54:55], off offset:120
	s_wait_loadcnt 0x0
	ds_store_b64 v53, v[51:52]
.LBB88_133:
	s_wait_alu 0xfffe
	s_or_b32 exec_lo, exec_lo, s0
	s_wait_storecnt_dscnt 0x0
	s_barrier_signal -1
	s_barrier_wait -1
	global_inv scope:SCOPE_SE
	s_clause 0x5
	scratch_load_b128 v[54:57], off, off offset:128
	scratch_load_b128 v[58:61], off, off offset:144
	scratch_load_b128 v[62:65], off, off offset:160
	scratch_load_b128 v[66:69], off, off offset:176
	scratch_load_b64 v[86:87], off, off offset:192
	scratch_load_b64 v[88:89], off, off offset:120
	v_mov_b32_e32 v51, 0
	ds_load_b128 v[70:73], v51 offset:336
	ds_load_b128 v[74:77], v51 offset:352
	;; [unrolled: 1-line block ×4, first 2 shown]
	ds_load_b64 v[90:91], v51 offset:400
	s_mov_b32 s0, exec_lo
	s_wait_loadcnt_dscnt 0x504
	v_mul_f32_e32 v52, v70, v55
	s_wait_loadcnt_dscnt 0x403
	v_dual_mul_f32 v92, v72, v57 :: v_dual_mul_f32 v93, v74, v59
	s_wait_loadcnt_dscnt 0x302
	v_dual_mul_f32 v96, v80, v65 :: v_dual_mul_f32 v55, v71, v55
	s_wait_loadcnt_dscnt 0x100
	v_dual_mul_f32 v99, v90, v87 :: v_dual_fmac_f32 v52, v71, v54
	v_mul_f32_e32 v57, v73, v57
	v_dual_mul_f32 v94, v76, v61 :: v_dual_mul_f32 v95, v78, v63
	v_fma_f32 v55, v70, v54, -v55
	v_fmac_f32_e32 v92, v73, v56
	v_add_f32_e32 v52, 0, v52
	v_mul_f32_e32 v54, v75, v59
	v_fma_f32 v56, v72, v56, -v57
	v_add_f32_e32 v55, 0, v55
	v_mul_f32_e32 v57, v77, v61
	v_dual_fmac_f32 v93, v75, v58 :: v_dual_add_f32 v52, v52, v92
	v_dual_fmac_f32 v94, v77, v60 :: v_dual_fmac_f32 v95, v79, v62
	s_delay_alu instid0(VALU_DEP_4) | instskip(SKIP_1) | instid1(VALU_DEP_4)
	v_add_f32_e32 v55, v55, v56
	v_dual_mul_f32 v97, v82, v67 :: v_dual_mul_f32 v98, v84, v69
	v_add_f32_e32 v52, v52, v93
	v_dual_fmac_f32 v96, v81, v64 :: v_dual_fmac_f32 v99, v91, v86
	s_delay_alu instid0(VALU_DEP_3) | instskip(NEXT) | instid1(VALU_DEP_3)
	v_dual_fmac_f32 v97, v83, v66 :: v_dual_fmac_f32 v98, v85, v68
	v_add_f32_e32 v52, v52, v94
	v_fma_f32 v54, v74, v58, -v54
	v_mul_f32_e32 v56, v79, v63
	v_fma_f32 v57, v76, v60, -v57
	s_delay_alu instid0(VALU_DEP_4) | instskip(NEXT) | instid1(VALU_DEP_1)
	v_add_f32_e32 v52, v52, v95
	v_add_f32_e32 v52, v52, v96
	s_delay_alu instid0(VALU_DEP_1) | instskip(NEXT) | instid1(VALU_DEP_1)
	v_add_f32_e32 v52, v52, v97
	v_add_f32_e32 v52, v52, v98
	s_delay_alu instid0(VALU_DEP_1) | instskip(SKIP_2) | instid1(VALU_DEP_2)
	v_add_f32_e32 v52, v52, v99
	v_dual_add_f32 v54, v55, v54 :: v_dual_mul_f32 v55, v81, v65
	v_fma_f32 v56, v78, v62, -v56
	v_dual_add_f32 v54, v54, v57 :: v_dual_mul_f32 v57, v83, v67
	s_delay_alu instid0(VALU_DEP_3) | instskip(NEXT) | instid1(VALU_DEP_2)
	v_fma_f32 v55, v80, v64, -v55
	v_add_f32_e32 v54, v54, v56
	v_mul_f32_e32 v56, v85, v69
	s_delay_alu instid0(VALU_DEP_4) | instskip(NEXT) | instid1(VALU_DEP_3)
	v_fma_f32 v57, v82, v66, -v57
	v_add_f32_e32 v54, v54, v55
	v_mul_f32_e32 v55, v91, v87
	s_delay_alu instid0(VALU_DEP_4) | instskip(NEXT) | instid1(VALU_DEP_3)
	v_fma_f32 v56, v84, v68, -v56
	v_add_f32_e32 v54, v54, v57
	s_delay_alu instid0(VALU_DEP_3) | instskip(NEXT) | instid1(VALU_DEP_2)
	v_fma_f32 v55, v90, v86, -v55
	v_add_f32_e32 v54, v54, v56
	s_wait_loadcnt 0x0
	s_delay_alu instid0(VALU_DEP_1) | instskip(NEXT) | instid1(VALU_DEP_1)
	v_dual_add_f32 v54, v54, v55 :: v_dual_sub_f32 v55, v89, v52
	v_sub_f32_e32 v54, v88, v54
	scratch_store_b64 off, v[54:55], off offset:120
	v_cmpx_lt_u32_e32 14, v0
	s_cbranch_execz .LBB88_135
; %bb.134:
	scratch_load_b64 v[54:55], off, off offset:112
	v_mov_b32_e32 v52, v51
	scratch_store_b64 off, v[51:52], off offset:112
	s_wait_loadcnt 0x0
	ds_store_b64 v53, v[54:55]
.LBB88_135:
	s_wait_alu 0xfffe
	s_or_b32 exec_lo, exec_lo, s0
	s_wait_storecnt_dscnt 0x0
	s_barrier_signal -1
	s_barrier_wait -1
	global_inv scope:SCOPE_SE
	s_clause 0x5
	scratch_load_b128 v[54:57], off, off offset:120
	scratch_load_b128 v[58:61], off, off offset:136
	;; [unrolled: 1-line block ×5, first 2 shown]
	scratch_load_b64 v[94:95], off, off offset:112
	ds_load_2addr_b64 v[74:77], v51 offset0:41 offset1:42
	ds_load_2addr_b64 v[78:81], v51 offset0:43 offset1:44
	;; [unrolled: 1-line block ×5, first 2 shown]
	s_mov_b32 s0, exec_lo
	s_wait_loadcnt_dscnt 0x504
	v_dual_mul_f32 v51, v74, v55 :: v_dual_mul_f32 v52, v76, v57
	v_mul_f32_e32 v55, v75, v55
	s_wait_loadcnt_dscnt 0x403
	v_dual_mul_f32 v57, v77, v57 :: v_dual_mul_f32 v96, v78, v59
	s_delay_alu instid0(VALU_DEP_3) | instskip(NEXT) | instid1(VALU_DEP_3)
	v_dual_mul_f32 v97, v80, v61 :: v_dual_fmac_f32 v52, v77, v56
	v_fma_f32 v55, v74, v54, -v55
	v_fmac_f32_e32 v51, v75, v54
	v_mul_f32_e32 v54, v79, v59
	v_fma_f32 v56, v76, v56, -v57
	v_mul_f32_e32 v57, v81, v61
	v_dual_add_f32 v55, 0, v55 :: v_dual_fmac_f32 v96, v79, v58
	s_delay_alu instid0(VALU_DEP_4) | instskip(SKIP_2) | instid1(VALU_DEP_3)
	v_fma_f32 v54, v78, v58, -v54
	s_wait_loadcnt_dscnt 0x302
	v_dual_mul_f32 v98, v82, v63 :: v_dual_mul_f32 v99, v84, v65
	v_add_f32_e32 v55, v55, v56
	v_fmac_f32_e32 v97, v81, v60
	v_fma_f32 v56, v80, v60, -v57
	s_wait_loadcnt_dscnt 0x201
	v_dual_mul_f32 v100, v86, v67 :: v_dual_mul_f32 v101, v88, v69
	v_dual_add_f32 v54, v55, v54 :: v_dual_mul_f32 v55, v85, v65
	v_fmac_f32_e32 v98, v83, v62
	s_wait_loadcnt_dscnt 0x100
	v_dual_mul_f32 v102, v90, v71 :: v_dual_mul_f32 v103, v92, v73
	s_delay_alu instid0(VALU_DEP_3) | instskip(SKIP_3) | instid1(VALU_DEP_4)
	v_dual_add_f32 v54, v54, v56 :: v_dual_add_f32 v51, 0, v51
	v_mul_f32_e32 v56, v87, v67
	v_fma_f32 v55, v84, v64, -v55
	v_dual_fmac_f32 v99, v85, v64 :: v_dual_fmac_f32 v100, v87, v66
	v_add_f32_e32 v51, v51, v52
	v_mul_f32_e32 v52, v83, v63
	v_fma_f32 v56, v86, v66, -v56
	v_dual_fmac_f32 v101, v89, v68 :: v_dual_fmac_f32 v102, v91, v70
	s_delay_alu instid0(VALU_DEP_3) | instskip(NEXT) | instid1(VALU_DEP_1)
	v_fma_f32 v52, v82, v62, -v52
	v_add_f32_e32 v52, v54, v52
	v_mul_f32_e32 v54, v89, v69
	s_delay_alu instid0(VALU_DEP_2) | instskip(SKIP_1) | instid1(VALU_DEP_3)
	v_dual_add_f32 v52, v52, v55 :: v_dual_add_f32 v51, v51, v96
	v_mul_f32_e32 v55, v91, v71
	v_fma_f32 v54, v88, v68, -v54
	s_delay_alu instid0(VALU_DEP_3) | instskip(SKIP_3) | instid1(VALU_DEP_4)
	v_add_f32_e32 v52, v52, v56
	v_mul_f32_e32 v56, v93, v73
	v_add_f32_e32 v51, v51, v97
	v_fma_f32 v55, v90, v70, -v55
	v_dual_add_f32 v52, v52, v54 :: v_dual_fmac_f32 v103, v93, v72
	s_delay_alu instid0(VALU_DEP_3) | instskip(SKIP_1) | instid1(VALU_DEP_3)
	v_add_f32_e32 v51, v51, v98
	v_fma_f32 v54, v92, v72, -v56
	v_add_f32_e32 v52, v52, v55
	s_delay_alu instid0(VALU_DEP_1) | instskip(NEXT) | instid1(VALU_DEP_1)
	v_dual_add_f32 v51, v51, v99 :: v_dual_add_f32 v52, v52, v54
	v_add_f32_e32 v51, v51, v100
	s_delay_alu instid0(VALU_DEP_1) | instskip(NEXT) | instid1(VALU_DEP_1)
	v_add_f32_e32 v51, v51, v101
	v_add_f32_e32 v51, v51, v102
	s_wait_loadcnt 0x0
	s_delay_alu instid0(VALU_DEP_1) | instskip(NEXT) | instid1(VALU_DEP_1)
	v_dual_add_f32 v54, v51, v103 :: v_dual_sub_f32 v51, v94, v52
	v_sub_f32_e32 v52, v95, v54
	scratch_store_b64 off, v[51:52], off offset:112
	v_cmpx_lt_u32_e32 13, v0
	s_cbranch_execz .LBB88_137
; %bb.136:
	scratch_load_b64 v[51:52], off, off offset:104
	v_mov_b32_e32 v54, 0
	s_delay_alu instid0(VALU_DEP_1)
	v_mov_b32_e32 v55, v54
	scratch_store_b64 off, v[54:55], off offset:104
	s_wait_loadcnt 0x0
	ds_store_b64 v53, v[51:52]
.LBB88_137:
	s_wait_alu 0xfffe
	s_or_b32 exec_lo, exec_lo, s0
	s_wait_storecnt_dscnt 0x0
	s_barrier_signal -1
	s_barrier_wait -1
	global_inv scope:SCOPE_SE
	s_clause 0x6
	scratch_load_b128 v[54:57], off, off offset:112
	scratch_load_b128 v[58:61], off, off offset:128
	;; [unrolled: 1-line block ×5, first 2 shown]
	scratch_load_b64 v[94:95], off, off offset:192
	scratch_load_b64 v[96:97], off, off offset:104
	v_mov_b32_e32 v51, 0
	ds_load_b128 v[74:77], v51 offset:320
	ds_load_b128 v[78:81], v51 offset:336
	;; [unrolled: 1-line block ×5, first 2 shown]
	ds_load_b64 v[98:99], v51 offset:400
	s_mov_b32 s0, exec_lo
	s_wait_loadcnt_dscnt 0x605
	v_mul_f32_e32 v52, v74, v55
	v_dual_mul_f32 v55, v75, v55 :: v_dual_mul_f32 v100, v76, v57
	s_wait_loadcnt_dscnt 0x302
	v_dual_mul_f32 v101, v78, v59 :: v_dual_mul_f32 v106, v88, v69
	s_wait_loadcnt_dscnt 0x100
	v_dual_mul_f32 v109, v98, v95 :: v_dual_fmac_f32 v52, v75, v54
	v_mul_f32_e32 v57, v77, v57
	v_fma_f32 v55, v74, v54, -v55
	v_mul_f32_e32 v54, v79, v59
	v_fmac_f32_e32 v100, v77, v56
	v_add_f32_e32 v52, 0, v52
	v_fma_f32 v56, v76, v56, -v57
	v_add_f32_e32 v55, 0, v55
	v_mul_f32_e32 v57, v81, v61
	s_delay_alu instid0(VALU_DEP_4) | instskip(SKIP_1) | instid1(VALU_DEP_4)
	v_dual_fmac_f32 v101, v79, v58 :: v_dual_add_f32 v52, v52, v100
	v_fma_f32 v54, v78, v58, -v54
	v_dual_add_f32 v55, v55, v56 :: v_dual_mul_f32 v102, v80, v61
	v_mul_f32_e32 v103, v82, v63
	v_mul_f32_e32 v56, v83, v63
	v_fma_f32 v57, v80, v60, -v57
	v_add_f32_e32 v52, v52, v101
	v_add_f32_e32 v54, v55, v54
	v_dual_fmac_f32 v102, v81, v60 :: v_dual_fmac_f32 v103, v83, v62
	v_mul_f32_e32 v55, v85, v65
	v_fma_f32 v56, v82, v62, -v56
	s_delay_alu instid0(VALU_DEP_4) | instskip(SKIP_4) | instid1(VALU_DEP_3)
	v_dual_add_f32 v54, v54, v57 :: v_dual_mul_f32 v57, v87, v67
	v_dual_mul_f32 v104, v84, v65 :: v_dual_mul_f32 v105, v86, v67
	v_dual_mul_f32 v107, v90, v71 :: v_dual_mul_f32 v108, v92, v73
	v_add_f32_e32 v52, v52, v102
	v_fma_f32 v55, v84, v64, -v55
	v_dual_add_f32 v54, v54, v56 :: v_dual_fmac_f32 v107, v91, v70
	v_dual_fmac_f32 v104, v85, v64 :: v_dual_fmac_f32 v105, v87, v66
	v_mul_f32_e32 v56, v89, v69
	s_delay_alu instid0(VALU_DEP_3)
	v_add_f32_e32 v54, v54, v55
	v_mul_f32_e32 v55, v91, v71
	v_dual_add_f32 v52, v52, v103 :: v_dual_fmac_f32 v109, v99, v94
	v_fma_f32 v57, v86, v66, -v57
	v_fmac_f32_e32 v106, v89, v68
	v_fma_f32 v56, v88, v68, -v56
	s_delay_alu instid0(VALU_DEP_4)
	v_add_f32_e32 v52, v52, v104
	v_fma_f32 v55, v90, v70, -v55
	v_add_f32_e32 v54, v54, v57
	v_mul_f32_e32 v57, v93, v73
	v_fmac_f32_e32 v108, v93, v72
	v_add_f32_e32 v52, v52, v105
	s_delay_alu instid0(VALU_DEP_4) | instskip(SKIP_2) | instid1(VALU_DEP_4)
	v_add_f32_e32 v54, v54, v56
	v_mul_f32_e32 v56, v99, v95
	v_fma_f32 v57, v92, v72, -v57
	v_add_f32_e32 v52, v52, v106
	s_delay_alu instid0(VALU_DEP_4) | instskip(NEXT) | instid1(VALU_DEP_4)
	v_add_f32_e32 v54, v54, v55
	v_fma_f32 v55, v98, v94, -v56
	s_delay_alu instid0(VALU_DEP_3) | instskip(NEXT) | instid1(VALU_DEP_3)
	v_add_f32_e32 v52, v52, v107
	v_add_f32_e32 v54, v54, v57
	s_delay_alu instid0(VALU_DEP_2) | instskip(NEXT) | instid1(VALU_DEP_2)
	v_add_f32_e32 v52, v52, v108
	v_add_f32_e32 v54, v54, v55
	s_delay_alu instid0(VALU_DEP_2) | instskip(SKIP_1) | instid1(VALU_DEP_1)
	v_add_f32_e32 v52, v52, v109
	s_wait_loadcnt 0x0
	v_dual_sub_f32 v54, v96, v54 :: v_dual_sub_f32 v55, v97, v52
	scratch_store_b64 off, v[54:55], off offset:104
	v_cmpx_lt_u32_e32 12, v0
	s_cbranch_execz .LBB88_139
; %bb.138:
	scratch_load_b64 v[54:55], off, off offset:96
	v_mov_b32_e32 v52, v51
	scratch_store_b64 off, v[51:52], off offset:96
	s_wait_loadcnt 0x0
	ds_store_b64 v53, v[54:55]
.LBB88_139:
	s_wait_alu 0xfffe
	s_or_b32 exec_lo, exec_lo, s0
	s_wait_storecnt_dscnt 0x0
	s_barrier_signal -1
	s_barrier_wait -1
	global_inv scope:SCOPE_SE
	s_clause 0x6
	scratch_load_b128 v[54:57], off, off offset:104
	scratch_load_b128 v[58:61], off, off offset:120
	;; [unrolled: 1-line block ×6, first 2 shown]
	scratch_load_b64 v[102:103], off, off offset:96
	ds_load_2addr_b64 v[78:81], v51 offset0:39 offset1:40
	ds_load_2addr_b64 v[82:85], v51 offset0:41 offset1:42
	;; [unrolled: 1-line block ×6, first 2 shown]
	s_mov_b32 s0, exec_lo
	s_wait_loadcnt_dscnt 0x605
	v_dual_mul_f32 v51, v78, v55 :: v_dual_mul_f32 v52, v80, v57
	v_mul_f32_e32 v55, v79, v55
	s_wait_loadcnt_dscnt 0x504
	v_dual_mul_f32 v57, v81, v57 :: v_dual_mul_f32 v104, v82, v59
	s_delay_alu instid0(VALU_DEP_3) | instskip(NEXT) | instid1(VALU_DEP_3)
	v_dual_mul_f32 v105, v84, v61 :: v_dual_fmac_f32 v52, v81, v56
	v_fma_f32 v55, v78, v54, -v55
	v_fmac_f32_e32 v51, v79, v54
	v_mul_f32_e32 v54, v83, v59
	v_fma_f32 v56, v80, v56, -v57
	v_mul_f32_e32 v57, v85, v61
	v_dual_add_f32 v55, 0, v55 :: v_dual_fmac_f32 v104, v83, v58
	s_delay_alu instid0(VALU_DEP_4) | instskip(SKIP_2) | instid1(VALU_DEP_3)
	v_fma_f32 v54, v82, v58, -v54
	s_wait_loadcnt_dscnt 0x403
	v_dual_mul_f32 v106, v86, v63 :: v_dual_mul_f32 v107, v88, v65
	v_add_f32_e32 v55, v55, v56
	v_fmac_f32_e32 v105, v85, v60
	v_fma_f32 v56, v84, v60, -v57
	s_wait_loadcnt_dscnt 0x302
	v_dual_mul_f32 v108, v90, v67 :: v_dual_mul_f32 v109, v92, v69
	v_dual_add_f32 v54, v55, v54 :: v_dual_mul_f32 v55, v89, v65
	v_fmac_f32_e32 v106, v87, v62
	s_wait_loadcnt_dscnt 0x201
	v_dual_mul_f32 v110, v94, v71 :: v_dual_mul_f32 v111, v96, v73
	s_delay_alu instid0(VALU_DEP_3) | instskip(SKIP_3) | instid1(VALU_DEP_4)
	v_dual_add_f32 v54, v54, v56 :: v_dual_add_f32 v51, 0, v51
	v_mul_f32_e32 v56, v91, v67
	v_fma_f32 v55, v88, v64, -v55
	v_dual_fmac_f32 v107, v89, v64 :: v_dual_fmac_f32 v108, v91, v66
	v_add_f32_e32 v51, v51, v52
	v_mul_f32_e32 v52, v87, v63
	v_fma_f32 v56, v90, v66, -v56
	v_dual_fmac_f32 v109, v93, v68 :: v_dual_fmac_f32 v110, v95, v70
	s_wait_loadcnt_dscnt 0x100
	v_dual_mul_f32 v112, v98, v75 :: v_dual_mul_f32 v113, v100, v77
	v_fma_f32 v52, v86, v62, -v52
	s_delay_alu instid0(VALU_DEP_2) | instskip(NEXT) | instid1(VALU_DEP_3)
	v_dual_fmac_f32 v111, v97, v72 :: v_dual_fmac_f32 v112, v99, v74
	v_fmac_f32_e32 v113, v101, v76
	s_delay_alu instid0(VALU_DEP_3) | instskip(SKIP_1) | instid1(VALU_DEP_2)
	v_add_f32_e32 v52, v54, v52
	v_mul_f32_e32 v54, v93, v69
	v_dual_add_f32 v52, v52, v55 :: v_dual_add_f32 v51, v51, v104
	v_mul_f32_e32 v55, v95, v71
	s_delay_alu instid0(VALU_DEP_3) | instskip(NEXT) | instid1(VALU_DEP_3)
	v_fma_f32 v54, v92, v68, -v54
	v_add_f32_e32 v52, v52, v56
	v_mul_f32_e32 v56, v97, v73
	v_add_f32_e32 v51, v51, v105
	v_fma_f32 v55, v94, v70, -v55
	s_delay_alu instid0(VALU_DEP_4) | instskip(SKIP_1) | instid1(VALU_DEP_4)
	v_add_f32_e32 v52, v52, v54
	v_mul_f32_e32 v54, v99, v75
	v_add_f32_e32 v51, v51, v106
	v_fma_f32 v56, v96, v72, -v56
	s_delay_alu instid0(VALU_DEP_4) | instskip(NEXT) | instid1(VALU_DEP_3)
	v_dual_add_f32 v52, v52, v55 :: v_dual_mul_f32 v55, v101, v77
	v_add_f32_e32 v51, v51, v107
	v_fma_f32 v54, v98, v74, -v54
	s_delay_alu instid0(VALU_DEP_3) | instskip(NEXT) | instid1(VALU_DEP_4)
	v_add_f32_e32 v52, v52, v56
	v_fma_f32 v55, v100, v76, -v55
	s_delay_alu instid0(VALU_DEP_2) | instskip(NEXT) | instid1(VALU_DEP_1)
	v_dual_add_f32 v51, v51, v108 :: v_dual_add_f32 v52, v52, v54
	v_dual_add_f32 v51, v51, v109 :: v_dual_add_f32 v52, v52, v55
	s_delay_alu instid0(VALU_DEP_1) | instskip(NEXT) | instid1(VALU_DEP_1)
	v_add_f32_e32 v51, v51, v110
	v_add_f32_e32 v51, v51, v111
	s_delay_alu instid0(VALU_DEP_1) | instskip(SKIP_1) | instid1(VALU_DEP_1)
	v_add_f32_e32 v51, v51, v112
	s_wait_loadcnt 0x0
	v_dual_add_f32 v54, v51, v113 :: v_dual_sub_f32 v51, v102, v52
	s_delay_alu instid0(VALU_DEP_1)
	v_sub_f32_e32 v52, v103, v54
	scratch_store_b64 off, v[51:52], off offset:96
	v_cmpx_lt_u32_e32 11, v0
	s_cbranch_execz .LBB88_141
; %bb.140:
	scratch_load_b64 v[51:52], off, off offset:88
	v_mov_b32_e32 v54, 0
	s_delay_alu instid0(VALU_DEP_1)
	v_mov_b32_e32 v55, v54
	scratch_store_b64 off, v[54:55], off offset:88
	s_wait_loadcnt 0x0
	ds_store_b64 v53, v[51:52]
.LBB88_141:
	s_wait_alu 0xfffe
	s_or_b32 exec_lo, exec_lo, s0
	s_wait_storecnt_dscnt 0x0
	s_barrier_signal -1
	s_barrier_wait -1
	global_inv scope:SCOPE_SE
	s_clause 0x7
	scratch_load_b128 v[54:57], off, off offset:96
	scratch_load_b128 v[58:61], off, off offset:112
	;; [unrolled: 1-line block ×6, first 2 shown]
	scratch_load_b64 v[102:103], off, off offset:192
	scratch_load_b64 v[104:105], off, off offset:88
	v_mov_b32_e32 v51, 0
	ds_load_b128 v[78:81], v51 offset:304
	ds_load_b128 v[82:85], v51 offset:320
	;; [unrolled: 1-line block ×6, first 2 shown]
	ds_load_b64 v[106:107], v51 offset:400
	s_mov_b32 s0, exec_lo
	s_wait_loadcnt_dscnt 0x706
	v_mul_f32_e32 v52, v78, v55
	v_dual_mul_f32 v55, v79, v55 :: v_dual_mul_f32 v108, v80, v57
	s_wait_loadcnt_dscnt 0x302
	v_dual_mul_f32 v109, v82, v59 :: v_dual_mul_f32 v116, v96, v73
	v_mul_f32_e32 v57, v81, v57
	s_wait_loadcnt_dscnt 0x100
	v_dual_mul_f32 v119, v106, v103 :: v_dual_fmac_f32 v52, v79, v54
	v_fma_f32 v55, v78, v54, -v55
	v_mul_f32_e32 v54, v83, v59
	v_fmac_f32_e32 v108, v81, v56
	v_fma_f32 v56, v80, v56, -v57
	v_dual_add_f32 v52, 0, v52 :: v_dual_mul_f32 v57, v85, v61
	v_add_f32_e32 v55, 0, v55
	v_fmac_f32_e32 v109, v83, v58
	v_fma_f32 v54, v82, v58, -v54
	s_delay_alu instid0(VALU_DEP_4)
	v_add_f32_e32 v52, v52, v108
	v_fma_f32 v57, v84, v60, -v57
	v_add_f32_e32 v55, v55, v56
	v_mul_f32_e32 v56, v87, v63
	v_dual_mul_f32 v110, v84, v61 :: v_dual_mul_f32 v111, v86, v63
	v_add_f32_e32 v52, v52, v109
	s_delay_alu instid0(VALU_DEP_4) | instskip(NEXT) | instid1(VALU_DEP_4)
	v_dual_add_f32 v54, v55, v54 :: v_dual_mul_f32 v55, v89, v65
	v_fma_f32 v56, v86, v62, -v56
	v_dual_mul_f32 v114, v92, v69 :: v_dual_mul_f32 v115, v94, v71
	s_delay_alu instid0(VALU_DEP_3) | instskip(NEXT) | instid1(VALU_DEP_4)
	v_dual_add_f32 v54, v54, v57 :: v_dual_mul_f32 v57, v91, v67
	v_fma_f32 v55, v88, v64, -v55
	v_dual_mul_f32 v117, v98, v75 :: v_dual_mul_f32 v118, v100, v77
	s_delay_alu instid0(VALU_DEP_3) | instskip(SKIP_1) | instid1(VALU_DEP_3)
	v_dual_add_f32 v54, v54, v56 :: v_dual_fmac_f32 v115, v95, v70
	v_dual_fmac_f32 v110, v85, v60 :: v_dual_fmac_f32 v111, v87, v62
	v_dual_mul_f32 v56, v93, v69 :: v_dual_fmac_f32 v117, v99, v74
	v_fma_f32 v57, v90, v66, -v57
	s_delay_alu instid0(VALU_DEP_4) | instskip(SKIP_3) | instid1(VALU_DEP_4)
	v_dual_add_f32 v54, v54, v55 :: v_dual_fmac_f32 v119, v107, v102
	v_dual_mul_f32 v112, v88, v65 :: v_dual_mul_f32 v113, v90, v67
	v_dual_add_f32 v52, v52, v110 :: v_dual_mul_f32 v55, v95, v71
	v_fma_f32 v56, v92, v68, -v56
	v_add_f32_e32 v54, v54, v57
	s_delay_alu instid0(VALU_DEP_4) | instskip(NEXT) | instid1(VALU_DEP_4)
	v_dual_fmac_f32 v112, v89, v64 :: v_dual_fmac_f32 v113, v91, v66
	v_dual_add_f32 v52, v52, v111 :: v_dual_mul_f32 v57, v97, v73
	v_fma_f32 v55, v94, v70, -v55
	s_delay_alu instid0(VALU_DEP_4)
	v_add_f32_e32 v54, v54, v56
	v_fmac_f32_e32 v114, v93, v68
	v_mul_f32_e32 v56, v99, v75
	v_fma_f32 v57, v96, v72, -v57
	v_fmac_f32_e32 v116, v97, v72
	v_dual_add_f32 v54, v54, v55 :: v_dual_mul_f32 v55, v101, v77
	v_add_f32_e32 v52, v52, v112
	v_fma_f32 v56, v98, v74, -v56
	v_fmac_f32_e32 v118, v101, v76
	s_delay_alu instid0(VALU_DEP_4) | instskip(NEXT) | instid1(VALU_DEP_4)
	v_dual_add_f32 v54, v54, v57 :: v_dual_mul_f32 v57, v107, v103
	v_add_f32_e32 v52, v52, v113
	v_fma_f32 v55, v100, v76, -v55
	s_delay_alu instid0(VALU_DEP_3) | instskip(NEXT) | instid1(VALU_DEP_4)
	v_add_f32_e32 v54, v54, v56
	v_fma_f32 v56, v106, v102, -v57
	s_delay_alu instid0(VALU_DEP_4) | instskip(NEXT) | instid1(VALU_DEP_3)
	v_add_f32_e32 v52, v52, v114
	v_add_f32_e32 v54, v54, v55
	s_delay_alu instid0(VALU_DEP_2) | instskip(NEXT) | instid1(VALU_DEP_2)
	v_add_f32_e32 v52, v52, v115
	v_add_f32_e32 v54, v54, v56
	s_delay_alu instid0(VALU_DEP_2) | instskip(SKIP_1) | instid1(VALU_DEP_2)
	v_add_f32_e32 v52, v52, v116
	s_wait_loadcnt 0x0
	v_sub_f32_e32 v54, v104, v54
	s_delay_alu instid0(VALU_DEP_2) | instskip(NEXT) | instid1(VALU_DEP_1)
	v_add_f32_e32 v52, v52, v117
	v_add_f32_e32 v52, v52, v118
	s_delay_alu instid0(VALU_DEP_1) | instskip(NEXT) | instid1(VALU_DEP_1)
	v_add_f32_e32 v52, v52, v119
	v_sub_f32_e32 v55, v105, v52
	scratch_store_b64 off, v[54:55], off offset:88
	v_cmpx_lt_u32_e32 10, v0
	s_cbranch_execz .LBB88_143
; %bb.142:
	scratch_load_b64 v[54:55], off, off offset:80
	v_mov_b32_e32 v52, v51
	scratch_store_b64 off, v[51:52], off offset:80
	s_wait_loadcnt 0x0
	ds_store_b64 v53, v[54:55]
.LBB88_143:
	s_wait_alu 0xfffe
	s_or_b32 exec_lo, exec_lo, s0
	s_wait_storecnt_dscnt 0x0
	s_barrier_signal -1
	s_barrier_wait -1
	global_inv scope:SCOPE_SE
	s_clause 0x7
	scratch_load_b128 v[54:57], off, off offset:88
	scratch_load_b128 v[58:61], off, off offset:104
	;; [unrolled: 1-line block ×7, first 2 shown]
	scratch_load_b64 v[110:111], off, off offset:80
	ds_load_2addr_b64 v[82:85], v51 offset0:37 offset1:38
	ds_load_2addr_b64 v[86:89], v51 offset0:39 offset1:40
	;; [unrolled: 1-line block ×7, first 2 shown]
	s_mov_b32 s0, exec_lo
	s_wait_loadcnt_dscnt 0x706
	v_dual_mul_f32 v51, v82, v55 :: v_dual_mul_f32 v52, v84, v57
	v_mul_f32_e32 v55, v83, v55
	s_wait_loadcnt_dscnt 0x605
	v_dual_mul_f32 v57, v85, v57 :: v_dual_mul_f32 v112, v86, v59
	s_delay_alu instid0(VALU_DEP_3) | instskip(NEXT) | instid1(VALU_DEP_3)
	v_dual_mul_f32 v113, v88, v61 :: v_dual_fmac_f32 v52, v85, v56
	v_fma_f32 v55, v82, v54, -v55
	v_fmac_f32_e32 v51, v83, v54
	v_mul_f32_e32 v54, v87, v59
	v_fma_f32 v56, v84, v56, -v57
	v_mul_f32_e32 v57, v89, v61
	v_dual_add_f32 v55, 0, v55 :: v_dual_fmac_f32 v112, v87, v58
	s_delay_alu instid0(VALU_DEP_4) | instskip(SKIP_2) | instid1(VALU_DEP_3)
	v_fma_f32 v54, v86, v58, -v54
	s_wait_loadcnt_dscnt 0x504
	v_dual_mul_f32 v114, v90, v63 :: v_dual_mul_f32 v115, v92, v65
	v_add_f32_e32 v55, v55, v56
	v_fmac_f32_e32 v113, v89, v60
	v_fma_f32 v56, v88, v60, -v57
	s_wait_loadcnt_dscnt 0x403
	v_dual_mul_f32 v116, v94, v67 :: v_dual_mul_f32 v117, v96, v69
	v_dual_add_f32 v54, v55, v54 :: v_dual_mul_f32 v55, v93, v65
	v_fmac_f32_e32 v114, v91, v62
	s_wait_loadcnt_dscnt 0x302
	v_dual_mul_f32 v118, v98, v71 :: v_dual_mul_f32 v119, v100, v73
	s_delay_alu instid0(VALU_DEP_3) | instskip(SKIP_3) | instid1(VALU_DEP_4)
	v_dual_add_f32 v54, v54, v56 :: v_dual_add_f32 v51, 0, v51
	v_mul_f32_e32 v56, v95, v67
	v_fma_f32 v55, v92, v64, -v55
	v_dual_fmac_f32 v115, v93, v64 :: v_dual_fmac_f32 v116, v95, v66
	v_add_f32_e32 v51, v51, v52
	v_mul_f32_e32 v52, v91, v63
	v_fma_f32 v56, v94, v66, -v56
	v_dual_fmac_f32 v117, v97, v68 :: v_dual_fmac_f32 v118, v99, v70
	s_wait_loadcnt_dscnt 0x201
	v_dual_mul_f32 v120, v102, v75 :: v_dual_mul_f32 v121, v104, v77
	v_fma_f32 v52, v90, v62, -v52
	s_wait_loadcnt_dscnt 0x100
	v_dual_mul_f32 v122, v106, v79 :: v_dual_mul_f32 v123, v108, v81
	s_delay_alu instid0(VALU_DEP_3) | instskip(NEXT) | instid1(VALU_DEP_3)
	v_dual_fmac_f32 v119, v101, v72 :: v_dual_fmac_f32 v120, v103, v74
	v_add_f32_e32 v52, v54, v52
	v_mul_f32_e32 v54, v97, v69
	s_delay_alu instid0(VALU_DEP_4) | instskip(NEXT) | instid1(VALU_DEP_3)
	v_dual_fmac_f32 v122, v107, v78 :: v_dual_fmac_f32 v123, v109, v80
	v_dual_fmac_f32 v121, v105, v76 :: v_dual_add_f32 v52, v52, v55
	v_add_f32_e32 v51, v51, v112
	v_mul_f32_e32 v55, v99, v71
	v_fma_f32 v54, v96, v68, -v54
	s_delay_alu instid0(VALU_DEP_4) | instskip(SKIP_3) | instid1(VALU_DEP_4)
	v_add_f32_e32 v52, v52, v56
	v_mul_f32_e32 v56, v101, v73
	v_add_f32_e32 v51, v51, v113
	v_fma_f32 v55, v98, v70, -v55
	v_add_f32_e32 v52, v52, v54
	v_mul_f32_e32 v54, v103, v75
	s_delay_alu instid0(VALU_DEP_4) | instskip(SKIP_1) | instid1(VALU_DEP_4)
	v_add_f32_e32 v51, v51, v114
	v_fma_f32 v56, v100, v72, -v56
	v_dual_add_f32 v52, v52, v55 :: v_dual_mul_f32 v55, v105, v77
	s_delay_alu instid0(VALU_DEP_3) | instskip(SKIP_1) | instid1(VALU_DEP_3)
	v_add_f32_e32 v51, v51, v115
	v_fma_f32 v54, v102, v74, -v54
	v_add_f32_e32 v52, v52, v56
	s_delay_alu instid0(VALU_DEP_4) | instskip(NEXT) | instid1(VALU_DEP_4)
	v_fma_f32 v55, v104, v76, -v55
	v_add_f32_e32 v51, v51, v116
	v_mul_f32_e32 v56, v107, v79
	s_delay_alu instid0(VALU_DEP_4) | instskip(SKIP_1) | instid1(VALU_DEP_4)
	v_add_f32_e32 v52, v52, v54
	v_mul_f32_e32 v54, v109, v81
	v_add_f32_e32 v51, v51, v117
	s_delay_alu instid0(VALU_DEP_4) | instskip(NEXT) | instid1(VALU_DEP_4)
	v_fma_f32 v56, v106, v78, -v56
	v_add_f32_e32 v52, v52, v55
	s_delay_alu instid0(VALU_DEP_4) | instskip(NEXT) | instid1(VALU_DEP_2)
	v_fma_f32 v54, v108, v80, -v54
	v_dual_add_f32 v51, v51, v118 :: v_dual_add_f32 v52, v52, v56
	s_delay_alu instid0(VALU_DEP_1) | instskip(NEXT) | instid1(VALU_DEP_1)
	v_dual_add_f32 v51, v51, v119 :: v_dual_add_f32 v52, v52, v54
	v_add_f32_e32 v51, v51, v120
	s_delay_alu instid0(VALU_DEP_1) | instskip(NEXT) | instid1(VALU_DEP_1)
	v_add_f32_e32 v51, v51, v121
	v_add_f32_e32 v51, v51, v122
	s_wait_loadcnt 0x0
	s_delay_alu instid0(VALU_DEP_1) | instskip(NEXT) | instid1(VALU_DEP_1)
	v_dual_add_f32 v54, v51, v123 :: v_dual_sub_f32 v51, v110, v52
	v_sub_f32_e32 v52, v111, v54
	scratch_store_b64 off, v[51:52], off offset:80
	v_cmpx_lt_u32_e32 9, v0
	s_cbranch_execz .LBB88_145
; %bb.144:
	scratch_load_b64 v[51:52], off, off offset:72
	v_mov_b32_e32 v54, 0
	s_delay_alu instid0(VALU_DEP_1)
	v_mov_b32_e32 v55, v54
	scratch_store_b64 off, v[54:55], off offset:72
	s_wait_loadcnt 0x0
	ds_store_b64 v53, v[51:52]
.LBB88_145:
	s_wait_alu 0xfffe
	s_or_b32 exec_lo, exec_lo, s0
	s_wait_storecnt_dscnt 0x0
	s_barrier_signal -1
	s_barrier_wait -1
	global_inv scope:SCOPE_SE
	s_clause 0x8
	scratch_load_b128 v[54:57], off, off offset:80
	scratch_load_b128 v[58:61], off, off offset:96
	;; [unrolled: 1-line block ×7, first 2 shown]
	scratch_load_b64 v[110:111], off, off offset:192
	scratch_load_b64 v[112:113], off, off offset:72
	v_mov_b32_e32 v51, 0
	ds_load_b128 v[82:85], v51 offset:288
	ds_load_b128 v[86:89], v51 offset:304
	;; [unrolled: 1-line block ×7, first 2 shown]
	ds_load_b64 v[114:115], v51 offset:400
	s_mov_b32 s0, exec_lo
	s_wait_loadcnt_dscnt 0x807
	v_mul_f32_e32 v52, v82, v55
	v_dual_mul_f32 v55, v83, v55 :: v_dual_mul_f32 v116, v84, v57
	s_wait_loadcnt_dscnt 0x706
	v_mul_f32_e32 v117, v86, v59
	v_mul_f32_e32 v57, v85, v57
	s_wait_loadcnt_dscnt 0x302
	v_mul_f32_e32 v126, v104, v77
	v_fma_f32 v55, v82, v54, -v55
	s_wait_loadcnt_dscnt 0x100
	v_dual_mul_f32 v129, v114, v111 :: v_dual_fmac_f32 v52, v83, v54
	v_mul_f32_e32 v54, v87, v59
	s_delay_alu instid0(VALU_DEP_3) | instskip(SKIP_1) | instid1(VALU_DEP_4)
	v_dual_fmac_f32 v116, v85, v56 :: v_dual_add_f32 v55, 0, v55
	v_fma_f32 v56, v84, v56, -v57
	v_dual_add_f32 v52, 0, v52 :: v_dual_mul_f32 v57, v89, v61
	v_fmac_f32_e32 v117, v87, v58
	v_fma_f32 v54, v86, v58, -v54
	v_dual_mul_f32 v118, v88, v61 :: v_dual_mul_f32 v119, v90, v63
	s_delay_alu instid0(VALU_DEP_4)
	v_add_f32_e32 v52, v52, v116
	v_add_f32_e32 v55, v55, v56
	v_mul_f32_e32 v56, v91, v63
	v_fma_f32 v57, v88, v60, -v57
	v_dual_mul_f32 v122, v96, v69 :: v_dual_mul_f32 v123, v98, v71
	v_add_f32_e32 v52, v52, v117
	v_dual_add_f32 v54, v55, v54 :: v_dual_mul_f32 v55, v93, v65
	v_fma_f32 v56, v90, v62, -v56
	v_dual_mul_f32 v124, v100, v73 :: v_dual_mul_f32 v125, v102, v75
	s_delay_alu instid0(VALU_DEP_3) | instskip(NEXT) | instid1(VALU_DEP_4)
	v_dual_add_f32 v54, v54, v57 :: v_dual_mul_f32 v57, v95, v67
	v_fma_f32 v55, v92, v64, -v55
	v_dual_mul_f32 v127, v106, v79 :: v_dual_mul_f32 v128, v108, v81
	s_delay_alu instid0(VALU_DEP_3) | instskip(SKIP_3) | instid1(VALU_DEP_4)
	v_dual_add_f32 v54, v54, v56 :: v_dual_fmac_f32 v123, v99, v70
	v_dual_fmac_f32 v118, v89, v60 :: v_dual_fmac_f32 v119, v91, v62
	v_dual_mul_f32 v56, v97, v69 :: v_dual_fmac_f32 v125, v103, v74
	v_fma_f32 v57, v94, v66, -v57
	v_dual_add_f32 v54, v54, v55 :: v_dual_fmac_f32 v127, v107, v78
	s_delay_alu instid0(VALU_DEP_4) | instskip(NEXT) | instid1(VALU_DEP_4)
	v_dual_add_f32 v52, v52, v118 :: v_dual_mul_f32 v55, v99, v71
	v_fma_f32 v56, v96, v68, -v56
	s_delay_alu instid0(VALU_DEP_3) | instskip(SKIP_3) | instid1(VALU_DEP_4)
	v_dual_add_f32 v54, v54, v57 :: v_dual_fmac_f32 v129, v115, v110
	v_dual_mul_f32 v120, v92, v65 :: v_dual_mul_f32 v121, v94, v67
	v_mul_f32_e32 v57, v101, v73
	v_fma_f32 v55, v98, v70, -v55
	v_add_f32_e32 v54, v54, v56
	s_delay_alu instid0(VALU_DEP_4) | instskip(SKIP_4) | instid1(VALU_DEP_4)
	v_dual_fmac_f32 v120, v93, v64 :: v_dual_fmac_f32 v121, v95, v66
	v_add_f32_e32 v52, v52, v119
	v_mul_f32_e32 v56, v103, v75
	v_fma_f32 v57, v100, v72, -v57
	v_dual_add_f32 v54, v54, v55 :: v_dual_mul_f32 v55, v105, v77
	v_add_f32_e32 v52, v52, v120
	s_delay_alu instid0(VALU_DEP_4) | instskip(SKIP_1) | instid1(VALU_DEP_4)
	v_fma_f32 v56, v102, v74, -v56
	v_fmac_f32_e32 v122, v97, v68
	v_dual_add_f32 v54, v54, v57 :: v_dual_mul_f32 v57, v107, v79
	s_delay_alu instid0(VALU_DEP_4) | instskip(SKIP_2) | instid1(VALU_DEP_4)
	v_add_f32_e32 v52, v52, v121
	v_fma_f32 v55, v104, v76, -v55
	v_fmac_f32_e32 v124, v101, v72
	v_add_f32_e32 v54, v54, v56
	v_fmac_f32_e32 v126, v105, v76
	v_mul_f32_e32 v56, v109, v81
	v_fma_f32 v57, v106, v78, -v57
	v_fmac_f32_e32 v128, v109, v80
	v_add_f32_e32 v54, v54, v55
	v_dual_mul_f32 v55, v115, v111 :: v_dual_add_f32 v52, v52, v122
	v_fma_f32 v56, v108, v80, -v56
	s_delay_alu instid0(VALU_DEP_3) | instskip(NEXT) | instid1(VALU_DEP_3)
	v_add_f32_e32 v54, v54, v57
	v_fma_f32 v55, v114, v110, -v55
	s_delay_alu instid0(VALU_DEP_4) | instskip(NEXT) | instid1(VALU_DEP_3)
	v_add_f32_e32 v52, v52, v123
	v_add_f32_e32 v54, v54, v56
	s_delay_alu instid0(VALU_DEP_2) | instskip(NEXT) | instid1(VALU_DEP_2)
	v_add_f32_e32 v52, v52, v124
	v_add_f32_e32 v54, v54, v55
	s_delay_alu instid0(VALU_DEP_2) | instskip(SKIP_1) | instid1(VALU_DEP_2)
	v_add_f32_e32 v52, v52, v125
	s_wait_loadcnt 0x0
	v_sub_f32_e32 v54, v112, v54
	s_delay_alu instid0(VALU_DEP_2) | instskip(NEXT) | instid1(VALU_DEP_1)
	v_add_f32_e32 v52, v52, v126
	v_add_f32_e32 v52, v52, v127
	s_delay_alu instid0(VALU_DEP_1) | instskip(NEXT) | instid1(VALU_DEP_1)
	v_add_f32_e32 v52, v52, v128
	v_add_f32_e32 v52, v52, v129
	s_delay_alu instid0(VALU_DEP_1)
	v_sub_f32_e32 v55, v113, v52
	scratch_store_b64 off, v[54:55], off offset:72
	v_cmpx_lt_u32_e32 8, v0
	s_cbranch_execz .LBB88_147
; %bb.146:
	scratch_load_b64 v[54:55], off, off offset:64
	v_mov_b32_e32 v52, v51
	scratch_store_b64 off, v[51:52], off offset:64
	s_wait_loadcnt 0x0
	ds_store_b64 v53, v[54:55]
.LBB88_147:
	s_wait_alu 0xfffe
	s_or_b32 exec_lo, exec_lo, s0
	s_wait_storecnt_dscnt 0x0
	s_barrier_signal -1
	s_barrier_wait -1
	global_inv scope:SCOPE_SE
	s_clause 0x8
	scratch_load_b128 v[54:57], off, off offset:72
	scratch_load_b128 v[58:61], off, off offset:88
	;; [unrolled: 1-line block ×8, first 2 shown]
	scratch_load_b64 v[118:119], off, off offset:64
	ds_load_2addr_b64 v[86:89], v51 offset0:35 offset1:36
	ds_load_2addr_b64 v[90:93], v51 offset0:37 offset1:38
	;; [unrolled: 1-line block ×8, first 2 shown]
	s_mov_b32 s0, exec_lo
	s_wait_loadcnt_dscnt 0x807
	v_dual_mul_f32 v51, v86, v55 :: v_dual_mul_f32 v52, v88, v57
	v_mul_f32_e32 v55, v87, v55
	s_wait_loadcnt_dscnt 0x706
	v_dual_mul_f32 v57, v89, v57 :: v_dual_mul_f32 v120, v90, v59
	s_delay_alu instid0(VALU_DEP_3) | instskip(NEXT) | instid1(VALU_DEP_3)
	v_dual_mul_f32 v121, v92, v61 :: v_dual_fmac_f32 v52, v89, v56
	v_fma_f32 v55, v86, v54, -v55
	v_fmac_f32_e32 v51, v87, v54
	v_mul_f32_e32 v54, v91, v59
	v_fma_f32 v56, v88, v56, -v57
	v_mul_f32_e32 v57, v93, v61
	v_dual_add_f32 v55, 0, v55 :: v_dual_fmac_f32 v120, v91, v58
	s_delay_alu instid0(VALU_DEP_4) | instskip(SKIP_2) | instid1(VALU_DEP_3)
	v_fma_f32 v54, v90, v58, -v54
	s_wait_loadcnt_dscnt 0x605
	v_dual_mul_f32 v122, v94, v63 :: v_dual_mul_f32 v123, v96, v65
	v_add_f32_e32 v55, v55, v56
	v_fmac_f32_e32 v121, v93, v60
	v_fma_f32 v56, v92, v60, -v57
	s_wait_loadcnt_dscnt 0x504
	v_dual_mul_f32 v124, v98, v67 :: v_dual_mul_f32 v125, v100, v69
	v_dual_add_f32 v54, v55, v54 :: v_dual_mul_f32 v55, v97, v65
	v_fmac_f32_e32 v122, v95, v62
	s_wait_loadcnt_dscnt 0x403
	v_dual_mul_f32 v126, v102, v71 :: v_dual_mul_f32 v127, v104, v73
	s_delay_alu instid0(VALU_DEP_3) | instskip(SKIP_3) | instid1(VALU_DEP_4)
	v_dual_add_f32 v54, v54, v56 :: v_dual_add_f32 v51, 0, v51
	v_mul_f32_e32 v56, v99, v67
	v_fma_f32 v55, v96, v64, -v55
	v_dual_fmac_f32 v123, v97, v64 :: v_dual_fmac_f32 v124, v99, v66
	v_add_f32_e32 v51, v51, v52
	v_mul_f32_e32 v52, v95, v63
	v_fma_f32 v56, v98, v66, -v56
	v_dual_fmac_f32 v125, v101, v68 :: v_dual_fmac_f32 v126, v103, v70
	s_wait_loadcnt_dscnt 0x302
	v_dual_mul_f32 v128, v106, v75 :: v_dual_mul_f32 v129, v108, v77
	v_fma_f32 v52, v94, v62, -v52
	s_wait_loadcnt_dscnt 0x201
	v_dual_mul_f32 v130, v110, v79 :: v_dual_mul_f32 v131, v112, v81
	s_wait_loadcnt_dscnt 0x100
	v_dual_mul_f32 v132, v114, v83 :: v_dual_mul_f32 v133, v116, v85
	v_add_f32_e32 v52, v54, v52
	v_mul_f32_e32 v54, v101, v69
	v_dual_fmac_f32 v130, v111, v78 :: v_dual_fmac_f32 v131, v113, v80
	s_delay_alu instid0(VALU_DEP_4) | instskip(NEXT) | instid1(VALU_DEP_4)
	v_dual_fmac_f32 v132, v115, v82 :: v_dual_fmac_f32 v133, v117, v84
	v_dual_add_f32 v52, v52, v55 :: v_dual_add_f32 v51, v51, v120
	v_mul_f32_e32 v55, v103, v71
	v_fma_f32 v54, v100, v68, -v54
	v_fmac_f32_e32 v127, v105, v72
	s_delay_alu instid0(VALU_DEP_4)
	v_add_f32_e32 v52, v52, v56
	v_mul_f32_e32 v56, v105, v73
	v_add_f32_e32 v51, v51, v121
	v_fma_f32 v55, v102, v70, -v55
	v_fmac_f32_e32 v128, v107, v74
	v_add_f32_e32 v52, v52, v54
	v_mul_f32_e32 v54, v107, v75
	v_add_f32_e32 v51, v51, v122
	v_fma_f32 v56, v104, v72, -v56
	s_delay_alu instid0(VALU_DEP_4) | instskip(SKIP_1) | instid1(VALU_DEP_4)
	v_dual_fmac_f32 v129, v109, v76 :: v_dual_add_f32 v52, v52, v55
	v_mul_f32_e32 v55, v109, v77
	v_add_f32_e32 v51, v51, v123
	v_fma_f32 v54, v106, v74, -v54
	s_delay_alu instid0(VALU_DEP_4) | instskip(NEXT) | instid1(VALU_DEP_4)
	v_add_f32_e32 v52, v52, v56
	v_fma_f32 v55, v108, v76, -v55
	s_delay_alu instid0(VALU_DEP_4) | instskip(SKIP_1) | instid1(VALU_DEP_4)
	v_add_f32_e32 v51, v51, v124
	v_mul_f32_e32 v56, v111, v79
	v_add_f32_e32 v52, v52, v54
	v_mul_f32_e32 v54, v113, v81
	s_delay_alu instid0(VALU_DEP_4) | instskip(NEXT) | instid1(VALU_DEP_4)
	v_add_f32_e32 v51, v51, v125
	v_fma_f32 v56, v110, v78, -v56
	s_delay_alu instid0(VALU_DEP_4) | instskip(SKIP_1) | instid1(VALU_DEP_4)
	v_add_f32_e32 v52, v52, v55
	v_mul_f32_e32 v55, v115, v83
	v_add_f32_e32 v51, v51, v126
	v_fma_f32 v54, v112, v80, -v54
	s_delay_alu instid0(VALU_DEP_4) | instskip(NEXT) | instid1(VALU_DEP_3)
	v_add_f32_e32 v52, v52, v56
	v_dual_mul_f32 v56, v117, v85 :: v_dual_add_f32 v51, v51, v127
	v_fma_f32 v55, v114, v82, -v55
	s_delay_alu instid0(VALU_DEP_3) | instskip(NEXT) | instid1(VALU_DEP_3)
	v_add_f32_e32 v52, v52, v54
	v_fma_f32 v54, v116, v84, -v56
	s_delay_alu instid0(VALU_DEP_2) | instskip(NEXT) | instid1(VALU_DEP_1)
	v_dual_add_f32 v51, v51, v128 :: v_dual_add_f32 v52, v52, v55
	v_dual_add_f32 v51, v51, v129 :: v_dual_add_f32 v52, v52, v54
	s_delay_alu instid0(VALU_DEP_1) | instskip(NEXT) | instid1(VALU_DEP_1)
	v_add_f32_e32 v51, v51, v130
	v_add_f32_e32 v51, v51, v131
	s_delay_alu instid0(VALU_DEP_1) | instskip(SKIP_1) | instid1(VALU_DEP_1)
	v_add_f32_e32 v51, v51, v132
	s_wait_loadcnt 0x0
	v_dual_add_f32 v54, v51, v133 :: v_dual_sub_f32 v51, v118, v52
	s_delay_alu instid0(VALU_DEP_1)
	v_sub_f32_e32 v52, v119, v54
	scratch_store_b64 off, v[51:52], off offset:64
	v_cmpx_lt_u32_e32 7, v0
	s_cbranch_execz .LBB88_149
; %bb.148:
	scratch_load_b64 v[51:52], off, off offset:56
	v_mov_b32_e32 v54, 0
	s_delay_alu instid0(VALU_DEP_1)
	v_mov_b32_e32 v55, v54
	scratch_store_b64 off, v[54:55], off offset:56
	s_wait_loadcnt 0x0
	ds_store_b64 v53, v[51:52]
.LBB88_149:
	s_wait_alu 0xfffe
	s_or_b32 exec_lo, exec_lo, s0
	s_wait_storecnt_dscnt 0x0
	s_barrier_signal -1
	s_barrier_wait -1
	global_inv scope:SCOPE_SE
	s_clause 0x9
	scratch_load_b128 v[54:57], off, off offset:64
	scratch_load_b128 v[58:61], off, off offset:80
	;; [unrolled: 1-line block ×8, first 2 shown]
	scratch_load_b64 v[118:119], off, off offset:192
	scratch_load_b64 v[120:121], off, off offset:56
	v_mov_b32_e32 v51, 0
	ds_load_b128 v[86:89], v51 offset:272
	ds_load_b128 v[90:93], v51 offset:288
	;; [unrolled: 1-line block ×8, first 2 shown]
	ds_load_b64 v[122:123], v51 offset:400
	s_mov_b32 s0, exec_lo
	s_wait_loadcnt_dscnt 0x908
	v_mul_f32_e32 v52, v86, v55
	s_wait_loadcnt_dscnt 0x807
	v_dual_mul_f32 v124, v88, v57 :: v_dual_mul_f32 v125, v90, v59
	v_mul_f32_e32 v55, v87, v55
	s_delay_alu instid0(VALU_DEP_3)
	v_dual_mul_f32 v57, v89, v57 :: v_dual_fmac_f32 v52, v87, v54
	s_wait_loadcnt_dscnt 0x302
	v_mul_f32_e32 v136, v112, v81
	v_dual_mul_f32 v126, v92, v61 :: v_dual_mul_f32 v127, v94, v63
	s_wait_loadcnt_dscnt 0x100
	v_mul_f32_e32 v139, v122, v119
	v_fma_f32 v55, v86, v54, -v55
	v_mul_f32_e32 v54, v91, v59
	v_fmac_f32_e32 v124, v89, v56
	v_fma_f32 v56, v88, v56, -v57
	v_dual_add_f32 v52, 0, v52 :: v_dual_mul_f32 v57, v93, v61
	v_add_f32_e32 v55, 0, v55
	v_fmac_f32_e32 v125, v91, v58
	v_fma_f32 v54, v90, v58, -v54
	s_delay_alu instid0(VALU_DEP_4)
	v_add_f32_e32 v52, v52, v124
	v_fma_f32 v57, v92, v60, -v57
	v_add_f32_e32 v55, v55, v56
	v_mul_f32_e32 v56, v95, v63
	v_dual_mul_f32 v130, v100, v69 :: v_dual_mul_f32 v131, v102, v71
	v_add_f32_e32 v52, v52, v125
	s_delay_alu instid0(VALU_DEP_4) | instskip(NEXT) | instid1(VALU_DEP_4)
	v_dual_add_f32 v54, v55, v54 :: v_dual_mul_f32 v55, v97, v65
	v_fma_f32 v56, v94, v62, -v56
	v_dual_mul_f32 v132, v104, v73 :: v_dual_mul_f32 v133, v106, v75
	s_delay_alu instid0(VALU_DEP_3) | instskip(NEXT) | instid1(VALU_DEP_4)
	v_dual_add_f32 v54, v54, v57 :: v_dual_mul_f32 v57, v99, v67
	v_fma_f32 v55, v96, v64, -v55
	v_dual_mul_f32 v134, v108, v77 :: v_dual_mul_f32 v135, v110, v79
	s_delay_alu instid0(VALU_DEP_3) | instskip(SKIP_3) | instid1(VALU_DEP_4)
	v_dual_add_f32 v54, v54, v56 :: v_dual_fmac_f32 v131, v103, v70
	v_dual_fmac_f32 v126, v93, v60 :: v_dual_fmac_f32 v127, v95, v62
	v_dual_mul_f32 v56, v101, v69 :: v_dual_fmac_f32 v133, v107, v74
	v_fma_f32 v57, v98, v66, -v57
	v_dual_add_f32 v54, v54, v55 :: v_dual_fmac_f32 v135, v111, v78
	v_dual_mul_f32 v137, v114, v83 :: v_dual_mul_f32 v138, v116, v85
	v_dual_add_f32 v52, v52, v126 :: v_dual_mul_f32 v55, v103, v71
	v_fma_f32 v56, v100, v68, -v56
	s_delay_alu instid0(VALU_DEP_3) | instskip(SKIP_3) | instid1(VALU_DEP_4)
	v_dual_add_f32 v54, v54, v57 :: v_dual_fmac_f32 v137, v115, v82
	v_dual_mul_f32 v128, v96, v65 :: v_dual_mul_f32 v129, v98, v67
	v_mul_f32_e32 v57, v105, v73
	v_fma_f32 v55, v102, v70, -v55
	v_add_f32_e32 v54, v54, v56
	s_delay_alu instid0(VALU_DEP_4) | instskip(SKIP_4) | instid1(VALU_DEP_4)
	v_dual_fmac_f32 v128, v97, v64 :: v_dual_fmac_f32 v129, v99, v66
	v_add_f32_e32 v52, v52, v127
	v_mul_f32_e32 v56, v107, v75
	v_fma_f32 v57, v104, v72, -v57
	v_dual_add_f32 v54, v54, v55 :: v_dual_mul_f32 v55, v109, v77
	v_add_f32_e32 v52, v52, v128
	s_delay_alu instid0(VALU_DEP_4) | instskip(SKIP_1) | instid1(VALU_DEP_4)
	v_fma_f32 v56, v106, v74, -v56
	v_fmac_f32_e32 v130, v101, v68
	v_dual_add_f32 v54, v54, v57 :: v_dual_mul_f32 v57, v111, v79
	s_delay_alu instid0(VALU_DEP_4) | instskip(SKIP_1) | instid1(VALU_DEP_3)
	v_dual_add_f32 v52, v52, v129 :: v_dual_fmac_f32 v139, v123, v118
	v_fma_f32 v55, v108, v76, -v55
	v_add_f32_e32 v54, v54, v56
	v_fmac_f32_e32 v132, v105, v72
	v_fmac_f32_e32 v134, v109, v76
	v_mul_f32_e32 v56, v113, v81
	v_fma_f32 v57, v110, v78, -v57
	v_add_f32_e32 v54, v54, v55
	v_dual_mul_f32 v55, v115, v83 :: v_dual_add_f32 v52, v52, v130
	v_fmac_f32_e32 v136, v113, v80
	v_fma_f32 v56, v112, v80, -v56
	s_delay_alu instid0(VALU_DEP_4) | instskip(NEXT) | instid1(VALU_DEP_4)
	v_add_f32_e32 v54, v54, v57
	v_dual_mul_f32 v57, v117, v85 :: v_dual_add_f32 v52, v52, v131
	v_fma_f32 v55, v114, v82, -v55
	v_fmac_f32_e32 v138, v117, v84
	s_delay_alu instid0(VALU_DEP_4) | instskip(SKIP_3) | instid1(VALU_DEP_4)
	v_add_f32_e32 v54, v54, v56
	v_mul_f32_e32 v56, v123, v119
	v_add_f32_e32 v52, v52, v132
	v_fma_f32 v57, v116, v84, -v57
	v_add_f32_e32 v54, v54, v55
	s_delay_alu instid0(VALU_DEP_4) | instskip(NEXT) | instid1(VALU_DEP_4)
	v_fma_f32 v55, v122, v118, -v56
	v_add_f32_e32 v52, v52, v133
	s_delay_alu instid0(VALU_DEP_3) | instskip(NEXT) | instid1(VALU_DEP_2)
	v_add_f32_e32 v54, v54, v57
	v_add_f32_e32 v52, v52, v134
	s_delay_alu instid0(VALU_DEP_2) | instskip(NEXT) | instid1(VALU_DEP_2)
	v_add_f32_e32 v54, v54, v55
	v_add_f32_e32 v52, v52, v135
	s_wait_loadcnt 0x0
	s_delay_alu instid0(VALU_DEP_2) | instskip(NEXT) | instid1(VALU_DEP_2)
	v_sub_f32_e32 v54, v120, v54
	v_add_f32_e32 v52, v52, v136
	s_delay_alu instid0(VALU_DEP_1) | instskip(NEXT) | instid1(VALU_DEP_1)
	v_add_f32_e32 v52, v52, v137
	v_add_f32_e32 v52, v52, v138
	s_delay_alu instid0(VALU_DEP_1) | instskip(NEXT) | instid1(VALU_DEP_1)
	v_add_f32_e32 v52, v52, v139
	v_sub_f32_e32 v55, v121, v52
	scratch_store_b64 off, v[54:55], off offset:56
	v_cmpx_lt_u32_e32 6, v0
	s_cbranch_execz .LBB88_151
; %bb.150:
	scratch_load_b64 v[54:55], off, off offset:48
	v_mov_b32_e32 v52, v51
	scratch_store_b64 off, v[51:52], off offset:48
	s_wait_loadcnt 0x0
	ds_store_b64 v53, v[54:55]
.LBB88_151:
	s_wait_alu 0xfffe
	s_or_b32 exec_lo, exec_lo, s0
	s_wait_storecnt_dscnt 0x0
	s_barrier_signal -1
	s_barrier_wait -1
	global_inv scope:SCOPE_SE
	s_clause 0x9
	scratch_load_b128 v[54:57], off, off offset:56
	scratch_load_b128 v[58:61], off, off offset:72
	;; [unrolled: 1-line block ×9, first 2 shown]
	scratch_load_b64 v[126:127], off, off offset:48
	ds_load_2addr_b64 v[90:93], v51 offset0:33 offset1:34
	ds_load_2addr_b64 v[94:97], v51 offset0:35 offset1:36
	;; [unrolled: 1-line block ×9, first 2 shown]
	s_mov_b32 s0, exec_lo
	s_wait_loadcnt_dscnt 0x908
	v_dual_mul_f32 v51, v90, v55 :: v_dual_mul_f32 v52, v92, v57
	v_mul_f32_e32 v55, v91, v55
	s_wait_loadcnt_dscnt 0x807
	v_dual_mul_f32 v57, v93, v57 :: v_dual_mul_f32 v128, v94, v59
	s_delay_alu instid0(VALU_DEP_3) | instskip(NEXT) | instid1(VALU_DEP_3)
	v_dual_mul_f32 v129, v96, v61 :: v_dual_fmac_f32 v52, v93, v56
	v_fma_f32 v55, v90, v54, -v55
	v_fmac_f32_e32 v51, v91, v54
	v_mul_f32_e32 v54, v95, v59
	v_fma_f32 v56, v92, v56, -v57
	v_mul_f32_e32 v57, v97, v61
	v_dual_add_f32 v55, 0, v55 :: v_dual_fmac_f32 v128, v95, v58
	s_delay_alu instid0(VALU_DEP_4) | instskip(SKIP_2) | instid1(VALU_DEP_3)
	v_fma_f32 v54, v94, v58, -v54
	s_wait_loadcnt_dscnt 0x706
	v_dual_mul_f32 v130, v98, v63 :: v_dual_mul_f32 v131, v100, v65
	v_add_f32_e32 v55, v55, v56
	v_fmac_f32_e32 v129, v97, v60
	v_fma_f32 v56, v96, v60, -v57
	s_wait_loadcnt_dscnt 0x605
	v_dual_mul_f32 v132, v102, v67 :: v_dual_mul_f32 v133, v104, v69
	v_dual_add_f32 v54, v55, v54 :: v_dual_mul_f32 v55, v101, v65
	v_fmac_f32_e32 v130, v99, v62
	s_wait_loadcnt_dscnt 0x504
	v_dual_mul_f32 v134, v106, v71 :: v_dual_mul_f32 v135, v108, v73
	s_delay_alu instid0(VALU_DEP_3) | instskip(SKIP_3) | instid1(VALU_DEP_4)
	v_dual_add_f32 v54, v54, v56 :: v_dual_add_f32 v51, 0, v51
	v_mul_f32_e32 v56, v103, v67
	v_fma_f32 v55, v100, v64, -v55
	v_dual_fmac_f32 v131, v101, v64 :: v_dual_fmac_f32 v132, v103, v66
	v_add_f32_e32 v51, v51, v52
	v_mul_f32_e32 v52, v99, v63
	v_fma_f32 v56, v102, v66, -v56
	v_dual_fmac_f32 v133, v105, v68 :: v_dual_fmac_f32 v134, v107, v70
	s_wait_loadcnt_dscnt 0x403
	v_dual_mul_f32 v136, v110, v75 :: v_dual_mul_f32 v137, v112, v77
	v_fma_f32 v52, v98, v62, -v52
	s_wait_loadcnt_dscnt 0x302
	v_dual_mul_f32 v138, v114, v79 :: v_dual_mul_f32 v139, v116, v81
	s_wait_loadcnt_dscnt 0x201
	v_dual_mul_f32 v140, v118, v83 :: v_dual_mul_f32 v141, v120, v85
	v_add_f32_e32 v52, v54, v52
	v_mul_f32_e32 v54, v105, v69
	v_dual_fmac_f32 v138, v115, v78 :: v_dual_fmac_f32 v139, v117, v80
	s_delay_alu instid0(VALU_DEP_4) | instskip(NEXT) | instid1(VALU_DEP_4)
	v_dual_fmac_f32 v140, v119, v82 :: v_dual_fmac_f32 v141, v121, v84
	v_dual_add_f32 v52, v52, v55 :: v_dual_add_f32 v51, v51, v128
	v_mul_f32_e32 v55, v107, v71
	v_fma_f32 v54, v104, v68, -v54
	v_fmac_f32_e32 v135, v109, v72
	s_delay_alu instid0(VALU_DEP_4)
	v_add_f32_e32 v52, v52, v56
	v_mul_f32_e32 v56, v109, v73
	v_add_f32_e32 v51, v51, v129
	v_fma_f32 v55, v106, v70, -v55
	v_fmac_f32_e32 v136, v111, v74
	v_add_f32_e32 v52, v52, v54
	v_mul_f32_e32 v54, v111, v75
	v_add_f32_e32 v51, v51, v130
	v_fma_f32 v56, v108, v72, -v56
	s_delay_alu instid0(VALU_DEP_4) | instskip(SKIP_1) | instid1(VALU_DEP_4)
	v_dual_fmac_f32 v137, v113, v76 :: v_dual_add_f32 v52, v52, v55
	v_mul_f32_e32 v55, v113, v77
	v_add_f32_e32 v51, v51, v131
	v_fma_f32 v54, v110, v74, -v54
	s_wait_loadcnt_dscnt 0x100
	v_dual_mul_f32 v142, v122, v87 :: v_dual_mul_f32 v143, v124, v89
	v_add_f32_e32 v52, v52, v56
	v_add_f32_e32 v51, v51, v132
	v_fma_f32 v55, v112, v76, -v55
	v_mul_f32_e32 v56, v115, v79
	v_dual_fmac_f32 v142, v123, v86 :: v_dual_fmac_f32 v143, v125, v88
	s_delay_alu instid0(VALU_DEP_4) | instskip(SKIP_1) | instid1(VALU_DEP_4)
	v_dual_add_f32 v52, v52, v54 :: v_dual_add_f32 v51, v51, v133
	v_mul_f32_e32 v54, v117, v81
	v_fma_f32 v56, v114, v78, -v56
	s_delay_alu instid0(VALU_DEP_3) | instskip(SKIP_1) | instid1(VALU_DEP_4)
	v_dual_add_f32 v52, v52, v55 :: v_dual_add_f32 v51, v51, v134
	v_mul_f32_e32 v55, v119, v83
	v_fma_f32 v54, v116, v80, -v54
	s_delay_alu instid0(VALU_DEP_3) | instskip(SKIP_1) | instid1(VALU_DEP_4)
	;; [unrolled: 4-line block ×4, first 2 shown]
	v_dual_add_f32 v52, v52, v55 :: v_dual_add_f32 v51, v51, v137
	v_mul_f32_e32 v55, v125, v89
	v_fma_f32 v54, v122, v86, -v54
	s_delay_alu instid0(VALU_DEP_3) | instskip(NEXT) | instid1(VALU_DEP_3)
	v_dual_add_f32 v52, v52, v56 :: v_dual_add_f32 v51, v51, v138
	v_fma_f32 v55, v124, v88, -v55
	s_delay_alu instid0(VALU_DEP_2) | instskip(NEXT) | instid1(VALU_DEP_1)
	v_dual_add_f32 v52, v52, v54 :: v_dual_add_f32 v51, v51, v139
	v_dual_add_f32 v52, v52, v55 :: v_dual_add_f32 v51, v51, v140
	s_delay_alu instid0(VALU_DEP_1) | instskip(NEXT) | instid1(VALU_DEP_1)
	v_add_f32_e32 v51, v51, v141
	v_add_f32_e32 v51, v51, v142
	s_wait_loadcnt 0x0
	s_delay_alu instid0(VALU_DEP_1) | instskip(NEXT) | instid1(VALU_DEP_1)
	v_dual_add_f32 v54, v51, v143 :: v_dual_sub_f32 v51, v126, v52
	v_sub_f32_e32 v52, v127, v54
	scratch_store_b64 off, v[51:52], off offset:48
	v_cmpx_lt_u32_e32 5, v0
	s_cbranch_execz .LBB88_153
; %bb.152:
	scratch_load_b64 v[51:52], off, off offset:40
	v_mov_b32_e32 v54, 0
	s_delay_alu instid0(VALU_DEP_1)
	v_mov_b32_e32 v55, v54
	scratch_store_b64 off, v[54:55], off offset:40
	s_wait_loadcnt 0x0
	ds_store_b64 v53, v[51:52]
.LBB88_153:
	s_wait_alu 0xfffe
	s_or_b32 exec_lo, exec_lo, s0
	s_wait_storecnt_dscnt 0x0
	s_barrier_signal -1
	s_barrier_wait -1
	global_inv scope:SCOPE_SE
	s_clause 0xa
	scratch_load_b128 v[54:57], off, off offset:48
	scratch_load_b128 v[58:61], off, off offset:64
	;; [unrolled: 1-line block ×9, first 2 shown]
	scratch_load_b64 v[126:127], off, off offset:192
	scratch_load_b64 v[128:129], off, off offset:40
	v_mov_b32_e32 v51, 0
	ds_load_b128 v[90:93], v51 offset:256
	ds_load_b128 v[94:97], v51 offset:272
	;; [unrolled: 1-line block ×9, first 2 shown]
	ds_load_b64 v[130:131], v51 offset:400
	s_mov_b32 s0, exec_lo
	s_wait_loadcnt_dscnt 0xa09
	v_mul_f32_e32 v52, v90, v55
	s_wait_loadcnt_dscnt 0x908
	v_dual_mul_f32 v132, v92, v57 :: v_dual_mul_f32 v133, v94, v59
	v_mul_f32_e32 v55, v91, v55
	s_delay_alu instid0(VALU_DEP_3)
	v_dual_mul_f32 v57, v93, v57 :: v_dual_fmac_f32 v52, v91, v54
	s_wait_loadcnt_dscnt 0x807
	v_dual_mul_f32 v134, v96, v61 :: v_dual_mul_f32 v135, v98, v63
	s_wait_loadcnt_dscnt 0x100
	v_dual_mul_f32 v146, v120, v85 :: v_dual_mul_f32 v149, v130, v127
	v_fma_f32 v55, v90, v54, -v55
	v_mul_f32_e32 v54, v95, v59
	v_fmac_f32_e32 v132, v93, v56
	v_fma_f32 v56, v92, v56, -v57
	v_dual_add_f32 v52, 0, v52 :: v_dual_mul_f32 v57, v97, v61
	v_add_f32_e32 v55, 0, v55
	v_fmac_f32_e32 v133, v95, v58
	v_fma_f32 v54, v94, v58, -v54
	s_delay_alu instid0(VALU_DEP_4)
	v_add_f32_e32 v52, v52, v132
	v_fma_f32 v57, v96, v60, -v57
	v_add_f32_e32 v55, v55, v56
	v_mul_f32_e32 v56, v99, v63
	v_dual_mul_f32 v138, v104, v69 :: v_dual_mul_f32 v139, v106, v71
	v_add_f32_e32 v52, v52, v133
	s_delay_alu instid0(VALU_DEP_4) | instskip(NEXT) | instid1(VALU_DEP_4)
	v_dual_add_f32 v54, v55, v54 :: v_dual_mul_f32 v55, v101, v65
	v_fma_f32 v56, v98, v62, -v56
	v_dual_mul_f32 v140, v108, v73 :: v_dual_mul_f32 v141, v110, v75
	s_delay_alu instid0(VALU_DEP_3) | instskip(NEXT) | instid1(VALU_DEP_4)
	v_dual_add_f32 v54, v54, v57 :: v_dual_mul_f32 v57, v103, v67
	v_fma_f32 v55, v100, v64, -v55
	v_dual_mul_f32 v142, v112, v77 :: v_dual_mul_f32 v143, v114, v79
	s_delay_alu instid0(VALU_DEP_3) | instskip(SKIP_3) | instid1(VALU_DEP_4)
	v_dual_add_f32 v54, v54, v56 :: v_dual_fmac_f32 v139, v107, v70
	v_dual_fmac_f32 v134, v97, v60 :: v_dual_fmac_f32 v135, v99, v62
	v_dual_mul_f32 v56, v105, v69 :: v_dual_fmac_f32 v141, v111, v74
	v_fma_f32 v57, v102, v66, -v57
	v_dual_add_f32 v54, v54, v55 :: v_dual_fmac_f32 v143, v115, v78
	v_dual_mul_f32 v144, v116, v81 :: v_dual_mul_f32 v145, v118, v83
	v_dual_add_f32 v52, v52, v134 :: v_dual_mul_f32 v55, v107, v71
	v_fma_f32 v56, v104, v68, -v56
	s_delay_alu instid0(VALU_DEP_3) | instskip(SKIP_1) | instid1(VALU_DEP_4)
	v_dual_add_f32 v54, v54, v57 :: v_dual_fmac_f32 v145, v119, v82
	v_mul_f32_e32 v57, v109, v73
	v_fma_f32 v55, v106, v70, -v55
	v_dual_mul_f32 v136, v100, v65 :: v_dual_mul_f32 v137, v102, v67
	s_delay_alu instid0(VALU_DEP_4) | instskip(SKIP_2) | instid1(VALU_DEP_4)
	v_add_f32_e32 v54, v54, v56
	v_mul_f32_e32 v56, v111, v75
	v_fma_f32 v57, v108, v72, -v57
	v_dual_fmac_f32 v136, v101, v64 :: v_dual_fmac_f32 v137, v103, v66
	s_delay_alu instid0(VALU_DEP_4) | instskip(SKIP_2) | instid1(VALU_DEP_3)
	v_dual_add_f32 v54, v54, v55 :: v_dual_fmac_f32 v149, v131, v126
	v_dual_add_f32 v52, v52, v135 :: v_dual_mul_f32 v55, v113, v77
	v_fma_f32 v56, v110, v74, -v56
	v_dual_add_f32 v54, v54, v57 :: v_dual_mul_f32 v57, v115, v79
	s_delay_alu instid0(VALU_DEP_3) | instskip(NEXT) | instid1(VALU_DEP_4)
	v_add_f32_e32 v52, v52, v136
	v_fma_f32 v55, v112, v76, -v55
	v_dual_mul_f32 v147, v122, v87 :: v_dual_mul_f32 v148, v124, v89
	s_delay_alu instid0(VALU_DEP_4)
	v_add_f32_e32 v54, v54, v56
	v_mul_f32_e32 v56, v117, v81
	v_fma_f32 v57, v114, v78, -v57
	v_fmac_f32_e32 v138, v105, v68
	v_dual_add_f32 v52, v52, v137 :: v_dual_fmac_f32 v147, v123, v86
	v_add_f32_e32 v54, v54, v55
	v_mul_f32_e32 v55, v119, v83
	v_fma_f32 v56, v116, v80, -v56
	s_delay_alu instid0(VALU_DEP_4)
	v_add_f32_e32 v52, v52, v138
	v_fmac_f32_e32 v140, v109, v72
	v_add_f32_e32 v54, v54, v57
	v_mul_f32_e32 v57, v121, v85
	v_fma_f32 v55, v118, v82, -v55
	v_fmac_f32_e32 v142, v113, v76
	v_fmac_f32_e32 v144, v117, v80
	v_add_f32_e32 v54, v54, v56
	v_fma_f32 v57, v120, v84, -v57
	v_mul_f32_e32 v56, v123, v87
	v_fmac_f32_e32 v146, v121, v84
	v_fmac_f32_e32 v148, v125, v88
	v_dual_add_f32 v54, v54, v55 :: v_dual_mul_f32 v55, v125, v89
	v_add_f32_e32 v52, v52, v139
	v_fma_f32 v56, v122, v86, -v56
	s_delay_alu instid0(VALU_DEP_3) | instskip(NEXT) | instid1(VALU_DEP_3)
	v_dual_add_f32 v54, v54, v57 :: v_dual_mul_f32 v57, v131, v127
	v_add_f32_e32 v52, v52, v140
	v_fma_f32 v55, v124, v88, -v55
	s_delay_alu instid0(VALU_DEP_3) | instskip(NEXT) | instid1(VALU_DEP_4)
	v_add_f32_e32 v54, v54, v56
	v_fma_f32 v56, v130, v126, -v57
	s_delay_alu instid0(VALU_DEP_4) | instskip(NEXT) | instid1(VALU_DEP_3)
	v_add_f32_e32 v52, v52, v141
	v_add_f32_e32 v54, v54, v55
	s_delay_alu instid0(VALU_DEP_2) | instskip(NEXT) | instid1(VALU_DEP_2)
	v_add_f32_e32 v52, v52, v142
	v_add_f32_e32 v54, v54, v56
	s_delay_alu instid0(VALU_DEP_2) | instskip(SKIP_1) | instid1(VALU_DEP_2)
	v_add_f32_e32 v52, v52, v143
	s_wait_loadcnt 0x0
	v_sub_f32_e32 v54, v128, v54
	s_delay_alu instid0(VALU_DEP_2) | instskip(NEXT) | instid1(VALU_DEP_1)
	v_add_f32_e32 v52, v52, v144
	v_add_f32_e32 v52, v52, v145
	s_delay_alu instid0(VALU_DEP_1) | instskip(NEXT) | instid1(VALU_DEP_1)
	v_add_f32_e32 v52, v52, v146
	v_add_f32_e32 v52, v52, v147
	s_delay_alu instid0(VALU_DEP_1) | instskip(NEXT) | instid1(VALU_DEP_1)
	v_add_f32_e32 v52, v52, v148
	v_add_f32_e32 v52, v52, v149
	s_delay_alu instid0(VALU_DEP_1)
	v_sub_f32_e32 v55, v129, v52
	scratch_store_b64 off, v[54:55], off offset:40
	v_cmpx_lt_u32_e32 4, v0
	s_cbranch_execz .LBB88_155
; %bb.154:
	scratch_load_b64 v[54:55], off, off offset:32
	v_mov_b32_e32 v52, v51
	scratch_store_b64 off, v[51:52], off offset:32
	s_wait_loadcnt 0x0
	ds_store_b64 v53, v[54:55]
.LBB88_155:
	s_wait_alu 0xfffe
	s_or_b32 exec_lo, exec_lo, s0
	s_wait_storecnt_dscnt 0x0
	s_barrier_signal -1
	s_barrier_wait -1
	global_inv scope:SCOPE_SE
	s_clause 0xa
	scratch_load_b128 v[54:57], off, off offset:40
	scratch_load_b128 v[58:61], off, off offset:56
	;; [unrolled: 1-line block ×10, first 2 shown]
	scratch_load_b64 v[134:135], off, off offset:32
	ds_load_2addr_b64 v[94:97], v51 offset0:31 offset1:32
	ds_load_2addr_b64 v[98:101], v51 offset0:33 offset1:34
	ds_load_2addr_b64 v[102:105], v51 offset0:35 offset1:36
	ds_load_2addr_b64 v[106:109], v51 offset0:37 offset1:38
	ds_load_2addr_b64 v[110:113], v51 offset0:39 offset1:40
	ds_load_2addr_b64 v[114:117], v51 offset0:41 offset1:42
	ds_load_2addr_b64 v[118:121], v51 offset0:43 offset1:44
	ds_load_2addr_b64 v[122:125], v51 offset0:45 offset1:46
	ds_load_2addr_b64 v[126:129], v51 offset0:47 offset1:48
	ds_load_2addr_b64 v[130:133], v51 offset0:49 offset1:50
	s_mov_b32 s0, exec_lo
	s_wait_loadcnt_dscnt 0xa09
	v_dual_mul_f32 v51, v94, v55 :: v_dual_mul_f32 v52, v96, v57
	v_mul_f32_e32 v55, v95, v55
	s_wait_loadcnt_dscnt 0x908
	v_dual_mul_f32 v57, v97, v57 :: v_dual_mul_f32 v136, v98, v59
	s_delay_alu instid0(VALU_DEP_3) | instskip(NEXT) | instid1(VALU_DEP_3)
	v_dual_mul_f32 v137, v100, v61 :: v_dual_fmac_f32 v52, v97, v56
	v_fma_f32 v55, v94, v54, -v55
	v_fmac_f32_e32 v51, v95, v54
	v_mul_f32_e32 v54, v99, v59
	v_fma_f32 v56, v96, v56, -v57
	v_mul_f32_e32 v57, v101, v61
	v_dual_add_f32 v55, 0, v55 :: v_dual_fmac_f32 v136, v99, v58
	s_delay_alu instid0(VALU_DEP_4) | instskip(SKIP_2) | instid1(VALU_DEP_3)
	v_fma_f32 v54, v98, v58, -v54
	s_wait_loadcnt_dscnt 0x807
	v_dual_mul_f32 v138, v102, v63 :: v_dual_mul_f32 v139, v104, v65
	v_add_f32_e32 v55, v55, v56
	v_fmac_f32_e32 v137, v101, v60
	v_fma_f32 v56, v100, v60, -v57
	s_wait_loadcnt_dscnt 0x706
	v_dual_mul_f32 v140, v106, v67 :: v_dual_mul_f32 v141, v108, v69
	v_dual_add_f32 v54, v55, v54 :: v_dual_mul_f32 v55, v105, v65
	v_fmac_f32_e32 v138, v103, v62
	s_wait_loadcnt_dscnt 0x605
	v_dual_mul_f32 v142, v110, v71 :: v_dual_mul_f32 v143, v112, v73
	s_delay_alu instid0(VALU_DEP_3) | instskip(SKIP_3) | instid1(VALU_DEP_4)
	v_dual_add_f32 v54, v54, v56 :: v_dual_add_f32 v51, 0, v51
	v_mul_f32_e32 v56, v107, v67
	v_fma_f32 v55, v104, v64, -v55
	v_dual_fmac_f32 v139, v105, v64 :: v_dual_fmac_f32 v140, v107, v66
	v_add_f32_e32 v51, v51, v52
	v_mul_f32_e32 v52, v103, v63
	v_fma_f32 v56, v106, v66, -v56
	v_dual_fmac_f32 v141, v109, v68 :: v_dual_fmac_f32 v142, v111, v70
	s_wait_loadcnt_dscnt 0x504
	v_dual_mul_f32 v144, v114, v75 :: v_dual_mul_f32 v145, v116, v77
	v_fma_f32 v52, v102, v62, -v52
	s_wait_loadcnt_dscnt 0x403
	v_dual_mul_f32 v146, v118, v79 :: v_dual_mul_f32 v147, v120, v81
	s_wait_loadcnt_dscnt 0x302
	v_dual_mul_f32 v148, v122, v83 :: v_dual_mul_f32 v149, v124, v85
	v_add_f32_e32 v52, v54, v52
	v_mul_f32_e32 v54, v109, v69
	v_dual_fmac_f32 v146, v119, v78 :: v_dual_fmac_f32 v147, v121, v80
	s_delay_alu instid0(VALU_DEP_4) | instskip(NEXT) | instid1(VALU_DEP_4)
	v_dual_fmac_f32 v148, v123, v82 :: v_dual_fmac_f32 v149, v125, v84
	v_dual_add_f32 v52, v52, v55 :: v_dual_add_f32 v51, v51, v136
	v_mul_f32_e32 v55, v111, v71
	v_fma_f32 v54, v108, v68, -v54
	v_fmac_f32_e32 v143, v113, v72
	s_delay_alu instid0(VALU_DEP_4)
	v_add_f32_e32 v52, v52, v56
	v_mul_f32_e32 v56, v113, v73
	v_add_f32_e32 v51, v51, v137
	v_fma_f32 v55, v110, v70, -v55
	v_fmac_f32_e32 v144, v115, v74
	v_add_f32_e32 v52, v52, v54
	v_mul_f32_e32 v54, v115, v75
	v_add_f32_e32 v51, v51, v138
	v_fma_f32 v56, v112, v72, -v56
	s_delay_alu instid0(VALU_DEP_4) | instskip(SKIP_1) | instid1(VALU_DEP_4)
	v_dual_fmac_f32 v145, v117, v76 :: v_dual_add_f32 v52, v52, v55
	v_mul_f32_e32 v55, v117, v77
	v_add_f32_e32 v51, v51, v139
	v_fma_f32 v54, v114, v74, -v54
	s_wait_loadcnt_dscnt 0x201
	v_dual_mul_f32 v150, v126, v87 :: v_dual_mul_f32 v151, v128, v89
	v_add_f32_e32 v52, v52, v56
	v_add_f32_e32 v51, v51, v140
	v_fma_f32 v55, v116, v76, -v55
	v_mul_f32_e32 v56, v119, v79
	s_wait_loadcnt_dscnt 0x100
	v_dual_mul_f32 v152, v130, v91 :: v_dual_mul_f32 v153, v132, v93
	v_dual_add_f32 v52, v52, v54 :: v_dual_add_f32 v51, v51, v141
	v_mul_f32_e32 v54, v121, v81
	v_fma_f32 v56, v118, v78, -v56
	v_dual_fmac_f32 v150, v127, v86 :: v_dual_fmac_f32 v151, v129, v88
	s_delay_alu instid0(VALU_DEP_4) | instskip(SKIP_3) | instid1(VALU_DEP_4)
	v_dual_add_f32 v52, v52, v55 :: v_dual_add_f32 v51, v51, v142
	v_mul_f32_e32 v55, v123, v83
	v_fma_f32 v54, v120, v80, -v54
	v_fmac_f32_e32 v153, v133, v92
	v_dual_add_f32 v52, v52, v56 :: v_dual_add_f32 v51, v51, v143
	v_mul_f32_e32 v56, v125, v85
	v_fma_f32 v55, v122, v82, -v55
	s_delay_alu instid0(VALU_DEP_3) | instskip(SKIP_1) | instid1(VALU_DEP_4)
	v_dual_add_f32 v52, v52, v54 :: v_dual_add_f32 v51, v51, v144
	v_mul_f32_e32 v54, v127, v87
	v_fma_f32 v56, v124, v84, -v56
	s_delay_alu instid0(VALU_DEP_3) | instskip(SKIP_1) | instid1(VALU_DEP_4)
	;; [unrolled: 4-line block ×4, first 2 shown]
	v_dual_add_f32 v52, v52, v54 :: v_dual_add_f32 v51, v51, v147
	v_mul_f32_e32 v54, v133, v93
	v_fma_f32 v56, v130, v90, -v56
	s_delay_alu instid0(VALU_DEP_3) | instskip(NEXT) | instid1(VALU_DEP_3)
	v_dual_add_f32 v52, v52, v55 :: v_dual_add_f32 v51, v51, v148
	v_fma_f32 v54, v132, v92, -v54
	s_delay_alu instid0(VALU_DEP_2) | instskip(NEXT) | instid1(VALU_DEP_1)
	v_dual_add_f32 v52, v52, v56 :: v_dual_add_f32 v51, v51, v149
	v_add_f32_e32 v52, v52, v54
	s_delay_alu instid0(VALU_DEP_2) | instskip(SKIP_1) | instid1(VALU_DEP_2)
	v_add_f32_e32 v51, v51, v150
	v_fmac_f32_e32 v152, v131, v90
	v_add_f32_e32 v51, v51, v151
	s_delay_alu instid0(VALU_DEP_1) | instskip(SKIP_1) | instid1(VALU_DEP_1)
	v_add_f32_e32 v51, v51, v152
	s_wait_loadcnt 0x0
	v_dual_add_f32 v54, v51, v153 :: v_dual_sub_f32 v51, v134, v52
	s_delay_alu instid0(VALU_DEP_1)
	v_sub_f32_e32 v52, v135, v54
	scratch_store_b64 off, v[51:52], off offset:32
	v_cmpx_lt_u32_e32 3, v0
	s_cbranch_execz .LBB88_157
; %bb.156:
	scratch_load_b64 v[51:52], off, off offset:24
	v_mov_b32_e32 v54, 0
	s_delay_alu instid0(VALU_DEP_1)
	v_mov_b32_e32 v55, v54
	scratch_store_b64 off, v[54:55], off offset:24
	s_wait_loadcnt 0x0
	ds_store_b64 v53, v[51:52]
.LBB88_157:
	s_wait_alu 0xfffe
	s_or_b32 exec_lo, exec_lo, s0
	s_wait_storecnt_dscnt 0x0
	s_barrier_signal -1
	s_barrier_wait -1
	global_inv scope:SCOPE_SE
	s_clause 0xb
	scratch_load_b128 v[54:57], off, off offset:32
	scratch_load_b128 v[58:61], off, off offset:48
	;; [unrolled: 1-line block ×10, first 2 shown]
	scratch_load_b64 v[134:135], off, off offset:192
	scratch_load_b64 v[136:137], off, off offset:24
	v_mov_b32_e32 v51, 0
	ds_load_b128 v[94:97], v51 offset:240
	ds_load_b128 v[98:101], v51 offset:256
	;; [unrolled: 1-line block ×10, first 2 shown]
	ds_load_b64 v[138:139], v51 offset:400
	s_mov_b32 s0, exec_lo
	s_wait_loadcnt_dscnt 0xb0a
	v_mul_f32_e32 v52, v94, v55
	s_wait_loadcnt_dscnt 0xa09
	v_dual_mul_f32 v140, v96, v57 :: v_dual_mul_f32 v141, v98, v59
	v_mul_f32_e32 v57, v97, v57
	v_dual_mul_f32 v55, v95, v55 :: v_dual_mul_f32 v142, v100, v61
	s_wait_loadcnt_dscnt 0x908
	v_dual_mul_f32 v143, v102, v63 :: v_dual_fmac_f32 v52, v95, v54
	s_wait_loadcnt_dscnt 0x302
	v_mul_f32_e32 v156, v128, v89
	v_fma_f32 v55, v94, v54, -v55
	s_wait_loadcnt_dscnt 0x100
	v_mul_f32_e32 v159, v138, v135
	v_mul_f32_e32 v54, v99, v59
	v_fmac_f32_e32 v140, v97, v56
	v_fma_f32 v56, v96, v56, -v57
	v_dual_add_f32 v55, 0, v55 :: v_dual_add_f32 v52, 0, v52
	v_mul_f32_e32 v57, v101, v61
	v_fmac_f32_e32 v141, v99, v58
	v_fma_f32 v54, v98, v58, -v54
	v_dual_mul_f32 v146, v108, v69 :: v_dual_mul_f32 v147, v110, v71
	v_add_f32_e32 v52, v52, v140
	v_add_f32_e32 v55, v55, v56
	v_mul_f32_e32 v56, v103, v63
	v_fma_f32 v57, v100, v60, -v57
	v_dual_mul_f32 v148, v112, v73 :: v_dual_mul_f32 v149, v114, v75
	v_add_f32_e32 v52, v52, v141
	v_dual_add_f32 v54, v55, v54 :: v_dual_mul_f32 v55, v105, v65
	v_fma_f32 v56, v102, v62, -v56
	v_dual_mul_f32 v150, v116, v77 :: v_dual_mul_f32 v151, v118, v79
	s_delay_alu instid0(VALU_DEP_3) | instskip(NEXT) | instid1(VALU_DEP_4)
	v_dual_add_f32 v54, v54, v57 :: v_dual_mul_f32 v57, v107, v67
	v_fma_f32 v55, v104, v64, -v55
	v_dual_fmac_f32 v142, v101, v60 :: v_dual_fmac_f32 v143, v103, v62
	s_delay_alu instid0(VALU_DEP_3) | instskip(SKIP_2) | instid1(VALU_DEP_3)
	v_dual_add_f32 v54, v54, v56 :: v_dual_fmac_f32 v147, v111, v70
	v_dual_mul_f32 v56, v109, v69 :: v_dual_fmac_f32 v149, v115, v74
	v_fma_f32 v57, v106, v66, -v57
	v_dual_add_f32 v54, v54, v55 :: v_dual_fmac_f32 v151, v119, v78
	v_dual_mul_f32 v152, v120, v81 :: v_dual_mul_f32 v153, v122, v83
	v_dual_add_f32 v52, v52, v142 :: v_dual_mul_f32 v55, v111, v71
	v_fma_f32 v56, v108, v68, -v56
	s_delay_alu instid0(VALU_DEP_3) | instskip(SKIP_1) | instid1(VALU_DEP_4)
	v_dual_add_f32 v54, v54, v57 :: v_dual_fmac_f32 v153, v123, v82
	v_mul_f32_e32 v57, v113, v73
	v_fma_f32 v55, v110, v70, -v55
	v_dual_mul_f32 v144, v104, v65 :: v_dual_mul_f32 v145, v106, v67
	s_delay_alu instid0(VALU_DEP_4) | instskip(SKIP_3) | instid1(VALU_DEP_3)
	v_add_f32_e32 v54, v54, v56
	v_dual_mul_f32 v157, v130, v91 :: v_dual_mul_f32 v158, v132, v93
	v_mul_f32_e32 v56, v115, v75
	v_fma_f32 v57, v112, v72, -v57
	v_dual_add_f32 v54, v54, v55 :: v_dual_fmac_f32 v157, v131, v90
	v_dual_fmac_f32 v144, v105, v64 :: v_dual_fmac_f32 v145, v107, v66
	v_dual_add_f32 v52, v52, v143 :: v_dual_mul_f32 v55, v117, v77
	v_fma_f32 v56, v114, v74, -v56
	s_delay_alu instid0(VALU_DEP_4) | instskip(NEXT) | instid1(VALU_DEP_3)
	v_dual_add_f32 v54, v54, v57 :: v_dual_mul_f32 v57, v119, v79
	v_add_f32_e32 v52, v52, v144
	s_delay_alu instid0(VALU_DEP_4) | instskip(SKIP_1) | instid1(VALU_DEP_4)
	v_fma_f32 v55, v116, v76, -v55
	v_dual_mul_f32 v154, v124, v85 :: v_dual_mul_f32 v155, v126, v87
	v_add_f32_e32 v54, v54, v56
	v_mul_f32_e32 v56, v121, v81
	v_fma_f32 v57, v118, v78, -v57
	v_fmac_f32_e32 v146, v109, v68
	v_dual_add_f32 v52, v52, v145 :: v_dual_fmac_f32 v155, v127, v86
	v_add_f32_e32 v54, v54, v55
	v_mul_f32_e32 v55, v123, v83
	v_fma_f32 v56, v120, v80, -v56
	s_delay_alu instid0(VALU_DEP_4)
	v_add_f32_e32 v52, v52, v146
	v_fmac_f32_e32 v148, v113, v72
	v_add_f32_e32 v54, v54, v57
	v_mul_f32_e32 v57, v125, v85
	v_fma_f32 v55, v122, v82, -v55
	v_dual_fmac_f32 v159, v139, v134 :: v_dual_fmac_f32 v150, v117, v76
	s_delay_alu instid0(VALU_DEP_4) | instskip(NEXT) | instid1(VALU_DEP_4)
	v_add_f32_e32 v54, v54, v56
	v_fma_f32 v57, v124, v84, -v57
	v_fmac_f32_e32 v152, v121, v80
	v_mul_f32_e32 v56, v127, v87
	v_fmac_f32_e32 v154, v125, v84
	v_dual_add_f32 v54, v54, v55 :: v_dual_mul_f32 v55, v129, v89
	v_add_f32_e32 v52, v52, v147
	s_delay_alu instid0(VALU_DEP_4) | instskip(SKIP_1) | instid1(VALU_DEP_4)
	v_fma_f32 v56, v126, v86, -v56
	v_fmac_f32_e32 v156, v129, v88
	v_dual_add_f32 v54, v54, v57 :: v_dual_mul_f32 v57, v131, v91
	s_delay_alu instid0(VALU_DEP_4) | instskip(SKIP_2) | instid1(VALU_DEP_4)
	v_add_f32_e32 v52, v52, v148
	v_fma_f32 v55, v128, v88, -v55
	v_fmac_f32_e32 v158, v133, v92
	v_add_f32_e32 v54, v54, v56
	v_mul_f32_e32 v56, v133, v93
	v_add_f32_e32 v52, v52, v149
	v_fma_f32 v57, v130, v90, -v57
	s_delay_alu instid0(VALU_DEP_4) | instskip(NEXT) | instid1(VALU_DEP_3)
	v_add_f32_e32 v54, v54, v55
	v_dual_mul_f32 v55, v139, v135 :: v_dual_add_f32 v52, v52, v150
	v_fma_f32 v56, v132, v92, -v56
	s_delay_alu instid0(VALU_DEP_3) | instskip(NEXT) | instid1(VALU_DEP_3)
	v_add_f32_e32 v54, v54, v57
	v_fma_f32 v55, v138, v134, -v55
	s_delay_alu instid0(VALU_DEP_4) | instskip(NEXT) | instid1(VALU_DEP_3)
	v_add_f32_e32 v52, v52, v151
	v_add_f32_e32 v54, v54, v56
	s_delay_alu instid0(VALU_DEP_2) | instskip(NEXT) | instid1(VALU_DEP_2)
	v_add_f32_e32 v52, v52, v152
	v_add_f32_e32 v54, v54, v55
	s_delay_alu instid0(VALU_DEP_2) | instskip(SKIP_1) | instid1(VALU_DEP_2)
	v_add_f32_e32 v52, v52, v153
	s_wait_loadcnt 0x0
	v_sub_f32_e32 v54, v136, v54
	s_delay_alu instid0(VALU_DEP_2) | instskip(NEXT) | instid1(VALU_DEP_1)
	v_add_f32_e32 v52, v52, v154
	v_add_f32_e32 v52, v52, v155
	s_delay_alu instid0(VALU_DEP_1) | instskip(NEXT) | instid1(VALU_DEP_1)
	v_add_f32_e32 v52, v52, v156
	v_add_f32_e32 v52, v52, v157
	s_delay_alu instid0(VALU_DEP_1) | instskip(NEXT) | instid1(VALU_DEP_1)
	v_add_f32_e32 v52, v52, v158
	v_add_f32_e32 v52, v52, v159
	s_delay_alu instid0(VALU_DEP_1)
	v_sub_f32_e32 v55, v137, v52
	scratch_store_b64 off, v[54:55], off offset:24
	v_cmpx_lt_u32_e32 2, v0
	s_cbranch_execz .LBB88_159
; %bb.158:
	scratch_load_b64 v[54:55], off, off offset:16
	v_mov_b32_e32 v52, v51
	scratch_store_b64 off, v[51:52], off offset:16
	s_wait_loadcnt 0x0
	ds_store_b64 v53, v[54:55]
.LBB88_159:
	s_wait_alu 0xfffe
	s_or_b32 exec_lo, exec_lo, s0
	s_wait_storecnt_dscnt 0x0
	s_barrier_signal -1
	s_barrier_wait -1
	global_inv scope:SCOPE_SE
	s_clause 0xb
	scratch_load_b128 v[54:57], off, off offset:24
	scratch_load_b128 v[58:61], off, off offset:40
	scratch_load_b128 v[62:65], off, off offset:56
	scratch_load_b128 v[66:69], off, off offset:72
	scratch_load_b128 v[70:73], off, off offset:88
	scratch_load_b128 v[74:77], off, off offset:104
	scratch_load_b128 v[78:81], off, off offset:120
	scratch_load_b128 v[82:85], off, off offset:136
	scratch_load_b128 v[86:89], off, off offset:152
	scratch_load_b128 v[90:93], off, off offset:168
	scratch_load_b128 v[94:97], off, off offset:184
	scratch_load_b64 v[142:143], off, off offset:16
	ds_load_2addr_b64 v[98:101], v51 offset0:29 offset1:30
	ds_load_2addr_b64 v[102:105], v51 offset0:31 offset1:32
	;; [unrolled: 1-line block ×11, first 2 shown]
	s_mov_b32 s0, exec_lo
	s_wait_loadcnt_dscnt 0xb0a
	v_dual_mul_f32 v51, v98, v55 :: v_dual_mul_f32 v52, v100, v57
	v_mul_f32_e32 v55, v99, v55
	s_wait_loadcnt_dscnt 0xa09
	v_dual_mul_f32 v57, v101, v57 :: v_dual_mul_f32 v144, v102, v59
	s_delay_alu instid0(VALU_DEP_3) | instskip(NEXT) | instid1(VALU_DEP_3)
	v_dual_mul_f32 v145, v104, v61 :: v_dual_fmac_f32 v52, v101, v56
	v_fma_f32 v55, v98, v54, -v55
	v_fmac_f32_e32 v51, v99, v54
	v_mul_f32_e32 v54, v103, v59
	v_fma_f32 v56, v100, v56, -v57
	v_mul_f32_e32 v57, v105, v61
	v_dual_add_f32 v55, 0, v55 :: v_dual_fmac_f32 v144, v103, v58
	s_delay_alu instid0(VALU_DEP_4) | instskip(SKIP_2) | instid1(VALU_DEP_3)
	v_fma_f32 v54, v102, v58, -v54
	s_wait_loadcnt_dscnt 0x908
	v_dual_mul_f32 v146, v106, v63 :: v_dual_mul_f32 v147, v108, v65
	v_add_f32_e32 v55, v55, v56
	v_fmac_f32_e32 v145, v105, v60
	v_fma_f32 v56, v104, v60, -v57
	s_wait_loadcnt_dscnt 0x807
	v_dual_mul_f32 v148, v110, v67 :: v_dual_mul_f32 v149, v112, v69
	v_dual_add_f32 v54, v55, v54 :: v_dual_mul_f32 v55, v109, v65
	v_fmac_f32_e32 v146, v107, v62
	s_wait_loadcnt_dscnt 0x706
	v_dual_mul_f32 v150, v114, v71 :: v_dual_mul_f32 v151, v116, v73
	s_delay_alu instid0(VALU_DEP_3) | instskip(SKIP_3) | instid1(VALU_DEP_4)
	v_dual_add_f32 v54, v54, v56 :: v_dual_add_f32 v51, 0, v51
	v_mul_f32_e32 v56, v111, v67
	v_fma_f32 v55, v108, v64, -v55
	v_dual_fmac_f32 v147, v109, v64 :: v_dual_fmac_f32 v148, v111, v66
	v_add_f32_e32 v51, v51, v52
	v_mul_f32_e32 v52, v107, v63
	v_fma_f32 v56, v110, v66, -v56
	v_dual_fmac_f32 v149, v113, v68 :: v_dual_fmac_f32 v150, v115, v70
	s_wait_loadcnt_dscnt 0x605
	v_dual_mul_f32 v152, v118, v75 :: v_dual_mul_f32 v153, v120, v77
	v_fma_f32 v52, v106, v62, -v52
	s_wait_loadcnt_dscnt 0x504
	v_dual_mul_f32 v154, v122, v79 :: v_dual_mul_f32 v155, v124, v81
	s_wait_loadcnt_dscnt 0x403
	v_dual_mul_f32 v156, v126, v83 :: v_dual_mul_f32 v157, v128, v85
	v_add_f32_e32 v52, v54, v52
	v_mul_f32_e32 v54, v113, v69
	v_dual_fmac_f32 v154, v123, v78 :: v_dual_fmac_f32 v155, v125, v80
	s_delay_alu instid0(VALU_DEP_4) | instskip(NEXT) | instid1(VALU_DEP_4)
	v_dual_fmac_f32 v156, v127, v82 :: v_dual_fmac_f32 v157, v129, v84
	v_dual_add_f32 v52, v52, v55 :: v_dual_add_f32 v51, v51, v144
	v_mul_f32_e32 v55, v115, v71
	v_fma_f32 v54, v112, v68, -v54
	v_fmac_f32_e32 v151, v117, v72
	s_delay_alu instid0(VALU_DEP_4)
	v_add_f32_e32 v52, v52, v56
	v_mul_f32_e32 v56, v117, v73
	v_add_f32_e32 v51, v51, v145
	v_fma_f32 v55, v114, v70, -v55
	v_fmac_f32_e32 v152, v119, v74
	v_add_f32_e32 v52, v52, v54
	v_mul_f32_e32 v54, v119, v75
	v_add_f32_e32 v51, v51, v146
	v_fma_f32 v56, v116, v72, -v56
	s_delay_alu instid0(VALU_DEP_4) | instskip(SKIP_1) | instid1(VALU_DEP_4)
	v_dual_fmac_f32 v153, v121, v76 :: v_dual_add_f32 v52, v52, v55
	v_mul_f32_e32 v55, v121, v77
	v_add_f32_e32 v51, v51, v147
	v_fma_f32 v54, v118, v74, -v54
	s_wait_loadcnt_dscnt 0x302
	v_dual_mul_f32 v158, v130, v87 :: v_dual_mul_f32 v159, v132, v89
	v_add_f32_e32 v52, v52, v56
	v_add_f32_e32 v51, v51, v148
	v_fma_f32 v55, v120, v76, -v55
	v_mul_f32_e32 v56, v123, v79
	s_wait_loadcnt_dscnt 0x201
	v_dual_mul_f32 v160, v134, v91 :: v_dual_mul_f32 v161, v136, v93
	v_dual_add_f32 v52, v52, v54 :: v_dual_add_f32 v51, v51, v149
	v_mul_f32_e32 v54, v125, v81
	v_fma_f32 v56, v122, v78, -v56
	v_dual_fmac_f32 v158, v131, v86 :: v_dual_fmac_f32 v159, v133, v88
	s_delay_alu instid0(VALU_DEP_4)
	v_dual_add_f32 v52, v52, v55 :: v_dual_add_f32 v51, v51, v150
	v_mul_f32_e32 v55, v127, v83
	v_fma_f32 v54, v124, v80, -v54
	s_wait_loadcnt_dscnt 0x100
	v_dual_mul_f32 v162, v138, v95 :: v_dual_mul_f32 v163, v140, v97
	v_dual_add_f32 v51, v51, v151 :: v_dual_add_f32 v52, v52, v56
	v_mul_f32_e32 v56, v129, v85
	v_fma_f32 v55, v126, v82, -v55
	s_delay_alu instid0(VALU_DEP_4) | instskip(NEXT) | instid1(VALU_DEP_4)
	v_dual_fmac_f32 v160, v135, v90 :: v_dual_fmac_f32 v163, v141, v96
	v_dual_add_f32 v51, v51, v152 :: v_dual_add_f32 v52, v52, v54
	v_mul_f32_e32 v54, v131, v87
	v_fma_f32 v56, v128, v84, -v56
	v_fmac_f32_e32 v161, v137, v92
	s_delay_alu instid0(VALU_DEP_4) | instskip(SKIP_2) | instid1(VALU_DEP_3)
	v_dual_add_f32 v51, v51, v153 :: v_dual_add_f32 v52, v52, v55
	v_mul_f32_e32 v55, v133, v89
	v_fma_f32 v54, v130, v86, -v54
	v_dual_add_f32 v51, v51, v154 :: v_dual_add_f32 v52, v52, v56
	v_mul_f32_e32 v56, v135, v91
	s_delay_alu instid0(VALU_DEP_4) | instskip(NEXT) | instid1(VALU_DEP_3)
	v_fma_f32 v55, v132, v88, -v55
	v_dual_add_f32 v51, v51, v155 :: v_dual_add_f32 v52, v52, v54
	v_mul_f32_e32 v54, v137, v93
	s_delay_alu instid0(VALU_DEP_4) | instskip(NEXT) | instid1(VALU_DEP_3)
	;; [unrolled: 4-line block ×4, first 2 shown]
	v_fma_f32 v55, v138, v94, -v55
	v_add_f32_e32 v51, v51, v158
	s_delay_alu instid0(VALU_DEP_4) | instskip(NEXT) | instid1(VALU_DEP_4)
	v_add_f32_e32 v52, v52, v54
	v_fma_f32 v54, v140, v96, -v56
	s_delay_alu instid0(VALU_DEP_3) | instskip(NEXT) | instid1(VALU_DEP_1)
	v_add_f32_e32 v51, v51, v159
	v_dual_add_f32 v52, v52, v55 :: v_dual_add_f32 v51, v51, v160
	s_delay_alu instid0(VALU_DEP_1) | instskip(SKIP_1) | instid1(VALU_DEP_3)
	v_add_f32_e32 v52, v52, v54
	v_fmac_f32_e32 v162, v139, v94
	v_add_f32_e32 v51, v51, v161
	s_delay_alu instid0(VALU_DEP_1) | instskip(SKIP_1) | instid1(VALU_DEP_1)
	v_add_f32_e32 v51, v51, v162
	s_wait_loadcnt 0x0
	v_dual_add_f32 v54, v51, v163 :: v_dual_sub_f32 v51, v142, v52
	s_delay_alu instid0(VALU_DEP_1)
	v_sub_f32_e32 v52, v143, v54
	scratch_store_b64 off, v[51:52], off offset:16
	v_cmpx_lt_u32_e32 1, v0
	s_cbranch_execz .LBB88_161
; %bb.160:
	scratch_load_b64 v[51:52], off, off offset:8
	v_mov_b32_e32 v54, 0
	s_delay_alu instid0(VALU_DEP_1)
	v_mov_b32_e32 v55, v54
	scratch_store_b64 off, v[54:55], off offset:8
	s_wait_loadcnt 0x0
	ds_store_b64 v53, v[51:52]
.LBB88_161:
	s_wait_alu 0xfffe
	s_or_b32 exec_lo, exec_lo, s0
	s_wait_storecnt_dscnt 0x0
	s_barrier_signal -1
	s_barrier_wait -1
	global_inv scope:SCOPE_SE
	s_clause 0xc
	scratch_load_b128 v[54:57], off, off offset:16
	scratch_load_b128 v[58:61], off, off offset:32
	;; [unrolled: 1-line block ×11, first 2 shown]
	scratch_load_b64 v[142:143], off, off offset:192
	scratch_load_b64 v[144:145], off, off offset:8
	v_mov_b32_e32 v51, 0
	ds_load_b128 v[98:101], v51 offset:224
	ds_load_b128 v[102:105], v51 offset:240
	ds_load_b128 v[106:109], v51 offset:256
	ds_load_b128 v[110:113], v51 offset:272
	ds_load_b128 v[114:117], v51 offset:288
	ds_load_b128 v[118:121], v51 offset:304
	ds_load_b128 v[122:125], v51 offset:320
	ds_load_b128 v[126:129], v51 offset:336
	ds_load_b128 v[130:133], v51 offset:352
	ds_load_b128 v[134:137], v51 offset:368
	ds_load_b128 v[138:141], v51 offset:384
	ds_load_b64 v[146:147], v51 offset:400
	s_mov_b32 s0, exec_lo
	s_wait_loadcnt_dscnt 0xc0b
	v_mul_f32_e32 v52, v98, v55
	s_wait_loadcnt_dscnt 0xb0a
	v_dual_mul_f32 v148, v100, v57 :: v_dual_mul_f32 v149, v102, v59
	v_mul_f32_e32 v57, v101, v57
	s_wait_loadcnt_dscnt 0xa09
	v_dual_mul_f32 v150, v104, v61 :: v_dual_mul_f32 v151, v106, v63
	v_mul_f32_e32 v55, v99, v55
	v_fmac_f32_e32 v52, v99, v54
	s_wait_loadcnt_dscnt 0x807
	v_dual_mul_f32 v154, v112, v69 :: v_dual_mul_f32 v155, v114, v71
	s_wait_loadcnt_dscnt 0x100
	v_dual_mul_f32 v166, v136, v93 :: v_dual_mul_f32 v169, v146, v143
	v_fma_f32 v55, v98, v54, -v55
	v_mul_f32_e32 v54, v103, v59
	v_fmac_f32_e32 v148, v101, v56
	v_fma_f32 v56, v100, v56, -v57
	v_dual_add_f32 v52, 0, v52 :: v_dual_mul_f32 v57, v105, v61
	v_add_f32_e32 v55, 0, v55
	v_fmac_f32_e32 v149, v103, v58
	v_fma_f32 v54, v102, v58, -v54
	s_delay_alu instid0(VALU_DEP_4)
	v_add_f32_e32 v52, v52, v148
	v_fma_f32 v57, v104, v60, -v57
	v_add_f32_e32 v55, v55, v56
	v_mul_f32_e32 v56, v107, v63
	v_dual_mul_f32 v156, v116, v73 :: v_dual_mul_f32 v157, v118, v75
	v_add_f32_e32 v52, v52, v149
	s_delay_alu instid0(VALU_DEP_4) | instskip(NEXT) | instid1(VALU_DEP_4)
	v_dual_add_f32 v54, v55, v54 :: v_dual_mul_f32 v55, v109, v65
	v_fma_f32 v56, v106, v62, -v56
	v_dual_mul_f32 v158, v120, v77 :: v_dual_mul_f32 v159, v122, v79
	s_delay_alu instid0(VALU_DEP_3) | instskip(NEXT) | instid1(VALU_DEP_4)
	v_dual_add_f32 v54, v54, v57 :: v_dual_mul_f32 v57, v111, v67
	v_fma_f32 v55, v108, v64, -v55
	v_dual_fmac_f32 v150, v105, v60 :: v_dual_fmac_f32 v151, v107, v62
	s_delay_alu instid0(VALU_DEP_3) | instskip(SKIP_2) | instid1(VALU_DEP_3)
	v_dual_add_f32 v54, v54, v56 :: v_dual_fmac_f32 v155, v115, v70
	v_dual_mul_f32 v56, v113, v69 :: v_dual_fmac_f32 v157, v119, v74
	v_fma_f32 v57, v110, v66, -v57
	v_dual_add_f32 v54, v54, v55 :: v_dual_fmac_f32 v159, v123, v78
	v_dual_mul_f32 v160, v124, v81 :: v_dual_mul_f32 v161, v126, v83
	v_dual_add_f32 v52, v52, v150 :: v_dual_mul_f32 v55, v115, v71
	v_fma_f32 v56, v112, v68, -v56
	s_delay_alu instid0(VALU_DEP_3) | instskip(SKIP_1) | instid1(VALU_DEP_4)
	v_dual_add_f32 v54, v54, v57 :: v_dual_fmac_f32 v161, v127, v82
	v_mul_f32_e32 v57, v117, v73
	v_fma_f32 v55, v114, v70, -v55
	v_dual_mul_f32 v152, v108, v65 :: v_dual_mul_f32 v153, v110, v67
	s_delay_alu instid0(VALU_DEP_4) | instskip(SKIP_3) | instid1(VALU_DEP_4)
	v_add_f32_e32 v54, v54, v56
	v_dual_mul_f32 v164, v132, v89 :: v_dual_mul_f32 v165, v134, v91
	v_mul_f32_e32 v56, v119, v75
	v_fma_f32 v57, v116, v72, -v57
	v_add_f32_e32 v54, v54, v55
	v_dual_fmac_f32 v152, v109, v64 :: v_dual_fmac_f32 v153, v111, v66
	v_dual_add_f32 v52, v52, v151 :: v_dual_mul_f32 v55, v121, v77
	v_fma_f32 v56, v118, v74, -v56
	s_delay_alu instid0(VALU_DEP_4) | instskip(NEXT) | instid1(VALU_DEP_3)
	v_dual_fmac_f32 v165, v135, v90 :: v_dual_add_f32 v54, v54, v57
	v_dual_add_f32 v52, v52, v152 :: v_dual_mul_f32 v57, v123, v79
	s_delay_alu instid0(VALU_DEP_4) | instskip(SKIP_1) | instid1(VALU_DEP_4)
	v_fma_f32 v55, v120, v76, -v55
	v_dual_mul_f32 v162, v128, v85 :: v_dual_mul_f32 v163, v130, v87
	v_add_f32_e32 v54, v54, v56
	v_mul_f32_e32 v56, v125, v81
	v_fma_f32 v57, v122, v78, -v57
	v_fmac_f32_e32 v154, v113, v68
	v_dual_add_f32 v52, v52, v153 :: v_dual_fmac_f32 v163, v131, v86
	v_add_f32_e32 v54, v54, v55
	v_mul_f32_e32 v55, v127, v83
	v_fma_f32 v56, v124, v80, -v56
	s_delay_alu instid0(VALU_DEP_4)
	v_dual_add_f32 v52, v52, v154 :: v_dual_mul_f32 v167, v138, v95
	v_mul_f32_e32 v168, v140, v97
	v_add_f32_e32 v54, v54, v57
	v_mul_f32_e32 v57, v129, v85
	v_fma_f32 v55, v126, v82, -v55
	v_dual_fmac_f32 v156, v117, v72 :: v_dual_fmac_f32 v167, v139, v94
	s_delay_alu instid0(VALU_DEP_4) | instskip(NEXT) | instid1(VALU_DEP_4)
	v_add_f32_e32 v54, v54, v56
	v_fma_f32 v57, v128, v84, -v57
	v_dual_fmac_f32 v158, v121, v76 :: v_dual_fmac_f32 v169, v147, v142
	v_fmac_f32_e32 v160, v125, v80
	s_delay_alu instid0(VALU_DEP_4) | instskip(SKIP_3) | instid1(VALU_DEP_4)
	v_dual_add_f32 v54, v54, v55 :: v_dual_mul_f32 v55, v133, v89
	v_add_f32_e32 v52, v52, v155
	v_mul_f32_e32 v56, v131, v87
	v_fmac_f32_e32 v162, v129, v84
	v_dual_add_f32 v54, v54, v57 :: v_dual_mul_f32 v57, v135, v91
	s_delay_alu instid0(VALU_DEP_4) | instskip(NEXT) | instid1(VALU_DEP_4)
	v_add_f32_e32 v52, v52, v156
	v_fma_f32 v56, v130, v86, -v56
	v_fmac_f32_e32 v164, v133, v88
	v_fma_f32 v55, v132, v88, -v55
	v_fma_f32 v57, v134, v90, -v57
	v_add_f32_e32 v52, v52, v157
	v_add_f32_e32 v54, v54, v56
	v_mul_f32_e32 v56, v137, v93
	v_fmac_f32_e32 v166, v137, v92
	v_fmac_f32_e32 v168, v141, v96
	v_add_f32_e32 v52, v52, v158
	v_add_f32_e32 v54, v54, v55
	v_mul_f32_e32 v55, v139, v95
	v_fma_f32 v56, v136, v92, -v56
	s_delay_alu instid0(VALU_DEP_4) | instskip(NEXT) | instid1(VALU_DEP_4)
	v_add_f32_e32 v52, v52, v159
	v_add_f32_e32 v54, v54, v57
	v_mul_f32_e32 v57, v141, v97
	v_fma_f32 v55, v138, v94, -v55
	s_delay_alu instid0(VALU_DEP_4) | instskip(NEXT) | instid1(VALU_DEP_4)
	;; [unrolled: 5-line block ×3, first 2 shown]
	v_add_f32_e32 v52, v52, v161
	v_add_f32_e32 v54, v54, v55
	s_delay_alu instid0(VALU_DEP_4) | instskip(NEXT) | instid1(VALU_DEP_3)
	v_fma_f32 v55, v146, v142, -v56
	v_add_f32_e32 v52, v52, v162
	s_delay_alu instid0(VALU_DEP_3) | instskip(NEXT) | instid1(VALU_DEP_2)
	v_add_f32_e32 v54, v54, v57
	v_add_f32_e32 v52, v52, v163
	s_delay_alu instid0(VALU_DEP_2) | instskip(NEXT) | instid1(VALU_DEP_2)
	v_add_f32_e32 v54, v54, v55
	v_add_f32_e32 v52, v52, v164
	s_wait_loadcnt 0x0
	s_delay_alu instid0(VALU_DEP_2) | instskip(NEXT) | instid1(VALU_DEP_2)
	v_sub_f32_e32 v54, v144, v54
	v_add_f32_e32 v52, v52, v165
	s_delay_alu instid0(VALU_DEP_1) | instskip(NEXT) | instid1(VALU_DEP_1)
	v_add_f32_e32 v52, v52, v166
	v_add_f32_e32 v52, v52, v167
	s_delay_alu instid0(VALU_DEP_1) | instskip(NEXT) | instid1(VALU_DEP_1)
	v_add_f32_e32 v52, v52, v168
	v_add_f32_e32 v52, v52, v169
	s_delay_alu instid0(VALU_DEP_1)
	v_sub_f32_e32 v55, v145, v52
	scratch_store_b64 off, v[54:55], off offset:8
	v_cmpx_ne_u32_e32 0, v0
	s_cbranch_execz .LBB88_163
; %bb.162:
	scratch_load_b64 v[54:55], off, off
	v_mov_b32_e32 v52, v51
	scratch_store_b64 off, v[51:52], off
	s_wait_loadcnt 0x0
	ds_store_b64 v53, v[54:55]
.LBB88_163:
	s_wait_alu 0xfffe
	s_or_b32 exec_lo, exec_lo, s0
	s_wait_storecnt_dscnt 0x0
	s_barrier_signal -1
	s_barrier_wait -1
	global_inv scope:SCOPE_SE
	s_clause 0xc
	scratch_load_b128 v[52:55], off, off offset:8
	scratch_load_b128 v[56:59], off, off offset:24
	;; [unrolled: 1-line block ×12, first 2 shown]
	scratch_load_b64 v[148:149], off, off
	ds_load_2addr_b64 v[100:103], v51 offset0:27 offset1:28
	ds_load_2addr_b64 v[104:107], v51 offset0:29 offset1:30
	ds_load_2addr_b64 v[108:111], v51 offset0:31 offset1:32
	ds_load_2addr_b64 v[112:115], v51 offset0:33 offset1:34
	ds_load_2addr_b64 v[116:119], v51 offset0:35 offset1:36
	ds_load_2addr_b64 v[120:123], v51 offset0:37 offset1:38
	ds_load_2addr_b64 v[124:127], v51 offset0:39 offset1:40
	ds_load_2addr_b64 v[128:131], v51 offset0:41 offset1:42
	ds_load_2addr_b64 v[132:135], v51 offset0:43 offset1:44
	ds_load_2addr_b64 v[136:139], v51 offset0:45 offset1:46
	ds_load_2addr_b64 v[140:143], v51 offset0:47 offset1:48
	ds_load_2addr_b64 v[144:147], v51 offset0:49 offset1:50
	s_and_b32 vcc_lo, exec_lo, s12
	s_wait_loadcnt_dscnt 0xc0b
	v_dual_mul_f32 v0, v100, v53 :: v_dual_mul_f32 v51, v102, v55
	s_wait_loadcnt_dscnt 0xb0a
	v_dual_mul_f32 v55, v103, v55 :: v_dual_mul_f32 v150, v104, v57
	s_delay_alu instid0(VALU_DEP_2) | instskip(SKIP_2) | instid1(VALU_DEP_4)
	v_dual_mul_f32 v151, v106, v59 :: v_dual_fmac_f32 v0, v101, v52
	v_mul_f32_e32 v53, v101, v53
	v_fmac_f32_e32 v51, v103, v54
	v_fma_f32 v54, v102, v54, -v55
	s_wait_loadcnt_dscnt 0xa09
	v_dual_mul_f32 v152, v108, v61 :: v_dual_mul_f32 v153, v110, v63
	v_add_f32_e32 v0, 0, v0
	v_fma_f32 v53, v100, v52, -v53
	v_mul_f32_e32 v52, v105, v57
	v_dual_fmac_f32 v150, v105, v56 :: v_dual_fmac_f32 v151, v107, v58
	s_delay_alu instid0(VALU_DEP_3) | instskip(NEXT) | instid1(VALU_DEP_3)
	v_dual_fmac_f32 v152, v109, v60 :: v_dual_add_f32 v53, 0, v53
	v_fma_f32 v52, v104, v56, -v52
	v_dual_add_f32 v0, v0, v51 :: v_dual_mul_f32 v51, v109, v61
	s_wait_loadcnt_dscnt 0x908
	v_dual_mul_f32 v154, v112, v65 :: v_dual_mul_f32 v155, v114, v67
	v_add_f32_e32 v53, v53, v54
	s_delay_alu instid0(VALU_DEP_3) | instskip(SKIP_1) | instid1(VALU_DEP_3)
	v_dual_mul_f32 v55, v107, v59 :: v_dual_add_f32 v0, v0, v150
	v_fma_f32 v51, v108, v60, -v51
	v_dual_fmac_f32 v153, v111, v62 :: v_dual_add_f32 v52, v53, v52
	s_delay_alu instid0(VALU_DEP_3) | instskip(SKIP_3) | instid1(VALU_DEP_4)
	v_fma_f32 v54, v106, v58, -v55
	v_mul_f32_e32 v53, v111, v63
	v_add_f32_e32 v0, v0, v151
	v_dual_fmac_f32 v154, v113, v64 :: v_dual_fmac_f32 v155, v115, v66
	v_add_f32_e32 v52, v52, v54
	v_mul_f32_e32 v54, v113, v65
	v_fma_f32 v53, v110, v62, -v53
	s_wait_loadcnt_dscnt 0x807
	v_dual_mul_f32 v156, v116, v69 :: v_dual_mul_f32 v157, v118, v71
	v_add_f32_e32 v51, v52, v51
	v_add_f32_e32 v0, v0, v152
	v_mul_f32_e32 v52, v115, v67
	v_fma_f32 v54, v112, v64, -v54
	v_dual_fmac_f32 v156, v117, v68 :: v_dual_fmac_f32 v157, v119, v70
	v_add_f32_e32 v51, v51, v53
	v_add_f32_e32 v0, v0, v153
	v_mul_f32_e32 v53, v117, v69
	v_fma_f32 v52, v114, v66, -v52
	s_wait_loadcnt_dscnt 0x706
	v_dual_mul_f32 v158, v120, v73 :: v_dual_mul_f32 v159, v122, v75
	v_add_f32_e32 v51, v51, v54
	v_add_f32_e32 v0, v0, v154
	v_mul_f32_e32 v54, v119, v71
	v_fma_f32 v53, v116, v68, -v53
	s_wait_loadcnt_dscnt 0x605
	v_dual_mul_f32 v160, v124, v77 :: v_dual_mul_f32 v161, v126, v79
	v_dual_add_f32 v51, v51, v52 :: v_dual_add_f32 v0, v0, v155
	v_mul_f32_e32 v52, v121, v73
	v_fma_f32 v54, v118, v70, -v54
	v_dual_fmac_f32 v158, v121, v72 :: v_dual_fmac_f32 v159, v123, v74
	s_delay_alu instid0(VALU_DEP_4) | instskip(SKIP_3) | instid1(VALU_DEP_4)
	v_dual_add_f32 v51, v51, v53 :: v_dual_add_f32 v0, v0, v156
	v_mul_f32_e32 v53, v123, v75
	v_fma_f32 v52, v120, v72, -v52
	v_fmac_f32_e32 v161, v127, v78
	v_dual_add_f32 v51, v51, v54 :: v_dual_add_f32 v0, v0, v157
	v_mul_f32_e32 v54, v125, v77
	v_fma_f32 v53, v122, v74, -v53
	s_wait_loadcnt_dscnt 0x504
	v_dual_mul_f32 v162, v128, v81 :: v_dual_mul_f32 v163, v130, v83
	v_dual_add_f32 v51, v51, v52 :: v_dual_add_f32 v0, v0, v158
	v_mul_f32_e32 v52, v127, v79
	v_fma_f32 v54, v124, v76, -v54
	s_delay_alu instid0(VALU_DEP_4) | instskip(NEXT) | instid1(VALU_DEP_4)
	v_fmac_f32_e32 v163, v131, v82
	v_dual_add_f32 v51, v51, v53 :: v_dual_fmac_f32 v160, v125, v76
	v_mul_f32_e32 v53, v129, v81
	v_fma_f32 v52, v126, v78, -v52
	s_wait_loadcnt_dscnt 0x403
	v_dual_mul_f32 v164, v132, v85 :: v_dual_mul_f32 v165, v134, v87
	v_dual_add_f32 v51, v51, v54 :: v_dual_add_f32 v0, v0, v159
	v_mul_f32_e32 v54, v131, v83
	v_fma_f32 v53, v128, v80, -v53
	s_wait_loadcnt_dscnt 0x302
	v_dual_mul_f32 v166, v136, v89 :: v_dual_mul_f32 v167, v138, v91
	v_add_f32_e32 v51, v51, v52
	v_add_f32_e32 v0, v0, v160
	v_fmac_f32_e32 v162, v129, v80
	v_fma_f32 v54, v130, v82, -v54
	v_dual_fmac_f32 v164, v133, v84 :: v_dual_fmac_f32 v165, v135, v86
	v_add_f32_e32 v51, v51, v53
	v_mul_f32_e32 v52, v133, v85
	v_dual_add_f32 v0, v0, v161 :: v_dual_mul_f32 v53, v135, v87
	v_fmac_f32_e32 v167, v139, v90
	s_delay_alu instid0(VALU_DEP_4) | instskip(NEXT) | instid1(VALU_DEP_4)
	v_add_f32_e32 v51, v51, v54
	v_fma_f32 v52, v132, v84, -v52
	s_delay_alu instid0(VALU_DEP_4)
	v_add_f32_e32 v0, v0, v162
	v_mul_f32_e32 v54, v137, v89
	v_fma_f32 v53, v134, v86, -v53
	s_wait_loadcnt_dscnt 0x201
	v_dual_mul_f32 v168, v140, v93 :: v_dual_mul_f32 v169, v142, v95
	v_dual_add_f32 v51, v51, v52 :: v_dual_add_f32 v0, v0, v163
	v_mul_f32_e32 v52, v139, v91
	v_fma_f32 v54, v136, v88, -v54
	s_delay_alu instid0(VALU_DEP_4) | instskip(NEXT) | instid1(VALU_DEP_4)
	v_dual_fmac_f32 v166, v137, v88 :: v_dual_fmac_f32 v169, v143, v94
	v_dual_add_f32 v51, v51, v53 :: v_dual_add_f32 v0, v0, v164
	v_mul_f32_e32 v53, v141, v93
	v_fma_f32 v52, v138, v90, -v52
	s_wait_loadcnt_dscnt 0x100
	v_dual_mul_f32 v170, v144, v97 :: v_dual_mul_f32 v171, v146, v99
	v_dual_add_f32 v51, v51, v54 :: v_dual_add_f32 v0, v0, v165
	v_mul_f32_e32 v54, v143, v95
	v_fma_f32 v53, v140, v92, -v53
	v_fmac_f32_e32 v168, v141, v92
	s_delay_alu instid0(VALU_DEP_4) | instskip(SKIP_2) | instid1(VALU_DEP_3)
	v_dual_add_f32 v51, v51, v52 :: v_dual_add_f32 v0, v0, v166
	v_dual_mul_f32 v52, v145, v97 :: v_dual_fmac_f32 v171, v147, v98
	v_fma_f32 v54, v142, v94, -v54
	v_dual_add_f32 v51, v51, v53 :: v_dual_add_f32 v0, v0, v167
	v_mul_f32_e32 v53, v147, v99
	s_delay_alu instid0(VALU_DEP_4) | instskip(NEXT) | instid1(VALU_DEP_3)
	v_fma_f32 v52, v144, v96, -v52
	v_add_f32_e32 v51, v51, v54
	s_delay_alu instid0(VALU_DEP_3) | instskip(NEXT) | instid1(VALU_DEP_2)
	v_fma_f32 v53, v146, v98, -v53
	v_add_f32_e32 v51, v51, v52
	s_delay_alu instid0(VALU_DEP_1) | instskip(SKIP_1) | instid1(VALU_DEP_2)
	v_dual_add_f32 v0, v0, v168 :: v_dual_add_f32 v51, v51, v53
	v_fmac_f32_e32 v170, v145, v96
	v_add_f32_e32 v0, v0, v169
	s_wait_loadcnt 0x0
	s_delay_alu instid0(VALU_DEP_3) | instskip(NEXT) | instid1(VALU_DEP_2)
	v_sub_f32_e32 v51, v148, v51
	v_add_f32_e32 v0, v0, v170
	s_delay_alu instid0(VALU_DEP_1) | instskip(NEXT) | instid1(VALU_DEP_1)
	v_add_f32_e32 v0, v0, v171
	v_sub_f32_e32 v52, v149, v0
	scratch_store_b64 off, v[51:52], off
	s_wait_alu 0xfffe
	s_cbranch_vccz .LBB88_212
; %bb.164:
	v_mov_b32_e32 v0, 0
	global_load_b32 v51, v0, s[2:3] offset:92
	s_wait_loadcnt 0x0
	v_cmp_ne_u32_e32 vcc_lo, 24, v51
	s_cbranch_vccz .LBB88_166
; %bb.165:
	v_lshlrev_b32_e32 v51, 3, v51
	s_delay_alu instid0(VALU_DEP_1)
	v_mov_b32_e32 v55, v51
	scratch_load_b64 v[51:52], v55, off offset:-8
	scratch_load_b64 v[53:54], off, off offset:184
	s_wait_loadcnt 0x1
	scratch_store_b64 off, v[51:52], off offset:184
	s_wait_loadcnt 0x0
	scratch_store_b64 v55, v[53:54], off offset:-8
.LBB88_166:
	global_load_b32 v0, v0, s[2:3] offset:88
	s_wait_loadcnt 0x0
	v_cmp_eq_u32_e32 vcc_lo, 23, v0
	s_cbranch_vccnz .LBB88_168
; %bb.167:
	v_lshlrev_b32_e32 v0, 3, v0
	scratch_load_b64 v[51:52], v0, off offset:-8
	scratch_load_b64 v[53:54], off, off offset:176
	s_wait_loadcnt 0x1
	scratch_store_b64 off, v[51:52], off offset:176
	s_wait_loadcnt 0x0
	scratch_store_b64 v0, v[53:54], off offset:-8
.LBB88_168:
	v_mov_b32_e32 v0, 0
	global_load_b32 v51, v0, s[2:3] offset:84
	s_wait_loadcnt 0x0
	v_cmp_eq_u32_e32 vcc_lo, 22, v51
	s_cbranch_vccnz .LBB88_170
; %bb.169:
	v_lshlrev_b32_e32 v51, 3, v51
	s_delay_alu instid0(VALU_DEP_1)
	v_mov_b32_e32 v55, v51
	scratch_load_b64 v[51:52], v55, off offset:-8
	scratch_load_b64 v[53:54], off, off offset:168
	s_wait_loadcnt 0x1
	scratch_store_b64 off, v[51:52], off offset:168
	s_wait_loadcnt 0x0
	scratch_store_b64 v55, v[53:54], off offset:-8
.LBB88_170:
	global_load_b32 v0, v0, s[2:3] offset:80
	s_wait_loadcnt 0x0
	v_cmp_eq_u32_e32 vcc_lo, 21, v0
	s_cbranch_vccnz .LBB88_172
; %bb.171:
	v_lshlrev_b32_e32 v0, 3, v0
	scratch_load_b64 v[51:52], v0, off offset:-8
	scratch_load_b64 v[53:54], off, off offset:160
	s_wait_loadcnt 0x1
	scratch_store_b64 off, v[51:52], off offset:160
	s_wait_loadcnt 0x0
	scratch_store_b64 v0, v[53:54], off offset:-8
.LBB88_172:
	v_mov_b32_e32 v0, 0
	global_load_b32 v51, v0, s[2:3] offset:76
	s_wait_loadcnt 0x0
	v_cmp_eq_u32_e32 vcc_lo, 20, v51
	s_cbranch_vccnz .LBB88_174
; %bb.173:
	v_lshlrev_b32_e32 v51, 3, v51
	s_delay_alu instid0(VALU_DEP_1)
	v_mov_b32_e32 v55, v51
	scratch_load_b64 v[51:52], v55, off offset:-8
	scratch_load_b64 v[53:54], off, off offset:152
	s_wait_loadcnt 0x1
	scratch_store_b64 off, v[51:52], off offset:152
	s_wait_loadcnt 0x0
	scratch_store_b64 v55, v[53:54], off offset:-8
.LBB88_174:
	global_load_b32 v0, v0, s[2:3] offset:72
	s_wait_loadcnt 0x0
	v_cmp_eq_u32_e32 vcc_lo, 19, v0
	s_cbranch_vccnz .LBB88_176
; %bb.175:
	v_lshlrev_b32_e32 v0, 3, v0
	scratch_load_b64 v[51:52], v0, off offset:-8
	scratch_load_b64 v[53:54], off, off offset:144
	s_wait_loadcnt 0x1
	scratch_store_b64 off, v[51:52], off offset:144
	s_wait_loadcnt 0x0
	scratch_store_b64 v0, v[53:54], off offset:-8
.LBB88_176:
	v_mov_b32_e32 v0, 0
	global_load_b32 v51, v0, s[2:3] offset:68
	s_wait_loadcnt 0x0
	v_cmp_eq_u32_e32 vcc_lo, 18, v51
	s_cbranch_vccnz .LBB88_178
; %bb.177:
	v_lshlrev_b32_e32 v51, 3, v51
	s_delay_alu instid0(VALU_DEP_1)
	v_mov_b32_e32 v55, v51
	scratch_load_b64 v[51:52], v55, off offset:-8
	scratch_load_b64 v[53:54], off, off offset:136
	s_wait_loadcnt 0x1
	scratch_store_b64 off, v[51:52], off offset:136
	s_wait_loadcnt 0x0
	scratch_store_b64 v55, v[53:54], off offset:-8
.LBB88_178:
	global_load_b32 v0, v0, s[2:3] offset:64
	s_wait_loadcnt 0x0
	v_cmp_eq_u32_e32 vcc_lo, 17, v0
	s_cbranch_vccnz .LBB88_180
; %bb.179:
	v_lshlrev_b32_e32 v0, 3, v0
	scratch_load_b64 v[51:52], v0, off offset:-8
	scratch_load_b64 v[53:54], off, off offset:128
	s_wait_loadcnt 0x1
	scratch_store_b64 off, v[51:52], off offset:128
	s_wait_loadcnt 0x0
	scratch_store_b64 v0, v[53:54], off offset:-8
.LBB88_180:
	v_mov_b32_e32 v0, 0
	global_load_b32 v51, v0, s[2:3] offset:60
	s_wait_loadcnt 0x0
	v_cmp_eq_u32_e32 vcc_lo, 16, v51
	s_cbranch_vccnz .LBB88_182
; %bb.181:
	v_lshlrev_b32_e32 v51, 3, v51
	s_delay_alu instid0(VALU_DEP_1)
	v_mov_b32_e32 v55, v51
	scratch_load_b64 v[51:52], v55, off offset:-8
	scratch_load_b64 v[53:54], off, off offset:120
	s_wait_loadcnt 0x1
	scratch_store_b64 off, v[51:52], off offset:120
	s_wait_loadcnt 0x0
	scratch_store_b64 v55, v[53:54], off offset:-8
.LBB88_182:
	global_load_b32 v0, v0, s[2:3] offset:56
	s_wait_loadcnt 0x0
	v_cmp_eq_u32_e32 vcc_lo, 15, v0
	s_cbranch_vccnz .LBB88_184
; %bb.183:
	v_lshlrev_b32_e32 v0, 3, v0
	scratch_load_b64 v[51:52], v0, off offset:-8
	scratch_load_b64 v[53:54], off, off offset:112
	s_wait_loadcnt 0x1
	scratch_store_b64 off, v[51:52], off offset:112
	s_wait_loadcnt 0x0
	scratch_store_b64 v0, v[53:54], off offset:-8
.LBB88_184:
	v_mov_b32_e32 v0, 0
	global_load_b32 v51, v0, s[2:3] offset:52
	s_wait_loadcnt 0x0
	v_cmp_eq_u32_e32 vcc_lo, 14, v51
	s_cbranch_vccnz .LBB88_186
; %bb.185:
	v_lshlrev_b32_e32 v51, 3, v51
	s_delay_alu instid0(VALU_DEP_1)
	v_mov_b32_e32 v55, v51
	scratch_load_b64 v[51:52], v55, off offset:-8
	scratch_load_b64 v[53:54], off, off offset:104
	s_wait_loadcnt 0x1
	scratch_store_b64 off, v[51:52], off offset:104
	s_wait_loadcnt 0x0
	scratch_store_b64 v55, v[53:54], off offset:-8
.LBB88_186:
	global_load_b32 v0, v0, s[2:3] offset:48
	s_wait_loadcnt 0x0
	v_cmp_eq_u32_e32 vcc_lo, 13, v0
	s_cbranch_vccnz .LBB88_188
; %bb.187:
	v_lshlrev_b32_e32 v0, 3, v0
	scratch_load_b64 v[51:52], v0, off offset:-8
	scratch_load_b64 v[53:54], off, off offset:96
	s_wait_loadcnt 0x1
	scratch_store_b64 off, v[51:52], off offset:96
	s_wait_loadcnt 0x0
	scratch_store_b64 v0, v[53:54], off offset:-8
.LBB88_188:
	v_mov_b32_e32 v0, 0
	global_load_b32 v51, v0, s[2:3] offset:44
	s_wait_loadcnt 0x0
	v_cmp_eq_u32_e32 vcc_lo, 12, v51
	s_cbranch_vccnz .LBB88_190
; %bb.189:
	v_lshlrev_b32_e32 v51, 3, v51
	s_delay_alu instid0(VALU_DEP_1)
	v_mov_b32_e32 v55, v51
	scratch_load_b64 v[51:52], v55, off offset:-8
	scratch_load_b64 v[53:54], off, off offset:88
	s_wait_loadcnt 0x1
	scratch_store_b64 off, v[51:52], off offset:88
	s_wait_loadcnt 0x0
	scratch_store_b64 v55, v[53:54], off offset:-8
.LBB88_190:
	global_load_b32 v0, v0, s[2:3] offset:40
	s_wait_loadcnt 0x0
	v_cmp_eq_u32_e32 vcc_lo, 11, v0
	s_cbranch_vccnz .LBB88_192
; %bb.191:
	v_lshlrev_b32_e32 v0, 3, v0
	scratch_load_b64 v[51:52], v0, off offset:-8
	scratch_load_b64 v[53:54], off, off offset:80
	s_wait_loadcnt 0x1
	scratch_store_b64 off, v[51:52], off offset:80
	s_wait_loadcnt 0x0
	scratch_store_b64 v0, v[53:54], off offset:-8
.LBB88_192:
	v_mov_b32_e32 v0, 0
	global_load_b32 v51, v0, s[2:3] offset:36
	s_wait_loadcnt 0x0
	v_cmp_eq_u32_e32 vcc_lo, 10, v51
	s_cbranch_vccnz .LBB88_194
; %bb.193:
	v_lshlrev_b32_e32 v51, 3, v51
	s_delay_alu instid0(VALU_DEP_1)
	v_mov_b32_e32 v55, v51
	scratch_load_b64 v[51:52], v55, off offset:-8
	scratch_load_b64 v[53:54], off, off offset:72
	s_wait_loadcnt 0x1
	scratch_store_b64 off, v[51:52], off offset:72
	s_wait_loadcnt 0x0
	scratch_store_b64 v55, v[53:54], off offset:-8
.LBB88_194:
	global_load_b32 v0, v0, s[2:3] offset:32
	s_wait_loadcnt 0x0
	v_cmp_eq_u32_e32 vcc_lo, 9, v0
	s_cbranch_vccnz .LBB88_196
; %bb.195:
	v_lshlrev_b32_e32 v0, 3, v0
	scratch_load_b64 v[51:52], v0, off offset:-8
	scratch_load_b64 v[53:54], off, off offset:64
	s_wait_loadcnt 0x1
	scratch_store_b64 off, v[51:52], off offset:64
	s_wait_loadcnt 0x0
	scratch_store_b64 v0, v[53:54], off offset:-8
.LBB88_196:
	v_mov_b32_e32 v0, 0
	global_load_b32 v51, v0, s[2:3] offset:28
	s_wait_loadcnt 0x0
	v_cmp_eq_u32_e32 vcc_lo, 8, v51
	s_cbranch_vccnz .LBB88_198
; %bb.197:
	v_lshlrev_b32_e32 v51, 3, v51
	s_delay_alu instid0(VALU_DEP_1)
	v_mov_b32_e32 v55, v51
	scratch_load_b64 v[51:52], v55, off offset:-8
	scratch_load_b64 v[53:54], off, off offset:56
	s_wait_loadcnt 0x1
	scratch_store_b64 off, v[51:52], off offset:56
	s_wait_loadcnt 0x0
	scratch_store_b64 v55, v[53:54], off offset:-8
.LBB88_198:
	global_load_b32 v0, v0, s[2:3] offset:24
	s_wait_loadcnt 0x0
	v_cmp_eq_u32_e32 vcc_lo, 7, v0
	s_cbranch_vccnz .LBB88_200
; %bb.199:
	v_lshlrev_b32_e32 v0, 3, v0
	scratch_load_b64 v[51:52], v0, off offset:-8
	scratch_load_b64 v[53:54], off, off offset:48
	s_wait_loadcnt 0x1
	scratch_store_b64 off, v[51:52], off offset:48
	s_wait_loadcnt 0x0
	scratch_store_b64 v0, v[53:54], off offset:-8
.LBB88_200:
	v_mov_b32_e32 v0, 0
	global_load_b32 v51, v0, s[2:3] offset:20
	s_wait_loadcnt 0x0
	v_cmp_eq_u32_e32 vcc_lo, 6, v51
	s_cbranch_vccnz .LBB88_202
; %bb.201:
	v_lshlrev_b32_e32 v51, 3, v51
	s_delay_alu instid0(VALU_DEP_1)
	v_mov_b32_e32 v55, v51
	scratch_load_b64 v[51:52], v55, off offset:-8
	scratch_load_b64 v[53:54], off, off offset:40
	s_wait_loadcnt 0x1
	scratch_store_b64 off, v[51:52], off offset:40
	s_wait_loadcnt 0x0
	scratch_store_b64 v55, v[53:54], off offset:-8
.LBB88_202:
	global_load_b32 v0, v0, s[2:3] offset:16
	s_wait_loadcnt 0x0
	v_cmp_eq_u32_e32 vcc_lo, 5, v0
	s_cbranch_vccnz .LBB88_204
; %bb.203:
	v_lshlrev_b32_e32 v0, 3, v0
	scratch_load_b64 v[51:52], v0, off offset:-8
	scratch_load_b64 v[53:54], off, off offset:32
	s_wait_loadcnt 0x1
	scratch_store_b64 off, v[51:52], off offset:32
	s_wait_loadcnt 0x0
	scratch_store_b64 v0, v[53:54], off offset:-8
.LBB88_204:
	v_mov_b32_e32 v0, 0
	global_load_b32 v51, v0, s[2:3] offset:12
	s_wait_loadcnt 0x0
	v_cmp_eq_u32_e32 vcc_lo, 4, v51
	s_cbranch_vccnz .LBB88_206
; %bb.205:
	v_lshlrev_b32_e32 v51, 3, v51
	s_delay_alu instid0(VALU_DEP_1)
	v_mov_b32_e32 v55, v51
	scratch_load_b64 v[51:52], v55, off offset:-8
	scratch_load_b64 v[53:54], off, off offset:24
	s_wait_loadcnt 0x1
	scratch_store_b64 off, v[51:52], off offset:24
	s_wait_loadcnt 0x0
	scratch_store_b64 v55, v[53:54], off offset:-8
.LBB88_206:
	global_load_b32 v0, v0, s[2:3] offset:8
	s_wait_loadcnt 0x0
	v_cmp_eq_u32_e32 vcc_lo, 3, v0
	s_cbranch_vccnz .LBB88_208
; %bb.207:
	v_lshlrev_b32_e32 v0, 3, v0
	scratch_load_b64 v[51:52], v0, off offset:-8
	scratch_load_b64 v[53:54], off, off offset:16
	s_wait_loadcnt 0x1
	scratch_store_b64 off, v[51:52], off offset:16
	s_wait_loadcnt 0x0
	scratch_store_b64 v0, v[53:54], off offset:-8
.LBB88_208:
	v_mov_b32_e32 v0, 0
	global_load_b32 v51, v0, s[2:3] offset:4
	s_wait_loadcnt 0x0
	v_cmp_eq_u32_e32 vcc_lo, 2, v51
	s_cbranch_vccnz .LBB88_210
; %bb.209:
	v_lshlrev_b32_e32 v51, 3, v51
	s_delay_alu instid0(VALU_DEP_1)
	v_mov_b32_e32 v55, v51
	scratch_load_b64 v[51:52], v55, off offset:-8
	scratch_load_b64 v[53:54], off, off offset:8
	s_wait_loadcnt 0x1
	scratch_store_b64 off, v[51:52], off offset:8
	s_wait_loadcnt 0x0
	scratch_store_b64 v55, v[53:54], off offset:-8
.LBB88_210:
	global_load_b32 v0, v0, s[2:3]
	s_wait_loadcnt 0x0
	v_cmp_eq_u32_e32 vcc_lo, 1, v0
	s_cbranch_vccnz .LBB88_212
; %bb.211:
	v_lshlrev_b32_e32 v0, 3, v0
	scratch_load_b64 v[51:52], v0, off offset:-8
	scratch_load_b64 v[53:54], off, off
	s_wait_loadcnt 0x1
	scratch_store_b64 off, v[51:52], off
	s_wait_loadcnt 0x0
	scratch_store_b64 v0, v[53:54], off offset:-8
.LBB88_212:
	scratch_load_b64 v[51:52], off, off
	s_wait_loadcnt 0x0
	flat_store_b64 v[1:2], v[51:52]
	scratch_load_b64 v[0:1], off, off offset:8
	s_wait_loadcnt 0x0
	flat_store_b64 v[3:4], v[0:1]
	scratch_load_b64 v[0:1], off, off offset:16
	;; [unrolled: 3-line block ×24, first 2 shown]
	s_wait_loadcnt 0x0
	flat_store_b64 v[49:50], v[0:1]
	s_nop 0
	s_sendmsg sendmsg(MSG_DEALLOC_VGPRS)
	s_endpgm
	.section	.rodata,"a",@progbits
	.p2align	6, 0x0
	.amdhsa_kernel _ZN9rocsolver6v33100L18getri_kernel_smallILi25E19rocblas_complex_numIfEPKPS3_EEvT1_iilPiilS8_bb
		.amdhsa_group_segment_fixed_size 408
		.amdhsa_private_segment_fixed_size 208
		.amdhsa_kernarg_size 60
		.amdhsa_user_sgpr_count 2
		.amdhsa_user_sgpr_dispatch_ptr 0
		.amdhsa_user_sgpr_queue_ptr 0
		.amdhsa_user_sgpr_kernarg_segment_ptr 1
		.amdhsa_user_sgpr_dispatch_id 0
		.amdhsa_user_sgpr_private_segment_size 0
		.amdhsa_wavefront_size32 1
		.amdhsa_uses_dynamic_stack 0
		.amdhsa_enable_private_segment 1
		.amdhsa_system_sgpr_workgroup_id_x 1
		.amdhsa_system_sgpr_workgroup_id_y 0
		.amdhsa_system_sgpr_workgroup_id_z 0
		.amdhsa_system_sgpr_workgroup_info 0
		.amdhsa_system_vgpr_workitem_id 0
		.amdhsa_next_free_vgpr 172
		.amdhsa_next_free_sgpr 19
		.amdhsa_reserve_vcc 1
		.amdhsa_float_round_mode_32 0
		.amdhsa_float_round_mode_16_64 0
		.amdhsa_float_denorm_mode_32 3
		.amdhsa_float_denorm_mode_16_64 3
		.amdhsa_fp16_overflow 0
		.amdhsa_workgroup_processor_mode 1
		.amdhsa_memory_ordered 1
		.amdhsa_forward_progress 1
		.amdhsa_inst_pref_size 224
		.amdhsa_round_robin_scheduling 0
		.amdhsa_exception_fp_ieee_invalid_op 0
		.amdhsa_exception_fp_denorm_src 0
		.amdhsa_exception_fp_ieee_div_zero 0
		.amdhsa_exception_fp_ieee_overflow 0
		.amdhsa_exception_fp_ieee_underflow 0
		.amdhsa_exception_fp_ieee_inexact 0
		.amdhsa_exception_int_div_zero 0
	.end_amdhsa_kernel
	.section	.text._ZN9rocsolver6v33100L18getri_kernel_smallILi25E19rocblas_complex_numIfEPKPS3_EEvT1_iilPiilS8_bb,"axG",@progbits,_ZN9rocsolver6v33100L18getri_kernel_smallILi25E19rocblas_complex_numIfEPKPS3_EEvT1_iilPiilS8_bb,comdat
.Lfunc_end88:
	.size	_ZN9rocsolver6v33100L18getri_kernel_smallILi25E19rocblas_complex_numIfEPKPS3_EEvT1_iilPiilS8_bb, .Lfunc_end88-_ZN9rocsolver6v33100L18getri_kernel_smallILi25E19rocblas_complex_numIfEPKPS3_EEvT1_iilPiilS8_bb
                                        ; -- End function
	.set _ZN9rocsolver6v33100L18getri_kernel_smallILi25E19rocblas_complex_numIfEPKPS3_EEvT1_iilPiilS8_bb.num_vgpr, 172
	.set _ZN9rocsolver6v33100L18getri_kernel_smallILi25E19rocblas_complex_numIfEPKPS3_EEvT1_iilPiilS8_bb.num_agpr, 0
	.set _ZN9rocsolver6v33100L18getri_kernel_smallILi25E19rocblas_complex_numIfEPKPS3_EEvT1_iilPiilS8_bb.numbered_sgpr, 19
	.set _ZN9rocsolver6v33100L18getri_kernel_smallILi25E19rocblas_complex_numIfEPKPS3_EEvT1_iilPiilS8_bb.num_named_barrier, 0
	.set _ZN9rocsolver6v33100L18getri_kernel_smallILi25E19rocblas_complex_numIfEPKPS3_EEvT1_iilPiilS8_bb.private_seg_size, 208
	.set _ZN9rocsolver6v33100L18getri_kernel_smallILi25E19rocblas_complex_numIfEPKPS3_EEvT1_iilPiilS8_bb.uses_vcc, 1
	.set _ZN9rocsolver6v33100L18getri_kernel_smallILi25E19rocblas_complex_numIfEPKPS3_EEvT1_iilPiilS8_bb.uses_flat_scratch, 1
	.set _ZN9rocsolver6v33100L18getri_kernel_smallILi25E19rocblas_complex_numIfEPKPS3_EEvT1_iilPiilS8_bb.has_dyn_sized_stack, 0
	.set _ZN9rocsolver6v33100L18getri_kernel_smallILi25E19rocblas_complex_numIfEPKPS3_EEvT1_iilPiilS8_bb.has_recursion, 0
	.set _ZN9rocsolver6v33100L18getri_kernel_smallILi25E19rocblas_complex_numIfEPKPS3_EEvT1_iilPiilS8_bb.has_indirect_call, 0
	.section	.AMDGPU.csdata,"",@progbits
; Kernel info:
; codeLenInByte = 28612
; TotalNumSgprs: 21
; NumVgprs: 172
; ScratchSize: 208
; MemoryBound: 0
; FloatMode: 240
; IeeeMode: 1
; LDSByteSize: 408 bytes/workgroup (compile time only)
; SGPRBlocks: 0
; VGPRBlocks: 21
; NumSGPRsForWavesPerEU: 21
; NumVGPRsForWavesPerEU: 172
; Occupancy: 8
; WaveLimiterHint : 1
; COMPUTE_PGM_RSRC2:SCRATCH_EN: 1
; COMPUTE_PGM_RSRC2:USER_SGPR: 2
; COMPUTE_PGM_RSRC2:TRAP_HANDLER: 0
; COMPUTE_PGM_RSRC2:TGID_X_EN: 1
; COMPUTE_PGM_RSRC2:TGID_Y_EN: 0
; COMPUTE_PGM_RSRC2:TGID_Z_EN: 0
; COMPUTE_PGM_RSRC2:TIDIG_COMP_CNT: 0
	.section	.text._ZN9rocsolver6v33100L18getri_kernel_smallILi26E19rocblas_complex_numIfEPKPS3_EEvT1_iilPiilS8_bb,"axG",@progbits,_ZN9rocsolver6v33100L18getri_kernel_smallILi26E19rocblas_complex_numIfEPKPS3_EEvT1_iilPiilS8_bb,comdat
	.globl	_ZN9rocsolver6v33100L18getri_kernel_smallILi26E19rocblas_complex_numIfEPKPS3_EEvT1_iilPiilS8_bb ; -- Begin function _ZN9rocsolver6v33100L18getri_kernel_smallILi26E19rocblas_complex_numIfEPKPS3_EEvT1_iilPiilS8_bb
	.p2align	8
	.type	_ZN9rocsolver6v33100L18getri_kernel_smallILi26E19rocblas_complex_numIfEPKPS3_EEvT1_iilPiilS8_bb,@function
_ZN9rocsolver6v33100L18getri_kernel_smallILi26E19rocblas_complex_numIfEPKPS3_EEvT1_iilPiilS8_bb: ; @_ZN9rocsolver6v33100L18getri_kernel_smallILi26E19rocblas_complex_numIfEPKPS3_EEvT1_iilPiilS8_bb
; %bb.0:
	s_mov_b32 s2, exec_lo
	v_cmpx_gt_u32_e32 26, v0
	s_cbranch_execz .LBB89_118
; %bb.1:
	s_clause 0x1
	s_load_b32 s13, s[0:1], 0x38
	s_load_b64 s[2:3], s[0:1], 0x0
	s_mov_b32 s8, ttmp9
	s_load_b128 s[4:7], s[0:1], 0x28
	s_wait_kmcnt 0x0
	s_bitcmp1_b32 s13, 8
	s_cselect_b32 s12, -1, 0
	s_ashr_i32 s9, ttmp9, 31
	s_delay_alu instid0(SALU_CYCLE_1) | instskip(NEXT) | instid1(SALU_CYCLE_1)
	s_lshl_b64 s[10:11], s[8:9], 3
	s_add_nc_u64 s[2:3], s[2:3], s[10:11]
	s_load_b64 s[10:11], s[2:3], 0x0
	s_bfe_u32 s2, s13, 0x10008
	s_delay_alu instid0(SALU_CYCLE_1)
	s_cmp_eq_u32 s2, 0
                                        ; implicit-def: $sgpr2_sgpr3
	s_cbranch_scc1 .LBB89_3
; %bb.2:
	s_load_b96 s[16:18], s[0:1], 0x18
	s_mul_u64 s[2:3], s[4:5], s[8:9]
	s_delay_alu instid0(SALU_CYCLE_1)
	s_lshl_b64 s[2:3], s[2:3], 2
	s_wait_kmcnt 0x0
	s_ashr_i32 s5, s18, 31
	s_mov_b32 s4, s18
	s_add_nc_u64 s[2:3], s[16:17], s[2:3]
	s_lshl_b64 s[4:5], s[4:5], 2
	s_delay_alu instid0(SALU_CYCLE_1)
	s_add_nc_u64 s[2:3], s[2:3], s[4:5]
.LBB89_3:
	s_clause 0x1
	s_load_b64 s[4:5], s[0:1], 0x8
	s_load_b32 s13, s[0:1], 0x38
	v_lshlrev_b32_e32 v59, 3, v0
	s_wait_kmcnt 0x0
	s_ashr_i32 s1, s4, 31
	s_mov_b32 s0, s4
	v_add3_u32 v9, s5, s5, v0
	s_lshl_b64 s[0:1], s[0:1], 3
	s_delay_alu instid0(SALU_CYCLE_1)
	s_add_nc_u64 s[0:1], s[10:11], s[0:1]
	s_ashr_i32 s11, s5, 31
	v_add_co_u32 v1, s4, s0, v59
	s_wait_alu 0xf1ff
	v_add_co_ci_u32_e64 v2, null, s1, 0, s4
	s_mov_b32 s10, s5
	v_ashrrev_i32_e32 v10, 31, v9
	s_lshl_b64 s[10:11], s[10:11], 3
	flat_load_b64 v[5:6], v[1:2]
	v_add_co_u32 v3, vcc_lo, v1, s10
	s_delay_alu instid0(VALU_DEP_1) | instskip(SKIP_2) | instid1(VALU_DEP_1)
	v_add_co_ci_u32_e64 v4, null, s11, v2, vcc_lo
	v_add_nc_u32_e32 v12, s5, v9
	s_bitcmp0_b32 s13, 0
	v_ashrrev_i32_e32 v13, 31, v12
	s_wait_loadcnt_dscnt 0x0
	scratch_store_b64 off, v[5:6], off
	flat_load_b64 v[7:8], v[3:4]
	v_lshlrev_b64_e32 v[5:6], 3, v[9:10]
	s_delay_alu instid0(VALU_DEP_1) | instskip(SKIP_1) | instid1(VALU_DEP_2)
	v_add_co_u32 v5, vcc_lo, s0, v5
	s_wait_alu 0xfffd
	v_add_co_ci_u32_e64 v6, null, s1, v6, vcc_lo
	s_wait_loadcnt_dscnt 0x0
	scratch_store_b64 off, v[7:8], off offset:8
	flat_load_b64 v[10:11], v[5:6]
	v_lshlrev_b64_e32 v[7:8], 3, v[12:13]
	s_delay_alu instid0(VALU_DEP_1) | instskip(SKIP_1) | instid1(VALU_DEP_2)
	v_add_co_u32 v7, vcc_lo, s0, v7
	s_wait_alu 0xfffd
	v_add_co_ci_u32_e64 v8, null, s1, v8, vcc_lo
	s_wait_loadcnt_dscnt 0x0
	scratch_store_b64 off, v[10:11], off offset:16
	flat_load_b64 v[13:14], v[7:8]
	v_add_nc_u32_e32 v11, s5, v12
	s_delay_alu instid0(VALU_DEP_1) | instskip(SKIP_1) | instid1(VALU_DEP_2)
	v_ashrrev_i32_e32 v12, 31, v11
	v_add_nc_u32_e32 v15, s5, v11
	v_lshlrev_b64_e32 v[9:10], 3, v[11:12]
	s_delay_alu instid0(VALU_DEP_2) | instskip(SKIP_1) | instid1(VALU_DEP_3)
	v_ashrrev_i32_e32 v16, 31, v15
	v_add_nc_u32_e32 v18, s5, v15
	v_add_co_u32 v9, vcc_lo, s0, v9
	s_wait_alu 0xfffd
	s_delay_alu instid0(VALU_DEP_4) | instskip(SKIP_2) | instid1(VALU_DEP_2)
	v_add_co_ci_u32_e64 v10, null, s1, v10, vcc_lo
	v_lshlrev_b64_e32 v[11:12], 3, v[15:16]
	v_ashrrev_i32_e32 v19, 31, v18
	v_add_co_u32 v11, vcc_lo, s0, v11
	s_wait_alu 0xfffd
	s_delay_alu instid0(VALU_DEP_3)
	v_add_co_ci_u32_e64 v12, null, s1, v12, vcc_lo
	s_wait_loadcnt_dscnt 0x0
	scratch_store_b64 off, v[13:14], off offset:24
	flat_load_b64 v[13:14], v[9:10]
	s_wait_loadcnt_dscnt 0x0
	scratch_store_b64 off, v[13:14], off offset:32
	flat_load_b64 v[16:17], v[11:12]
	v_lshlrev_b64_e32 v[13:14], 3, v[18:19]
	s_delay_alu instid0(VALU_DEP_1) | instskip(SKIP_1) | instid1(VALU_DEP_2)
	v_add_co_u32 v13, vcc_lo, s0, v13
	s_wait_alu 0xfffd
	v_add_co_ci_u32_e64 v14, null, s1, v14, vcc_lo
	s_wait_loadcnt_dscnt 0x0
	scratch_store_b64 off, v[16:17], off offset:40
	flat_load_b64 v[19:20], v[13:14]
	v_add_nc_u32_e32 v17, s5, v18
	s_delay_alu instid0(VALU_DEP_1) | instskip(SKIP_1) | instid1(VALU_DEP_2)
	v_ashrrev_i32_e32 v18, 31, v17
	v_add_nc_u32_e32 v21, s5, v17
	v_lshlrev_b64_e32 v[15:16], 3, v[17:18]
	s_delay_alu instid0(VALU_DEP_2) | instskip(SKIP_1) | instid1(VALU_DEP_3)
	v_ashrrev_i32_e32 v22, 31, v21
	v_add_nc_u32_e32 v24, s5, v21
	v_add_co_u32 v15, vcc_lo, s0, v15
	s_wait_alu 0xfffd
	s_delay_alu instid0(VALU_DEP_4) | instskip(SKIP_2) | instid1(VALU_DEP_2)
	v_add_co_ci_u32_e64 v16, null, s1, v16, vcc_lo
	v_lshlrev_b64_e32 v[17:18], 3, v[21:22]
	v_ashrrev_i32_e32 v25, 31, v24
	v_add_co_u32 v17, vcc_lo, s0, v17
	s_wait_alu 0xfffd
	s_delay_alu instid0(VALU_DEP_3)
	v_add_co_ci_u32_e64 v18, null, s1, v18, vcc_lo
	s_wait_loadcnt_dscnt 0x0
	scratch_store_b64 off, v[19:20], off offset:48
	flat_load_b64 v[19:20], v[15:16]
	;; [unrolled: 32-line block ×6, first 2 shown]
	s_wait_loadcnt_dscnt 0x0
	scratch_store_b64 off, v[43:44], off offset:152
	flat_load_b64 v[46:47], v[41:42]
	v_lshlrev_b64_e32 v[43:44], 3, v[48:49]
	s_delay_alu instid0(VALU_DEP_1) | instskip(SKIP_1) | instid1(VALU_DEP_2)
	v_add_co_u32 v43, vcc_lo, s0, v43
	s_wait_alu 0xfffd
	v_add_co_ci_u32_e64 v44, null, s1, v44, vcc_lo
	s_wait_loadcnt_dscnt 0x0
	scratch_store_b64 off, v[46:47], off offset:160
	flat_load_b64 v[49:50], v[43:44]
	v_add_nc_u32_e32 v47, s5, v48
	s_delay_alu instid0(VALU_DEP_1) | instskip(SKIP_1) | instid1(VALU_DEP_2)
	v_ashrrev_i32_e32 v48, 31, v47
	v_add_nc_u32_e32 v51, s5, v47
	v_lshlrev_b64_e32 v[45:46], 3, v[47:48]
	s_delay_alu instid0(VALU_DEP_2) | instskip(SKIP_1) | instid1(VALU_DEP_3)
	v_ashrrev_i32_e32 v52, 31, v51
	v_add_nc_u32_e32 v54, s5, v51
	v_add_co_u32 v45, vcc_lo, s0, v45
	s_wait_alu 0xfffd
	s_delay_alu instid0(VALU_DEP_4) | instskip(SKIP_3) | instid1(VALU_DEP_3)
	v_add_co_ci_u32_e64 v46, null, s1, v46, vcc_lo
	v_lshlrev_b64_e32 v[47:48], 3, v[51:52]
	v_ashrrev_i32_e32 v55, 31, v54
	v_add_nc_u32_e32 v51, s5, v54
	v_add_co_u32 v47, vcc_lo, s0, v47
	s_wait_alu 0xfffd
	s_delay_alu instid0(VALU_DEP_4)
	v_add_co_ci_u32_e64 v48, null, s1, v48, vcc_lo
	s_wait_loadcnt_dscnt 0x0
	scratch_store_b64 off, v[49:50], off offset:168
	flat_load_b64 v[49:50], v[45:46]
	s_wait_loadcnt_dscnt 0x0
	scratch_store_b64 off, v[49:50], off offset:176
	flat_load_b64 v[52:53], v[47:48]
	v_lshlrev_b64_e32 v[49:50], 3, v[54:55]
	s_delay_alu instid0(VALU_DEP_1) | instskip(SKIP_1) | instid1(VALU_DEP_2)
	v_add_co_u32 v49, vcc_lo, s0, v49
	s_wait_alu 0xfffd
	v_add_co_ci_u32_e64 v50, null, s1, v50, vcc_lo
	s_wait_loadcnt_dscnt 0x0
	scratch_store_b64 off, v[52:53], off offset:184
	flat_load_b64 v[55:56], v[49:50]
	v_ashrrev_i32_e32 v52, 31, v51
	s_delay_alu instid0(VALU_DEP_1) | instskip(NEXT) | instid1(VALU_DEP_1)
	v_lshlrev_b64_e32 v[51:52], 3, v[51:52]
	v_add_co_u32 v51, vcc_lo, s0, v51
	s_wait_alu 0xfffd
	s_delay_alu instid0(VALU_DEP_2)
	v_add_co_ci_u32_e64 v52, null, s1, v52, vcc_lo
	s_mov_b32 s1, -1
	s_wait_loadcnt_dscnt 0x0
	scratch_store_b64 off, v[55:56], off offset:192
	flat_load_b64 v[53:54], v[51:52]
	s_wait_loadcnt_dscnt 0x0
	scratch_store_b64 off, v[53:54], off offset:200
	s_cbranch_scc1 .LBB89_116
; %bb.4:
	v_cmp_eq_u32_e64 s0, 0, v0
	s_and_saveexec_b32 s1, s0
; %bb.5:
	v_mov_b32_e32 v53, 0
	ds_store_b32 v53, v53 offset:416
; %bb.6:
	s_wait_alu 0xfffe
	s_or_b32 exec_lo, exec_lo, s1
	s_wait_storecnt_dscnt 0x0
	s_barrier_signal -1
	s_barrier_wait -1
	global_inv scope:SCOPE_SE
	scratch_load_b64 v[53:54], v59, off
	s_wait_loadcnt 0x0
	v_cmp_eq_f32_e32 vcc_lo, 0, v53
	v_cmp_eq_f32_e64 s1, 0, v54
	s_and_b32 s1, vcc_lo, s1
	s_wait_alu 0xfffe
	s_and_saveexec_b32 s4, s1
	s_cbranch_execz .LBB89_10
; %bb.7:
	v_mov_b32_e32 v53, 0
	s_mov_b32 s5, 0
	ds_load_b32 v54, v53 offset:416
	s_wait_dscnt 0x0
	v_readfirstlane_b32 s1, v54
	v_add_nc_u32_e32 v54, 1, v0
	s_cmp_eq_u32 s1, 0
	s_delay_alu instid0(VALU_DEP_1)
	v_cmp_gt_i32_e32 vcc_lo, s1, v54
	s_cselect_b32 s10, -1, 0
	s_wait_alu 0xfffe
	s_or_b32 s10, s10, vcc_lo
	s_wait_alu 0xfffe
	s_and_b32 exec_lo, exec_lo, s10
	s_cbranch_execz .LBB89_10
; %bb.8:
	v_mov_b32_e32 v55, s1
.LBB89_9:                               ; =>This Inner Loop Header: Depth=1
	ds_cmpstore_rtn_b32 v55, v53, v54, v55 offset:416
	s_wait_dscnt 0x0
	v_cmp_ne_u32_e32 vcc_lo, 0, v55
	v_cmp_le_i32_e64 s1, v55, v54
	s_and_b32 s1, vcc_lo, s1
	s_wait_alu 0xfffe
	s_and_b32 s1, exec_lo, s1
	s_wait_alu 0xfffe
	s_or_b32 s5, s1, s5
	s_wait_alu 0xfffe
	s_and_not1_b32 exec_lo, exec_lo, s5
	s_cbranch_execnz .LBB89_9
.LBB89_10:
	s_wait_alu 0xfffe
	s_or_b32 exec_lo, exec_lo, s4
	v_mov_b32_e32 v53, 0
	s_barrier_signal -1
	s_barrier_wait -1
	global_inv scope:SCOPE_SE
	ds_load_b32 v54, v53 offset:416
	s_and_saveexec_b32 s1, s0
	s_cbranch_execz .LBB89_12
; %bb.11:
	s_lshl_b64 s[4:5], s[8:9], 2
	s_wait_alu 0xfffe
	s_add_nc_u64 s[4:5], s[6:7], s[4:5]
	s_wait_dscnt 0x0
	global_store_b32 v53, v54, s[4:5]
.LBB89_12:
	s_wait_alu 0xfffe
	s_or_b32 exec_lo, exec_lo, s1
	s_wait_dscnt 0x0
	v_cmp_ne_u32_e32 vcc_lo, 0, v54
	s_mov_b32 s1, 0
	s_cbranch_vccnz .LBB89_116
; %bb.13:
	v_mov_b32_e32 v60, v59
                                        ; implicit-def: $vgpr55
                                        ; implicit-def: $vgpr57
	scratch_load_b64 v[53:54], v60, off
	s_wait_loadcnt 0x0
	v_cmp_ngt_f32_e64 s1, |v53|, |v54|
	s_wait_alu 0xfffe
	s_and_saveexec_b32 s4, s1
	s_wait_alu 0xfffe
	s_xor_b32 s1, exec_lo, s4
	s_cbranch_execz .LBB89_15
; %bb.14:
	v_div_scale_f32 v55, null, v54, v54, v53
	v_div_scale_f32 v58, vcc_lo, v53, v54, v53
	s_delay_alu instid0(VALU_DEP_2) | instskip(NEXT) | instid1(TRANS32_DEP_1)
	v_rcp_f32_e32 v56, v55
	v_fma_f32 v57, -v55, v56, 1.0
	s_delay_alu instid0(VALU_DEP_1) | instskip(NEXT) | instid1(VALU_DEP_1)
	v_fmac_f32_e32 v56, v57, v56
	v_mul_f32_e32 v57, v58, v56
	s_delay_alu instid0(VALU_DEP_1) | instskip(NEXT) | instid1(VALU_DEP_1)
	v_fma_f32 v61, -v55, v57, v58
	v_fmac_f32_e32 v57, v61, v56
	s_delay_alu instid0(VALU_DEP_1) | instskip(SKIP_1) | instid1(VALU_DEP_1)
	v_fma_f32 v55, -v55, v57, v58
	s_wait_alu 0xfffd
	v_div_fmas_f32 v55, v55, v56, v57
	s_delay_alu instid0(VALU_DEP_1) | instskip(NEXT) | instid1(VALU_DEP_1)
	v_div_fixup_f32 v55, v55, v54, v53
	v_fmac_f32_e32 v54, v53, v55
	s_delay_alu instid0(VALU_DEP_1) | instskip(NEXT) | instid1(VALU_DEP_1)
	v_div_scale_f32 v53, null, v54, v54, 1.0
	v_rcp_f32_e32 v56, v53
	s_delay_alu instid0(TRANS32_DEP_1) | instskip(NEXT) | instid1(VALU_DEP_1)
	v_fma_f32 v57, -v53, v56, 1.0
	v_fmac_f32_e32 v56, v57, v56
	v_div_scale_f32 v57, vcc_lo, 1.0, v54, 1.0
	s_delay_alu instid0(VALU_DEP_1) | instskip(NEXT) | instid1(VALU_DEP_1)
	v_mul_f32_e32 v58, v57, v56
	v_fma_f32 v61, -v53, v58, v57
	s_delay_alu instid0(VALU_DEP_1) | instskip(NEXT) | instid1(VALU_DEP_1)
	v_fmac_f32_e32 v58, v61, v56
	v_fma_f32 v53, -v53, v58, v57
	s_wait_alu 0xfffd
	s_delay_alu instid0(VALU_DEP_1) | instskip(NEXT) | instid1(VALU_DEP_1)
	v_div_fmas_f32 v53, v53, v56, v58
	v_div_fixup_f32 v53, v53, v54, 1.0
	s_delay_alu instid0(VALU_DEP_1) | instskip(SKIP_1) | instid1(VALU_DEP_2)
	v_mul_f32_e32 v55, v55, v53
	v_xor_b32_e32 v56, 0x80000000, v53
                                        ; implicit-def: $vgpr53_vgpr54
	v_xor_b32_e32 v57, 0x80000000, v55
.LBB89_15:
	s_wait_alu 0xfffe
	s_and_not1_saveexec_b32 s1, s1
	s_cbranch_execz .LBB89_17
; %bb.16:
	v_div_scale_f32 v55, null, v53, v53, v54
	v_div_scale_f32 v58, vcc_lo, v54, v53, v54
	s_delay_alu instid0(VALU_DEP_2) | instskip(NEXT) | instid1(TRANS32_DEP_1)
	v_rcp_f32_e32 v56, v55
	v_fma_f32 v57, -v55, v56, 1.0
	s_delay_alu instid0(VALU_DEP_1) | instskip(NEXT) | instid1(VALU_DEP_1)
	v_fmac_f32_e32 v56, v57, v56
	v_mul_f32_e32 v57, v58, v56
	s_delay_alu instid0(VALU_DEP_1) | instskip(NEXT) | instid1(VALU_DEP_1)
	v_fma_f32 v61, -v55, v57, v58
	v_fmac_f32_e32 v57, v61, v56
	s_delay_alu instid0(VALU_DEP_1) | instskip(SKIP_1) | instid1(VALU_DEP_1)
	v_fma_f32 v55, -v55, v57, v58
	s_wait_alu 0xfffd
	v_div_fmas_f32 v55, v55, v56, v57
	s_delay_alu instid0(VALU_DEP_1) | instskip(NEXT) | instid1(VALU_DEP_1)
	v_div_fixup_f32 v56, v55, v53, v54
	v_fmac_f32_e32 v53, v54, v56
	s_delay_alu instid0(VALU_DEP_1) | instskip(SKIP_1) | instid1(VALU_DEP_2)
	v_div_scale_f32 v54, null, v53, v53, 1.0
	v_div_scale_f32 v58, vcc_lo, 1.0, v53, 1.0
	v_rcp_f32_e32 v55, v54
	s_delay_alu instid0(TRANS32_DEP_1) | instskip(NEXT) | instid1(VALU_DEP_1)
	v_fma_f32 v57, -v54, v55, 1.0
	v_fmac_f32_e32 v55, v57, v55
	s_delay_alu instid0(VALU_DEP_1) | instskip(NEXT) | instid1(VALU_DEP_1)
	v_mul_f32_e32 v57, v58, v55
	v_fma_f32 v61, -v54, v57, v58
	s_delay_alu instid0(VALU_DEP_1) | instskip(NEXT) | instid1(VALU_DEP_1)
	v_fmac_f32_e32 v57, v61, v55
	v_fma_f32 v54, -v54, v57, v58
	s_wait_alu 0xfffd
	s_delay_alu instid0(VALU_DEP_1) | instskip(NEXT) | instid1(VALU_DEP_1)
	v_div_fmas_f32 v54, v54, v55, v57
	v_div_fixup_f32 v55, v54, v53, 1.0
	s_delay_alu instid0(VALU_DEP_1)
	v_xor_b32_e32 v57, 0x80000000, v55
	v_mul_f32_e64 v56, v56, -v55
.LBB89_17:
	s_wait_alu 0xfffe
	s_or_b32 exec_lo, exec_lo, s1
	scratch_store_b64 v60, v[55:56], off
	scratch_load_b64 v[54:55], off, off offset:8
	v_xor_b32_e32 v58, 0x80000000, v56
	v_add_nc_u32_e32 v53, 0xd0, v59
	s_wait_loadcnt 0x0
	ds_store_2addr_b64 v59, v[57:58], v[54:55] offset1:26
	s_wait_storecnt_dscnt 0x0
	s_barrier_signal -1
	s_barrier_wait -1
	global_inv scope:SCOPE_SE
	s_and_saveexec_b32 s1, s0
	s_cbranch_execz .LBB89_19
; %bb.18:
	scratch_load_b64 v[54:55], v60, off
	ds_load_b64 v[56:57], v53
	v_mov_b32_e32 v58, 0
	ds_load_b64 v[61:62], v58 offset:8
	s_wait_loadcnt_dscnt 0x1
	v_mul_f32_e32 v58, v56, v55
	v_mul_f32_e32 v55, v57, v55
	s_delay_alu instid0(VALU_DEP_2) | instskip(NEXT) | instid1(VALU_DEP_2)
	v_fmac_f32_e32 v58, v57, v54
	v_fma_f32 v54, v56, v54, -v55
	s_delay_alu instid0(VALU_DEP_2) | instskip(NEXT) | instid1(VALU_DEP_2)
	v_add_f32_e32 v56, 0, v58
	v_add_f32_e32 v54, 0, v54
	s_wait_dscnt 0x0
	s_delay_alu instid0(VALU_DEP_2) | instskip(NEXT) | instid1(VALU_DEP_2)
	v_mul_f32_e32 v57, v56, v62
	v_mul_f32_e32 v55, v54, v62
	s_delay_alu instid0(VALU_DEP_2) | instskip(NEXT) | instid1(VALU_DEP_2)
	v_fma_f32 v54, v54, v61, -v57
	v_fmac_f32_e32 v55, v56, v61
	scratch_store_b64 off, v[54:55], off offset:8
.LBB89_19:
	s_wait_alu 0xfffe
	s_or_b32 exec_lo, exec_lo, s1
	s_wait_loadcnt 0x0
	s_wait_storecnt 0x0
	s_barrier_signal -1
	s_barrier_wait -1
	global_inv scope:SCOPE_SE
	scratch_load_b64 v[54:55], off, off offset:16
	s_mov_b32 s1, exec_lo
	s_wait_loadcnt 0x0
	ds_store_b64 v53, v[54:55]
	s_wait_dscnt 0x0
	s_barrier_signal -1
	s_barrier_wait -1
	global_inv scope:SCOPE_SE
	v_cmpx_gt_u32_e32 2, v0
	s_cbranch_execz .LBB89_23
; %bb.20:
	scratch_load_b64 v[54:55], v60, off
	ds_load_b64 v[56:57], v53
	s_wait_loadcnt_dscnt 0x0
	v_mul_f32_e32 v58, v57, v55
	v_mul_f32_e32 v61, v56, v55
	s_delay_alu instid0(VALU_DEP_2) | instskip(NEXT) | instid1(VALU_DEP_2)
	v_fma_f32 v55, v56, v54, -v58
	v_fmac_f32_e32 v61, v57, v54
	s_delay_alu instid0(VALU_DEP_1)
	v_dual_add_f32 v55, 0, v55 :: v_dual_add_f32 v54, 0, v61
	s_and_saveexec_b32 s4, s0
	s_cbranch_execz .LBB89_22
; %bb.21:
	scratch_load_b64 v[56:57], off, off offset:8
	v_mov_b32_e32 v58, 0
	ds_load_b64 v[61:62], v58 offset:216
	s_wait_loadcnt_dscnt 0x0
	v_mul_f32_e32 v58, v61, v57
	v_mul_f32_e32 v57, v62, v57
	s_delay_alu instid0(VALU_DEP_2) | instskip(NEXT) | instid1(VALU_DEP_2)
	v_fmac_f32_e32 v58, v62, v56
	v_fma_f32 v56, v61, v56, -v57
	s_delay_alu instid0(VALU_DEP_1)
	v_dual_add_f32 v54, v54, v58 :: v_dual_add_f32 v55, v55, v56
.LBB89_22:
	s_wait_alu 0xfffe
	s_or_b32 exec_lo, exec_lo, s4
	v_mov_b32_e32 v56, 0
	ds_load_b64 v[56:57], v56 offset:16
	s_wait_dscnt 0x0
	v_mul_f32_e32 v61, v54, v57
	v_mul_f32_e32 v58, v55, v57
	s_delay_alu instid0(VALU_DEP_2) | instskip(NEXT) | instid1(VALU_DEP_2)
	v_fma_f32 v57, v55, v56, -v61
	v_fmac_f32_e32 v58, v54, v56
	scratch_store_b64 off, v[57:58], off offset:16
.LBB89_23:
	s_wait_alu 0xfffe
	s_or_b32 exec_lo, exec_lo, s1
	s_wait_loadcnt 0x0
	s_wait_storecnt 0x0
	s_barrier_signal -1
	s_barrier_wait -1
	global_inv scope:SCOPE_SE
	scratch_load_b64 v[55:56], off, off offset:24
	v_add_nc_u32_e32 v54, -1, v0
	s_mov_b32 s0, exec_lo
	s_wait_loadcnt 0x0
	ds_store_b64 v53, v[55:56]
	s_wait_dscnt 0x0
	s_barrier_signal -1
	s_barrier_wait -1
	global_inv scope:SCOPE_SE
	v_cmpx_gt_u32_e32 3, v0
	s_cbranch_execz .LBB89_27
; %bb.24:
	v_dual_mov_b32 v55, 0 :: v_dual_add_nc_u32 v56, -1, v0
	v_dual_mov_b32 v58, v59 :: v_dual_add_nc_u32 v57, 0xd0, v59
	v_mov_b32_e32 v61, 0
	s_mov_b32 s1, 0
.LBB89_25:                              ; =>This Inner Loop Header: Depth=1
	scratch_load_b64 v[62:63], v58, off
	ds_load_b64 v[64:65], v57
	v_add_nc_u32_e32 v56, 1, v56
	v_add_nc_u32_e32 v57, 8, v57
	s_delay_alu instid0(VALU_DEP_2)
	v_cmp_lt_u32_e32 vcc_lo, 1, v56
	s_wait_alu 0xfffe
	s_or_b32 s1, vcc_lo, s1
	s_wait_loadcnt_dscnt 0x0
	v_mul_f32_e32 v66, v65, v63
	v_mul_f32_e32 v63, v64, v63
	s_delay_alu instid0(VALU_DEP_2) | instskip(NEXT) | instid1(VALU_DEP_2)
	v_fma_f32 v64, v64, v62, -v66
	v_fmac_f32_e32 v63, v65, v62
	s_delay_alu instid0(VALU_DEP_2) | instskip(NEXT) | instid1(VALU_DEP_2)
	v_dual_add_f32 v61, v61, v64 :: v_dual_add_nc_u32 v58, 8, v58
	v_add_f32_e32 v55, v55, v63
	s_wait_alu 0xfffe
	s_and_not1_b32 exec_lo, exec_lo, s1
	s_cbranch_execnz .LBB89_25
; %bb.26:
	s_or_b32 exec_lo, exec_lo, s1
	v_mov_b32_e32 v56, 0
	ds_load_b64 v[56:57], v56 offset:24
	s_wait_dscnt 0x0
	v_mul_f32_e32 v62, v55, v57
	v_mul_f32_e32 v58, v61, v57
	s_delay_alu instid0(VALU_DEP_2) | instskip(NEXT) | instid1(VALU_DEP_2)
	v_fma_f32 v57, v61, v56, -v62
	v_fmac_f32_e32 v58, v55, v56
	scratch_store_b64 off, v[57:58], off offset:24
.LBB89_27:
	s_wait_alu 0xfffe
	s_or_b32 exec_lo, exec_lo, s0
	s_wait_loadcnt 0x0
	s_wait_storecnt 0x0
	s_barrier_signal -1
	s_barrier_wait -1
	global_inv scope:SCOPE_SE
	scratch_load_b64 v[55:56], off, off offset:32
	s_mov_b32 s0, exec_lo
	s_wait_loadcnt 0x0
	ds_store_b64 v53, v[55:56]
	s_wait_dscnt 0x0
	s_barrier_signal -1
	s_barrier_wait -1
	global_inv scope:SCOPE_SE
	v_cmpx_gt_u32_e32 4, v0
	s_cbranch_execz .LBB89_31
; %bb.28:
	v_dual_mov_b32 v55, 0 :: v_dual_add_nc_u32 v56, -1, v0
	v_dual_mov_b32 v58, v59 :: v_dual_add_nc_u32 v57, 0xd0, v59
	v_mov_b32_e32 v61, 0
	s_mov_b32 s1, 0
.LBB89_29:                              ; =>This Inner Loop Header: Depth=1
	scratch_load_b64 v[62:63], v58, off
	ds_load_b64 v[64:65], v57
	v_add_nc_u32_e32 v56, 1, v56
	v_add_nc_u32_e32 v57, 8, v57
	s_delay_alu instid0(VALU_DEP_2)
	v_cmp_lt_u32_e32 vcc_lo, 2, v56
	s_wait_alu 0xfffe
	s_or_b32 s1, vcc_lo, s1
	s_wait_loadcnt_dscnt 0x0
	v_mul_f32_e32 v66, v65, v63
	v_mul_f32_e32 v63, v64, v63
	s_delay_alu instid0(VALU_DEP_2) | instskip(NEXT) | instid1(VALU_DEP_2)
	v_fma_f32 v64, v64, v62, -v66
	v_fmac_f32_e32 v63, v65, v62
	s_delay_alu instid0(VALU_DEP_2) | instskip(NEXT) | instid1(VALU_DEP_2)
	v_dual_add_f32 v61, v61, v64 :: v_dual_add_nc_u32 v58, 8, v58
	v_add_f32_e32 v55, v55, v63
	s_wait_alu 0xfffe
	s_and_not1_b32 exec_lo, exec_lo, s1
	s_cbranch_execnz .LBB89_29
; %bb.30:
	s_or_b32 exec_lo, exec_lo, s1
	v_mov_b32_e32 v56, 0
	ds_load_b64 v[56:57], v56 offset:32
	s_wait_dscnt 0x0
	v_mul_f32_e32 v62, v55, v57
	v_mul_f32_e32 v58, v61, v57
	s_delay_alu instid0(VALU_DEP_2) | instskip(NEXT) | instid1(VALU_DEP_2)
	v_fma_f32 v57, v61, v56, -v62
	v_fmac_f32_e32 v58, v55, v56
	scratch_store_b64 off, v[57:58], off offset:32
.LBB89_31:
	s_wait_alu 0xfffe
	s_or_b32 exec_lo, exec_lo, s0
	s_wait_loadcnt 0x0
	s_wait_storecnt 0x0
	s_barrier_signal -1
	s_barrier_wait -1
	global_inv scope:SCOPE_SE
	scratch_load_b64 v[55:56], off, off offset:40
	;; [unrolled: 55-line block ×19, first 2 shown]
	s_mov_b32 s0, exec_lo
	s_wait_loadcnt 0x0
	ds_store_b64 v53, v[55:56]
	s_wait_dscnt 0x0
	s_barrier_signal -1
	s_barrier_wait -1
	global_inv scope:SCOPE_SE
	v_cmpx_gt_u32_e32 22, v0
	s_cbranch_execz .LBB89_103
; %bb.100:
	v_dual_mov_b32 v55, 0 :: v_dual_add_nc_u32 v56, -1, v0
	v_dual_mov_b32 v58, v59 :: v_dual_add_nc_u32 v57, 0xd0, v59
	v_mov_b32_e32 v61, 0
	s_mov_b32 s1, 0
.LBB89_101:                             ; =>This Inner Loop Header: Depth=1
	scratch_load_b64 v[62:63], v58, off
	ds_load_b64 v[64:65], v57
	v_add_nc_u32_e32 v56, 1, v56
	v_add_nc_u32_e32 v57, 8, v57
	s_delay_alu instid0(VALU_DEP_2)
	v_cmp_lt_u32_e32 vcc_lo, 20, v56
	s_wait_alu 0xfffe
	s_or_b32 s1, vcc_lo, s1
	s_wait_loadcnt_dscnt 0x0
	v_mul_f32_e32 v66, v65, v63
	v_mul_f32_e32 v63, v64, v63
	s_delay_alu instid0(VALU_DEP_2) | instskip(NEXT) | instid1(VALU_DEP_2)
	v_fma_f32 v64, v64, v62, -v66
	v_fmac_f32_e32 v63, v65, v62
	s_delay_alu instid0(VALU_DEP_2) | instskip(NEXT) | instid1(VALU_DEP_2)
	v_dual_add_f32 v61, v61, v64 :: v_dual_add_nc_u32 v58, 8, v58
	v_add_f32_e32 v55, v55, v63
	s_wait_alu 0xfffe
	s_and_not1_b32 exec_lo, exec_lo, s1
	s_cbranch_execnz .LBB89_101
; %bb.102:
	s_or_b32 exec_lo, exec_lo, s1
	v_mov_b32_e32 v56, 0
	ds_load_b64 v[56:57], v56 offset:176
	s_wait_dscnt 0x0
	v_mul_f32_e32 v62, v55, v57
	v_mul_f32_e32 v58, v61, v57
	s_delay_alu instid0(VALU_DEP_2) | instskip(NEXT) | instid1(VALU_DEP_2)
	v_fma_f32 v57, v61, v56, -v62
	v_fmac_f32_e32 v58, v55, v56
	scratch_store_b64 off, v[57:58], off offset:176
.LBB89_103:
	s_wait_alu 0xfffe
	s_or_b32 exec_lo, exec_lo, s0
	s_wait_loadcnt 0x0
	s_wait_storecnt 0x0
	s_barrier_signal -1
	s_barrier_wait -1
	global_inv scope:SCOPE_SE
	scratch_load_b64 v[55:56], off, off offset:184
	s_mov_b32 s0, exec_lo
	s_wait_loadcnt 0x0
	ds_store_b64 v53, v[55:56]
	s_wait_dscnt 0x0
	s_barrier_signal -1
	s_barrier_wait -1
	global_inv scope:SCOPE_SE
	v_cmpx_gt_u32_e32 23, v0
	s_cbranch_execz .LBB89_107
; %bb.104:
	v_dual_mov_b32 v55, 0 :: v_dual_add_nc_u32 v56, -1, v0
	v_dual_mov_b32 v58, v59 :: v_dual_add_nc_u32 v57, 0xd0, v59
	v_mov_b32_e32 v61, 0
	s_mov_b32 s1, 0
.LBB89_105:                             ; =>This Inner Loop Header: Depth=1
	scratch_load_b64 v[62:63], v58, off
	ds_load_b64 v[64:65], v57
	v_add_nc_u32_e32 v56, 1, v56
	v_add_nc_u32_e32 v57, 8, v57
	s_delay_alu instid0(VALU_DEP_2)
	v_cmp_lt_u32_e32 vcc_lo, 21, v56
	s_wait_alu 0xfffe
	s_or_b32 s1, vcc_lo, s1
	s_wait_loadcnt_dscnt 0x0
	v_mul_f32_e32 v66, v65, v63
	v_mul_f32_e32 v63, v64, v63
	s_delay_alu instid0(VALU_DEP_2) | instskip(NEXT) | instid1(VALU_DEP_2)
	v_fma_f32 v64, v64, v62, -v66
	v_fmac_f32_e32 v63, v65, v62
	s_delay_alu instid0(VALU_DEP_2) | instskip(NEXT) | instid1(VALU_DEP_2)
	v_dual_add_f32 v61, v61, v64 :: v_dual_add_nc_u32 v58, 8, v58
	v_add_f32_e32 v55, v55, v63
	s_wait_alu 0xfffe
	s_and_not1_b32 exec_lo, exec_lo, s1
	s_cbranch_execnz .LBB89_105
; %bb.106:
	s_or_b32 exec_lo, exec_lo, s1
	v_mov_b32_e32 v56, 0
	ds_load_b64 v[56:57], v56 offset:184
	s_wait_dscnt 0x0
	v_mul_f32_e32 v62, v55, v57
	v_mul_f32_e32 v58, v61, v57
	s_delay_alu instid0(VALU_DEP_2) | instskip(NEXT) | instid1(VALU_DEP_2)
	v_fma_f32 v57, v61, v56, -v62
	v_fmac_f32_e32 v58, v55, v56
	scratch_store_b64 off, v[57:58], off offset:184
.LBB89_107:
	s_wait_alu 0xfffe
	s_or_b32 exec_lo, exec_lo, s0
	s_wait_loadcnt 0x0
	s_wait_storecnt 0x0
	s_barrier_signal -1
	s_barrier_wait -1
	global_inv scope:SCOPE_SE
	scratch_load_b64 v[55:56], off, off offset:192
	s_mov_b32 s0, exec_lo
	s_wait_loadcnt 0x0
	ds_store_b64 v53, v[55:56]
	s_wait_dscnt 0x0
	s_barrier_signal -1
	s_barrier_wait -1
	global_inv scope:SCOPE_SE
	v_cmpx_gt_u32_e32 24, v0
	s_cbranch_execz .LBB89_111
; %bb.108:
	v_dual_mov_b32 v55, 0 :: v_dual_add_nc_u32 v56, -1, v0
	v_dual_mov_b32 v58, v59 :: v_dual_add_nc_u32 v57, 0xd0, v59
	v_mov_b32_e32 v59, 0
	s_mov_b32 s1, 0
.LBB89_109:                             ; =>This Inner Loop Header: Depth=1
	scratch_load_b64 v[61:62], v58, off
	ds_load_b64 v[63:64], v57
	v_add_nc_u32_e32 v58, 8, v58
	v_add_nc_u32_e32 v56, 1, v56
	;; [unrolled: 1-line block ×3, first 2 shown]
	s_delay_alu instid0(VALU_DEP_2)
	v_cmp_lt_u32_e32 vcc_lo, 22, v56
	s_wait_alu 0xfffe
	s_or_b32 s1, vcc_lo, s1
	s_wait_loadcnt_dscnt 0x0
	v_mul_f32_e32 v65, v64, v62
	v_mul_f32_e32 v62, v63, v62
	s_delay_alu instid0(VALU_DEP_2) | instskip(NEXT) | instid1(VALU_DEP_1)
	v_fma_f32 v63, v63, v61, -v65
	v_dual_fmac_f32 v62, v64, v61 :: v_dual_add_f32 v59, v59, v63
	s_delay_alu instid0(VALU_DEP_1)
	v_add_f32_e32 v55, v55, v62
	s_wait_alu 0xfffe
	s_and_not1_b32 exec_lo, exec_lo, s1
	s_cbranch_execnz .LBB89_109
; %bb.110:
	s_or_b32 exec_lo, exec_lo, s1
	v_mov_b32_e32 v56, 0
	ds_load_b64 v[56:57], v56 offset:192
	s_wait_dscnt 0x0
	v_mul_f32_e32 v61, v55, v57
	v_mul_f32_e32 v58, v59, v57
	s_delay_alu instid0(VALU_DEP_2) | instskip(NEXT) | instid1(VALU_DEP_2)
	v_fma_f32 v57, v59, v56, -v61
	v_fmac_f32_e32 v58, v55, v56
	scratch_store_b64 off, v[57:58], off offset:192
.LBB89_111:
	s_wait_alu 0xfffe
	s_or_b32 exec_lo, exec_lo, s0
	s_wait_loadcnt 0x0
	s_wait_storecnt 0x0
	s_barrier_signal -1
	s_barrier_wait -1
	global_inv scope:SCOPE_SE
	scratch_load_b64 v[55:56], off, off offset:200
	s_mov_b32 s0, exec_lo
	s_wait_loadcnt 0x0
	ds_store_b64 v53, v[55:56]
	s_wait_dscnt 0x0
	s_barrier_signal -1
	s_barrier_wait -1
	global_inv scope:SCOPE_SE
	v_cmpx_ne_u32_e32 25, v0
	s_cbranch_execz .LBB89_115
; %bb.112:
	v_dual_mov_b32 v55, 0 :: v_dual_mov_b32 v56, 0
	s_mov_b32 s1, 0
.LBB89_113:                             ; =>This Inner Loop Header: Depth=1
	scratch_load_b64 v[57:58], v60, off
	ds_load_b64 v[61:62], v53
	v_add_nc_u32_e32 v54, 1, v54
	v_add_nc_u32_e32 v53, 8, v53
	;; [unrolled: 1-line block ×3, first 2 shown]
	s_delay_alu instid0(VALU_DEP_3)
	v_cmp_lt_u32_e32 vcc_lo, 23, v54
	s_wait_alu 0xfffe
	s_or_b32 s1, vcc_lo, s1
	s_wait_loadcnt_dscnt 0x0
	v_mul_f32_e32 v59, v62, v58
	v_mul_f32_e32 v58, v61, v58
	s_delay_alu instid0(VALU_DEP_2) | instskip(NEXT) | instid1(VALU_DEP_2)
	v_fma_f32 v59, v61, v57, -v59
	v_fmac_f32_e32 v58, v62, v57
	s_delay_alu instid0(VALU_DEP_1)
	v_dual_add_f32 v56, v56, v59 :: v_dual_add_f32 v55, v55, v58
	s_wait_alu 0xfffe
	s_and_not1_b32 exec_lo, exec_lo, s1
	s_cbranch_execnz .LBB89_113
; %bb.114:
	s_or_b32 exec_lo, exec_lo, s1
	v_mov_b32_e32 v53, 0
	ds_load_b64 v[53:54], v53 offset:200
	s_wait_dscnt 0x0
	v_mul_f32_e32 v58, v55, v54
	v_mul_f32_e32 v57, v56, v54
	s_delay_alu instid0(VALU_DEP_2) | instskip(NEXT) | instid1(VALU_DEP_2)
	v_fma_f32 v56, v56, v53, -v58
	v_fmac_f32_e32 v57, v55, v53
	scratch_store_b64 off, v[56:57], off offset:200
.LBB89_115:
	s_wait_alu 0xfffe
	s_or_b32 exec_lo, exec_lo, s0
	s_mov_b32 s1, -1
	s_wait_loadcnt 0x0
	s_wait_storecnt 0x0
	s_barrier_signal -1
	s_barrier_wait -1
	global_inv scope:SCOPE_SE
.LBB89_116:
	s_wait_alu 0xfffe
	s_and_b32 vcc_lo, exec_lo, s1
	s_wait_alu 0xfffe
	s_cbranch_vccz .LBB89_118
; %bb.117:
	v_mov_b32_e32 v53, 0
	s_lshl_b64 s[0:1], s[8:9], 2
	s_wait_alu 0xfffe
	s_add_nc_u64 s[0:1], s[6:7], s[0:1]
	global_load_b32 v53, v53, s[0:1]
	s_wait_loadcnt 0x0
	v_cmp_ne_u32_e32 vcc_lo, 0, v53
	s_cbranch_vccz .LBB89_119
.LBB89_118:
	s_nop 0
	s_sendmsg sendmsg(MSG_DEALLOC_VGPRS)
	s_endpgm
.LBB89_119:
	v_lshl_add_u32 v55, v0, 3, 0xd0
	s_mov_b32 s0, exec_lo
	v_cmpx_eq_u32_e32 25, v0
	s_cbranch_execz .LBB89_121
; %bb.120:
	scratch_load_b64 v[53:54], off, off offset:192
	v_mov_b32_e32 v56, 0
	s_delay_alu instid0(VALU_DEP_1)
	v_mov_b32_e32 v57, v56
	scratch_store_b64 off, v[56:57], off offset:192
	s_wait_loadcnt 0x0
	ds_store_b64 v55, v[53:54]
.LBB89_121:
	s_wait_alu 0xfffe
	s_or_b32 exec_lo, exec_lo, s0
	s_wait_storecnt_dscnt 0x0
	s_barrier_signal -1
	s_barrier_wait -1
	global_inv scope:SCOPE_SE
	s_clause 0x1
	scratch_load_b64 v[56:57], off, off offset:200
	scratch_load_b64 v[58:59], off, off offset:192
	v_mov_b32_e32 v53, 0
	s_mov_b32 s0, exec_lo
	ds_load_b64 v[60:61], v53 offset:408
	s_wait_loadcnt_dscnt 0x100
	v_mul_f32_e32 v54, v61, v57
	s_delay_alu instid0(VALU_DEP_1) | instskip(NEXT) | instid1(VALU_DEP_1)
	v_fma_f32 v54, v60, v56, -v54
	v_dual_mul_f32 v57, v60, v57 :: v_dual_add_f32 v54, 0, v54
	s_wait_loadcnt 0x0
	s_delay_alu instid0(VALU_DEP_1) | instskip(NEXT) | instid1(VALU_DEP_1)
	v_dual_fmac_f32 v57, v61, v56 :: v_dual_sub_f32 v56, v58, v54
	v_add_f32_e32 v57, 0, v57
	s_delay_alu instid0(VALU_DEP_1)
	v_sub_f32_e32 v57, v59, v57
	scratch_store_b64 off, v[56:57], off offset:192
	v_cmpx_lt_u32_e32 23, v0
	s_cbranch_execz .LBB89_123
; %bb.122:
	scratch_load_b64 v[56:57], off, off offset:184
	v_mov_b32_e32 v54, v53
	scratch_store_b64 off, v[53:54], off offset:184
	s_wait_loadcnt 0x0
	ds_store_b64 v55, v[56:57]
.LBB89_123:
	s_wait_alu 0xfffe
	s_or_b32 exec_lo, exec_lo, s0
	s_wait_storecnt_dscnt 0x0
	s_barrier_signal -1
	s_barrier_wait -1
	global_inv scope:SCOPE_SE
	s_clause 0x1
	scratch_load_b128 v[56:59], off, off offset:192
	scratch_load_b64 v[64:65], off, off offset:184
	ds_load_b128 v[60:63], v53 offset:400
	s_mov_b32 s0, exec_lo
	s_wait_loadcnt_dscnt 0x100
	v_mul_f32_e32 v54, v60, v57
	s_delay_alu instid0(VALU_DEP_1) | instskip(SKIP_2) | instid1(VALU_DEP_1)
	v_fmac_f32_e32 v54, v61, v56
	v_mul_f32_e32 v53, v61, v57
	v_mul_f32_e32 v57, v62, v59
	v_fmac_f32_e32 v57, v63, v58
	s_delay_alu instid0(VALU_DEP_4) | instskip(NEXT) | instid1(VALU_DEP_4)
	v_dual_add_f32 v54, 0, v54 :: v_dual_mul_f32 v59, v63, v59
	v_fma_f32 v53, v60, v56, -v53
	s_delay_alu instid0(VALU_DEP_2) | instskip(NEXT) | instid1(VALU_DEP_3)
	v_add_f32_e32 v54, v54, v57
	v_fma_f32 v56, v62, v58, -v59
	s_wait_loadcnt 0x0
	s_delay_alu instid0(VALU_DEP_2) | instskip(NEXT) | instid1(VALU_DEP_1)
	v_dual_add_f32 v53, 0, v53 :: v_dual_sub_f32 v54, v65, v54
	v_add_f32_e32 v53, v53, v56
	s_delay_alu instid0(VALU_DEP_1)
	v_sub_f32_e32 v53, v64, v53
	scratch_store_b64 off, v[53:54], off offset:184
	v_cmpx_lt_u32_e32 22, v0
	s_cbranch_execz .LBB89_125
; %bb.124:
	scratch_load_b64 v[53:54], off, off offset:176
	v_mov_b32_e32 v56, 0
	s_delay_alu instid0(VALU_DEP_1)
	v_mov_b32_e32 v57, v56
	scratch_store_b64 off, v[56:57], off offset:176
	s_wait_loadcnt 0x0
	ds_store_b64 v55, v[53:54]
.LBB89_125:
	s_wait_alu 0xfffe
	s_or_b32 exec_lo, exec_lo, s0
	s_wait_storecnt_dscnt 0x0
	s_barrier_signal -1
	s_barrier_wait -1
	global_inv scope:SCOPE_SE
	s_clause 0x2
	scratch_load_b128 v[56:59], off, off offset:184
	scratch_load_b64 v[64:65], off, off offset:200
	scratch_load_b64 v[66:67], off, off offset:176
	v_mov_b32_e32 v53, 0
	ds_load_2addr_b64 v[60:63], v53 offset0:49 offset1:50
	ds_load_b64 v[68:69], v53 offset:408
	s_mov_b32 s0, exec_lo
	s_wait_loadcnt_dscnt 0x201
	v_mul_f32_e32 v54, v61, v57
	v_dual_mul_f32 v57, v60, v57 :: v_dual_mul_f32 v70, v62, v59
	v_mul_f32_e32 v59, v63, v59
	s_wait_loadcnt_dscnt 0x100
	v_mul_f32_e32 v71, v68, v65
	v_fma_f32 v54, v60, v56, -v54
	v_fmac_f32_e32 v57, v61, v56
	v_mul_f32_e32 v56, v69, v65
	v_fmac_f32_e32 v70, v63, v58
	v_fma_f32 v58, v62, v58, -v59
	s_delay_alu instid0(VALU_DEP_4) | instskip(NEXT) | instid1(VALU_DEP_4)
	v_dual_add_f32 v54, 0, v54 :: v_dual_add_f32 v57, 0, v57
	v_fma_f32 v56, v68, v64, -v56
	s_delay_alu instid0(VALU_DEP_2) | instskip(NEXT) | instid1(VALU_DEP_1)
	v_add_f32_e32 v54, v54, v58
	v_dual_add_f32 v57, v57, v70 :: v_dual_add_f32 v54, v54, v56
	s_wait_loadcnt 0x0
	s_delay_alu instid0(VALU_DEP_1) | instskip(NEXT) | instid1(VALU_DEP_1)
	v_dual_fmac_f32 v71, v69, v64 :: v_dual_sub_f32 v56, v66, v54
	v_add_f32_e32 v57, v57, v71
	s_delay_alu instid0(VALU_DEP_1)
	v_sub_f32_e32 v57, v67, v57
	scratch_store_b64 off, v[56:57], off offset:176
	v_cmpx_lt_u32_e32 21, v0
	s_cbranch_execz .LBB89_127
; %bb.126:
	scratch_load_b64 v[56:57], off, off offset:168
	v_mov_b32_e32 v54, v53
	scratch_store_b64 off, v[53:54], off offset:168
	s_wait_loadcnt 0x0
	ds_store_b64 v55, v[56:57]
.LBB89_127:
	s_wait_alu 0xfffe
	s_or_b32 exec_lo, exec_lo, s0
	s_wait_storecnt_dscnt 0x0
	s_barrier_signal -1
	s_barrier_wait -1
	global_inv scope:SCOPE_SE
	s_clause 0x2
	scratch_load_b128 v[56:59], off, off offset:176
	scratch_load_b128 v[60:63], off, off offset:192
	scratch_load_b64 v[72:73], off, off offset:168
	ds_load_b128 v[64:67], v53 offset:384
	ds_load_b128 v[68:71], v53 offset:400
	s_mov_b32 s0, exec_lo
	s_wait_loadcnt_dscnt 0x201
	v_mul_f32_e32 v54, v65, v57
	s_wait_loadcnt_dscnt 0x100
	v_dual_mul_f32 v74, v68, v61 :: v_dual_mul_f32 v75, v70, v63
	s_delay_alu instid0(VALU_DEP_2) | instskip(SKIP_2) | instid1(VALU_DEP_4)
	v_fma_f32 v54, v64, v56, -v54
	v_mul_f32_e32 v53, v64, v57
	v_mul_f32_e32 v57, v66, v59
	v_dual_mul_f32 v59, v67, v59 :: v_dual_fmac_f32 v74, v69, v60
	s_delay_alu instid0(VALU_DEP_3) | instskip(NEXT) | instid1(VALU_DEP_3)
	v_dual_add_f32 v54, 0, v54 :: v_dual_fmac_f32 v53, v65, v56
	v_dual_mul_f32 v56, v69, v61 :: v_dual_fmac_f32 v57, v67, v58
	s_delay_alu instid0(VALU_DEP_3) | instskip(SKIP_1) | instid1(VALU_DEP_3)
	v_fma_f32 v58, v66, v58, -v59
	v_fmac_f32_e32 v75, v71, v62
	v_fma_f32 v56, v68, v60, -v56
	s_delay_alu instid0(VALU_DEP_3) | instskip(NEXT) | instid1(VALU_DEP_1)
	v_dual_add_f32 v54, v54, v58 :: v_dual_add_f32 v53, 0, v53
	v_dual_add_f32 v54, v54, v56 :: v_dual_mul_f32 v59, v71, v63
	s_delay_alu instid0(VALU_DEP_2) | instskip(NEXT) | instid1(VALU_DEP_2)
	v_add_f32_e32 v53, v53, v57
	v_fma_f32 v57, v70, v62, -v59
	s_delay_alu instid0(VALU_DEP_1) | instskip(SKIP_1) | instid1(VALU_DEP_1)
	v_dual_add_f32 v53, v53, v74 :: v_dual_add_f32 v54, v54, v57
	s_wait_loadcnt 0x0
	v_dual_add_f32 v56, v53, v75 :: v_dual_sub_f32 v53, v72, v54
	s_delay_alu instid0(VALU_DEP_1)
	v_sub_f32_e32 v54, v73, v56
	scratch_store_b64 off, v[53:54], off offset:168
	v_cmpx_lt_u32_e32 20, v0
	s_cbranch_execz .LBB89_129
; %bb.128:
	scratch_load_b64 v[53:54], off, off offset:160
	v_mov_b32_e32 v56, 0
	s_delay_alu instid0(VALU_DEP_1)
	v_mov_b32_e32 v57, v56
	scratch_store_b64 off, v[56:57], off offset:160
	s_wait_loadcnt 0x0
	ds_store_b64 v55, v[53:54]
.LBB89_129:
	s_wait_alu 0xfffe
	s_or_b32 exec_lo, exec_lo, s0
	s_wait_storecnt_dscnt 0x0
	s_barrier_signal -1
	s_barrier_wait -1
	global_inv scope:SCOPE_SE
	s_clause 0x3
	scratch_load_b128 v[56:59], off, off offset:168
	scratch_load_b128 v[60:63], off, off offset:184
	scratch_load_b64 v[72:73], off, off offset:200
	scratch_load_b64 v[74:75], off, off offset:160
	v_mov_b32_e32 v53, 0
	ds_load_2addr_b64 v[64:67], v53 offset0:47 offset1:48
	ds_load_2addr_b64 v[68:71], v53 offset0:49 offset1:50
	ds_load_b64 v[76:77], v53 offset:408
	s_mov_b32 s0, exec_lo
	s_wait_loadcnt_dscnt 0x302
	v_mul_f32_e32 v54, v64, v57
	v_dual_mul_f32 v78, v66, v59 :: v_dual_mul_f32 v57, v65, v57
	s_wait_loadcnt_dscnt 0x100
	v_mul_f32_e32 v81, v76, v73
	v_dual_mul_f32 v79, v68, v61 :: v_dual_mul_f32 v80, v70, v63
	v_dual_fmac_f32 v54, v65, v56 :: v_dual_mul_f32 v59, v67, v59
	v_fma_f32 v57, v64, v56, -v57
	v_fmac_f32_e32 v78, v67, v58
	v_mul_f32_e32 v56, v69, v61
	s_delay_alu instid0(VALU_DEP_4) | instskip(SKIP_3) | instid1(VALU_DEP_4)
	v_add_f32_e32 v54, 0, v54
	v_fma_f32 v58, v66, v58, -v59
	v_add_f32_e32 v57, 0, v57
	v_mul_f32_e32 v59, v71, v63
	v_dual_fmac_f32 v79, v69, v60 :: v_dual_add_f32 v54, v54, v78
	v_dual_fmac_f32 v80, v71, v62 :: v_dual_fmac_f32 v81, v77, v72
	s_delay_alu instid0(VALU_DEP_4) | instskip(SKIP_1) | instid1(VALU_DEP_4)
	v_add_f32_e32 v57, v57, v58
	v_fma_f32 v56, v68, v60, -v56
	v_add_f32_e32 v54, v54, v79
	v_fma_f32 v59, v70, v62, -v59
	s_delay_alu instid0(VALU_DEP_3) | instskip(NEXT) | instid1(VALU_DEP_3)
	v_add_f32_e32 v56, v57, v56
	v_add_f32_e32 v54, v54, v80
	s_delay_alu instid0(VALU_DEP_2) | instskip(NEXT) | instid1(VALU_DEP_2)
	v_add_f32_e32 v56, v56, v59
	v_add_f32_e32 v54, v54, v81
	v_mul_f32_e32 v58, v77, v73
	s_delay_alu instid0(VALU_DEP_1) | instskip(SKIP_1) | instid1(VALU_DEP_1)
	v_fma_f32 v57, v76, v72, -v58
	s_wait_loadcnt 0x0
	v_dual_add_f32 v56, v56, v57 :: v_dual_sub_f32 v57, v75, v54
	s_delay_alu instid0(VALU_DEP_1)
	v_sub_f32_e32 v56, v74, v56
	scratch_store_b64 off, v[56:57], off offset:160
	v_cmpx_lt_u32_e32 19, v0
	s_cbranch_execz .LBB89_131
; %bb.130:
	scratch_load_b64 v[56:57], off, off offset:152
	v_mov_b32_e32 v54, v53
	scratch_store_b64 off, v[53:54], off offset:152
	s_wait_loadcnt 0x0
	ds_store_b64 v55, v[56:57]
.LBB89_131:
	s_wait_alu 0xfffe
	s_or_b32 exec_lo, exec_lo, s0
	s_wait_storecnt_dscnt 0x0
	s_barrier_signal -1
	s_barrier_wait -1
	global_inv scope:SCOPE_SE
	s_clause 0x3
	scratch_load_b128 v[56:59], off, off offset:160
	scratch_load_b128 v[60:63], off, off offset:176
	;; [unrolled: 1-line block ×3, first 2 shown]
	scratch_load_b64 v[80:81], off, off offset:152
	ds_load_b128 v[68:71], v53 offset:368
	ds_load_b128 v[72:75], v53 offset:384
	ds_load_b128 v[76:79], v53 offset:400
	s_mov_b32 s0, exec_lo
	s_wait_loadcnt_dscnt 0x302
	v_dual_mul_f32 v53, v68, v57 :: v_dual_mul_f32 v54, v70, v59
	v_mul_f32_e32 v57, v69, v57
	s_wait_loadcnt_dscnt 0x201
	v_dual_mul_f32 v59, v71, v59 :: v_dual_mul_f32 v82, v72, v61
	s_delay_alu instid0(VALU_DEP_3) | instskip(NEXT) | instid1(VALU_DEP_3)
	v_dual_mul_f32 v83, v74, v63 :: v_dual_fmac_f32 v54, v71, v58
	v_fma_f32 v57, v68, v56, -v57
	v_fmac_f32_e32 v53, v69, v56
	v_mul_f32_e32 v56, v73, v61
	v_fma_f32 v58, v70, v58, -v59
	v_mul_f32_e32 v59, v75, v63
	v_dual_add_f32 v57, 0, v57 :: v_dual_fmac_f32 v82, v73, v60
	s_delay_alu instid0(VALU_DEP_4) | instskip(SKIP_2) | instid1(VALU_DEP_3)
	v_fma_f32 v56, v72, v60, -v56
	s_wait_loadcnt_dscnt 0x100
	v_dual_mul_f32 v84, v76, v65 :: v_dual_mul_f32 v85, v78, v67
	v_add_f32_e32 v57, v57, v58
	v_fmac_f32_e32 v83, v75, v62
	v_fma_f32 v58, v74, v62, -v59
	s_delay_alu instid0(VALU_DEP_4) | instskip(NEXT) | instid1(VALU_DEP_4)
	v_dual_fmac_f32 v84, v77, v64 :: v_dual_fmac_f32 v85, v79, v66
	v_add_f32_e32 v56, v57, v56
	s_delay_alu instid0(VALU_DEP_1) | instskip(SKIP_1) | instid1(VALU_DEP_1)
	v_dual_add_f32 v56, v56, v58 :: v_dual_add_f32 v53, 0, v53
	v_mul_f32_e32 v57, v79, v67
	v_fma_f32 v57, v78, v66, -v57
	s_delay_alu instid0(VALU_DEP_3) | instskip(SKIP_1) | instid1(VALU_DEP_1)
	v_add_f32_e32 v53, v53, v54
	v_mul_f32_e32 v54, v77, v65
	v_fma_f32 v54, v76, v64, -v54
	s_delay_alu instid0(VALU_DEP_1) | instskip(NEXT) | instid1(VALU_DEP_1)
	v_add_f32_e32 v54, v56, v54
	v_dual_add_f32 v54, v54, v57 :: v_dual_add_f32 v53, v53, v82
	s_delay_alu instid0(VALU_DEP_1) | instskip(NEXT) | instid1(VALU_DEP_1)
	v_add_f32_e32 v53, v53, v83
	v_add_f32_e32 v53, v53, v84
	s_wait_loadcnt 0x0
	s_delay_alu instid0(VALU_DEP_1) | instskip(NEXT) | instid1(VALU_DEP_1)
	v_dual_add_f32 v56, v53, v85 :: v_dual_sub_f32 v53, v80, v54
	v_sub_f32_e32 v54, v81, v56
	scratch_store_b64 off, v[53:54], off offset:152
	v_cmpx_lt_u32_e32 18, v0
	s_cbranch_execz .LBB89_133
; %bb.132:
	scratch_load_b64 v[53:54], off, off offset:144
	v_mov_b32_e32 v56, 0
	s_delay_alu instid0(VALU_DEP_1)
	v_mov_b32_e32 v57, v56
	scratch_store_b64 off, v[56:57], off offset:144
	s_wait_loadcnt 0x0
	ds_store_b64 v55, v[53:54]
.LBB89_133:
	s_wait_alu 0xfffe
	s_or_b32 exec_lo, exec_lo, s0
	s_wait_storecnt_dscnt 0x0
	s_barrier_signal -1
	s_barrier_wait -1
	global_inv scope:SCOPE_SE
	s_clause 0x4
	scratch_load_b128 v[56:59], off, off offset:152
	scratch_load_b128 v[60:63], off, off offset:168
	;; [unrolled: 1-line block ×3, first 2 shown]
	scratch_load_b64 v[80:81], off, off offset:200
	scratch_load_b64 v[82:83], off, off offset:144
	v_mov_b32_e32 v53, 0
	ds_load_2addr_b64 v[68:71], v53 offset0:45 offset1:46
	ds_load_2addr_b64 v[72:75], v53 offset0:47 offset1:48
	;; [unrolled: 1-line block ×3, first 2 shown]
	ds_load_b64 v[84:85], v53 offset:408
	s_mov_b32 s0, exec_lo
	s_wait_loadcnt_dscnt 0x403
	v_mul_f32_e32 v54, v68, v57
	s_wait_loadcnt_dscnt 0x302
	v_dual_mul_f32 v86, v70, v59 :: v_dual_mul_f32 v87, v72, v61
	v_dual_mul_f32 v88, v74, v63 :: v_dual_mul_f32 v57, v69, v57
	s_wait_loadcnt_dscnt 0x100
	v_dual_mul_f32 v91, v84, v81 :: v_dual_fmac_f32 v54, v69, v56
	v_mul_f32_e32 v59, v71, v59
	v_dual_mul_f32 v89, v76, v65 :: v_dual_mul_f32 v90, v78, v67
	v_fma_f32 v57, v68, v56, -v57
	v_fmac_f32_e32 v86, v71, v58
	v_add_f32_e32 v54, 0, v54
	v_mul_f32_e32 v56, v73, v61
	v_fma_f32 v58, v70, v58, -v59
	v_add_f32_e32 v57, 0, v57
	v_mul_f32_e32 v59, v75, v63
	v_dual_fmac_f32 v87, v73, v60 :: v_dual_add_f32 v54, v54, v86
	v_dual_fmac_f32 v88, v75, v62 :: v_dual_fmac_f32 v89, v77, v64
	s_delay_alu instid0(VALU_DEP_4) | instskip(SKIP_1) | instid1(VALU_DEP_4)
	v_add_f32_e32 v57, v57, v58
	v_dual_fmac_f32 v90, v79, v66 :: v_dual_fmac_f32 v91, v85, v80
	v_add_f32_e32 v54, v54, v87
	v_fma_f32 v56, v72, v60, -v56
	v_mul_f32_e32 v58, v77, v65
	v_fma_f32 v59, v74, v62, -v59
	s_delay_alu instid0(VALU_DEP_4) | instskip(NEXT) | instid1(VALU_DEP_1)
	v_add_f32_e32 v54, v54, v88
	v_add_f32_e32 v54, v54, v89
	s_delay_alu instid0(VALU_DEP_1) | instskip(NEXT) | instid1(VALU_DEP_1)
	v_add_f32_e32 v54, v54, v90
	v_add_f32_e32 v54, v54, v91
	v_dual_add_f32 v56, v57, v56 :: v_dual_mul_f32 v57, v79, v67
	v_fma_f32 v58, v76, v64, -v58
	s_delay_alu instid0(VALU_DEP_2) | instskip(NEXT) | instid1(VALU_DEP_3)
	v_dual_add_f32 v56, v56, v59 :: v_dual_mul_f32 v59, v85, v81
	v_fma_f32 v57, v78, v66, -v57
	s_delay_alu instid0(VALU_DEP_2) | instskip(NEXT) | instid1(VALU_DEP_3)
	v_add_f32_e32 v56, v56, v58
	v_fma_f32 v58, v84, v80, -v59
	s_wait_loadcnt 0x0
	s_delay_alu instid0(VALU_DEP_2) | instskip(NEXT) | instid1(VALU_DEP_1)
	v_dual_add_f32 v56, v56, v57 :: v_dual_sub_f32 v57, v83, v54
	v_add_f32_e32 v56, v56, v58
	s_delay_alu instid0(VALU_DEP_1)
	v_sub_f32_e32 v56, v82, v56
	scratch_store_b64 off, v[56:57], off offset:144
	v_cmpx_lt_u32_e32 17, v0
	s_cbranch_execz .LBB89_135
; %bb.134:
	scratch_load_b64 v[56:57], off, off offset:136
	v_mov_b32_e32 v54, v53
	scratch_store_b64 off, v[53:54], off offset:136
	s_wait_loadcnt 0x0
	ds_store_b64 v55, v[56:57]
.LBB89_135:
	s_wait_alu 0xfffe
	s_or_b32 exec_lo, exec_lo, s0
	s_wait_storecnt_dscnt 0x0
	s_barrier_signal -1
	s_barrier_wait -1
	global_inv scope:SCOPE_SE
	s_clause 0x4
	scratch_load_b128 v[56:59], off, off offset:144
	scratch_load_b128 v[60:63], off, off offset:160
	;; [unrolled: 1-line block ×4, first 2 shown]
	scratch_load_b64 v[88:89], off, off offset:136
	ds_load_b128 v[72:75], v53 offset:352
	ds_load_b128 v[76:79], v53 offset:368
	;; [unrolled: 1-line block ×4, first 2 shown]
	s_mov_b32 s0, exec_lo
	s_wait_loadcnt_dscnt 0x403
	v_dual_mul_f32 v53, v72, v57 :: v_dual_mul_f32 v54, v74, v59
	v_mul_f32_e32 v57, v73, v57
	s_wait_loadcnt_dscnt 0x302
	v_dual_mul_f32 v59, v75, v59 :: v_dual_mul_f32 v90, v76, v61
	s_delay_alu instid0(VALU_DEP_3) | instskip(NEXT) | instid1(VALU_DEP_3)
	v_dual_mul_f32 v91, v78, v63 :: v_dual_fmac_f32 v54, v75, v58
	v_fma_f32 v57, v72, v56, -v57
	v_fmac_f32_e32 v53, v73, v56
	v_mul_f32_e32 v56, v77, v61
	v_fma_f32 v58, v74, v58, -v59
	v_mul_f32_e32 v59, v79, v63
	v_dual_add_f32 v57, 0, v57 :: v_dual_fmac_f32 v90, v77, v60
	s_delay_alu instid0(VALU_DEP_4) | instskip(SKIP_2) | instid1(VALU_DEP_3)
	v_fma_f32 v56, v76, v60, -v56
	s_wait_loadcnt_dscnt 0x201
	v_dual_mul_f32 v92, v80, v65 :: v_dual_mul_f32 v93, v82, v67
	v_add_f32_e32 v57, v57, v58
	v_fmac_f32_e32 v91, v79, v62
	v_fma_f32 v58, v78, v62, -v59
	s_wait_loadcnt_dscnt 0x100
	v_dual_mul_f32 v94, v84, v69 :: v_dual_mul_f32 v95, v86, v71
	v_dual_add_f32 v56, v57, v56 :: v_dual_mul_f32 v57, v83, v67
	v_dual_fmac_f32 v92, v81, v64 :: v_dual_fmac_f32 v93, v83, v66
	s_delay_alu instid0(VALU_DEP_3) | instskip(NEXT) | instid1(VALU_DEP_3)
	v_fmac_f32_e32 v94, v85, v68
	v_dual_add_f32 v56, v56, v58 :: v_dual_add_f32 v53, 0, v53
	v_mul_f32_e32 v58, v85, v69
	v_fma_f32 v57, v82, v66, -v57
	v_fmac_f32_e32 v95, v87, v70
	s_delay_alu instid0(VALU_DEP_4) | instskip(SKIP_2) | instid1(VALU_DEP_2)
	v_add_f32_e32 v53, v53, v54
	v_mul_f32_e32 v54, v81, v65
	v_fma_f32 v58, v84, v68, -v58
	v_fma_f32 v54, v80, v64, -v54
	s_delay_alu instid0(VALU_DEP_1) | instskip(SKIP_1) | instid1(VALU_DEP_2)
	v_add_f32_e32 v54, v56, v54
	v_mul_f32_e32 v56, v87, v71
	v_add_f32_e32 v54, v54, v57
	s_delay_alu instid0(VALU_DEP_2) | instskip(NEXT) | instid1(VALU_DEP_2)
	v_fma_f32 v56, v86, v70, -v56
	v_add_f32_e32 v54, v54, v58
	s_delay_alu instid0(VALU_DEP_1) | instskip(NEXT) | instid1(VALU_DEP_1)
	v_dual_add_f32 v53, v53, v90 :: v_dual_add_f32 v54, v54, v56
	v_add_f32_e32 v53, v53, v91
	s_delay_alu instid0(VALU_DEP_1) | instskip(NEXT) | instid1(VALU_DEP_1)
	v_add_f32_e32 v53, v53, v92
	v_add_f32_e32 v53, v53, v93
	s_delay_alu instid0(VALU_DEP_1) | instskip(SKIP_1) | instid1(VALU_DEP_1)
	v_add_f32_e32 v53, v53, v94
	s_wait_loadcnt 0x0
	v_dual_add_f32 v56, v53, v95 :: v_dual_sub_f32 v53, v88, v54
	s_delay_alu instid0(VALU_DEP_1)
	v_sub_f32_e32 v54, v89, v56
	scratch_store_b64 off, v[53:54], off offset:136
	v_cmpx_lt_u32_e32 16, v0
	s_cbranch_execz .LBB89_137
; %bb.136:
	scratch_load_b64 v[53:54], off, off offset:128
	v_mov_b32_e32 v56, 0
	s_delay_alu instid0(VALU_DEP_1)
	v_mov_b32_e32 v57, v56
	scratch_store_b64 off, v[56:57], off offset:128
	s_wait_loadcnt 0x0
	ds_store_b64 v55, v[53:54]
.LBB89_137:
	s_wait_alu 0xfffe
	s_or_b32 exec_lo, exec_lo, s0
	s_wait_storecnt_dscnt 0x0
	s_barrier_signal -1
	s_barrier_wait -1
	global_inv scope:SCOPE_SE
	s_clause 0x5
	scratch_load_b128 v[56:59], off, off offset:136
	scratch_load_b128 v[60:63], off, off offset:152
	;; [unrolled: 1-line block ×4, first 2 shown]
	scratch_load_b64 v[88:89], off, off offset:200
	scratch_load_b64 v[90:91], off, off offset:128
	v_mov_b32_e32 v53, 0
	ds_load_2addr_b64 v[72:75], v53 offset0:43 offset1:44
	ds_load_2addr_b64 v[76:79], v53 offset0:45 offset1:46
	;; [unrolled: 1-line block ×4, first 2 shown]
	ds_load_b64 v[92:93], v53 offset:408
	s_mov_b32 s0, exec_lo
	s_wait_loadcnt_dscnt 0x504
	v_mul_f32_e32 v54, v72, v57
	s_wait_loadcnt_dscnt 0x403
	v_dual_mul_f32 v94, v74, v59 :: v_dual_mul_f32 v95, v76, v61
	s_wait_loadcnt_dscnt 0x302
	v_dual_mul_f32 v98, v82, v67 :: v_dual_mul_f32 v57, v73, v57
	s_wait_loadcnt_dscnt 0x100
	v_dual_mul_f32 v101, v92, v89 :: v_dual_fmac_f32 v54, v73, v56
	v_mul_f32_e32 v59, v75, v59
	v_dual_mul_f32 v96, v78, v63 :: v_dual_mul_f32 v97, v80, v65
	v_fma_f32 v57, v72, v56, -v57
	v_fmac_f32_e32 v94, v75, v58
	v_add_f32_e32 v54, 0, v54
	v_mul_f32_e32 v56, v77, v61
	v_fma_f32 v58, v74, v58, -v59
	v_add_f32_e32 v57, 0, v57
	v_mul_f32_e32 v59, v79, v63
	v_dual_fmac_f32 v95, v77, v60 :: v_dual_add_f32 v54, v54, v94
	v_dual_fmac_f32 v96, v79, v62 :: v_dual_fmac_f32 v97, v81, v64
	s_delay_alu instid0(VALU_DEP_4) | instskip(SKIP_1) | instid1(VALU_DEP_4)
	v_add_f32_e32 v57, v57, v58
	v_dual_mul_f32 v99, v84, v69 :: v_dual_mul_f32 v100, v86, v71
	v_add_f32_e32 v54, v54, v95
	v_dual_fmac_f32 v98, v83, v66 :: v_dual_fmac_f32 v101, v93, v88
	s_delay_alu instid0(VALU_DEP_3) | instskip(NEXT) | instid1(VALU_DEP_3)
	v_dual_fmac_f32 v99, v85, v68 :: v_dual_fmac_f32 v100, v87, v70
	v_add_f32_e32 v54, v54, v96
	v_fma_f32 v56, v76, v60, -v56
	v_mul_f32_e32 v58, v81, v65
	v_fma_f32 v59, v78, v62, -v59
	s_delay_alu instid0(VALU_DEP_4) | instskip(NEXT) | instid1(VALU_DEP_1)
	v_add_f32_e32 v54, v54, v97
	v_add_f32_e32 v54, v54, v98
	s_delay_alu instid0(VALU_DEP_1) | instskip(NEXT) | instid1(VALU_DEP_1)
	v_add_f32_e32 v54, v54, v99
	v_add_f32_e32 v54, v54, v100
	s_delay_alu instid0(VALU_DEP_1) | instskip(SKIP_2) | instid1(VALU_DEP_2)
	v_add_f32_e32 v54, v54, v101
	v_dual_add_f32 v56, v57, v56 :: v_dual_mul_f32 v57, v83, v67
	v_fma_f32 v58, v80, v64, -v58
	v_dual_add_f32 v56, v56, v59 :: v_dual_mul_f32 v59, v85, v69
	s_delay_alu instid0(VALU_DEP_3) | instskip(NEXT) | instid1(VALU_DEP_2)
	v_fma_f32 v57, v82, v66, -v57
	v_add_f32_e32 v56, v56, v58
	v_mul_f32_e32 v58, v87, v71
	s_delay_alu instid0(VALU_DEP_4) | instskip(NEXT) | instid1(VALU_DEP_3)
	v_fma_f32 v59, v84, v68, -v59
	v_add_f32_e32 v56, v56, v57
	v_mul_f32_e32 v57, v93, v89
	s_delay_alu instid0(VALU_DEP_4) | instskip(NEXT) | instid1(VALU_DEP_3)
	v_fma_f32 v58, v86, v70, -v58
	v_add_f32_e32 v56, v56, v59
	s_delay_alu instid0(VALU_DEP_3) | instskip(NEXT) | instid1(VALU_DEP_2)
	v_fma_f32 v57, v92, v88, -v57
	v_add_f32_e32 v56, v56, v58
	s_wait_loadcnt 0x0
	s_delay_alu instid0(VALU_DEP_1) | instskip(NEXT) | instid1(VALU_DEP_1)
	v_dual_add_f32 v56, v56, v57 :: v_dual_sub_f32 v57, v91, v54
	v_sub_f32_e32 v56, v90, v56
	scratch_store_b64 off, v[56:57], off offset:128
	v_cmpx_lt_u32_e32 15, v0
	s_cbranch_execz .LBB89_139
; %bb.138:
	scratch_load_b64 v[56:57], off, off offset:120
	v_mov_b32_e32 v54, v53
	scratch_store_b64 off, v[53:54], off offset:120
	s_wait_loadcnt 0x0
	ds_store_b64 v55, v[56:57]
.LBB89_139:
	s_wait_alu 0xfffe
	s_or_b32 exec_lo, exec_lo, s0
	s_wait_storecnt_dscnt 0x0
	s_barrier_signal -1
	s_barrier_wait -1
	global_inv scope:SCOPE_SE
	s_clause 0x5
	scratch_load_b128 v[56:59], off, off offset:128
	scratch_load_b128 v[60:63], off, off offset:144
	;; [unrolled: 1-line block ×5, first 2 shown]
	scratch_load_b64 v[96:97], off, off offset:120
	ds_load_b128 v[76:79], v53 offset:336
	ds_load_b128 v[80:83], v53 offset:352
	;; [unrolled: 1-line block ×5, first 2 shown]
	s_mov_b32 s0, exec_lo
	s_wait_loadcnt_dscnt 0x504
	v_dual_mul_f32 v53, v76, v57 :: v_dual_mul_f32 v54, v78, v59
	v_mul_f32_e32 v57, v77, v57
	s_wait_loadcnt_dscnt 0x403
	v_dual_mul_f32 v59, v79, v59 :: v_dual_mul_f32 v98, v80, v61
	s_delay_alu instid0(VALU_DEP_3) | instskip(NEXT) | instid1(VALU_DEP_3)
	v_dual_mul_f32 v99, v82, v63 :: v_dual_fmac_f32 v54, v79, v58
	v_fma_f32 v57, v76, v56, -v57
	v_fmac_f32_e32 v53, v77, v56
	v_mul_f32_e32 v56, v81, v61
	v_fma_f32 v58, v78, v58, -v59
	v_mul_f32_e32 v59, v83, v63
	v_dual_add_f32 v57, 0, v57 :: v_dual_fmac_f32 v98, v81, v60
	s_delay_alu instid0(VALU_DEP_4) | instskip(SKIP_2) | instid1(VALU_DEP_3)
	v_fma_f32 v56, v80, v60, -v56
	s_wait_loadcnt_dscnt 0x302
	v_dual_mul_f32 v100, v84, v65 :: v_dual_mul_f32 v101, v86, v67
	v_add_f32_e32 v57, v57, v58
	v_fmac_f32_e32 v99, v83, v62
	v_fma_f32 v58, v82, v62, -v59
	s_wait_loadcnt_dscnt 0x201
	v_dual_mul_f32 v102, v88, v69 :: v_dual_mul_f32 v103, v90, v71
	v_dual_add_f32 v56, v57, v56 :: v_dual_mul_f32 v57, v87, v67
	v_fmac_f32_e32 v100, v85, v64
	s_wait_loadcnt_dscnt 0x100
	v_dual_mul_f32 v104, v92, v73 :: v_dual_mul_f32 v105, v94, v75
	s_delay_alu instid0(VALU_DEP_3) | instskip(SKIP_3) | instid1(VALU_DEP_4)
	v_dual_add_f32 v56, v56, v58 :: v_dual_add_f32 v53, 0, v53
	v_mul_f32_e32 v58, v89, v69
	v_fma_f32 v57, v86, v66, -v57
	v_dual_fmac_f32 v101, v87, v66 :: v_dual_fmac_f32 v102, v89, v68
	v_add_f32_e32 v53, v53, v54
	v_mul_f32_e32 v54, v85, v65
	v_fma_f32 v58, v88, v68, -v58
	v_dual_fmac_f32 v103, v91, v70 :: v_dual_fmac_f32 v104, v93, v72
	s_delay_alu instid0(VALU_DEP_3) | instskip(NEXT) | instid1(VALU_DEP_1)
	v_fma_f32 v54, v84, v64, -v54
	v_add_f32_e32 v54, v56, v54
	v_mul_f32_e32 v56, v91, v71
	s_delay_alu instid0(VALU_DEP_2) | instskip(SKIP_1) | instid1(VALU_DEP_3)
	v_dual_add_f32 v54, v54, v57 :: v_dual_add_f32 v53, v53, v98
	v_mul_f32_e32 v57, v93, v73
	v_fma_f32 v56, v90, v70, -v56
	s_delay_alu instid0(VALU_DEP_3) | instskip(SKIP_3) | instid1(VALU_DEP_4)
	v_add_f32_e32 v54, v54, v58
	v_mul_f32_e32 v58, v95, v75
	v_add_f32_e32 v53, v53, v99
	v_fma_f32 v57, v92, v72, -v57
	v_dual_add_f32 v54, v54, v56 :: v_dual_fmac_f32 v105, v95, v74
	s_delay_alu instid0(VALU_DEP_3) | instskip(SKIP_1) | instid1(VALU_DEP_3)
	v_add_f32_e32 v53, v53, v100
	v_fma_f32 v56, v94, v74, -v58
	v_add_f32_e32 v54, v54, v57
	s_delay_alu instid0(VALU_DEP_1) | instskip(NEXT) | instid1(VALU_DEP_1)
	v_dual_add_f32 v53, v53, v101 :: v_dual_add_f32 v54, v54, v56
	v_add_f32_e32 v53, v53, v102
	s_delay_alu instid0(VALU_DEP_1) | instskip(NEXT) | instid1(VALU_DEP_1)
	v_add_f32_e32 v53, v53, v103
	v_add_f32_e32 v53, v53, v104
	s_wait_loadcnt 0x0
	s_delay_alu instid0(VALU_DEP_1) | instskip(NEXT) | instid1(VALU_DEP_1)
	v_dual_add_f32 v56, v53, v105 :: v_dual_sub_f32 v53, v96, v54
	v_sub_f32_e32 v54, v97, v56
	scratch_store_b64 off, v[53:54], off offset:120
	v_cmpx_lt_u32_e32 14, v0
	s_cbranch_execz .LBB89_141
; %bb.140:
	scratch_load_b64 v[53:54], off, off offset:112
	v_mov_b32_e32 v56, 0
	s_delay_alu instid0(VALU_DEP_1)
	v_mov_b32_e32 v57, v56
	scratch_store_b64 off, v[56:57], off offset:112
	s_wait_loadcnt 0x0
	ds_store_b64 v55, v[53:54]
.LBB89_141:
	s_wait_alu 0xfffe
	s_or_b32 exec_lo, exec_lo, s0
	s_wait_storecnt_dscnt 0x0
	s_barrier_signal -1
	s_barrier_wait -1
	global_inv scope:SCOPE_SE
	s_clause 0x6
	scratch_load_b128 v[56:59], off, off offset:120
	scratch_load_b128 v[60:63], off, off offset:136
	;; [unrolled: 1-line block ×5, first 2 shown]
	scratch_load_b64 v[96:97], off, off offset:200
	scratch_load_b64 v[98:99], off, off offset:112
	v_mov_b32_e32 v53, 0
	ds_load_2addr_b64 v[76:79], v53 offset0:41 offset1:42
	ds_load_2addr_b64 v[80:83], v53 offset0:43 offset1:44
	;; [unrolled: 1-line block ×5, first 2 shown]
	ds_load_b64 v[100:101], v53 offset:408
	s_mov_b32 s0, exec_lo
	s_wait_loadcnt_dscnt 0x605
	v_mul_f32_e32 v54, v76, v57
	v_dual_mul_f32 v57, v77, v57 :: v_dual_mul_f32 v102, v78, v59
	s_wait_loadcnt_dscnt 0x302
	v_dual_mul_f32 v103, v80, v61 :: v_dual_mul_f32 v108, v90, v71
	s_wait_loadcnt_dscnt 0x100
	v_dual_mul_f32 v111, v100, v97 :: v_dual_fmac_f32 v54, v77, v56
	v_mul_f32_e32 v59, v79, v59
	v_fma_f32 v57, v76, v56, -v57
	v_mul_f32_e32 v56, v81, v61
	v_fmac_f32_e32 v102, v79, v58
	v_add_f32_e32 v54, 0, v54
	v_fma_f32 v58, v78, v58, -v59
	v_add_f32_e32 v57, 0, v57
	v_mul_f32_e32 v59, v83, v63
	s_delay_alu instid0(VALU_DEP_4) | instskip(SKIP_1) | instid1(VALU_DEP_4)
	v_dual_fmac_f32 v103, v81, v60 :: v_dual_add_f32 v54, v54, v102
	v_fma_f32 v56, v80, v60, -v56
	v_dual_add_f32 v57, v57, v58 :: v_dual_mul_f32 v104, v82, v63
	v_mul_f32_e32 v105, v84, v65
	v_mul_f32_e32 v58, v85, v65
	v_fma_f32 v59, v82, v62, -v59
	v_add_f32_e32 v54, v54, v103
	v_add_f32_e32 v56, v57, v56
	v_dual_fmac_f32 v104, v83, v62 :: v_dual_fmac_f32 v105, v85, v64
	v_mul_f32_e32 v57, v87, v67
	v_fma_f32 v58, v84, v64, -v58
	s_delay_alu instid0(VALU_DEP_4) | instskip(SKIP_4) | instid1(VALU_DEP_3)
	v_dual_add_f32 v56, v56, v59 :: v_dual_mul_f32 v59, v89, v69
	v_dual_mul_f32 v106, v86, v67 :: v_dual_mul_f32 v107, v88, v69
	v_dual_mul_f32 v109, v92, v73 :: v_dual_mul_f32 v110, v94, v75
	v_add_f32_e32 v54, v54, v104
	v_fma_f32 v57, v86, v66, -v57
	v_dual_add_f32 v56, v56, v58 :: v_dual_fmac_f32 v109, v93, v72
	v_dual_fmac_f32 v106, v87, v66 :: v_dual_fmac_f32 v107, v89, v68
	v_mul_f32_e32 v58, v91, v71
	s_delay_alu instid0(VALU_DEP_3)
	v_add_f32_e32 v56, v56, v57
	v_mul_f32_e32 v57, v93, v73
	v_dual_add_f32 v54, v54, v105 :: v_dual_fmac_f32 v111, v101, v96
	v_fma_f32 v59, v88, v68, -v59
	v_fmac_f32_e32 v108, v91, v70
	v_fma_f32 v58, v90, v70, -v58
	s_delay_alu instid0(VALU_DEP_4)
	v_add_f32_e32 v54, v54, v106
	v_fma_f32 v57, v92, v72, -v57
	v_add_f32_e32 v56, v56, v59
	v_mul_f32_e32 v59, v95, v75
	v_fmac_f32_e32 v110, v95, v74
	v_add_f32_e32 v54, v54, v107
	s_delay_alu instid0(VALU_DEP_4) | instskip(SKIP_2) | instid1(VALU_DEP_4)
	v_add_f32_e32 v56, v56, v58
	v_mul_f32_e32 v58, v101, v97
	v_fma_f32 v59, v94, v74, -v59
	v_add_f32_e32 v54, v54, v108
	s_delay_alu instid0(VALU_DEP_4) | instskip(NEXT) | instid1(VALU_DEP_4)
	v_add_f32_e32 v56, v56, v57
	v_fma_f32 v57, v100, v96, -v58
	s_delay_alu instid0(VALU_DEP_3) | instskip(NEXT) | instid1(VALU_DEP_3)
	v_add_f32_e32 v54, v54, v109
	v_add_f32_e32 v56, v56, v59
	s_delay_alu instid0(VALU_DEP_2) | instskip(NEXT) | instid1(VALU_DEP_2)
	v_add_f32_e32 v54, v54, v110
	v_add_f32_e32 v56, v56, v57
	s_delay_alu instid0(VALU_DEP_2) | instskip(SKIP_1) | instid1(VALU_DEP_1)
	v_add_f32_e32 v54, v54, v111
	s_wait_loadcnt 0x0
	v_dual_sub_f32 v56, v98, v56 :: v_dual_sub_f32 v57, v99, v54
	scratch_store_b64 off, v[56:57], off offset:112
	v_cmpx_lt_u32_e32 13, v0
	s_cbranch_execz .LBB89_143
; %bb.142:
	scratch_load_b64 v[56:57], off, off offset:104
	v_mov_b32_e32 v54, v53
	scratch_store_b64 off, v[53:54], off offset:104
	s_wait_loadcnt 0x0
	ds_store_b64 v55, v[56:57]
.LBB89_143:
	s_wait_alu 0xfffe
	s_or_b32 exec_lo, exec_lo, s0
	s_wait_storecnt_dscnt 0x0
	s_barrier_signal -1
	s_barrier_wait -1
	global_inv scope:SCOPE_SE
	s_clause 0x6
	scratch_load_b128 v[56:59], off, off offset:112
	scratch_load_b128 v[60:63], off, off offset:128
	scratch_load_b128 v[64:67], off, off offset:144
	scratch_load_b128 v[68:71], off, off offset:160
	scratch_load_b128 v[72:75], off, off offset:176
	scratch_load_b128 v[76:79], off, off offset:192
	scratch_load_b64 v[104:105], off, off offset:104
	ds_load_b128 v[80:83], v53 offset:320
	ds_load_b128 v[84:87], v53 offset:336
	ds_load_b128 v[88:91], v53 offset:352
	ds_load_b128 v[92:95], v53 offset:368
	ds_load_b128 v[96:99], v53 offset:384
	ds_load_b128 v[100:103], v53 offset:400
	s_mov_b32 s0, exec_lo
	s_wait_loadcnt_dscnt 0x605
	v_dual_mul_f32 v53, v80, v57 :: v_dual_mul_f32 v54, v82, v59
	v_mul_f32_e32 v57, v81, v57
	s_wait_loadcnt_dscnt 0x504
	v_dual_mul_f32 v59, v83, v59 :: v_dual_mul_f32 v106, v84, v61
	s_delay_alu instid0(VALU_DEP_3) | instskip(NEXT) | instid1(VALU_DEP_3)
	v_dual_mul_f32 v107, v86, v63 :: v_dual_fmac_f32 v54, v83, v58
	v_fma_f32 v57, v80, v56, -v57
	v_fmac_f32_e32 v53, v81, v56
	v_mul_f32_e32 v56, v85, v61
	v_fma_f32 v58, v82, v58, -v59
	v_mul_f32_e32 v59, v87, v63
	v_dual_add_f32 v57, 0, v57 :: v_dual_fmac_f32 v106, v85, v60
	s_delay_alu instid0(VALU_DEP_4) | instskip(SKIP_2) | instid1(VALU_DEP_3)
	v_fma_f32 v56, v84, v60, -v56
	s_wait_loadcnt_dscnt 0x403
	v_dual_mul_f32 v108, v88, v65 :: v_dual_mul_f32 v109, v90, v67
	v_add_f32_e32 v57, v57, v58
	v_fmac_f32_e32 v107, v87, v62
	v_fma_f32 v58, v86, v62, -v59
	s_wait_loadcnt_dscnt 0x302
	v_dual_mul_f32 v110, v92, v69 :: v_dual_mul_f32 v111, v94, v71
	v_dual_add_f32 v56, v57, v56 :: v_dual_mul_f32 v57, v91, v67
	v_fmac_f32_e32 v108, v89, v64
	s_wait_loadcnt_dscnt 0x201
	v_dual_mul_f32 v112, v96, v73 :: v_dual_mul_f32 v113, v98, v75
	s_delay_alu instid0(VALU_DEP_3) | instskip(SKIP_3) | instid1(VALU_DEP_4)
	v_dual_add_f32 v56, v56, v58 :: v_dual_add_f32 v53, 0, v53
	v_mul_f32_e32 v58, v93, v69
	v_fma_f32 v57, v90, v66, -v57
	v_dual_fmac_f32 v109, v91, v66 :: v_dual_fmac_f32 v110, v93, v68
	v_add_f32_e32 v53, v53, v54
	v_mul_f32_e32 v54, v89, v65
	v_fma_f32 v58, v92, v68, -v58
	v_dual_fmac_f32 v111, v95, v70 :: v_dual_fmac_f32 v112, v97, v72
	s_wait_loadcnt_dscnt 0x100
	v_dual_mul_f32 v114, v100, v77 :: v_dual_mul_f32 v115, v102, v79
	v_fma_f32 v54, v88, v64, -v54
	s_delay_alu instid0(VALU_DEP_2) | instskip(NEXT) | instid1(VALU_DEP_3)
	v_dual_fmac_f32 v113, v99, v74 :: v_dual_fmac_f32 v114, v101, v76
	v_fmac_f32_e32 v115, v103, v78
	s_delay_alu instid0(VALU_DEP_3) | instskip(SKIP_1) | instid1(VALU_DEP_2)
	v_add_f32_e32 v54, v56, v54
	v_mul_f32_e32 v56, v95, v71
	v_dual_add_f32 v54, v54, v57 :: v_dual_add_f32 v53, v53, v106
	v_mul_f32_e32 v57, v97, v73
	s_delay_alu instid0(VALU_DEP_3) | instskip(NEXT) | instid1(VALU_DEP_3)
	v_fma_f32 v56, v94, v70, -v56
	v_add_f32_e32 v54, v54, v58
	v_mul_f32_e32 v58, v99, v75
	v_add_f32_e32 v53, v53, v107
	v_fma_f32 v57, v96, v72, -v57
	s_delay_alu instid0(VALU_DEP_4) | instskip(SKIP_1) | instid1(VALU_DEP_4)
	v_add_f32_e32 v54, v54, v56
	v_mul_f32_e32 v56, v101, v77
	v_add_f32_e32 v53, v53, v108
	v_fma_f32 v58, v98, v74, -v58
	s_delay_alu instid0(VALU_DEP_4) | instskip(NEXT) | instid1(VALU_DEP_3)
	v_dual_add_f32 v54, v54, v57 :: v_dual_mul_f32 v57, v103, v79
	v_add_f32_e32 v53, v53, v109
	v_fma_f32 v56, v100, v76, -v56
	s_delay_alu instid0(VALU_DEP_3) | instskip(NEXT) | instid1(VALU_DEP_4)
	v_add_f32_e32 v54, v54, v58
	v_fma_f32 v57, v102, v78, -v57
	s_delay_alu instid0(VALU_DEP_2) | instskip(NEXT) | instid1(VALU_DEP_1)
	v_dual_add_f32 v53, v53, v110 :: v_dual_add_f32 v54, v54, v56
	v_dual_add_f32 v53, v53, v111 :: v_dual_add_f32 v54, v54, v57
	s_delay_alu instid0(VALU_DEP_1) | instskip(NEXT) | instid1(VALU_DEP_1)
	v_add_f32_e32 v53, v53, v112
	v_add_f32_e32 v53, v53, v113
	s_delay_alu instid0(VALU_DEP_1) | instskip(SKIP_1) | instid1(VALU_DEP_1)
	v_add_f32_e32 v53, v53, v114
	s_wait_loadcnt 0x0
	v_dual_add_f32 v56, v53, v115 :: v_dual_sub_f32 v53, v104, v54
	s_delay_alu instid0(VALU_DEP_1)
	v_sub_f32_e32 v54, v105, v56
	scratch_store_b64 off, v[53:54], off offset:104
	v_cmpx_lt_u32_e32 12, v0
	s_cbranch_execz .LBB89_145
; %bb.144:
	scratch_load_b64 v[53:54], off, off offset:96
	v_mov_b32_e32 v56, 0
	s_delay_alu instid0(VALU_DEP_1)
	v_mov_b32_e32 v57, v56
	scratch_store_b64 off, v[56:57], off offset:96
	s_wait_loadcnt 0x0
	ds_store_b64 v55, v[53:54]
.LBB89_145:
	s_wait_alu 0xfffe
	s_or_b32 exec_lo, exec_lo, s0
	s_wait_storecnt_dscnt 0x0
	s_barrier_signal -1
	s_barrier_wait -1
	global_inv scope:SCOPE_SE
	s_clause 0x7
	scratch_load_b128 v[56:59], off, off offset:104
	scratch_load_b128 v[60:63], off, off offset:120
	;; [unrolled: 1-line block ×6, first 2 shown]
	scratch_load_b64 v[104:105], off, off offset:200
	scratch_load_b64 v[106:107], off, off offset:96
	v_mov_b32_e32 v53, 0
	ds_load_2addr_b64 v[80:83], v53 offset0:39 offset1:40
	ds_load_2addr_b64 v[84:87], v53 offset0:41 offset1:42
	;; [unrolled: 1-line block ×6, first 2 shown]
	ds_load_b64 v[108:109], v53 offset:408
	s_mov_b32 s0, exec_lo
	s_wait_loadcnt_dscnt 0x706
	v_mul_f32_e32 v54, v80, v57
	v_dual_mul_f32 v57, v81, v57 :: v_dual_mul_f32 v110, v82, v59
	s_wait_loadcnt_dscnt 0x302
	v_dual_mul_f32 v111, v84, v61 :: v_dual_mul_f32 v118, v98, v75
	v_mul_f32_e32 v59, v83, v59
	s_wait_loadcnt_dscnt 0x100
	v_dual_mul_f32 v121, v108, v105 :: v_dual_fmac_f32 v54, v81, v56
	v_fma_f32 v57, v80, v56, -v57
	v_mul_f32_e32 v56, v85, v61
	v_fmac_f32_e32 v110, v83, v58
	v_fma_f32 v58, v82, v58, -v59
	v_dual_add_f32 v54, 0, v54 :: v_dual_mul_f32 v59, v87, v63
	v_add_f32_e32 v57, 0, v57
	v_fmac_f32_e32 v111, v85, v60
	v_fma_f32 v56, v84, v60, -v56
	s_delay_alu instid0(VALU_DEP_4)
	v_add_f32_e32 v54, v54, v110
	v_fma_f32 v59, v86, v62, -v59
	v_add_f32_e32 v57, v57, v58
	v_mul_f32_e32 v58, v89, v65
	v_dual_mul_f32 v112, v86, v63 :: v_dual_mul_f32 v113, v88, v65
	v_add_f32_e32 v54, v54, v111
	s_delay_alu instid0(VALU_DEP_4) | instskip(NEXT) | instid1(VALU_DEP_4)
	v_dual_add_f32 v56, v57, v56 :: v_dual_mul_f32 v57, v91, v67
	v_fma_f32 v58, v88, v64, -v58
	v_dual_mul_f32 v116, v94, v71 :: v_dual_mul_f32 v117, v96, v73
	s_delay_alu instid0(VALU_DEP_3) | instskip(NEXT) | instid1(VALU_DEP_4)
	v_dual_add_f32 v56, v56, v59 :: v_dual_mul_f32 v59, v93, v69
	v_fma_f32 v57, v90, v66, -v57
	v_dual_mul_f32 v119, v100, v77 :: v_dual_mul_f32 v120, v102, v79
	s_delay_alu instid0(VALU_DEP_3) | instskip(SKIP_1) | instid1(VALU_DEP_3)
	v_dual_add_f32 v56, v56, v58 :: v_dual_fmac_f32 v117, v97, v72
	v_dual_fmac_f32 v112, v87, v62 :: v_dual_fmac_f32 v113, v89, v64
	v_dual_mul_f32 v58, v95, v71 :: v_dual_fmac_f32 v119, v101, v76
	v_fma_f32 v59, v92, v68, -v59
	s_delay_alu instid0(VALU_DEP_4) | instskip(SKIP_3) | instid1(VALU_DEP_4)
	v_dual_add_f32 v56, v56, v57 :: v_dual_fmac_f32 v121, v109, v104
	v_dual_mul_f32 v114, v90, v67 :: v_dual_mul_f32 v115, v92, v69
	v_dual_add_f32 v54, v54, v112 :: v_dual_mul_f32 v57, v97, v73
	v_fma_f32 v58, v94, v70, -v58
	v_add_f32_e32 v56, v56, v59
	s_delay_alu instid0(VALU_DEP_4) | instskip(NEXT) | instid1(VALU_DEP_4)
	v_dual_fmac_f32 v114, v91, v66 :: v_dual_fmac_f32 v115, v93, v68
	v_dual_add_f32 v54, v54, v113 :: v_dual_mul_f32 v59, v99, v75
	v_fma_f32 v57, v96, v72, -v57
	s_delay_alu instid0(VALU_DEP_4)
	v_add_f32_e32 v56, v56, v58
	v_fmac_f32_e32 v116, v95, v70
	v_mul_f32_e32 v58, v101, v77
	v_fma_f32 v59, v98, v74, -v59
	v_fmac_f32_e32 v118, v99, v74
	v_dual_add_f32 v56, v56, v57 :: v_dual_mul_f32 v57, v103, v79
	v_add_f32_e32 v54, v54, v114
	v_fma_f32 v58, v100, v76, -v58
	v_fmac_f32_e32 v120, v103, v78
	s_delay_alu instid0(VALU_DEP_4) | instskip(NEXT) | instid1(VALU_DEP_4)
	v_dual_add_f32 v56, v56, v59 :: v_dual_mul_f32 v59, v109, v105
	v_add_f32_e32 v54, v54, v115
	v_fma_f32 v57, v102, v78, -v57
	s_delay_alu instid0(VALU_DEP_3) | instskip(NEXT) | instid1(VALU_DEP_4)
	v_add_f32_e32 v56, v56, v58
	v_fma_f32 v58, v108, v104, -v59
	s_delay_alu instid0(VALU_DEP_4) | instskip(NEXT) | instid1(VALU_DEP_3)
	v_add_f32_e32 v54, v54, v116
	v_add_f32_e32 v56, v56, v57
	s_delay_alu instid0(VALU_DEP_2) | instskip(NEXT) | instid1(VALU_DEP_2)
	v_add_f32_e32 v54, v54, v117
	v_add_f32_e32 v56, v56, v58
	s_delay_alu instid0(VALU_DEP_2) | instskip(SKIP_1) | instid1(VALU_DEP_2)
	v_add_f32_e32 v54, v54, v118
	s_wait_loadcnt 0x0
	v_sub_f32_e32 v56, v106, v56
	s_delay_alu instid0(VALU_DEP_2) | instskip(NEXT) | instid1(VALU_DEP_1)
	v_add_f32_e32 v54, v54, v119
	v_add_f32_e32 v54, v54, v120
	s_delay_alu instid0(VALU_DEP_1) | instskip(NEXT) | instid1(VALU_DEP_1)
	v_add_f32_e32 v54, v54, v121
	v_sub_f32_e32 v57, v107, v54
	scratch_store_b64 off, v[56:57], off offset:96
	v_cmpx_lt_u32_e32 11, v0
	s_cbranch_execz .LBB89_147
; %bb.146:
	scratch_load_b64 v[56:57], off, off offset:88
	v_mov_b32_e32 v54, v53
	scratch_store_b64 off, v[53:54], off offset:88
	s_wait_loadcnt 0x0
	ds_store_b64 v55, v[56:57]
.LBB89_147:
	s_wait_alu 0xfffe
	s_or_b32 exec_lo, exec_lo, s0
	s_wait_storecnt_dscnt 0x0
	s_barrier_signal -1
	s_barrier_wait -1
	global_inv scope:SCOPE_SE
	s_clause 0x7
	scratch_load_b128 v[56:59], off, off offset:96
	scratch_load_b128 v[60:63], off, off offset:112
	;; [unrolled: 1-line block ×7, first 2 shown]
	scratch_load_b64 v[112:113], off, off offset:88
	ds_load_b128 v[84:87], v53 offset:304
	ds_load_b128 v[88:91], v53 offset:320
	;; [unrolled: 1-line block ×7, first 2 shown]
	s_mov_b32 s0, exec_lo
	s_wait_loadcnt_dscnt 0x706
	v_dual_mul_f32 v53, v84, v57 :: v_dual_mul_f32 v54, v86, v59
	v_mul_f32_e32 v57, v85, v57
	s_wait_loadcnt_dscnt 0x605
	v_dual_mul_f32 v59, v87, v59 :: v_dual_mul_f32 v114, v88, v61
	s_delay_alu instid0(VALU_DEP_3) | instskip(NEXT) | instid1(VALU_DEP_3)
	v_dual_mul_f32 v115, v90, v63 :: v_dual_fmac_f32 v54, v87, v58
	v_fma_f32 v57, v84, v56, -v57
	v_fmac_f32_e32 v53, v85, v56
	v_mul_f32_e32 v56, v89, v61
	v_fma_f32 v58, v86, v58, -v59
	v_mul_f32_e32 v59, v91, v63
	v_dual_add_f32 v57, 0, v57 :: v_dual_fmac_f32 v114, v89, v60
	s_delay_alu instid0(VALU_DEP_4) | instskip(SKIP_2) | instid1(VALU_DEP_3)
	v_fma_f32 v56, v88, v60, -v56
	s_wait_loadcnt_dscnt 0x504
	v_dual_mul_f32 v116, v92, v65 :: v_dual_mul_f32 v117, v94, v67
	v_add_f32_e32 v57, v57, v58
	v_fmac_f32_e32 v115, v91, v62
	v_fma_f32 v58, v90, v62, -v59
	s_wait_loadcnt_dscnt 0x403
	v_dual_mul_f32 v118, v96, v69 :: v_dual_mul_f32 v119, v98, v71
	v_dual_add_f32 v56, v57, v56 :: v_dual_mul_f32 v57, v95, v67
	v_fmac_f32_e32 v116, v93, v64
	s_wait_loadcnt_dscnt 0x302
	v_dual_mul_f32 v120, v100, v73 :: v_dual_mul_f32 v121, v102, v75
	s_delay_alu instid0(VALU_DEP_3) | instskip(SKIP_3) | instid1(VALU_DEP_4)
	v_dual_add_f32 v56, v56, v58 :: v_dual_add_f32 v53, 0, v53
	v_mul_f32_e32 v58, v97, v69
	v_fma_f32 v57, v94, v66, -v57
	v_dual_fmac_f32 v117, v95, v66 :: v_dual_fmac_f32 v118, v97, v68
	v_add_f32_e32 v53, v53, v54
	v_mul_f32_e32 v54, v93, v65
	v_fma_f32 v58, v96, v68, -v58
	v_dual_fmac_f32 v119, v99, v70 :: v_dual_fmac_f32 v120, v101, v72
	s_wait_loadcnt_dscnt 0x201
	v_dual_mul_f32 v122, v104, v77 :: v_dual_mul_f32 v123, v106, v79
	v_fma_f32 v54, v92, v64, -v54
	s_wait_loadcnt_dscnt 0x100
	v_dual_mul_f32 v124, v108, v81 :: v_dual_mul_f32 v125, v110, v83
	s_delay_alu instid0(VALU_DEP_3) | instskip(NEXT) | instid1(VALU_DEP_3)
	v_dual_fmac_f32 v121, v103, v74 :: v_dual_fmac_f32 v122, v105, v76
	v_add_f32_e32 v54, v56, v54
	v_mul_f32_e32 v56, v99, v71
	s_delay_alu instid0(VALU_DEP_4) | instskip(NEXT) | instid1(VALU_DEP_3)
	v_dual_fmac_f32 v124, v109, v80 :: v_dual_fmac_f32 v125, v111, v82
	v_dual_fmac_f32 v123, v107, v78 :: v_dual_add_f32 v54, v54, v57
	v_add_f32_e32 v53, v53, v114
	v_mul_f32_e32 v57, v101, v73
	v_fma_f32 v56, v98, v70, -v56
	s_delay_alu instid0(VALU_DEP_4) | instskip(SKIP_3) | instid1(VALU_DEP_4)
	v_add_f32_e32 v54, v54, v58
	v_mul_f32_e32 v58, v103, v75
	v_add_f32_e32 v53, v53, v115
	v_fma_f32 v57, v100, v72, -v57
	v_add_f32_e32 v54, v54, v56
	v_mul_f32_e32 v56, v105, v77
	s_delay_alu instid0(VALU_DEP_4) | instskip(SKIP_1) | instid1(VALU_DEP_4)
	v_add_f32_e32 v53, v53, v116
	v_fma_f32 v58, v102, v74, -v58
	v_dual_add_f32 v54, v54, v57 :: v_dual_mul_f32 v57, v107, v79
	s_delay_alu instid0(VALU_DEP_3) | instskip(SKIP_1) | instid1(VALU_DEP_3)
	v_add_f32_e32 v53, v53, v117
	v_fma_f32 v56, v104, v76, -v56
	v_add_f32_e32 v54, v54, v58
	s_delay_alu instid0(VALU_DEP_4) | instskip(NEXT) | instid1(VALU_DEP_4)
	v_fma_f32 v57, v106, v78, -v57
	v_add_f32_e32 v53, v53, v118
	v_mul_f32_e32 v58, v109, v81
	s_delay_alu instid0(VALU_DEP_4) | instskip(SKIP_1) | instid1(VALU_DEP_4)
	v_add_f32_e32 v54, v54, v56
	v_mul_f32_e32 v56, v111, v83
	v_add_f32_e32 v53, v53, v119
	s_delay_alu instid0(VALU_DEP_4) | instskip(NEXT) | instid1(VALU_DEP_4)
	v_fma_f32 v58, v108, v80, -v58
	v_add_f32_e32 v54, v54, v57
	s_delay_alu instid0(VALU_DEP_4) | instskip(NEXT) | instid1(VALU_DEP_2)
	v_fma_f32 v56, v110, v82, -v56
	v_dual_add_f32 v53, v53, v120 :: v_dual_add_f32 v54, v54, v58
	s_delay_alu instid0(VALU_DEP_1) | instskip(NEXT) | instid1(VALU_DEP_1)
	v_dual_add_f32 v53, v53, v121 :: v_dual_add_f32 v54, v54, v56
	v_add_f32_e32 v53, v53, v122
	s_delay_alu instid0(VALU_DEP_1) | instskip(NEXT) | instid1(VALU_DEP_1)
	v_add_f32_e32 v53, v53, v123
	v_add_f32_e32 v53, v53, v124
	s_wait_loadcnt 0x0
	s_delay_alu instid0(VALU_DEP_1) | instskip(NEXT) | instid1(VALU_DEP_1)
	v_dual_add_f32 v56, v53, v125 :: v_dual_sub_f32 v53, v112, v54
	v_sub_f32_e32 v54, v113, v56
	scratch_store_b64 off, v[53:54], off offset:88
	v_cmpx_lt_u32_e32 10, v0
	s_cbranch_execz .LBB89_149
; %bb.148:
	scratch_load_b64 v[53:54], off, off offset:80
	v_mov_b32_e32 v56, 0
	s_delay_alu instid0(VALU_DEP_1)
	v_mov_b32_e32 v57, v56
	scratch_store_b64 off, v[56:57], off offset:80
	s_wait_loadcnt 0x0
	ds_store_b64 v55, v[53:54]
.LBB89_149:
	s_wait_alu 0xfffe
	s_or_b32 exec_lo, exec_lo, s0
	s_wait_storecnt_dscnt 0x0
	s_barrier_signal -1
	s_barrier_wait -1
	global_inv scope:SCOPE_SE
	s_clause 0x8
	scratch_load_b128 v[56:59], off, off offset:88
	scratch_load_b128 v[60:63], off, off offset:104
	;; [unrolled: 1-line block ×7, first 2 shown]
	scratch_load_b64 v[112:113], off, off offset:200
	scratch_load_b64 v[114:115], off, off offset:80
	v_mov_b32_e32 v53, 0
	ds_load_2addr_b64 v[84:87], v53 offset0:37 offset1:38
	ds_load_2addr_b64 v[88:91], v53 offset0:39 offset1:40
	;; [unrolled: 1-line block ×7, first 2 shown]
	ds_load_b64 v[116:117], v53 offset:408
	s_mov_b32 s0, exec_lo
	s_wait_loadcnt_dscnt 0x807
	v_mul_f32_e32 v54, v84, v57
	v_dual_mul_f32 v57, v85, v57 :: v_dual_mul_f32 v118, v86, v59
	s_wait_loadcnt_dscnt 0x706
	v_mul_f32_e32 v119, v88, v61
	v_mul_f32_e32 v59, v87, v59
	s_wait_loadcnt_dscnt 0x302
	v_mul_f32_e32 v128, v106, v79
	v_fma_f32 v57, v84, v56, -v57
	s_wait_loadcnt_dscnt 0x100
	v_dual_mul_f32 v131, v116, v113 :: v_dual_fmac_f32 v54, v85, v56
	v_mul_f32_e32 v56, v89, v61
	s_delay_alu instid0(VALU_DEP_3) | instskip(SKIP_1) | instid1(VALU_DEP_4)
	v_dual_fmac_f32 v118, v87, v58 :: v_dual_add_f32 v57, 0, v57
	v_fma_f32 v58, v86, v58, -v59
	v_dual_add_f32 v54, 0, v54 :: v_dual_mul_f32 v59, v91, v63
	v_fmac_f32_e32 v119, v89, v60
	v_fma_f32 v56, v88, v60, -v56
	v_dual_mul_f32 v120, v90, v63 :: v_dual_mul_f32 v121, v92, v65
	s_delay_alu instid0(VALU_DEP_4)
	v_add_f32_e32 v54, v54, v118
	v_add_f32_e32 v57, v57, v58
	v_mul_f32_e32 v58, v93, v65
	v_fma_f32 v59, v90, v62, -v59
	v_dual_mul_f32 v124, v98, v71 :: v_dual_mul_f32 v125, v100, v73
	v_add_f32_e32 v54, v54, v119
	v_dual_add_f32 v56, v57, v56 :: v_dual_mul_f32 v57, v95, v67
	v_fma_f32 v58, v92, v64, -v58
	v_dual_mul_f32 v126, v102, v75 :: v_dual_mul_f32 v127, v104, v77
	s_delay_alu instid0(VALU_DEP_3) | instskip(NEXT) | instid1(VALU_DEP_4)
	v_dual_add_f32 v56, v56, v59 :: v_dual_mul_f32 v59, v97, v69
	v_fma_f32 v57, v94, v66, -v57
	v_dual_mul_f32 v129, v108, v81 :: v_dual_mul_f32 v130, v110, v83
	s_delay_alu instid0(VALU_DEP_3) | instskip(SKIP_3) | instid1(VALU_DEP_4)
	v_dual_add_f32 v56, v56, v58 :: v_dual_fmac_f32 v125, v101, v72
	v_dual_fmac_f32 v120, v91, v62 :: v_dual_fmac_f32 v121, v93, v64
	v_dual_mul_f32 v58, v99, v71 :: v_dual_fmac_f32 v127, v105, v76
	v_fma_f32 v59, v96, v68, -v59
	v_dual_add_f32 v56, v56, v57 :: v_dual_fmac_f32 v129, v109, v80
	s_delay_alu instid0(VALU_DEP_4) | instskip(NEXT) | instid1(VALU_DEP_4)
	v_dual_add_f32 v54, v54, v120 :: v_dual_mul_f32 v57, v101, v73
	v_fma_f32 v58, v98, v70, -v58
	s_delay_alu instid0(VALU_DEP_3) | instskip(SKIP_3) | instid1(VALU_DEP_4)
	v_dual_add_f32 v56, v56, v59 :: v_dual_fmac_f32 v131, v117, v112
	v_dual_mul_f32 v122, v94, v67 :: v_dual_mul_f32 v123, v96, v69
	v_mul_f32_e32 v59, v103, v75
	v_fma_f32 v57, v100, v72, -v57
	v_add_f32_e32 v56, v56, v58
	s_delay_alu instid0(VALU_DEP_4) | instskip(SKIP_4) | instid1(VALU_DEP_4)
	v_dual_fmac_f32 v122, v95, v66 :: v_dual_fmac_f32 v123, v97, v68
	v_add_f32_e32 v54, v54, v121
	v_mul_f32_e32 v58, v105, v77
	v_fma_f32 v59, v102, v74, -v59
	v_dual_add_f32 v56, v56, v57 :: v_dual_mul_f32 v57, v107, v79
	v_add_f32_e32 v54, v54, v122
	s_delay_alu instid0(VALU_DEP_4) | instskip(SKIP_1) | instid1(VALU_DEP_4)
	v_fma_f32 v58, v104, v76, -v58
	v_fmac_f32_e32 v124, v99, v70
	v_dual_add_f32 v56, v56, v59 :: v_dual_mul_f32 v59, v109, v81
	s_delay_alu instid0(VALU_DEP_4) | instskip(SKIP_2) | instid1(VALU_DEP_4)
	v_add_f32_e32 v54, v54, v123
	v_fma_f32 v57, v106, v78, -v57
	v_fmac_f32_e32 v126, v103, v74
	v_add_f32_e32 v56, v56, v58
	v_fmac_f32_e32 v128, v107, v78
	v_mul_f32_e32 v58, v111, v83
	v_fma_f32 v59, v108, v80, -v59
	v_fmac_f32_e32 v130, v111, v82
	v_add_f32_e32 v56, v56, v57
	v_dual_mul_f32 v57, v117, v113 :: v_dual_add_f32 v54, v54, v124
	v_fma_f32 v58, v110, v82, -v58
	s_delay_alu instid0(VALU_DEP_3) | instskip(NEXT) | instid1(VALU_DEP_3)
	v_add_f32_e32 v56, v56, v59
	v_fma_f32 v57, v116, v112, -v57
	s_delay_alu instid0(VALU_DEP_4) | instskip(NEXT) | instid1(VALU_DEP_3)
	v_add_f32_e32 v54, v54, v125
	v_add_f32_e32 v56, v56, v58
	s_delay_alu instid0(VALU_DEP_2) | instskip(NEXT) | instid1(VALU_DEP_2)
	v_add_f32_e32 v54, v54, v126
	v_add_f32_e32 v56, v56, v57
	s_delay_alu instid0(VALU_DEP_2) | instskip(SKIP_1) | instid1(VALU_DEP_2)
	v_add_f32_e32 v54, v54, v127
	s_wait_loadcnt 0x0
	v_sub_f32_e32 v56, v114, v56
	s_delay_alu instid0(VALU_DEP_2) | instskip(NEXT) | instid1(VALU_DEP_1)
	v_add_f32_e32 v54, v54, v128
	v_add_f32_e32 v54, v54, v129
	s_delay_alu instid0(VALU_DEP_1) | instskip(NEXT) | instid1(VALU_DEP_1)
	v_add_f32_e32 v54, v54, v130
	v_add_f32_e32 v54, v54, v131
	s_delay_alu instid0(VALU_DEP_1)
	v_sub_f32_e32 v57, v115, v54
	scratch_store_b64 off, v[56:57], off offset:80
	v_cmpx_lt_u32_e32 9, v0
	s_cbranch_execz .LBB89_151
; %bb.150:
	scratch_load_b64 v[56:57], off, off offset:72
	v_mov_b32_e32 v54, v53
	scratch_store_b64 off, v[53:54], off offset:72
	s_wait_loadcnt 0x0
	ds_store_b64 v55, v[56:57]
.LBB89_151:
	s_wait_alu 0xfffe
	s_or_b32 exec_lo, exec_lo, s0
	s_wait_storecnt_dscnt 0x0
	s_barrier_signal -1
	s_barrier_wait -1
	global_inv scope:SCOPE_SE
	s_clause 0x8
	scratch_load_b128 v[56:59], off, off offset:80
	scratch_load_b128 v[60:63], off, off offset:96
	;; [unrolled: 1-line block ×8, first 2 shown]
	scratch_load_b64 v[120:121], off, off offset:72
	ds_load_b128 v[88:91], v53 offset:288
	ds_load_b128 v[92:95], v53 offset:304
	;; [unrolled: 1-line block ×8, first 2 shown]
	s_mov_b32 s0, exec_lo
	s_wait_loadcnt_dscnt 0x807
	v_dual_mul_f32 v53, v88, v57 :: v_dual_mul_f32 v54, v90, v59
	v_mul_f32_e32 v57, v89, v57
	s_wait_loadcnt_dscnt 0x706
	v_dual_mul_f32 v59, v91, v59 :: v_dual_mul_f32 v122, v92, v61
	s_delay_alu instid0(VALU_DEP_3) | instskip(NEXT) | instid1(VALU_DEP_3)
	v_dual_mul_f32 v123, v94, v63 :: v_dual_fmac_f32 v54, v91, v58
	v_fma_f32 v57, v88, v56, -v57
	v_fmac_f32_e32 v53, v89, v56
	v_mul_f32_e32 v56, v93, v61
	v_fma_f32 v58, v90, v58, -v59
	v_mul_f32_e32 v59, v95, v63
	v_dual_add_f32 v57, 0, v57 :: v_dual_fmac_f32 v122, v93, v60
	s_delay_alu instid0(VALU_DEP_4) | instskip(SKIP_2) | instid1(VALU_DEP_3)
	v_fma_f32 v56, v92, v60, -v56
	s_wait_loadcnt_dscnt 0x605
	v_dual_mul_f32 v124, v96, v65 :: v_dual_mul_f32 v125, v98, v67
	v_add_f32_e32 v57, v57, v58
	v_fmac_f32_e32 v123, v95, v62
	v_fma_f32 v58, v94, v62, -v59
	s_wait_loadcnt_dscnt 0x504
	v_dual_mul_f32 v126, v100, v69 :: v_dual_mul_f32 v127, v102, v71
	v_dual_add_f32 v56, v57, v56 :: v_dual_mul_f32 v57, v99, v67
	v_fmac_f32_e32 v124, v97, v64
	s_wait_loadcnt_dscnt 0x403
	v_dual_mul_f32 v128, v104, v73 :: v_dual_mul_f32 v129, v106, v75
	s_delay_alu instid0(VALU_DEP_3) | instskip(SKIP_3) | instid1(VALU_DEP_4)
	v_dual_add_f32 v56, v56, v58 :: v_dual_add_f32 v53, 0, v53
	v_mul_f32_e32 v58, v101, v69
	v_fma_f32 v57, v98, v66, -v57
	v_dual_fmac_f32 v125, v99, v66 :: v_dual_fmac_f32 v126, v101, v68
	v_add_f32_e32 v53, v53, v54
	v_mul_f32_e32 v54, v97, v65
	v_fma_f32 v58, v100, v68, -v58
	v_dual_fmac_f32 v127, v103, v70 :: v_dual_fmac_f32 v128, v105, v72
	s_wait_loadcnt_dscnt 0x302
	v_dual_mul_f32 v130, v108, v77 :: v_dual_mul_f32 v131, v110, v79
	v_fma_f32 v54, v96, v64, -v54
	s_wait_loadcnt_dscnt 0x201
	v_dual_mul_f32 v132, v112, v81 :: v_dual_mul_f32 v133, v114, v83
	s_wait_loadcnt_dscnt 0x100
	v_dual_mul_f32 v134, v116, v85 :: v_dual_mul_f32 v135, v118, v87
	v_add_f32_e32 v54, v56, v54
	v_mul_f32_e32 v56, v103, v71
	v_dual_fmac_f32 v132, v113, v80 :: v_dual_fmac_f32 v133, v115, v82
	s_delay_alu instid0(VALU_DEP_4) | instskip(NEXT) | instid1(VALU_DEP_4)
	v_dual_fmac_f32 v134, v117, v84 :: v_dual_fmac_f32 v135, v119, v86
	v_dual_add_f32 v54, v54, v57 :: v_dual_add_f32 v53, v53, v122
	v_mul_f32_e32 v57, v105, v73
	v_fma_f32 v56, v102, v70, -v56
	v_fmac_f32_e32 v129, v107, v74
	s_delay_alu instid0(VALU_DEP_4)
	v_add_f32_e32 v54, v54, v58
	v_mul_f32_e32 v58, v107, v75
	v_add_f32_e32 v53, v53, v123
	v_fma_f32 v57, v104, v72, -v57
	v_fmac_f32_e32 v130, v109, v76
	v_add_f32_e32 v54, v54, v56
	v_mul_f32_e32 v56, v109, v77
	v_add_f32_e32 v53, v53, v124
	v_fma_f32 v58, v106, v74, -v58
	s_delay_alu instid0(VALU_DEP_4) | instskip(SKIP_1) | instid1(VALU_DEP_4)
	v_dual_fmac_f32 v131, v111, v78 :: v_dual_add_f32 v54, v54, v57
	v_mul_f32_e32 v57, v111, v79
	v_add_f32_e32 v53, v53, v125
	v_fma_f32 v56, v108, v76, -v56
	s_delay_alu instid0(VALU_DEP_4) | instskip(NEXT) | instid1(VALU_DEP_4)
	v_add_f32_e32 v54, v54, v58
	v_fma_f32 v57, v110, v78, -v57
	s_delay_alu instid0(VALU_DEP_4) | instskip(SKIP_1) | instid1(VALU_DEP_4)
	v_add_f32_e32 v53, v53, v126
	v_mul_f32_e32 v58, v113, v81
	v_add_f32_e32 v54, v54, v56
	v_mul_f32_e32 v56, v115, v83
	s_delay_alu instid0(VALU_DEP_4) | instskip(NEXT) | instid1(VALU_DEP_4)
	v_add_f32_e32 v53, v53, v127
	v_fma_f32 v58, v112, v80, -v58
	s_delay_alu instid0(VALU_DEP_4) | instskip(SKIP_1) | instid1(VALU_DEP_4)
	v_add_f32_e32 v54, v54, v57
	v_mul_f32_e32 v57, v117, v85
	v_add_f32_e32 v53, v53, v128
	v_fma_f32 v56, v114, v82, -v56
	s_delay_alu instid0(VALU_DEP_4) | instskip(NEXT) | instid1(VALU_DEP_3)
	v_add_f32_e32 v54, v54, v58
	v_dual_mul_f32 v58, v119, v87 :: v_dual_add_f32 v53, v53, v129
	v_fma_f32 v57, v116, v84, -v57
	s_delay_alu instid0(VALU_DEP_3) | instskip(NEXT) | instid1(VALU_DEP_3)
	v_add_f32_e32 v54, v54, v56
	v_fma_f32 v56, v118, v86, -v58
	s_delay_alu instid0(VALU_DEP_2) | instskip(NEXT) | instid1(VALU_DEP_1)
	v_dual_add_f32 v53, v53, v130 :: v_dual_add_f32 v54, v54, v57
	v_dual_add_f32 v53, v53, v131 :: v_dual_add_f32 v54, v54, v56
	s_delay_alu instid0(VALU_DEP_1) | instskip(NEXT) | instid1(VALU_DEP_1)
	v_add_f32_e32 v53, v53, v132
	v_add_f32_e32 v53, v53, v133
	s_delay_alu instid0(VALU_DEP_1) | instskip(SKIP_1) | instid1(VALU_DEP_1)
	v_add_f32_e32 v53, v53, v134
	s_wait_loadcnt 0x0
	v_dual_add_f32 v56, v53, v135 :: v_dual_sub_f32 v53, v120, v54
	s_delay_alu instid0(VALU_DEP_1)
	v_sub_f32_e32 v54, v121, v56
	scratch_store_b64 off, v[53:54], off offset:72
	v_cmpx_lt_u32_e32 8, v0
	s_cbranch_execz .LBB89_153
; %bb.152:
	scratch_load_b64 v[53:54], off, off offset:64
	v_mov_b32_e32 v56, 0
	s_delay_alu instid0(VALU_DEP_1)
	v_mov_b32_e32 v57, v56
	scratch_store_b64 off, v[56:57], off offset:64
	s_wait_loadcnt 0x0
	ds_store_b64 v55, v[53:54]
.LBB89_153:
	s_wait_alu 0xfffe
	s_or_b32 exec_lo, exec_lo, s0
	s_wait_storecnt_dscnt 0x0
	s_barrier_signal -1
	s_barrier_wait -1
	global_inv scope:SCOPE_SE
	s_clause 0x9
	scratch_load_b128 v[56:59], off, off offset:72
	scratch_load_b128 v[60:63], off, off offset:88
	;; [unrolled: 1-line block ×8, first 2 shown]
	scratch_load_b64 v[120:121], off, off offset:200
	scratch_load_b64 v[122:123], off, off offset:64
	v_mov_b32_e32 v53, 0
	ds_load_2addr_b64 v[88:91], v53 offset0:35 offset1:36
	ds_load_2addr_b64 v[92:95], v53 offset0:37 offset1:38
	;; [unrolled: 1-line block ×8, first 2 shown]
	ds_load_b64 v[124:125], v53 offset:408
	s_mov_b32 s0, exec_lo
	s_wait_loadcnt_dscnt 0x908
	v_mul_f32_e32 v54, v88, v57
	s_wait_loadcnt_dscnt 0x807
	v_dual_mul_f32 v126, v90, v59 :: v_dual_mul_f32 v127, v92, v61
	v_mul_f32_e32 v57, v89, v57
	s_delay_alu instid0(VALU_DEP_3)
	v_dual_mul_f32 v59, v91, v59 :: v_dual_fmac_f32 v54, v89, v56
	s_wait_loadcnt_dscnt 0x302
	v_mul_f32_e32 v138, v114, v83
	v_dual_mul_f32 v128, v94, v63 :: v_dual_mul_f32 v129, v96, v65
	s_wait_loadcnt_dscnt 0x100
	v_mul_f32_e32 v141, v124, v121
	v_fma_f32 v57, v88, v56, -v57
	v_mul_f32_e32 v56, v93, v61
	v_fmac_f32_e32 v126, v91, v58
	v_fma_f32 v58, v90, v58, -v59
	v_dual_add_f32 v54, 0, v54 :: v_dual_mul_f32 v59, v95, v63
	v_add_f32_e32 v57, 0, v57
	v_fmac_f32_e32 v127, v93, v60
	v_fma_f32 v56, v92, v60, -v56
	s_delay_alu instid0(VALU_DEP_4)
	v_add_f32_e32 v54, v54, v126
	v_fma_f32 v59, v94, v62, -v59
	v_add_f32_e32 v57, v57, v58
	v_mul_f32_e32 v58, v97, v65
	v_dual_mul_f32 v132, v102, v71 :: v_dual_mul_f32 v133, v104, v73
	v_add_f32_e32 v54, v54, v127
	s_delay_alu instid0(VALU_DEP_4) | instskip(NEXT) | instid1(VALU_DEP_4)
	v_dual_add_f32 v56, v57, v56 :: v_dual_mul_f32 v57, v99, v67
	v_fma_f32 v58, v96, v64, -v58
	v_dual_mul_f32 v134, v106, v75 :: v_dual_mul_f32 v135, v108, v77
	s_delay_alu instid0(VALU_DEP_3) | instskip(NEXT) | instid1(VALU_DEP_4)
	v_dual_add_f32 v56, v56, v59 :: v_dual_mul_f32 v59, v101, v69
	v_fma_f32 v57, v98, v66, -v57
	v_dual_mul_f32 v136, v110, v79 :: v_dual_mul_f32 v137, v112, v81
	s_delay_alu instid0(VALU_DEP_3) | instskip(SKIP_3) | instid1(VALU_DEP_4)
	v_dual_add_f32 v56, v56, v58 :: v_dual_fmac_f32 v133, v105, v72
	v_dual_fmac_f32 v128, v95, v62 :: v_dual_fmac_f32 v129, v97, v64
	v_dual_mul_f32 v58, v103, v71 :: v_dual_fmac_f32 v135, v109, v76
	v_fma_f32 v59, v100, v68, -v59
	v_dual_add_f32 v56, v56, v57 :: v_dual_fmac_f32 v137, v113, v80
	v_dual_mul_f32 v139, v116, v85 :: v_dual_mul_f32 v140, v118, v87
	v_dual_add_f32 v54, v54, v128 :: v_dual_mul_f32 v57, v105, v73
	v_fma_f32 v58, v102, v70, -v58
	s_delay_alu instid0(VALU_DEP_3) | instskip(SKIP_3) | instid1(VALU_DEP_4)
	v_dual_add_f32 v56, v56, v59 :: v_dual_fmac_f32 v139, v117, v84
	v_dual_mul_f32 v130, v98, v67 :: v_dual_mul_f32 v131, v100, v69
	v_mul_f32_e32 v59, v107, v75
	v_fma_f32 v57, v104, v72, -v57
	v_add_f32_e32 v56, v56, v58
	s_delay_alu instid0(VALU_DEP_4) | instskip(SKIP_4) | instid1(VALU_DEP_4)
	v_dual_fmac_f32 v130, v99, v66 :: v_dual_fmac_f32 v131, v101, v68
	v_add_f32_e32 v54, v54, v129
	v_mul_f32_e32 v58, v109, v77
	v_fma_f32 v59, v106, v74, -v59
	v_dual_add_f32 v56, v56, v57 :: v_dual_mul_f32 v57, v111, v79
	v_add_f32_e32 v54, v54, v130
	s_delay_alu instid0(VALU_DEP_4) | instskip(SKIP_1) | instid1(VALU_DEP_4)
	v_fma_f32 v58, v108, v76, -v58
	v_fmac_f32_e32 v132, v103, v70
	v_dual_add_f32 v56, v56, v59 :: v_dual_mul_f32 v59, v113, v81
	s_delay_alu instid0(VALU_DEP_4) | instskip(SKIP_1) | instid1(VALU_DEP_3)
	v_dual_add_f32 v54, v54, v131 :: v_dual_fmac_f32 v141, v125, v120
	v_fma_f32 v57, v110, v78, -v57
	v_add_f32_e32 v56, v56, v58
	v_fmac_f32_e32 v134, v107, v74
	v_fmac_f32_e32 v136, v111, v78
	v_mul_f32_e32 v58, v115, v83
	v_fma_f32 v59, v112, v80, -v59
	v_add_f32_e32 v56, v56, v57
	v_dual_mul_f32 v57, v117, v85 :: v_dual_add_f32 v54, v54, v132
	v_fmac_f32_e32 v138, v115, v82
	v_fma_f32 v58, v114, v82, -v58
	s_delay_alu instid0(VALU_DEP_4) | instskip(NEXT) | instid1(VALU_DEP_4)
	v_add_f32_e32 v56, v56, v59
	v_dual_mul_f32 v59, v119, v87 :: v_dual_add_f32 v54, v54, v133
	v_fma_f32 v57, v116, v84, -v57
	v_fmac_f32_e32 v140, v119, v86
	s_delay_alu instid0(VALU_DEP_4) | instskip(SKIP_3) | instid1(VALU_DEP_4)
	v_add_f32_e32 v56, v56, v58
	v_mul_f32_e32 v58, v125, v121
	v_add_f32_e32 v54, v54, v134
	v_fma_f32 v59, v118, v86, -v59
	v_add_f32_e32 v56, v56, v57
	s_delay_alu instid0(VALU_DEP_4) | instskip(NEXT) | instid1(VALU_DEP_4)
	v_fma_f32 v57, v124, v120, -v58
	v_add_f32_e32 v54, v54, v135
	s_delay_alu instid0(VALU_DEP_3) | instskip(NEXT) | instid1(VALU_DEP_2)
	v_add_f32_e32 v56, v56, v59
	v_add_f32_e32 v54, v54, v136
	s_delay_alu instid0(VALU_DEP_2) | instskip(NEXT) | instid1(VALU_DEP_2)
	v_add_f32_e32 v56, v56, v57
	v_add_f32_e32 v54, v54, v137
	s_wait_loadcnt 0x0
	s_delay_alu instid0(VALU_DEP_2) | instskip(NEXT) | instid1(VALU_DEP_2)
	v_sub_f32_e32 v56, v122, v56
	v_add_f32_e32 v54, v54, v138
	s_delay_alu instid0(VALU_DEP_1) | instskip(NEXT) | instid1(VALU_DEP_1)
	v_add_f32_e32 v54, v54, v139
	v_add_f32_e32 v54, v54, v140
	s_delay_alu instid0(VALU_DEP_1) | instskip(NEXT) | instid1(VALU_DEP_1)
	v_add_f32_e32 v54, v54, v141
	v_sub_f32_e32 v57, v123, v54
	scratch_store_b64 off, v[56:57], off offset:64
	v_cmpx_lt_u32_e32 7, v0
	s_cbranch_execz .LBB89_155
; %bb.154:
	scratch_load_b64 v[56:57], off, off offset:56
	v_mov_b32_e32 v54, v53
	scratch_store_b64 off, v[53:54], off offset:56
	s_wait_loadcnt 0x0
	ds_store_b64 v55, v[56:57]
.LBB89_155:
	s_wait_alu 0xfffe
	s_or_b32 exec_lo, exec_lo, s0
	s_wait_storecnt_dscnt 0x0
	s_barrier_signal -1
	s_barrier_wait -1
	global_inv scope:SCOPE_SE
	s_clause 0x9
	scratch_load_b128 v[56:59], off, off offset:64
	scratch_load_b128 v[60:63], off, off offset:80
	;; [unrolled: 1-line block ×9, first 2 shown]
	scratch_load_b64 v[128:129], off, off offset:56
	ds_load_b128 v[92:95], v53 offset:272
	ds_load_b128 v[96:99], v53 offset:288
	;; [unrolled: 1-line block ×9, first 2 shown]
	s_mov_b32 s0, exec_lo
	s_wait_loadcnt_dscnt 0x908
	v_dual_mul_f32 v53, v92, v57 :: v_dual_mul_f32 v54, v94, v59
	v_mul_f32_e32 v57, v93, v57
	s_wait_loadcnt_dscnt 0x807
	v_dual_mul_f32 v59, v95, v59 :: v_dual_mul_f32 v130, v96, v61
	s_delay_alu instid0(VALU_DEP_3) | instskip(NEXT) | instid1(VALU_DEP_3)
	v_dual_mul_f32 v131, v98, v63 :: v_dual_fmac_f32 v54, v95, v58
	v_fma_f32 v57, v92, v56, -v57
	v_fmac_f32_e32 v53, v93, v56
	v_mul_f32_e32 v56, v97, v61
	v_fma_f32 v58, v94, v58, -v59
	v_mul_f32_e32 v59, v99, v63
	v_dual_add_f32 v57, 0, v57 :: v_dual_fmac_f32 v130, v97, v60
	s_delay_alu instid0(VALU_DEP_4) | instskip(SKIP_2) | instid1(VALU_DEP_3)
	v_fma_f32 v56, v96, v60, -v56
	s_wait_loadcnt_dscnt 0x706
	v_dual_mul_f32 v132, v100, v65 :: v_dual_mul_f32 v133, v102, v67
	v_add_f32_e32 v57, v57, v58
	v_fmac_f32_e32 v131, v99, v62
	v_fma_f32 v58, v98, v62, -v59
	s_wait_loadcnt_dscnt 0x605
	v_dual_mul_f32 v134, v104, v69 :: v_dual_mul_f32 v135, v106, v71
	v_dual_add_f32 v56, v57, v56 :: v_dual_mul_f32 v57, v103, v67
	v_fmac_f32_e32 v132, v101, v64
	s_wait_loadcnt_dscnt 0x504
	v_dual_mul_f32 v136, v108, v73 :: v_dual_mul_f32 v137, v110, v75
	s_delay_alu instid0(VALU_DEP_3) | instskip(SKIP_3) | instid1(VALU_DEP_4)
	v_dual_add_f32 v56, v56, v58 :: v_dual_add_f32 v53, 0, v53
	v_mul_f32_e32 v58, v105, v69
	v_fma_f32 v57, v102, v66, -v57
	v_dual_fmac_f32 v133, v103, v66 :: v_dual_fmac_f32 v134, v105, v68
	v_add_f32_e32 v53, v53, v54
	v_mul_f32_e32 v54, v101, v65
	v_fma_f32 v58, v104, v68, -v58
	v_dual_fmac_f32 v135, v107, v70 :: v_dual_fmac_f32 v136, v109, v72
	s_wait_loadcnt_dscnt 0x403
	v_dual_mul_f32 v138, v112, v77 :: v_dual_mul_f32 v139, v114, v79
	v_fma_f32 v54, v100, v64, -v54
	s_wait_loadcnt_dscnt 0x302
	v_dual_mul_f32 v140, v116, v81 :: v_dual_mul_f32 v141, v118, v83
	s_wait_loadcnt_dscnt 0x201
	v_dual_mul_f32 v142, v120, v85 :: v_dual_mul_f32 v143, v122, v87
	v_add_f32_e32 v54, v56, v54
	v_mul_f32_e32 v56, v107, v71
	v_dual_fmac_f32 v140, v117, v80 :: v_dual_fmac_f32 v141, v119, v82
	s_delay_alu instid0(VALU_DEP_4) | instskip(NEXT) | instid1(VALU_DEP_4)
	v_dual_fmac_f32 v142, v121, v84 :: v_dual_fmac_f32 v143, v123, v86
	v_dual_add_f32 v54, v54, v57 :: v_dual_add_f32 v53, v53, v130
	v_mul_f32_e32 v57, v109, v73
	v_fma_f32 v56, v106, v70, -v56
	v_fmac_f32_e32 v137, v111, v74
	s_delay_alu instid0(VALU_DEP_4)
	v_add_f32_e32 v54, v54, v58
	v_mul_f32_e32 v58, v111, v75
	v_add_f32_e32 v53, v53, v131
	v_fma_f32 v57, v108, v72, -v57
	v_fmac_f32_e32 v138, v113, v76
	v_add_f32_e32 v54, v54, v56
	v_mul_f32_e32 v56, v113, v77
	v_add_f32_e32 v53, v53, v132
	v_fma_f32 v58, v110, v74, -v58
	s_delay_alu instid0(VALU_DEP_4) | instskip(SKIP_1) | instid1(VALU_DEP_4)
	v_dual_fmac_f32 v139, v115, v78 :: v_dual_add_f32 v54, v54, v57
	v_mul_f32_e32 v57, v115, v79
	v_add_f32_e32 v53, v53, v133
	v_fma_f32 v56, v112, v76, -v56
	s_wait_loadcnt_dscnt 0x100
	v_dual_mul_f32 v144, v124, v89 :: v_dual_mul_f32 v145, v126, v91
	v_add_f32_e32 v54, v54, v58
	v_add_f32_e32 v53, v53, v134
	v_fma_f32 v57, v114, v78, -v57
	v_mul_f32_e32 v58, v117, v81
	v_dual_fmac_f32 v144, v125, v88 :: v_dual_fmac_f32 v145, v127, v90
	s_delay_alu instid0(VALU_DEP_4) | instskip(SKIP_1) | instid1(VALU_DEP_4)
	v_dual_add_f32 v54, v54, v56 :: v_dual_add_f32 v53, v53, v135
	v_mul_f32_e32 v56, v119, v83
	v_fma_f32 v58, v116, v80, -v58
	s_delay_alu instid0(VALU_DEP_3) | instskip(SKIP_1) | instid1(VALU_DEP_4)
	v_dual_add_f32 v54, v54, v57 :: v_dual_add_f32 v53, v53, v136
	v_mul_f32_e32 v57, v121, v85
	v_fma_f32 v56, v118, v82, -v56
	s_delay_alu instid0(VALU_DEP_3) | instskip(SKIP_1) | instid1(VALU_DEP_4)
	;; [unrolled: 4-line block ×4, first 2 shown]
	v_dual_add_f32 v54, v54, v57 :: v_dual_add_f32 v53, v53, v139
	v_mul_f32_e32 v57, v127, v91
	v_fma_f32 v56, v124, v88, -v56
	s_delay_alu instid0(VALU_DEP_3) | instskip(NEXT) | instid1(VALU_DEP_3)
	v_dual_add_f32 v54, v54, v58 :: v_dual_add_f32 v53, v53, v140
	v_fma_f32 v57, v126, v90, -v57
	s_delay_alu instid0(VALU_DEP_2) | instskip(NEXT) | instid1(VALU_DEP_1)
	v_dual_add_f32 v54, v54, v56 :: v_dual_add_f32 v53, v53, v141
	v_dual_add_f32 v54, v54, v57 :: v_dual_add_f32 v53, v53, v142
	s_delay_alu instid0(VALU_DEP_1) | instskip(NEXT) | instid1(VALU_DEP_1)
	v_add_f32_e32 v53, v53, v143
	v_add_f32_e32 v53, v53, v144
	s_wait_loadcnt 0x0
	s_delay_alu instid0(VALU_DEP_1) | instskip(NEXT) | instid1(VALU_DEP_1)
	v_dual_add_f32 v56, v53, v145 :: v_dual_sub_f32 v53, v128, v54
	v_sub_f32_e32 v54, v129, v56
	scratch_store_b64 off, v[53:54], off offset:56
	v_cmpx_lt_u32_e32 6, v0
	s_cbranch_execz .LBB89_157
; %bb.156:
	scratch_load_b64 v[53:54], off, off offset:48
	v_mov_b32_e32 v56, 0
	s_delay_alu instid0(VALU_DEP_1)
	v_mov_b32_e32 v57, v56
	scratch_store_b64 off, v[56:57], off offset:48
	s_wait_loadcnt 0x0
	ds_store_b64 v55, v[53:54]
.LBB89_157:
	s_wait_alu 0xfffe
	s_or_b32 exec_lo, exec_lo, s0
	s_wait_storecnt_dscnt 0x0
	s_barrier_signal -1
	s_barrier_wait -1
	global_inv scope:SCOPE_SE
	s_clause 0xa
	scratch_load_b128 v[56:59], off, off offset:56
	scratch_load_b128 v[60:63], off, off offset:72
	;; [unrolled: 1-line block ×9, first 2 shown]
	scratch_load_b64 v[128:129], off, off offset:200
	scratch_load_b64 v[130:131], off, off offset:48
	v_mov_b32_e32 v53, 0
	ds_load_2addr_b64 v[92:95], v53 offset0:33 offset1:34
	ds_load_2addr_b64 v[96:99], v53 offset0:35 offset1:36
	;; [unrolled: 1-line block ×9, first 2 shown]
	ds_load_b64 v[132:133], v53 offset:408
	s_mov_b32 s0, exec_lo
	s_wait_loadcnt_dscnt 0xa09
	v_mul_f32_e32 v54, v92, v57
	s_wait_loadcnt_dscnt 0x908
	v_dual_mul_f32 v134, v94, v59 :: v_dual_mul_f32 v135, v96, v61
	v_mul_f32_e32 v57, v93, v57
	s_delay_alu instid0(VALU_DEP_3)
	v_dual_mul_f32 v59, v95, v59 :: v_dual_fmac_f32 v54, v93, v56
	s_wait_loadcnt_dscnt 0x807
	v_dual_mul_f32 v136, v98, v63 :: v_dual_mul_f32 v137, v100, v65
	s_wait_loadcnt_dscnt 0x100
	v_dual_mul_f32 v148, v122, v87 :: v_dual_mul_f32 v151, v132, v129
	v_fma_f32 v57, v92, v56, -v57
	v_mul_f32_e32 v56, v97, v61
	v_fmac_f32_e32 v134, v95, v58
	v_fma_f32 v58, v94, v58, -v59
	v_dual_add_f32 v54, 0, v54 :: v_dual_mul_f32 v59, v99, v63
	v_add_f32_e32 v57, 0, v57
	v_fmac_f32_e32 v135, v97, v60
	v_fma_f32 v56, v96, v60, -v56
	s_delay_alu instid0(VALU_DEP_4)
	v_add_f32_e32 v54, v54, v134
	v_fma_f32 v59, v98, v62, -v59
	v_add_f32_e32 v57, v57, v58
	v_mul_f32_e32 v58, v101, v65
	v_dual_mul_f32 v140, v106, v71 :: v_dual_mul_f32 v141, v108, v73
	v_add_f32_e32 v54, v54, v135
	s_delay_alu instid0(VALU_DEP_4) | instskip(NEXT) | instid1(VALU_DEP_4)
	v_dual_add_f32 v56, v57, v56 :: v_dual_mul_f32 v57, v103, v67
	v_fma_f32 v58, v100, v64, -v58
	v_dual_mul_f32 v142, v110, v75 :: v_dual_mul_f32 v143, v112, v77
	s_delay_alu instid0(VALU_DEP_3) | instskip(NEXT) | instid1(VALU_DEP_4)
	v_dual_add_f32 v56, v56, v59 :: v_dual_mul_f32 v59, v105, v69
	v_fma_f32 v57, v102, v66, -v57
	v_dual_mul_f32 v144, v114, v79 :: v_dual_mul_f32 v145, v116, v81
	s_delay_alu instid0(VALU_DEP_3) | instskip(SKIP_3) | instid1(VALU_DEP_4)
	v_dual_add_f32 v56, v56, v58 :: v_dual_fmac_f32 v141, v109, v72
	v_dual_fmac_f32 v136, v99, v62 :: v_dual_fmac_f32 v137, v101, v64
	v_dual_mul_f32 v58, v107, v71 :: v_dual_fmac_f32 v143, v113, v76
	v_fma_f32 v59, v104, v68, -v59
	v_dual_add_f32 v56, v56, v57 :: v_dual_fmac_f32 v145, v117, v80
	v_dual_mul_f32 v146, v118, v83 :: v_dual_mul_f32 v147, v120, v85
	v_dual_add_f32 v54, v54, v136 :: v_dual_mul_f32 v57, v109, v73
	v_fma_f32 v58, v106, v70, -v58
	s_delay_alu instid0(VALU_DEP_3) | instskip(SKIP_1) | instid1(VALU_DEP_4)
	v_dual_add_f32 v56, v56, v59 :: v_dual_fmac_f32 v147, v121, v84
	v_mul_f32_e32 v59, v111, v75
	v_fma_f32 v57, v108, v72, -v57
	v_dual_mul_f32 v138, v102, v67 :: v_dual_mul_f32 v139, v104, v69
	s_delay_alu instid0(VALU_DEP_4) | instskip(SKIP_2) | instid1(VALU_DEP_4)
	v_add_f32_e32 v56, v56, v58
	v_mul_f32_e32 v58, v113, v77
	v_fma_f32 v59, v110, v74, -v59
	v_dual_fmac_f32 v138, v103, v66 :: v_dual_fmac_f32 v139, v105, v68
	s_delay_alu instid0(VALU_DEP_4) | instskip(SKIP_2) | instid1(VALU_DEP_3)
	v_dual_add_f32 v56, v56, v57 :: v_dual_fmac_f32 v151, v133, v128
	v_dual_add_f32 v54, v54, v137 :: v_dual_mul_f32 v57, v115, v79
	v_fma_f32 v58, v112, v76, -v58
	v_dual_add_f32 v56, v56, v59 :: v_dual_mul_f32 v59, v117, v81
	s_delay_alu instid0(VALU_DEP_3) | instskip(NEXT) | instid1(VALU_DEP_4)
	v_add_f32_e32 v54, v54, v138
	v_fma_f32 v57, v114, v78, -v57
	v_dual_mul_f32 v149, v124, v89 :: v_dual_mul_f32 v150, v126, v91
	s_delay_alu instid0(VALU_DEP_4)
	v_add_f32_e32 v56, v56, v58
	v_mul_f32_e32 v58, v119, v83
	v_fma_f32 v59, v116, v80, -v59
	v_fmac_f32_e32 v140, v107, v70
	v_dual_add_f32 v54, v54, v139 :: v_dual_fmac_f32 v149, v125, v88
	v_add_f32_e32 v56, v56, v57
	v_mul_f32_e32 v57, v121, v85
	v_fma_f32 v58, v118, v82, -v58
	s_delay_alu instid0(VALU_DEP_4)
	v_add_f32_e32 v54, v54, v140
	v_fmac_f32_e32 v142, v111, v74
	v_add_f32_e32 v56, v56, v59
	v_mul_f32_e32 v59, v123, v87
	v_fma_f32 v57, v120, v84, -v57
	v_fmac_f32_e32 v144, v115, v78
	v_fmac_f32_e32 v146, v119, v82
	v_add_f32_e32 v56, v56, v58
	v_fma_f32 v59, v122, v86, -v59
	v_mul_f32_e32 v58, v125, v89
	v_fmac_f32_e32 v148, v123, v86
	v_fmac_f32_e32 v150, v127, v90
	v_dual_add_f32 v56, v56, v57 :: v_dual_mul_f32 v57, v127, v91
	v_add_f32_e32 v54, v54, v141
	v_fma_f32 v58, v124, v88, -v58
	s_delay_alu instid0(VALU_DEP_3) | instskip(NEXT) | instid1(VALU_DEP_3)
	v_dual_add_f32 v56, v56, v59 :: v_dual_mul_f32 v59, v133, v129
	v_add_f32_e32 v54, v54, v142
	v_fma_f32 v57, v126, v90, -v57
	s_delay_alu instid0(VALU_DEP_3) | instskip(NEXT) | instid1(VALU_DEP_4)
	v_add_f32_e32 v56, v56, v58
	v_fma_f32 v58, v132, v128, -v59
	s_delay_alu instid0(VALU_DEP_4) | instskip(NEXT) | instid1(VALU_DEP_3)
	v_add_f32_e32 v54, v54, v143
	v_add_f32_e32 v56, v56, v57
	s_delay_alu instid0(VALU_DEP_2) | instskip(NEXT) | instid1(VALU_DEP_2)
	v_add_f32_e32 v54, v54, v144
	v_add_f32_e32 v56, v56, v58
	s_delay_alu instid0(VALU_DEP_2) | instskip(SKIP_1) | instid1(VALU_DEP_2)
	v_add_f32_e32 v54, v54, v145
	s_wait_loadcnt 0x0
	v_sub_f32_e32 v56, v130, v56
	s_delay_alu instid0(VALU_DEP_2) | instskip(NEXT) | instid1(VALU_DEP_1)
	v_add_f32_e32 v54, v54, v146
	v_add_f32_e32 v54, v54, v147
	s_delay_alu instid0(VALU_DEP_1) | instskip(NEXT) | instid1(VALU_DEP_1)
	v_add_f32_e32 v54, v54, v148
	v_add_f32_e32 v54, v54, v149
	s_delay_alu instid0(VALU_DEP_1) | instskip(NEXT) | instid1(VALU_DEP_1)
	v_add_f32_e32 v54, v54, v150
	v_add_f32_e32 v54, v54, v151
	s_delay_alu instid0(VALU_DEP_1)
	v_sub_f32_e32 v57, v131, v54
	scratch_store_b64 off, v[56:57], off offset:48
	v_cmpx_lt_u32_e32 5, v0
	s_cbranch_execz .LBB89_159
; %bb.158:
	scratch_load_b64 v[56:57], off, off offset:40
	v_mov_b32_e32 v54, v53
	scratch_store_b64 off, v[53:54], off offset:40
	s_wait_loadcnt 0x0
	ds_store_b64 v55, v[56:57]
.LBB89_159:
	s_wait_alu 0xfffe
	s_or_b32 exec_lo, exec_lo, s0
	s_wait_storecnt_dscnt 0x0
	s_barrier_signal -1
	s_barrier_wait -1
	global_inv scope:SCOPE_SE
	s_clause 0xa
	scratch_load_b128 v[56:59], off, off offset:48
	scratch_load_b128 v[60:63], off, off offset:64
	;; [unrolled: 1-line block ×10, first 2 shown]
	scratch_load_b64 v[136:137], off, off offset:40
	ds_load_b128 v[96:99], v53 offset:256
	ds_load_b128 v[100:103], v53 offset:272
	;; [unrolled: 1-line block ×10, first 2 shown]
	s_mov_b32 s0, exec_lo
	s_wait_loadcnt_dscnt 0xa09
	v_dual_mul_f32 v53, v96, v57 :: v_dual_mul_f32 v54, v98, v59
	v_mul_f32_e32 v57, v97, v57
	s_wait_loadcnt_dscnt 0x908
	v_dual_mul_f32 v59, v99, v59 :: v_dual_mul_f32 v138, v100, v61
	s_delay_alu instid0(VALU_DEP_3) | instskip(NEXT) | instid1(VALU_DEP_3)
	v_dual_mul_f32 v139, v102, v63 :: v_dual_fmac_f32 v54, v99, v58
	v_fma_f32 v57, v96, v56, -v57
	v_fmac_f32_e32 v53, v97, v56
	v_mul_f32_e32 v56, v101, v61
	v_fma_f32 v58, v98, v58, -v59
	v_mul_f32_e32 v59, v103, v63
	v_dual_add_f32 v57, 0, v57 :: v_dual_fmac_f32 v138, v101, v60
	s_delay_alu instid0(VALU_DEP_4) | instskip(SKIP_2) | instid1(VALU_DEP_3)
	v_fma_f32 v56, v100, v60, -v56
	s_wait_loadcnt_dscnt 0x807
	v_dual_mul_f32 v140, v104, v65 :: v_dual_mul_f32 v141, v106, v67
	v_add_f32_e32 v57, v57, v58
	v_fmac_f32_e32 v139, v103, v62
	v_fma_f32 v58, v102, v62, -v59
	s_wait_loadcnt_dscnt 0x706
	v_dual_mul_f32 v142, v108, v69 :: v_dual_mul_f32 v143, v110, v71
	v_dual_add_f32 v56, v57, v56 :: v_dual_mul_f32 v57, v107, v67
	v_fmac_f32_e32 v140, v105, v64
	s_wait_loadcnt_dscnt 0x605
	v_dual_mul_f32 v144, v112, v73 :: v_dual_mul_f32 v145, v114, v75
	s_delay_alu instid0(VALU_DEP_3) | instskip(SKIP_3) | instid1(VALU_DEP_4)
	v_dual_add_f32 v56, v56, v58 :: v_dual_add_f32 v53, 0, v53
	v_mul_f32_e32 v58, v109, v69
	v_fma_f32 v57, v106, v66, -v57
	v_dual_fmac_f32 v141, v107, v66 :: v_dual_fmac_f32 v142, v109, v68
	v_add_f32_e32 v53, v53, v54
	v_mul_f32_e32 v54, v105, v65
	v_fma_f32 v58, v108, v68, -v58
	v_dual_fmac_f32 v143, v111, v70 :: v_dual_fmac_f32 v144, v113, v72
	s_wait_loadcnt_dscnt 0x504
	v_dual_mul_f32 v146, v116, v77 :: v_dual_mul_f32 v147, v118, v79
	v_fma_f32 v54, v104, v64, -v54
	s_wait_loadcnt_dscnt 0x403
	v_dual_mul_f32 v148, v120, v81 :: v_dual_mul_f32 v149, v122, v83
	s_wait_loadcnt_dscnt 0x302
	v_dual_mul_f32 v150, v124, v85 :: v_dual_mul_f32 v151, v126, v87
	v_add_f32_e32 v54, v56, v54
	v_mul_f32_e32 v56, v111, v71
	v_dual_fmac_f32 v148, v121, v80 :: v_dual_fmac_f32 v149, v123, v82
	s_delay_alu instid0(VALU_DEP_4) | instskip(NEXT) | instid1(VALU_DEP_4)
	v_dual_fmac_f32 v150, v125, v84 :: v_dual_fmac_f32 v151, v127, v86
	v_dual_add_f32 v54, v54, v57 :: v_dual_add_f32 v53, v53, v138
	v_mul_f32_e32 v57, v113, v73
	v_fma_f32 v56, v110, v70, -v56
	v_fmac_f32_e32 v145, v115, v74
	s_delay_alu instid0(VALU_DEP_4)
	v_add_f32_e32 v54, v54, v58
	v_mul_f32_e32 v58, v115, v75
	v_add_f32_e32 v53, v53, v139
	v_fma_f32 v57, v112, v72, -v57
	v_fmac_f32_e32 v146, v117, v76
	v_add_f32_e32 v54, v54, v56
	v_mul_f32_e32 v56, v117, v77
	v_add_f32_e32 v53, v53, v140
	v_fma_f32 v58, v114, v74, -v58
	s_delay_alu instid0(VALU_DEP_4) | instskip(SKIP_1) | instid1(VALU_DEP_4)
	v_dual_fmac_f32 v147, v119, v78 :: v_dual_add_f32 v54, v54, v57
	v_mul_f32_e32 v57, v119, v79
	v_add_f32_e32 v53, v53, v141
	v_fma_f32 v56, v116, v76, -v56
	s_wait_loadcnt_dscnt 0x201
	v_dual_mul_f32 v152, v128, v89 :: v_dual_mul_f32 v153, v130, v91
	v_add_f32_e32 v54, v54, v58
	v_add_f32_e32 v53, v53, v142
	v_fma_f32 v57, v118, v78, -v57
	v_mul_f32_e32 v58, v121, v81
	s_wait_loadcnt_dscnt 0x100
	v_dual_mul_f32 v154, v132, v93 :: v_dual_mul_f32 v155, v134, v95
	v_dual_add_f32 v54, v54, v56 :: v_dual_add_f32 v53, v53, v143
	v_mul_f32_e32 v56, v123, v83
	v_fma_f32 v58, v120, v80, -v58
	v_dual_fmac_f32 v152, v129, v88 :: v_dual_fmac_f32 v153, v131, v90
	s_delay_alu instid0(VALU_DEP_4) | instskip(SKIP_3) | instid1(VALU_DEP_4)
	v_dual_add_f32 v54, v54, v57 :: v_dual_add_f32 v53, v53, v144
	v_mul_f32_e32 v57, v125, v85
	v_fma_f32 v56, v122, v82, -v56
	v_fmac_f32_e32 v155, v135, v94
	v_dual_add_f32 v54, v54, v58 :: v_dual_add_f32 v53, v53, v145
	v_mul_f32_e32 v58, v127, v87
	v_fma_f32 v57, v124, v84, -v57
	s_delay_alu instid0(VALU_DEP_3) | instskip(SKIP_1) | instid1(VALU_DEP_4)
	v_dual_add_f32 v54, v54, v56 :: v_dual_add_f32 v53, v53, v146
	v_mul_f32_e32 v56, v129, v89
	v_fma_f32 v58, v126, v86, -v58
	s_delay_alu instid0(VALU_DEP_3) | instskip(SKIP_1) | instid1(VALU_DEP_4)
	;; [unrolled: 4-line block ×4, first 2 shown]
	v_dual_add_f32 v54, v54, v56 :: v_dual_add_f32 v53, v53, v149
	v_mul_f32_e32 v56, v135, v95
	v_fma_f32 v58, v132, v92, -v58
	s_delay_alu instid0(VALU_DEP_3) | instskip(NEXT) | instid1(VALU_DEP_3)
	v_dual_add_f32 v54, v54, v57 :: v_dual_add_f32 v53, v53, v150
	v_fma_f32 v56, v134, v94, -v56
	s_delay_alu instid0(VALU_DEP_2) | instskip(NEXT) | instid1(VALU_DEP_1)
	v_dual_add_f32 v54, v54, v58 :: v_dual_add_f32 v53, v53, v151
	v_add_f32_e32 v54, v54, v56
	s_delay_alu instid0(VALU_DEP_2) | instskip(SKIP_1) | instid1(VALU_DEP_2)
	v_add_f32_e32 v53, v53, v152
	v_fmac_f32_e32 v154, v133, v92
	v_add_f32_e32 v53, v53, v153
	s_delay_alu instid0(VALU_DEP_1) | instskip(SKIP_1) | instid1(VALU_DEP_1)
	v_add_f32_e32 v53, v53, v154
	s_wait_loadcnt 0x0
	v_dual_add_f32 v56, v53, v155 :: v_dual_sub_f32 v53, v136, v54
	s_delay_alu instid0(VALU_DEP_1)
	v_sub_f32_e32 v54, v137, v56
	scratch_store_b64 off, v[53:54], off offset:40
	v_cmpx_lt_u32_e32 4, v0
	s_cbranch_execz .LBB89_161
; %bb.160:
	scratch_load_b64 v[53:54], off, off offset:32
	v_mov_b32_e32 v56, 0
	s_delay_alu instid0(VALU_DEP_1)
	v_mov_b32_e32 v57, v56
	scratch_store_b64 off, v[56:57], off offset:32
	s_wait_loadcnt 0x0
	ds_store_b64 v55, v[53:54]
.LBB89_161:
	s_wait_alu 0xfffe
	s_or_b32 exec_lo, exec_lo, s0
	s_wait_storecnt_dscnt 0x0
	s_barrier_signal -1
	s_barrier_wait -1
	global_inv scope:SCOPE_SE
	s_clause 0xb
	scratch_load_b128 v[56:59], off, off offset:40
	scratch_load_b128 v[60:63], off, off offset:56
	;; [unrolled: 1-line block ×10, first 2 shown]
	scratch_load_b64 v[136:137], off, off offset:200
	scratch_load_b64 v[138:139], off, off offset:32
	v_mov_b32_e32 v53, 0
	ds_load_2addr_b64 v[96:99], v53 offset0:31 offset1:32
	ds_load_2addr_b64 v[100:103], v53 offset0:33 offset1:34
	;; [unrolled: 1-line block ×10, first 2 shown]
	ds_load_b64 v[140:141], v53 offset:408
	s_mov_b32 s0, exec_lo
	s_wait_loadcnt_dscnt 0xb0a
	v_mul_f32_e32 v54, v96, v57
	s_wait_loadcnt_dscnt 0xa09
	v_dual_mul_f32 v142, v98, v59 :: v_dual_mul_f32 v143, v100, v61
	v_mul_f32_e32 v59, v99, v59
	v_dual_mul_f32 v57, v97, v57 :: v_dual_mul_f32 v144, v102, v63
	s_wait_loadcnt_dscnt 0x908
	v_dual_mul_f32 v145, v104, v65 :: v_dual_fmac_f32 v54, v97, v56
	s_wait_loadcnt_dscnt 0x302
	v_mul_f32_e32 v158, v130, v91
	v_fma_f32 v57, v96, v56, -v57
	s_wait_loadcnt_dscnt 0x100
	v_mul_f32_e32 v161, v140, v137
	v_mul_f32_e32 v56, v101, v61
	v_fmac_f32_e32 v142, v99, v58
	v_fma_f32 v58, v98, v58, -v59
	v_dual_add_f32 v57, 0, v57 :: v_dual_add_f32 v54, 0, v54
	v_mul_f32_e32 v59, v103, v63
	v_fmac_f32_e32 v143, v101, v60
	v_fma_f32 v56, v100, v60, -v56
	v_dual_mul_f32 v148, v110, v71 :: v_dual_mul_f32 v149, v112, v73
	v_add_f32_e32 v54, v54, v142
	v_add_f32_e32 v57, v57, v58
	v_mul_f32_e32 v58, v105, v65
	v_fma_f32 v59, v102, v62, -v59
	v_dual_mul_f32 v150, v114, v75 :: v_dual_mul_f32 v151, v116, v77
	v_add_f32_e32 v54, v54, v143
	v_dual_add_f32 v56, v57, v56 :: v_dual_mul_f32 v57, v107, v67
	v_fma_f32 v58, v104, v64, -v58
	v_dual_mul_f32 v152, v118, v79 :: v_dual_mul_f32 v153, v120, v81
	s_delay_alu instid0(VALU_DEP_3) | instskip(NEXT) | instid1(VALU_DEP_4)
	v_dual_add_f32 v56, v56, v59 :: v_dual_mul_f32 v59, v109, v69
	v_fma_f32 v57, v106, v66, -v57
	v_dual_fmac_f32 v144, v103, v62 :: v_dual_fmac_f32 v145, v105, v64
	s_delay_alu instid0(VALU_DEP_3) | instskip(SKIP_2) | instid1(VALU_DEP_3)
	v_dual_add_f32 v56, v56, v58 :: v_dual_fmac_f32 v149, v113, v72
	v_dual_mul_f32 v58, v111, v71 :: v_dual_fmac_f32 v151, v117, v76
	v_fma_f32 v59, v108, v68, -v59
	v_dual_add_f32 v56, v56, v57 :: v_dual_fmac_f32 v153, v121, v80
	v_dual_mul_f32 v154, v122, v83 :: v_dual_mul_f32 v155, v124, v85
	v_dual_add_f32 v54, v54, v144 :: v_dual_mul_f32 v57, v113, v73
	v_fma_f32 v58, v110, v70, -v58
	s_delay_alu instid0(VALU_DEP_3) | instskip(SKIP_1) | instid1(VALU_DEP_4)
	v_dual_add_f32 v56, v56, v59 :: v_dual_fmac_f32 v155, v125, v84
	v_mul_f32_e32 v59, v115, v75
	v_fma_f32 v57, v112, v72, -v57
	v_dual_mul_f32 v146, v106, v67 :: v_dual_mul_f32 v147, v108, v69
	s_delay_alu instid0(VALU_DEP_4) | instskip(SKIP_3) | instid1(VALU_DEP_3)
	v_add_f32_e32 v56, v56, v58
	v_dual_mul_f32 v159, v132, v93 :: v_dual_mul_f32 v160, v134, v95
	v_mul_f32_e32 v58, v117, v77
	v_fma_f32 v59, v114, v74, -v59
	v_dual_add_f32 v56, v56, v57 :: v_dual_fmac_f32 v159, v133, v92
	v_dual_fmac_f32 v146, v107, v66 :: v_dual_fmac_f32 v147, v109, v68
	v_dual_add_f32 v54, v54, v145 :: v_dual_mul_f32 v57, v119, v79
	v_fma_f32 v58, v116, v76, -v58
	s_delay_alu instid0(VALU_DEP_4) | instskip(NEXT) | instid1(VALU_DEP_3)
	v_dual_add_f32 v56, v56, v59 :: v_dual_mul_f32 v59, v121, v81
	v_add_f32_e32 v54, v54, v146
	s_delay_alu instid0(VALU_DEP_4) | instskip(SKIP_1) | instid1(VALU_DEP_4)
	v_fma_f32 v57, v118, v78, -v57
	v_dual_mul_f32 v156, v126, v87 :: v_dual_mul_f32 v157, v128, v89
	v_add_f32_e32 v56, v56, v58
	v_mul_f32_e32 v58, v123, v83
	v_fma_f32 v59, v120, v80, -v59
	v_fmac_f32_e32 v148, v111, v70
	v_dual_add_f32 v54, v54, v147 :: v_dual_fmac_f32 v157, v129, v88
	v_add_f32_e32 v56, v56, v57
	v_mul_f32_e32 v57, v125, v85
	v_fma_f32 v58, v122, v82, -v58
	s_delay_alu instid0(VALU_DEP_4)
	v_add_f32_e32 v54, v54, v148
	v_fmac_f32_e32 v150, v115, v74
	v_add_f32_e32 v56, v56, v59
	v_mul_f32_e32 v59, v127, v87
	v_fma_f32 v57, v124, v84, -v57
	v_dual_fmac_f32 v161, v141, v136 :: v_dual_fmac_f32 v152, v119, v78
	s_delay_alu instid0(VALU_DEP_4) | instskip(NEXT) | instid1(VALU_DEP_4)
	v_add_f32_e32 v56, v56, v58
	v_fma_f32 v59, v126, v86, -v59
	v_fmac_f32_e32 v154, v123, v82
	v_mul_f32_e32 v58, v129, v89
	v_fmac_f32_e32 v156, v127, v86
	v_dual_add_f32 v56, v56, v57 :: v_dual_mul_f32 v57, v131, v91
	v_add_f32_e32 v54, v54, v149
	s_delay_alu instid0(VALU_DEP_4) | instskip(SKIP_1) | instid1(VALU_DEP_4)
	v_fma_f32 v58, v128, v88, -v58
	v_fmac_f32_e32 v158, v131, v90
	v_dual_add_f32 v56, v56, v59 :: v_dual_mul_f32 v59, v133, v93
	s_delay_alu instid0(VALU_DEP_4) | instskip(SKIP_2) | instid1(VALU_DEP_4)
	v_add_f32_e32 v54, v54, v150
	v_fma_f32 v57, v130, v90, -v57
	v_fmac_f32_e32 v160, v135, v94
	v_add_f32_e32 v56, v56, v58
	v_mul_f32_e32 v58, v135, v95
	v_add_f32_e32 v54, v54, v151
	v_fma_f32 v59, v132, v92, -v59
	s_delay_alu instid0(VALU_DEP_4) | instskip(NEXT) | instid1(VALU_DEP_3)
	v_add_f32_e32 v56, v56, v57
	v_dual_mul_f32 v57, v141, v137 :: v_dual_add_f32 v54, v54, v152
	v_fma_f32 v58, v134, v94, -v58
	s_delay_alu instid0(VALU_DEP_3) | instskip(NEXT) | instid1(VALU_DEP_3)
	v_add_f32_e32 v56, v56, v59
	v_fma_f32 v57, v140, v136, -v57
	s_delay_alu instid0(VALU_DEP_4) | instskip(NEXT) | instid1(VALU_DEP_3)
	v_add_f32_e32 v54, v54, v153
	v_add_f32_e32 v56, v56, v58
	s_delay_alu instid0(VALU_DEP_2) | instskip(NEXT) | instid1(VALU_DEP_2)
	v_add_f32_e32 v54, v54, v154
	v_add_f32_e32 v56, v56, v57
	s_delay_alu instid0(VALU_DEP_2) | instskip(SKIP_1) | instid1(VALU_DEP_2)
	v_add_f32_e32 v54, v54, v155
	s_wait_loadcnt 0x0
	v_sub_f32_e32 v56, v138, v56
	s_delay_alu instid0(VALU_DEP_2) | instskip(NEXT) | instid1(VALU_DEP_1)
	v_add_f32_e32 v54, v54, v156
	v_add_f32_e32 v54, v54, v157
	s_delay_alu instid0(VALU_DEP_1) | instskip(NEXT) | instid1(VALU_DEP_1)
	v_add_f32_e32 v54, v54, v158
	v_add_f32_e32 v54, v54, v159
	s_delay_alu instid0(VALU_DEP_1) | instskip(NEXT) | instid1(VALU_DEP_1)
	v_add_f32_e32 v54, v54, v160
	v_add_f32_e32 v54, v54, v161
	s_delay_alu instid0(VALU_DEP_1)
	v_sub_f32_e32 v57, v139, v54
	scratch_store_b64 off, v[56:57], off offset:32
	v_cmpx_lt_u32_e32 3, v0
	s_cbranch_execz .LBB89_163
; %bb.162:
	scratch_load_b64 v[56:57], off, off offset:24
	v_mov_b32_e32 v54, v53
	scratch_store_b64 off, v[53:54], off offset:24
	s_wait_loadcnt 0x0
	ds_store_b64 v55, v[56:57]
.LBB89_163:
	s_wait_alu 0xfffe
	s_or_b32 exec_lo, exec_lo, s0
	s_wait_storecnt_dscnt 0x0
	s_barrier_signal -1
	s_barrier_wait -1
	global_inv scope:SCOPE_SE
	s_clause 0xb
	scratch_load_b128 v[56:59], off, off offset:32
	scratch_load_b128 v[60:63], off, off offset:48
	;; [unrolled: 1-line block ×11, first 2 shown]
	scratch_load_b64 v[144:145], off, off offset:24
	ds_load_b128 v[100:103], v53 offset:240
	ds_load_b128 v[104:107], v53 offset:256
	;; [unrolled: 1-line block ×11, first 2 shown]
	s_mov_b32 s0, exec_lo
	s_wait_loadcnt_dscnt 0xb0a
	v_dual_mul_f32 v53, v100, v57 :: v_dual_mul_f32 v54, v102, v59
	v_mul_f32_e32 v57, v101, v57
	s_wait_loadcnt_dscnt 0xa09
	v_dual_mul_f32 v59, v103, v59 :: v_dual_mul_f32 v146, v104, v61
	s_delay_alu instid0(VALU_DEP_3) | instskip(NEXT) | instid1(VALU_DEP_3)
	v_dual_mul_f32 v147, v106, v63 :: v_dual_fmac_f32 v54, v103, v58
	v_fma_f32 v57, v100, v56, -v57
	v_fmac_f32_e32 v53, v101, v56
	v_mul_f32_e32 v56, v105, v61
	v_fma_f32 v58, v102, v58, -v59
	v_mul_f32_e32 v59, v107, v63
	v_dual_add_f32 v57, 0, v57 :: v_dual_fmac_f32 v146, v105, v60
	s_delay_alu instid0(VALU_DEP_4) | instskip(SKIP_2) | instid1(VALU_DEP_3)
	v_fma_f32 v56, v104, v60, -v56
	s_wait_loadcnt_dscnt 0x908
	v_dual_mul_f32 v148, v108, v65 :: v_dual_mul_f32 v149, v110, v67
	v_add_f32_e32 v57, v57, v58
	v_fmac_f32_e32 v147, v107, v62
	v_fma_f32 v58, v106, v62, -v59
	s_wait_loadcnt_dscnt 0x807
	v_dual_mul_f32 v150, v112, v69 :: v_dual_mul_f32 v151, v114, v71
	v_dual_add_f32 v56, v57, v56 :: v_dual_mul_f32 v57, v111, v67
	v_fmac_f32_e32 v148, v109, v64
	s_wait_loadcnt_dscnt 0x706
	v_dual_mul_f32 v152, v116, v73 :: v_dual_mul_f32 v153, v118, v75
	s_delay_alu instid0(VALU_DEP_3) | instskip(SKIP_3) | instid1(VALU_DEP_4)
	v_dual_add_f32 v56, v56, v58 :: v_dual_add_f32 v53, 0, v53
	v_mul_f32_e32 v58, v113, v69
	v_fma_f32 v57, v110, v66, -v57
	v_dual_fmac_f32 v149, v111, v66 :: v_dual_fmac_f32 v150, v113, v68
	v_add_f32_e32 v53, v53, v54
	v_mul_f32_e32 v54, v109, v65
	v_fma_f32 v58, v112, v68, -v58
	v_dual_fmac_f32 v151, v115, v70 :: v_dual_fmac_f32 v152, v117, v72
	s_wait_loadcnt_dscnt 0x605
	v_dual_mul_f32 v154, v120, v77 :: v_dual_mul_f32 v155, v122, v79
	v_fma_f32 v54, v108, v64, -v54
	s_wait_loadcnt_dscnt 0x504
	v_dual_mul_f32 v156, v124, v81 :: v_dual_mul_f32 v157, v126, v83
	s_wait_loadcnt_dscnt 0x403
	v_dual_mul_f32 v158, v128, v85 :: v_dual_mul_f32 v159, v130, v87
	v_add_f32_e32 v54, v56, v54
	v_mul_f32_e32 v56, v115, v71
	v_dual_fmac_f32 v156, v125, v80 :: v_dual_fmac_f32 v157, v127, v82
	s_delay_alu instid0(VALU_DEP_4) | instskip(NEXT) | instid1(VALU_DEP_4)
	v_dual_fmac_f32 v158, v129, v84 :: v_dual_fmac_f32 v159, v131, v86
	v_dual_add_f32 v54, v54, v57 :: v_dual_add_f32 v53, v53, v146
	v_mul_f32_e32 v57, v117, v73
	v_fma_f32 v56, v114, v70, -v56
	v_fmac_f32_e32 v153, v119, v74
	s_delay_alu instid0(VALU_DEP_4)
	v_add_f32_e32 v54, v54, v58
	v_mul_f32_e32 v58, v119, v75
	v_add_f32_e32 v53, v53, v147
	v_fma_f32 v57, v116, v72, -v57
	v_fmac_f32_e32 v154, v121, v76
	v_add_f32_e32 v54, v54, v56
	v_mul_f32_e32 v56, v121, v77
	v_add_f32_e32 v53, v53, v148
	v_fma_f32 v58, v118, v74, -v58
	s_delay_alu instid0(VALU_DEP_4) | instskip(SKIP_1) | instid1(VALU_DEP_4)
	v_dual_fmac_f32 v155, v123, v78 :: v_dual_add_f32 v54, v54, v57
	v_mul_f32_e32 v57, v123, v79
	v_add_f32_e32 v53, v53, v149
	v_fma_f32 v56, v120, v76, -v56
	s_wait_loadcnt_dscnt 0x302
	v_dual_mul_f32 v160, v132, v89 :: v_dual_mul_f32 v161, v134, v91
	v_add_f32_e32 v54, v54, v58
	v_add_f32_e32 v53, v53, v150
	v_fma_f32 v57, v122, v78, -v57
	v_mul_f32_e32 v58, v125, v81
	s_wait_loadcnt_dscnt 0x201
	v_dual_mul_f32 v162, v136, v93 :: v_dual_mul_f32 v163, v138, v95
	v_dual_add_f32 v54, v54, v56 :: v_dual_add_f32 v53, v53, v151
	v_mul_f32_e32 v56, v127, v83
	v_fma_f32 v58, v124, v80, -v58
	v_dual_fmac_f32 v160, v133, v88 :: v_dual_fmac_f32 v161, v135, v90
	s_delay_alu instid0(VALU_DEP_4)
	v_dual_add_f32 v54, v54, v57 :: v_dual_add_f32 v53, v53, v152
	v_mul_f32_e32 v57, v129, v85
	v_fma_f32 v56, v126, v82, -v56
	s_wait_loadcnt_dscnt 0x100
	v_dual_mul_f32 v164, v140, v97 :: v_dual_mul_f32 v165, v142, v99
	v_dual_add_f32 v53, v53, v153 :: v_dual_add_f32 v54, v54, v58
	v_mul_f32_e32 v58, v131, v87
	v_fma_f32 v57, v128, v84, -v57
	s_delay_alu instid0(VALU_DEP_4) | instskip(NEXT) | instid1(VALU_DEP_4)
	v_dual_fmac_f32 v162, v137, v92 :: v_dual_fmac_f32 v165, v143, v98
	v_dual_add_f32 v53, v53, v154 :: v_dual_add_f32 v54, v54, v56
	v_mul_f32_e32 v56, v133, v89
	v_fma_f32 v58, v130, v86, -v58
	v_fmac_f32_e32 v163, v139, v94
	s_delay_alu instid0(VALU_DEP_4) | instskip(SKIP_2) | instid1(VALU_DEP_3)
	v_dual_add_f32 v53, v53, v155 :: v_dual_add_f32 v54, v54, v57
	v_mul_f32_e32 v57, v135, v91
	v_fma_f32 v56, v132, v88, -v56
	v_dual_add_f32 v53, v53, v156 :: v_dual_add_f32 v54, v54, v58
	v_mul_f32_e32 v58, v137, v93
	s_delay_alu instid0(VALU_DEP_4) | instskip(NEXT) | instid1(VALU_DEP_3)
	v_fma_f32 v57, v134, v90, -v57
	v_dual_add_f32 v53, v53, v157 :: v_dual_add_f32 v54, v54, v56
	v_mul_f32_e32 v56, v139, v95
	s_delay_alu instid0(VALU_DEP_4) | instskip(NEXT) | instid1(VALU_DEP_3)
	;; [unrolled: 4-line block ×4, first 2 shown]
	v_fma_f32 v57, v140, v96, -v57
	v_add_f32_e32 v53, v53, v160
	s_delay_alu instid0(VALU_DEP_4) | instskip(NEXT) | instid1(VALU_DEP_4)
	v_add_f32_e32 v54, v54, v56
	v_fma_f32 v56, v142, v98, -v58
	s_delay_alu instid0(VALU_DEP_3) | instskip(NEXT) | instid1(VALU_DEP_1)
	v_add_f32_e32 v53, v53, v161
	v_dual_add_f32 v54, v54, v57 :: v_dual_add_f32 v53, v53, v162
	s_delay_alu instid0(VALU_DEP_1) | instskip(SKIP_1) | instid1(VALU_DEP_3)
	v_add_f32_e32 v54, v54, v56
	v_fmac_f32_e32 v164, v141, v96
	v_add_f32_e32 v53, v53, v163
	s_delay_alu instid0(VALU_DEP_1) | instskip(SKIP_1) | instid1(VALU_DEP_1)
	v_add_f32_e32 v53, v53, v164
	s_wait_loadcnt 0x0
	v_dual_add_f32 v56, v53, v165 :: v_dual_sub_f32 v53, v144, v54
	s_delay_alu instid0(VALU_DEP_1)
	v_sub_f32_e32 v54, v145, v56
	scratch_store_b64 off, v[53:54], off offset:24
	v_cmpx_lt_u32_e32 2, v0
	s_cbranch_execz .LBB89_165
; %bb.164:
	scratch_load_b64 v[53:54], off, off offset:16
	v_mov_b32_e32 v56, 0
	s_delay_alu instid0(VALU_DEP_1)
	v_mov_b32_e32 v57, v56
	scratch_store_b64 off, v[56:57], off offset:16
	s_wait_loadcnt 0x0
	ds_store_b64 v55, v[53:54]
.LBB89_165:
	s_wait_alu 0xfffe
	s_or_b32 exec_lo, exec_lo, s0
	s_wait_storecnt_dscnt 0x0
	s_barrier_signal -1
	s_barrier_wait -1
	global_inv scope:SCOPE_SE
	s_clause 0xc
	scratch_load_b128 v[56:59], off, off offset:24
	scratch_load_b128 v[60:63], off, off offset:40
	;; [unrolled: 1-line block ×11, first 2 shown]
	scratch_load_b64 v[144:145], off, off offset:200
	scratch_load_b64 v[146:147], off, off offset:16
	v_mov_b32_e32 v53, 0
	ds_load_2addr_b64 v[100:103], v53 offset0:29 offset1:30
	ds_load_2addr_b64 v[104:107], v53 offset0:31 offset1:32
	;; [unrolled: 1-line block ×11, first 2 shown]
	ds_load_b64 v[148:149], v53 offset:408
	s_mov_b32 s0, exec_lo
	s_wait_loadcnt_dscnt 0xc0b
	v_mul_f32_e32 v54, v100, v57
	s_wait_loadcnt_dscnt 0xb0a
	v_dual_mul_f32 v150, v102, v59 :: v_dual_mul_f32 v151, v104, v61
	v_mul_f32_e32 v59, v103, v59
	s_wait_loadcnt_dscnt 0xa09
	v_dual_mul_f32 v152, v106, v63 :: v_dual_mul_f32 v153, v108, v65
	v_mul_f32_e32 v57, v101, v57
	v_fmac_f32_e32 v54, v101, v56
	s_wait_loadcnt_dscnt 0x807
	v_dual_mul_f32 v156, v114, v71 :: v_dual_mul_f32 v157, v116, v73
	s_wait_loadcnt_dscnt 0x100
	v_dual_mul_f32 v168, v138, v95 :: v_dual_mul_f32 v171, v148, v145
	v_fma_f32 v57, v100, v56, -v57
	v_mul_f32_e32 v56, v105, v61
	v_fmac_f32_e32 v150, v103, v58
	v_fma_f32 v58, v102, v58, -v59
	v_dual_add_f32 v54, 0, v54 :: v_dual_mul_f32 v59, v107, v63
	v_add_f32_e32 v57, 0, v57
	v_fmac_f32_e32 v151, v105, v60
	v_fma_f32 v56, v104, v60, -v56
	s_delay_alu instid0(VALU_DEP_4)
	v_add_f32_e32 v54, v54, v150
	v_fma_f32 v59, v106, v62, -v59
	v_add_f32_e32 v57, v57, v58
	v_mul_f32_e32 v58, v109, v65
	v_dual_mul_f32 v158, v118, v75 :: v_dual_mul_f32 v159, v120, v77
	v_add_f32_e32 v54, v54, v151
	s_delay_alu instid0(VALU_DEP_4) | instskip(NEXT) | instid1(VALU_DEP_4)
	v_dual_add_f32 v56, v57, v56 :: v_dual_mul_f32 v57, v111, v67
	v_fma_f32 v58, v108, v64, -v58
	v_dual_mul_f32 v160, v122, v79 :: v_dual_mul_f32 v161, v124, v81
	s_delay_alu instid0(VALU_DEP_3) | instskip(NEXT) | instid1(VALU_DEP_4)
	v_dual_add_f32 v56, v56, v59 :: v_dual_mul_f32 v59, v113, v69
	v_fma_f32 v57, v110, v66, -v57
	v_dual_fmac_f32 v152, v107, v62 :: v_dual_fmac_f32 v153, v109, v64
	s_delay_alu instid0(VALU_DEP_3) | instskip(SKIP_2) | instid1(VALU_DEP_3)
	v_dual_add_f32 v56, v56, v58 :: v_dual_fmac_f32 v157, v117, v72
	v_dual_mul_f32 v58, v115, v71 :: v_dual_fmac_f32 v159, v121, v76
	v_fma_f32 v59, v112, v68, -v59
	v_dual_add_f32 v56, v56, v57 :: v_dual_fmac_f32 v161, v125, v80
	v_dual_mul_f32 v162, v126, v83 :: v_dual_mul_f32 v163, v128, v85
	v_dual_add_f32 v54, v54, v152 :: v_dual_mul_f32 v57, v117, v73
	v_fma_f32 v58, v114, v70, -v58
	s_delay_alu instid0(VALU_DEP_3) | instskip(SKIP_1) | instid1(VALU_DEP_4)
	v_dual_add_f32 v56, v56, v59 :: v_dual_fmac_f32 v163, v129, v84
	v_mul_f32_e32 v59, v119, v75
	v_fma_f32 v57, v116, v72, -v57
	v_dual_mul_f32 v154, v110, v67 :: v_dual_mul_f32 v155, v112, v69
	s_delay_alu instid0(VALU_DEP_4) | instskip(SKIP_3) | instid1(VALU_DEP_4)
	v_add_f32_e32 v56, v56, v58
	v_dual_mul_f32 v166, v134, v91 :: v_dual_mul_f32 v167, v136, v93
	v_mul_f32_e32 v58, v121, v77
	v_fma_f32 v59, v118, v74, -v59
	v_add_f32_e32 v56, v56, v57
	v_dual_fmac_f32 v154, v111, v66 :: v_dual_fmac_f32 v155, v113, v68
	v_dual_add_f32 v54, v54, v153 :: v_dual_mul_f32 v57, v123, v79
	v_fma_f32 v58, v120, v76, -v58
	s_delay_alu instid0(VALU_DEP_4) | instskip(NEXT) | instid1(VALU_DEP_3)
	v_dual_fmac_f32 v167, v137, v92 :: v_dual_add_f32 v56, v56, v59
	v_dual_add_f32 v54, v54, v154 :: v_dual_mul_f32 v59, v125, v81
	s_delay_alu instid0(VALU_DEP_4) | instskip(SKIP_1) | instid1(VALU_DEP_4)
	v_fma_f32 v57, v122, v78, -v57
	v_dual_mul_f32 v164, v130, v87 :: v_dual_mul_f32 v165, v132, v89
	v_add_f32_e32 v56, v56, v58
	v_mul_f32_e32 v58, v127, v83
	v_fma_f32 v59, v124, v80, -v59
	v_fmac_f32_e32 v156, v115, v70
	v_dual_add_f32 v54, v54, v155 :: v_dual_fmac_f32 v165, v133, v88
	v_add_f32_e32 v56, v56, v57
	v_mul_f32_e32 v57, v129, v85
	v_fma_f32 v58, v126, v82, -v58
	s_delay_alu instid0(VALU_DEP_4)
	v_dual_add_f32 v54, v54, v156 :: v_dual_mul_f32 v169, v140, v97
	v_mul_f32_e32 v170, v142, v99
	v_add_f32_e32 v56, v56, v59
	v_mul_f32_e32 v59, v131, v87
	v_fma_f32 v57, v128, v84, -v57
	v_dual_fmac_f32 v158, v119, v74 :: v_dual_fmac_f32 v169, v141, v96
	s_delay_alu instid0(VALU_DEP_4) | instskip(NEXT) | instid1(VALU_DEP_4)
	v_add_f32_e32 v56, v56, v58
	v_fma_f32 v59, v130, v86, -v59
	v_dual_fmac_f32 v160, v123, v78 :: v_dual_fmac_f32 v171, v149, v144
	v_fmac_f32_e32 v162, v127, v82
	s_delay_alu instid0(VALU_DEP_4) | instskip(SKIP_3) | instid1(VALU_DEP_4)
	v_dual_add_f32 v56, v56, v57 :: v_dual_mul_f32 v57, v135, v91
	v_add_f32_e32 v54, v54, v157
	v_mul_f32_e32 v58, v133, v89
	v_fmac_f32_e32 v164, v131, v86
	v_dual_add_f32 v56, v56, v59 :: v_dual_mul_f32 v59, v137, v93
	s_delay_alu instid0(VALU_DEP_4) | instskip(NEXT) | instid1(VALU_DEP_4)
	v_add_f32_e32 v54, v54, v158
	v_fma_f32 v58, v132, v88, -v58
	v_fmac_f32_e32 v166, v135, v90
	v_fma_f32 v57, v134, v90, -v57
	v_fma_f32 v59, v136, v92, -v59
	v_add_f32_e32 v54, v54, v159
	v_add_f32_e32 v56, v56, v58
	v_mul_f32_e32 v58, v139, v95
	v_fmac_f32_e32 v168, v139, v94
	v_fmac_f32_e32 v170, v143, v98
	v_add_f32_e32 v54, v54, v160
	v_add_f32_e32 v56, v56, v57
	v_mul_f32_e32 v57, v141, v97
	v_fma_f32 v58, v138, v94, -v58
	s_delay_alu instid0(VALU_DEP_4) | instskip(NEXT) | instid1(VALU_DEP_4)
	v_add_f32_e32 v54, v54, v161
	v_add_f32_e32 v56, v56, v59
	v_mul_f32_e32 v59, v143, v99
	v_fma_f32 v57, v140, v96, -v57
	s_delay_alu instid0(VALU_DEP_4) | instskip(NEXT) | instid1(VALU_DEP_4)
	;; [unrolled: 5-line block ×3, first 2 shown]
	v_add_f32_e32 v54, v54, v163
	v_add_f32_e32 v56, v56, v57
	s_delay_alu instid0(VALU_DEP_4) | instskip(NEXT) | instid1(VALU_DEP_3)
	v_fma_f32 v57, v148, v144, -v58
	v_add_f32_e32 v54, v54, v164
	s_delay_alu instid0(VALU_DEP_3) | instskip(NEXT) | instid1(VALU_DEP_2)
	v_add_f32_e32 v56, v56, v59
	v_add_f32_e32 v54, v54, v165
	s_delay_alu instid0(VALU_DEP_2) | instskip(NEXT) | instid1(VALU_DEP_2)
	v_add_f32_e32 v56, v56, v57
	v_add_f32_e32 v54, v54, v166
	s_wait_loadcnt 0x0
	s_delay_alu instid0(VALU_DEP_2) | instskip(NEXT) | instid1(VALU_DEP_2)
	v_sub_f32_e32 v56, v146, v56
	v_add_f32_e32 v54, v54, v167
	s_delay_alu instid0(VALU_DEP_1) | instskip(NEXT) | instid1(VALU_DEP_1)
	v_add_f32_e32 v54, v54, v168
	v_add_f32_e32 v54, v54, v169
	s_delay_alu instid0(VALU_DEP_1) | instskip(NEXT) | instid1(VALU_DEP_1)
	v_add_f32_e32 v54, v54, v170
	v_add_f32_e32 v54, v54, v171
	s_delay_alu instid0(VALU_DEP_1)
	v_sub_f32_e32 v57, v147, v54
	scratch_store_b64 off, v[56:57], off offset:16
	v_cmpx_lt_u32_e32 1, v0
	s_cbranch_execz .LBB89_167
; %bb.166:
	scratch_load_b64 v[56:57], off, off offset:8
	v_mov_b32_e32 v54, v53
	scratch_store_b64 off, v[53:54], off offset:8
	s_wait_loadcnt 0x0
	ds_store_b64 v55, v[56:57]
.LBB89_167:
	s_wait_alu 0xfffe
	s_or_b32 exec_lo, exec_lo, s0
	s_wait_storecnt_dscnt 0x0
	s_barrier_signal -1
	s_barrier_wait -1
	global_inv scope:SCOPE_SE
	s_clause 0xc
	scratch_load_b128 v[56:59], off, off offset:16
	scratch_load_b128 v[60:63], off, off offset:32
	;; [unrolled: 1-line block ×12, first 2 shown]
	scratch_load_b64 v[152:153], off, off offset:8
	ds_load_b128 v[104:107], v53 offset:224
	ds_load_b128 v[108:111], v53 offset:240
	;; [unrolled: 1-line block ×12, first 2 shown]
	s_mov_b32 s0, exec_lo
	s_wait_loadcnt_dscnt 0xc0b
	v_dual_mul_f32 v53, v104, v57 :: v_dual_mul_f32 v54, v106, v59
	v_mul_f32_e32 v57, v105, v57
	s_wait_loadcnt_dscnt 0xb0a
	v_dual_mul_f32 v59, v107, v59 :: v_dual_mul_f32 v154, v108, v61
	s_delay_alu instid0(VALU_DEP_3) | instskip(NEXT) | instid1(VALU_DEP_3)
	v_dual_mul_f32 v155, v110, v63 :: v_dual_fmac_f32 v54, v107, v58
	v_fma_f32 v57, v104, v56, -v57
	v_fmac_f32_e32 v53, v105, v56
	v_mul_f32_e32 v56, v109, v61
	v_fma_f32 v58, v106, v58, -v59
	v_mul_f32_e32 v59, v111, v63
	v_dual_add_f32 v57, 0, v57 :: v_dual_fmac_f32 v154, v109, v60
	s_delay_alu instid0(VALU_DEP_4) | instskip(SKIP_2) | instid1(VALU_DEP_3)
	v_fma_f32 v56, v108, v60, -v56
	s_wait_loadcnt_dscnt 0xa09
	v_dual_mul_f32 v156, v112, v65 :: v_dual_mul_f32 v157, v114, v67
	v_add_f32_e32 v57, v57, v58
	v_fmac_f32_e32 v155, v111, v62
	v_fma_f32 v58, v110, v62, -v59
	s_wait_loadcnt_dscnt 0x908
	v_dual_mul_f32 v158, v116, v69 :: v_dual_mul_f32 v159, v118, v71
	v_dual_add_f32 v56, v57, v56 :: v_dual_mul_f32 v57, v115, v67
	v_fmac_f32_e32 v156, v113, v64
	s_wait_loadcnt_dscnt 0x807
	v_dual_mul_f32 v160, v120, v73 :: v_dual_mul_f32 v161, v122, v75
	s_delay_alu instid0(VALU_DEP_3) | instskip(SKIP_3) | instid1(VALU_DEP_4)
	v_dual_add_f32 v56, v56, v58 :: v_dual_add_f32 v53, 0, v53
	v_mul_f32_e32 v58, v117, v69
	v_fma_f32 v57, v114, v66, -v57
	v_dual_fmac_f32 v157, v115, v66 :: v_dual_fmac_f32 v158, v117, v68
	v_add_f32_e32 v53, v53, v54
	v_mul_f32_e32 v54, v113, v65
	v_fma_f32 v58, v116, v68, -v58
	v_dual_fmac_f32 v159, v119, v70 :: v_dual_fmac_f32 v160, v121, v72
	s_wait_loadcnt_dscnt 0x706
	v_dual_mul_f32 v162, v124, v77 :: v_dual_mul_f32 v163, v126, v79
	v_fma_f32 v54, v112, v64, -v54
	s_wait_loadcnt_dscnt 0x605
	v_dual_mul_f32 v164, v128, v81 :: v_dual_mul_f32 v165, v130, v83
	s_wait_loadcnt_dscnt 0x504
	v_dual_mul_f32 v166, v132, v85 :: v_dual_mul_f32 v167, v134, v87
	v_add_f32_e32 v54, v56, v54
	v_mul_f32_e32 v56, v119, v71
	v_dual_fmac_f32 v164, v129, v80 :: v_dual_fmac_f32 v165, v131, v82
	s_delay_alu instid0(VALU_DEP_4) | instskip(NEXT) | instid1(VALU_DEP_4)
	v_dual_fmac_f32 v166, v133, v84 :: v_dual_fmac_f32 v167, v135, v86
	v_dual_add_f32 v54, v54, v57 :: v_dual_add_f32 v53, v53, v154
	v_mul_f32_e32 v57, v121, v73
	v_fma_f32 v56, v118, v70, -v56
	v_fmac_f32_e32 v161, v123, v74
	s_delay_alu instid0(VALU_DEP_4)
	v_add_f32_e32 v54, v54, v58
	v_mul_f32_e32 v58, v123, v75
	v_add_f32_e32 v53, v53, v155
	v_fma_f32 v57, v120, v72, -v57
	v_fmac_f32_e32 v162, v125, v76
	v_add_f32_e32 v54, v54, v56
	v_mul_f32_e32 v56, v125, v77
	v_add_f32_e32 v53, v53, v156
	v_fma_f32 v58, v122, v74, -v58
	s_delay_alu instid0(VALU_DEP_4) | instskip(SKIP_1) | instid1(VALU_DEP_4)
	v_dual_fmac_f32 v163, v127, v78 :: v_dual_add_f32 v54, v54, v57
	v_mul_f32_e32 v57, v127, v79
	v_add_f32_e32 v53, v53, v157
	v_fma_f32 v56, v124, v76, -v56
	s_wait_loadcnt_dscnt 0x403
	v_dual_mul_f32 v168, v136, v89 :: v_dual_mul_f32 v169, v138, v91
	v_add_f32_e32 v54, v54, v58
	v_add_f32_e32 v53, v53, v158
	v_fma_f32 v57, v126, v78, -v57
	v_mul_f32_e32 v58, v129, v81
	s_wait_loadcnt_dscnt 0x302
	v_dual_mul_f32 v170, v140, v93 :: v_dual_mul_f32 v171, v142, v95
	v_dual_add_f32 v54, v54, v56 :: v_dual_add_f32 v53, v53, v159
	v_mul_f32_e32 v56, v131, v83
	v_fma_f32 v58, v128, v80, -v58
	v_dual_fmac_f32 v168, v137, v88 :: v_dual_fmac_f32 v169, v139, v90
	s_delay_alu instid0(VALU_DEP_4)
	v_dual_add_f32 v54, v54, v57 :: v_dual_add_f32 v53, v53, v160
	v_mul_f32_e32 v57, v133, v85
	v_fma_f32 v56, v130, v82, -v56
	s_wait_loadcnt_dscnt 0x201
	v_dual_mul_f32 v172, v144, v97 :: v_dual_mul_f32 v173, v146, v99
	v_dual_add_f32 v53, v53, v161 :: v_dual_add_f32 v54, v54, v58
	v_mul_f32_e32 v58, v135, v87
	v_fma_f32 v57, v132, v84, -v57
	s_delay_alu instid0(VALU_DEP_4) | instskip(NEXT) | instid1(VALU_DEP_4)
	v_dual_fmac_f32 v170, v141, v92 :: v_dual_fmac_f32 v173, v147, v98
	v_dual_add_f32 v53, v53, v162 :: v_dual_add_f32 v54, v54, v56
	v_mul_f32_e32 v56, v137, v89
	v_fma_f32 v58, v134, v86, -v58
	v_fmac_f32_e32 v171, v143, v94
	s_delay_alu instid0(VALU_DEP_4)
	v_dual_add_f32 v53, v53, v163 :: v_dual_add_f32 v54, v54, v57
	v_mul_f32_e32 v57, v139, v91
	v_fma_f32 v56, v136, v88, -v56
	s_wait_loadcnt_dscnt 0x100
	v_dual_mul_f32 v174, v148, v101 :: v_dual_mul_f32 v175, v150, v103
	v_dual_add_f32 v53, v53, v164 :: v_dual_add_f32 v54, v54, v58
	v_mul_f32_e32 v58, v141, v93
	v_fma_f32 v57, v138, v90, -v57
	v_fmac_f32_e32 v172, v145, v96
	s_delay_alu instid0(VALU_DEP_4) | instskip(SKIP_3) | instid1(VALU_DEP_4)
	v_dual_add_f32 v53, v53, v165 :: v_dual_add_f32 v54, v54, v56
	v_mul_f32_e32 v56, v143, v95
	v_fma_f32 v58, v140, v92, -v58
	v_fmac_f32_e32 v175, v151, v102
	v_dual_add_f32 v53, v53, v166 :: v_dual_add_f32 v54, v54, v57
	v_mul_f32_e32 v57, v145, v97
	v_fma_f32 v56, v142, v94, -v56
	s_delay_alu instid0(VALU_DEP_3) | instskip(SKIP_1) | instid1(VALU_DEP_4)
	v_dual_add_f32 v53, v53, v167 :: v_dual_add_f32 v54, v54, v58
	v_mul_f32_e32 v58, v147, v99
	v_fma_f32 v57, v144, v96, -v57
	s_delay_alu instid0(VALU_DEP_3) | instskip(NEXT) | instid1(VALU_DEP_4)
	v_add_f32_e32 v53, v53, v168
	v_add_f32_e32 v54, v54, v56
	v_mul_f32_e32 v56, v149, v101
	v_fma_f32 v58, v146, v98, -v58
	s_delay_alu instid0(VALU_DEP_4) | instskip(NEXT) | instid1(VALU_DEP_4)
	v_add_f32_e32 v53, v53, v169
	v_dual_add_f32 v54, v54, v57 :: v_dual_mul_f32 v57, v151, v103
	s_delay_alu instid0(VALU_DEP_4) | instskip(NEXT) | instid1(VALU_DEP_3)
	v_fma_f32 v56, v148, v100, -v56
	v_add_f32_e32 v53, v53, v170
	s_delay_alu instid0(VALU_DEP_3) | instskip(NEXT) | instid1(VALU_DEP_4)
	v_add_f32_e32 v54, v54, v58
	v_fma_f32 v57, v150, v102, -v57
	s_delay_alu instid0(VALU_DEP_2) | instskip(NEXT) | instid1(VALU_DEP_1)
	v_dual_add_f32 v53, v53, v171 :: v_dual_add_f32 v54, v54, v56
	v_dual_add_f32 v53, v53, v172 :: v_dual_add_f32 v54, v54, v57
	v_fmac_f32_e32 v174, v149, v100
	s_delay_alu instid0(VALU_DEP_2) | instskip(NEXT) | instid1(VALU_DEP_1)
	v_add_f32_e32 v53, v53, v173
	v_add_f32_e32 v53, v53, v174
	s_wait_loadcnt 0x0
	s_delay_alu instid0(VALU_DEP_1) | instskip(NEXT) | instid1(VALU_DEP_1)
	v_dual_add_f32 v56, v53, v175 :: v_dual_sub_f32 v53, v152, v54
	v_sub_f32_e32 v54, v153, v56
	scratch_store_b64 off, v[53:54], off offset:8
	v_cmpx_ne_u32_e32 0, v0
	s_cbranch_execz .LBB89_169
; %bb.168:
	scratch_load_b64 v[53:54], off, off
	v_mov_b32_e32 v56, 0
	s_delay_alu instid0(VALU_DEP_1)
	v_mov_b32_e32 v57, v56
	scratch_store_b64 off, v[56:57], off
	s_wait_loadcnt 0x0
	ds_store_b64 v55, v[53:54]
.LBB89_169:
	s_wait_alu 0xfffe
	s_or_b32 exec_lo, exec_lo, s0
	s_wait_storecnt_dscnt 0x0
	s_barrier_signal -1
	s_barrier_wait -1
	global_inv scope:SCOPE_SE
	s_clause 0xd
	scratch_load_b128 v[53:56], off, off offset:8
	scratch_load_b128 v[57:60], off, off offset:24
	;; [unrolled: 1-line block ×12, first 2 shown]
	scratch_load_b64 v[149:150], off, off offset:200
	scratch_load_b64 v[151:152], off, off
	v_mov_b32_e32 v0, 0
	ds_load_2addr_b64 v[101:104], v0 offset0:27 offset1:28
	ds_load_2addr_b64 v[105:108], v0 offset0:29 offset1:30
	;; [unrolled: 1-line block ×12, first 2 shown]
	ds_load_b64 v[153:154], v0 offset:408
	s_and_b32 vcc_lo, exec_lo, s12
	s_wait_loadcnt_dscnt 0xd0c
	v_dual_mul_f32 v155, v101, v54 :: v_dual_mul_f32 v156, v103, v56
	s_wait_loadcnt_dscnt 0xc0b
	v_dual_mul_f32 v157, v105, v58 :: v_dual_mul_f32 v56, v104, v56
	;; [unrolled: 2-line block ×3, first 2 shown]
	v_dual_fmac_f32 v155, v102, v53 :: v_dual_fmac_f32 v156, v104, v55
	s_delay_alu instid0(VALU_DEP_3) | instskip(SKIP_1) | instid1(VALU_DEP_4)
	v_fmac_f32_e32 v157, v106, v57
	v_fma_f32 v55, v103, v55, -v56
	v_dual_fmac_f32 v158, v108, v59 :: v_dual_fmac_f32 v159, v110, v61
	s_delay_alu instid0(VALU_DEP_4)
	v_add_f32_e32 v56, 0, v155
	v_mul_f32_e32 v54, v102, v54
	s_wait_loadcnt_dscnt 0xa09
	v_dual_mul_f32 v160, v111, v64 :: v_dual_mul_f32 v161, v113, v66
	s_wait_loadcnt_dscnt 0x908
	v_dual_mul_f32 v162, v115, v68 :: v_dual_mul_f32 v163, v117, v70
	v_fma_f32 v54, v101, v53, -v54
	v_dual_mul_f32 v53, v106, v58 :: v_dual_mul_f32 v58, v108, v60
	v_dual_fmac_f32 v160, v112, v63 :: v_dual_fmac_f32 v161, v114, v65
	s_delay_alu instid0(VALU_DEP_3) | instskip(NEXT) | instid1(VALU_DEP_3)
	v_add_f32_e32 v54, 0, v54
	v_fma_f32 v53, v105, v57, -v53
	s_delay_alu instid0(VALU_DEP_4) | instskip(SKIP_1) | instid1(VALU_DEP_4)
	v_fma_f32 v57, v107, v59, -v58
	v_dual_fmac_f32 v162, v116, v67 :: v_dual_fmac_f32 v163, v118, v69
	v_add_f32_e32 v54, v54, v55
	s_wait_loadcnt_dscnt 0x807
	v_dual_mul_f32 v164, v119, v72 :: v_dual_mul_f32 v165, v121, v74
	s_wait_loadcnt_dscnt 0x706
	v_dual_mul_f32 v166, v123, v76 :: v_dual_mul_f32 v167, v125, v78
	v_add_f32_e32 v53, v54, v53
	v_add_f32_e32 v55, v56, v156
	v_dual_fmac_f32 v164, v120, v71 :: v_dual_fmac_f32 v165, v122, v73
	s_wait_loadcnt_dscnt 0x605
	v_dual_mul_f32 v168, v127, v80 :: v_dual_mul_f32 v169, v129, v82
	s_delay_alu instid0(VALU_DEP_3)
	v_dual_add_f32 v54, v55, v157 :: v_dual_mul_f32 v55, v112, v64
	v_add_f32_e32 v53, v53, v57
	v_dual_mul_f32 v57, v114, v66 :: v_dual_mul_f32 v170, v131, v84
	s_wait_loadcnt_dscnt 0x504
	v_mul_f32_e32 v171, v133, v86
	v_fma_f32 v55, v111, v63, -v55
	v_mul_f32_e32 v56, v110, v62
	v_fma_f32 v57, v113, v65, -v57
	v_dual_fmac_f32 v169, v130, v81 :: v_dual_fmac_f32 v170, v132, v83
	s_wait_loadcnt_dscnt 0x403
	v_dual_mul_f32 v172, v135, v88 :: v_dual_mul_f32 v173, v137, v90
	v_fma_f32 v56, v109, v61, -v56
	v_add_f32_e32 v54, v54, v158
	s_delay_alu instid0(VALU_DEP_3) | instskip(SKIP_4) | instid1(VALU_DEP_3)
	v_dual_fmac_f32 v171, v134, v85 :: v_dual_fmac_f32 v172, v136, v87
	s_wait_loadcnt_dscnt 0x302
	v_dual_mul_f32 v174, v139, v92 :: v_dual_mul_f32 v175, v141, v94
	v_add_f32_e32 v53, v53, v56
	v_dual_mul_f32 v56, v116, v68 :: v_dual_fmac_f32 v173, v138, v89
	v_fmac_f32_e32 v174, v140, v91
	s_wait_loadcnt_dscnt 0x201
	v_dual_mul_f32 v176, v143, v96 :: v_dual_mul_f32 v177, v145, v98
	v_add_f32_e32 v53, v53, v55
	v_add_f32_e32 v54, v54, v159
	v_mul_f32_e32 v55, v118, v70
	v_fma_f32 v56, v115, v67, -v56
	s_wait_loadcnt_dscnt 0x100
	v_dual_mul_f32 v178, v147, v100 :: v_dual_mul_f32 v179, v153, v150
	v_add_f32_e32 v53, v53, v57
	v_fma_f32 v55, v117, v69, -v55
	v_mul_f32_e32 v57, v120, v72
	s_delay_alu instid0(VALU_DEP_4) | instskip(NEXT) | instid1(VALU_DEP_4)
	v_dual_fmac_f32 v175, v142, v93 :: v_dual_fmac_f32 v178, v148, v99
	v_add_f32_e32 v53, v53, v56
	v_add_f32_e32 v54, v54, v160
	v_mul_f32_e32 v56, v122, v74
	v_fma_f32 v57, v119, v71, -v57
	v_fmac_f32_e32 v166, v124, v75
	s_delay_alu instid0(VALU_DEP_4) | instskip(SKIP_3) | instid1(VALU_DEP_4)
	v_dual_add_f32 v53, v53, v55 :: v_dual_add_f32 v54, v54, v161
	v_mul_f32_e32 v55, v124, v76
	v_fma_f32 v56, v121, v73, -v56
	v_fmac_f32_e32 v167, v126, v77
	v_dual_add_f32 v53, v53, v57 :: v_dual_add_f32 v54, v54, v162
	s_delay_alu instid0(VALU_DEP_4) | instskip(SKIP_1) | instid1(VALU_DEP_3)
	v_fma_f32 v55, v123, v75, -v55
	v_dual_mul_f32 v57, v126, v78 :: v_dual_fmac_f32 v168, v128, v79
	v_dual_add_f32 v53, v53, v56 :: v_dual_add_f32 v54, v54, v163
	v_mul_f32_e32 v56, v128, v80
	s_delay_alu instid0(VALU_DEP_3) | instskip(SKIP_1) | instid1(VALU_DEP_4)
	v_fma_f32 v57, v125, v77, -v57
	v_fmac_f32_e32 v177, v146, v97
	v_dual_add_f32 v53, v53, v55 :: v_dual_add_f32 v54, v54, v164
	v_mul_f32_e32 v55, v130, v82
	v_fma_f32 v56, v127, v79, -v56
	v_fmac_f32_e32 v179, v154, v149
	s_delay_alu instid0(VALU_DEP_4) | instskip(SKIP_2) | instid1(VALU_DEP_3)
	v_add_f32_e32 v53, v53, v57
	v_dual_add_f32 v54, v54, v165 :: v_dual_mul_f32 v57, v132, v84
	v_fma_f32 v55, v129, v81, -v55
	v_dual_fmac_f32 v176, v144, v95 :: v_dual_add_f32 v53, v53, v56
	v_mul_f32_e32 v56, v134, v86
	s_delay_alu instid0(VALU_DEP_4) | instskip(SKIP_1) | instid1(VALU_DEP_4)
	v_add_f32_e32 v54, v54, v166
	v_fma_f32 v57, v131, v83, -v57
	v_add_f32_e32 v53, v53, v55
	s_delay_alu instid0(VALU_DEP_3) | instskip(SKIP_1) | instid1(VALU_DEP_2)
	v_dual_mul_f32 v55, v136, v88 :: v_dual_add_f32 v54, v54, v167
	v_fma_f32 v56, v133, v85, -v56
	v_fma_f32 v55, v135, v87, -v55
	s_delay_alu instid0(VALU_DEP_3) | instskip(NEXT) | instid1(VALU_DEP_1)
	v_add_f32_e32 v54, v54, v168
	v_add_f32_e32 v54, v54, v169
	;; [unrolled: 1-line block ×3, first 2 shown]
	v_mul_f32_e32 v57, v138, v90
	s_delay_alu instid0(VALU_DEP_2) | instskip(SKIP_1) | instid1(VALU_DEP_3)
	v_dual_add_f32 v54, v54, v170 :: v_dual_add_f32 v53, v53, v56
	v_mul_f32_e32 v56, v140, v92
	v_fma_f32 v57, v137, v89, -v57
	s_delay_alu instid0(VALU_DEP_3) | instskip(NEXT) | instid1(VALU_DEP_4)
	v_add_f32_e32 v54, v54, v171
	v_add_f32_e32 v53, v53, v55
	v_mul_f32_e32 v55, v142, v94
	v_fma_f32 v56, v139, v91, -v56
	s_delay_alu instid0(VALU_DEP_4) | instskip(NEXT) | instid1(VALU_DEP_3)
	v_add_f32_e32 v54, v54, v172
	v_fma_f32 v55, v141, v93, -v55
	s_delay_alu instid0(VALU_DEP_2) | instskip(SKIP_1) | instid1(VALU_DEP_2)
	v_add_f32_e32 v54, v54, v173
	v_add_f32_e32 v53, v53, v57
	v_dual_mul_f32 v57, v144, v96 :: v_dual_add_f32 v54, v54, v174
	s_delay_alu instid0(VALU_DEP_2) | instskip(NEXT) | instid1(VALU_DEP_2)
	v_dual_add_f32 v53, v53, v56 :: v_dual_mul_f32 v56, v146, v98
	v_fma_f32 v57, v143, v95, -v57
	s_delay_alu instid0(VALU_DEP_3) | instskip(NEXT) | instid1(VALU_DEP_3)
	v_add_f32_e32 v54, v54, v175
	v_add_f32_e32 v53, v53, v55
	v_mul_f32_e32 v55, v148, v100
	v_fma_f32 v56, v145, v97, -v56
	s_delay_alu instid0(VALU_DEP_4) | instskip(NEXT) | instid1(VALU_DEP_3)
	v_add_f32_e32 v54, v54, v176
	v_fma_f32 v55, v147, v99, -v55
	s_delay_alu instid0(VALU_DEP_2) | instskip(SKIP_2) | instid1(VALU_DEP_2)
	v_add_f32_e32 v54, v54, v177
	v_add_f32_e32 v53, v53, v57
	v_mul_f32_e32 v57, v154, v150
	v_dual_add_f32 v54, v54, v178 :: v_dual_add_f32 v53, v53, v56
	s_delay_alu instid0(VALU_DEP_2) | instskip(NEXT) | instid1(VALU_DEP_2)
	v_fma_f32 v56, v153, v149, -v57
	v_add_f32_e32 v54, v54, v179
	s_wait_loadcnt 0x0
	s_delay_alu instid0(VALU_DEP_1) | instskip(NEXT) | instid1(VALU_DEP_1)
	v_dual_add_f32 v53, v53, v55 :: v_dual_sub_f32 v54, v152, v54
	v_add_f32_e32 v53, v53, v56
	s_delay_alu instid0(VALU_DEP_1)
	v_sub_f32_e32 v53, v151, v53
	scratch_store_b64 off, v[53:54], off
	s_wait_alu 0xfffe
	s_cbranch_vccz .LBB89_220
; %bb.170:
	global_load_b32 v0, v0, s[2:3] offset:96
	s_wait_loadcnt 0x0
	v_cmp_ne_u32_e32 vcc_lo, 25, v0
	s_cbranch_vccz .LBB89_172
; %bb.171:
	v_lshlrev_b32_e32 v0, 3, v0
	scratch_load_b64 v[53:54], v0, off offset:-8
	scratch_load_b64 v[55:56], off, off offset:192
	s_wait_loadcnt 0x1
	scratch_store_b64 off, v[53:54], off offset:192
	s_wait_loadcnt 0x0
	scratch_store_b64 v0, v[55:56], off offset:-8
.LBB89_172:
	v_mov_b32_e32 v0, 0
	global_load_b32 v53, v0, s[2:3] offset:92
	s_wait_loadcnt 0x0
	v_cmp_eq_u32_e32 vcc_lo, 24, v53
	s_cbranch_vccnz .LBB89_174
; %bb.173:
	v_lshlrev_b32_e32 v53, 3, v53
	s_delay_alu instid0(VALU_DEP_1)
	v_mov_b32_e32 v57, v53
	scratch_load_b64 v[53:54], v57, off offset:-8
	scratch_load_b64 v[55:56], off, off offset:184
	s_wait_loadcnt 0x1
	scratch_store_b64 off, v[53:54], off offset:184
	s_wait_loadcnt 0x0
	scratch_store_b64 v57, v[55:56], off offset:-8
.LBB89_174:
	global_load_b32 v0, v0, s[2:3] offset:88
	s_wait_loadcnt 0x0
	v_cmp_eq_u32_e32 vcc_lo, 23, v0
	s_cbranch_vccnz .LBB89_176
; %bb.175:
	v_lshlrev_b32_e32 v0, 3, v0
	scratch_load_b64 v[53:54], v0, off offset:-8
	scratch_load_b64 v[55:56], off, off offset:176
	s_wait_loadcnt 0x1
	scratch_store_b64 off, v[53:54], off offset:176
	s_wait_loadcnt 0x0
	scratch_store_b64 v0, v[55:56], off offset:-8
.LBB89_176:
	v_mov_b32_e32 v0, 0
	global_load_b32 v53, v0, s[2:3] offset:84
	s_wait_loadcnt 0x0
	v_cmp_eq_u32_e32 vcc_lo, 22, v53
	s_cbranch_vccnz .LBB89_178
; %bb.177:
	v_lshlrev_b32_e32 v53, 3, v53
	s_delay_alu instid0(VALU_DEP_1)
	v_mov_b32_e32 v57, v53
	scratch_load_b64 v[53:54], v57, off offset:-8
	scratch_load_b64 v[55:56], off, off offset:168
	s_wait_loadcnt 0x1
	scratch_store_b64 off, v[53:54], off offset:168
	s_wait_loadcnt 0x0
	scratch_store_b64 v57, v[55:56], off offset:-8
.LBB89_178:
	global_load_b32 v0, v0, s[2:3] offset:80
	s_wait_loadcnt 0x0
	v_cmp_eq_u32_e32 vcc_lo, 21, v0
	s_cbranch_vccnz .LBB89_180
; %bb.179:
	v_lshlrev_b32_e32 v0, 3, v0
	scratch_load_b64 v[53:54], v0, off offset:-8
	scratch_load_b64 v[55:56], off, off offset:160
	s_wait_loadcnt 0x1
	scratch_store_b64 off, v[53:54], off offset:160
	s_wait_loadcnt 0x0
	scratch_store_b64 v0, v[55:56], off offset:-8
.LBB89_180:
	;; [unrolled: 29-line block ×11, first 2 shown]
	v_mov_b32_e32 v0, 0
	global_load_b32 v53, v0, s[2:3] offset:4
	s_wait_loadcnt 0x0
	v_cmp_eq_u32_e32 vcc_lo, 2, v53
	s_cbranch_vccnz .LBB89_218
; %bb.217:
	v_lshlrev_b32_e32 v53, 3, v53
	s_delay_alu instid0(VALU_DEP_1)
	v_mov_b32_e32 v57, v53
	scratch_load_b64 v[53:54], v57, off offset:-8
	scratch_load_b64 v[55:56], off, off offset:8
	s_wait_loadcnt 0x1
	scratch_store_b64 off, v[53:54], off offset:8
	s_wait_loadcnt 0x0
	scratch_store_b64 v57, v[55:56], off offset:-8
.LBB89_218:
	global_load_b32 v0, v0, s[2:3]
	s_wait_loadcnt 0x0
	v_cmp_eq_u32_e32 vcc_lo, 1, v0
	s_cbranch_vccnz .LBB89_220
; %bb.219:
	v_lshlrev_b32_e32 v0, 3, v0
	scratch_load_b64 v[53:54], v0, off offset:-8
	scratch_load_b64 v[55:56], off, off
	s_wait_loadcnt 0x1
	scratch_store_b64 off, v[53:54], off
	s_wait_loadcnt 0x0
	scratch_store_b64 v0, v[55:56], off offset:-8
.LBB89_220:
	scratch_load_b64 v[53:54], off, off
	s_wait_loadcnt 0x0
	flat_store_b64 v[1:2], v[53:54]
	scratch_load_b64 v[0:1], off, off offset:8
	s_wait_loadcnt 0x0
	flat_store_b64 v[3:4], v[0:1]
	scratch_load_b64 v[0:1], off, off offset:16
	;; [unrolled: 3-line block ×25, first 2 shown]
	s_wait_loadcnt 0x0
	flat_store_b64 v[51:52], v[0:1]
	s_nop 0
	s_sendmsg sendmsg(MSG_DEALLOC_VGPRS)
	s_endpgm
	.section	.rodata,"a",@progbits
	.p2align	6, 0x0
	.amdhsa_kernel _ZN9rocsolver6v33100L18getri_kernel_smallILi26E19rocblas_complex_numIfEPKPS3_EEvT1_iilPiilS8_bb
		.amdhsa_group_segment_fixed_size 420
		.amdhsa_private_segment_fixed_size 224
		.amdhsa_kernarg_size 60
		.amdhsa_user_sgpr_count 2
		.amdhsa_user_sgpr_dispatch_ptr 0
		.amdhsa_user_sgpr_queue_ptr 0
		.amdhsa_user_sgpr_kernarg_segment_ptr 1
		.amdhsa_user_sgpr_dispatch_id 0
		.amdhsa_user_sgpr_private_segment_size 0
		.amdhsa_wavefront_size32 1
		.amdhsa_uses_dynamic_stack 0
		.amdhsa_enable_private_segment 1
		.amdhsa_system_sgpr_workgroup_id_x 1
		.amdhsa_system_sgpr_workgroup_id_y 0
		.amdhsa_system_sgpr_workgroup_id_z 0
		.amdhsa_system_sgpr_workgroup_info 0
		.amdhsa_system_vgpr_workitem_id 0
		.amdhsa_next_free_vgpr 180
		.amdhsa_next_free_sgpr 19
		.amdhsa_reserve_vcc 1
		.amdhsa_float_round_mode_32 0
		.amdhsa_float_round_mode_16_64 0
		.amdhsa_float_denorm_mode_32 3
		.amdhsa_float_denorm_mode_16_64 3
		.amdhsa_fp16_overflow 0
		.amdhsa_workgroup_processor_mode 1
		.amdhsa_memory_ordered 1
		.amdhsa_forward_progress 1
		.amdhsa_inst_pref_size 237
		.amdhsa_round_robin_scheduling 0
		.amdhsa_exception_fp_ieee_invalid_op 0
		.amdhsa_exception_fp_denorm_src 0
		.amdhsa_exception_fp_ieee_div_zero 0
		.amdhsa_exception_fp_ieee_overflow 0
		.amdhsa_exception_fp_ieee_underflow 0
		.amdhsa_exception_fp_ieee_inexact 0
		.amdhsa_exception_int_div_zero 0
	.end_amdhsa_kernel
	.section	.text._ZN9rocsolver6v33100L18getri_kernel_smallILi26E19rocblas_complex_numIfEPKPS3_EEvT1_iilPiilS8_bb,"axG",@progbits,_ZN9rocsolver6v33100L18getri_kernel_smallILi26E19rocblas_complex_numIfEPKPS3_EEvT1_iilPiilS8_bb,comdat
.Lfunc_end89:
	.size	_ZN9rocsolver6v33100L18getri_kernel_smallILi26E19rocblas_complex_numIfEPKPS3_EEvT1_iilPiilS8_bb, .Lfunc_end89-_ZN9rocsolver6v33100L18getri_kernel_smallILi26E19rocblas_complex_numIfEPKPS3_EEvT1_iilPiilS8_bb
                                        ; -- End function
	.set _ZN9rocsolver6v33100L18getri_kernel_smallILi26E19rocblas_complex_numIfEPKPS3_EEvT1_iilPiilS8_bb.num_vgpr, 180
	.set _ZN9rocsolver6v33100L18getri_kernel_smallILi26E19rocblas_complex_numIfEPKPS3_EEvT1_iilPiilS8_bb.num_agpr, 0
	.set _ZN9rocsolver6v33100L18getri_kernel_smallILi26E19rocblas_complex_numIfEPKPS3_EEvT1_iilPiilS8_bb.numbered_sgpr, 19
	.set _ZN9rocsolver6v33100L18getri_kernel_smallILi26E19rocblas_complex_numIfEPKPS3_EEvT1_iilPiilS8_bb.num_named_barrier, 0
	.set _ZN9rocsolver6v33100L18getri_kernel_smallILi26E19rocblas_complex_numIfEPKPS3_EEvT1_iilPiilS8_bb.private_seg_size, 224
	.set _ZN9rocsolver6v33100L18getri_kernel_smallILi26E19rocblas_complex_numIfEPKPS3_EEvT1_iilPiilS8_bb.uses_vcc, 1
	.set _ZN9rocsolver6v33100L18getri_kernel_smallILi26E19rocblas_complex_numIfEPKPS3_EEvT1_iilPiilS8_bb.uses_flat_scratch, 1
	.set _ZN9rocsolver6v33100L18getri_kernel_smallILi26E19rocblas_complex_numIfEPKPS3_EEvT1_iilPiilS8_bb.has_dyn_sized_stack, 0
	.set _ZN9rocsolver6v33100L18getri_kernel_smallILi26E19rocblas_complex_numIfEPKPS3_EEvT1_iilPiilS8_bb.has_recursion, 0
	.set _ZN9rocsolver6v33100L18getri_kernel_smallILi26E19rocblas_complex_numIfEPKPS3_EEvT1_iilPiilS8_bb.has_indirect_call, 0
	.section	.AMDGPU.csdata,"",@progbits
; Kernel info:
; codeLenInByte = 30328
; TotalNumSgprs: 21
; NumVgprs: 180
; ScratchSize: 224
; MemoryBound: 0
; FloatMode: 240
; IeeeMode: 1
; LDSByteSize: 420 bytes/workgroup (compile time only)
; SGPRBlocks: 0
; VGPRBlocks: 22
; NumSGPRsForWavesPerEU: 21
; NumVGPRsForWavesPerEU: 180
; Occupancy: 8
; WaveLimiterHint : 1
; COMPUTE_PGM_RSRC2:SCRATCH_EN: 1
; COMPUTE_PGM_RSRC2:USER_SGPR: 2
; COMPUTE_PGM_RSRC2:TRAP_HANDLER: 0
; COMPUTE_PGM_RSRC2:TGID_X_EN: 1
; COMPUTE_PGM_RSRC2:TGID_Y_EN: 0
; COMPUTE_PGM_RSRC2:TGID_Z_EN: 0
; COMPUTE_PGM_RSRC2:TIDIG_COMP_CNT: 0
	.section	.text._ZN9rocsolver6v33100L18getri_kernel_smallILi27E19rocblas_complex_numIfEPKPS3_EEvT1_iilPiilS8_bb,"axG",@progbits,_ZN9rocsolver6v33100L18getri_kernel_smallILi27E19rocblas_complex_numIfEPKPS3_EEvT1_iilPiilS8_bb,comdat
	.globl	_ZN9rocsolver6v33100L18getri_kernel_smallILi27E19rocblas_complex_numIfEPKPS3_EEvT1_iilPiilS8_bb ; -- Begin function _ZN9rocsolver6v33100L18getri_kernel_smallILi27E19rocblas_complex_numIfEPKPS3_EEvT1_iilPiilS8_bb
	.p2align	8
	.type	_ZN9rocsolver6v33100L18getri_kernel_smallILi27E19rocblas_complex_numIfEPKPS3_EEvT1_iilPiilS8_bb,@function
_ZN9rocsolver6v33100L18getri_kernel_smallILi27E19rocblas_complex_numIfEPKPS3_EEvT1_iilPiilS8_bb: ; @_ZN9rocsolver6v33100L18getri_kernel_smallILi27E19rocblas_complex_numIfEPKPS3_EEvT1_iilPiilS8_bb
; %bb.0:
	s_mov_b32 s2, exec_lo
	v_cmpx_gt_u32_e32 27, v0
	s_cbranch_execz .LBB90_122
; %bb.1:
	s_clause 0x1
	s_load_b32 s13, s[0:1], 0x38
	s_load_b64 s[2:3], s[0:1], 0x0
	s_mov_b32 s8, ttmp9
	s_load_b128 s[4:7], s[0:1], 0x28
	s_wait_kmcnt 0x0
	s_bitcmp1_b32 s13, 8
	s_cselect_b32 s12, -1, 0
	s_ashr_i32 s9, ttmp9, 31
	s_delay_alu instid0(SALU_CYCLE_1) | instskip(NEXT) | instid1(SALU_CYCLE_1)
	s_lshl_b64 s[10:11], s[8:9], 3
	s_add_nc_u64 s[2:3], s[2:3], s[10:11]
	s_load_b64 s[10:11], s[2:3], 0x0
	s_bfe_u32 s2, s13, 0x10008
	s_delay_alu instid0(SALU_CYCLE_1)
	s_cmp_eq_u32 s2, 0
                                        ; implicit-def: $sgpr2_sgpr3
	s_cbranch_scc1 .LBB90_3
; %bb.2:
	s_load_b96 s[16:18], s[0:1], 0x18
	s_mul_u64 s[2:3], s[4:5], s[8:9]
	s_delay_alu instid0(SALU_CYCLE_1)
	s_lshl_b64 s[2:3], s[2:3], 2
	s_wait_kmcnt 0x0
	s_ashr_i32 s5, s18, 31
	s_mov_b32 s4, s18
	s_add_nc_u64 s[2:3], s[16:17], s[2:3]
	s_lshl_b64 s[4:5], s[4:5], 2
	s_delay_alu instid0(SALU_CYCLE_1)
	s_add_nc_u64 s[2:3], s[2:3], s[4:5]
.LBB90_3:
	s_clause 0x1
	s_load_b64 s[4:5], s[0:1], 0x8
	s_load_b32 s13, s[0:1], 0x38
	v_lshlrev_b32_e32 v61, 3, v0
	s_wait_kmcnt 0x0
	s_ashr_i32 s1, s4, 31
	s_mov_b32 s0, s4
	v_add3_u32 v9, s5, s5, v0
	s_lshl_b64 s[0:1], s[0:1], 3
	s_delay_alu instid0(SALU_CYCLE_1)
	s_add_nc_u64 s[0:1], s[10:11], s[0:1]
	s_ashr_i32 s11, s5, 31
	v_add_co_u32 v1, s4, s0, v61
	s_wait_alu 0xf1ff
	v_add_co_ci_u32_e64 v2, null, s1, 0, s4
	s_mov_b32 s10, s5
	v_ashrrev_i32_e32 v10, 31, v9
	s_lshl_b64 s[10:11], s[10:11], 3
	flat_load_b64 v[5:6], v[1:2]
	v_add_co_u32 v3, vcc_lo, v1, s10
	s_delay_alu instid0(VALU_DEP_1) | instskip(SKIP_2) | instid1(VALU_DEP_1)
	v_add_co_ci_u32_e64 v4, null, s11, v2, vcc_lo
	v_add_nc_u32_e32 v12, s5, v9
	s_bitcmp0_b32 s13, 0
	v_ashrrev_i32_e32 v13, 31, v12
	s_wait_loadcnt_dscnt 0x0
	scratch_store_b64 off, v[5:6], off
	flat_load_b64 v[7:8], v[3:4]
	v_lshlrev_b64_e32 v[5:6], 3, v[9:10]
	s_delay_alu instid0(VALU_DEP_1) | instskip(SKIP_1) | instid1(VALU_DEP_2)
	v_add_co_u32 v5, vcc_lo, s0, v5
	s_wait_alu 0xfffd
	v_add_co_ci_u32_e64 v6, null, s1, v6, vcc_lo
	s_wait_loadcnt_dscnt 0x0
	scratch_store_b64 off, v[7:8], off offset:8
	flat_load_b64 v[10:11], v[5:6]
	v_lshlrev_b64_e32 v[7:8], 3, v[12:13]
	s_delay_alu instid0(VALU_DEP_1) | instskip(SKIP_1) | instid1(VALU_DEP_2)
	v_add_co_u32 v7, vcc_lo, s0, v7
	s_wait_alu 0xfffd
	v_add_co_ci_u32_e64 v8, null, s1, v8, vcc_lo
	s_wait_loadcnt_dscnt 0x0
	scratch_store_b64 off, v[10:11], off offset:16
	flat_load_b64 v[13:14], v[7:8]
	v_add_nc_u32_e32 v11, s5, v12
	s_delay_alu instid0(VALU_DEP_1) | instskip(SKIP_1) | instid1(VALU_DEP_2)
	v_ashrrev_i32_e32 v12, 31, v11
	v_add_nc_u32_e32 v15, s5, v11
	v_lshlrev_b64_e32 v[9:10], 3, v[11:12]
	s_delay_alu instid0(VALU_DEP_2) | instskip(SKIP_1) | instid1(VALU_DEP_3)
	v_ashrrev_i32_e32 v16, 31, v15
	v_add_nc_u32_e32 v18, s5, v15
	v_add_co_u32 v9, vcc_lo, s0, v9
	s_wait_alu 0xfffd
	s_delay_alu instid0(VALU_DEP_4) | instskip(SKIP_2) | instid1(VALU_DEP_2)
	v_add_co_ci_u32_e64 v10, null, s1, v10, vcc_lo
	v_lshlrev_b64_e32 v[11:12], 3, v[15:16]
	v_ashrrev_i32_e32 v19, 31, v18
	v_add_co_u32 v11, vcc_lo, s0, v11
	s_wait_alu 0xfffd
	s_delay_alu instid0(VALU_DEP_3)
	v_add_co_ci_u32_e64 v12, null, s1, v12, vcc_lo
	s_wait_loadcnt_dscnt 0x0
	scratch_store_b64 off, v[13:14], off offset:24
	flat_load_b64 v[13:14], v[9:10]
	s_wait_loadcnt_dscnt 0x0
	scratch_store_b64 off, v[13:14], off offset:32
	flat_load_b64 v[16:17], v[11:12]
	v_lshlrev_b64_e32 v[13:14], 3, v[18:19]
	s_delay_alu instid0(VALU_DEP_1) | instskip(SKIP_1) | instid1(VALU_DEP_2)
	v_add_co_u32 v13, vcc_lo, s0, v13
	s_wait_alu 0xfffd
	v_add_co_ci_u32_e64 v14, null, s1, v14, vcc_lo
	s_wait_loadcnt_dscnt 0x0
	scratch_store_b64 off, v[16:17], off offset:40
	flat_load_b64 v[19:20], v[13:14]
	v_add_nc_u32_e32 v17, s5, v18
	s_delay_alu instid0(VALU_DEP_1) | instskip(SKIP_1) | instid1(VALU_DEP_2)
	v_ashrrev_i32_e32 v18, 31, v17
	v_add_nc_u32_e32 v21, s5, v17
	v_lshlrev_b64_e32 v[15:16], 3, v[17:18]
	s_delay_alu instid0(VALU_DEP_2) | instskip(SKIP_1) | instid1(VALU_DEP_3)
	v_ashrrev_i32_e32 v22, 31, v21
	v_add_nc_u32_e32 v24, s5, v21
	v_add_co_u32 v15, vcc_lo, s0, v15
	s_wait_alu 0xfffd
	s_delay_alu instid0(VALU_DEP_4) | instskip(SKIP_2) | instid1(VALU_DEP_2)
	v_add_co_ci_u32_e64 v16, null, s1, v16, vcc_lo
	v_lshlrev_b64_e32 v[17:18], 3, v[21:22]
	v_ashrrev_i32_e32 v25, 31, v24
	v_add_co_u32 v17, vcc_lo, s0, v17
	s_wait_alu 0xfffd
	s_delay_alu instid0(VALU_DEP_3)
	v_add_co_ci_u32_e64 v18, null, s1, v18, vcc_lo
	s_wait_loadcnt_dscnt 0x0
	scratch_store_b64 off, v[19:20], off offset:48
	flat_load_b64 v[19:20], v[15:16]
	;; [unrolled: 32-line block ×7, first 2 shown]
	s_wait_loadcnt_dscnt 0x0
	scratch_store_b64 off, v[49:50], off offset:176
	flat_load_b64 v[52:53], v[47:48]
	v_lshlrev_b64_e32 v[49:50], 3, v[54:55]
	s_delay_alu instid0(VALU_DEP_1) | instskip(SKIP_1) | instid1(VALU_DEP_2)
	v_add_co_u32 v49, vcc_lo, s0, v49
	s_wait_alu 0xfffd
	v_add_co_ci_u32_e64 v50, null, s1, v50, vcc_lo
	s_wait_loadcnt_dscnt 0x0
	scratch_store_b64 off, v[52:53], off offset:184
	flat_load_b64 v[55:56], v[49:50]
	v_add_nc_u32_e32 v53, s5, v54
	s_delay_alu instid0(VALU_DEP_1) | instskip(NEXT) | instid1(VALU_DEP_1)
	v_ashrrev_i32_e32 v54, 31, v53
	v_lshlrev_b64_e32 v[51:52], 3, v[53:54]
	v_add_nc_u32_e32 v53, s5, v53
	s_delay_alu instid0(VALU_DEP_1) | instskip(NEXT) | instid1(VALU_DEP_3)
	v_ashrrev_i32_e32 v54, 31, v53
	v_add_co_u32 v51, vcc_lo, s0, v51
	s_wait_alu 0xfffd
	s_delay_alu instid0(VALU_DEP_4) | instskip(NEXT) | instid1(VALU_DEP_3)
	v_add_co_ci_u32_e64 v52, null, s1, v52, vcc_lo
	v_lshlrev_b64_e32 v[53:54], 3, v[53:54]
	s_delay_alu instid0(VALU_DEP_1) | instskip(SKIP_1) | instid1(VALU_DEP_2)
	v_add_co_u32 v53, vcc_lo, s0, v53
	s_wait_alu 0xfffd
	v_add_co_ci_u32_e64 v54, null, s1, v54, vcc_lo
	s_mov_b32 s1, -1
	s_wait_loadcnt_dscnt 0x0
	scratch_store_b64 off, v[55:56], off offset:192
	flat_load_b64 v[55:56], v[51:52]
	s_wait_loadcnt_dscnt 0x0
	scratch_store_b64 off, v[55:56], off offset:200
	flat_load_b64 v[55:56], v[53:54]
	s_wait_loadcnt_dscnt 0x0
	scratch_store_b64 off, v[55:56], off offset:208
	s_cbranch_scc1 .LBB90_120
; %bb.4:
	v_cmp_eq_u32_e64 s0, 0, v0
	s_and_saveexec_b32 s1, s0
; %bb.5:
	v_mov_b32_e32 v55, 0
	ds_store_b32 v55, v55 offset:216
; %bb.6:
	s_wait_alu 0xfffe
	s_or_b32 exec_lo, exec_lo, s1
	s_wait_storecnt_dscnt 0x0
	s_barrier_signal -1
	s_barrier_wait -1
	global_inv scope:SCOPE_SE
	scratch_load_b64 v[55:56], v61, off
	s_wait_loadcnt 0x0
	v_cmp_eq_f32_e32 vcc_lo, 0, v55
	v_cmp_eq_f32_e64 s1, 0, v56
	s_and_b32 s1, vcc_lo, s1
	s_wait_alu 0xfffe
	s_and_saveexec_b32 s4, s1
	s_cbranch_execz .LBB90_10
; %bb.7:
	v_mov_b32_e32 v55, 0
	s_mov_b32 s5, 0
	ds_load_b32 v56, v55 offset:216
	s_wait_dscnt 0x0
	v_readfirstlane_b32 s1, v56
	v_add_nc_u32_e32 v56, 1, v0
	s_cmp_eq_u32 s1, 0
	s_delay_alu instid0(VALU_DEP_1)
	v_cmp_gt_i32_e32 vcc_lo, s1, v56
	s_cselect_b32 s10, -1, 0
	s_wait_alu 0xfffe
	s_or_b32 s10, s10, vcc_lo
	s_wait_alu 0xfffe
	s_and_b32 exec_lo, exec_lo, s10
	s_cbranch_execz .LBB90_10
; %bb.8:
	v_mov_b32_e32 v57, s1
.LBB90_9:                               ; =>This Inner Loop Header: Depth=1
	ds_cmpstore_rtn_b32 v57, v55, v56, v57 offset:216
	s_wait_dscnt 0x0
	v_cmp_ne_u32_e32 vcc_lo, 0, v57
	v_cmp_le_i32_e64 s1, v57, v56
	s_and_b32 s1, vcc_lo, s1
	s_wait_alu 0xfffe
	s_and_b32 s1, exec_lo, s1
	s_wait_alu 0xfffe
	s_or_b32 s5, s1, s5
	s_wait_alu 0xfffe
	s_and_not1_b32 exec_lo, exec_lo, s5
	s_cbranch_execnz .LBB90_9
.LBB90_10:
	s_wait_alu 0xfffe
	s_or_b32 exec_lo, exec_lo, s4
	v_mov_b32_e32 v55, 0
	s_barrier_signal -1
	s_barrier_wait -1
	global_inv scope:SCOPE_SE
	ds_load_b32 v56, v55 offset:216
	s_and_saveexec_b32 s1, s0
	s_cbranch_execz .LBB90_12
; %bb.11:
	s_lshl_b64 s[4:5], s[8:9], 2
	s_wait_alu 0xfffe
	s_add_nc_u64 s[4:5], s[6:7], s[4:5]
	s_wait_dscnt 0x0
	global_store_b32 v55, v56, s[4:5]
.LBB90_12:
	s_wait_alu 0xfffe
	s_or_b32 exec_lo, exec_lo, s1
	s_wait_dscnt 0x0
	v_cmp_ne_u32_e32 vcc_lo, 0, v56
	s_mov_b32 s1, 0
	s_cbranch_vccnz .LBB90_120
; %bb.13:
	v_mov_b32_e32 v62, v61
                                        ; implicit-def: $vgpr57
                                        ; implicit-def: $vgpr59
	scratch_load_b64 v[55:56], v62, off
	s_wait_loadcnt 0x0
	v_cmp_ngt_f32_e64 s1, |v55|, |v56|
	s_wait_alu 0xfffe
	s_and_saveexec_b32 s4, s1
	s_wait_alu 0xfffe
	s_xor_b32 s1, exec_lo, s4
	s_cbranch_execz .LBB90_15
; %bb.14:
	v_div_scale_f32 v57, null, v56, v56, v55
	v_div_scale_f32 v60, vcc_lo, v55, v56, v55
	s_delay_alu instid0(VALU_DEP_2) | instskip(NEXT) | instid1(TRANS32_DEP_1)
	v_rcp_f32_e32 v58, v57
	v_fma_f32 v59, -v57, v58, 1.0
	s_delay_alu instid0(VALU_DEP_1) | instskip(NEXT) | instid1(VALU_DEP_1)
	v_fmac_f32_e32 v58, v59, v58
	v_mul_f32_e32 v59, v60, v58
	s_delay_alu instid0(VALU_DEP_1) | instskip(NEXT) | instid1(VALU_DEP_1)
	v_fma_f32 v63, -v57, v59, v60
	v_fmac_f32_e32 v59, v63, v58
	s_delay_alu instid0(VALU_DEP_1) | instskip(SKIP_1) | instid1(VALU_DEP_1)
	v_fma_f32 v57, -v57, v59, v60
	s_wait_alu 0xfffd
	v_div_fmas_f32 v57, v57, v58, v59
	s_delay_alu instid0(VALU_DEP_1) | instskip(NEXT) | instid1(VALU_DEP_1)
	v_div_fixup_f32 v57, v57, v56, v55
	v_fmac_f32_e32 v56, v55, v57
	s_delay_alu instid0(VALU_DEP_1) | instskip(NEXT) | instid1(VALU_DEP_1)
	v_div_scale_f32 v55, null, v56, v56, 1.0
	v_rcp_f32_e32 v58, v55
	s_delay_alu instid0(TRANS32_DEP_1) | instskip(NEXT) | instid1(VALU_DEP_1)
	v_fma_f32 v59, -v55, v58, 1.0
	v_fmac_f32_e32 v58, v59, v58
	v_div_scale_f32 v59, vcc_lo, 1.0, v56, 1.0
	s_delay_alu instid0(VALU_DEP_1) | instskip(NEXT) | instid1(VALU_DEP_1)
	v_mul_f32_e32 v60, v59, v58
	v_fma_f32 v63, -v55, v60, v59
	s_delay_alu instid0(VALU_DEP_1) | instskip(NEXT) | instid1(VALU_DEP_1)
	v_fmac_f32_e32 v60, v63, v58
	v_fma_f32 v55, -v55, v60, v59
	s_wait_alu 0xfffd
	s_delay_alu instid0(VALU_DEP_1) | instskip(NEXT) | instid1(VALU_DEP_1)
	v_div_fmas_f32 v55, v55, v58, v60
	v_div_fixup_f32 v55, v55, v56, 1.0
	s_delay_alu instid0(VALU_DEP_1) | instskip(SKIP_1) | instid1(VALU_DEP_2)
	v_mul_f32_e32 v57, v57, v55
	v_xor_b32_e32 v58, 0x80000000, v55
                                        ; implicit-def: $vgpr55_vgpr56
	v_xor_b32_e32 v59, 0x80000000, v57
.LBB90_15:
	s_wait_alu 0xfffe
	s_and_not1_saveexec_b32 s1, s1
	s_cbranch_execz .LBB90_17
; %bb.16:
	v_div_scale_f32 v57, null, v55, v55, v56
	v_div_scale_f32 v60, vcc_lo, v56, v55, v56
	s_delay_alu instid0(VALU_DEP_2) | instskip(NEXT) | instid1(TRANS32_DEP_1)
	v_rcp_f32_e32 v58, v57
	v_fma_f32 v59, -v57, v58, 1.0
	s_delay_alu instid0(VALU_DEP_1) | instskip(NEXT) | instid1(VALU_DEP_1)
	v_fmac_f32_e32 v58, v59, v58
	v_mul_f32_e32 v59, v60, v58
	s_delay_alu instid0(VALU_DEP_1) | instskip(NEXT) | instid1(VALU_DEP_1)
	v_fma_f32 v63, -v57, v59, v60
	v_fmac_f32_e32 v59, v63, v58
	s_delay_alu instid0(VALU_DEP_1) | instskip(SKIP_1) | instid1(VALU_DEP_1)
	v_fma_f32 v57, -v57, v59, v60
	s_wait_alu 0xfffd
	v_div_fmas_f32 v57, v57, v58, v59
	s_delay_alu instid0(VALU_DEP_1) | instskip(NEXT) | instid1(VALU_DEP_1)
	v_div_fixup_f32 v58, v57, v55, v56
	v_fmac_f32_e32 v55, v56, v58
	s_delay_alu instid0(VALU_DEP_1) | instskip(SKIP_1) | instid1(VALU_DEP_2)
	v_div_scale_f32 v56, null, v55, v55, 1.0
	v_div_scale_f32 v60, vcc_lo, 1.0, v55, 1.0
	v_rcp_f32_e32 v57, v56
	s_delay_alu instid0(TRANS32_DEP_1) | instskip(NEXT) | instid1(VALU_DEP_1)
	v_fma_f32 v59, -v56, v57, 1.0
	v_fmac_f32_e32 v57, v59, v57
	s_delay_alu instid0(VALU_DEP_1) | instskip(NEXT) | instid1(VALU_DEP_1)
	v_mul_f32_e32 v59, v60, v57
	v_fma_f32 v63, -v56, v59, v60
	s_delay_alu instid0(VALU_DEP_1) | instskip(NEXT) | instid1(VALU_DEP_1)
	v_fmac_f32_e32 v59, v63, v57
	v_fma_f32 v56, -v56, v59, v60
	s_wait_alu 0xfffd
	s_delay_alu instid0(VALU_DEP_1) | instskip(NEXT) | instid1(VALU_DEP_1)
	v_div_fmas_f32 v56, v56, v57, v59
	v_div_fixup_f32 v57, v56, v55, 1.0
	s_delay_alu instid0(VALU_DEP_1)
	v_xor_b32_e32 v59, 0x80000000, v57
	v_mul_f32_e64 v58, v58, -v57
.LBB90_17:
	s_wait_alu 0xfffe
	s_or_b32 exec_lo, exec_lo, s1
	scratch_store_b64 v62, v[57:58], off
	scratch_load_b64 v[56:57], off, off offset:8
	v_xor_b32_e32 v60, 0x80000000, v58
	v_add_nc_u32_e32 v55, 0xe0, v61
	s_wait_loadcnt 0x0
	ds_store_2addr_b64 v61, v[59:60], v[56:57] offset1:28
	s_wait_storecnt_dscnt 0x0
	s_barrier_signal -1
	s_barrier_wait -1
	global_inv scope:SCOPE_SE
	s_and_saveexec_b32 s1, s0
	s_cbranch_execz .LBB90_19
; %bb.18:
	scratch_load_b64 v[56:57], v62, off
	ds_load_b64 v[58:59], v55
	v_mov_b32_e32 v60, 0
	ds_load_b64 v[63:64], v60 offset:8
	s_wait_loadcnt_dscnt 0x1
	v_mul_f32_e32 v60, v58, v57
	v_mul_f32_e32 v57, v59, v57
	s_delay_alu instid0(VALU_DEP_2) | instskip(NEXT) | instid1(VALU_DEP_2)
	v_fmac_f32_e32 v60, v59, v56
	v_fma_f32 v56, v58, v56, -v57
	s_delay_alu instid0(VALU_DEP_2) | instskip(NEXT) | instid1(VALU_DEP_2)
	v_add_f32_e32 v58, 0, v60
	v_add_f32_e32 v56, 0, v56
	s_wait_dscnt 0x0
	s_delay_alu instid0(VALU_DEP_2) | instskip(NEXT) | instid1(VALU_DEP_2)
	v_mul_f32_e32 v59, v58, v64
	v_mul_f32_e32 v57, v56, v64
	s_delay_alu instid0(VALU_DEP_2) | instskip(NEXT) | instid1(VALU_DEP_2)
	v_fma_f32 v56, v56, v63, -v59
	v_fmac_f32_e32 v57, v58, v63
	scratch_store_b64 off, v[56:57], off offset:8
.LBB90_19:
	s_wait_alu 0xfffe
	s_or_b32 exec_lo, exec_lo, s1
	s_wait_loadcnt 0x0
	s_wait_storecnt 0x0
	s_barrier_signal -1
	s_barrier_wait -1
	global_inv scope:SCOPE_SE
	scratch_load_b64 v[56:57], off, off offset:16
	s_mov_b32 s1, exec_lo
	s_wait_loadcnt 0x0
	ds_store_b64 v55, v[56:57]
	s_wait_dscnt 0x0
	s_barrier_signal -1
	s_barrier_wait -1
	global_inv scope:SCOPE_SE
	v_cmpx_gt_u32_e32 2, v0
	s_cbranch_execz .LBB90_23
; %bb.20:
	scratch_load_b64 v[56:57], v62, off
	ds_load_b64 v[58:59], v55
	s_wait_loadcnt_dscnt 0x0
	v_mul_f32_e32 v60, v59, v57
	v_mul_f32_e32 v63, v58, v57
	s_delay_alu instid0(VALU_DEP_2) | instskip(NEXT) | instid1(VALU_DEP_2)
	v_fma_f32 v57, v58, v56, -v60
	v_fmac_f32_e32 v63, v59, v56
	s_delay_alu instid0(VALU_DEP_1)
	v_dual_add_f32 v57, 0, v57 :: v_dual_add_f32 v56, 0, v63
	s_and_saveexec_b32 s4, s0
	s_cbranch_execz .LBB90_22
; %bb.21:
	scratch_load_b64 v[58:59], off, off offset:8
	v_mov_b32_e32 v60, 0
	ds_load_b64 v[63:64], v60 offset:232
	s_wait_loadcnt_dscnt 0x0
	v_mul_f32_e32 v60, v63, v59
	v_mul_f32_e32 v59, v64, v59
	s_delay_alu instid0(VALU_DEP_2) | instskip(NEXT) | instid1(VALU_DEP_2)
	v_fmac_f32_e32 v60, v64, v58
	v_fma_f32 v58, v63, v58, -v59
	s_delay_alu instid0(VALU_DEP_1)
	v_dual_add_f32 v56, v56, v60 :: v_dual_add_f32 v57, v57, v58
.LBB90_22:
	s_wait_alu 0xfffe
	s_or_b32 exec_lo, exec_lo, s4
	v_mov_b32_e32 v58, 0
	ds_load_b64 v[58:59], v58 offset:16
	s_wait_dscnt 0x0
	v_mul_f32_e32 v63, v56, v59
	v_mul_f32_e32 v60, v57, v59
	s_delay_alu instid0(VALU_DEP_2) | instskip(NEXT) | instid1(VALU_DEP_2)
	v_fma_f32 v59, v57, v58, -v63
	v_fmac_f32_e32 v60, v56, v58
	scratch_store_b64 off, v[59:60], off offset:16
.LBB90_23:
	s_wait_alu 0xfffe
	s_or_b32 exec_lo, exec_lo, s1
	s_wait_loadcnt 0x0
	s_wait_storecnt 0x0
	s_barrier_signal -1
	s_barrier_wait -1
	global_inv scope:SCOPE_SE
	scratch_load_b64 v[57:58], off, off offset:24
	v_add_nc_u32_e32 v56, -1, v0
	s_mov_b32 s0, exec_lo
	s_wait_loadcnt 0x0
	ds_store_b64 v55, v[57:58]
	s_wait_dscnt 0x0
	s_barrier_signal -1
	s_barrier_wait -1
	global_inv scope:SCOPE_SE
	v_cmpx_gt_u32_e32 3, v0
	s_cbranch_execz .LBB90_27
; %bb.24:
	v_dual_mov_b32 v57, 0 :: v_dual_add_nc_u32 v58, -1, v0
	v_dual_mov_b32 v60, v61 :: v_dual_add_nc_u32 v59, 0xe0, v61
	v_mov_b32_e32 v63, 0
	s_mov_b32 s1, 0
.LBB90_25:                              ; =>This Inner Loop Header: Depth=1
	scratch_load_b64 v[64:65], v60, off
	ds_load_b64 v[66:67], v59
	v_add_nc_u32_e32 v58, 1, v58
	v_add_nc_u32_e32 v59, 8, v59
	s_delay_alu instid0(VALU_DEP_2)
	v_cmp_lt_u32_e32 vcc_lo, 1, v58
	s_wait_alu 0xfffe
	s_or_b32 s1, vcc_lo, s1
	s_wait_loadcnt_dscnt 0x0
	v_mul_f32_e32 v68, v67, v65
	v_mul_f32_e32 v65, v66, v65
	s_delay_alu instid0(VALU_DEP_2) | instskip(NEXT) | instid1(VALU_DEP_2)
	v_fma_f32 v66, v66, v64, -v68
	v_fmac_f32_e32 v65, v67, v64
	s_delay_alu instid0(VALU_DEP_2) | instskip(NEXT) | instid1(VALU_DEP_2)
	v_dual_add_f32 v63, v63, v66 :: v_dual_add_nc_u32 v60, 8, v60
	v_add_f32_e32 v57, v57, v65
	s_wait_alu 0xfffe
	s_and_not1_b32 exec_lo, exec_lo, s1
	s_cbranch_execnz .LBB90_25
; %bb.26:
	s_or_b32 exec_lo, exec_lo, s1
	v_mov_b32_e32 v58, 0
	ds_load_b64 v[58:59], v58 offset:24
	s_wait_dscnt 0x0
	v_mul_f32_e32 v64, v57, v59
	v_mul_f32_e32 v60, v63, v59
	s_delay_alu instid0(VALU_DEP_2) | instskip(NEXT) | instid1(VALU_DEP_2)
	v_fma_f32 v59, v63, v58, -v64
	v_fmac_f32_e32 v60, v57, v58
	scratch_store_b64 off, v[59:60], off offset:24
.LBB90_27:
	s_wait_alu 0xfffe
	s_or_b32 exec_lo, exec_lo, s0
	s_wait_loadcnt 0x0
	s_wait_storecnt 0x0
	s_barrier_signal -1
	s_barrier_wait -1
	global_inv scope:SCOPE_SE
	scratch_load_b64 v[57:58], off, off offset:32
	s_mov_b32 s0, exec_lo
	s_wait_loadcnt 0x0
	ds_store_b64 v55, v[57:58]
	s_wait_dscnt 0x0
	s_barrier_signal -1
	s_barrier_wait -1
	global_inv scope:SCOPE_SE
	v_cmpx_gt_u32_e32 4, v0
	s_cbranch_execz .LBB90_31
; %bb.28:
	v_dual_mov_b32 v57, 0 :: v_dual_add_nc_u32 v58, -1, v0
	v_dual_mov_b32 v60, v61 :: v_dual_add_nc_u32 v59, 0xe0, v61
	v_mov_b32_e32 v63, 0
	s_mov_b32 s1, 0
.LBB90_29:                              ; =>This Inner Loop Header: Depth=1
	scratch_load_b64 v[64:65], v60, off
	ds_load_b64 v[66:67], v59
	v_add_nc_u32_e32 v58, 1, v58
	v_add_nc_u32_e32 v59, 8, v59
	s_delay_alu instid0(VALU_DEP_2)
	v_cmp_lt_u32_e32 vcc_lo, 2, v58
	s_wait_alu 0xfffe
	s_or_b32 s1, vcc_lo, s1
	s_wait_loadcnt_dscnt 0x0
	v_mul_f32_e32 v68, v67, v65
	v_mul_f32_e32 v65, v66, v65
	s_delay_alu instid0(VALU_DEP_2) | instskip(NEXT) | instid1(VALU_DEP_2)
	v_fma_f32 v66, v66, v64, -v68
	v_fmac_f32_e32 v65, v67, v64
	s_delay_alu instid0(VALU_DEP_2) | instskip(NEXT) | instid1(VALU_DEP_2)
	v_dual_add_f32 v63, v63, v66 :: v_dual_add_nc_u32 v60, 8, v60
	v_add_f32_e32 v57, v57, v65
	s_wait_alu 0xfffe
	s_and_not1_b32 exec_lo, exec_lo, s1
	s_cbranch_execnz .LBB90_29
; %bb.30:
	s_or_b32 exec_lo, exec_lo, s1
	v_mov_b32_e32 v58, 0
	ds_load_b64 v[58:59], v58 offset:32
	s_wait_dscnt 0x0
	v_mul_f32_e32 v64, v57, v59
	v_mul_f32_e32 v60, v63, v59
	s_delay_alu instid0(VALU_DEP_2) | instskip(NEXT) | instid1(VALU_DEP_2)
	v_fma_f32 v59, v63, v58, -v64
	v_fmac_f32_e32 v60, v57, v58
	scratch_store_b64 off, v[59:60], off offset:32
.LBB90_31:
	s_wait_alu 0xfffe
	s_or_b32 exec_lo, exec_lo, s0
	s_wait_loadcnt 0x0
	s_wait_storecnt 0x0
	s_barrier_signal -1
	s_barrier_wait -1
	global_inv scope:SCOPE_SE
	scratch_load_b64 v[57:58], off, off offset:40
	;; [unrolled: 55-line block ×19, first 2 shown]
	s_mov_b32 s0, exec_lo
	s_wait_loadcnt 0x0
	ds_store_b64 v55, v[57:58]
	s_wait_dscnt 0x0
	s_barrier_signal -1
	s_barrier_wait -1
	global_inv scope:SCOPE_SE
	v_cmpx_gt_u32_e32 22, v0
	s_cbranch_execz .LBB90_103
; %bb.100:
	v_dual_mov_b32 v57, 0 :: v_dual_add_nc_u32 v58, -1, v0
	v_dual_mov_b32 v60, v61 :: v_dual_add_nc_u32 v59, 0xe0, v61
	v_mov_b32_e32 v63, 0
	s_mov_b32 s1, 0
.LBB90_101:                             ; =>This Inner Loop Header: Depth=1
	scratch_load_b64 v[64:65], v60, off
	ds_load_b64 v[66:67], v59
	v_add_nc_u32_e32 v58, 1, v58
	v_add_nc_u32_e32 v59, 8, v59
	s_delay_alu instid0(VALU_DEP_2)
	v_cmp_lt_u32_e32 vcc_lo, 20, v58
	s_wait_alu 0xfffe
	s_or_b32 s1, vcc_lo, s1
	s_wait_loadcnt_dscnt 0x0
	v_mul_f32_e32 v68, v67, v65
	v_mul_f32_e32 v65, v66, v65
	s_delay_alu instid0(VALU_DEP_2) | instskip(NEXT) | instid1(VALU_DEP_2)
	v_fma_f32 v66, v66, v64, -v68
	v_fmac_f32_e32 v65, v67, v64
	s_delay_alu instid0(VALU_DEP_2) | instskip(NEXT) | instid1(VALU_DEP_2)
	v_dual_add_f32 v63, v63, v66 :: v_dual_add_nc_u32 v60, 8, v60
	v_add_f32_e32 v57, v57, v65
	s_wait_alu 0xfffe
	s_and_not1_b32 exec_lo, exec_lo, s1
	s_cbranch_execnz .LBB90_101
; %bb.102:
	s_or_b32 exec_lo, exec_lo, s1
	v_mov_b32_e32 v58, 0
	ds_load_b64 v[58:59], v58 offset:176
	s_wait_dscnt 0x0
	v_mul_f32_e32 v64, v57, v59
	v_mul_f32_e32 v60, v63, v59
	s_delay_alu instid0(VALU_DEP_2) | instskip(NEXT) | instid1(VALU_DEP_2)
	v_fma_f32 v59, v63, v58, -v64
	v_fmac_f32_e32 v60, v57, v58
	scratch_store_b64 off, v[59:60], off offset:176
.LBB90_103:
	s_wait_alu 0xfffe
	s_or_b32 exec_lo, exec_lo, s0
	s_wait_loadcnt 0x0
	s_wait_storecnt 0x0
	s_barrier_signal -1
	s_barrier_wait -1
	global_inv scope:SCOPE_SE
	scratch_load_b64 v[57:58], off, off offset:184
	s_mov_b32 s0, exec_lo
	s_wait_loadcnt 0x0
	ds_store_b64 v55, v[57:58]
	s_wait_dscnt 0x0
	s_barrier_signal -1
	s_barrier_wait -1
	global_inv scope:SCOPE_SE
	v_cmpx_gt_u32_e32 23, v0
	s_cbranch_execz .LBB90_107
; %bb.104:
	v_dual_mov_b32 v57, 0 :: v_dual_add_nc_u32 v58, -1, v0
	v_dual_mov_b32 v60, v61 :: v_dual_add_nc_u32 v59, 0xe0, v61
	v_mov_b32_e32 v63, 0
	s_mov_b32 s1, 0
.LBB90_105:                             ; =>This Inner Loop Header: Depth=1
	scratch_load_b64 v[64:65], v60, off
	ds_load_b64 v[66:67], v59
	v_add_nc_u32_e32 v58, 1, v58
	v_add_nc_u32_e32 v59, 8, v59
	s_delay_alu instid0(VALU_DEP_2)
	v_cmp_lt_u32_e32 vcc_lo, 21, v58
	s_wait_alu 0xfffe
	s_or_b32 s1, vcc_lo, s1
	s_wait_loadcnt_dscnt 0x0
	v_mul_f32_e32 v68, v67, v65
	v_mul_f32_e32 v65, v66, v65
	s_delay_alu instid0(VALU_DEP_2) | instskip(NEXT) | instid1(VALU_DEP_2)
	v_fma_f32 v66, v66, v64, -v68
	v_fmac_f32_e32 v65, v67, v64
	s_delay_alu instid0(VALU_DEP_2) | instskip(NEXT) | instid1(VALU_DEP_2)
	v_dual_add_f32 v63, v63, v66 :: v_dual_add_nc_u32 v60, 8, v60
	v_add_f32_e32 v57, v57, v65
	s_wait_alu 0xfffe
	s_and_not1_b32 exec_lo, exec_lo, s1
	s_cbranch_execnz .LBB90_105
; %bb.106:
	s_or_b32 exec_lo, exec_lo, s1
	v_mov_b32_e32 v58, 0
	ds_load_b64 v[58:59], v58 offset:184
	s_wait_dscnt 0x0
	v_mul_f32_e32 v64, v57, v59
	v_mul_f32_e32 v60, v63, v59
	s_delay_alu instid0(VALU_DEP_2) | instskip(NEXT) | instid1(VALU_DEP_2)
	v_fma_f32 v59, v63, v58, -v64
	v_fmac_f32_e32 v60, v57, v58
	scratch_store_b64 off, v[59:60], off offset:184
.LBB90_107:
	s_wait_alu 0xfffe
	s_or_b32 exec_lo, exec_lo, s0
	s_wait_loadcnt 0x0
	s_wait_storecnt 0x0
	s_barrier_signal -1
	s_barrier_wait -1
	global_inv scope:SCOPE_SE
	scratch_load_b64 v[57:58], off, off offset:192
	;; [unrolled: 55-line block ×3, first 2 shown]
	s_mov_b32 s0, exec_lo
	s_wait_loadcnt 0x0
	ds_store_b64 v55, v[57:58]
	s_wait_dscnt 0x0
	s_barrier_signal -1
	s_barrier_wait -1
	global_inv scope:SCOPE_SE
	v_cmpx_gt_u32_e32 25, v0
	s_cbranch_execz .LBB90_115
; %bb.112:
	v_dual_mov_b32 v57, 0 :: v_dual_add_nc_u32 v58, -1, v0
	v_dual_mov_b32 v60, v61 :: v_dual_add_nc_u32 v59, 0xe0, v61
	v_mov_b32_e32 v61, 0
	s_mov_b32 s1, 0
.LBB90_113:                             ; =>This Inner Loop Header: Depth=1
	scratch_load_b64 v[63:64], v60, off
	ds_load_b64 v[65:66], v59
	v_add_nc_u32_e32 v60, 8, v60
	v_add_nc_u32_e32 v58, 1, v58
	;; [unrolled: 1-line block ×3, first 2 shown]
	s_delay_alu instid0(VALU_DEP_2)
	v_cmp_lt_u32_e32 vcc_lo, 23, v58
	s_wait_alu 0xfffe
	s_or_b32 s1, vcc_lo, s1
	s_wait_loadcnt_dscnt 0x0
	v_mul_f32_e32 v67, v66, v64
	v_mul_f32_e32 v64, v65, v64
	s_delay_alu instid0(VALU_DEP_2) | instskip(NEXT) | instid1(VALU_DEP_1)
	v_fma_f32 v65, v65, v63, -v67
	v_dual_fmac_f32 v64, v66, v63 :: v_dual_add_f32 v61, v61, v65
	s_delay_alu instid0(VALU_DEP_1)
	v_add_f32_e32 v57, v57, v64
	s_wait_alu 0xfffe
	s_and_not1_b32 exec_lo, exec_lo, s1
	s_cbranch_execnz .LBB90_113
; %bb.114:
	s_or_b32 exec_lo, exec_lo, s1
	v_mov_b32_e32 v58, 0
	ds_load_b64 v[58:59], v58 offset:200
	s_wait_dscnt 0x0
	v_mul_f32_e32 v63, v57, v59
	v_mul_f32_e32 v60, v61, v59
	s_delay_alu instid0(VALU_DEP_2) | instskip(NEXT) | instid1(VALU_DEP_2)
	v_fma_f32 v59, v61, v58, -v63
	v_fmac_f32_e32 v60, v57, v58
	scratch_store_b64 off, v[59:60], off offset:200
.LBB90_115:
	s_wait_alu 0xfffe
	s_or_b32 exec_lo, exec_lo, s0
	s_wait_loadcnt 0x0
	s_wait_storecnt 0x0
	s_barrier_signal -1
	s_barrier_wait -1
	global_inv scope:SCOPE_SE
	scratch_load_b64 v[57:58], off, off offset:208
	s_mov_b32 s0, exec_lo
	s_wait_loadcnt 0x0
	ds_store_b64 v55, v[57:58]
	s_wait_dscnt 0x0
	s_barrier_signal -1
	s_barrier_wait -1
	global_inv scope:SCOPE_SE
	v_cmpx_ne_u32_e32 26, v0
	s_cbranch_execz .LBB90_119
; %bb.116:
	v_dual_mov_b32 v57, 0 :: v_dual_mov_b32 v58, 0
	s_mov_b32 s1, 0
.LBB90_117:                             ; =>This Inner Loop Header: Depth=1
	scratch_load_b64 v[59:60], v62, off
	ds_load_b64 v[63:64], v55
	v_add_nc_u32_e32 v56, 1, v56
	v_add_nc_u32_e32 v55, 8, v55
	;; [unrolled: 1-line block ×3, first 2 shown]
	s_delay_alu instid0(VALU_DEP_3)
	v_cmp_lt_u32_e32 vcc_lo, 24, v56
	s_wait_alu 0xfffe
	s_or_b32 s1, vcc_lo, s1
	s_wait_loadcnt_dscnt 0x0
	v_mul_f32_e32 v61, v64, v60
	v_mul_f32_e32 v60, v63, v60
	s_delay_alu instid0(VALU_DEP_2) | instskip(NEXT) | instid1(VALU_DEP_2)
	v_fma_f32 v61, v63, v59, -v61
	v_fmac_f32_e32 v60, v64, v59
	s_delay_alu instid0(VALU_DEP_1)
	v_dual_add_f32 v58, v58, v61 :: v_dual_add_f32 v57, v57, v60
	s_wait_alu 0xfffe
	s_and_not1_b32 exec_lo, exec_lo, s1
	s_cbranch_execnz .LBB90_117
; %bb.118:
	s_or_b32 exec_lo, exec_lo, s1
	v_mov_b32_e32 v55, 0
	ds_load_b64 v[55:56], v55 offset:208
	s_wait_dscnt 0x0
	v_mul_f32_e32 v60, v57, v56
	v_mul_f32_e32 v59, v58, v56
	s_delay_alu instid0(VALU_DEP_2) | instskip(NEXT) | instid1(VALU_DEP_2)
	v_fma_f32 v58, v58, v55, -v60
	v_fmac_f32_e32 v59, v57, v55
	scratch_store_b64 off, v[58:59], off offset:208
.LBB90_119:
	s_wait_alu 0xfffe
	s_or_b32 exec_lo, exec_lo, s0
	s_mov_b32 s1, -1
	s_wait_loadcnt 0x0
	s_wait_storecnt 0x0
	s_barrier_signal -1
	s_barrier_wait -1
	global_inv scope:SCOPE_SE
.LBB90_120:
	s_wait_alu 0xfffe
	s_and_b32 vcc_lo, exec_lo, s1
	s_wait_alu 0xfffe
	s_cbranch_vccz .LBB90_122
; %bb.121:
	v_mov_b32_e32 v55, 0
	s_lshl_b64 s[0:1], s[8:9], 2
	s_wait_alu 0xfffe
	s_add_nc_u64 s[0:1], s[6:7], s[0:1]
	global_load_b32 v55, v55, s[0:1]
	s_wait_loadcnt 0x0
	v_cmp_ne_u32_e32 vcc_lo, 0, v55
	s_cbranch_vccz .LBB90_123
.LBB90_122:
	s_nop 0
	s_sendmsg sendmsg(MSG_DEALLOC_VGPRS)
	s_endpgm
.LBB90_123:
	v_lshl_add_u32 v57, v0, 3, 0xe0
	s_mov_b32 s0, exec_lo
	v_cmpx_eq_u32_e32 26, v0
	s_cbranch_execz .LBB90_125
; %bb.124:
	scratch_load_b64 v[55:56], off, off offset:200
	v_mov_b32_e32 v58, 0
	s_delay_alu instid0(VALU_DEP_1)
	v_mov_b32_e32 v59, v58
	scratch_store_b64 off, v[58:59], off offset:200
	s_wait_loadcnt 0x0
	ds_store_b64 v57, v[55:56]
.LBB90_125:
	s_wait_alu 0xfffe
	s_or_b32 exec_lo, exec_lo, s0
	s_wait_storecnt_dscnt 0x0
	s_barrier_signal -1
	s_barrier_wait -1
	global_inv scope:SCOPE_SE
	s_clause 0x1
	scratch_load_b64 v[58:59], off, off offset:208
	scratch_load_b64 v[60:61], off, off offset:200
	v_mov_b32_e32 v55, 0
	s_mov_b32 s0, exec_lo
	ds_load_b64 v[62:63], v55 offset:432
	s_wait_loadcnt_dscnt 0x100
	v_mul_f32_e32 v56, v63, v59
	s_delay_alu instid0(VALU_DEP_1) | instskip(NEXT) | instid1(VALU_DEP_1)
	v_fma_f32 v56, v62, v58, -v56
	v_dual_mul_f32 v59, v62, v59 :: v_dual_add_f32 v56, 0, v56
	s_wait_loadcnt 0x0
	s_delay_alu instid0(VALU_DEP_1) | instskip(NEXT) | instid1(VALU_DEP_1)
	v_dual_fmac_f32 v59, v63, v58 :: v_dual_sub_f32 v58, v60, v56
	v_add_f32_e32 v59, 0, v59
	s_delay_alu instid0(VALU_DEP_1)
	v_sub_f32_e32 v59, v61, v59
	scratch_store_b64 off, v[58:59], off offset:200
	v_cmpx_lt_u32_e32 24, v0
	s_cbranch_execz .LBB90_127
; %bb.126:
	scratch_load_b64 v[58:59], off, off offset:192
	v_mov_b32_e32 v56, v55
	scratch_store_b64 off, v[55:56], off offset:192
	s_wait_loadcnt 0x0
	ds_store_b64 v57, v[58:59]
.LBB90_127:
	s_wait_alu 0xfffe
	s_or_b32 exec_lo, exec_lo, s0
	s_wait_storecnt_dscnt 0x0
	s_barrier_signal -1
	s_barrier_wait -1
	global_inv scope:SCOPE_SE
	s_clause 0x1
	scratch_load_b128 v[58:61], off, off offset:200
	scratch_load_b64 v[66:67], off, off offset:192
	ds_load_2addr_b64 v[62:65], v55 offset0:53 offset1:54
	s_mov_b32 s0, exec_lo
	s_wait_loadcnt_dscnt 0x100
	v_mul_f32_e32 v56, v62, v59
	s_delay_alu instid0(VALU_DEP_1) | instskip(SKIP_2) | instid1(VALU_DEP_1)
	v_fmac_f32_e32 v56, v63, v58
	v_mul_f32_e32 v55, v63, v59
	v_mul_f32_e32 v59, v64, v61
	v_fmac_f32_e32 v59, v65, v60
	s_delay_alu instid0(VALU_DEP_4) | instskip(NEXT) | instid1(VALU_DEP_4)
	v_dual_add_f32 v56, 0, v56 :: v_dual_mul_f32 v61, v65, v61
	v_fma_f32 v55, v62, v58, -v55
	s_delay_alu instid0(VALU_DEP_2) | instskip(NEXT) | instid1(VALU_DEP_3)
	v_add_f32_e32 v56, v56, v59
	v_fma_f32 v58, v64, v60, -v61
	s_wait_loadcnt 0x0
	s_delay_alu instid0(VALU_DEP_2) | instskip(NEXT) | instid1(VALU_DEP_1)
	v_dual_add_f32 v55, 0, v55 :: v_dual_sub_f32 v56, v67, v56
	v_add_f32_e32 v55, v55, v58
	s_delay_alu instid0(VALU_DEP_1)
	v_sub_f32_e32 v55, v66, v55
	scratch_store_b64 off, v[55:56], off offset:192
	v_cmpx_lt_u32_e32 23, v0
	s_cbranch_execz .LBB90_129
; %bb.128:
	scratch_load_b64 v[55:56], off, off offset:184
	v_mov_b32_e32 v58, 0
	s_delay_alu instid0(VALU_DEP_1)
	v_mov_b32_e32 v59, v58
	scratch_store_b64 off, v[58:59], off offset:184
	s_wait_loadcnt 0x0
	ds_store_b64 v57, v[55:56]
.LBB90_129:
	s_wait_alu 0xfffe
	s_or_b32 exec_lo, exec_lo, s0
	s_wait_storecnt_dscnt 0x0
	s_barrier_signal -1
	s_barrier_wait -1
	global_inv scope:SCOPE_SE
	s_clause 0x2
	scratch_load_b128 v[58:61], off, off offset:192
	scratch_load_b64 v[66:67], off, off offset:208
	scratch_load_b64 v[68:69], off, off offset:184
	v_mov_b32_e32 v55, 0
	ds_load_b128 v[62:65], v55 offset:416
	ds_load_b64 v[70:71], v55 offset:432
	s_mov_b32 s0, exec_lo
	s_wait_loadcnt_dscnt 0x201
	v_mul_f32_e32 v56, v63, v59
	v_dual_mul_f32 v59, v62, v59 :: v_dual_mul_f32 v72, v64, v61
	v_mul_f32_e32 v61, v65, v61
	s_wait_loadcnt_dscnt 0x100
	v_mul_f32_e32 v73, v70, v67
	v_fma_f32 v56, v62, v58, -v56
	v_fmac_f32_e32 v59, v63, v58
	v_mul_f32_e32 v58, v71, v67
	v_fmac_f32_e32 v72, v65, v60
	v_fma_f32 v60, v64, v60, -v61
	s_delay_alu instid0(VALU_DEP_4) | instskip(NEXT) | instid1(VALU_DEP_4)
	v_dual_add_f32 v56, 0, v56 :: v_dual_add_f32 v59, 0, v59
	v_fma_f32 v58, v70, v66, -v58
	s_delay_alu instid0(VALU_DEP_2) | instskip(NEXT) | instid1(VALU_DEP_1)
	v_add_f32_e32 v56, v56, v60
	v_dual_add_f32 v59, v59, v72 :: v_dual_add_f32 v56, v56, v58
	s_wait_loadcnt 0x0
	s_delay_alu instid0(VALU_DEP_1) | instskip(NEXT) | instid1(VALU_DEP_1)
	v_dual_fmac_f32 v73, v71, v66 :: v_dual_sub_f32 v58, v68, v56
	v_add_f32_e32 v59, v59, v73
	s_delay_alu instid0(VALU_DEP_1)
	v_sub_f32_e32 v59, v69, v59
	scratch_store_b64 off, v[58:59], off offset:184
	v_cmpx_lt_u32_e32 22, v0
	s_cbranch_execz .LBB90_131
; %bb.130:
	scratch_load_b64 v[58:59], off, off offset:176
	v_mov_b32_e32 v56, v55
	scratch_store_b64 off, v[55:56], off offset:176
	s_wait_loadcnt 0x0
	ds_store_b64 v57, v[58:59]
.LBB90_131:
	s_wait_alu 0xfffe
	s_or_b32 exec_lo, exec_lo, s0
	s_wait_storecnt_dscnt 0x0
	s_barrier_signal -1
	s_barrier_wait -1
	global_inv scope:SCOPE_SE
	s_clause 0x2
	scratch_load_b128 v[58:61], off, off offset:184
	scratch_load_b128 v[62:65], off, off offset:200
	scratch_load_b64 v[74:75], off, off offset:176
	ds_load_2addr_b64 v[66:69], v55 offset0:51 offset1:52
	ds_load_2addr_b64 v[70:73], v55 offset0:53 offset1:54
	s_mov_b32 s0, exec_lo
	s_wait_loadcnt_dscnt 0x201
	v_mul_f32_e32 v56, v67, v59
	s_wait_loadcnt_dscnt 0x100
	v_dual_mul_f32 v76, v70, v63 :: v_dual_mul_f32 v77, v72, v65
	s_delay_alu instid0(VALU_DEP_2) | instskip(SKIP_2) | instid1(VALU_DEP_4)
	v_fma_f32 v56, v66, v58, -v56
	v_mul_f32_e32 v55, v66, v59
	v_mul_f32_e32 v59, v68, v61
	v_dual_mul_f32 v61, v69, v61 :: v_dual_fmac_f32 v76, v71, v62
	s_delay_alu instid0(VALU_DEP_3) | instskip(NEXT) | instid1(VALU_DEP_3)
	v_dual_add_f32 v56, 0, v56 :: v_dual_fmac_f32 v55, v67, v58
	v_dual_mul_f32 v58, v71, v63 :: v_dual_fmac_f32 v59, v69, v60
	s_delay_alu instid0(VALU_DEP_3) | instskip(SKIP_1) | instid1(VALU_DEP_3)
	v_fma_f32 v60, v68, v60, -v61
	v_fmac_f32_e32 v77, v73, v64
	v_fma_f32 v58, v70, v62, -v58
	s_delay_alu instid0(VALU_DEP_3) | instskip(NEXT) | instid1(VALU_DEP_1)
	v_dual_add_f32 v56, v56, v60 :: v_dual_add_f32 v55, 0, v55
	v_dual_add_f32 v56, v56, v58 :: v_dual_mul_f32 v61, v73, v65
	s_delay_alu instid0(VALU_DEP_2) | instskip(NEXT) | instid1(VALU_DEP_2)
	v_add_f32_e32 v55, v55, v59
	v_fma_f32 v59, v72, v64, -v61
	s_delay_alu instid0(VALU_DEP_1) | instskip(SKIP_1) | instid1(VALU_DEP_1)
	v_dual_add_f32 v55, v55, v76 :: v_dual_add_f32 v56, v56, v59
	s_wait_loadcnt 0x0
	v_dual_add_f32 v58, v55, v77 :: v_dual_sub_f32 v55, v74, v56
	s_delay_alu instid0(VALU_DEP_1)
	v_sub_f32_e32 v56, v75, v58
	scratch_store_b64 off, v[55:56], off offset:176
	v_cmpx_lt_u32_e32 21, v0
	s_cbranch_execz .LBB90_133
; %bb.132:
	scratch_load_b64 v[55:56], off, off offset:168
	v_mov_b32_e32 v58, 0
	s_delay_alu instid0(VALU_DEP_1)
	v_mov_b32_e32 v59, v58
	scratch_store_b64 off, v[58:59], off offset:168
	s_wait_loadcnt 0x0
	ds_store_b64 v57, v[55:56]
.LBB90_133:
	s_wait_alu 0xfffe
	s_or_b32 exec_lo, exec_lo, s0
	s_wait_storecnt_dscnt 0x0
	s_barrier_signal -1
	s_barrier_wait -1
	global_inv scope:SCOPE_SE
	s_clause 0x3
	scratch_load_b128 v[58:61], off, off offset:176
	scratch_load_b128 v[62:65], off, off offset:192
	scratch_load_b64 v[74:75], off, off offset:208
	scratch_load_b64 v[76:77], off, off offset:168
	v_mov_b32_e32 v55, 0
	ds_load_b128 v[66:69], v55 offset:400
	ds_load_b128 v[70:73], v55 offset:416
	ds_load_b64 v[78:79], v55 offset:432
	s_mov_b32 s0, exec_lo
	s_wait_loadcnt_dscnt 0x302
	v_mul_f32_e32 v56, v66, v59
	v_dual_mul_f32 v80, v68, v61 :: v_dual_mul_f32 v59, v67, v59
	s_wait_loadcnt_dscnt 0x100
	v_mul_f32_e32 v83, v78, v75
	v_dual_mul_f32 v81, v70, v63 :: v_dual_mul_f32 v82, v72, v65
	v_dual_fmac_f32 v56, v67, v58 :: v_dual_mul_f32 v61, v69, v61
	v_fma_f32 v59, v66, v58, -v59
	v_fmac_f32_e32 v80, v69, v60
	v_mul_f32_e32 v58, v71, v63
	s_delay_alu instid0(VALU_DEP_4) | instskip(SKIP_3) | instid1(VALU_DEP_4)
	v_add_f32_e32 v56, 0, v56
	v_fma_f32 v60, v68, v60, -v61
	v_add_f32_e32 v59, 0, v59
	v_mul_f32_e32 v61, v73, v65
	v_dual_fmac_f32 v81, v71, v62 :: v_dual_add_f32 v56, v56, v80
	v_dual_fmac_f32 v82, v73, v64 :: v_dual_fmac_f32 v83, v79, v74
	s_delay_alu instid0(VALU_DEP_4) | instskip(SKIP_1) | instid1(VALU_DEP_4)
	v_add_f32_e32 v59, v59, v60
	v_fma_f32 v58, v70, v62, -v58
	v_add_f32_e32 v56, v56, v81
	v_fma_f32 v61, v72, v64, -v61
	s_delay_alu instid0(VALU_DEP_3) | instskip(NEXT) | instid1(VALU_DEP_3)
	v_add_f32_e32 v58, v59, v58
	v_add_f32_e32 v56, v56, v82
	s_delay_alu instid0(VALU_DEP_2) | instskip(NEXT) | instid1(VALU_DEP_2)
	v_add_f32_e32 v58, v58, v61
	v_add_f32_e32 v56, v56, v83
	v_mul_f32_e32 v60, v79, v75
	s_delay_alu instid0(VALU_DEP_1) | instskip(SKIP_1) | instid1(VALU_DEP_1)
	v_fma_f32 v59, v78, v74, -v60
	s_wait_loadcnt 0x0
	v_dual_add_f32 v58, v58, v59 :: v_dual_sub_f32 v59, v77, v56
	s_delay_alu instid0(VALU_DEP_1)
	v_sub_f32_e32 v58, v76, v58
	scratch_store_b64 off, v[58:59], off offset:168
	v_cmpx_lt_u32_e32 20, v0
	s_cbranch_execz .LBB90_135
; %bb.134:
	scratch_load_b64 v[58:59], off, off offset:160
	v_mov_b32_e32 v56, v55
	scratch_store_b64 off, v[55:56], off offset:160
	s_wait_loadcnt 0x0
	ds_store_b64 v57, v[58:59]
.LBB90_135:
	s_wait_alu 0xfffe
	s_or_b32 exec_lo, exec_lo, s0
	s_wait_storecnt_dscnt 0x0
	s_barrier_signal -1
	s_barrier_wait -1
	global_inv scope:SCOPE_SE
	s_clause 0x3
	scratch_load_b128 v[58:61], off, off offset:168
	scratch_load_b128 v[62:65], off, off offset:184
	;; [unrolled: 1-line block ×3, first 2 shown]
	scratch_load_b64 v[82:83], off, off offset:160
	ds_load_2addr_b64 v[70:73], v55 offset0:49 offset1:50
	ds_load_2addr_b64 v[74:77], v55 offset0:51 offset1:52
	;; [unrolled: 1-line block ×3, first 2 shown]
	s_mov_b32 s0, exec_lo
	s_wait_loadcnt_dscnt 0x302
	v_dual_mul_f32 v55, v70, v59 :: v_dual_mul_f32 v56, v72, v61
	v_mul_f32_e32 v59, v71, v59
	s_wait_loadcnt_dscnt 0x201
	v_dual_mul_f32 v61, v73, v61 :: v_dual_mul_f32 v84, v74, v63
	s_delay_alu instid0(VALU_DEP_3) | instskip(NEXT) | instid1(VALU_DEP_3)
	v_dual_mul_f32 v85, v76, v65 :: v_dual_fmac_f32 v56, v73, v60
	v_fma_f32 v59, v70, v58, -v59
	v_fmac_f32_e32 v55, v71, v58
	v_mul_f32_e32 v58, v75, v63
	v_fma_f32 v60, v72, v60, -v61
	v_mul_f32_e32 v61, v77, v65
	v_dual_add_f32 v59, 0, v59 :: v_dual_fmac_f32 v84, v75, v62
	s_delay_alu instid0(VALU_DEP_4) | instskip(SKIP_2) | instid1(VALU_DEP_3)
	v_fma_f32 v58, v74, v62, -v58
	s_wait_loadcnt_dscnt 0x100
	v_dual_mul_f32 v86, v78, v67 :: v_dual_mul_f32 v87, v80, v69
	v_add_f32_e32 v59, v59, v60
	v_fmac_f32_e32 v85, v77, v64
	v_fma_f32 v60, v76, v64, -v61
	s_delay_alu instid0(VALU_DEP_4) | instskip(NEXT) | instid1(VALU_DEP_4)
	v_dual_fmac_f32 v86, v79, v66 :: v_dual_fmac_f32 v87, v81, v68
	v_add_f32_e32 v58, v59, v58
	s_delay_alu instid0(VALU_DEP_1) | instskip(SKIP_1) | instid1(VALU_DEP_1)
	v_dual_add_f32 v58, v58, v60 :: v_dual_add_f32 v55, 0, v55
	v_mul_f32_e32 v59, v81, v69
	v_fma_f32 v59, v80, v68, -v59
	s_delay_alu instid0(VALU_DEP_3) | instskip(SKIP_1) | instid1(VALU_DEP_1)
	v_add_f32_e32 v55, v55, v56
	v_mul_f32_e32 v56, v79, v67
	v_fma_f32 v56, v78, v66, -v56
	s_delay_alu instid0(VALU_DEP_1) | instskip(NEXT) | instid1(VALU_DEP_1)
	v_add_f32_e32 v56, v58, v56
	v_dual_add_f32 v56, v56, v59 :: v_dual_add_f32 v55, v55, v84
	s_delay_alu instid0(VALU_DEP_1) | instskip(NEXT) | instid1(VALU_DEP_1)
	v_add_f32_e32 v55, v55, v85
	v_add_f32_e32 v55, v55, v86
	s_wait_loadcnt 0x0
	s_delay_alu instid0(VALU_DEP_1) | instskip(NEXT) | instid1(VALU_DEP_1)
	v_dual_add_f32 v58, v55, v87 :: v_dual_sub_f32 v55, v82, v56
	v_sub_f32_e32 v56, v83, v58
	scratch_store_b64 off, v[55:56], off offset:160
	v_cmpx_lt_u32_e32 19, v0
	s_cbranch_execz .LBB90_137
; %bb.136:
	scratch_load_b64 v[55:56], off, off offset:152
	v_mov_b32_e32 v58, 0
	s_delay_alu instid0(VALU_DEP_1)
	v_mov_b32_e32 v59, v58
	scratch_store_b64 off, v[58:59], off offset:152
	s_wait_loadcnt 0x0
	ds_store_b64 v57, v[55:56]
.LBB90_137:
	s_wait_alu 0xfffe
	s_or_b32 exec_lo, exec_lo, s0
	s_wait_storecnt_dscnt 0x0
	s_barrier_signal -1
	s_barrier_wait -1
	global_inv scope:SCOPE_SE
	s_clause 0x4
	scratch_load_b128 v[58:61], off, off offset:160
	scratch_load_b128 v[62:65], off, off offset:176
	;; [unrolled: 1-line block ×3, first 2 shown]
	scratch_load_b64 v[82:83], off, off offset:208
	scratch_load_b64 v[84:85], off, off offset:152
	v_mov_b32_e32 v55, 0
	ds_load_b128 v[70:73], v55 offset:384
	ds_load_b128 v[74:77], v55 offset:400
	;; [unrolled: 1-line block ×3, first 2 shown]
	ds_load_b64 v[86:87], v55 offset:432
	s_mov_b32 s0, exec_lo
	s_wait_loadcnt_dscnt 0x403
	v_mul_f32_e32 v56, v70, v59
	s_wait_loadcnt_dscnt 0x302
	v_dual_mul_f32 v88, v72, v61 :: v_dual_mul_f32 v89, v74, v63
	v_dual_mul_f32 v90, v76, v65 :: v_dual_mul_f32 v59, v71, v59
	s_wait_loadcnt_dscnt 0x100
	v_dual_mul_f32 v93, v86, v83 :: v_dual_fmac_f32 v56, v71, v58
	v_mul_f32_e32 v61, v73, v61
	v_dual_mul_f32 v91, v78, v67 :: v_dual_mul_f32 v92, v80, v69
	v_fma_f32 v59, v70, v58, -v59
	v_fmac_f32_e32 v88, v73, v60
	v_add_f32_e32 v56, 0, v56
	v_mul_f32_e32 v58, v75, v63
	v_fma_f32 v60, v72, v60, -v61
	v_add_f32_e32 v59, 0, v59
	v_mul_f32_e32 v61, v77, v65
	v_dual_fmac_f32 v89, v75, v62 :: v_dual_add_f32 v56, v56, v88
	v_dual_fmac_f32 v90, v77, v64 :: v_dual_fmac_f32 v91, v79, v66
	s_delay_alu instid0(VALU_DEP_4) | instskip(SKIP_1) | instid1(VALU_DEP_4)
	v_add_f32_e32 v59, v59, v60
	v_dual_fmac_f32 v92, v81, v68 :: v_dual_fmac_f32 v93, v87, v82
	v_add_f32_e32 v56, v56, v89
	v_fma_f32 v58, v74, v62, -v58
	v_mul_f32_e32 v60, v79, v67
	v_fma_f32 v61, v76, v64, -v61
	s_delay_alu instid0(VALU_DEP_4) | instskip(NEXT) | instid1(VALU_DEP_1)
	v_add_f32_e32 v56, v56, v90
	v_add_f32_e32 v56, v56, v91
	s_delay_alu instid0(VALU_DEP_1) | instskip(NEXT) | instid1(VALU_DEP_1)
	v_add_f32_e32 v56, v56, v92
	v_add_f32_e32 v56, v56, v93
	v_dual_add_f32 v58, v59, v58 :: v_dual_mul_f32 v59, v81, v69
	v_fma_f32 v60, v78, v66, -v60
	s_delay_alu instid0(VALU_DEP_2) | instskip(NEXT) | instid1(VALU_DEP_3)
	v_dual_add_f32 v58, v58, v61 :: v_dual_mul_f32 v61, v87, v83
	v_fma_f32 v59, v80, v68, -v59
	s_delay_alu instid0(VALU_DEP_2) | instskip(NEXT) | instid1(VALU_DEP_3)
	v_add_f32_e32 v58, v58, v60
	v_fma_f32 v60, v86, v82, -v61
	s_wait_loadcnt 0x0
	s_delay_alu instid0(VALU_DEP_2) | instskip(NEXT) | instid1(VALU_DEP_1)
	v_dual_add_f32 v58, v58, v59 :: v_dual_sub_f32 v59, v85, v56
	v_add_f32_e32 v58, v58, v60
	s_delay_alu instid0(VALU_DEP_1)
	v_sub_f32_e32 v58, v84, v58
	scratch_store_b64 off, v[58:59], off offset:152
	v_cmpx_lt_u32_e32 18, v0
	s_cbranch_execz .LBB90_139
; %bb.138:
	scratch_load_b64 v[58:59], off, off offset:144
	v_mov_b32_e32 v56, v55
	scratch_store_b64 off, v[55:56], off offset:144
	s_wait_loadcnt 0x0
	ds_store_b64 v57, v[58:59]
.LBB90_139:
	s_wait_alu 0xfffe
	s_or_b32 exec_lo, exec_lo, s0
	s_wait_storecnt_dscnt 0x0
	s_barrier_signal -1
	s_barrier_wait -1
	global_inv scope:SCOPE_SE
	s_clause 0x4
	scratch_load_b128 v[58:61], off, off offset:152
	scratch_load_b128 v[62:65], off, off offset:168
	;; [unrolled: 1-line block ×4, first 2 shown]
	scratch_load_b64 v[90:91], off, off offset:144
	ds_load_2addr_b64 v[74:77], v55 offset0:47 offset1:48
	ds_load_2addr_b64 v[78:81], v55 offset0:49 offset1:50
	;; [unrolled: 1-line block ×4, first 2 shown]
	s_mov_b32 s0, exec_lo
	s_wait_loadcnt_dscnt 0x403
	v_dual_mul_f32 v55, v74, v59 :: v_dual_mul_f32 v56, v76, v61
	v_mul_f32_e32 v59, v75, v59
	s_wait_loadcnt_dscnt 0x302
	v_dual_mul_f32 v61, v77, v61 :: v_dual_mul_f32 v92, v78, v63
	s_delay_alu instid0(VALU_DEP_3) | instskip(NEXT) | instid1(VALU_DEP_3)
	v_dual_mul_f32 v93, v80, v65 :: v_dual_fmac_f32 v56, v77, v60
	v_fma_f32 v59, v74, v58, -v59
	v_fmac_f32_e32 v55, v75, v58
	v_mul_f32_e32 v58, v79, v63
	v_fma_f32 v60, v76, v60, -v61
	v_mul_f32_e32 v61, v81, v65
	v_dual_add_f32 v59, 0, v59 :: v_dual_fmac_f32 v92, v79, v62
	s_delay_alu instid0(VALU_DEP_4) | instskip(SKIP_2) | instid1(VALU_DEP_3)
	v_fma_f32 v58, v78, v62, -v58
	s_wait_loadcnt_dscnt 0x201
	v_dual_mul_f32 v94, v82, v67 :: v_dual_mul_f32 v95, v84, v69
	v_add_f32_e32 v59, v59, v60
	v_fmac_f32_e32 v93, v81, v64
	v_fma_f32 v60, v80, v64, -v61
	s_wait_loadcnt_dscnt 0x100
	v_dual_mul_f32 v96, v86, v71 :: v_dual_mul_f32 v97, v88, v73
	v_dual_add_f32 v58, v59, v58 :: v_dual_mul_f32 v59, v85, v69
	v_dual_fmac_f32 v94, v83, v66 :: v_dual_fmac_f32 v95, v85, v68
	s_delay_alu instid0(VALU_DEP_3) | instskip(NEXT) | instid1(VALU_DEP_3)
	v_fmac_f32_e32 v96, v87, v70
	v_dual_add_f32 v58, v58, v60 :: v_dual_add_f32 v55, 0, v55
	v_mul_f32_e32 v60, v87, v71
	v_fma_f32 v59, v84, v68, -v59
	v_fmac_f32_e32 v97, v89, v72
	s_delay_alu instid0(VALU_DEP_4) | instskip(SKIP_2) | instid1(VALU_DEP_2)
	v_add_f32_e32 v55, v55, v56
	v_mul_f32_e32 v56, v83, v67
	v_fma_f32 v60, v86, v70, -v60
	v_fma_f32 v56, v82, v66, -v56
	s_delay_alu instid0(VALU_DEP_1) | instskip(SKIP_1) | instid1(VALU_DEP_2)
	v_add_f32_e32 v56, v58, v56
	v_mul_f32_e32 v58, v89, v73
	v_add_f32_e32 v56, v56, v59
	s_delay_alu instid0(VALU_DEP_2) | instskip(NEXT) | instid1(VALU_DEP_2)
	v_fma_f32 v58, v88, v72, -v58
	v_add_f32_e32 v56, v56, v60
	s_delay_alu instid0(VALU_DEP_1) | instskip(NEXT) | instid1(VALU_DEP_1)
	v_dual_add_f32 v55, v55, v92 :: v_dual_add_f32 v56, v56, v58
	v_add_f32_e32 v55, v55, v93
	s_delay_alu instid0(VALU_DEP_1) | instskip(NEXT) | instid1(VALU_DEP_1)
	v_add_f32_e32 v55, v55, v94
	v_add_f32_e32 v55, v55, v95
	s_delay_alu instid0(VALU_DEP_1) | instskip(SKIP_1) | instid1(VALU_DEP_1)
	v_add_f32_e32 v55, v55, v96
	s_wait_loadcnt 0x0
	v_dual_add_f32 v58, v55, v97 :: v_dual_sub_f32 v55, v90, v56
	s_delay_alu instid0(VALU_DEP_1)
	v_sub_f32_e32 v56, v91, v58
	scratch_store_b64 off, v[55:56], off offset:144
	v_cmpx_lt_u32_e32 17, v0
	s_cbranch_execz .LBB90_141
; %bb.140:
	scratch_load_b64 v[55:56], off, off offset:136
	v_mov_b32_e32 v58, 0
	s_delay_alu instid0(VALU_DEP_1)
	v_mov_b32_e32 v59, v58
	scratch_store_b64 off, v[58:59], off offset:136
	s_wait_loadcnt 0x0
	ds_store_b64 v57, v[55:56]
.LBB90_141:
	s_wait_alu 0xfffe
	s_or_b32 exec_lo, exec_lo, s0
	s_wait_storecnt_dscnt 0x0
	s_barrier_signal -1
	s_barrier_wait -1
	global_inv scope:SCOPE_SE
	s_clause 0x5
	scratch_load_b128 v[58:61], off, off offset:144
	scratch_load_b128 v[62:65], off, off offset:160
	;; [unrolled: 1-line block ×4, first 2 shown]
	scratch_load_b64 v[90:91], off, off offset:208
	scratch_load_b64 v[92:93], off, off offset:136
	v_mov_b32_e32 v55, 0
	ds_load_b128 v[74:77], v55 offset:368
	ds_load_b128 v[78:81], v55 offset:384
	;; [unrolled: 1-line block ×4, first 2 shown]
	ds_load_b64 v[94:95], v55 offset:432
	s_mov_b32 s0, exec_lo
	s_wait_loadcnt_dscnt 0x504
	v_mul_f32_e32 v56, v74, v59
	s_wait_loadcnt_dscnt 0x403
	v_dual_mul_f32 v96, v76, v61 :: v_dual_mul_f32 v97, v78, v63
	s_wait_loadcnt_dscnt 0x302
	v_dual_mul_f32 v100, v84, v69 :: v_dual_mul_f32 v59, v75, v59
	s_wait_loadcnt_dscnt 0x100
	v_dual_mul_f32 v103, v94, v91 :: v_dual_fmac_f32 v56, v75, v58
	v_mul_f32_e32 v61, v77, v61
	v_dual_mul_f32 v98, v80, v65 :: v_dual_mul_f32 v99, v82, v67
	v_fma_f32 v59, v74, v58, -v59
	v_fmac_f32_e32 v96, v77, v60
	v_add_f32_e32 v56, 0, v56
	v_mul_f32_e32 v58, v79, v63
	v_fma_f32 v60, v76, v60, -v61
	v_add_f32_e32 v59, 0, v59
	v_mul_f32_e32 v61, v81, v65
	v_dual_fmac_f32 v97, v79, v62 :: v_dual_add_f32 v56, v56, v96
	v_dual_fmac_f32 v98, v81, v64 :: v_dual_fmac_f32 v99, v83, v66
	s_delay_alu instid0(VALU_DEP_4) | instskip(SKIP_1) | instid1(VALU_DEP_4)
	v_add_f32_e32 v59, v59, v60
	v_dual_mul_f32 v101, v86, v71 :: v_dual_mul_f32 v102, v88, v73
	v_add_f32_e32 v56, v56, v97
	v_dual_fmac_f32 v100, v85, v68 :: v_dual_fmac_f32 v103, v95, v90
	s_delay_alu instid0(VALU_DEP_3) | instskip(NEXT) | instid1(VALU_DEP_3)
	v_dual_fmac_f32 v101, v87, v70 :: v_dual_fmac_f32 v102, v89, v72
	v_add_f32_e32 v56, v56, v98
	v_fma_f32 v58, v78, v62, -v58
	v_mul_f32_e32 v60, v83, v67
	v_fma_f32 v61, v80, v64, -v61
	s_delay_alu instid0(VALU_DEP_4) | instskip(NEXT) | instid1(VALU_DEP_1)
	v_add_f32_e32 v56, v56, v99
	v_add_f32_e32 v56, v56, v100
	s_delay_alu instid0(VALU_DEP_1) | instskip(NEXT) | instid1(VALU_DEP_1)
	v_add_f32_e32 v56, v56, v101
	v_add_f32_e32 v56, v56, v102
	s_delay_alu instid0(VALU_DEP_1) | instskip(SKIP_2) | instid1(VALU_DEP_2)
	v_add_f32_e32 v56, v56, v103
	v_dual_add_f32 v58, v59, v58 :: v_dual_mul_f32 v59, v85, v69
	v_fma_f32 v60, v82, v66, -v60
	v_dual_add_f32 v58, v58, v61 :: v_dual_mul_f32 v61, v87, v71
	s_delay_alu instid0(VALU_DEP_3) | instskip(NEXT) | instid1(VALU_DEP_2)
	v_fma_f32 v59, v84, v68, -v59
	v_add_f32_e32 v58, v58, v60
	v_mul_f32_e32 v60, v89, v73
	s_delay_alu instid0(VALU_DEP_4) | instskip(NEXT) | instid1(VALU_DEP_3)
	v_fma_f32 v61, v86, v70, -v61
	v_add_f32_e32 v58, v58, v59
	v_mul_f32_e32 v59, v95, v91
	s_delay_alu instid0(VALU_DEP_4) | instskip(NEXT) | instid1(VALU_DEP_3)
	v_fma_f32 v60, v88, v72, -v60
	v_add_f32_e32 v58, v58, v61
	s_delay_alu instid0(VALU_DEP_3) | instskip(NEXT) | instid1(VALU_DEP_2)
	v_fma_f32 v59, v94, v90, -v59
	v_add_f32_e32 v58, v58, v60
	s_wait_loadcnt 0x0
	s_delay_alu instid0(VALU_DEP_1) | instskip(NEXT) | instid1(VALU_DEP_1)
	v_dual_add_f32 v58, v58, v59 :: v_dual_sub_f32 v59, v93, v56
	v_sub_f32_e32 v58, v92, v58
	scratch_store_b64 off, v[58:59], off offset:136
	v_cmpx_lt_u32_e32 16, v0
	s_cbranch_execz .LBB90_143
; %bb.142:
	scratch_load_b64 v[58:59], off, off offset:128
	v_mov_b32_e32 v56, v55
	scratch_store_b64 off, v[55:56], off offset:128
	s_wait_loadcnt 0x0
	ds_store_b64 v57, v[58:59]
.LBB90_143:
	s_wait_alu 0xfffe
	s_or_b32 exec_lo, exec_lo, s0
	s_wait_storecnt_dscnt 0x0
	s_barrier_signal -1
	s_barrier_wait -1
	global_inv scope:SCOPE_SE
	s_clause 0x5
	scratch_load_b128 v[58:61], off, off offset:136
	scratch_load_b128 v[62:65], off, off offset:152
	;; [unrolled: 1-line block ×5, first 2 shown]
	scratch_load_b64 v[98:99], off, off offset:128
	ds_load_2addr_b64 v[78:81], v55 offset0:45 offset1:46
	ds_load_2addr_b64 v[82:85], v55 offset0:47 offset1:48
	;; [unrolled: 1-line block ×5, first 2 shown]
	s_mov_b32 s0, exec_lo
	s_wait_loadcnt_dscnt 0x504
	v_dual_mul_f32 v55, v78, v59 :: v_dual_mul_f32 v56, v80, v61
	v_mul_f32_e32 v59, v79, v59
	s_wait_loadcnt_dscnt 0x403
	v_dual_mul_f32 v61, v81, v61 :: v_dual_mul_f32 v100, v82, v63
	s_delay_alu instid0(VALU_DEP_3) | instskip(NEXT) | instid1(VALU_DEP_3)
	v_dual_mul_f32 v101, v84, v65 :: v_dual_fmac_f32 v56, v81, v60
	v_fma_f32 v59, v78, v58, -v59
	v_fmac_f32_e32 v55, v79, v58
	v_mul_f32_e32 v58, v83, v63
	v_fma_f32 v60, v80, v60, -v61
	v_mul_f32_e32 v61, v85, v65
	v_dual_add_f32 v59, 0, v59 :: v_dual_fmac_f32 v100, v83, v62
	s_delay_alu instid0(VALU_DEP_4) | instskip(SKIP_2) | instid1(VALU_DEP_3)
	v_fma_f32 v58, v82, v62, -v58
	s_wait_loadcnt_dscnt 0x302
	v_dual_mul_f32 v102, v86, v67 :: v_dual_mul_f32 v103, v88, v69
	v_add_f32_e32 v59, v59, v60
	v_fmac_f32_e32 v101, v85, v64
	v_fma_f32 v60, v84, v64, -v61
	s_wait_loadcnt_dscnt 0x201
	v_dual_mul_f32 v104, v90, v71 :: v_dual_mul_f32 v105, v92, v73
	v_dual_add_f32 v58, v59, v58 :: v_dual_mul_f32 v59, v89, v69
	v_fmac_f32_e32 v102, v87, v66
	s_wait_loadcnt_dscnt 0x100
	v_dual_mul_f32 v106, v94, v75 :: v_dual_mul_f32 v107, v96, v77
	s_delay_alu instid0(VALU_DEP_3) | instskip(SKIP_3) | instid1(VALU_DEP_4)
	v_dual_add_f32 v58, v58, v60 :: v_dual_add_f32 v55, 0, v55
	v_mul_f32_e32 v60, v91, v71
	v_fma_f32 v59, v88, v68, -v59
	v_dual_fmac_f32 v103, v89, v68 :: v_dual_fmac_f32 v104, v91, v70
	v_add_f32_e32 v55, v55, v56
	v_mul_f32_e32 v56, v87, v67
	v_fma_f32 v60, v90, v70, -v60
	v_dual_fmac_f32 v105, v93, v72 :: v_dual_fmac_f32 v106, v95, v74
	s_delay_alu instid0(VALU_DEP_3) | instskip(NEXT) | instid1(VALU_DEP_1)
	v_fma_f32 v56, v86, v66, -v56
	v_add_f32_e32 v56, v58, v56
	v_mul_f32_e32 v58, v93, v73
	s_delay_alu instid0(VALU_DEP_2) | instskip(SKIP_1) | instid1(VALU_DEP_3)
	v_dual_add_f32 v56, v56, v59 :: v_dual_add_f32 v55, v55, v100
	v_mul_f32_e32 v59, v95, v75
	v_fma_f32 v58, v92, v72, -v58
	s_delay_alu instid0(VALU_DEP_3) | instskip(SKIP_3) | instid1(VALU_DEP_4)
	v_add_f32_e32 v56, v56, v60
	v_mul_f32_e32 v60, v97, v77
	v_add_f32_e32 v55, v55, v101
	v_fma_f32 v59, v94, v74, -v59
	v_dual_add_f32 v56, v56, v58 :: v_dual_fmac_f32 v107, v97, v76
	s_delay_alu instid0(VALU_DEP_3) | instskip(SKIP_1) | instid1(VALU_DEP_3)
	v_add_f32_e32 v55, v55, v102
	v_fma_f32 v58, v96, v76, -v60
	v_add_f32_e32 v56, v56, v59
	s_delay_alu instid0(VALU_DEP_1) | instskip(NEXT) | instid1(VALU_DEP_1)
	v_dual_add_f32 v55, v55, v103 :: v_dual_add_f32 v56, v56, v58
	v_add_f32_e32 v55, v55, v104
	s_delay_alu instid0(VALU_DEP_1) | instskip(NEXT) | instid1(VALU_DEP_1)
	v_add_f32_e32 v55, v55, v105
	v_add_f32_e32 v55, v55, v106
	s_wait_loadcnt 0x0
	s_delay_alu instid0(VALU_DEP_1) | instskip(NEXT) | instid1(VALU_DEP_1)
	v_dual_add_f32 v58, v55, v107 :: v_dual_sub_f32 v55, v98, v56
	v_sub_f32_e32 v56, v99, v58
	scratch_store_b64 off, v[55:56], off offset:128
	v_cmpx_lt_u32_e32 15, v0
	s_cbranch_execz .LBB90_145
; %bb.144:
	scratch_load_b64 v[55:56], off, off offset:120
	v_mov_b32_e32 v58, 0
	s_delay_alu instid0(VALU_DEP_1)
	v_mov_b32_e32 v59, v58
	scratch_store_b64 off, v[58:59], off offset:120
	s_wait_loadcnt 0x0
	ds_store_b64 v57, v[55:56]
.LBB90_145:
	s_wait_alu 0xfffe
	s_or_b32 exec_lo, exec_lo, s0
	s_wait_storecnt_dscnt 0x0
	s_barrier_signal -1
	s_barrier_wait -1
	global_inv scope:SCOPE_SE
	s_clause 0x6
	scratch_load_b128 v[58:61], off, off offset:128
	scratch_load_b128 v[62:65], off, off offset:144
	;; [unrolled: 1-line block ×5, first 2 shown]
	scratch_load_b64 v[98:99], off, off offset:208
	scratch_load_b64 v[100:101], off, off offset:120
	v_mov_b32_e32 v55, 0
	ds_load_b128 v[78:81], v55 offset:352
	ds_load_b128 v[82:85], v55 offset:368
	;; [unrolled: 1-line block ×5, first 2 shown]
	ds_load_b64 v[102:103], v55 offset:432
	s_mov_b32 s0, exec_lo
	s_wait_loadcnt_dscnt 0x605
	v_mul_f32_e32 v56, v78, v59
	v_dual_mul_f32 v59, v79, v59 :: v_dual_mul_f32 v104, v80, v61
	s_wait_loadcnt_dscnt 0x302
	v_dual_mul_f32 v105, v82, v63 :: v_dual_mul_f32 v110, v92, v73
	s_wait_loadcnt_dscnt 0x100
	v_dual_mul_f32 v113, v102, v99 :: v_dual_fmac_f32 v56, v79, v58
	v_mul_f32_e32 v61, v81, v61
	v_fma_f32 v59, v78, v58, -v59
	v_mul_f32_e32 v58, v83, v63
	v_fmac_f32_e32 v104, v81, v60
	v_add_f32_e32 v56, 0, v56
	v_fma_f32 v60, v80, v60, -v61
	v_add_f32_e32 v59, 0, v59
	v_mul_f32_e32 v61, v85, v65
	s_delay_alu instid0(VALU_DEP_4) | instskip(SKIP_1) | instid1(VALU_DEP_4)
	v_dual_fmac_f32 v105, v83, v62 :: v_dual_add_f32 v56, v56, v104
	v_fma_f32 v58, v82, v62, -v58
	v_dual_add_f32 v59, v59, v60 :: v_dual_mul_f32 v106, v84, v65
	v_mul_f32_e32 v107, v86, v67
	v_mul_f32_e32 v60, v87, v67
	v_fma_f32 v61, v84, v64, -v61
	v_add_f32_e32 v56, v56, v105
	v_add_f32_e32 v58, v59, v58
	v_dual_fmac_f32 v106, v85, v64 :: v_dual_fmac_f32 v107, v87, v66
	v_mul_f32_e32 v59, v89, v69
	v_fma_f32 v60, v86, v66, -v60
	s_delay_alu instid0(VALU_DEP_4) | instskip(SKIP_4) | instid1(VALU_DEP_3)
	v_dual_add_f32 v58, v58, v61 :: v_dual_mul_f32 v61, v91, v71
	v_dual_mul_f32 v108, v88, v69 :: v_dual_mul_f32 v109, v90, v71
	v_dual_mul_f32 v111, v94, v75 :: v_dual_mul_f32 v112, v96, v77
	v_add_f32_e32 v56, v56, v106
	v_fma_f32 v59, v88, v68, -v59
	v_dual_add_f32 v58, v58, v60 :: v_dual_fmac_f32 v111, v95, v74
	v_dual_fmac_f32 v108, v89, v68 :: v_dual_fmac_f32 v109, v91, v70
	v_mul_f32_e32 v60, v93, v73
	s_delay_alu instid0(VALU_DEP_3)
	v_add_f32_e32 v58, v58, v59
	v_mul_f32_e32 v59, v95, v75
	v_dual_add_f32 v56, v56, v107 :: v_dual_fmac_f32 v113, v103, v98
	v_fma_f32 v61, v90, v70, -v61
	v_fmac_f32_e32 v110, v93, v72
	v_fma_f32 v60, v92, v72, -v60
	s_delay_alu instid0(VALU_DEP_4)
	v_add_f32_e32 v56, v56, v108
	v_fma_f32 v59, v94, v74, -v59
	v_add_f32_e32 v58, v58, v61
	v_mul_f32_e32 v61, v97, v77
	v_fmac_f32_e32 v112, v97, v76
	v_add_f32_e32 v56, v56, v109
	s_delay_alu instid0(VALU_DEP_4) | instskip(SKIP_2) | instid1(VALU_DEP_4)
	v_add_f32_e32 v58, v58, v60
	v_mul_f32_e32 v60, v103, v99
	v_fma_f32 v61, v96, v76, -v61
	v_add_f32_e32 v56, v56, v110
	s_delay_alu instid0(VALU_DEP_4) | instskip(NEXT) | instid1(VALU_DEP_4)
	v_add_f32_e32 v58, v58, v59
	v_fma_f32 v59, v102, v98, -v60
	s_delay_alu instid0(VALU_DEP_3) | instskip(NEXT) | instid1(VALU_DEP_3)
	v_add_f32_e32 v56, v56, v111
	v_add_f32_e32 v58, v58, v61
	s_delay_alu instid0(VALU_DEP_2) | instskip(NEXT) | instid1(VALU_DEP_2)
	v_add_f32_e32 v56, v56, v112
	v_add_f32_e32 v58, v58, v59
	s_delay_alu instid0(VALU_DEP_2) | instskip(SKIP_1) | instid1(VALU_DEP_1)
	v_add_f32_e32 v56, v56, v113
	s_wait_loadcnt 0x0
	v_dual_sub_f32 v58, v100, v58 :: v_dual_sub_f32 v59, v101, v56
	scratch_store_b64 off, v[58:59], off offset:120
	v_cmpx_lt_u32_e32 14, v0
	s_cbranch_execz .LBB90_147
; %bb.146:
	scratch_load_b64 v[58:59], off, off offset:112
	v_mov_b32_e32 v56, v55
	scratch_store_b64 off, v[55:56], off offset:112
	s_wait_loadcnt 0x0
	ds_store_b64 v57, v[58:59]
.LBB90_147:
	s_wait_alu 0xfffe
	s_or_b32 exec_lo, exec_lo, s0
	s_wait_storecnt_dscnt 0x0
	s_barrier_signal -1
	s_barrier_wait -1
	global_inv scope:SCOPE_SE
	s_clause 0x6
	scratch_load_b128 v[58:61], off, off offset:120
	scratch_load_b128 v[62:65], off, off offset:136
	;; [unrolled: 1-line block ×6, first 2 shown]
	scratch_load_b64 v[106:107], off, off offset:112
	ds_load_2addr_b64 v[82:85], v55 offset0:43 offset1:44
	ds_load_2addr_b64 v[86:89], v55 offset0:45 offset1:46
	;; [unrolled: 1-line block ×6, first 2 shown]
	s_mov_b32 s0, exec_lo
	s_wait_loadcnt_dscnt 0x605
	v_dual_mul_f32 v55, v82, v59 :: v_dual_mul_f32 v56, v84, v61
	v_mul_f32_e32 v59, v83, v59
	s_wait_loadcnt_dscnt 0x504
	v_dual_mul_f32 v61, v85, v61 :: v_dual_mul_f32 v108, v86, v63
	s_delay_alu instid0(VALU_DEP_3) | instskip(NEXT) | instid1(VALU_DEP_3)
	v_dual_mul_f32 v109, v88, v65 :: v_dual_fmac_f32 v56, v85, v60
	v_fma_f32 v59, v82, v58, -v59
	v_fmac_f32_e32 v55, v83, v58
	v_mul_f32_e32 v58, v87, v63
	v_fma_f32 v60, v84, v60, -v61
	v_mul_f32_e32 v61, v89, v65
	v_dual_add_f32 v59, 0, v59 :: v_dual_fmac_f32 v108, v87, v62
	s_delay_alu instid0(VALU_DEP_4) | instskip(SKIP_2) | instid1(VALU_DEP_3)
	v_fma_f32 v58, v86, v62, -v58
	s_wait_loadcnt_dscnt 0x403
	v_dual_mul_f32 v110, v90, v67 :: v_dual_mul_f32 v111, v92, v69
	v_add_f32_e32 v59, v59, v60
	v_fmac_f32_e32 v109, v89, v64
	v_fma_f32 v60, v88, v64, -v61
	s_wait_loadcnt_dscnt 0x302
	v_dual_mul_f32 v112, v94, v71 :: v_dual_mul_f32 v113, v96, v73
	v_dual_add_f32 v58, v59, v58 :: v_dual_mul_f32 v59, v93, v69
	v_fmac_f32_e32 v110, v91, v66
	s_wait_loadcnt_dscnt 0x201
	v_dual_mul_f32 v114, v98, v75 :: v_dual_mul_f32 v115, v100, v77
	s_delay_alu instid0(VALU_DEP_3) | instskip(SKIP_3) | instid1(VALU_DEP_4)
	v_dual_add_f32 v58, v58, v60 :: v_dual_add_f32 v55, 0, v55
	v_mul_f32_e32 v60, v95, v71
	v_fma_f32 v59, v92, v68, -v59
	v_dual_fmac_f32 v111, v93, v68 :: v_dual_fmac_f32 v112, v95, v70
	v_add_f32_e32 v55, v55, v56
	v_mul_f32_e32 v56, v91, v67
	v_fma_f32 v60, v94, v70, -v60
	v_dual_fmac_f32 v113, v97, v72 :: v_dual_fmac_f32 v114, v99, v74
	s_wait_loadcnt_dscnt 0x100
	v_dual_mul_f32 v116, v102, v79 :: v_dual_mul_f32 v117, v104, v81
	v_fma_f32 v56, v90, v66, -v56
	s_delay_alu instid0(VALU_DEP_2) | instskip(NEXT) | instid1(VALU_DEP_3)
	v_dual_fmac_f32 v115, v101, v76 :: v_dual_fmac_f32 v116, v103, v78
	v_fmac_f32_e32 v117, v105, v80
	s_delay_alu instid0(VALU_DEP_3) | instskip(SKIP_1) | instid1(VALU_DEP_2)
	v_add_f32_e32 v56, v58, v56
	v_mul_f32_e32 v58, v97, v73
	v_dual_add_f32 v56, v56, v59 :: v_dual_add_f32 v55, v55, v108
	v_mul_f32_e32 v59, v99, v75
	s_delay_alu instid0(VALU_DEP_3) | instskip(NEXT) | instid1(VALU_DEP_3)
	v_fma_f32 v58, v96, v72, -v58
	v_add_f32_e32 v56, v56, v60
	v_mul_f32_e32 v60, v101, v77
	v_add_f32_e32 v55, v55, v109
	v_fma_f32 v59, v98, v74, -v59
	s_delay_alu instid0(VALU_DEP_4) | instskip(SKIP_1) | instid1(VALU_DEP_4)
	v_add_f32_e32 v56, v56, v58
	v_mul_f32_e32 v58, v103, v79
	v_add_f32_e32 v55, v55, v110
	v_fma_f32 v60, v100, v76, -v60
	s_delay_alu instid0(VALU_DEP_4) | instskip(NEXT) | instid1(VALU_DEP_3)
	v_dual_add_f32 v56, v56, v59 :: v_dual_mul_f32 v59, v105, v81
	v_add_f32_e32 v55, v55, v111
	v_fma_f32 v58, v102, v78, -v58
	s_delay_alu instid0(VALU_DEP_3) | instskip(NEXT) | instid1(VALU_DEP_4)
	v_add_f32_e32 v56, v56, v60
	v_fma_f32 v59, v104, v80, -v59
	s_delay_alu instid0(VALU_DEP_2) | instskip(NEXT) | instid1(VALU_DEP_1)
	v_dual_add_f32 v55, v55, v112 :: v_dual_add_f32 v56, v56, v58
	v_dual_add_f32 v55, v55, v113 :: v_dual_add_f32 v56, v56, v59
	s_delay_alu instid0(VALU_DEP_1) | instskip(NEXT) | instid1(VALU_DEP_1)
	v_add_f32_e32 v55, v55, v114
	v_add_f32_e32 v55, v55, v115
	s_delay_alu instid0(VALU_DEP_1) | instskip(SKIP_1) | instid1(VALU_DEP_1)
	v_add_f32_e32 v55, v55, v116
	s_wait_loadcnt 0x0
	v_dual_add_f32 v58, v55, v117 :: v_dual_sub_f32 v55, v106, v56
	s_delay_alu instid0(VALU_DEP_1)
	v_sub_f32_e32 v56, v107, v58
	scratch_store_b64 off, v[55:56], off offset:112
	v_cmpx_lt_u32_e32 13, v0
	s_cbranch_execz .LBB90_149
; %bb.148:
	scratch_load_b64 v[55:56], off, off offset:104
	v_mov_b32_e32 v58, 0
	s_delay_alu instid0(VALU_DEP_1)
	v_mov_b32_e32 v59, v58
	scratch_store_b64 off, v[58:59], off offset:104
	s_wait_loadcnt 0x0
	ds_store_b64 v57, v[55:56]
.LBB90_149:
	s_wait_alu 0xfffe
	s_or_b32 exec_lo, exec_lo, s0
	s_wait_storecnt_dscnt 0x0
	s_barrier_signal -1
	s_barrier_wait -1
	global_inv scope:SCOPE_SE
	s_clause 0x7
	scratch_load_b128 v[58:61], off, off offset:112
	scratch_load_b128 v[62:65], off, off offset:128
	;; [unrolled: 1-line block ×6, first 2 shown]
	scratch_load_b64 v[106:107], off, off offset:208
	scratch_load_b64 v[108:109], off, off offset:104
	v_mov_b32_e32 v55, 0
	ds_load_b128 v[82:85], v55 offset:336
	ds_load_b128 v[86:89], v55 offset:352
	;; [unrolled: 1-line block ×6, first 2 shown]
	ds_load_b64 v[110:111], v55 offset:432
	s_mov_b32 s0, exec_lo
	s_wait_loadcnt_dscnt 0x706
	v_mul_f32_e32 v56, v82, v59
	v_dual_mul_f32 v59, v83, v59 :: v_dual_mul_f32 v112, v84, v61
	s_wait_loadcnt_dscnt 0x302
	v_dual_mul_f32 v113, v86, v63 :: v_dual_mul_f32 v120, v100, v77
	v_mul_f32_e32 v61, v85, v61
	s_wait_loadcnt_dscnt 0x100
	v_dual_mul_f32 v123, v110, v107 :: v_dual_fmac_f32 v56, v83, v58
	v_fma_f32 v59, v82, v58, -v59
	v_mul_f32_e32 v58, v87, v63
	v_fmac_f32_e32 v112, v85, v60
	v_fma_f32 v60, v84, v60, -v61
	v_dual_add_f32 v56, 0, v56 :: v_dual_mul_f32 v61, v89, v65
	v_add_f32_e32 v59, 0, v59
	v_fmac_f32_e32 v113, v87, v62
	v_fma_f32 v58, v86, v62, -v58
	s_delay_alu instid0(VALU_DEP_4)
	v_add_f32_e32 v56, v56, v112
	v_fma_f32 v61, v88, v64, -v61
	v_add_f32_e32 v59, v59, v60
	v_mul_f32_e32 v60, v91, v67
	v_dual_mul_f32 v114, v88, v65 :: v_dual_mul_f32 v115, v90, v67
	v_add_f32_e32 v56, v56, v113
	s_delay_alu instid0(VALU_DEP_4) | instskip(NEXT) | instid1(VALU_DEP_4)
	v_dual_add_f32 v58, v59, v58 :: v_dual_mul_f32 v59, v93, v69
	v_fma_f32 v60, v90, v66, -v60
	v_dual_mul_f32 v118, v96, v73 :: v_dual_mul_f32 v119, v98, v75
	s_delay_alu instid0(VALU_DEP_3) | instskip(NEXT) | instid1(VALU_DEP_4)
	v_dual_add_f32 v58, v58, v61 :: v_dual_mul_f32 v61, v95, v71
	v_fma_f32 v59, v92, v68, -v59
	v_dual_mul_f32 v121, v102, v79 :: v_dual_mul_f32 v122, v104, v81
	s_delay_alu instid0(VALU_DEP_3) | instskip(SKIP_1) | instid1(VALU_DEP_3)
	v_dual_add_f32 v58, v58, v60 :: v_dual_fmac_f32 v119, v99, v74
	v_dual_fmac_f32 v114, v89, v64 :: v_dual_fmac_f32 v115, v91, v66
	v_dual_mul_f32 v60, v97, v73 :: v_dual_fmac_f32 v121, v103, v78
	v_fma_f32 v61, v94, v70, -v61
	s_delay_alu instid0(VALU_DEP_4) | instskip(SKIP_3) | instid1(VALU_DEP_4)
	v_dual_add_f32 v58, v58, v59 :: v_dual_fmac_f32 v123, v111, v106
	v_dual_mul_f32 v116, v92, v69 :: v_dual_mul_f32 v117, v94, v71
	v_dual_add_f32 v56, v56, v114 :: v_dual_mul_f32 v59, v99, v75
	v_fma_f32 v60, v96, v72, -v60
	v_add_f32_e32 v58, v58, v61
	s_delay_alu instid0(VALU_DEP_4) | instskip(NEXT) | instid1(VALU_DEP_4)
	v_dual_fmac_f32 v116, v93, v68 :: v_dual_fmac_f32 v117, v95, v70
	v_dual_add_f32 v56, v56, v115 :: v_dual_mul_f32 v61, v101, v77
	v_fma_f32 v59, v98, v74, -v59
	s_delay_alu instid0(VALU_DEP_4)
	v_add_f32_e32 v58, v58, v60
	v_fmac_f32_e32 v118, v97, v72
	v_mul_f32_e32 v60, v103, v79
	v_fma_f32 v61, v100, v76, -v61
	v_fmac_f32_e32 v120, v101, v76
	v_dual_add_f32 v58, v58, v59 :: v_dual_mul_f32 v59, v105, v81
	v_add_f32_e32 v56, v56, v116
	v_fma_f32 v60, v102, v78, -v60
	v_fmac_f32_e32 v122, v105, v80
	s_delay_alu instid0(VALU_DEP_4) | instskip(NEXT) | instid1(VALU_DEP_4)
	v_dual_add_f32 v58, v58, v61 :: v_dual_mul_f32 v61, v111, v107
	v_add_f32_e32 v56, v56, v117
	v_fma_f32 v59, v104, v80, -v59
	s_delay_alu instid0(VALU_DEP_3) | instskip(NEXT) | instid1(VALU_DEP_4)
	v_add_f32_e32 v58, v58, v60
	v_fma_f32 v60, v110, v106, -v61
	s_delay_alu instid0(VALU_DEP_4) | instskip(NEXT) | instid1(VALU_DEP_3)
	v_add_f32_e32 v56, v56, v118
	v_add_f32_e32 v58, v58, v59
	s_delay_alu instid0(VALU_DEP_2) | instskip(NEXT) | instid1(VALU_DEP_2)
	v_add_f32_e32 v56, v56, v119
	v_add_f32_e32 v58, v58, v60
	s_delay_alu instid0(VALU_DEP_2) | instskip(SKIP_1) | instid1(VALU_DEP_2)
	v_add_f32_e32 v56, v56, v120
	s_wait_loadcnt 0x0
	v_sub_f32_e32 v58, v108, v58
	s_delay_alu instid0(VALU_DEP_2) | instskip(NEXT) | instid1(VALU_DEP_1)
	v_add_f32_e32 v56, v56, v121
	v_add_f32_e32 v56, v56, v122
	s_delay_alu instid0(VALU_DEP_1) | instskip(NEXT) | instid1(VALU_DEP_1)
	v_add_f32_e32 v56, v56, v123
	v_sub_f32_e32 v59, v109, v56
	scratch_store_b64 off, v[58:59], off offset:104
	v_cmpx_lt_u32_e32 12, v0
	s_cbranch_execz .LBB90_151
; %bb.150:
	scratch_load_b64 v[58:59], off, off offset:96
	v_mov_b32_e32 v56, v55
	scratch_store_b64 off, v[55:56], off offset:96
	s_wait_loadcnt 0x0
	ds_store_b64 v57, v[58:59]
.LBB90_151:
	s_wait_alu 0xfffe
	s_or_b32 exec_lo, exec_lo, s0
	s_wait_storecnt_dscnt 0x0
	s_barrier_signal -1
	s_barrier_wait -1
	global_inv scope:SCOPE_SE
	s_clause 0x7
	scratch_load_b128 v[58:61], off, off offset:104
	scratch_load_b128 v[62:65], off, off offset:120
	;; [unrolled: 1-line block ×7, first 2 shown]
	scratch_load_b64 v[114:115], off, off offset:96
	ds_load_2addr_b64 v[86:89], v55 offset0:41 offset1:42
	ds_load_2addr_b64 v[90:93], v55 offset0:43 offset1:44
	;; [unrolled: 1-line block ×7, first 2 shown]
	s_mov_b32 s0, exec_lo
	s_wait_loadcnt_dscnt 0x706
	v_dual_mul_f32 v55, v86, v59 :: v_dual_mul_f32 v56, v88, v61
	v_mul_f32_e32 v59, v87, v59
	s_wait_loadcnt_dscnt 0x605
	v_dual_mul_f32 v61, v89, v61 :: v_dual_mul_f32 v116, v90, v63
	s_delay_alu instid0(VALU_DEP_3) | instskip(NEXT) | instid1(VALU_DEP_3)
	v_dual_mul_f32 v117, v92, v65 :: v_dual_fmac_f32 v56, v89, v60
	v_fma_f32 v59, v86, v58, -v59
	v_fmac_f32_e32 v55, v87, v58
	v_mul_f32_e32 v58, v91, v63
	v_fma_f32 v60, v88, v60, -v61
	v_mul_f32_e32 v61, v93, v65
	v_dual_add_f32 v59, 0, v59 :: v_dual_fmac_f32 v116, v91, v62
	s_delay_alu instid0(VALU_DEP_4) | instskip(SKIP_2) | instid1(VALU_DEP_3)
	v_fma_f32 v58, v90, v62, -v58
	s_wait_loadcnt_dscnt 0x504
	v_dual_mul_f32 v118, v94, v67 :: v_dual_mul_f32 v119, v96, v69
	v_add_f32_e32 v59, v59, v60
	v_fmac_f32_e32 v117, v93, v64
	v_fma_f32 v60, v92, v64, -v61
	s_wait_loadcnt_dscnt 0x403
	v_dual_mul_f32 v120, v98, v71 :: v_dual_mul_f32 v121, v100, v73
	v_dual_add_f32 v58, v59, v58 :: v_dual_mul_f32 v59, v97, v69
	v_fmac_f32_e32 v118, v95, v66
	s_wait_loadcnt_dscnt 0x302
	v_dual_mul_f32 v122, v102, v75 :: v_dual_mul_f32 v123, v104, v77
	s_delay_alu instid0(VALU_DEP_3) | instskip(SKIP_3) | instid1(VALU_DEP_4)
	v_dual_add_f32 v58, v58, v60 :: v_dual_add_f32 v55, 0, v55
	v_mul_f32_e32 v60, v99, v71
	v_fma_f32 v59, v96, v68, -v59
	v_dual_fmac_f32 v119, v97, v68 :: v_dual_fmac_f32 v120, v99, v70
	v_add_f32_e32 v55, v55, v56
	v_mul_f32_e32 v56, v95, v67
	v_fma_f32 v60, v98, v70, -v60
	v_dual_fmac_f32 v121, v101, v72 :: v_dual_fmac_f32 v122, v103, v74
	s_wait_loadcnt_dscnt 0x201
	v_dual_mul_f32 v124, v106, v79 :: v_dual_mul_f32 v125, v108, v81
	v_fma_f32 v56, v94, v66, -v56
	s_wait_loadcnt_dscnt 0x100
	v_dual_mul_f32 v126, v110, v83 :: v_dual_mul_f32 v127, v112, v85
	s_delay_alu instid0(VALU_DEP_3) | instskip(NEXT) | instid1(VALU_DEP_3)
	v_dual_fmac_f32 v123, v105, v76 :: v_dual_fmac_f32 v124, v107, v78
	v_add_f32_e32 v56, v58, v56
	v_mul_f32_e32 v58, v101, v73
	s_delay_alu instid0(VALU_DEP_4) | instskip(NEXT) | instid1(VALU_DEP_3)
	v_dual_fmac_f32 v126, v111, v82 :: v_dual_fmac_f32 v127, v113, v84
	v_dual_fmac_f32 v125, v109, v80 :: v_dual_add_f32 v56, v56, v59
	v_add_f32_e32 v55, v55, v116
	v_mul_f32_e32 v59, v103, v75
	v_fma_f32 v58, v100, v72, -v58
	s_delay_alu instid0(VALU_DEP_4) | instskip(SKIP_3) | instid1(VALU_DEP_4)
	v_add_f32_e32 v56, v56, v60
	v_mul_f32_e32 v60, v105, v77
	v_add_f32_e32 v55, v55, v117
	v_fma_f32 v59, v102, v74, -v59
	v_add_f32_e32 v56, v56, v58
	v_mul_f32_e32 v58, v107, v79
	s_delay_alu instid0(VALU_DEP_4) | instskip(SKIP_1) | instid1(VALU_DEP_4)
	v_add_f32_e32 v55, v55, v118
	v_fma_f32 v60, v104, v76, -v60
	v_dual_add_f32 v56, v56, v59 :: v_dual_mul_f32 v59, v109, v81
	s_delay_alu instid0(VALU_DEP_3) | instskip(SKIP_1) | instid1(VALU_DEP_3)
	v_add_f32_e32 v55, v55, v119
	v_fma_f32 v58, v106, v78, -v58
	v_add_f32_e32 v56, v56, v60
	s_delay_alu instid0(VALU_DEP_4) | instskip(NEXT) | instid1(VALU_DEP_4)
	v_fma_f32 v59, v108, v80, -v59
	v_add_f32_e32 v55, v55, v120
	v_mul_f32_e32 v60, v111, v83
	s_delay_alu instid0(VALU_DEP_4) | instskip(SKIP_1) | instid1(VALU_DEP_4)
	v_add_f32_e32 v56, v56, v58
	v_mul_f32_e32 v58, v113, v85
	v_add_f32_e32 v55, v55, v121
	s_delay_alu instid0(VALU_DEP_4) | instskip(NEXT) | instid1(VALU_DEP_4)
	v_fma_f32 v60, v110, v82, -v60
	v_add_f32_e32 v56, v56, v59
	s_delay_alu instid0(VALU_DEP_4) | instskip(NEXT) | instid1(VALU_DEP_2)
	v_fma_f32 v58, v112, v84, -v58
	v_dual_add_f32 v55, v55, v122 :: v_dual_add_f32 v56, v56, v60
	s_delay_alu instid0(VALU_DEP_1) | instskip(NEXT) | instid1(VALU_DEP_1)
	v_dual_add_f32 v55, v55, v123 :: v_dual_add_f32 v56, v56, v58
	v_add_f32_e32 v55, v55, v124
	s_delay_alu instid0(VALU_DEP_1) | instskip(NEXT) | instid1(VALU_DEP_1)
	v_add_f32_e32 v55, v55, v125
	v_add_f32_e32 v55, v55, v126
	s_wait_loadcnt 0x0
	s_delay_alu instid0(VALU_DEP_1) | instskip(NEXT) | instid1(VALU_DEP_1)
	v_dual_add_f32 v58, v55, v127 :: v_dual_sub_f32 v55, v114, v56
	v_sub_f32_e32 v56, v115, v58
	scratch_store_b64 off, v[55:56], off offset:96
	v_cmpx_lt_u32_e32 11, v0
	s_cbranch_execz .LBB90_153
; %bb.152:
	scratch_load_b64 v[55:56], off, off offset:88
	v_mov_b32_e32 v58, 0
	s_delay_alu instid0(VALU_DEP_1)
	v_mov_b32_e32 v59, v58
	scratch_store_b64 off, v[58:59], off offset:88
	s_wait_loadcnt 0x0
	ds_store_b64 v57, v[55:56]
.LBB90_153:
	s_wait_alu 0xfffe
	s_or_b32 exec_lo, exec_lo, s0
	s_wait_storecnt_dscnt 0x0
	s_barrier_signal -1
	s_barrier_wait -1
	global_inv scope:SCOPE_SE
	s_clause 0x8
	scratch_load_b128 v[58:61], off, off offset:96
	scratch_load_b128 v[62:65], off, off offset:112
	;; [unrolled: 1-line block ×7, first 2 shown]
	scratch_load_b64 v[114:115], off, off offset:208
	scratch_load_b64 v[116:117], off, off offset:88
	v_mov_b32_e32 v55, 0
	ds_load_b128 v[86:89], v55 offset:320
	ds_load_b128 v[90:93], v55 offset:336
	;; [unrolled: 1-line block ×7, first 2 shown]
	ds_load_b64 v[118:119], v55 offset:432
	s_mov_b32 s0, exec_lo
	s_wait_loadcnt_dscnt 0x807
	v_mul_f32_e32 v56, v86, v59
	v_dual_mul_f32 v59, v87, v59 :: v_dual_mul_f32 v120, v88, v61
	s_wait_loadcnt_dscnt 0x706
	v_mul_f32_e32 v121, v90, v63
	v_mul_f32_e32 v61, v89, v61
	s_wait_loadcnt_dscnt 0x302
	v_mul_f32_e32 v130, v108, v81
	v_fma_f32 v59, v86, v58, -v59
	s_wait_loadcnt_dscnt 0x100
	v_dual_mul_f32 v133, v118, v115 :: v_dual_fmac_f32 v56, v87, v58
	v_mul_f32_e32 v58, v91, v63
	s_delay_alu instid0(VALU_DEP_3) | instskip(SKIP_1) | instid1(VALU_DEP_4)
	v_dual_fmac_f32 v120, v89, v60 :: v_dual_add_f32 v59, 0, v59
	v_fma_f32 v60, v88, v60, -v61
	v_dual_add_f32 v56, 0, v56 :: v_dual_mul_f32 v61, v93, v65
	v_fmac_f32_e32 v121, v91, v62
	v_fma_f32 v58, v90, v62, -v58
	v_dual_mul_f32 v122, v92, v65 :: v_dual_mul_f32 v123, v94, v67
	s_delay_alu instid0(VALU_DEP_4)
	v_add_f32_e32 v56, v56, v120
	v_add_f32_e32 v59, v59, v60
	v_mul_f32_e32 v60, v95, v67
	v_fma_f32 v61, v92, v64, -v61
	v_dual_mul_f32 v126, v100, v73 :: v_dual_mul_f32 v127, v102, v75
	v_add_f32_e32 v56, v56, v121
	v_dual_add_f32 v58, v59, v58 :: v_dual_mul_f32 v59, v97, v69
	v_fma_f32 v60, v94, v66, -v60
	v_dual_mul_f32 v128, v104, v77 :: v_dual_mul_f32 v129, v106, v79
	s_delay_alu instid0(VALU_DEP_3) | instskip(NEXT) | instid1(VALU_DEP_4)
	v_dual_add_f32 v58, v58, v61 :: v_dual_mul_f32 v61, v99, v71
	v_fma_f32 v59, v96, v68, -v59
	v_dual_mul_f32 v131, v110, v83 :: v_dual_mul_f32 v132, v112, v85
	s_delay_alu instid0(VALU_DEP_3) | instskip(SKIP_3) | instid1(VALU_DEP_4)
	v_dual_add_f32 v58, v58, v60 :: v_dual_fmac_f32 v127, v103, v74
	v_dual_fmac_f32 v122, v93, v64 :: v_dual_fmac_f32 v123, v95, v66
	v_dual_mul_f32 v60, v101, v73 :: v_dual_fmac_f32 v129, v107, v78
	v_fma_f32 v61, v98, v70, -v61
	v_dual_add_f32 v58, v58, v59 :: v_dual_fmac_f32 v131, v111, v82
	s_delay_alu instid0(VALU_DEP_4) | instskip(NEXT) | instid1(VALU_DEP_4)
	v_dual_add_f32 v56, v56, v122 :: v_dual_mul_f32 v59, v103, v75
	v_fma_f32 v60, v100, v72, -v60
	s_delay_alu instid0(VALU_DEP_3) | instskip(SKIP_3) | instid1(VALU_DEP_4)
	v_dual_add_f32 v58, v58, v61 :: v_dual_fmac_f32 v133, v119, v114
	v_dual_mul_f32 v124, v96, v69 :: v_dual_mul_f32 v125, v98, v71
	v_mul_f32_e32 v61, v105, v77
	v_fma_f32 v59, v102, v74, -v59
	v_add_f32_e32 v58, v58, v60
	s_delay_alu instid0(VALU_DEP_4) | instskip(SKIP_4) | instid1(VALU_DEP_4)
	v_dual_fmac_f32 v124, v97, v68 :: v_dual_fmac_f32 v125, v99, v70
	v_add_f32_e32 v56, v56, v123
	v_mul_f32_e32 v60, v107, v79
	v_fma_f32 v61, v104, v76, -v61
	v_dual_add_f32 v58, v58, v59 :: v_dual_mul_f32 v59, v109, v81
	v_add_f32_e32 v56, v56, v124
	s_delay_alu instid0(VALU_DEP_4) | instskip(SKIP_1) | instid1(VALU_DEP_4)
	v_fma_f32 v60, v106, v78, -v60
	v_fmac_f32_e32 v126, v101, v72
	v_dual_add_f32 v58, v58, v61 :: v_dual_mul_f32 v61, v111, v83
	s_delay_alu instid0(VALU_DEP_4) | instskip(SKIP_2) | instid1(VALU_DEP_4)
	v_add_f32_e32 v56, v56, v125
	v_fma_f32 v59, v108, v80, -v59
	v_fmac_f32_e32 v128, v105, v76
	v_add_f32_e32 v58, v58, v60
	v_fmac_f32_e32 v130, v109, v80
	v_mul_f32_e32 v60, v113, v85
	v_fma_f32 v61, v110, v82, -v61
	v_fmac_f32_e32 v132, v113, v84
	v_add_f32_e32 v58, v58, v59
	v_dual_mul_f32 v59, v119, v115 :: v_dual_add_f32 v56, v56, v126
	v_fma_f32 v60, v112, v84, -v60
	s_delay_alu instid0(VALU_DEP_3) | instskip(NEXT) | instid1(VALU_DEP_3)
	v_add_f32_e32 v58, v58, v61
	v_fma_f32 v59, v118, v114, -v59
	s_delay_alu instid0(VALU_DEP_4) | instskip(NEXT) | instid1(VALU_DEP_3)
	v_add_f32_e32 v56, v56, v127
	v_add_f32_e32 v58, v58, v60
	s_delay_alu instid0(VALU_DEP_2) | instskip(NEXT) | instid1(VALU_DEP_2)
	v_add_f32_e32 v56, v56, v128
	v_add_f32_e32 v58, v58, v59
	s_delay_alu instid0(VALU_DEP_2) | instskip(SKIP_1) | instid1(VALU_DEP_2)
	v_add_f32_e32 v56, v56, v129
	s_wait_loadcnt 0x0
	v_sub_f32_e32 v58, v116, v58
	s_delay_alu instid0(VALU_DEP_2) | instskip(NEXT) | instid1(VALU_DEP_1)
	v_add_f32_e32 v56, v56, v130
	v_add_f32_e32 v56, v56, v131
	s_delay_alu instid0(VALU_DEP_1) | instskip(NEXT) | instid1(VALU_DEP_1)
	v_add_f32_e32 v56, v56, v132
	v_add_f32_e32 v56, v56, v133
	s_delay_alu instid0(VALU_DEP_1)
	v_sub_f32_e32 v59, v117, v56
	scratch_store_b64 off, v[58:59], off offset:88
	v_cmpx_lt_u32_e32 10, v0
	s_cbranch_execz .LBB90_155
; %bb.154:
	scratch_load_b64 v[58:59], off, off offset:80
	v_mov_b32_e32 v56, v55
	scratch_store_b64 off, v[55:56], off offset:80
	s_wait_loadcnt 0x0
	ds_store_b64 v57, v[58:59]
.LBB90_155:
	s_wait_alu 0xfffe
	s_or_b32 exec_lo, exec_lo, s0
	s_wait_storecnt_dscnt 0x0
	s_barrier_signal -1
	s_barrier_wait -1
	global_inv scope:SCOPE_SE
	s_clause 0x8
	scratch_load_b128 v[58:61], off, off offset:88
	scratch_load_b128 v[62:65], off, off offset:104
	;; [unrolled: 1-line block ×8, first 2 shown]
	scratch_load_b64 v[122:123], off, off offset:80
	ds_load_2addr_b64 v[90:93], v55 offset0:39 offset1:40
	ds_load_2addr_b64 v[94:97], v55 offset0:41 offset1:42
	;; [unrolled: 1-line block ×8, first 2 shown]
	s_mov_b32 s0, exec_lo
	s_wait_loadcnt_dscnt 0x807
	v_dual_mul_f32 v55, v90, v59 :: v_dual_mul_f32 v56, v92, v61
	v_mul_f32_e32 v59, v91, v59
	s_wait_loadcnt_dscnt 0x706
	v_dual_mul_f32 v61, v93, v61 :: v_dual_mul_f32 v124, v94, v63
	s_delay_alu instid0(VALU_DEP_3) | instskip(NEXT) | instid1(VALU_DEP_3)
	v_dual_mul_f32 v125, v96, v65 :: v_dual_fmac_f32 v56, v93, v60
	v_fma_f32 v59, v90, v58, -v59
	v_fmac_f32_e32 v55, v91, v58
	v_mul_f32_e32 v58, v95, v63
	v_fma_f32 v60, v92, v60, -v61
	v_mul_f32_e32 v61, v97, v65
	v_dual_add_f32 v59, 0, v59 :: v_dual_fmac_f32 v124, v95, v62
	s_delay_alu instid0(VALU_DEP_4) | instskip(SKIP_2) | instid1(VALU_DEP_3)
	v_fma_f32 v58, v94, v62, -v58
	s_wait_loadcnt_dscnt 0x605
	v_dual_mul_f32 v126, v98, v67 :: v_dual_mul_f32 v127, v100, v69
	v_add_f32_e32 v59, v59, v60
	v_fmac_f32_e32 v125, v97, v64
	v_fma_f32 v60, v96, v64, -v61
	s_wait_loadcnt_dscnt 0x504
	v_dual_mul_f32 v128, v102, v71 :: v_dual_mul_f32 v129, v104, v73
	v_dual_add_f32 v58, v59, v58 :: v_dual_mul_f32 v59, v101, v69
	v_fmac_f32_e32 v126, v99, v66
	s_wait_loadcnt_dscnt 0x403
	v_dual_mul_f32 v130, v106, v75 :: v_dual_mul_f32 v131, v108, v77
	s_delay_alu instid0(VALU_DEP_3) | instskip(SKIP_3) | instid1(VALU_DEP_4)
	v_dual_add_f32 v58, v58, v60 :: v_dual_add_f32 v55, 0, v55
	v_mul_f32_e32 v60, v103, v71
	v_fma_f32 v59, v100, v68, -v59
	v_dual_fmac_f32 v127, v101, v68 :: v_dual_fmac_f32 v128, v103, v70
	v_add_f32_e32 v55, v55, v56
	v_mul_f32_e32 v56, v99, v67
	v_fma_f32 v60, v102, v70, -v60
	v_dual_fmac_f32 v129, v105, v72 :: v_dual_fmac_f32 v130, v107, v74
	s_wait_loadcnt_dscnt 0x302
	v_dual_mul_f32 v132, v110, v79 :: v_dual_mul_f32 v133, v112, v81
	v_fma_f32 v56, v98, v66, -v56
	s_wait_loadcnt_dscnt 0x201
	v_dual_mul_f32 v134, v114, v83 :: v_dual_mul_f32 v135, v116, v85
	s_wait_loadcnt_dscnt 0x100
	v_dual_mul_f32 v136, v118, v87 :: v_dual_mul_f32 v137, v120, v89
	v_add_f32_e32 v56, v58, v56
	v_mul_f32_e32 v58, v105, v73
	v_dual_fmac_f32 v134, v115, v82 :: v_dual_fmac_f32 v135, v117, v84
	s_delay_alu instid0(VALU_DEP_4) | instskip(NEXT) | instid1(VALU_DEP_4)
	v_dual_fmac_f32 v136, v119, v86 :: v_dual_fmac_f32 v137, v121, v88
	v_dual_add_f32 v56, v56, v59 :: v_dual_add_f32 v55, v55, v124
	v_mul_f32_e32 v59, v107, v75
	v_fma_f32 v58, v104, v72, -v58
	v_fmac_f32_e32 v131, v109, v76
	s_delay_alu instid0(VALU_DEP_4)
	v_add_f32_e32 v56, v56, v60
	v_mul_f32_e32 v60, v109, v77
	v_add_f32_e32 v55, v55, v125
	v_fma_f32 v59, v106, v74, -v59
	v_fmac_f32_e32 v132, v111, v78
	v_add_f32_e32 v56, v56, v58
	v_mul_f32_e32 v58, v111, v79
	v_add_f32_e32 v55, v55, v126
	v_fma_f32 v60, v108, v76, -v60
	s_delay_alu instid0(VALU_DEP_4) | instskip(SKIP_1) | instid1(VALU_DEP_4)
	v_dual_fmac_f32 v133, v113, v80 :: v_dual_add_f32 v56, v56, v59
	v_mul_f32_e32 v59, v113, v81
	v_add_f32_e32 v55, v55, v127
	v_fma_f32 v58, v110, v78, -v58
	s_delay_alu instid0(VALU_DEP_4) | instskip(NEXT) | instid1(VALU_DEP_4)
	v_add_f32_e32 v56, v56, v60
	v_fma_f32 v59, v112, v80, -v59
	s_delay_alu instid0(VALU_DEP_4) | instskip(SKIP_1) | instid1(VALU_DEP_4)
	v_add_f32_e32 v55, v55, v128
	v_mul_f32_e32 v60, v115, v83
	v_add_f32_e32 v56, v56, v58
	v_mul_f32_e32 v58, v117, v85
	s_delay_alu instid0(VALU_DEP_4) | instskip(NEXT) | instid1(VALU_DEP_4)
	v_add_f32_e32 v55, v55, v129
	v_fma_f32 v60, v114, v82, -v60
	s_delay_alu instid0(VALU_DEP_4) | instskip(SKIP_1) | instid1(VALU_DEP_4)
	v_add_f32_e32 v56, v56, v59
	v_mul_f32_e32 v59, v119, v87
	v_add_f32_e32 v55, v55, v130
	v_fma_f32 v58, v116, v84, -v58
	s_delay_alu instid0(VALU_DEP_4) | instskip(NEXT) | instid1(VALU_DEP_3)
	v_add_f32_e32 v56, v56, v60
	v_dual_mul_f32 v60, v121, v89 :: v_dual_add_f32 v55, v55, v131
	v_fma_f32 v59, v118, v86, -v59
	s_delay_alu instid0(VALU_DEP_3) | instskip(NEXT) | instid1(VALU_DEP_3)
	v_add_f32_e32 v56, v56, v58
	v_fma_f32 v58, v120, v88, -v60
	s_delay_alu instid0(VALU_DEP_2) | instskip(NEXT) | instid1(VALU_DEP_1)
	v_dual_add_f32 v55, v55, v132 :: v_dual_add_f32 v56, v56, v59
	v_dual_add_f32 v55, v55, v133 :: v_dual_add_f32 v56, v56, v58
	s_delay_alu instid0(VALU_DEP_1) | instskip(NEXT) | instid1(VALU_DEP_1)
	v_add_f32_e32 v55, v55, v134
	v_add_f32_e32 v55, v55, v135
	s_delay_alu instid0(VALU_DEP_1) | instskip(SKIP_1) | instid1(VALU_DEP_1)
	v_add_f32_e32 v55, v55, v136
	s_wait_loadcnt 0x0
	v_dual_add_f32 v58, v55, v137 :: v_dual_sub_f32 v55, v122, v56
	s_delay_alu instid0(VALU_DEP_1)
	v_sub_f32_e32 v56, v123, v58
	scratch_store_b64 off, v[55:56], off offset:80
	v_cmpx_lt_u32_e32 9, v0
	s_cbranch_execz .LBB90_157
; %bb.156:
	scratch_load_b64 v[55:56], off, off offset:72
	v_mov_b32_e32 v58, 0
	s_delay_alu instid0(VALU_DEP_1)
	v_mov_b32_e32 v59, v58
	scratch_store_b64 off, v[58:59], off offset:72
	s_wait_loadcnt 0x0
	ds_store_b64 v57, v[55:56]
.LBB90_157:
	s_wait_alu 0xfffe
	s_or_b32 exec_lo, exec_lo, s0
	s_wait_storecnt_dscnt 0x0
	s_barrier_signal -1
	s_barrier_wait -1
	global_inv scope:SCOPE_SE
	s_clause 0x9
	scratch_load_b128 v[58:61], off, off offset:80
	scratch_load_b128 v[62:65], off, off offset:96
	;; [unrolled: 1-line block ×8, first 2 shown]
	scratch_load_b64 v[122:123], off, off offset:208
	scratch_load_b64 v[124:125], off, off offset:72
	v_mov_b32_e32 v55, 0
	ds_load_b128 v[90:93], v55 offset:304
	ds_load_b128 v[94:97], v55 offset:320
	;; [unrolled: 1-line block ×8, first 2 shown]
	ds_load_b64 v[126:127], v55 offset:432
	s_mov_b32 s0, exec_lo
	s_wait_loadcnt_dscnt 0x908
	v_mul_f32_e32 v56, v90, v59
	s_wait_loadcnt_dscnt 0x807
	v_dual_mul_f32 v128, v92, v61 :: v_dual_mul_f32 v129, v94, v63
	v_mul_f32_e32 v59, v91, v59
	s_delay_alu instid0(VALU_DEP_3)
	v_dual_mul_f32 v61, v93, v61 :: v_dual_fmac_f32 v56, v91, v58
	s_wait_loadcnt_dscnt 0x302
	v_mul_f32_e32 v140, v116, v85
	v_dual_mul_f32 v130, v96, v65 :: v_dual_mul_f32 v131, v98, v67
	s_wait_loadcnt_dscnt 0x100
	v_mul_f32_e32 v143, v126, v123
	v_fma_f32 v59, v90, v58, -v59
	v_mul_f32_e32 v58, v95, v63
	v_fmac_f32_e32 v128, v93, v60
	v_fma_f32 v60, v92, v60, -v61
	v_dual_add_f32 v56, 0, v56 :: v_dual_mul_f32 v61, v97, v65
	v_add_f32_e32 v59, 0, v59
	v_fmac_f32_e32 v129, v95, v62
	v_fma_f32 v58, v94, v62, -v58
	s_delay_alu instid0(VALU_DEP_4)
	v_add_f32_e32 v56, v56, v128
	v_fma_f32 v61, v96, v64, -v61
	v_add_f32_e32 v59, v59, v60
	v_mul_f32_e32 v60, v99, v67
	v_dual_mul_f32 v134, v104, v73 :: v_dual_mul_f32 v135, v106, v75
	v_add_f32_e32 v56, v56, v129
	s_delay_alu instid0(VALU_DEP_4) | instskip(NEXT) | instid1(VALU_DEP_4)
	v_dual_add_f32 v58, v59, v58 :: v_dual_mul_f32 v59, v101, v69
	v_fma_f32 v60, v98, v66, -v60
	v_dual_mul_f32 v136, v108, v77 :: v_dual_mul_f32 v137, v110, v79
	s_delay_alu instid0(VALU_DEP_3) | instskip(NEXT) | instid1(VALU_DEP_4)
	v_dual_add_f32 v58, v58, v61 :: v_dual_mul_f32 v61, v103, v71
	v_fma_f32 v59, v100, v68, -v59
	v_dual_mul_f32 v138, v112, v81 :: v_dual_mul_f32 v139, v114, v83
	s_delay_alu instid0(VALU_DEP_3) | instskip(SKIP_3) | instid1(VALU_DEP_4)
	v_dual_add_f32 v58, v58, v60 :: v_dual_fmac_f32 v135, v107, v74
	v_dual_fmac_f32 v130, v97, v64 :: v_dual_fmac_f32 v131, v99, v66
	v_dual_mul_f32 v60, v105, v73 :: v_dual_fmac_f32 v137, v111, v78
	v_fma_f32 v61, v102, v70, -v61
	v_dual_add_f32 v58, v58, v59 :: v_dual_fmac_f32 v139, v115, v82
	v_dual_mul_f32 v141, v118, v87 :: v_dual_mul_f32 v142, v120, v89
	v_dual_add_f32 v56, v56, v130 :: v_dual_mul_f32 v59, v107, v75
	v_fma_f32 v60, v104, v72, -v60
	s_delay_alu instid0(VALU_DEP_3) | instskip(SKIP_3) | instid1(VALU_DEP_4)
	v_dual_add_f32 v58, v58, v61 :: v_dual_fmac_f32 v141, v119, v86
	v_dual_mul_f32 v132, v100, v69 :: v_dual_mul_f32 v133, v102, v71
	v_mul_f32_e32 v61, v109, v77
	v_fma_f32 v59, v106, v74, -v59
	v_add_f32_e32 v58, v58, v60
	s_delay_alu instid0(VALU_DEP_4) | instskip(SKIP_4) | instid1(VALU_DEP_4)
	v_dual_fmac_f32 v132, v101, v68 :: v_dual_fmac_f32 v133, v103, v70
	v_add_f32_e32 v56, v56, v131
	v_mul_f32_e32 v60, v111, v79
	v_fma_f32 v61, v108, v76, -v61
	v_dual_add_f32 v58, v58, v59 :: v_dual_mul_f32 v59, v113, v81
	v_add_f32_e32 v56, v56, v132
	s_delay_alu instid0(VALU_DEP_4) | instskip(SKIP_1) | instid1(VALU_DEP_4)
	v_fma_f32 v60, v110, v78, -v60
	v_fmac_f32_e32 v134, v105, v72
	v_dual_add_f32 v58, v58, v61 :: v_dual_mul_f32 v61, v115, v83
	s_delay_alu instid0(VALU_DEP_4) | instskip(SKIP_1) | instid1(VALU_DEP_3)
	v_dual_add_f32 v56, v56, v133 :: v_dual_fmac_f32 v143, v127, v122
	v_fma_f32 v59, v112, v80, -v59
	v_add_f32_e32 v58, v58, v60
	v_fmac_f32_e32 v136, v109, v76
	v_fmac_f32_e32 v138, v113, v80
	v_mul_f32_e32 v60, v117, v85
	v_fma_f32 v61, v114, v82, -v61
	v_add_f32_e32 v58, v58, v59
	v_dual_mul_f32 v59, v119, v87 :: v_dual_add_f32 v56, v56, v134
	v_fmac_f32_e32 v140, v117, v84
	v_fma_f32 v60, v116, v84, -v60
	s_delay_alu instid0(VALU_DEP_4) | instskip(NEXT) | instid1(VALU_DEP_4)
	v_add_f32_e32 v58, v58, v61
	v_dual_mul_f32 v61, v121, v89 :: v_dual_add_f32 v56, v56, v135
	v_fma_f32 v59, v118, v86, -v59
	v_fmac_f32_e32 v142, v121, v88
	s_delay_alu instid0(VALU_DEP_4) | instskip(SKIP_3) | instid1(VALU_DEP_4)
	v_add_f32_e32 v58, v58, v60
	v_mul_f32_e32 v60, v127, v123
	v_add_f32_e32 v56, v56, v136
	v_fma_f32 v61, v120, v88, -v61
	v_add_f32_e32 v58, v58, v59
	s_delay_alu instid0(VALU_DEP_4) | instskip(NEXT) | instid1(VALU_DEP_4)
	v_fma_f32 v59, v126, v122, -v60
	v_add_f32_e32 v56, v56, v137
	s_delay_alu instid0(VALU_DEP_3) | instskip(NEXT) | instid1(VALU_DEP_2)
	v_add_f32_e32 v58, v58, v61
	v_add_f32_e32 v56, v56, v138
	s_delay_alu instid0(VALU_DEP_2) | instskip(NEXT) | instid1(VALU_DEP_2)
	v_add_f32_e32 v58, v58, v59
	v_add_f32_e32 v56, v56, v139
	s_wait_loadcnt 0x0
	s_delay_alu instid0(VALU_DEP_2) | instskip(NEXT) | instid1(VALU_DEP_2)
	v_sub_f32_e32 v58, v124, v58
	v_add_f32_e32 v56, v56, v140
	s_delay_alu instid0(VALU_DEP_1) | instskip(NEXT) | instid1(VALU_DEP_1)
	v_add_f32_e32 v56, v56, v141
	v_add_f32_e32 v56, v56, v142
	s_delay_alu instid0(VALU_DEP_1) | instskip(NEXT) | instid1(VALU_DEP_1)
	v_add_f32_e32 v56, v56, v143
	v_sub_f32_e32 v59, v125, v56
	scratch_store_b64 off, v[58:59], off offset:72
	v_cmpx_lt_u32_e32 8, v0
	s_cbranch_execz .LBB90_159
; %bb.158:
	scratch_load_b64 v[58:59], off, off offset:64
	v_mov_b32_e32 v56, v55
	scratch_store_b64 off, v[55:56], off offset:64
	s_wait_loadcnt 0x0
	ds_store_b64 v57, v[58:59]
.LBB90_159:
	s_wait_alu 0xfffe
	s_or_b32 exec_lo, exec_lo, s0
	s_wait_storecnt_dscnt 0x0
	s_barrier_signal -1
	s_barrier_wait -1
	global_inv scope:SCOPE_SE
	s_clause 0x9
	scratch_load_b128 v[58:61], off, off offset:72
	scratch_load_b128 v[62:65], off, off offset:88
	;; [unrolled: 1-line block ×9, first 2 shown]
	scratch_load_b64 v[130:131], off, off offset:64
	ds_load_2addr_b64 v[94:97], v55 offset0:37 offset1:38
	ds_load_2addr_b64 v[98:101], v55 offset0:39 offset1:40
	;; [unrolled: 1-line block ×9, first 2 shown]
	s_mov_b32 s0, exec_lo
	s_wait_loadcnt_dscnt 0x908
	v_dual_mul_f32 v55, v94, v59 :: v_dual_mul_f32 v56, v96, v61
	v_mul_f32_e32 v59, v95, v59
	s_wait_loadcnt_dscnt 0x807
	v_dual_mul_f32 v61, v97, v61 :: v_dual_mul_f32 v132, v98, v63
	s_delay_alu instid0(VALU_DEP_3) | instskip(NEXT) | instid1(VALU_DEP_3)
	v_dual_mul_f32 v133, v100, v65 :: v_dual_fmac_f32 v56, v97, v60
	v_fma_f32 v59, v94, v58, -v59
	v_fmac_f32_e32 v55, v95, v58
	v_mul_f32_e32 v58, v99, v63
	v_fma_f32 v60, v96, v60, -v61
	v_mul_f32_e32 v61, v101, v65
	v_dual_add_f32 v59, 0, v59 :: v_dual_fmac_f32 v132, v99, v62
	s_delay_alu instid0(VALU_DEP_4) | instskip(SKIP_2) | instid1(VALU_DEP_3)
	v_fma_f32 v58, v98, v62, -v58
	s_wait_loadcnt_dscnt 0x706
	v_dual_mul_f32 v134, v102, v67 :: v_dual_mul_f32 v135, v104, v69
	v_add_f32_e32 v59, v59, v60
	v_fmac_f32_e32 v133, v101, v64
	v_fma_f32 v60, v100, v64, -v61
	s_wait_loadcnt_dscnt 0x605
	v_dual_mul_f32 v136, v106, v71 :: v_dual_mul_f32 v137, v108, v73
	v_dual_add_f32 v58, v59, v58 :: v_dual_mul_f32 v59, v105, v69
	v_fmac_f32_e32 v134, v103, v66
	s_wait_loadcnt_dscnt 0x504
	v_dual_mul_f32 v138, v110, v75 :: v_dual_mul_f32 v139, v112, v77
	s_delay_alu instid0(VALU_DEP_3) | instskip(SKIP_3) | instid1(VALU_DEP_4)
	v_dual_add_f32 v58, v58, v60 :: v_dual_add_f32 v55, 0, v55
	v_mul_f32_e32 v60, v107, v71
	v_fma_f32 v59, v104, v68, -v59
	v_dual_fmac_f32 v135, v105, v68 :: v_dual_fmac_f32 v136, v107, v70
	v_add_f32_e32 v55, v55, v56
	v_mul_f32_e32 v56, v103, v67
	v_fma_f32 v60, v106, v70, -v60
	v_dual_fmac_f32 v137, v109, v72 :: v_dual_fmac_f32 v138, v111, v74
	s_wait_loadcnt_dscnt 0x403
	v_dual_mul_f32 v140, v114, v79 :: v_dual_mul_f32 v141, v116, v81
	v_fma_f32 v56, v102, v66, -v56
	s_wait_loadcnt_dscnt 0x302
	v_dual_mul_f32 v142, v118, v83 :: v_dual_mul_f32 v143, v120, v85
	s_wait_loadcnt_dscnt 0x201
	v_dual_mul_f32 v144, v122, v87 :: v_dual_mul_f32 v145, v124, v89
	v_add_f32_e32 v56, v58, v56
	v_mul_f32_e32 v58, v109, v73
	v_dual_fmac_f32 v142, v119, v82 :: v_dual_fmac_f32 v143, v121, v84
	s_delay_alu instid0(VALU_DEP_4) | instskip(NEXT) | instid1(VALU_DEP_4)
	v_dual_fmac_f32 v144, v123, v86 :: v_dual_fmac_f32 v145, v125, v88
	v_dual_add_f32 v56, v56, v59 :: v_dual_add_f32 v55, v55, v132
	v_mul_f32_e32 v59, v111, v75
	v_fma_f32 v58, v108, v72, -v58
	v_fmac_f32_e32 v139, v113, v76
	s_delay_alu instid0(VALU_DEP_4)
	v_add_f32_e32 v56, v56, v60
	v_mul_f32_e32 v60, v113, v77
	v_add_f32_e32 v55, v55, v133
	v_fma_f32 v59, v110, v74, -v59
	v_fmac_f32_e32 v140, v115, v78
	v_add_f32_e32 v56, v56, v58
	v_mul_f32_e32 v58, v115, v79
	v_add_f32_e32 v55, v55, v134
	v_fma_f32 v60, v112, v76, -v60
	s_delay_alu instid0(VALU_DEP_4) | instskip(SKIP_1) | instid1(VALU_DEP_4)
	v_dual_fmac_f32 v141, v117, v80 :: v_dual_add_f32 v56, v56, v59
	v_mul_f32_e32 v59, v117, v81
	v_add_f32_e32 v55, v55, v135
	v_fma_f32 v58, v114, v78, -v58
	s_wait_loadcnt_dscnt 0x100
	v_dual_mul_f32 v146, v126, v91 :: v_dual_mul_f32 v147, v128, v93
	v_add_f32_e32 v56, v56, v60
	v_add_f32_e32 v55, v55, v136
	v_fma_f32 v59, v116, v80, -v59
	v_mul_f32_e32 v60, v119, v83
	v_dual_fmac_f32 v146, v127, v90 :: v_dual_fmac_f32 v147, v129, v92
	s_delay_alu instid0(VALU_DEP_4) | instskip(SKIP_1) | instid1(VALU_DEP_4)
	v_dual_add_f32 v56, v56, v58 :: v_dual_add_f32 v55, v55, v137
	v_mul_f32_e32 v58, v121, v85
	v_fma_f32 v60, v118, v82, -v60
	s_delay_alu instid0(VALU_DEP_3) | instskip(SKIP_1) | instid1(VALU_DEP_4)
	v_dual_add_f32 v56, v56, v59 :: v_dual_add_f32 v55, v55, v138
	v_mul_f32_e32 v59, v123, v87
	v_fma_f32 v58, v120, v84, -v58
	s_delay_alu instid0(VALU_DEP_3) | instskip(SKIP_1) | instid1(VALU_DEP_4)
	;; [unrolled: 4-line block ×4, first 2 shown]
	v_dual_add_f32 v56, v56, v59 :: v_dual_add_f32 v55, v55, v141
	v_mul_f32_e32 v59, v129, v93
	v_fma_f32 v58, v126, v90, -v58
	s_delay_alu instid0(VALU_DEP_3) | instskip(NEXT) | instid1(VALU_DEP_3)
	v_dual_add_f32 v56, v56, v60 :: v_dual_add_f32 v55, v55, v142
	v_fma_f32 v59, v128, v92, -v59
	s_delay_alu instid0(VALU_DEP_2) | instskip(NEXT) | instid1(VALU_DEP_1)
	v_dual_add_f32 v56, v56, v58 :: v_dual_add_f32 v55, v55, v143
	v_dual_add_f32 v56, v56, v59 :: v_dual_add_f32 v55, v55, v144
	s_delay_alu instid0(VALU_DEP_1) | instskip(NEXT) | instid1(VALU_DEP_1)
	v_add_f32_e32 v55, v55, v145
	v_add_f32_e32 v55, v55, v146
	s_wait_loadcnt 0x0
	s_delay_alu instid0(VALU_DEP_1) | instskip(NEXT) | instid1(VALU_DEP_1)
	v_dual_add_f32 v58, v55, v147 :: v_dual_sub_f32 v55, v130, v56
	v_sub_f32_e32 v56, v131, v58
	scratch_store_b64 off, v[55:56], off offset:64
	v_cmpx_lt_u32_e32 7, v0
	s_cbranch_execz .LBB90_161
; %bb.160:
	scratch_load_b64 v[55:56], off, off offset:56
	v_mov_b32_e32 v58, 0
	s_delay_alu instid0(VALU_DEP_1)
	v_mov_b32_e32 v59, v58
	scratch_store_b64 off, v[58:59], off offset:56
	s_wait_loadcnt 0x0
	ds_store_b64 v57, v[55:56]
.LBB90_161:
	s_wait_alu 0xfffe
	s_or_b32 exec_lo, exec_lo, s0
	s_wait_storecnt_dscnt 0x0
	s_barrier_signal -1
	s_barrier_wait -1
	global_inv scope:SCOPE_SE
	s_clause 0xa
	scratch_load_b128 v[58:61], off, off offset:64
	scratch_load_b128 v[62:65], off, off offset:80
	;; [unrolled: 1-line block ×9, first 2 shown]
	scratch_load_b64 v[130:131], off, off offset:208
	scratch_load_b64 v[132:133], off, off offset:56
	v_mov_b32_e32 v55, 0
	ds_load_b128 v[94:97], v55 offset:288
	ds_load_b128 v[98:101], v55 offset:304
	ds_load_b128 v[102:105], v55 offset:320
	ds_load_b128 v[106:109], v55 offset:336
	ds_load_b128 v[110:113], v55 offset:352
	ds_load_b128 v[114:117], v55 offset:368
	ds_load_b128 v[118:121], v55 offset:384
	ds_load_b128 v[122:125], v55 offset:400
	ds_load_b128 v[126:129], v55 offset:416
	ds_load_b64 v[134:135], v55 offset:432
	s_mov_b32 s0, exec_lo
	s_wait_loadcnt_dscnt 0xa09
	v_mul_f32_e32 v56, v94, v59
	s_wait_loadcnt_dscnt 0x908
	v_dual_mul_f32 v136, v96, v61 :: v_dual_mul_f32 v137, v98, v63
	v_mul_f32_e32 v59, v95, v59
	s_delay_alu instid0(VALU_DEP_3)
	v_dual_mul_f32 v61, v97, v61 :: v_dual_fmac_f32 v56, v95, v58
	s_wait_loadcnt_dscnt 0x807
	v_dual_mul_f32 v138, v100, v65 :: v_dual_mul_f32 v139, v102, v67
	s_wait_loadcnt_dscnt 0x100
	v_dual_mul_f32 v150, v124, v89 :: v_dual_mul_f32 v153, v134, v131
	v_fma_f32 v59, v94, v58, -v59
	v_mul_f32_e32 v58, v99, v63
	v_fmac_f32_e32 v136, v97, v60
	v_fma_f32 v60, v96, v60, -v61
	v_dual_add_f32 v56, 0, v56 :: v_dual_mul_f32 v61, v101, v65
	v_add_f32_e32 v59, 0, v59
	v_fmac_f32_e32 v137, v99, v62
	v_fma_f32 v58, v98, v62, -v58
	s_delay_alu instid0(VALU_DEP_4)
	v_add_f32_e32 v56, v56, v136
	v_fma_f32 v61, v100, v64, -v61
	v_add_f32_e32 v59, v59, v60
	v_mul_f32_e32 v60, v103, v67
	v_dual_mul_f32 v142, v108, v73 :: v_dual_mul_f32 v143, v110, v75
	v_add_f32_e32 v56, v56, v137
	s_delay_alu instid0(VALU_DEP_4) | instskip(NEXT) | instid1(VALU_DEP_4)
	v_dual_add_f32 v58, v59, v58 :: v_dual_mul_f32 v59, v105, v69
	v_fma_f32 v60, v102, v66, -v60
	v_dual_mul_f32 v144, v112, v77 :: v_dual_mul_f32 v145, v114, v79
	s_delay_alu instid0(VALU_DEP_3) | instskip(NEXT) | instid1(VALU_DEP_4)
	v_dual_add_f32 v58, v58, v61 :: v_dual_mul_f32 v61, v107, v71
	v_fma_f32 v59, v104, v68, -v59
	v_dual_mul_f32 v146, v116, v81 :: v_dual_mul_f32 v147, v118, v83
	s_delay_alu instid0(VALU_DEP_3) | instskip(SKIP_3) | instid1(VALU_DEP_4)
	v_dual_add_f32 v58, v58, v60 :: v_dual_fmac_f32 v143, v111, v74
	v_dual_fmac_f32 v138, v101, v64 :: v_dual_fmac_f32 v139, v103, v66
	v_dual_mul_f32 v60, v109, v73 :: v_dual_fmac_f32 v145, v115, v78
	v_fma_f32 v61, v106, v70, -v61
	v_dual_add_f32 v58, v58, v59 :: v_dual_fmac_f32 v147, v119, v82
	v_dual_mul_f32 v148, v120, v85 :: v_dual_mul_f32 v149, v122, v87
	v_dual_add_f32 v56, v56, v138 :: v_dual_mul_f32 v59, v111, v75
	v_fma_f32 v60, v108, v72, -v60
	s_delay_alu instid0(VALU_DEP_3) | instskip(SKIP_1) | instid1(VALU_DEP_4)
	v_dual_add_f32 v58, v58, v61 :: v_dual_fmac_f32 v149, v123, v86
	v_mul_f32_e32 v61, v113, v77
	v_fma_f32 v59, v110, v74, -v59
	v_dual_mul_f32 v140, v104, v69 :: v_dual_mul_f32 v141, v106, v71
	s_delay_alu instid0(VALU_DEP_4) | instskip(SKIP_2) | instid1(VALU_DEP_4)
	v_add_f32_e32 v58, v58, v60
	v_mul_f32_e32 v60, v115, v79
	v_fma_f32 v61, v112, v76, -v61
	v_dual_fmac_f32 v140, v105, v68 :: v_dual_fmac_f32 v141, v107, v70
	s_delay_alu instid0(VALU_DEP_4) | instskip(SKIP_2) | instid1(VALU_DEP_3)
	v_dual_add_f32 v58, v58, v59 :: v_dual_fmac_f32 v153, v135, v130
	v_dual_add_f32 v56, v56, v139 :: v_dual_mul_f32 v59, v117, v81
	v_fma_f32 v60, v114, v78, -v60
	v_dual_add_f32 v58, v58, v61 :: v_dual_mul_f32 v61, v119, v83
	s_delay_alu instid0(VALU_DEP_3) | instskip(NEXT) | instid1(VALU_DEP_4)
	v_add_f32_e32 v56, v56, v140
	v_fma_f32 v59, v116, v80, -v59
	v_dual_mul_f32 v151, v126, v91 :: v_dual_mul_f32 v152, v128, v93
	s_delay_alu instid0(VALU_DEP_4)
	v_add_f32_e32 v58, v58, v60
	v_mul_f32_e32 v60, v121, v85
	v_fma_f32 v61, v118, v82, -v61
	v_fmac_f32_e32 v142, v109, v72
	v_dual_add_f32 v56, v56, v141 :: v_dual_fmac_f32 v151, v127, v90
	v_add_f32_e32 v58, v58, v59
	v_mul_f32_e32 v59, v123, v87
	v_fma_f32 v60, v120, v84, -v60
	s_delay_alu instid0(VALU_DEP_4)
	v_add_f32_e32 v56, v56, v142
	v_fmac_f32_e32 v144, v113, v76
	v_add_f32_e32 v58, v58, v61
	v_mul_f32_e32 v61, v125, v89
	v_fma_f32 v59, v122, v86, -v59
	v_fmac_f32_e32 v146, v117, v80
	v_fmac_f32_e32 v148, v121, v84
	v_add_f32_e32 v58, v58, v60
	v_fma_f32 v61, v124, v88, -v61
	v_mul_f32_e32 v60, v127, v91
	v_fmac_f32_e32 v150, v125, v88
	v_fmac_f32_e32 v152, v129, v92
	v_dual_add_f32 v58, v58, v59 :: v_dual_mul_f32 v59, v129, v93
	v_add_f32_e32 v56, v56, v143
	v_fma_f32 v60, v126, v90, -v60
	s_delay_alu instid0(VALU_DEP_3) | instskip(NEXT) | instid1(VALU_DEP_3)
	v_dual_add_f32 v58, v58, v61 :: v_dual_mul_f32 v61, v135, v131
	v_add_f32_e32 v56, v56, v144
	v_fma_f32 v59, v128, v92, -v59
	s_delay_alu instid0(VALU_DEP_3) | instskip(NEXT) | instid1(VALU_DEP_4)
	v_add_f32_e32 v58, v58, v60
	v_fma_f32 v60, v134, v130, -v61
	s_delay_alu instid0(VALU_DEP_4) | instskip(NEXT) | instid1(VALU_DEP_3)
	v_add_f32_e32 v56, v56, v145
	v_add_f32_e32 v58, v58, v59
	s_delay_alu instid0(VALU_DEP_2) | instskip(NEXT) | instid1(VALU_DEP_2)
	v_add_f32_e32 v56, v56, v146
	v_add_f32_e32 v58, v58, v60
	s_delay_alu instid0(VALU_DEP_2) | instskip(SKIP_1) | instid1(VALU_DEP_2)
	v_add_f32_e32 v56, v56, v147
	s_wait_loadcnt 0x0
	v_sub_f32_e32 v58, v132, v58
	s_delay_alu instid0(VALU_DEP_2) | instskip(NEXT) | instid1(VALU_DEP_1)
	v_add_f32_e32 v56, v56, v148
	v_add_f32_e32 v56, v56, v149
	s_delay_alu instid0(VALU_DEP_1) | instskip(NEXT) | instid1(VALU_DEP_1)
	v_add_f32_e32 v56, v56, v150
	v_add_f32_e32 v56, v56, v151
	s_delay_alu instid0(VALU_DEP_1) | instskip(NEXT) | instid1(VALU_DEP_1)
	v_add_f32_e32 v56, v56, v152
	v_add_f32_e32 v56, v56, v153
	s_delay_alu instid0(VALU_DEP_1)
	v_sub_f32_e32 v59, v133, v56
	scratch_store_b64 off, v[58:59], off offset:56
	v_cmpx_lt_u32_e32 6, v0
	s_cbranch_execz .LBB90_163
; %bb.162:
	scratch_load_b64 v[58:59], off, off offset:48
	v_mov_b32_e32 v56, v55
	scratch_store_b64 off, v[55:56], off offset:48
	s_wait_loadcnt 0x0
	ds_store_b64 v57, v[58:59]
.LBB90_163:
	s_wait_alu 0xfffe
	s_or_b32 exec_lo, exec_lo, s0
	s_wait_storecnt_dscnt 0x0
	s_barrier_signal -1
	s_barrier_wait -1
	global_inv scope:SCOPE_SE
	s_clause 0xa
	scratch_load_b128 v[58:61], off, off offset:56
	scratch_load_b128 v[62:65], off, off offset:72
	scratch_load_b128 v[66:69], off, off offset:88
	scratch_load_b128 v[70:73], off, off offset:104
	scratch_load_b128 v[74:77], off, off offset:120
	scratch_load_b128 v[78:81], off, off offset:136
	scratch_load_b128 v[82:85], off, off offset:152
	scratch_load_b128 v[86:89], off, off offset:168
	scratch_load_b128 v[90:93], off, off offset:184
	scratch_load_b128 v[94:97], off, off offset:200
	scratch_load_b64 v[138:139], off, off offset:48
	ds_load_2addr_b64 v[98:101], v55 offset0:35 offset1:36
	ds_load_2addr_b64 v[102:105], v55 offset0:37 offset1:38
	;; [unrolled: 1-line block ×10, first 2 shown]
	s_mov_b32 s0, exec_lo
	s_wait_loadcnt_dscnt 0xa09
	v_dual_mul_f32 v55, v98, v59 :: v_dual_mul_f32 v56, v100, v61
	v_mul_f32_e32 v59, v99, v59
	s_wait_loadcnt_dscnt 0x908
	v_dual_mul_f32 v61, v101, v61 :: v_dual_mul_f32 v140, v102, v63
	s_delay_alu instid0(VALU_DEP_3) | instskip(NEXT) | instid1(VALU_DEP_3)
	v_dual_mul_f32 v141, v104, v65 :: v_dual_fmac_f32 v56, v101, v60
	v_fma_f32 v59, v98, v58, -v59
	v_fmac_f32_e32 v55, v99, v58
	v_mul_f32_e32 v58, v103, v63
	v_fma_f32 v60, v100, v60, -v61
	v_mul_f32_e32 v61, v105, v65
	v_dual_add_f32 v59, 0, v59 :: v_dual_fmac_f32 v140, v103, v62
	s_delay_alu instid0(VALU_DEP_4) | instskip(SKIP_2) | instid1(VALU_DEP_3)
	v_fma_f32 v58, v102, v62, -v58
	s_wait_loadcnt_dscnt 0x807
	v_dual_mul_f32 v142, v106, v67 :: v_dual_mul_f32 v143, v108, v69
	v_add_f32_e32 v59, v59, v60
	v_fmac_f32_e32 v141, v105, v64
	v_fma_f32 v60, v104, v64, -v61
	s_wait_loadcnt_dscnt 0x706
	v_dual_mul_f32 v144, v110, v71 :: v_dual_mul_f32 v145, v112, v73
	v_dual_add_f32 v58, v59, v58 :: v_dual_mul_f32 v59, v109, v69
	v_fmac_f32_e32 v142, v107, v66
	s_wait_loadcnt_dscnt 0x605
	v_dual_mul_f32 v146, v114, v75 :: v_dual_mul_f32 v147, v116, v77
	s_delay_alu instid0(VALU_DEP_3) | instskip(SKIP_3) | instid1(VALU_DEP_4)
	v_dual_add_f32 v58, v58, v60 :: v_dual_add_f32 v55, 0, v55
	v_mul_f32_e32 v60, v111, v71
	v_fma_f32 v59, v108, v68, -v59
	v_dual_fmac_f32 v143, v109, v68 :: v_dual_fmac_f32 v144, v111, v70
	v_add_f32_e32 v55, v55, v56
	v_mul_f32_e32 v56, v107, v67
	v_fma_f32 v60, v110, v70, -v60
	v_dual_fmac_f32 v145, v113, v72 :: v_dual_fmac_f32 v146, v115, v74
	s_wait_loadcnt_dscnt 0x504
	v_dual_mul_f32 v148, v118, v79 :: v_dual_mul_f32 v149, v120, v81
	v_fma_f32 v56, v106, v66, -v56
	s_wait_loadcnt_dscnt 0x403
	v_dual_mul_f32 v150, v122, v83 :: v_dual_mul_f32 v151, v124, v85
	s_wait_loadcnt_dscnt 0x302
	v_dual_mul_f32 v152, v126, v87 :: v_dual_mul_f32 v153, v128, v89
	v_add_f32_e32 v56, v58, v56
	v_mul_f32_e32 v58, v113, v73
	v_dual_fmac_f32 v150, v123, v82 :: v_dual_fmac_f32 v151, v125, v84
	s_delay_alu instid0(VALU_DEP_4) | instskip(NEXT) | instid1(VALU_DEP_4)
	v_dual_fmac_f32 v152, v127, v86 :: v_dual_fmac_f32 v153, v129, v88
	v_dual_add_f32 v56, v56, v59 :: v_dual_add_f32 v55, v55, v140
	v_mul_f32_e32 v59, v115, v75
	v_fma_f32 v58, v112, v72, -v58
	v_fmac_f32_e32 v147, v117, v76
	s_delay_alu instid0(VALU_DEP_4)
	v_add_f32_e32 v56, v56, v60
	v_mul_f32_e32 v60, v117, v77
	v_add_f32_e32 v55, v55, v141
	v_fma_f32 v59, v114, v74, -v59
	v_fmac_f32_e32 v148, v119, v78
	v_add_f32_e32 v56, v56, v58
	v_mul_f32_e32 v58, v119, v79
	v_add_f32_e32 v55, v55, v142
	v_fma_f32 v60, v116, v76, -v60
	s_delay_alu instid0(VALU_DEP_4) | instskip(SKIP_1) | instid1(VALU_DEP_4)
	v_dual_fmac_f32 v149, v121, v80 :: v_dual_add_f32 v56, v56, v59
	v_mul_f32_e32 v59, v121, v81
	v_add_f32_e32 v55, v55, v143
	v_fma_f32 v58, v118, v78, -v58
	s_wait_loadcnt_dscnt 0x201
	v_dual_mul_f32 v154, v130, v91 :: v_dual_mul_f32 v155, v132, v93
	v_add_f32_e32 v56, v56, v60
	v_add_f32_e32 v55, v55, v144
	v_fma_f32 v59, v120, v80, -v59
	v_mul_f32_e32 v60, v123, v83
	s_wait_loadcnt_dscnt 0x100
	v_dual_mul_f32 v156, v134, v95 :: v_dual_mul_f32 v157, v136, v97
	v_dual_add_f32 v56, v56, v58 :: v_dual_add_f32 v55, v55, v145
	v_mul_f32_e32 v58, v125, v85
	v_fma_f32 v60, v122, v82, -v60
	v_dual_fmac_f32 v154, v131, v90 :: v_dual_fmac_f32 v155, v133, v92
	s_delay_alu instid0(VALU_DEP_4) | instskip(SKIP_3) | instid1(VALU_DEP_4)
	v_dual_add_f32 v56, v56, v59 :: v_dual_add_f32 v55, v55, v146
	v_mul_f32_e32 v59, v127, v87
	v_fma_f32 v58, v124, v84, -v58
	v_fmac_f32_e32 v157, v137, v96
	v_dual_add_f32 v56, v56, v60 :: v_dual_add_f32 v55, v55, v147
	v_mul_f32_e32 v60, v129, v89
	v_fma_f32 v59, v126, v86, -v59
	s_delay_alu instid0(VALU_DEP_3) | instskip(SKIP_1) | instid1(VALU_DEP_4)
	v_dual_add_f32 v56, v56, v58 :: v_dual_add_f32 v55, v55, v148
	v_mul_f32_e32 v58, v131, v91
	v_fma_f32 v60, v128, v88, -v60
	s_delay_alu instid0(VALU_DEP_3) | instskip(SKIP_1) | instid1(VALU_DEP_4)
	;; [unrolled: 4-line block ×4, first 2 shown]
	v_dual_add_f32 v56, v56, v58 :: v_dual_add_f32 v55, v55, v151
	v_mul_f32_e32 v58, v137, v97
	v_fma_f32 v60, v134, v94, -v60
	s_delay_alu instid0(VALU_DEP_3) | instskip(NEXT) | instid1(VALU_DEP_3)
	v_dual_add_f32 v56, v56, v59 :: v_dual_add_f32 v55, v55, v152
	v_fma_f32 v58, v136, v96, -v58
	s_delay_alu instid0(VALU_DEP_2) | instskip(NEXT) | instid1(VALU_DEP_1)
	v_dual_add_f32 v56, v56, v60 :: v_dual_add_f32 v55, v55, v153
	v_add_f32_e32 v56, v56, v58
	s_delay_alu instid0(VALU_DEP_2) | instskip(SKIP_1) | instid1(VALU_DEP_2)
	v_add_f32_e32 v55, v55, v154
	v_fmac_f32_e32 v156, v135, v94
	v_add_f32_e32 v55, v55, v155
	s_delay_alu instid0(VALU_DEP_1) | instskip(SKIP_1) | instid1(VALU_DEP_1)
	v_add_f32_e32 v55, v55, v156
	s_wait_loadcnt 0x0
	v_dual_add_f32 v58, v55, v157 :: v_dual_sub_f32 v55, v138, v56
	s_delay_alu instid0(VALU_DEP_1)
	v_sub_f32_e32 v56, v139, v58
	scratch_store_b64 off, v[55:56], off offset:48
	v_cmpx_lt_u32_e32 5, v0
	s_cbranch_execz .LBB90_165
; %bb.164:
	scratch_load_b64 v[55:56], off, off offset:40
	v_mov_b32_e32 v58, 0
	s_delay_alu instid0(VALU_DEP_1)
	v_mov_b32_e32 v59, v58
	scratch_store_b64 off, v[58:59], off offset:40
	s_wait_loadcnt 0x0
	ds_store_b64 v57, v[55:56]
.LBB90_165:
	s_wait_alu 0xfffe
	s_or_b32 exec_lo, exec_lo, s0
	s_wait_storecnt_dscnt 0x0
	s_barrier_signal -1
	s_barrier_wait -1
	global_inv scope:SCOPE_SE
	s_clause 0xb
	scratch_load_b128 v[58:61], off, off offset:48
	scratch_load_b128 v[62:65], off, off offset:64
	;; [unrolled: 1-line block ×10, first 2 shown]
	scratch_load_b64 v[138:139], off, off offset:208
	scratch_load_b64 v[140:141], off, off offset:40
	v_mov_b32_e32 v55, 0
	ds_load_b128 v[98:101], v55 offset:272
	ds_load_b128 v[102:105], v55 offset:288
	;; [unrolled: 1-line block ×10, first 2 shown]
	ds_load_b64 v[142:143], v55 offset:432
	s_mov_b32 s0, exec_lo
	s_wait_loadcnt_dscnt 0xb0a
	v_mul_f32_e32 v56, v98, v59
	s_wait_loadcnt_dscnt 0xa09
	v_dual_mul_f32 v144, v100, v61 :: v_dual_mul_f32 v145, v102, v63
	v_mul_f32_e32 v61, v101, v61
	v_dual_mul_f32 v59, v99, v59 :: v_dual_mul_f32 v146, v104, v65
	s_wait_loadcnt_dscnt 0x908
	v_dual_mul_f32 v147, v106, v67 :: v_dual_fmac_f32 v56, v99, v58
	s_wait_loadcnt_dscnt 0x302
	v_mul_f32_e32 v160, v132, v93
	v_fma_f32 v59, v98, v58, -v59
	s_wait_loadcnt_dscnt 0x100
	v_mul_f32_e32 v163, v142, v139
	v_mul_f32_e32 v58, v103, v63
	v_fmac_f32_e32 v144, v101, v60
	v_fma_f32 v60, v100, v60, -v61
	v_dual_add_f32 v59, 0, v59 :: v_dual_add_f32 v56, 0, v56
	v_mul_f32_e32 v61, v105, v65
	v_fmac_f32_e32 v145, v103, v62
	v_fma_f32 v58, v102, v62, -v58
	v_dual_mul_f32 v150, v112, v73 :: v_dual_mul_f32 v151, v114, v75
	v_add_f32_e32 v56, v56, v144
	v_add_f32_e32 v59, v59, v60
	v_mul_f32_e32 v60, v107, v67
	v_fma_f32 v61, v104, v64, -v61
	v_dual_mul_f32 v152, v116, v77 :: v_dual_mul_f32 v153, v118, v79
	v_add_f32_e32 v56, v56, v145
	v_dual_add_f32 v58, v59, v58 :: v_dual_mul_f32 v59, v109, v69
	v_fma_f32 v60, v106, v66, -v60
	v_dual_mul_f32 v154, v120, v81 :: v_dual_mul_f32 v155, v122, v83
	s_delay_alu instid0(VALU_DEP_3) | instskip(NEXT) | instid1(VALU_DEP_4)
	v_dual_add_f32 v58, v58, v61 :: v_dual_mul_f32 v61, v111, v71
	v_fma_f32 v59, v108, v68, -v59
	v_dual_fmac_f32 v146, v105, v64 :: v_dual_fmac_f32 v147, v107, v66
	s_delay_alu instid0(VALU_DEP_3) | instskip(SKIP_2) | instid1(VALU_DEP_3)
	v_dual_add_f32 v58, v58, v60 :: v_dual_fmac_f32 v151, v115, v74
	v_dual_mul_f32 v60, v113, v73 :: v_dual_fmac_f32 v153, v119, v78
	v_fma_f32 v61, v110, v70, -v61
	v_dual_add_f32 v58, v58, v59 :: v_dual_fmac_f32 v155, v123, v82
	v_dual_mul_f32 v156, v124, v85 :: v_dual_mul_f32 v157, v126, v87
	v_dual_add_f32 v56, v56, v146 :: v_dual_mul_f32 v59, v115, v75
	v_fma_f32 v60, v112, v72, -v60
	s_delay_alu instid0(VALU_DEP_3) | instskip(SKIP_1) | instid1(VALU_DEP_4)
	v_dual_add_f32 v58, v58, v61 :: v_dual_fmac_f32 v157, v127, v86
	v_mul_f32_e32 v61, v117, v77
	v_fma_f32 v59, v114, v74, -v59
	v_dual_mul_f32 v148, v108, v69 :: v_dual_mul_f32 v149, v110, v71
	s_delay_alu instid0(VALU_DEP_4) | instskip(SKIP_3) | instid1(VALU_DEP_3)
	v_add_f32_e32 v58, v58, v60
	v_dual_mul_f32 v161, v134, v95 :: v_dual_mul_f32 v162, v136, v97
	v_mul_f32_e32 v60, v119, v79
	v_fma_f32 v61, v116, v76, -v61
	v_dual_add_f32 v58, v58, v59 :: v_dual_fmac_f32 v161, v135, v94
	v_dual_fmac_f32 v148, v109, v68 :: v_dual_fmac_f32 v149, v111, v70
	v_dual_add_f32 v56, v56, v147 :: v_dual_mul_f32 v59, v121, v81
	v_fma_f32 v60, v118, v78, -v60
	s_delay_alu instid0(VALU_DEP_4) | instskip(NEXT) | instid1(VALU_DEP_3)
	v_dual_add_f32 v58, v58, v61 :: v_dual_mul_f32 v61, v123, v83
	v_add_f32_e32 v56, v56, v148
	s_delay_alu instid0(VALU_DEP_4) | instskip(SKIP_1) | instid1(VALU_DEP_4)
	v_fma_f32 v59, v120, v80, -v59
	v_dual_mul_f32 v158, v128, v89 :: v_dual_mul_f32 v159, v130, v91
	v_add_f32_e32 v58, v58, v60
	v_mul_f32_e32 v60, v125, v85
	v_fma_f32 v61, v122, v82, -v61
	v_fmac_f32_e32 v150, v113, v72
	v_dual_add_f32 v56, v56, v149 :: v_dual_fmac_f32 v159, v131, v90
	v_add_f32_e32 v58, v58, v59
	v_mul_f32_e32 v59, v127, v87
	v_fma_f32 v60, v124, v84, -v60
	s_delay_alu instid0(VALU_DEP_4)
	v_add_f32_e32 v56, v56, v150
	v_fmac_f32_e32 v152, v117, v76
	v_add_f32_e32 v58, v58, v61
	v_mul_f32_e32 v61, v129, v89
	v_fma_f32 v59, v126, v86, -v59
	v_dual_fmac_f32 v163, v143, v138 :: v_dual_fmac_f32 v154, v121, v80
	s_delay_alu instid0(VALU_DEP_4) | instskip(NEXT) | instid1(VALU_DEP_4)
	v_add_f32_e32 v58, v58, v60
	v_fma_f32 v61, v128, v88, -v61
	v_fmac_f32_e32 v156, v125, v84
	v_mul_f32_e32 v60, v131, v91
	v_fmac_f32_e32 v158, v129, v88
	v_dual_add_f32 v58, v58, v59 :: v_dual_mul_f32 v59, v133, v93
	v_add_f32_e32 v56, v56, v151
	s_delay_alu instid0(VALU_DEP_4) | instskip(SKIP_1) | instid1(VALU_DEP_4)
	v_fma_f32 v60, v130, v90, -v60
	v_fmac_f32_e32 v160, v133, v92
	v_dual_add_f32 v58, v58, v61 :: v_dual_mul_f32 v61, v135, v95
	s_delay_alu instid0(VALU_DEP_4) | instskip(SKIP_2) | instid1(VALU_DEP_4)
	v_add_f32_e32 v56, v56, v152
	v_fma_f32 v59, v132, v92, -v59
	v_fmac_f32_e32 v162, v137, v96
	v_add_f32_e32 v58, v58, v60
	v_mul_f32_e32 v60, v137, v97
	v_add_f32_e32 v56, v56, v153
	v_fma_f32 v61, v134, v94, -v61
	s_delay_alu instid0(VALU_DEP_4) | instskip(NEXT) | instid1(VALU_DEP_3)
	v_add_f32_e32 v58, v58, v59
	v_dual_mul_f32 v59, v143, v139 :: v_dual_add_f32 v56, v56, v154
	v_fma_f32 v60, v136, v96, -v60
	s_delay_alu instid0(VALU_DEP_3) | instskip(NEXT) | instid1(VALU_DEP_3)
	v_add_f32_e32 v58, v58, v61
	v_fma_f32 v59, v142, v138, -v59
	s_delay_alu instid0(VALU_DEP_4) | instskip(NEXT) | instid1(VALU_DEP_3)
	v_add_f32_e32 v56, v56, v155
	v_add_f32_e32 v58, v58, v60
	s_delay_alu instid0(VALU_DEP_2) | instskip(NEXT) | instid1(VALU_DEP_2)
	v_add_f32_e32 v56, v56, v156
	v_add_f32_e32 v58, v58, v59
	s_delay_alu instid0(VALU_DEP_2) | instskip(SKIP_1) | instid1(VALU_DEP_2)
	v_add_f32_e32 v56, v56, v157
	s_wait_loadcnt 0x0
	v_sub_f32_e32 v58, v140, v58
	s_delay_alu instid0(VALU_DEP_2) | instskip(NEXT) | instid1(VALU_DEP_1)
	v_add_f32_e32 v56, v56, v158
	v_add_f32_e32 v56, v56, v159
	s_delay_alu instid0(VALU_DEP_1) | instskip(NEXT) | instid1(VALU_DEP_1)
	v_add_f32_e32 v56, v56, v160
	v_add_f32_e32 v56, v56, v161
	s_delay_alu instid0(VALU_DEP_1) | instskip(NEXT) | instid1(VALU_DEP_1)
	v_add_f32_e32 v56, v56, v162
	v_add_f32_e32 v56, v56, v163
	s_delay_alu instid0(VALU_DEP_1)
	v_sub_f32_e32 v59, v141, v56
	scratch_store_b64 off, v[58:59], off offset:40
	v_cmpx_lt_u32_e32 4, v0
	s_cbranch_execz .LBB90_167
; %bb.166:
	scratch_load_b64 v[58:59], off, off offset:32
	v_mov_b32_e32 v56, v55
	scratch_store_b64 off, v[55:56], off offset:32
	s_wait_loadcnt 0x0
	ds_store_b64 v57, v[58:59]
.LBB90_167:
	s_wait_alu 0xfffe
	s_or_b32 exec_lo, exec_lo, s0
	s_wait_storecnt_dscnt 0x0
	s_barrier_signal -1
	s_barrier_wait -1
	global_inv scope:SCOPE_SE
	s_clause 0xb
	scratch_load_b128 v[58:61], off, off offset:40
	scratch_load_b128 v[62:65], off, off offset:56
	;; [unrolled: 1-line block ×11, first 2 shown]
	scratch_load_b64 v[146:147], off, off offset:32
	ds_load_2addr_b64 v[102:105], v55 offset0:33 offset1:34
	ds_load_2addr_b64 v[106:109], v55 offset0:35 offset1:36
	;; [unrolled: 1-line block ×11, first 2 shown]
	s_mov_b32 s0, exec_lo
	s_wait_loadcnt_dscnt 0xb0a
	v_dual_mul_f32 v55, v102, v59 :: v_dual_mul_f32 v56, v104, v61
	v_mul_f32_e32 v59, v103, v59
	s_wait_loadcnt_dscnt 0xa09
	v_dual_mul_f32 v61, v105, v61 :: v_dual_mul_f32 v148, v106, v63
	s_delay_alu instid0(VALU_DEP_3) | instskip(NEXT) | instid1(VALU_DEP_3)
	v_dual_mul_f32 v149, v108, v65 :: v_dual_fmac_f32 v56, v105, v60
	v_fma_f32 v59, v102, v58, -v59
	v_fmac_f32_e32 v55, v103, v58
	v_mul_f32_e32 v58, v107, v63
	v_fma_f32 v60, v104, v60, -v61
	v_mul_f32_e32 v61, v109, v65
	v_dual_add_f32 v59, 0, v59 :: v_dual_fmac_f32 v148, v107, v62
	s_delay_alu instid0(VALU_DEP_4) | instskip(SKIP_2) | instid1(VALU_DEP_3)
	v_fma_f32 v58, v106, v62, -v58
	s_wait_loadcnt_dscnt 0x908
	v_dual_mul_f32 v150, v110, v67 :: v_dual_mul_f32 v151, v112, v69
	v_add_f32_e32 v59, v59, v60
	v_fmac_f32_e32 v149, v109, v64
	v_fma_f32 v60, v108, v64, -v61
	s_wait_loadcnt_dscnt 0x807
	v_dual_mul_f32 v152, v114, v71 :: v_dual_mul_f32 v153, v116, v73
	v_dual_add_f32 v58, v59, v58 :: v_dual_mul_f32 v59, v113, v69
	v_fmac_f32_e32 v150, v111, v66
	s_wait_loadcnt_dscnt 0x706
	v_dual_mul_f32 v154, v118, v75 :: v_dual_mul_f32 v155, v120, v77
	s_delay_alu instid0(VALU_DEP_3) | instskip(SKIP_3) | instid1(VALU_DEP_4)
	v_dual_add_f32 v58, v58, v60 :: v_dual_add_f32 v55, 0, v55
	v_mul_f32_e32 v60, v115, v71
	v_fma_f32 v59, v112, v68, -v59
	v_dual_fmac_f32 v151, v113, v68 :: v_dual_fmac_f32 v152, v115, v70
	v_add_f32_e32 v55, v55, v56
	v_mul_f32_e32 v56, v111, v67
	v_fma_f32 v60, v114, v70, -v60
	v_dual_fmac_f32 v153, v117, v72 :: v_dual_fmac_f32 v154, v119, v74
	s_wait_loadcnt_dscnt 0x605
	v_dual_mul_f32 v156, v122, v79 :: v_dual_mul_f32 v157, v124, v81
	v_fma_f32 v56, v110, v66, -v56
	s_wait_loadcnt_dscnt 0x504
	v_dual_mul_f32 v158, v126, v83 :: v_dual_mul_f32 v159, v128, v85
	s_wait_loadcnt_dscnt 0x403
	v_dual_mul_f32 v160, v130, v87 :: v_dual_mul_f32 v161, v132, v89
	v_add_f32_e32 v56, v58, v56
	v_mul_f32_e32 v58, v117, v73
	v_dual_fmac_f32 v158, v127, v82 :: v_dual_fmac_f32 v159, v129, v84
	s_delay_alu instid0(VALU_DEP_4) | instskip(NEXT) | instid1(VALU_DEP_4)
	v_dual_fmac_f32 v160, v131, v86 :: v_dual_fmac_f32 v161, v133, v88
	v_dual_add_f32 v56, v56, v59 :: v_dual_add_f32 v55, v55, v148
	v_mul_f32_e32 v59, v119, v75
	v_fma_f32 v58, v116, v72, -v58
	v_fmac_f32_e32 v155, v121, v76
	s_delay_alu instid0(VALU_DEP_4)
	v_add_f32_e32 v56, v56, v60
	v_mul_f32_e32 v60, v121, v77
	v_add_f32_e32 v55, v55, v149
	v_fma_f32 v59, v118, v74, -v59
	v_fmac_f32_e32 v156, v123, v78
	v_add_f32_e32 v56, v56, v58
	v_mul_f32_e32 v58, v123, v79
	v_add_f32_e32 v55, v55, v150
	v_fma_f32 v60, v120, v76, -v60
	s_delay_alu instid0(VALU_DEP_4) | instskip(SKIP_1) | instid1(VALU_DEP_4)
	v_dual_fmac_f32 v157, v125, v80 :: v_dual_add_f32 v56, v56, v59
	v_mul_f32_e32 v59, v125, v81
	v_add_f32_e32 v55, v55, v151
	v_fma_f32 v58, v122, v78, -v58
	s_wait_loadcnt_dscnt 0x302
	v_dual_mul_f32 v162, v134, v91 :: v_dual_mul_f32 v163, v136, v93
	v_add_f32_e32 v56, v56, v60
	v_add_f32_e32 v55, v55, v152
	v_fma_f32 v59, v124, v80, -v59
	v_mul_f32_e32 v60, v127, v83
	s_wait_loadcnt_dscnt 0x201
	v_dual_mul_f32 v164, v138, v95 :: v_dual_mul_f32 v165, v140, v97
	v_dual_add_f32 v56, v56, v58 :: v_dual_add_f32 v55, v55, v153
	v_mul_f32_e32 v58, v129, v85
	v_fma_f32 v60, v126, v82, -v60
	v_dual_fmac_f32 v162, v135, v90 :: v_dual_fmac_f32 v163, v137, v92
	s_delay_alu instid0(VALU_DEP_4)
	v_dual_add_f32 v56, v56, v59 :: v_dual_add_f32 v55, v55, v154
	v_mul_f32_e32 v59, v131, v87
	v_fma_f32 v58, v128, v84, -v58
	s_wait_loadcnt_dscnt 0x100
	v_dual_mul_f32 v166, v142, v99 :: v_dual_mul_f32 v167, v144, v101
	v_dual_add_f32 v55, v55, v155 :: v_dual_add_f32 v56, v56, v60
	v_mul_f32_e32 v60, v133, v89
	v_fma_f32 v59, v130, v86, -v59
	s_delay_alu instid0(VALU_DEP_4) | instskip(NEXT) | instid1(VALU_DEP_4)
	v_dual_fmac_f32 v164, v139, v94 :: v_dual_fmac_f32 v167, v145, v100
	v_dual_add_f32 v55, v55, v156 :: v_dual_add_f32 v56, v56, v58
	v_mul_f32_e32 v58, v135, v91
	v_fma_f32 v60, v132, v88, -v60
	v_fmac_f32_e32 v165, v141, v96
	s_delay_alu instid0(VALU_DEP_4) | instskip(SKIP_2) | instid1(VALU_DEP_3)
	v_dual_add_f32 v55, v55, v157 :: v_dual_add_f32 v56, v56, v59
	v_mul_f32_e32 v59, v137, v93
	v_fma_f32 v58, v134, v90, -v58
	v_dual_add_f32 v55, v55, v158 :: v_dual_add_f32 v56, v56, v60
	v_mul_f32_e32 v60, v139, v95
	s_delay_alu instid0(VALU_DEP_4) | instskip(NEXT) | instid1(VALU_DEP_3)
	v_fma_f32 v59, v136, v92, -v59
	v_dual_add_f32 v55, v55, v159 :: v_dual_add_f32 v56, v56, v58
	v_mul_f32_e32 v58, v141, v97
	s_delay_alu instid0(VALU_DEP_4) | instskip(NEXT) | instid1(VALU_DEP_3)
	;; [unrolled: 4-line block ×4, first 2 shown]
	v_fma_f32 v59, v142, v98, -v59
	v_add_f32_e32 v55, v55, v162
	s_delay_alu instid0(VALU_DEP_4) | instskip(NEXT) | instid1(VALU_DEP_4)
	v_add_f32_e32 v56, v56, v58
	v_fma_f32 v58, v144, v100, -v60
	s_delay_alu instid0(VALU_DEP_3) | instskip(NEXT) | instid1(VALU_DEP_1)
	v_add_f32_e32 v55, v55, v163
	v_dual_add_f32 v56, v56, v59 :: v_dual_add_f32 v55, v55, v164
	s_delay_alu instid0(VALU_DEP_1) | instskip(SKIP_1) | instid1(VALU_DEP_3)
	v_add_f32_e32 v56, v56, v58
	v_fmac_f32_e32 v166, v143, v98
	v_add_f32_e32 v55, v55, v165
	s_delay_alu instid0(VALU_DEP_1) | instskip(SKIP_1) | instid1(VALU_DEP_1)
	v_add_f32_e32 v55, v55, v166
	s_wait_loadcnt 0x0
	v_dual_add_f32 v58, v55, v167 :: v_dual_sub_f32 v55, v146, v56
	s_delay_alu instid0(VALU_DEP_1)
	v_sub_f32_e32 v56, v147, v58
	scratch_store_b64 off, v[55:56], off offset:32
	v_cmpx_lt_u32_e32 3, v0
	s_cbranch_execz .LBB90_169
; %bb.168:
	scratch_load_b64 v[55:56], off, off offset:24
	v_mov_b32_e32 v58, 0
	s_delay_alu instid0(VALU_DEP_1)
	v_mov_b32_e32 v59, v58
	scratch_store_b64 off, v[58:59], off offset:24
	s_wait_loadcnt 0x0
	ds_store_b64 v57, v[55:56]
.LBB90_169:
	s_wait_alu 0xfffe
	s_or_b32 exec_lo, exec_lo, s0
	s_wait_storecnt_dscnt 0x0
	s_barrier_signal -1
	s_barrier_wait -1
	global_inv scope:SCOPE_SE
	s_clause 0xc
	scratch_load_b128 v[58:61], off, off offset:32
	scratch_load_b128 v[62:65], off, off offset:48
	;; [unrolled: 1-line block ×11, first 2 shown]
	scratch_load_b64 v[146:147], off, off offset:208
	scratch_load_b64 v[148:149], off, off offset:24
	v_mov_b32_e32 v55, 0
	ds_load_b128 v[102:105], v55 offset:256
	ds_load_b128 v[106:109], v55 offset:272
	;; [unrolled: 1-line block ×11, first 2 shown]
	ds_load_b64 v[150:151], v55 offset:432
	s_mov_b32 s0, exec_lo
	s_wait_loadcnt_dscnt 0xc0b
	v_mul_f32_e32 v56, v102, v59
	s_wait_loadcnt_dscnt 0xb0a
	v_dual_mul_f32 v152, v104, v61 :: v_dual_mul_f32 v153, v106, v63
	v_mul_f32_e32 v61, v105, v61
	s_wait_loadcnt_dscnt 0xa09
	v_dual_mul_f32 v154, v108, v65 :: v_dual_mul_f32 v155, v110, v67
	v_mul_f32_e32 v59, v103, v59
	v_fmac_f32_e32 v56, v103, v58
	s_wait_loadcnt_dscnt 0x807
	v_dual_mul_f32 v158, v116, v73 :: v_dual_mul_f32 v159, v118, v75
	s_wait_loadcnt_dscnt 0x100
	v_dual_mul_f32 v170, v140, v97 :: v_dual_mul_f32 v173, v150, v147
	v_fma_f32 v59, v102, v58, -v59
	v_mul_f32_e32 v58, v107, v63
	v_fmac_f32_e32 v152, v105, v60
	v_fma_f32 v60, v104, v60, -v61
	v_dual_add_f32 v56, 0, v56 :: v_dual_mul_f32 v61, v109, v65
	v_add_f32_e32 v59, 0, v59
	v_fmac_f32_e32 v153, v107, v62
	v_fma_f32 v58, v106, v62, -v58
	s_delay_alu instid0(VALU_DEP_4)
	v_add_f32_e32 v56, v56, v152
	v_fma_f32 v61, v108, v64, -v61
	v_add_f32_e32 v59, v59, v60
	v_mul_f32_e32 v60, v111, v67
	v_dual_mul_f32 v160, v120, v77 :: v_dual_mul_f32 v161, v122, v79
	v_add_f32_e32 v56, v56, v153
	s_delay_alu instid0(VALU_DEP_4) | instskip(NEXT) | instid1(VALU_DEP_4)
	v_dual_add_f32 v58, v59, v58 :: v_dual_mul_f32 v59, v113, v69
	v_fma_f32 v60, v110, v66, -v60
	v_dual_mul_f32 v162, v124, v81 :: v_dual_mul_f32 v163, v126, v83
	s_delay_alu instid0(VALU_DEP_3) | instskip(NEXT) | instid1(VALU_DEP_4)
	v_dual_add_f32 v58, v58, v61 :: v_dual_mul_f32 v61, v115, v71
	v_fma_f32 v59, v112, v68, -v59
	v_dual_fmac_f32 v154, v109, v64 :: v_dual_fmac_f32 v155, v111, v66
	s_delay_alu instid0(VALU_DEP_3) | instskip(SKIP_2) | instid1(VALU_DEP_3)
	v_dual_add_f32 v58, v58, v60 :: v_dual_fmac_f32 v159, v119, v74
	v_dual_mul_f32 v60, v117, v73 :: v_dual_fmac_f32 v161, v123, v78
	v_fma_f32 v61, v114, v70, -v61
	v_dual_add_f32 v58, v58, v59 :: v_dual_fmac_f32 v163, v127, v82
	v_dual_mul_f32 v164, v128, v85 :: v_dual_mul_f32 v165, v130, v87
	v_dual_add_f32 v56, v56, v154 :: v_dual_mul_f32 v59, v119, v75
	v_fma_f32 v60, v116, v72, -v60
	s_delay_alu instid0(VALU_DEP_3) | instskip(SKIP_1) | instid1(VALU_DEP_4)
	v_dual_add_f32 v58, v58, v61 :: v_dual_fmac_f32 v165, v131, v86
	v_mul_f32_e32 v61, v121, v77
	v_fma_f32 v59, v118, v74, -v59
	v_dual_mul_f32 v156, v112, v69 :: v_dual_mul_f32 v157, v114, v71
	s_delay_alu instid0(VALU_DEP_4) | instskip(SKIP_3) | instid1(VALU_DEP_4)
	v_add_f32_e32 v58, v58, v60
	v_dual_mul_f32 v168, v136, v93 :: v_dual_mul_f32 v169, v138, v95
	v_mul_f32_e32 v60, v123, v79
	v_fma_f32 v61, v120, v76, -v61
	v_add_f32_e32 v58, v58, v59
	v_dual_fmac_f32 v156, v113, v68 :: v_dual_fmac_f32 v157, v115, v70
	v_dual_add_f32 v56, v56, v155 :: v_dual_mul_f32 v59, v125, v81
	v_fma_f32 v60, v122, v78, -v60
	s_delay_alu instid0(VALU_DEP_4) | instskip(NEXT) | instid1(VALU_DEP_3)
	v_dual_fmac_f32 v169, v139, v94 :: v_dual_add_f32 v58, v58, v61
	v_dual_add_f32 v56, v56, v156 :: v_dual_mul_f32 v61, v127, v83
	s_delay_alu instid0(VALU_DEP_4) | instskip(SKIP_1) | instid1(VALU_DEP_4)
	v_fma_f32 v59, v124, v80, -v59
	v_dual_mul_f32 v166, v132, v89 :: v_dual_mul_f32 v167, v134, v91
	v_add_f32_e32 v58, v58, v60
	v_mul_f32_e32 v60, v129, v85
	v_fma_f32 v61, v126, v82, -v61
	v_fmac_f32_e32 v158, v117, v72
	v_dual_add_f32 v56, v56, v157 :: v_dual_fmac_f32 v167, v135, v90
	v_add_f32_e32 v58, v58, v59
	v_mul_f32_e32 v59, v131, v87
	v_fma_f32 v60, v128, v84, -v60
	s_delay_alu instid0(VALU_DEP_4)
	v_dual_add_f32 v56, v56, v158 :: v_dual_mul_f32 v171, v142, v99
	v_mul_f32_e32 v172, v144, v101
	v_add_f32_e32 v58, v58, v61
	v_mul_f32_e32 v61, v133, v89
	v_fma_f32 v59, v130, v86, -v59
	v_dual_fmac_f32 v160, v121, v76 :: v_dual_fmac_f32 v171, v143, v98
	s_delay_alu instid0(VALU_DEP_4) | instskip(NEXT) | instid1(VALU_DEP_4)
	v_add_f32_e32 v58, v58, v60
	v_fma_f32 v61, v132, v88, -v61
	v_dual_fmac_f32 v162, v125, v80 :: v_dual_fmac_f32 v173, v151, v146
	v_fmac_f32_e32 v164, v129, v84
	s_delay_alu instid0(VALU_DEP_4) | instskip(SKIP_3) | instid1(VALU_DEP_4)
	v_dual_add_f32 v58, v58, v59 :: v_dual_mul_f32 v59, v137, v93
	v_add_f32_e32 v56, v56, v159
	v_mul_f32_e32 v60, v135, v91
	v_fmac_f32_e32 v166, v133, v88
	v_dual_add_f32 v58, v58, v61 :: v_dual_mul_f32 v61, v139, v95
	s_delay_alu instid0(VALU_DEP_4) | instskip(NEXT) | instid1(VALU_DEP_4)
	v_add_f32_e32 v56, v56, v160
	v_fma_f32 v60, v134, v90, -v60
	v_fmac_f32_e32 v168, v137, v92
	v_fma_f32 v59, v136, v92, -v59
	v_fma_f32 v61, v138, v94, -v61
	v_add_f32_e32 v56, v56, v161
	v_add_f32_e32 v58, v58, v60
	v_mul_f32_e32 v60, v141, v97
	v_fmac_f32_e32 v170, v141, v96
	v_fmac_f32_e32 v172, v145, v100
	v_add_f32_e32 v56, v56, v162
	v_add_f32_e32 v58, v58, v59
	v_mul_f32_e32 v59, v143, v99
	v_fma_f32 v60, v140, v96, -v60
	s_delay_alu instid0(VALU_DEP_4) | instskip(NEXT) | instid1(VALU_DEP_4)
	v_add_f32_e32 v56, v56, v163
	v_add_f32_e32 v58, v58, v61
	v_mul_f32_e32 v61, v145, v101
	v_fma_f32 v59, v142, v98, -v59
	s_delay_alu instid0(VALU_DEP_4) | instskip(NEXT) | instid1(VALU_DEP_4)
	;; [unrolled: 5-line block ×3, first 2 shown]
	v_add_f32_e32 v56, v56, v165
	v_add_f32_e32 v58, v58, v59
	s_delay_alu instid0(VALU_DEP_4) | instskip(NEXT) | instid1(VALU_DEP_3)
	v_fma_f32 v59, v150, v146, -v60
	v_add_f32_e32 v56, v56, v166
	s_delay_alu instid0(VALU_DEP_3) | instskip(NEXT) | instid1(VALU_DEP_2)
	v_add_f32_e32 v58, v58, v61
	v_add_f32_e32 v56, v56, v167
	s_delay_alu instid0(VALU_DEP_2) | instskip(NEXT) | instid1(VALU_DEP_2)
	v_add_f32_e32 v58, v58, v59
	v_add_f32_e32 v56, v56, v168
	s_wait_loadcnt 0x0
	s_delay_alu instid0(VALU_DEP_2) | instskip(NEXT) | instid1(VALU_DEP_2)
	v_sub_f32_e32 v58, v148, v58
	v_add_f32_e32 v56, v56, v169
	s_delay_alu instid0(VALU_DEP_1) | instskip(NEXT) | instid1(VALU_DEP_1)
	v_add_f32_e32 v56, v56, v170
	v_add_f32_e32 v56, v56, v171
	s_delay_alu instid0(VALU_DEP_1) | instskip(NEXT) | instid1(VALU_DEP_1)
	v_add_f32_e32 v56, v56, v172
	v_add_f32_e32 v56, v56, v173
	s_delay_alu instid0(VALU_DEP_1)
	v_sub_f32_e32 v59, v149, v56
	scratch_store_b64 off, v[58:59], off offset:24
	v_cmpx_lt_u32_e32 2, v0
	s_cbranch_execz .LBB90_171
; %bb.170:
	scratch_load_b64 v[58:59], off, off offset:16
	v_mov_b32_e32 v56, v55
	scratch_store_b64 off, v[55:56], off offset:16
	s_wait_loadcnt 0x0
	ds_store_b64 v57, v[58:59]
.LBB90_171:
	s_wait_alu 0xfffe
	s_or_b32 exec_lo, exec_lo, s0
	s_wait_storecnt_dscnt 0x0
	s_barrier_signal -1
	s_barrier_wait -1
	global_inv scope:SCOPE_SE
	s_clause 0xc
	scratch_load_b128 v[58:61], off, off offset:24
	scratch_load_b128 v[62:65], off, off offset:40
	;; [unrolled: 1-line block ×12, first 2 shown]
	scratch_load_b64 v[154:155], off, off offset:16
	ds_load_2addr_b64 v[106:109], v55 offset0:31 offset1:32
	ds_load_2addr_b64 v[110:113], v55 offset0:33 offset1:34
	;; [unrolled: 1-line block ×12, first 2 shown]
	s_mov_b32 s0, exec_lo
	s_wait_loadcnt_dscnt 0xc0b
	v_dual_mul_f32 v55, v106, v59 :: v_dual_mul_f32 v56, v108, v61
	v_mul_f32_e32 v59, v107, v59
	s_wait_loadcnt_dscnt 0xb0a
	v_dual_mul_f32 v61, v109, v61 :: v_dual_mul_f32 v156, v110, v63
	s_delay_alu instid0(VALU_DEP_3) | instskip(NEXT) | instid1(VALU_DEP_3)
	v_dual_mul_f32 v157, v112, v65 :: v_dual_fmac_f32 v56, v109, v60
	v_fma_f32 v59, v106, v58, -v59
	v_fmac_f32_e32 v55, v107, v58
	v_mul_f32_e32 v58, v111, v63
	v_fma_f32 v60, v108, v60, -v61
	v_mul_f32_e32 v61, v113, v65
	v_dual_add_f32 v59, 0, v59 :: v_dual_fmac_f32 v156, v111, v62
	s_delay_alu instid0(VALU_DEP_4) | instskip(SKIP_2) | instid1(VALU_DEP_3)
	v_fma_f32 v58, v110, v62, -v58
	s_wait_loadcnt_dscnt 0xa09
	v_dual_mul_f32 v158, v114, v67 :: v_dual_mul_f32 v159, v116, v69
	v_add_f32_e32 v59, v59, v60
	v_fmac_f32_e32 v157, v113, v64
	v_fma_f32 v60, v112, v64, -v61
	s_wait_loadcnt_dscnt 0x908
	v_dual_mul_f32 v160, v118, v71 :: v_dual_mul_f32 v161, v120, v73
	v_dual_add_f32 v58, v59, v58 :: v_dual_mul_f32 v59, v117, v69
	v_fmac_f32_e32 v158, v115, v66
	s_wait_loadcnt_dscnt 0x807
	v_dual_mul_f32 v162, v122, v75 :: v_dual_mul_f32 v163, v124, v77
	s_delay_alu instid0(VALU_DEP_3) | instskip(SKIP_3) | instid1(VALU_DEP_4)
	v_dual_add_f32 v58, v58, v60 :: v_dual_add_f32 v55, 0, v55
	v_mul_f32_e32 v60, v119, v71
	v_fma_f32 v59, v116, v68, -v59
	v_dual_fmac_f32 v159, v117, v68 :: v_dual_fmac_f32 v160, v119, v70
	v_add_f32_e32 v55, v55, v56
	v_mul_f32_e32 v56, v115, v67
	v_fma_f32 v60, v118, v70, -v60
	v_dual_fmac_f32 v161, v121, v72 :: v_dual_fmac_f32 v162, v123, v74
	s_wait_loadcnt_dscnt 0x706
	v_dual_mul_f32 v164, v126, v79 :: v_dual_mul_f32 v165, v128, v81
	v_fma_f32 v56, v114, v66, -v56
	s_wait_loadcnt_dscnt 0x605
	v_dual_mul_f32 v166, v130, v83 :: v_dual_mul_f32 v167, v132, v85
	s_wait_loadcnt_dscnt 0x504
	v_dual_mul_f32 v168, v134, v87 :: v_dual_mul_f32 v169, v136, v89
	v_add_f32_e32 v56, v58, v56
	v_mul_f32_e32 v58, v121, v73
	v_dual_fmac_f32 v166, v131, v82 :: v_dual_fmac_f32 v167, v133, v84
	s_delay_alu instid0(VALU_DEP_4) | instskip(NEXT) | instid1(VALU_DEP_4)
	v_dual_fmac_f32 v168, v135, v86 :: v_dual_fmac_f32 v169, v137, v88
	v_dual_add_f32 v56, v56, v59 :: v_dual_add_f32 v55, v55, v156
	v_mul_f32_e32 v59, v123, v75
	v_fma_f32 v58, v120, v72, -v58
	v_fmac_f32_e32 v163, v125, v76
	s_delay_alu instid0(VALU_DEP_4)
	v_add_f32_e32 v56, v56, v60
	v_mul_f32_e32 v60, v125, v77
	v_add_f32_e32 v55, v55, v157
	v_fma_f32 v59, v122, v74, -v59
	v_fmac_f32_e32 v164, v127, v78
	v_add_f32_e32 v56, v56, v58
	v_mul_f32_e32 v58, v127, v79
	v_add_f32_e32 v55, v55, v158
	v_fma_f32 v60, v124, v76, -v60
	s_delay_alu instid0(VALU_DEP_4) | instskip(SKIP_1) | instid1(VALU_DEP_4)
	v_dual_fmac_f32 v165, v129, v80 :: v_dual_add_f32 v56, v56, v59
	v_mul_f32_e32 v59, v129, v81
	v_add_f32_e32 v55, v55, v159
	v_fma_f32 v58, v126, v78, -v58
	s_wait_loadcnt_dscnt 0x403
	v_dual_mul_f32 v170, v138, v91 :: v_dual_mul_f32 v171, v140, v93
	v_add_f32_e32 v56, v56, v60
	v_add_f32_e32 v55, v55, v160
	v_fma_f32 v59, v128, v80, -v59
	v_mul_f32_e32 v60, v131, v83
	s_wait_loadcnt_dscnt 0x302
	v_dual_mul_f32 v172, v142, v95 :: v_dual_mul_f32 v173, v144, v97
	v_dual_add_f32 v56, v56, v58 :: v_dual_add_f32 v55, v55, v161
	v_mul_f32_e32 v58, v133, v85
	v_fma_f32 v60, v130, v82, -v60
	v_dual_fmac_f32 v170, v139, v90 :: v_dual_fmac_f32 v171, v141, v92
	s_delay_alu instid0(VALU_DEP_4)
	v_dual_add_f32 v56, v56, v59 :: v_dual_add_f32 v55, v55, v162
	v_mul_f32_e32 v59, v135, v87
	v_fma_f32 v58, v132, v84, -v58
	s_wait_loadcnt_dscnt 0x201
	v_dual_mul_f32 v174, v146, v99 :: v_dual_mul_f32 v175, v148, v101
	v_dual_add_f32 v55, v55, v163 :: v_dual_add_f32 v56, v56, v60
	v_mul_f32_e32 v60, v137, v89
	v_fma_f32 v59, v134, v86, -v59
	s_delay_alu instid0(VALU_DEP_4) | instskip(NEXT) | instid1(VALU_DEP_4)
	v_dual_fmac_f32 v172, v143, v94 :: v_dual_fmac_f32 v175, v149, v100
	v_dual_add_f32 v55, v55, v164 :: v_dual_add_f32 v56, v56, v58
	v_mul_f32_e32 v58, v139, v91
	v_fma_f32 v60, v136, v88, -v60
	v_fmac_f32_e32 v173, v145, v96
	s_delay_alu instid0(VALU_DEP_4)
	v_dual_add_f32 v55, v55, v165 :: v_dual_add_f32 v56, v56, v59
	v_mul_f32_e32 v59, v141, v93
	v_fma_f32 v58, v138, v90, -v58
	s_wait_loadcnt_dscnt 0x100
	v_dual_mul_f32 v176, v150, v103 :: v_dual_mul_f32 v177, v152, v105
	v_dual_add_f32 v55, v55, v166 :: v_dual_add_f32 v56, v56, v60
	v_mul_f32_e32 v60, v143, v95
	v_fma_f32 v59, v140, v92, -v59
	v_fmac_f32_e32 v174, v147, v98
	s_delay_alu instid0(VALU_DEP_4) | instskip(SKIP_3) | instid1(VALU_DEP_4)
	v_dual_add_f32 v55, v55, v167 :: v_dual_add_f32 v56, v56, v58
	v_mul_f32_e32 v58, v145, v97
	v_fma_f32 v60, v142, v94, -v60
	v_fmac_f32_e32 v177, v153, v104
	v_dual_add_f32 v55, v55, v168 :: v_dual_add_f32 v56, v56, v59
	v_mul_f32_e32 v59, v147, v99
	v_fma_f32 v58, v144, v96, -v58
	s_delay_alu instid0(VALU_DEP_3) | instskip(SKIP_1) | instid1(VALU_DEP_4)
	v_dual_add_f32 v55, v55, v169 :: v_dual_add_f32 v56, v56, v60
	v_mul_f32_e32 v60, v149, v101
	v_fma_f32 v59, v146, v98, -v59
	s_delay_alu instid0(VALU_DEP_3) | instskip(NEXT) | instid1(VALU_DEP_4)
	v_add_f32_e32 v55, v55, v170
	v_add_f32_e32 v56, v56, v58
	v_mul_f32_e32 v58, v151, v103
	v_fma_f32 v60, v148, v100, -v60
	s_delay_alu instid0(VALU_DEP_4) | instskip(NEXT) | instid1(VALU_DEP_4)
	v_add_f32_e32 v55, v55, v171
	v_dual_add_f32 v56, v56, v59 :: v_dual_mul_f32 v59, v153, v105
	s_delay_alu instid0(VALU_DEP_4) | instskip(NEXT) | instid1(VALU_DEP_3)
	v_fma_f32 v58, v150, v102, -v58
	v_add_f32_e32 v55, v55, v172
	s_delay_alu instid0(VALU_DEP_3) | instskip(NEXT) | instid1(VALU_DEP_4)
	v_add_f32_e32 v56, v56, v60
	v_fma_f32 v59, v152, v104, -v59
	s_delay_alu instid0(VALU_DEP_2) | instskip(NEXT) | instid1(VALU_DEP_1)
	v_dual_add_f32 v55, v55, v173 :: v_dual_add_f32 v56, v56, v58
	v_dual_add_f32 v55, v55, v174 :: v_dual_add_f32 v56, v56, v59
	v_fmac_f32_e32 v176, v151, v102
	s_delay_alu instid0(VALU_DEP_2) | instskip(NEXT) | instid1(VALU_DEP_1)
	v_add_f32_e32 v55, v55, v175
	v_add_f32_e32 v55, v55, v176
	s_wait_loadcnt 0x0
	s_delay_alu instid0(VALU_DEP_1) | instskip(NEXT) | instid1(VALU_DEP_1)
	v_dual_add_f32 v58, v55, v177 :: v_dual_sub_f32 v55, v154, v56
	v_sub_f32_e32 v56, v155, v58
	scratch_store_b64 off, v[55:56], off offset:16
	v_cmpx_lt_u32_e32 1, v0
	s_cbranch_execz .LBB90_173
; %bb.172:
	scratch_load_b64 v[55:56], off, off offset:8
	v_mov_b32_e32 v58, 0
	s_delay_alu instid0(VALU_DEP_1)
	v_mov_b32_e32 v59, v58
	scratch_store_b64 off, v[58:59], off offset:8
	s_wait_loadcnt 0x0
	ds_store_b64 v57, v[55:56]
.LBB90_173:
	s_wait_alu 0xfffe
	s_or_b32 exec_lo, exec_lo, s0
	s_wait_storecnt_dscnt 0x0
	s_barrier_signal -1
	s_barrier_wait -1
	global_inv scope:SCOPE_SE
	s_clause 0xd
	scratch_load_b128 v[58:61], off, off offset:16
	scratch_load_b128 v[62:65], off, off offset:32
	;; [unrolled: 1-line block ×12, first 2 shown]
	scratch_load_b64 v[154:155], off, off offset:208
	scratch_load_b64 v[156:157], off, off offset:8
	v_mov_b32_e32 v55, 0
	ds_load_b128 v[106:109], v55 offset:240
	ds_load_b128 v[110:113], v55 offset:256
	ds_load_b128 v[114:117], v55 offset:272
	ds_load_b128 v[118:121], v55 offset:288
	ds_load_b128 v[122:125], v55 offset:304
	ds_load_b128 v[126:129], v55 offset:320
	ds_load_b128 v[130:133], v55 offset:336
	ds_load_b128 v[134:137], v55 offset:352
	ds_load_b128 v[138:141], v55 offset:368
	ds_load_b128 v[142:145], v55 offset:384
	ds_load_b128 v[146:149], v55 offset:400
	ds_load_b128 v[150:153], v55 offset:416
	ds_load_b64 v[158:159], v55 offset:432
	s_mov_b32 s0, exec_lo
	s_wait_loadcnt_dscnt 0xd0c
	v_mul_f32_e32 v56, v106, v59
	s_wait_loadcnt_dscnt 0xc0b
	v_dual_mul_f32 v160, v108, v61 :: v_dual_mul_f32 v161, v110, v63
	v_mul_f32_e32 v61, v109, v61
	s_wait_loadcnt_dscnt 0xb0a
	v_dual_mul_f32 v162, v112, v65 :: v_dual_mul_f32 v163, v114, v67
	s_wait_loadcnt_dscnt 0xa09
	v_dual_mul_f32 v59, v107, v59 :: v_dual_mul_f32 v166, v120, v73
	s_wait_loadcnt_dscnt 0x908
	v_dual_mul_f32 v167, v122, v75 :: v_dual_fmac_f32 v56, v107, v58
	s_wait_loadcnt_dscnt 0x302
	v_mul_f32_e32 v180, v148, v101
	v_fma_f32 v59, v106, v58, -v59
	s_wait_loadcnt_dscnt 0x100
	v_mul_f32_e32 v183, v158, v155
	v_mul_f32_e32 v58, v111, v63
	v_fmac_f32_e32 v160, v109, v60
	v_fma_f32 v60, v108, v60, -v61
	v_dual_add_f32 v59, 0, v59 :: v_dual_add_f32 v56, 0, v56
	v_mul_f32_e32 v61, v113, v65
	v_fmac_f32_e32 v161, v111, v62
	v_fma_f32 v58, v110, v62, -v58
	v_dual_mul_f32 v168, v124, v77 :: v_dual_mul_f32 v169, v126, v79
	v_add_f32_e32 v56, v56, v160
	v_add_f32_e32 v59, v59, v60
	v_mul_f32_e32 v60, v115, v67
	v_fma_f32 v61, v112, v64, -v61
	v_dual_mul_f32 v170, v128, v81 :: v_dual_mul_f32 v171, v130, v83
	v_add_f32_e32 v56, v56, v161
	v_dual_add_f32 v58, v59, v58 :: v_dual_mul_f32 v59, v117, v69
	v_fma_f32 v60, v114, v66, -v60
	v_dual_fmac_f32 v162, v113, v64 :: v_dual_fmac_f32 v163, v115, v66
	s_delay_alu instid0(VALU_DEP_3) | instskip(NEXT) | instid1(VALU_DEP_4)
	v_dual_add_f32 v58, v58, v61 :: v_dual_mul_f32 v61, v119, v71
	v_fma_f32 v59, v116, v68, -v59
	v_dual_fmac_f32 v167, v123, v74 :: v_dual_mul_f32 v172, v132, v85
	v_mul_f32_e32 v173, v134, v87
	s_delay_alu instid0(VALU_DEP_4) | instskip(SKIP_3) | instid1(VALU_DEP_4)
	v_add_f32_e32 v58, v58, v60
	v_dual_mul_f32 v60, v121, v73 :: v_dual_fmac_f32 v169, v127, v78
	v_fma_f32 v61, v118, v70, -v61
	v_add_f32_e32 v56, v56, v162
	v_dual_add_f32 v58, v58, v59 :: v_dual_fmac_f32 v171, v131, v82
	v_mul_f32_e32 v59, v123, v75
	v_fma_f32 v60, v120, v72, -v60
	s_delay_alu instid0(VALU_DEP_3) | instskip(SKIP_1) | instid1(VALU_DEP_4)
	v_dual_fmac_f32 v173, v135, v86 :: v_dual_add_f32 v58, v58, v61
	v_mul_f32_e32 v61, v125, v77
	v_fma_f32 v59, v122, v74, -v59
	v_dual_mul_f32 v164, v116, v69 :: v_dual_mul_f32 v165, v118, v71
	s_delay_alu instid0(VALU_DEP_4) | instskip(SKIP_3) | instid1(VALU_DEP_4)
	v_add_f32_e32 v58, v58, v60
	v_dual_mul_f32 v176, v140, v93 :: v_dual_mul_f32 v177, v142, v95
	v_mul_f32_e32 v60, v127, v79
	v_fma_f32 v61, v124, v76, -v61
	v_add_f32_e32 v58, v58, v59
	v_dual_fmac_f32 v164, v117, v68 :: v_dual_fmac_f32 v165, v119, v70
	v_dual_add_f32 v56, v56, v163 :: v_dual_mul_f32 v59, v129, v81
	v_fma_f32 v60, v126, v78, -v60
	s_delay_alu instid0(VALU_DEP_4) | instskip(NEXT) | instid1(VALU_DEP_3)
	v_dual_fmac_f32 v177, v143, v94 :: v_dual_add_f32 v58, v58, v61
	v_dual_add_f32 v56, v56, v164 :: v_dual_mul_f32 v61, v131, v83
	s_delay_alu instid0(VALU_DEP_4) | instskip(SKIP_1) | instid1(VALU_DEP_4)
	v_fma_f32 v59, v128, v80, -v59
	v_fmac_f32_e32 v166, v121, v72
	v_add_f32_e32 v58, v58, v60
	v_mul_f32_e32 v60, v133, v85
	v_fma_f32 v61, v130, v82, -v61
	v_dual_mul_f32 v174, v136, v89 :: v_dual_mul_f32 v175, v138, v91
	s_delay_alu instid0(VALU_DEP_4) | instskip(SKIP_2) | instid1(VALU_DEP_4)
	v_add_f32_e32 v58, v58, v59
	v_mul_f32_e32 v59, v135, v87
	v_fma_f32 v60, v132, v84, -v60
	v_dual_add_f32 v56, v56, v165 :: v_dual_fmac_f32 v175, v139, v90
	s_delay_alu instid0(VALU_DEP_4) | instskip(SKIP_2) | instid1(VALU_DEP_4)
	v_add_f32_e32 v58, v58, v61
	v_mul_f32_e32 v61, v137, v89
	v_fma_f32 v59, v134, v86, -v59
	v_add_f32_e32 v56, v56, v166
	v_fmac_f32_e32 v168, v125, v76
	v_add_f32_e32 v58, v58, v60
	v_mul_f32_e32 v60, v139, v91
	v_fma_f32 v61, v136, v88, -v61
	v_dual_mul_f32 v178, v144, v97 :: v_dual_mul_f32 v179, v146, v99
	s_delay_alu instid0(VALU_DEP_4) | instskip(NEXT) | instid1(VALU_DEP_4)
	v_dual_add_f32 v58, v58, v59 :: v_dual_mul_f32 v59, v141, v93
	v_fma_f32 v60, v138, v90, -v60
	s_delay_alu instid0(VALU_DEP_3) | instskip(NEXT) | instid1(VALU_DEP_3)
	v_dual_add_f32 v56, v56, v167 :: v_dual_fmac_f32 v179, v147, v98
	v_dual_add_f32 v58, v58, v61 :: v_dual_mul_f32 v61, v143, v95
	s_delay_alu instid0(VALU_DEP_4) | instskip(NEXT) | instid1(VALU_DEP_3)
	v_fma_f32 v59, v140, v92, -v59
	v_dual_add_f32 v56, v56, v168 :: v_dual_mul_f32 v181, v150, v103
	v_mul_f32_e32 v182, v152, v105
	s_delay_alu instid0(VALU_DEP_4) | instskip(SKIP_3) | instid1(VALU_DEP_4)
	v_add_f32_e32 v58, v58, v60
	v_mul_f32_e32 v60, v145, v97
	v_fma_f32 v61, v142, v94, -v61
	v_dual_fmac_f32 v170, v129, v80 :: v_dual_fmac_f32 v181, v151, v102
	v_add_f32_e32 v58, v58, v59
	v_mul_f32_e32 v59, v147, v99
	v_fma_f32 v60, v144, v96, -v60
	v_fmac_f32_e32 v172, v133, v84
	v_fmac_f32_e32 v174, v137, v88
	v_add_f32_e32 v58, v58, v61
	v_fma_f32 v59, v146, v98, -v59
	v_dual_fmac_f32 v183, v159, v154 :: v_dual_fmac_f32 v176, v141, v92
	v_fmac_f32_e32 v178, v145, v96
	s_delay_alu instid0(VALU_DEP_4) | instskip(SKIP_3) | instid1(VALU_DEP_4)
	v_dual_add_f32 v58, v58, v60 :: v_dual_mul_f32 v61, v149, v101
	v_mul_f32_e32 v60, v151, v103
	v_fmac_f32_e32 v180, v149, v100
	v_fmac_f32_e32 v182, v153, v104
	v_dual_add_f32 v58, v58, v59 :: v_dual_mul_f32 v59, v153, v105
	v_add_f32_e32 v56, v56, v169
	v_fma_f32 v61, v148, v100, -v61
	v_fma_f32 v60, v150, v102, -v60
	s_delay_alu instid0(VALU_DEP_4) | instskip(NEXT) | instid1(VALU_DEP_4)
	v_fma_f32 v59, v152, v104, -v59
	v_add_f32_e32 v56, v56, v170
	s_delay_alu instid0(VALU_DEP_4) | instskip(NEXT) | instid1(VALU_DEP_2)
	v_dual_add_f32 v58, v58, v61 :: v_dual_mul_f32 v61, v159, v155
	v_add_f32_e32 v56, v56, v171
	s_delay_alu instid0(VALU_DEP_2) | instskip(NEXT) | instid1(VALU_DEP_3)
	v_add_f32_e32 v58, v58, v60
	v_fma_f32 v60, v158, v154, -v61
	s_delay_alu instid0(VALU_DEP_3) | instskip(NEXT) | instid1(VALU_DEP_3)
	v_add_f32_e32 v56, v56, v172
	v_add_f32_e32 v58, v58, v59
	s_delay_alu instid0(VALU_DEP_2) | instskip(NEXT) | instid1(VALU_DEP_2)
	v_add_f32_e32 v56, v56, v173
	v_add_f32_e32 v58, v58, v60
	s_delay_alu instid0(VALU_DEP_2) | instskip(SKIP_1) | instid1(VALU_DEP_2)
	v_add_f32_e32 v56, v56, v174
	s_wait_loadcnt 0x0
	v_sub_f32_e32 v58, v156, v58
	s_delay_alu instid0(VALU_DEP_2) | instskip(NEXT) | instid1(VALU_DEP_1)
	v_add_f32_e32 v56, v56, v175
	v_add_f32_e32 v56, v56, v176
	s_delay_alu instid0(VALU_DEP_1) | instskip(NEXT) | instid1(VALU_DEP_1)
	v_add_f32_e32 v56, v56, v177
	v_add_f32_e32 v56, v56, v178
	s_delay_alu instid0(VALU_DEP_1) | instskip(NEXT) | instid1(VALU_DEP_1)
	;; [unrolled: 3-line block ×4, first 2 shown]
	v_add_f32_e32 v56, v56, v183
	v_sub_f32_e32 v59, v157, v56
	scratch_store_b64 off, v[58:59], off offset:8
	v_cmpx_ne_u32_e32 0, v0
	s_cbranch_execz .LBB90_175
; %bb.174:
	scratch_load_b64 v[58:59], off, off
	v_mov_b32_e32 v56, v55
	scratch_store_b64 off, v[55:56], off
	s_wait_loadcnt 0x0
	ds_store_b64 v57, v[58:59]
.LBB90_175:
	s_wait_alu 0xfffe
	s_or_b32 exec_lo, exec_lo, s0
	s_wait_storecnt_dscnt 0x0
	s_barrier_signal -1
	s_barrier_wait -1
	global_inv scope:SCOPE_SE
	s_clause 0xd
	scratch_load_b128 v[56:59], off, off offset:8
	scratch_load_b128 v[60:63], off, off offset:24
	;; [unrolled: 1-line block ×13, first 2 shown]
	scratch_load_b64 v[160:161], off, off
	ds_load_2addr_b64 v[108:111], v55 offset0:29 offset1:30
	ds_load_2addr_b64 v[112:115], v55 offset0:31 offset1:32
	;; [unrolled: 1-line block ×13, first 2 shown]
	s_and_b32 vcc_lo, exec_lo, s12
	s_wait_loadcnt_dscnt 0xd0c
	v_dual_mul_f32 v0, v108, v57 :: v_dual_mul_f32 v55, v110, v59
	s_wait_loadcnt_dscnt 0xc0b
	v_dual_mul_f32 v59, v111, v59 :: v_dual_mul_f32 v162, v112, v61
	s_delay_alu instid0(VALU_DEP_2) | instskip(SKIP_2) | instid1(VALU_DEP_4)
	v_dual_mul_f32 v163, v114, v63 :: v_dual_fmac_f32 v0, v109, v56
	v_mul_f32_e32 v57, v109, v57
	v_fmac_f32_e32 v55, v111, v58
	v_fma_f32 v58, v110, v58, -v59
	s_wait_loadcnt_dscnt 0xb0a
	v_dual_mul_f32 v164, v116, v65 :: v_dual_mul_f32 v165, v118, v67
	v_add_f32_e32 v0, 0, v0
	v_fma_f32 v57, v108, v56, -v57
	v_mul_f32_e32 v56, v113, v61
	v_dual_fmac_f32 v162, v113, v60 :: v_dual_fmac_f32 v163, v115, v62
	s_delay_alu instid0(VALU_DEP_3) | instskip(NEXT) | instid1(VALU_DEP_3)
	v_dual_fmac_f32 v164, v117, v64 :: v_dual_add_f32 v57, 0, v57
	v_fma_f32 v56, v112, v60, -v56
	v_dual_add_f32 v0, v0, v55 :: v_dual_mul_f32 v55, v117, v65
	s_wait_loadcnt_dscnt 0xa09
	v_dual_mul_f32 v166, v120, v69 :: v_dual_mul_f32 v167, v122, v71
	v_add_f32_e32 v57, v57, v58
	s_delay_alu instid0(VALU_DEP_3) | instskip(SKIP_1) | instid1(VALU_DEP_3)
	v_dual_mul_f32 v59, v115, v63 :: v_dual_add_f32 v0, v0, v162
	v_fma_f32 v55, v116, v64, -v55
	v_dual_fmac_f32 v165, v119, v66 :: v_dual_add_f32 v56, v57, v56
	s_delay_alu instid0(VALU_DEP_3) | instskip(SKIP_3) | instid1(VALU_DEP_4)
	v_fma_f32 v58, v114, v62, -v59
	v_mul_f32_e32 v57, v119, v67
	v_add_f32_e32 v0, v0, v163
	v_dual_fmac_f32 v166, v121, v68 :: v_dual_fmac_f32 v167, v123, v70
	v_add_f32_e32 v56, v56, v58
	v_mul_f32_e32 v58, v121, v69
	v_fma_f32 v57, v118, v66, -v57
	s_wait_loadcnt_dscnt 0x908
	v_dual_mul_f32 v168, v124, v73 :: v_dual_mul_f32 v169, v126, v75
	v_add_f32_e32 v55, v56, v55
	v_add_f32_e32 v0, v0, v164
	v_mul_f32_e32 v56, v123, v71
	v_fma_f32 v58, v120, v68, -v58
	v_dual_fmac_f32 v168, v125, v72 :: v_dual_fmac_f32 v169, v127, v74
	v_add_f32_e32 v55, v55, v57
	v_add_f32_e32 v0, v0, v165
	v_mul_f32_e32 v57, v125, v73
	v_fma_f32 v56, v122, v70, -v56
	s_wait_loadcnt_dscnt 0x807
	v_dual_mul_f32 v170, v128, v77 :: v_dual_mul_f32 v171, v130, v79
	v_add_f32_e32 v55, v55, v58
	v_add_f32_e32 v0, v0, v166
	v_mul_f32_e32 v58, v127, v75
	v_fma_f32 v57, v124, v72, -v57
	s_wait_loadcnt_dscnt 0x706
	v_dual_mul_f32 v172, v132, v81 :: v_dual_mul_f32 v173, v134, v83
	v_dual_add_f32 v55, v55, v56 :: v_dual_add_f32 v0, v0, v167
	v_mul_f32_e32 v56, v129, v77
	v_fma_f32 v58, v126, v74, -v58
	v_dual_fmac_f32 v170, v129, v76 :: v_dual_fmac_f32 v171, v131, v78
	s_delay_alu instid0(VALU_DEP_4) | instskip(SKIP_3) | instid1(VALU_DEP_4)
	v_dual_add_f32 v55, v55, v57 :: v_dual_add_f32 v0, v0, v168
	v_mul_f32_e32 v57, v131, v79
	v_fma_f32 v56, v128, v76, -v56
	v_fmac_f32_e32 v173, v135, v82
	v_dual_add_f32 v55, v55, v58 :: v_dual_add_f32 v0, v0, v169
	v_mul_f32_e32 v58, v133, v81
	v_fma_f32 v57, v130, v78, -v57
	s_wait_loadcnt_dscnt 0x605
	v_dual_mul_f32 v174, v136, v85 :: v_dual_mul_f32 v175, v138, v87
	v_dual_add_f32 v55, v55, v56 :: v_dual_add_f32 v0, v0, v170
	v_mul_f32_e32 v56, v135, v83
	v_fma_f32 v58, v132, v80, -v58
	s_delay_alu instid0(VALU_DEP_4) | instskip(NEXT) | instid1(VALU_DEP_4)
	v_fmac_f32_e32 v175, v139, v86
	v_dual_add_f32 v55, v55, v57 :: v_dual_fmac_f32 v172, v133, v80
	v_mul_f32_e32 v57, v137, v85
	v_fma_f32 v56, v134, v82, -v56
	s_wait_loadcnt_dscnt 0x504
	v_dual_mul_f32 v176, v140, v89 :: v_dual_mul_f32 v177, v142, v91
	v_dual_add_f32 v55, v55, v58 :: v_dual_add_f32 v0, v0, v171
	v_mul_f32_e32 v58, v139, v87
	v_fma_f32 v57, v136, v84, -v57
	s_wait_loadcnt_dscnt 0x403
	v_dual_mul_f32 v178, v144, v93 :: v_dual_mul_f32 v179, v146, v95
	v_add_f32_e32 v55, v55, v56
	v_add_f32_e32 v0, v0, v172
	v_fmac_f32_e32 v174, v137, v84
	v_fma_f32 v58, v138, v86, -v58
	v_dual_fmac_f32 v176, v141, v88 :: v_dual_fmac_f32 v177, v143, v90
	v_add_f32_e32 v55, v55, v57
	v_mul_f32_e32 v56, v141, v89
	v_dual_add_f32 v0, v0, v173 :: v_dual_mul_f32 v57, v143, v91
	v_fmac_f32_e32 v179, v147, v94
	s_delay_alu instid0(VALU_DEP_4) | instskip(NEXT) | instid1(VALU_DEP_4)
	v_add_f32_e32 v55, v55, v58
	v_fma_f32 v56, v140, v88, -v56
	s_delay_alu instid0(VALU_DEP_4)
	v_add_f32_e32 v0, v0, v174
	v_mul_f32_e32 v58, v145, v93
	v_fma_f32 v57, v142, v90, -v57
	s_wait_loadcnt_dscnt 0x302
	v_dual_mul_f32 v180, v148, v97 :: v_dual_mul_f32 v181, v150, v99
	v_dual_add_f32 v55, v55, v56 :: v_dual_add_f32 v0, v0, v175
	v_mul_f32_e32 v56, v147, v95
	v_fma_f32 v58, v144, v92, -v58
	s_delay_alu instid0(VALU_DEP_4) | instskip(NEXT) | instid1(VALU_DEP_4)
	v_dual_fmac_f32 v178, v145, v92 :: v_dual_fmac_f32 v181, v151, v98
	v_dual_add_f32 v55, v55, v57 :: v_dual_add_f32 v0, v0, v176
	v_mul_f32_e32 v57, v149, v97
	v_fma_f32 v56, v146, v94, -v56
	s_wait_loadcnt_dscnt 0x201
	v_dual_mul_f32 v182, v152, v101 :: v_dual_mul_f32 v183, v154, v103
	v_dual_add_f32 v55, v55, v58 :: v_dual_add_f32 v0, v0, v177
	v_mul_f32_e32 v58, v151, v99
	v_fma_f32 v57, v148, v96, -v57
	v_fmac_f32_e32 v180, v149, v96
	s_delay_alu instid0(VALU_DEP_4) | instskip(SKIP_2) | instid1(VALU_DEP_3)
	v_dual_add_f32 v55, v55, v56 :: v_dual_add_f32 v0, v0, v178
	v_dual_mul_f32 v56, v153, v101 :: v_dual_fmac_f32 v183, v155, v102
	v_fma_f32 v58, v150, v98, -v58
	v_dual_add_f32 v55, v55, v57 :: v_dual_add_f32 v0, v0, v179
	v_mul_f32_e32 v57, v155, v103
	s_delay_alu instid0(VALU_DEP_4) | instskip(SKIP_4) | instid1(VALU_DEP_3)
	v_fma_f32 v56, v152, v100, -v56
	s_wait_loadcnt_dscnt 0x100
	v_dual_mul_f32 v184, v156, v105 :: v_dual_mul_f32 v185, v158, v107
	v_dual_add_f32 v55, v55, v58 :: v_dual_mul_f32 v58, v157, v105
	v_fma_f32 v57, v154, v102, -v57
	v_dual_fmac_f32 v182, v153, v100 :: v_dual_fmac_f32 v185, v159, v106
	s_delay_alu instid0(VALU_DEP_3) | instskip(SKIP_3) | instid1(VALU_DEP_4)
	v_add_f32_e32 v55, v55, v56
	v_add_f32_e32 v0, v0, v180
	v_mul_f32_e32 v56, v159, v107
	v_fma_f32 v58, v156, v104, -v58
	v_add_f32_e32 v55, v55, v57
	s_delay_alu instid0(VALU_DEP_4) | instskip(NEXT) | instid1(VALU_DEP_4)
	v_add_f32_e32 v0, v0, v181
	v_fma_f32 v56, v158, v106, -v56
	s_delay_alu instid0(VALU_DEP_3) | instskip(NEXT) | instid1(VALU_DEP_1)
	v_add_f32_e32 v55, v55, v58
	v_dual_add_f32 v0, v0, v182 :: v_dual_add_f32 v55, v55, v56
	v_fmac_f32_e32 v184, v157, v104
	s_delay_alu instid0(VALU_DEP_2) | instskip(SKIP_1) | instid1(VALU_DEP_3)
	v_add_f32_e32 v0, v0, v183
	s_wait_loadcnt 0x0
	v_sub_f32_e32 v55, v160, v55
	s_delay_alu instid0(VALU_DEP_2) | instskip(NEXT) | instid1(VALU_DEP_1)
	v_add_f32_e32 v0, v0, v184
	v_add_f32_e32 v0, v0, v185
	s_delay_alu instid0(VALU_DEP_1)
	v_sub_f32_e32 v56, v161, v0
	scratch_store_b64 off, v[55:56], off
	s_wait_alu 0xfffe
	s_cbranch_vccz .LBB90_228
; %bb.176:
	v_mov_b32_e32 v0, 0
	global_load_b32 v55, v0, s[2:3] offset:100
	s_wait_loadcnt 0x0
	v_cmp_ne_u32_e32 vcc_lo, 26, v55
	s_cbranch_vccz .LBB90_178
; %bb.177:
	v_lshlrev_b32_e32 v55, 3, v55
	s_delay_alu instid0(VALU_DEP_1)
	v_mov_b32_e32 v59, v55
	scratch_load_b64 v[55:56], v59, off offset:-8
	scratch_load_b64 v[57:58], off, off offset:200
	s_wait_loadcnt 0x1
	scratch_store_b64 off, v[55:56], off offset:200
	s_wait_loadcnt 0x0
	scratch_store_b64 v59, v[57:58], off offset:-8
.LBB90_178:
	global_load_b32 v0, v0, s[2:3] offset:96
	s_wait_loadcnt 0x0
	v_cmp_eq_u32_e32 vcc_lo, 25, v0
	s_cbranch_vccnz .LBB90_180
; %bb.179:
	v_lshlrev_b32_e32 v0, 3, v0
	scratch_load_b64 v[55:56], v0, off offset:-8
	scratch_load_b64 v[57:58], off, off offset:192
	s_wait_loadcnt 0x1
	scratch_store_b64 off, v[55:56], off offset:192
	s_wait_loadcnt 0x0
	scratch_store_b64 v0, v[57:58], off offset:-8
.LBB90_180:
	v_mov_b32_e32 v0, 0
	global_load_b32 v55, v0, s[2:3] offset:92
	s_wait_loadcnt 0x0
	v_cmp_eq_u32_e32 vcc_lo, 24, v55
	s_cbranch_vccnz .LBB90_182
; %bb.181:
	v_lshlrev_b32_e32 v55, 3, v55
	s_delay_alu instid0(VALU_DEP_1)
	v_mov_b32_e32 v59, v55
	scratch_load_b64 v[55:56], v59, off offset:-8
	scratch_load_b64 v[57:58], off, off offset:184
	s_wait_loadcnt 0x1
	scratch_store_b64 off, v[55:56], off offset:184
	s_wait_loadcnt 0x0
	scratch_store_b64 v59, v[57:58], off offset:-8
.LBB90_182:
	global_load_b32 v0, v0, s[2:3] offset:88
	s_wait_loadcnt 0x0
	v_cmp_eq_u32_e32 vcc_lo, 23, v0
	s_cbranch_vccnz .LBB90_184
; %bb.183:
	v_lshlrev_b32_e32 v0, 3, v0
	scratch_load_b64 v[55:56], v0, off offset:-8
	scratch_load_b64 v[57:58], off, off offset:176
	s_wait_loadcnt 0x1
	scratch_store_b64 off, v[55:56], off offset:176
	s_wait_loadcnt 0x0
	scratch_store_b64 v0, v[57:58], off offset:-8
.LBB90_184:
	v_mov_b32_e32 v0, 0
	global_load_b32 v55, v0, s[2:3] offset:84
	s_wait_loadcnt 0x0
	v_cmp_eq_u32_e32 vcc_lo, 22, v55
	s_cbranch_vccnz .LBB90_186
; %bb.185:
	v_lshlrev_b32_e32 v55, 3, v55
	s_delay_alu instid0(VALU_DEP_1)
	v_mov_b32_e32 v59, v55
	scratch_load_b64 v[55:56], v59, off offset:-8
	scratch_load_b64 v[57:58], off, off offset:168
	s_wait_loadcnt 0x1
	scratch_store_b64 off, v[55:56], off offset:168
	s_wait_loadcnt 0x0
	scratch_store_b64 v59, v[57:58], off offset:-8
.LBB90_186:
	;; [unrolled: 29-line block ×12, first 2 shown]
	global_load_b32 v0, v0, s[2:3]
	s_wait_loadcnt 0x0
	v_cmp_eq_u32_e32 vcc_lo, 1, v0
	s_cbranch_vccnz .LBB90_228
; %bb.227:
	v_lshlrev_b32_e32 v0, 3, v0
	scratch_load_b64 v[55:56], v0, off offset:-8
	scratch_load_b64 v[57:58], off, off
	s_wait_loadcnt 0x1
	scratch_store_b64 off, v[55:56], off
	s_wait_loadcnt 0x0
	scratch_store_b64 v0, v[57:58], off offset:-8
.LBB90_228:
	scratch_load_b64 v[55:56], off, off
	s_wait_loadcnt 0x0
	flat_store_b64 v[1:2], v[55:56]
	scratch_load_b64 v[0:1], off, off offset:8
	s_wait_loadcnt 0x0
	flat_store_b64 v[3:4], v[0:1]
	scratch_load_b64 v[0:1], off, off offset:16
	;; [unrolled: 3-line block ×26, first 2 shown]
	s_wait_loadcnt 0x0
	flat_store_b64 v[53:54], v[0:1]
	s_nop 0
	s_sendmsg sendmsg(MSG_DEALLOC_VGPRS)
	s_endpgm
	.section	.rodata,"a",@progbits
	.p2align	6, 0x0
	.amdhsa_kernel _ZN9rocsolver6v33100L18getri_kernel_smallILi27E19rocblas_complex_numIfEPKPS3_EEvT1_iilPiilS8_bb
		.amdhsa_group_segment_fixed_size 440
		.amdhsa_private_segment_fixed_size 224
		.amdhsa_kernarg_size 60
		.amdhsa_user_sgpr_count 2
		.amdhsa_user_sgpr_dispatch_ptr 0
		.amdhsa_user_sgpr_queue_ptr 0
		.amdhsa_user_sgpr_kernarg_segment_ptr 1
		.amdhsa_user_sgpr_dispatch_id 0
		.amdhsa_user_sgpr_private_segment_size 0
		.amdhsa_wavefront_size32 1
		.amdhsa_uses_dynamic_stack 0
		.amdhsa_enable_private_segment 1
		.amdhsa_system_sgpr_workgroup_id_x 1
		.amdhsa_system_sgpr_workgroup_id_y 0
		.amdhsa_system_sgpr_workgroup_id_z 0
		.amdhsa_system_sgpr_workgroup_info 0
		.amdhsa_system_vgpr_workitem_id 0
		.amdhsa_next_free_vgpr 186
		.amdhsa_next_free_sgpr 19
		.amdhsa_reserve_vcc 1
		.amdhsa_float_round_mode_32 0
		.amdhsa_float_round_mode_16_64 0
		.amdhsa_float_denorm_mode_32 3
		.amdhsa_float_denorm_mode_16_64 3
		.amdhsa_fp16_overflow 0
		.amdhsa_workgroup_processor_mode 1
		.amdhsa_memory_ordered 1
		.amdhsa_forward_progress 1
		.amdhsa_inst_pref_size 251
		.amdhsa_round_robin_scheduling 0
		.amdhsa_exception_fp_ieee_invalid_op 0
		.amdhsa_exception_fp_denorm_src 0
		.amdhsa_exception_fp_ieee_div_zero 0
		.amdhsa_exception_fp_ieee_overflow 0
		.amdhsa_exception_fp_ieee_underflow 0
		.amdhsa_exception_fp_ieee_inexact 0
		.amdhsa_exception_int_div_zero 0
	.end_amdhsa_kernel
	.section	.text._ZN9rocsolver6v33100L18getri_kernel_smallILi27E19rocblas_complex_numIfEPKPS3_EEvT1_iilPiilS8_bb,"axG",@progbits,_ZN9rocsolver6v33100L18getri_kernel_smallILi27E19rocblas_complex_numIfEPKPS3_EEvT1_iilPiilS8_bb,comdat
.Lfunc_end90:
	.size	_ZN9rocsolver6v33100L18getri_kernel_smallILi27E19rocblas_complex_numIfEPKPS3_EEvT1_iilPiilS8_bb, .Lfunc_end90-_ZN9rocsolver6v33100L18getri_kernel_smallILi27E19rocblas_complex_numIfEPKPS3_EEvT1_iilPiilS8_bb
                                        ; -- End function
	.set _ZN9rocsolver6v33100L18getri_kernel_smallILi27E19rocblas_complex_numIfEPKPS3_EEvT1_iilPiilS8_bb.num_vgpr, 186
	.set _ZN9rocsolver6v33100L18getri_kernel_smallILi27E19rocblas_complex_numIfEPKPS3_EEvT1_iilPiilS8_bb.num_agpr, 0
	.set _ZN9rocsolver6v33100L18getri_kernel_smallILi27E19rocblas_complex_numIfEPKPS3_EEvT1_iilPiilS8_bb.numbered_sgpr, 19
	.set _ZN9rocsolver6v33100L18getri_kernel_smallILi27E19rocblas_complex_numIfEPKPS3_EEvT1_iilPiilS8_bb.num_named_barrier, 0
	.set _ZN9rocsolver6v33100L18getri_kernel_smallILi27E19rocblas_complex_numIfEPKPS3_EEvT1_iilPiilS8_bb.private_seg_size, 224
	.set _ZN9rocsolver6v33100L18getri_kernel_smallILi27E19rocblas_complex_numIfEPKPS3_EEvT1_iilPiilS8_bb.uses_vcc, 1
	.set _ZN9rocsolver6v33100L18getri_kernel_smallILi27E19rocblas_complex_numIfEPKPS3_EEvT1_iilPiilS8_bb.uses_flat_scratch, 1
	.set _ZN9rocsolver6v33100L18getri_kernel_smallILi27E19rocblas_complex_numIfEPKPS3_EEvT1_iilPiilS8_bb.has_dyn_sized_stack, 0
	.set _ZN9rocsolver6v33100L18getri_kernel_smallILi27E19rocblas_complex_numIfEPKPS3_EEvT1_iilPiilS8_bb.has_recursion, 0
	.set _ZN9rocsolver6v33100L18getri_kernel_smallILi27E19rocblas_complex_numIfEPKPS3_EEvT1_iilPiilS8_bb.has_indirect_call, 0
	.section	.AMDGPU.csdata,"",@progbits
; Kernel info:
; codeLenInByte = 32004
; TotalNumSgprs: 21
; NumVgprs: 186
; ScratchSize: 224
; MemoryBound: 0
; FloatMode: 240
; IeeeMode: 1
; LDSByteSize: 440 bytes/workgroup (compile time only)
; SGPRBlocks: 0
; VGPRBlocks: 23
; NumSGPRsForWavesPerEU: 21
; NumVGPRsForWavesPerEU: 186
; Occupancy: 8
; WaveLimiterHint : 1
; COMPUTE_PGM_RSRC2:SCRATCH_EN: 1
; COMPUTE_PGM_RSRC2:USER_SGPR: 2
; COMPUTE_PGM_RSRC2:TRAP_HANDLER: 0
; COMPUTE_PGM_RSRC2:TGID_X_EN: 1
; COMPUTE_PGM_RSRC2:TGID_Y_EN: 0
; COMPUTE_PGM_RSRC2:TGID_Z_EN: 0
; COMPUTE_PGM_RSRC2:TIDIG_COMP_CNT: 0
	.section	.text._ZN9rocsolver6v33100L18getri_kernel_smallILi28E19rocblas_complex_numIfEPKPS3_EEvT1_iilPiilS8_bb,"axG",@progbits,_ZN9rocsolver6v33100L18getri_kernel_smallILi28E19rocblas_complex_numIfEPKPS3_EEvT1_iilPiilS8_bb,comdat
	.globl	_ZN9rocsolver6v33100L18getri_kernel_smallILi28E19rocblas_complex_numIfEPKPS3_EEvT1_iilPiilS8_bb ; -- Begin function _ZN9rocsolver6v33100L18getri_kernel_smallILi28E19rocblas_complex_numIfEPKPS3_EEvT1_iilPiilS8_bb
	.p2align	8
	.type	_ZN9rocsolver6v33100L18getri_kernel_smallILi28E19rocblas_complex_numIfEPKPS3_EEvT1_iilPiilS8_bb,@function
_ZN9rocsolver6v33100L18getri_kernel_smallILi28E19rocblas_complex_numIfEPKPS3_EEvT1_iilPiilS8_bb: ; @_ZN9rocsolver6v33100L18getri_kernel_smallILi28E19rocblas_complex_numIfEPKPS3_EEvT1_iilPiilS8_bb
; %bb.0:
	s_mov_b32 s2, exec_lo
	v_cmpx_gt_u32_e32 28, v0
	s_cbranch_execz .LBB91_126
; %bb.1:
	s_clause 0x1
	s_load_b32 s13, s[0:1], 0x38
	s_load_b64 s[2:3], s[0:1], 0x0
	s_mov_b32 s8, ttmp9
	s_load_b128 s[4:7], s[0:1], 0x28
	s_wait_kmcnt 0x0
	s_bitcmp1_b32 s13, 8
	s_cselect_b32 s12, -1, 0
	s_ashr_i32 s9, ttmp9, 31
	s_delay_alu instid0(SALU_CYCLE_1) | instskip(NEXT) | instid1(SALU_CYCLE_1)
	s_lshl_b64 s[10:11], s[8:9], 3
	s_add_nc_u64 s[2:3], s[2:3], s[10:11]
	s_load_b64 s[10:11], s[2:3], 0x0
	s_bfe_u32 s2, s13, 0x10008
	s_delay_alu instid0(SALU_CYCLE_1)
	s_cmp_eq_u32 s2, 0
                                        ; implicit-def: $sgpr2_sgpr3
	s_cbranch_scc1 .LBB91_3
; %bb.2:
	s_load_b96 s[16:18], s[0:1], 0x18
	s_mul_u64 s[2:3], s[4:5], s[8:9]
	s_delay_alu instid0(SALU_CYCLE_1)
	s_lshl_b64 s[2:3], s[2:3], 2
	s_wait_kmcnt 0x0
	s_ashr_i32 s5, s18, 31
	s_mov_b32 s4, s18
	s_add_nc_u64 s[2:3], s[16:17], s[2:3]
	s_lshl_b64 s[4:5], s[4:5], 2
	s_delay_alu instid0(SALU_CYCLE_1)
	s_add_nc_u64 s[2:3], s[2:3], s[4:5]
.LBB91_3:
	s_clause 0x1
	s_load_b64 s[4:5], s[0:1], 0x8
	s_load_b32 s13, s[0:1], 0x38
	v_lshlrev_b32_e32 v63, 3, v0
	s_wait_kmcnt 0x0
	s_ashr_i32 s1, s4, 31
	s_mov_b32 s0, s4
	v_add3_u32 v9, s5, s5, v0
	s_lshl_b64 s[0:1], s[0:1], 3
	s_delay_alu instid0(SALU_CYCLE_1)
	s_add_nc_u64 s[0:1], s[10:11], s[0:1]
	s_ashr_i32 s11, s5, 31
	v_add_co_u32 v1, s4, s0, v63
	s_wait_alu 0xf1ff
	v_add_co_ci_u32_e64 v2, null, s1, 0, s4
	s_mov_b32 s10, s5
	v_ashrrev_i32_e32 v10, 31, v9
	s_lshl_b64 s[10:11], s[10:11], 3
	flat_load_b64 v[5:6], v[1:2]
	v_add_co_u32 v3, vcc_lo, v1, s10
	s_delay_alu instid0(VALU_DEP_1) | instskip(SKIP_2) | instid1(VALU_DEP_1)
	v_add_co_ci_u32_e64 v4, null, s11, v2, vcc_lo
	v_add_nc_u32_e32 v12, s5, v9
	s_bitcmp0_b32 s13, 0
	v_ashrrev_i32_e32 v13, 31, v12
	s_wait_loadcnt_dscnt 0x0
	scratch_store_b64 off, v[5:6], off
	flat_load_b64 v[7:8], v[3:4]
	v_lshlrev_b64_e32 v[5:6], 3, v[9:10]
	s_delay_alu instid0(VALU_DEP_1) | instskip(SKIP_1) | instid1(VALU_DEP_2)
	v_add_co_u32 v5, vcc_lo, s0, v5
	s_wait_alu 0xfffd
	v_add_co_ci_u32_e64 v6, null, s1, v6, vcc_lo
	s_wait_loadcnt_dscnt 0x0
	scratch_store_b64 off, v[7:8], off offset:8
	flat_load_b64 v[10:11], v[5:6]
	v_lshlrev_b64_e32 v[7:8], 3, v[12:13]
	s_delay_alu instid0(VALU_DEP_1) | instskip(SKIP_1) | instid1(VALU_DEP_2)
	v_add_co_u32 v7, vcc_lo, s0, v7
	s_wait_alu 0xfffd
	v_add_co_ci_u32_e64 v8, null, s1, v8, vcc_lo
	s_wait_loadcnt_dscnt 0x0
	scratch_store_b64 off, v[10:11], off offset:16
	flat_load_b64 v[13:14], v[7:8]
	v_add_nc_u32_e32 v11, s5, v12
	s_delay_alu instid0(VALU_DEP_1) | instskip(SKIP_1) | instid1(VALU_DEP_2)
	v_ashrrev_i32_e32 v12, 31, v11
	v_add_nc_u32_e32 v15, s5, v11
	v_lshlrev_b64_e32 v[9:10], 3, v[11:12]
	s_delay_alu instid0(VALU_DEP_2) | instskip(SKIP_1) | instid1(VALU_DEP_3)
	v_ashrrev_i32_e32 v16, 31, v15
	v_add_nc_u32_e32 v18, s5, v15
	v_add_co_u32 v9, vcc_lo, s0, v9
	s_wait_alu 0xfffd
	s_delay_alu instid0(VALU_DEP_4) | instskip(SKIP_2) | instid1(VALU_DEP_2)
	v_add_co_ci_u32_e64 v10, null, s1, v10, vcc_lo
	v_lshlrev_b64_e32 v[11:12], 3, v[15:16]
	v_ashrrev_i32_e32 v19, 31, v18
	v_add_co_u32 v11, vcc_lo, s0, v11
	s_wait_alu 0xfffd
	s_delay_alu instid0(VALU_DEP_3)
	v_add_co_ci_u32_e64 v12, null, s1, v12, vcc_lo
	s_wait_loadcnt_dscnt 0x0
	scratch_store_b64 off, v[13:14], off offset:24
	flat_load_b64 v[13:14], v[9:10]
	s_wait_loadcnt_dscnt 0x0
	scratch_store_b64 off, v[13:14], off offset:32
	flat_load_b64 v[16:17], v[11:12]
	v_lshlrev_b64_e32 v[13:14], 3, v[18:19]
	s_delay_alu instid0(VALU_DEP_1) | instskip(SKIP_1) | instid1(VALU_DEP_2)
	v_add_co_u32 v13, vcc_lo, s0, v13
	s_wait_alu 0xfffd
	v_add_co_ci_u32_e64 v14, null, s1, v14, vcc_lo
	s_wait_loadcnt_dscnt 0x0
	scratch_store_b64 off, v[16:17], off offset:40
	flat_load_b64 v[19:20], v[13:14]
	v_add_nc_u32_e32 v17, s5, v18
	s_delay_alu instid0(VALU_DEP_1) | instskip(SKIP_1) | instid1(VALU_DEP_2)
	v_ashrrev_i32_e32 v18, 31, v17
	v_add_nc_u32_e32 v21, s5, v17
	v_lshlrev_b64_e32 v[15:16], 3, v[17:18]
	s_delay_alu instid0(VALU_DEP_2) | instskip(SKIP_1) | instid1(VALU_DEP_3)
	v_ashrrev_i32_e32 v22, 31, v21
	v_add_nc_u32_e32 v24, s5, v21
	v_add_co_u32 v15, vcc_lo, s0, v15
	s_wait_alu 0xfffd
	s_delay_alu instid0(VALU_DEP_4) | instskip(SKIP_2) | instid1(VALU_DEP_2)
	v_add_co_ci_u32_e64 v16, null, s1, v16, vcc_lo
	v_lshlrev_b64_e32 v[17:18], 3, v[21:22]
	v_ashrrev_i32_e32 v25, 31, v24
	v_add_co_u32 v17, vcc_lo, s0, v17
	s_wait_alu 0xfffd
	s_delay_alu instid0(VALU_DEP_3)
	v_add_co_ci_u32_e64 v18, null, s1, v18, vcc_lo
	s_wait_loadcnt_dscnt 0x0
	scratch_store_b64 off, v[19:20], off offset:48
	flat_load_b64 v[19:20], v[15:16]
	;; [unrolled: 32-line block ×7, first 2 shown]
	s_wait_loadcnt_dscnt 0x0
	scratch_store_b64 off, v[49:50], off offset:176
	flat_load_b64 v[52:53], v[47:48]
	v_lshlrev_b64_e32 v[49:50], 3, v[54:55]
	s_delay_alu instid0(VALU_DEP_1) | instskip(SKIP_1) | instid1(VALU_DEP_2)
	v_add_co_u32 v49, vcc_lo, s0, v49
	s_wait_alu 0xfffd
	v_add_co_ci_u32_e64 v50, null, s1, v50, vcc_lo
	s_wait_loadcnt_dscnt 0x0
	scratch_store_b64 off, v[52:53], off offset:184
	flat_load_b64 v[55:56], v[49:50]
	v_add_nc_u32_e32 v53, s5, v54
	s_delay_alu instid0(VALU_DEP_1) | instskip(SKIP_1) | instid1(VALU_DEP_2)
	v_ashrrev_i32_e32 v54, 31, v53
	v_add_nc_u32_e32 v57, s5, v53
	v_lshlrev_b64_e32 v[51:52], 3, v[53:54]
	s_delay_alu instid0(VALU_DEP_2) | instskip(NEXT) | instid1(VALU_DEP_1)
	v_ashrrev_i32_e32 v58, 31, v57
	v_lshlrev_b64_e32 v[53:54], 3, v[57:58]
	s_delay_alu instid0(VALU_DEP_3) | instskip(SKIP_1) | instid1(VALU_DEP_4)
	v_add_co_u32 v51, vcc_lo, s0, v51
	s_wait_alu 0xfffd
	v_add_co_ci_u32_e64 v52, null, s1, v52, vcc_lo
	s_delay_alu instid0(VALU_DEP_3)
	v_add_co_u32 v53, vcc_lo, s0, v53
	s_wait_alu 0xfffd
	v_add_co_ci_u32_e64 v54, null, s1, v54, vcc_lo
	s_wait_loadcnt_dscnt 0x0
	scratch_store_b64 off, v[55:56], off offset:192
	flat_load_b64 v[55:56], v[51:52]
	s_wait_loadcnt_dscnt 0x0
	scratch_store_b64 off, v[55:56], off offset:200
	flat_load_b64 v[58:59], v[53:54]
	v_add_nc_u32_e32 v55, s5, v57
	s_delay_alu instid0(VALU_DEP_1) | instskip(NEXT) | instid1(VALU_DEP_1)
	v_ashrrev_i32_e32 v56, 31, v55
	v_lshlrev_b64_e32 v[55:56], 3, v[55:56]
	s_delay_alu instid0(VALU_DEP_1) | instskip(SKIP_1) | instid1(VALU_DEP_2)
	v_add_co_u32 v55, vcc_lo, s0, v55
	s_wait_alu 0xfffd
	v_add_co_ci_u32_e64 v56, null, s1, v56, vcc_lo
	s_mov_b32 s1, -1
	s_wait_loadcnt_dscnt 0x0
	scratch_store_b64 off, v[58:59], off offset:208
	flat_load_b64 v[57:58], v[55:56]
	s_wait_loadcnt_dscnt 0x0
	scratch_store_b64 off, v[57:58], off offset:216
	s_cbranch_scc1 .LBB91_124
; %bb.4:
	v_cmp_eq_u32_e64 s0, 0, v0
	s_and_saveexec_b32 s1, s0
; %bb.5:
	v_mov_b32_e32 v57, 0
	ds_store_b32 v57, v57 offset:448
; %bb.6:
	s_wait_alu 0xfffe
	s_or_b32 exec_lo, exec_lo, s1
	s_wait_storecnt_dscnt 0x0
	s_barrier_signal -1
	s_barrier_wait -1
	global_inv scope:SCOPE_SE
	scratch_load_b64 v[57:58], v63, off
	s_wait_loadcnt 0x0
	v_cmp_eq_f32_e32 vcc_lo, 0, v57
	v_cmp_eq_f32_e64 s1, 0, v58
	s_and_b32 s1, vcc_lo, s1
	s_wait_alu 0xfffe
	s_and_saveexec_b32 s4, s1
	s_cbranch_execz .LBB91_10
; %bb.7:
	v_mov_b32_e32 v57, 0
	s_mov_b32 s5, 0
	ds_load_b32 v58, v57 offset:448
	s_wait_dscnt 0x0
	v_readfirstlane_b32 s1, v58
	v_add_nc_u32_e32 v58, 1, v0
	s_cmp_eq_u32 s1, 0
	s_delay_alu instid0(VALU_DEP_1)
	v_cmp_gt_i32_e32 vcc_lo, s1, v58
	s_cselect_b32 s10, -1, 0
	s_wait_alu 0xfffe
	s_or_b32 s10, s10, vcc_lo
	s_wait_alu 0xfffe
	s_and_b32 exec_lo, exec_lo, s10
	s_cbranch_execz .LBB91_10
; %bb.8:
	v_mov_b32_e32 v59, s1
.LBB91_9:                               ; =>This Inner Loop Header: Depth=1
	ds_cmpstore_rtn_b32 v59, v57, v58, v59 offset:448
	s_wait_dscnt 0x0
	v_cmp_ne_u32_e32 vcc_lo, 0, v59
	v_cmp_le_i32_e64 s1, v59, v58
	s_and_b32 s1, vcc_lo, s1
	s_wait_alu 0xfffe
	s_and_b32 s1, exec_lo, s1
	s_wait_alu 0xfffe
	s_or_b32 s5, s1, s5
	s_wait_alu 0xfffe
	s_and_not1_b32 exec_lo, exec_lo, s5
	s_cbranch_execnz .LBB91_9
.LBB91_10:
	s_wait_alu 0xfffe
	s_or_b32 exec_lo, exec_lo, s4
	v_mov_b32_e32 v57, 0
	s_barrier_signal -1
	s_barrier_wait -1
	global_inv scope:SCOPE_SE
	ds_load_b32 v58, v57 offset:448
	s_and_saveexec_b32 s1, s0
	s_cbranch_execz .LBB91_12
; %bb.11:
	s_lshl_b64 s[4:5], s[8:9], 2
	s_wait_alu 0xfffe
	s_add_nc_u64 s[4:5], s[6:7], s[4:5]
	s_wait_dscnt 0x0
	global_store_b32 v57, v58, s[4:5]
.LBB91_12:
	s_wait_alu 0xfffe
	s_or_b32 exec_lo, exec_lo, s1
	s_wait_dscnt 0x0
	v_cmp_ne_u32_e32 vcc_lo, 0, v58
	s_mov_b32 s1, 0
	s_cbranch_vccnz .LBB91_124
; %bb.13:
	v_mov_b32_e32 v64, v63
                                        ; implicit-def: $vgpr59
                                        ; implicit-def: $vgpr61
	scratch_load_b64 v[57:58], v64, off
	s_wait_loadcnt 0x0
	v_cmp_ngt_f32_e64 s1, |v57|, |v58|
	s_wait_alu 0xfffe
	s_and_saveexec_b32 s4, s1
	s_wait_alu 0xfffe
	s_xor_b32 s1, exec_lo, s4
	s_cbranch_execz .LBB91_15
; %bb.14:
	v_div_scale_f32 v59, null, v58, v58, v57
	v_div_scale_f32 v62, vcc_lo, v57, v58, v57
	s_delay_alu instid0(VALU_DEP_2) | instskip(NEXT) | instid1(TRANS32_DEP_1)
	v_rcp_f32_e32 v60, v59
	v_fma_f32 v61, -v59, v60, 1.0
	s_delay_alu instid0(VALU_DEP_1) | instskip(NEXT) | instid1(VALU_DEP_1)
	v_fmac_f32_e32 v60, v61, v60
	v_mul_f32_e32 v61, v62, v60
	s_delay_alu instid0(VALU_DEP_1) | instskip(NEXT) | instid1(VALU_DEP_1)
	v_fma_f32 v65, -v59, v61, v62
	v_fmac_f32_e32 v61, v65, v60
	s_delay_alu instid0(VALU_DEP_1) | instskip(SKIP_1) | instid1(VALU_DEP_1)
	v_fma_f32 v59, -v59, v61, v62
	s_wait_alu 0xfffd
	v_div_fmas_f32 v59, v59, v60, v61
	s_delay_alu instid0(VALU_DEP_1) | instskip(NEXT) | instid1(VALU_DEP_1)
	v_div_fixup_f32 v59, v59, v58, v57
	v_fmac_f32_e32 v58, v57, v59
	s_delay_alu instid0(VALU_DEP_1) | instskip(NEXT) | instid1(VALU_DEP_1)
	v_div_scale_f32 v57, null, v58, v58, 1.0
	v_rcp_f32_e32 v60, v57
	s_delay_alu instid0(TRANS32_DEP_1) | instskip(NEXT) | instid1(VALU_DEP_1)
	v_fma_f32 v61, -v57, v60, 1.0
	v_fmac_f32_e32 v60, v61, v60
	v_div_scale_f32 v61, vcc_lo, 1.0, v58, 1.0
	s_delay_alu instid0(VALU_DEP_1) | instskip(NEXT) | instid1(VALU_DEP_1)
	v_mul_f32_e32 v62, v61, v60
	v_fma_f32 v65, -v57, v62, v61
	s_delay_alu instid0(VALU_DEP_1) | instskip(NEXT) | instid1(VALU_DEP_1)
	v_fmac_f32_e32 v62, v65, v60
	v_fma_f32 v57, -v57, v62, v61
	s_wait_alu 0xfffd
	s_delay_alu instid0(VALU_DEP_1) | instskip(NEXT) | instid1(VALU_DEP_1)
	v_div_fmas_f32 v57, v57, v60, v62
	v_div_fixup_f32 v57, v57, v58, 1.0
	s_delay_alu instid0(VALU_DEP_1) | instskip(SKIP_1) | instid1(VALU_DEP_2)
	v_mul_f32_e32 v59, v59, v57
	v_xor_b32_e32 v60, 0x80000000, v57
                                        ; implicit-def: $vgpr57_vgpr58
	v_xor_b32_e32 v61, 0x80000000, v59
.LBB91_15:
	s_wait_alu 0xfffe
	s_and_not1_saveexec_b32 s1, s1
	s_cbranch_execz .LBB91_17
; %bb.16:
	v_div_scale_f32 v59, null, v57, v57, v58
	v_div_scale_f32 v62, vcc_lo, v58, v57, v58
	s_delay_alu instid0(VALU_DEP_2) | instskip(NEXT) | instid1(TRANS32_DEP_1)
	v_rcp_f32_e32 v60, v59
	v_fma_f32 v61, -v59, v60, 1.0
	s_delay_alu instid0(VALU_DEP_1) | instskip(NEXT) | instid1(VALU_DEP_1)
	v_fmac_f32_e32 v60, v61, v60
	v_mul_f32_e32 v61, v62, v60
	s_delay_alu instid0(VALU_DEP_1) | instskip(NEXT) | instid1(VALU_DEP_1)
	v_fma_f32 v65, -v59, v61, v62
	v_fmac_f32_e32 v61, v65, v60
	s_delay_alu instid0(VALU_DEP_1) | instskip(SKIP_1) | instid1(VALU_DEP_1)
	v_fma_f32 v59, -v59, v61, v62
	s_wait_alu 0xfffd
	v_div_fmas_f32 v59, v59, v60, v61
	s_delay_alu instid0(VALU_DEP_1) | instskip(NEXT) | instid1(VALU_DEP_1)
	v_div_fixup_f32 v60, v59, v57, v58
	v_fmac_f32_e32 v57, v58, v60
	s_delay_alu instid0(VALU_DEP_1) | instskip(SKIP_1) | instid1(VALU_DEP_2)
	v_div_scale_f32 v58, null, v57, v57, 1.0
	v_div_scale_f32 v62, vcc_lo, 1.0, v57, 1.0
	v_rcp_f32_e32 v59, v58
	s_delay_alu instid0(TRANS32_DEP_1) | instskip(NEXT) | instid1(VALU_DEP_1)
	v_fma_f32 v61, -v58, v59, 1.0
	v_fmac_f32_e32 v59, v61, v59
	s_delay_alu instid0(VALU_DEP_1) | instskip(NEXT) | instid1(VALU_DEP_1)
	v_mul_f32_e32 v61, v62, v59
	v_fma_f32 v65, -v58, v61, v62
	s_delay_alu instid0(VALU_DEP_1) | instskip(NEXT) | instid1(VALU_DEP_1)
	v_fmac_f32_e32 v61, v65, v59
	v_fma_f32 v58, -v58, v61, v62
	s_wait_alu 0xfffd
	s_delay_alu instid0(VALU_DEP_1) | instskip(NEXT) | instid1(VALU_DEP_1)
	v_div_fmas_f32 v58, v58, v59, v61
	v_div_fixup_f32 v59, v58, v57, 1.0
	s_delay_alu instid0(VALU_DEP_1)
	v_xor_b32_e32 v61, 0x80000000, v59
	v_mul_f32_e64 v60, v60, -v59
.LBB91_17:
	s_wait_alu 0xfffe
	s_or_b32 exec_lo, exec_lo, s1
	scratch_store_b64 v64, v[59:60], off
	scratch_load_b64 v[58:59], off, off offset:8
	v_xor_b32_e32 v62, 0x80000000, v60
	v_add_nc_u32_e32 v57, 0xe0, v63
	s_wait_loadcnt 0x0
	ds_store_2addr_b64 v63, v[61:62], v[58:59] offset1:28
	s_wait_storecnt_dscnt 0x0
	s_barrier_signal -1
	s_barrier_wait -1
	global_inv scope:SCOPE_SE
	s_and_saveexec_b32 s1, s0
	s_cbranch_execz .LBB91_19
; %bb.18:
	scratch_load_b64 v[58:59], v64, off
	ds_load_b64 v[60:61], v57
	v_mov_b32_e32 v62, 0
	ds_load_b64 v[65:66], v62 offset:8
	s_wait_loadcnt_dscnt 0x1
	v_mul_f32_e32 v62, v60, v59
	v_mul_f32_e32 v59, v61, v59
	s_delay_alu instid0(VALU_DEP_2) | instskip(NEXT) | instid1(VALU_DEP_2)
	v_fmac_f32_e32 v62, v61, v58
	v_fma_f32 v58, v60, v58, -v59
	s_delay_alu instid0(VALU_DEP_2) | instskip(NEXT) | instid1(VALU_DEP_2)
	v_add_f32_e32 v60, 0, v62
	v_add_f32_e32 v58, 0, v58
	s_wait_dscnt 0x0
	s_delay_alu instid0(VALU_DEP_2) | instskip(NEXT) | instid1(VALU_DEP_2)
	v_mul_f32_e32 v61, v60, v66
	v_mul_f32_e32 v59, v58, v66
	s_delay_alu instid0(VALU_DEP_2) | instskip(NEXT) | instid1(VALU_DEP_2)
	v_fma_f32 v58, v58, v65, -v61
	v_fmac_f32_e32 v59, v60, v65
	scratch_store_b64 off, v[58:59], off offset:8
.LBB91_19:
	s_wait_alu 0xfffe
	s_or_b32 exec_lo, exec_lo, s1
	s_wait_loadcnt 0x0
	s_wait_storecnt 0x0
	s_barrier_signal -1
	s_barrier_wait -1
	global_inv scope:SCOPE_SE
	scratch_load_b64 v[58:59], off, off offset:16
	s_mov_b32 s1, exec_lo
	s_wait_loadcnt 0x0
	ds_store_b64 v57, v[58:59]
	s_wait_dscnt 0x0
	s_barrier_signal -1
	s_barrier_wait -1
	global_inv scope:SCOPE_SE
	v_cmpx_gt_u32_e32 2, v0
	s_cbranch_execz .LBB91_23
; %bb.20:
	scratch_load_b64 v[58:59], v64, off
	ds_load_b64 v[60:61], v57
	s_wait_loadcnt_dscnt 0x0
	v_mul_f32_e32 v62, v61, v59
	v_mul_f32_e32 v65, v60, v59
	s_delay_alu instid0(VALU_DEP_2) | instskip(NEXT) | instid1(VALU_DEP_2)
	v_fma_f32 v59, v60, v58, -v62
	v_fmac_f32_e32 v65, v61, v58
	s_delay_alu instid0(VALU_DEP_1)
	v_dual_add_f32 v59, 0, v59 :: v_dual_add_f32 v58, 0, v65
	s_and_saveexec_b32 s4, s0
	s_cbranch_execz .LBB91_22
; %bb.21:
	scratch_load_b64 v[60:61], off, off offset:8
	v_mov_b32_e32 v62, 0
	ds_load_b64 v[65:66], v62 offset:232
	s_wait_loadcnt_dscnt 0x0
	v_mul_f32_e32 v62, v65, v61
	v_mul_f32_e32 v61, v66, v61
	s_delay_alu instid0(VALU_DEP_2) | instskip(NEXT) | instid1(VALU_DEP_2)
	v_fmac_f32_e32 v62, v66, v60
	v_fma_f32 v60, v65, v60, -v61
	s_delay_alu instid0(VALU_DEP_1)
	v_dual_add_f32 v58, v58, v62 :: v_dual_add_f32 v59, v59, v60
.LBB91_22:
	s_wait_alu 0xfffe
	s_or_b32 exec_lo, exec_lo, s4
	v_mov_b32_e32 v60, 0
	ds_load_b64 v[60:61], v60 offset:16
	s_wait_dscnt 0x0
	v_mul_f32_e32 v65, v58, v61
	v_mul_f32_e32 v62, v59, v61
	s_delay_alu instid0(VALU_DEP_2) | instskip(NEXT) | instid1(VALU_DEP_2)
	v_fma_f32 v61, v59, v60, -v65
	v_fmac_f32_e32 v62, v58, v60
	scratch_store_b64 off, v[61:62], off offset:16
.LBB91_23:
	s_wait_alu 0xfffe
	s_or_b32 exec_lo, exec_lo, s1
	s_wait_loadcnt 0x0
	s_wait_storecnt 0x0
	s_barrier_signal -1
	s_barrier_wait -1
	global_inv scope:SCOPE_SE
	scratch_load_b64 v[59:60], off, off offset:24
	v_add_nc_u32_e32 v58, -1, v0
	s_mov_b32 s0, exec_lo
	s_wait_loadcnt 0x0
	ds_store_b64 v57, v[59:60]
	s_wait_dscnt 0x0
	s_barrier_signal -1
	s_barrier_wait -1
	global_inv scope:SCOPE_SE
	v_cmpx_gt_u32_e32 3, v0
	s_cbranch_execz .LBB91_27
; %bb.24:
	v_dual_mov_b32 v59, 0 :: v_dual_add_nc_u32 v60, -1, v0
	v_dual_mov_b32 v62, v63 :: v_dual_add_nc_u32 v61, 0xe0, v63
	v_mov_b32_e32 v65, 0
	s_mov_b32 s1, 0
.LBB91_25:                              ; =>This Inner Loop Header: Depth=1
	scratch_load_b64 v[66:67], v62, off
	ds_load_b64 v[68:69], v61
	v_add_nc_u32_e32 v60, 1, v60
	v_add_nc_u32_e32 v61, 8, v61
	s_delay_alu instid0(VALU_DEP_2)
	v_cmp_lt_u32_e32 vcc_lo, 1, v60
	s_wait_alu 0xfffe
	s_or_b32 s1, vcc_lo, s1
	s_wait_loadcnt_dscnt 0x0
	v_mul_f32_e32 v70, v69, v67
	v_mul_f32_e32 v67, v68, v67
	s_delay_alu instid0(VALU_DEP_2) | instskip(NEXT) | instid1(VALU_DEP_2)
	v_fma_f32 v68, v68, v66, -v70
	v_fmac_f32_e32 v67, v69, v66
	s_delay_alu instid0(VALU_DEP_2) | instskip(NEXT) | instid1(VALU_DEP_2)
	v_dual_add_f32 v65, v65, v68 :: v_dual_add_nc_u32 v62, 8, v62
	v_add_f32_e32 v59, v59, v67
	s_wait_alu 0xfffe
	s_and_not1_b32 exec_lo, exec_lo, s1
	s_cbranch_execnz .LBB91_25
; %bb.26:
	s_or_b32 exec_lo, exec_lo, s1
	v_mov_b32_e32 v60, 0
	ds_load_b64 v[60:61], v60 offset:24
	s_wait_dscnt 0x0
	v_mul_f32_e32 v66, v59, v61
	v_mul_f32_e32 v62, v65, v61
	s_delay_alu instid0(VALU_DEP_2) | instskip(NEXT) | instid1(VALU_DEP_2)
	v_fma_f32 v61, v65, v60, -v66
	v_fmac_f32_e32 v62, v59, v60
	scratch_store_b64 off, v[61:62], off offset:24
.LBB91_27:
	s_wait_alu 0xfffe
	s_or_b32 exec_lo, exec_lo, s0
	s_wait_loadcnt 0x0
	s_wait_storecnt 0x0
	s_barrier_signal -1
	s_barrier_wait -1
	global_inv scope:SCOPE_SE
	scratch_load_b64 v[59:60], off, off offset:32
	s_mov_b32 s0, exec_lo
	s_wait_loadcnt 0x0
	ds_store_b64 v57, v[59:60]
	s_wait_dscnt 0x0
	s_barrier_signal -1
	s_barrier_wait -1
	global_inv scope:SCOPE_SE
	v_cmpx_gt_u32_e32 4, v0
	s_cbranch_execz .LBB91_31
; %bb.28:
	v_dual_mov_b32 v59, 0 :: v_dual_add_nc_u32 v60, -1, v0
	v_dual_mov_b32 v62, v63 :: v_dual_add_nc_u32 v61, 0xe0, v63
	v_mov_b32_e32 v65, 0
	s_mov_b32 s1, 0
.LBB91_29:                              ; =>This Inner Loop Header: Depth=1
	scratch_load_b64 v[66:67], v62, off
	ds_load_b64 v[68:69], v61
	v_add_nc_u32_e32 v60, 1, v60
	v_add_nc_u32_e32 v61, 8, v61
	s_delay_alu instid0(VALU_DEP_2)
	v_cmp_lt_u32_e32 vcc_lo, 2, v60
	s_wait_alu 0xfffe
	s_or_b32 s1, vcc_lo, s1
	s_wait_loadcnt_dscnt 0x0
	v_mul_f32_e32 v70, v69, v67
	v_mul_f32_e32 v67, v68, v67
	s_delay_alu instid0(VALU_DEP_2) | instskip(NEXT) | instid1(VALU_DEP_2)
	v_fma_f32 v68, v68, v66, -v70
	v_fmac_f32_e32 v67, v69, v66
	s_delay_alu instid0(VALU_DEP_2) | instskip(NEXT) | instid1(VALU_DEP_2)
	v_dual_add_f32 v65, v65, v68 :: v_dual_add_nc_u32 v62, 8, v62
	v_add_f32_e32 v59, v59, v67
	s_wait_alu 0xfffe
	s_and_not1_b32 exec_lo, exec_lo, s1
	s_cbranch_execnz .LBB91_29
; %bb.30:
	s_or_b32 exec_lo, exec_lo, s1
	v_mov_b32_e32 v60, 0
	ds_load_b64 v[60:61], v60 offset:32
	s_wait_dscnt 0x0
	v_mul_f32_e32 v66, v59, v61
	v_mul_f32_e32 v62, v65, v61
	s_delay_alu instid0(VALU_DEP_2) | instskip(NEXT) | instid1(VALU_DEP_2)
	v_fma_f32 v61, v65, v60, -v66
	v_fmac_f32_e32 v62, v59, v60
	scratch_store_b64 off, v[61:62], off offset:32
.LBB91_31:
	s_wait_alu 0xfffe
	s_or_b32 exec_lo, exec_lo, s0
	s_wait_loadcnt 0x0
	s_wait_storecnt 0x0
	s_barrier_signal -1
	s_barrier_wait -1
	global_inv scope:SCOPE_SE
	scratch_load_b64 v[59:60], off, off offset:40
	;; [unrolled: 55-line block ×19, first 2 shown]
	s_mov_b32 s0, exec_lo
	s_wait_loadcnt 0x0
	ds_store_b64 v57, v[59:60]
	s_wait_dscnt 0x0
	s_barrier_signal -1
	s_barrier_wait -1
	global_inv scope:SCOPE_SE
	v_cmpx_gt_u32_e32 22, v0
	s_cbranch_execz .LBB91_103
; %bb.100:
	v_dual_mov_b32 v59, 0 :: v_dual_add_nc_u32 v60, -1, v0
	v_dual_mov_b32 v62, v63 :: v_dual_add_nc_u32 v61, 0xe0, v63
	v_mov_b32_e32 v65, 0
	s_mov_b32 s1, 0
.LBB91_101:                             ; =>This Inner Loop Header: Depth=1
	scratch_load_b64 v[66:67], v62, off
	ds_load_b64 v[68:69], v61
	v_add_nc_u32_e32 v60, 1, v60
	v_add_nc_u32_e32 v61, 8, v61
	s_delay_alu instid0(VALU_DEP_2)
	v_cmp_lt_u32_e32 vcc_lo, 20, v60
	s_wait_alu 0xfffe
	s_or_b32 s1, vcc_lo, s1
	s_wait_loadcnt_dscnt 0x0
	v_mul_f32_e32 v70, v69, v67
	v_mul_f32_e32 v67, v68, v67
	s_delay_alu instid0(VALU_DEP_2) | instskip(NEXT) | instid1(VALU_DEP_2)
	v_fma_f32 v68, v68, v66, -v70
	v_fmac_f32_e32 v67, v69, v66
	s_delay_alu instid0(VALU_DEP_2) | instskip(NEXT) | instid1(VALU_DEP_2)
	v_dual_add_f32 v65, v65, v68 :: v_dual_add_nc_u32 v62, 8, v62
	v_add_f32_e32 v59, v59, v67
	s_wait_alu 0xfffe
	s_and_not1_b32 exec_lo, exec_lo, s1
	s_cbranch_execnz .LBB91_101
; %bb.102:
	s_or_b32 exec_lo, exec_lo, s1
	v_mov_b32_e32 v60, 0
	ds_load_b64 v[60:61], v60 offset:176
	s_wait_dscnt 0x0
	v_mul_f32_e32 v66, v59, v61
	v_mul_f32_e32 v62, v65, v61
	s_delay_alu instid0(VALU_DEP_2) | instskip(NEXT) | instid1(VALU_DEP_2)
	v_fma_f32 v61, v65, v60, -v66
	v_fmac_f32_e32 v62, v59, v60
	scratch_store_b64 off, v[61:62], off offset:176
.LBB91_103:
	s_wait_alu 0xfffe
	s_or_b32 exec_lo, exec_lo, s0
	s_wait_loadcnt 0x0
	s_wait_storecnt 0x0
	s_barrier_signal -1
	s_barrier_wait -1
	global_inv scope:SCOPE_SE
	scratch_load_b64 v[59:60], off, off offset:184
	s_mov_b32 s0, exec_lo
	s_wait_loadcnt 0x0
	ds_store_b64 v57, v[59:60]
	s_wait_dscnt 0x0
	s_barrier_signal -1
	s_barrier_wait -1
	global_inv scope:SCOPE_SE
	v_cmpx_gt_u32_e32 23, v0
	s_cbranch_execz .LBB91_107
; %bb.104:
	v_dual_mov_b32 v59, 0 :: v_dual_add_nc_u32 v60, -1, v0
	v_dual_mov_b32 v62, v63 :: v_dual_add_nc_u32 v61, 0xe0, v63
	v_mov_b32_e32 v65, 0
	s_mov_b32 s1, 0
.LBB91_105:                             ; =>This Inner Loop Header: Depth=1
	scratch_load_b64 v[66:67], v62, off
	ds_load_b64 v[68:69], v61
	v_add_nc_u32_e32 v60, 1, v60
	v_add_nc_u32_e32 v61, 8, v61
	s_delay_alu instid0(VALU_DEP_2)
	v_cmp_lt_u32_e32 vcc_lo, 21, v60
	s_wait_alu 0xfffe
	s_or_b32 s1, vcc_lo, s1
	s_wait_loadcnt_dscnt 0x0
	v_mul_f32_e32 v70, v69, v67
	v_mul_f32_e32 v67, v68, v67
	s_delay_alu instid0(VALU_DEP_2) | instskip(NEXT) | instid1(VALU_DEP_2)
	v_fma_f32 v68, v68, v66, -v70
	v_fmac_f32_e32 v67, v69, v66
	s_delay_alu instid0(VALU_DEP_2) | instskip(NEXT) | instid1(VALU_DEP_2)
	v_dual_add_f32 v65, v65, v68 :: v_dual_add_nc_u32 v62, 8, v62
	v_add_f32_e32 v59, v59, v67
	s_wait_alu 0xfffe
	s_and_not1_b32 exec_lo, exec_lo, s1
	s_cbranch_execnz .LBB91_105
; %bb.106:
	s_or_b32 exec_lo, exec_lo, s1
	v_mov_b32_e32 v60, 0
	ds_load_b64 v[60:61], v60 offset:184
	s_wait_dscnt 0x0
	v_mul_f32_e32 v66, v59, v61
	v_mul_f32_e32 v62, v65, v61
	s_delay_alu instid0(VALU_DEP_2) | instskip(NEXT) | instid1(VALU_DEP_2)
	v_fma_f32 v61, v65, v60, -v66
	v_fmac_f32_e32 v62, v59, v60
	scratch_store_b64 off, v[61:62], off offset:184
.LBB91_107:
	s_wait_alu 0xfffe
	s_or_b32 exec_lo, exec_lo, s0
	s_wait_loadcnt 0x0
	s_wait_storecnt 0x0
	s_barrier_signal -1
	s_barrier_wait -1
	global_inv scope:SCOPE_SE
	scratch_load_b64 v[59:60], off, off offset:192
	;; [unrolled: 55-line block ×4, first 2 shown]
	s_mov_b32 s0, exec_lo
	s_wait_loadcnt 0x0
	ds_store_b64 v57, v[59:60]
	s_wait_dscnt 0x0
	s_barrier_signal -1
	s_barrier_wait -1
	global_inv scope:SCOPE_SE
	v_cmpx_gt_u32_e32 26, v0
	s_cbranch_execz .LBB91_119
; %bb.116:
	v_dual_mov_b32 v59, 0 :: v_dual_add_nc_u32 v60, -1, v0
	v_dual_mov_b32 v62, v63 :: v_dual_add_nc_u32 v61, 0xe0, v63
	v_mov_b32_e32 v63, 0
	s_mov_b32 s1, 0
.LBB91_117:                             ; =>This Inner Loop Header: Depth=1
	scratch_load_b64 v[65:66], v62, off
	ds_load_b64 v[67:68], v61
	v_add_nc_u32_e32 v62, 8, v62
	v_add_nc_u32_e32 v60, 1, v60
	v_add_nc_u32_e32 v61, 8, v61
	s_delay_alu instid0(VALU_DEP_2)
	v_cmp_lt_u32_e32 vcc_lo, 24, v60
	s_wait_alu 0xfffe
	s_or_b32 s1, vcc_lo, s1
	s_wait_loadcnt_dscnt 0x0
	v_mul_f32_e32 v69, v68, v66
	v_mul_f32_e32 v66, v67, v66
	s_delay_alu instid0(VALU_DEP_2) | instskip(NEXT) | instid1(VALU_DEP_1)
	v_fma_f32 v67, v67, v65, -v69
	v_dual_fmac_f32 v66, v68, v65 :: v_dual_add_f32 v63, v63, v67
	s_delay_alu instid0(VALU_DEP_1)
	v_add_f32_e32 v59, v59, v66
	s_wait_alu 0xfffe
	s_and_not1_b32 exec_lo, exec_lo, s1
	s_cbranch_execnz .LBB91_117
; %bb.118:
	s_or_b32 exec_lo, exec_lo, s1
	v_mov_b32_e32 v60, 0
	ds_load_b64 v[60:61], v60 offset:208
	s_wait_dscnt 0x0
	v_mul_f32_e32 v65, v59, v61
	v_mul_f32_e32 v62, v63, v61
	s_delay_alu instid0(VALU_DEP_2) | instskip(NEXT) | instid1(VALU_DEP_2)
	v_fma_f32 v61, v63, v60, -v65
	v_fmac_f32_e32 v62, v59, v60
	scratch_store_b64 off, v[61:62], off offset:208
.LBB91_119:
	s_wait_alu 0xfffe
	s_or_b32 exec_lo, exec_lo, s0
	s_wait_loadcnt 0x0
	s_wait_storecnt 0x0
	s_barrier_signal -1
	s_barrier_wait -1
	global_inv scope:SCOPE_SE
	scratch_load_b64 v[59:60], off, off offset:216
	s_mov_b32 s0, exec_lo
	s_wait_loadcnt 0x0
	ds_store_b64 v57, v[59:60]
	s_wait_dscnt 0x0
	s_barrier_signal -1
	s_barrier_wait -1
	global_inv scope:SCOPE_SE
	v_cmpx_ne_u32_e32 27, v0
	s_cbranch_execz .LBB91_123
; %bb.120:
	v_dual_mov_b32 v59, 0 :: v_dual_mov_b32 v60, 0
	s_mov_b32 s1, 0
.LBB91_121:                             ; =>This Inner Loop Header: Depth=1
	scratch_load_b64 v[61:62], v64, off
	ds_load_b64 v[65:66], v57
	v_add_nc_u32_e32 v58, 1, v58
	v_add_nc_u32_e32 v57, 8, v57
	;; [unrolled: 1-line block ×3, first 2 shown]
	s_delay_alu instid0(VALU_DEP_3)
	v_cmp_lt_u32_e32 vcc_lo, 25, v58
	s_wait_alu 0xfffe
	s_or_b32 s1, vcc_lo, s1
	s_wait_loadcnt_dscnt 0x0
	v_mul_f32_e32 v63, v66, v62
	v_mul_f32_e32 v62, v65, v62
	s_delay_alu instid0(VALU_DEP_2) | instskip(NEXT) | instid1(VALU_DEP_2)
	v_fma_f32 v63, v65, v61, -v63
	v_fmac_f32_e32 v62, v66, v61
	s_delay_alu instid0(VALU_DEP_1)
	v_dual_add_f32 v60, v60, v63 :: v_dual_add_f32 v59, v59, v62
	s_wait_alu 0xfffe
	s_and_not1_b32 exec_lo, exec_lo, s1
	s_cbranch_execnz .LBB91_121
; %bb.122:
	s_or_b32 exec_lo, exec_lo, s1
	v_mov_b32_e32 v57, 0
	ds_load_b64 v[57:58], v57 offset:216
	s_wait_dscnt 0x0
	v_mul_f32_e32 v62, v59, v58
	v_mul_f32_e32 v61, v60, v58
	s_delay_alu instid0(VALU_DEP_2) | instskip(NEXT) | instid1(VALU_DEP_2)
	v_fma_f32 v60, v60, v57, -v62
	v_fmac_f32_e32 v61, v59, v57
	scratch_store_b64 off, v[60:61], off offset:216
.LBB91_123:
	s_wait_alu 0xfffe
	s_or_b32 exec_lo, exec_lo, s0
	s_mov_b32 s1, -1
	s_wait_loadcnt 0x0
	s_wait_storecnt 0x0
	s_barrier_signal -1
	s_barrier_wait -1
	global_inv scope:SCOPE_SE
.LBB91_124:
	s_wait_alu 0xfffe
	s_and_b32 vcc_lo, exec_lo, s1
	s_wait_alu 0xfffe
	s_cbranch_vccz .LBB91_126
; %bb.125:
	v_mov_b32_e32 v57, 0
	s_lshl_b64 s[0:1], s[8:9], 2
	s_wait_alu 0xfffe
	s_add_nc_u64 s[0:1], s[6:7], s[0:1]
	global_load_b32 v57, v57, s[0:1]
	s_wait_loadcnt 0x0
	v_cmp_ne_u32_e32 vcc_lo, 0, v57
	s_cbranch_vccz .LBB91_127
.LBB91_126:
	s_nop 0
	s_sendmsg sendmsg(MSG_DEALLOC_VGPRS)
	s_endpgm
.LBB91_127:
	v_lshl_add_u32 v59, v0, 3, 0xe0
	s_mov_b32 s0, exec_lo
	v_cmpx_eq_u32_e32 27, v0
	s_cbranch_execz .LBB91_129
; %bb.128:
	scratch_load_b64 v[57:58], off, off offset:208
	v_mov_b32_e32 v60, 0
	s_delay_alu instid0(VALU_DEP_1)
	v_mov_b32_e32 v61, v60
	scratch_store_b64 off, v[60:61], off offset:208
	s_wait_loadcnt 0x0
	ds_store_b64 v59, v[57:58]
.LBB91_129:
	s_wait_alu 0xfffe
	s_or_b32 exec_lo, exec_lo, s0
	s_wait_storecnt_dscnt 0x0
	s_barrier_signal -1
	s_barrier_wait -1
	global_inv scope:SCOPE_SE
	s_clause 0x1
	scratch_load_b64 v[60:61], off, off offset:216
	scratch_load_b64 v[62:63], off, off offset:208
	v_mov_b32_e32 v57, 0
	s_mov_b32 s0, exec_lo
	ds_load_b64 v[64:65], v57 offset:440
	s_wait_loadcnt_dscnt 0x100
	v_mul_f32_e32 v58, v65, v61
	s_delay_alu instid0(VALU_DEP_1) | instskip(NEXT) | instid1(VALU_DEP_1)
	v_fma_f32 v58, v64, v60, -v58
	v_dual_mul_f32 v61, v64, v61 :: v_dual_add_f32 v58, 0, v58
	s_wait_loadcnt 0x0
	s_delay_alu instid0(VALU_DEP_1) | instskip(NEXT) | instid1(VALU_DEP_1)
	v_dual_fmac_f32 v61, v65, v60 :: v_dual_sub_f32 v60, v62, v58
	v_add_f32_e32 v61, 0, v61
	s_delay_alu instid0(VALU_DEP_1)
	v_sub_f32_e32 v61, v63, v61
	scratch_store_b64 off, v[60:61], off offset:208
	v_cmpx_lt_u32_e32 25, v0
	s_cbranch_execz .LBB91_131
; %bb.130:
	scratch_load_b64 v[60:61], off, off offset:200
	v_mov_b32_e32 v58, v57
	scratch_store_b64 off, v[57:58], off offset:200
	s_wait_loadcnt 0x0
	ds_store_b64 v59, v[60:61]
.LBB91_131:
	s_wait_alu 0xfffe
	s_or_b32 exec_lo, exec_lo, s0
	s_wait_storecnt_dscnt 0x0
	s_barrier_signal -1
	s_barrier_wait -1
	global_inv scope:SCOPE_SE
	s_clause 0x1
	scratch_load_b128 v[60:63], off, off offset:208
	scratch_load_b64 v[68:69], off, off offset:200
	ds_load_b128 v[64:67], v57 offset:432
	s_mov_b32 s0, exec_lo
	s_wait_loadcnt_dscnt 0x100
	v_mul_f32_e32 v58, v64, v61
	s_delay_alu instid0(VALU_DEP_1) | instskip(SKIP_2) | instid1(VALU_DEP_1)
	v_fmac_f32_e32 v58, v65, v60
	v_mul_f32_e32 v57, v65, v61
	v_mul_f32_e32 v61, v66, v63
	v_fmac_f32_e32 v61, v67, v62
	s_delay_alu instid0(VALU_DEP_4) | instskip(NEXT) | instid1(VALU_DEP_4)
	v_dual_add_f32 v58, 0, v58 :: v_dual_mul_f32 v63, v67, v63
	v_fma_f32 v57, v64, v60, -v57
	s_delay_alu instid0(VALU_DEP_2) | instskip(NEXT) | instid1(VALU_DEP_3)
	v_add_f32_e32 v58, v58, v61
	v_fma_f32 v60, v66, v62, -v63
	s_wait_loadcnt 0x0
	s_delay_alu instid0(VALU_DEP_2) | instskip(NEXT) | instid1(VALU_DEP_1)
	v_dual_add_f32 v57, 0, v57 :: v_dual_sub_f32 v58, v69, v58
	v_add_f32_e32 v57, v57, v60
	s_delay_alu instid0(VALU_DEP_1)
	v_sub_f32_e32 v57, v68, v57
	scratch_store_b64 off, v[57:58], off offset:200
	v_cmpx_lt_u32_e32 24, v0
	s_cbranch_execz .LBB91_133
; %bb.132:
	scratch_load_b64 v[57:58], off, off offset:192
	v_mov_b32_e32 v60, 0
	s_delay_alu instid0(VALU_DEP_1)
	v_mov_b32_e32 v61, v60
	scratch_store_b64 off, v[60:61], off offset:192
	s_wait_loadcnt 0x0
	ds_store_b64 v59, v[57:58]
.LBB91_133:
	s_wait_alu 0xfffe
	s_or_b32 exec_lo, exec_lo, s0
	s_wait_storecnt_dscnt 0x0
	s_barrier_signal -1
	s_barrier_wait -1
	global_inv scope:SCOPE_SE
	s_clause 0x2
	scratch_load_b128 v[60:63], off, off offset:200
	scratch_load_b64 v[68:69], off, off offset:216
	scratch_load_b64 v[70:71], off, off offset:192
	v_mov_b32_e32 v57, 0
	ds_load_2addr_b64 v[64:67], v57 offset0:53 offset1:54
	ds_load_b64 v[72:73], v57 offset:440
	s_mov_b32 s0, exec_lo
	s_wait_loadcnt_dscnt 0x201
	v_mul_f32_e32 v58, v65, v61
	v_dual_mul_f32 v61, v64, v61 :: v_dual_mul_f32 v74, v66, v63
	v_mul_f32_e32 v63, v67, v63
	s_wait_loadcnt_dscnt 0x100
	v_mul_f32_e32 v75, v72, v69
	v_fma_f32 v58, v64, v60, -v58
	v_fmac_f32_e32 v61, v65, v60
	v_mul_f32_e32 v60, v73, v69
	v_fmac_f32_e32 v74, v67, v62
	v_fma_f32 v62, v66, v62, -v63
	s_delay_alu instid0(VALU_DEP_4) | instskip(NEXT) | instid1(VALU_DEP_4)
	v_dual_add_f32 v58, 0, v58 :: v_dual_add_f32 v61, 0, v61
	v_fma_f32 v60, v72, v68, -v60
	s_delay_alu instid0(VALU_DEP_2) | instskip(NEXT) | instid1(VALU_DEP_1)
	v_add_f32_e32 v58, v58, v62
	v_dual_add_f32 v61, v61, v74 :: v_dual_add_f32 v58, v58, v60
	s_wait_loadcnt 0x0
	s_delay_alu instid0(VALU_DEP_1) | instskip(NEXT) | instid1(VALU_DEP_1)
	v_dual_fmac_f32 v75, v73, v68 :: v_dual_sub_f32 v60, v70, v58
	v_add_f32_e32 v61, v61, v75
	s_delay_alu instid0(VALU_DEP_1)
	v_sub_f32_e32 v61, v71, v61
	scratch_store_b64 off, v[60:61], off offset:192
	v_cmpx_lt_u32_e32 23, v0
	s_cbranch_execz .LBB91_135
; %bb.134:
	scratch_load_b64 v[60:61], off, off offset:184
	v_mov_b32_e32 v58, v57
	scratch_store_b64 off, v[57:58], off offset:184
	s_wait_loadcnt 0x0
	ds_store_b64 v59, v[60:61]
.LBB91_135:
	s_wait_alu 0xfffe
	s_or_b32 exec_lo, exec_lo, s0
	s_wait_storecnt_dscnt 0x0
	s_barrier_signal -1
	s_barrier_wait -1
	global_inv scope:SCOPE_SE
	s_clause 0x2
	scratch_load_b128 v[60:63], off, off offset:192
	scratch_load_b128 v[64:67], off, off offset:208
	scratch_load_b64 v[76:77], off, off offset:184
	ds_load_b128 v[68:71], v57 offset:416
	ds_load_b128 v[72:75], v57 offset:432
	s_mov_b32 s0, exec_lo
	s_wait_loadcnt_dscnt 0x201
	v_mul_f32_e32 v58, v69, v61
	s_wait_loadcnt_dscnt 0x100
	v_dual_mul_f32 v78, v72, v65 :: v_dual_mul_f32 v79, v74, v67
	s_delay_alu instid0(VALU_DEP_2) | instskip(SKIP_2) | instid1(VALU_DEP_4)
	v_fma_f32 v58, v68, v60, -v58
	v_mul_f32_e32 v57, v68, v61
	v_mul_f32_e32 v61, v70, v63
	v_dual_mul_f32 v63, v71, v63 :: v_dual_fmac_f32 v78, v73, v64
	s_delay_alu instid0(VALU_DEP_3) | instskip(NEXT) | instid1(VALU_DEP_3)
	v_dual_add_f32 v58, 0, v58 :: v_dual_fmac_f32 v57, v69, v60
	v_dual_mul_f32 v60, v73, v65 :: v_dual_fmac_f32 v61, v71, v62
	s_delay_alu instid0(VALU_DEP_3) | instskip(SKIP_1) | instid1(VALU_DEP_3)
	v_fma_f32 v62, v70, v62, -v63
	v_fmac_f32_e32 v79, v75, v66
	v_fma_f32 v60, v72, v64, -v60
	s_delay_alu instid0(VALU_DEP_3) | instskip(NEXT) | instid1(VALU_DEP_1)
	v_dual_add_f32 v58, v58, v62 :: v_dual_add_f32 v57, 0, v57
	v_dual_add_f32 v58, v58, v60 :: v_dual_mul_f32 v63, v75, v67
	s_delay_alu instid0(VALU_DEP_2) | instskip(NEXT) | instid1(VALU_DEP_2)
	v_add_f32_e32 v57, v57, v61
	v_fma_f32 v61, v74, v66, -v63
	s_delay_alu instid0(VALU_DEP_1) | instskip(SKIP_1) | instid1(VALU_DEP_1)
	v_dual_add_f32 v57, v57, v78 :: v_dual_add_f32 v58, v58, v61
	s_wait_loadcnt 0x0
	v_dual_add_f32 v60, v57, v79 :: v_dual_sub_f32 v57, v76, v58
	s_delay_alu instid0(VALU_DEP_1)
	v_sub_f32_e32 v58, v77, v60
	scratch_store_b64 off, v[57:58], off offset:184
	v_cmpx_lt_u32_e32 22, v0
	s_cbranch_execz .LBB91_137
; %bb.136:
	scratch_load_b64 v[57:58], off, off offset:176
	v_mov_b32_e32 v60, 0
	s_delay_alu instid0(VALU_DEP_1)
	v_mov_b32_e32 v61, v60
	scratch_store_b64 off, v[60:61], off offset:176
	s_wait_loadcnt 0x0
	ds_store_b64 v59, v[57:58]
.LBB91_137:
	s_wait_alu 0xfffe
	s_or_b32 exec_lo, exec_lo, s0
	s_wait_storecnt_dscnt 0x0
	s_barrier_signal -1
	s_barrier_wait -1
	global_inv scope:SCOPE_SE
	s_clause 0x3
	scratch_load_b128 v[60:63], off, off offset:184
	scratch_load_b128 v[64:67], off, off offset:200
	scratch_load_b64 v[76:77], off, off offset:216
	scratch_load_b64 v[78:79], off, off offset:176
	v_mov_b32_e32 v57, 0
	ds_load_2addr_b64 v[68:71], v57 offset0:51 offset1:52
	ds_load_2addr_b64 v[72:75], v57 offset0:53 offset1:54
	ds_load_b64 v[80:81], v57 offset:440
	s_mov_b32 s0, exec_lo
	s_wait_loadcnt_dscnt 0x302
	v_mul_f32_e32 v58, v68, v61
	v_dual_mul_f32 v82, v70, v63 :: v_dual_mul_f32 v61, v69, v61
	s_wait_loadcnt_dscnt 0x100
	v_mul_f32_e32 v85, v80, v77
	v_dual_mul_f32 v83, v72, v65 :: v_dual_mul_f32 v84, v74, v67
	v_dual_fmac_f32 v58, v69, v60 :: v_dual_mul_f32 v63, v71, v63
	v_fma_f32 v61, v68, v60, -v61
	v_fmac_f32_e32 v82, v71, v62
	v_mul_f32_e32 v60, v73, v65
	s_delay_alu instid0(VALU_DEP_4) | instskip(SKIP_3) | instid1(VALU_DEP_4)
	v_add_f32_e32 v58, 0, v58
	v_fma_f32 v62, v70, v62, -v63
	v_add_f32_e32 v61, 0, v61
	v_mul_f32_e32 v63, v75, v67
	v_dual_fmac_f32 v83, v73, v64 :: v_dual_add_f32 v58, v58, v82
	v_dual_fmac_f32 v84, v75, v66 :: v_dual_fmac_f32 v85, v81, v76
	s_delay_alu instid0(VALU_DEP_4) | instskip(SKIP_1) | instid1(VALU_DEP_4)
	v_add_f32_e32 v61, v61, v62
	v_fma_f32 v60, v72, v64, -v60
	v_add_f32_e32 v58, v58, v83
	v_fma_f32 v63, v74, v66, -v63
	s_delay_alu instid0(VALU_DEP_3) | instskip(NEXT) | instid1(VALU_DEP_3)
	v_add_f32_e32 v60, v61, v60
	v_add_f32_e32 v58, v58, v84
	s_delay_alu instid0(VALU_DEP_2) | instskip(NEXT) | instid1(VALU_DEP_2)
	v_add_f32_e32 v60, v60, v63
	v_add_f32_e32 v58, v58, v85
	v_mul_f32_e32 v62, v81, v77
	s_delay_alu instid0(VALU_DEP_1) | instskip(SKIP_1) | instid1(VALU_DEP_1)
	v_fma_f32 v61, v80, v76, -v62
	s_wait_loadcnt 0x0
	v_dual_add_f32 v60, v60, v61 :: v_dual_sub_f32 v61, v79, v58
	s_delay_alu instid0(VALU_DEP_1)
	v_sub_f32_e32 v60, v78, v60
	scratch_store_b64 off, v[60:61], off offset:176
	v_cmpx_lt_u32_e32 21, v0
	s_cbranch_execz .LBB91_139
; %bb.138:
	scratch_load_b64 v[60:61], off, off offset:168
	v_mov_b32_e32 v58, v57
	scratch_store_b64 off, v[57:58], off offset:168
	s_wait_loadcnt 0x0
	ds_store_b64 v59, v[60:61]
.LBB91_139:
	s_wait_alu 0xfffe
	s_or_b32 exec_lo, exec_lo, s0
	s_wait_storecnt_dscnt 0x0
	s_barrier_signal -1
	s_barrier_wait -1
	global_inv scope:SCOPE_SE
	s_clause 0x3
	scratch_load_b128 v[60:63], off, off offset:176
	scratch_load_b128 v[64:67], off, off offset:192
	scratch_load_b128 v[68:71], off, off offset:208
	scratch_load_b64 v[84:85], off, off offset:168
	ds_load_b128 v[72:75], v57 offset:400
	ds_load_b128 v[76:79], v57 offset:416
	;; [unrolled: 1-line block ×3, first 2 shown]
	s_mov_b32 s0, exec_lo
	s_wait_loadcnt_dscnt 0x302
	v_dual_mul_f32 v57, v72, v61 :: v_dual_mul_f32 v58, v74, v63
	v_mul_f32_e32 v61, v73, v61
	s_wait_loadcnt_dscnt 0x201
	v_dual_mul_f32 v63, v75, v63 :: v_dual_mul_f32 v86, v76, v65
	s_delay_alu instid0(VALU_DEP_3) | instskip(NEXT) | instid1(VALU_DEP_3)
	v_dual_mul_f32 v87, v78, v67 :: v_dual_fmac_f32 v58, v75, v62
	v_fma_f32 v61, v72, v60, -v61
	v_fmac_f32_e32 v57, v73, v60
	v_mul_f32_e32 v60, v77, v65
	v_fma_f32 v62, v74, v62, -v63
	v_mul_f32_e32 v63, v79, v67
	v_dual_add_f32 v61, 0, v61 :: v_dual_fmac_f32 v86, v77, v64
	s_delay_alu instid0(VALU_DEP_4) | instskip(SKIP_2) | instid1(VALU_DEP_3)
	v_fma_f32 v60, v76, v64, -v60
	s_wait_loadcnt_dscnt 0x100
	v_dual_mul_f32 v88, v80, v69 :: v_dual_mul_f32 v89, v82, v71
	v_add_f32_e32 v61, v61, v62
	v_fmac_f32_e32 v87, v79, v66
	v_fma_f32 v62, v78, v66, -v63
	s_delay_alu instid0(VALU_DEP_4) | instskip(NEXT) | instid1(VALU_DEP_4)
	v_dual_fmac_f32 v88, v81, v68 :: v_dual_fmac_f32 v89, v83, v70
	v_add_f32_e32 v60, v61, v60
	s_delay_alu instid0(VALU_DEP_1) | instskip(SKIP_1) | instid1(VALU_DEP_1)
	v_dual_add_f32 v60, v60, v62 :: v_dual_add_f32 v57, 0, v57
	v_mul_f32_e32 v61, v83, v71
	v_fma_f32 v61, v82, v70, -v61
	s_delay_alu instid0(VALU_DEP_3) | instskip(SKIP_1) | instid1(VALU_DEP_1)
	v_add_f32_e32 v57, v57, v58
	v_mul_f32_e32 v58, v81, v69
	v_fma_f32 v58, v80, v68, -v58
	s_delay_alu instid0(VALU_DEP_1) | instskip(NEXT) | instid1(VALU_DEP_1)
	v_add_f32_e32 v58, v60, v58
	v_dual_add_f32 v58, v58, v61 :: v_dual_add_f32 v57, v57, v86
	s_delay_alu instid0(VALU_DEP_1) | instskip(NEXT) | instid1(VALU_DEP_1)
	v_add_f32_e32 v57, v57, v87
	v_add_f32_e32 v57, v57, v88
	s_wait_loadcnt 0x0
	s_delay_alu instid0(VALU_DEP_1) | instskip(NEXT) | instid1(VALU_DEP_1)
	v_dual_add_f32 v60, v57, v89 :: v_dual_sub_f32 v57, v84, v58
	v_sub_f32_e32 v58, v85, v60
	scratch_store_b64 off, v[57:58], off offset:168
	v_cmpx_lt_u32_e32 20, v0
	s_cbranch_execz .LBB91_141
; %bb.140:
	scratch_load_b64 v[57:58], off, off offset:160
	v_mov_b32_e32 v60, 0
	s_delay_alu instid0(VALU_DEP_1)
	v_mov_b32_e32 v61, v60
	scratch_store_b64 off, v[60:61], off offset:160
	s_wait_loadcnt 0x0
	ds_store_b64 v59, v[57:58]
.LBB91_141:
	s_wait_alu 0xfffe
	s_or_b32 exec_lo, exec_lo, s0
	s_wait_storecnt_dscnt 0x0
	s_barrier_signal -1
	s_barrier_wait -1
	global_inv scope:SCOPE_SE
	s_clause 0x4
	scratch_load_b128 v[60:63], off, off offset:168
	scratch_load_b128 v[64:67], off, off offset:184
	;; [unrolled: 1-line block ×3, first 2 shown]
	scratch_load_b64 v[84:85], off, off offset:216
	scratch_load_b64 v[86:87], off, off offset:160
	v_mov_b32_e32 v57, 0
	ds_load_2addr_b64 v[72:75], v57 offset0:49 offset1:50
	ds_load_2addr_b64 v[76:79], v57 offset0:51 offset1:52
	;; [unrolled: 1-line block ×3, first 2 shown]
	ds_load_b64 v[88:89], v57 offset:440
	s_mov_b32 s0, exec_lo
	s_wait_loadcnt_dscnt 0x403
	v_mul_f32_e32 v58, v72, v61
	s_wait_loadcnt_dscnt 0x302
	v_dual_mul_f32 v90, v74, v63 :: v_dual_mul_f32 v91, v76, v65
	v_dual_mul_f32 v92, v78, v67 :: v_dual_mul_f32 v61, v73, v61
	s_wait_loadcnt_dscnt 0x100
	v_dual_mul_f32 v95, v88, v85 :: v_dual_fmac_f32 v58, v73, v60
	v_mul_f32_e32 v63, v75, v63
	v_dual_mul_f32 v93, v80, v69 :: v_dual_mul_f32 v94, v82, v71
	v_fma_f32 v61, v72, v60, -v61
	v_fmac_f32_e32 v90, v75, v62
	v_add_f32_e32 v58, 0, v58
	v_mul_f32_e32 v60, v77, v65
	v_fma_f32 v62, v74, v62, -v63
	v_add_f32_e32 v61, 0, v61
	v_mul_f32_e32 v63, v79, v67
	v_dual_fmac_f32 v91, v77, v64 :: v_dual_add_f32 v58, v58, v90
	v_dual_fmac_f32 v92, v79, v66 :: v_dual_fmac_f32 v93, v81, v68
	s_delay_alu instid0(VALU_DEP_4) | instskip(SKIP_1) | instid1(VALU_DEP_4)
	v_add_f32_e32 v61, v61, v62
	v_dual_fmac_f32 v94, v83, v70 :: v_dual_fmac_f32 v95, v89, v84
	v_add_f32_e32 v58, v58, v91
	v_fma_f32 v60, v76, v64, -v60
	v_mul_f32_e32 v62, v81, v69
	v_fma_f32 v63, v78, v66, -v63
	s_delay_alu instid0(VALU_DEP_4) | instskip(NEXT) | instid1(VALU_DEP_1)
	v_add_f32_e32 v58, v58, v92
	v_add_f32_e32 v58, v58, v93
	s_delay_alu instid0(VALU_DEP_1) | instskip(NEXT) | instid1(VALU_DEP_1)
	v_add_f32_e32 v58, v58, v94
	v_add_f32_e32 v58, v58, v95
	v_dual_add_f32 v60, v61, v60 :: v_dual_mul_f32 v61, v83, v71
	v_fma_f32 v62, v80, v68, -v62
	s_delay_alu instid0(VALU_DEP_2) | instskip(NEXT) | instid1(VALU_DEP_3)
	v_dual_add_f32 v60, v60, v63 :: v_dual_mul_f32 v63, v89, v85
	v_fma_f32 v61, v82, v70, -v61
	s_delay_alu instid0(VALU_DEP_2) | instskip(NEXT) | instid1(VALU_DEP_3)
	v_add_f32_e32 v60, v60, v62
	v_fma_f32 v62, v88, v84, -v63
	s_wait_loadcnt 0x0
	s_delay_alu instid0(VALU_DEP_2) | instskip(NEXT) | instid1(VALU_DEP_1)
	v_dual_add_f32 v60, v60, v61 :: v_dual_sub_f32 v61, v87, v58
	v_add_f32_e32 v60, v60, v62
	s_delay_alu instid0(VALU_DEP_1)
	v_sub_f32_e32 v60, v86, v60
	scratch_store_b64 off, v[60:61], off offset:160
	v_cmpx_lt_u32_e32 19, v0
	s_cbranch_execz .LBB91_143
; %bb.142:
	scratch_load_b64 v[60:61], off, off offset:152
	v_mov_b32_e32 v58, v57
	scratch_store_b64 off, v[57:58], off offset:152
	s_wait_loadcnt 0x0
	ds_store_b64 v59, v[60:61]
.LBB91_143:
	s_wait_alu 0xfffe
	s_or_b32 exec_lo, exec_lo, s0
	s_wait_storecnt_dscnt 0x0
	s_barrier_signal -1
	s_barrier_wait -1
	global_inv scope:SCOPE_SE
	s_clause 0x4
	scratch_load_b128 v[60:63], off, off offset:160
	scratch_load_b128 v[64:67], off, off offset:176
	;; [unrolled: 1-line block ×4, first 2 shown]
	scratch_load_b64 v[92:93], off, off offset:152
	ds_load_b128 v[76:79], v57 offset:384
	ds_load_b128 v[80:83], v57 offset:400
	;; [unrolled: 1-line block ×4, first 2 shown]
	s_mov_b32 s0, exec_lo
	s_wait_loadcnt_dscnt 0x403
	v_dual_mul_f32 v57, v76, v61 :: v_dual_mul_f32 v58, v78, v63
	v_mul_f32_e32 v61, v77, v61
	s_wait_loadcnt_dscnt 0x302
	v_dual_mul_f32 v63, v79, v63 :: v_dual_mul_f32 v94, v80, v65
	s_delay_alu instid0(VALU_DEP_3) | instskip(NEXT) | instid1(VALU_DEP_3)
	v_dual_mul_f32 v95, v82, v67 :: v_dual_fmac_f32 v58, v79, v62
	v_fma_f32 v61, v76, v60, -v61
	v_fmac_f32_e32 v57, v77, v60
	v_mul_f32_e32 v60, v81, v65
	v_fma_f32 v62, v78, v62, -v63
	v_mul_f32_e32 v63, v83, v67
	v_dual_add_f32 v61, 0, v61 :: v_dual_fmac_f32 v94, v81, v64
	s_delay_alu instid0(VALU_DEP_4) | instskip(SKIP_2) | instid1(VALU_DEP_3)
	v_fma_f32 v60, v80, v64, -v60
	s_wait_loadcnt_dscnt 0x201
	v_dual_mul_f32 v96, v84, v69 :: v_dual_mul_f32 v97, v86, v71
	v_add_f32_e32 v61, v61, v62
	v_fmac_f32_e32 v95, v83, v66
	v_fma_f32 v62, v82, v66, -v63
	s_wait_loadcnt_dscnt 0x100
	v_dual_mul_f32 v98, v88, v73 :: v_dual_mul_f32 v99, v90, v75
	v_dual_add_f32 v60, v61, v60 :: v_dual_mul_f32 v61, v87, v71
	v_dual_fmac_f32 v96, v85, v68 :: v_dual_fmac_f32 v97, v87, v70
	s_delay_alu instid0(VALU_DEP_3) | instskip(NEXT) | instid1(VALU_DEP_3)
	v_fmac_f32_e32 v98, v89, v72
	v_dual_add_f32 v60, v60, v62 :: v_dual_add_f32 v57, 0, v57
	v_mul_f32_e32 v62, v89, v73
	v_fma_f32 v61, v86, v70, -v61
	v_fmac_f32_e32 v99, v91, v74
	s_delay_alu instid0(VALU_DEP_4) | instskip(SKIP_2) | instid1(VALU_DEP_2)
	v_add_f32_e32 v57, v57, v58
	v_mul_f32_e32 v58, v85, v69
	v_fma_f32 v62, v88, v72, -v62
	v_fma_f32 v58, v84, v68, -v58
	s_delay_alu instid0(VALU_DEP_1) | instskip(SKIP_1) | instid1(VALU_DEP_2)
	v_add_f32_e32 v58, v60, v58
	v_mul_f32_e32 v60, v91, v75
	v_add_f32_e32 v58, v58, v61
	s_delay_alu instid0(VALU_DEP_2) | instskip(NEXT) | instid1(VALU_DEP_2)
	v_fma_f32 v60, v90, v74, -v60
	v_add_f32_e32 v58, v58, v62
	s_delay_alu instid0(VALU_DEP_1) | instskip(NEXT) | instid1(VALU_DEP_1)
	v_dual_add_f32 v57, v57, v94 :: v_dual_add_f32 v58, v58, v60
	v_add_f32_e32 v57, v57, v95
	s_delay_alu instid0(VALU_DEP_1) | instskip(NEXT) | instid1(VALU_DEP_1)
	v_add_f32_e32 v57, v57, v96
	v_add_f32_e32 v57, v57, v97
	s_delay_alu instid0(VALU_DEP_1) | instskip(SKIP_1) | instid1(VALU_DEP_1)
	v_add_f32_e32 v57, v57, v98
	s_wait_loadcnt 0x0
	v_dual_add_f32 v60, v57, v99 :: v_dual_sub_f32 v57, v92, v58
	s_delay_alu instid0(VALU_DEP_1)
	v_sub_f32_e32 v58, v93, v60
	scratch_store_b64 off, v[57:58], off offset:152
	v_cmpx_lt_u32_e32 18, v0
	s_cbranch_execz .LBB91_145
; %bb.144:
	scratch_load_b64 v[57:58], off, off offset:144
	v_mov_b32_e32 v60, 0
	s_delay_alu instid0(VALU_DEP_1)
	v_mov_b32_e32 v61, v60
	scratch_store_b64 off, v[60:61], off offset:144
	s_wait_loadcnt 0x0
	ds_store_b64 v59, v[57:58]
.LBB91_145:
	s_wait_alu 0xfffe
	s_or_b32 exec_lo, exec_lo, s0
	s_wait_storecnt_dscnt 0x0
	s_barrier_signal -1
	s_barrier_wait -1
	global_inv scope:SCOPE_SE
	s_clause 0x5
	scratch_load_b128 v[60:63], off, off offset:152
	scratch_load_b128 v[64:67], off, off offset:168
	;; [unrolled: 1-line block ×4, first 2 shown]
	scratch_load_b64 v[92:93], off, off offset:216
	scratch_load_b64 v[94:95], off, off offset:144
	v_mov_b32_e32 v57, 0
	ds_load_2addr_b64 v[76:79], v57 offset0:47 offset1:48
	ds_load_2addr_b64 v[80:83], v57 offset0:49 offset1:50
	;; [unrolled: 1-line block ×4, first 2 shown]
	ds_load_b64 v[96:97], v57 offset:440
	s_mov_b32 s0, exec_lo
	s_wait_loadcnt_dscnt 0x504
	v_mul_f32_e32 v58, v76, v61
	s_wait_loadcnt_dscnt 0x403
	v_dual_mul_f32 v98, v78, v63 :: v_dual_mul_f32 v99, v80, v65
	s_wait_loadcnt_dscnt 0x302
	v_dual_mul_f32 v102, v86, v71 :: v_dual_mul_f32 v61, v77, v61
	s_wait_loadcnt_dscnt 0x100
	v_dual_mul_f32 v105, v96, v93 :: v_dual_fmac_f32 v58, v77, v60
	v_mul_f32_e32 v63, v79, v63
	v_dual_mul_f32 v100, v82, v67 :: v_dual_mul_f32 v101, v84, v69
	v_fma_f32 v61, v76, v60, -v61
	v_fmac_f32_e32 v98, v79, v62
	v_add_f32_e32 v58, 0, v58
	v_mul_f32_e32 v60, v81, v65
	v_fma_f32 v62, v78, v62, -v63
	v_add_f32_e32 v61, 0, v61
	v_mul_f32_e32 v63, v83, v67
	v_dual_fmac_f32 v99, v81, v64 :: v_dual_add_f32 v58, v58, v98
	v_dual_fmac_f32 v100, v83, v66 :: v_dual_fmac_f32 v101, v85, v68
	s_delay_alu instid0(VALU_DEP_4) | instskip(SKIP_1) | instid1(VALU_DEP_4)
	v_add_f32_e32 v61, v61, v62
	v_dual_mul_f32 v103, v88, v73 :: v_dual_mul_f32 v104, v90, v75
	v_add_f32_e32 v58, v58, v99
	v_dual_fmac_f32 v102, v87, v70 :: v_dual_fmac_f32 v105, v97, v92
	s_delay_alu instid0(VALU_DEP_3) | instskip(NEXT) | instid1(VALU_DEP_3)
	v_dual_fmac_f32 v103, v89, v72 :: v_dual_fmac_f32 v104, v91, v74
	v_add_f32_e32 v58, v58, v100
	v_fma_f32 v60, v80, v64, -v60
	v_mul_f32_e32 v62, v85, v69
	v_fma_f32 v63, v82, v66, -v63
	s_delay_alu instid0(VALU_DEP_4) | instskip(NEXT) | instid1(VALU_DEP_1)
	v_add_f32_e32 v58, v58, v101
	v_add_f32_e32 v58, v58, v102
	s_delay_alu instid0(VALU_DEP_1) | instskip(NEXT) | instid1(VALU_DEP_1)
	v_add_f32_e32 v58, v58, v103
	v_add_f32_e32 v58, v58, v104
	s_delay_alu instid0(VALU_DEP_1) | instskip(SKIP_2) | instid1(VALU_DEP_2)
	v_add_f32_e32 v58, v58, v105
	v_dual_add_f32 v60, v61, v60 :: v_dual_mul_f32 v61, v87, v71
	v_fma_f32 v62, v84, v68, -v62
	v_dual_add_f32 v60, v60, v63 :: v_dual_mul_f32 v63, v89, v73
	s_delay_alu instid0(VALU_DEP_3) | instskip(NEXT) | instid1(VALU_DEP_2)
	v_fma_f32 v61, v86, v70, -v61
	v_add_f32_e32 v60, v60, v62
	v_mul_f32_e32 v62, v91, v75
	s_delay_alu instid0(VALU_DEP_4) | instskip(NEXT) | instid1(VALU_DEP_3)
	v_fma_f32 v63, v88, v72, -v63
	v_add_f32_e32 v60, v60, v61
	v_mul_f32_e32 v61, v97, v93
	s_delay_alu instid0(VALU_DEP_4) | instskip(NEXT) | instid1(VALU_DEP_3)
	v_fma_f32 v62, v90, v74, -v62
	v_add_f32_e32 v60, v60, v63
	s_delay_alu instid0(VALU_DEP_3) | instskip(NEXT) | instid1(VALU_DEP_2)
	v_fma_f32 v61, v96, v92, -v61
	v_add_f32_e32 v60, v60, v62
	s_wait_loadcnt 0x0
	s_delay_alu instid0(VALU_DEP_1) | instskip(NEXT) | instid1(VALU_DEP_1)
	v_dual_add_f32 v60, v60, v61 :: v_dual_sub_f32 v61, v95, v58
	v_sub_f32_e32 v60, v94, v60
	scratch_store_b64 off, v[60:61], off offset:144
	v_cmpx_lt_u32_e32 17, v0
	s_cbranch_execz .LBB91_147
; %bb.146:
	scratch_load_b64 v[60:61], off, off offset:136
	v_mov_b32_e32 v58, v57
	scratch_store_b64 off, v[57:58], off offset:136
	s_wait_loadcnt 0x0
	ds_store_b64 v59, v[60:61]
.LBB91_147:
	s_wait_alu 0xfffe
	s_or_b32 exec_lo, exec_lo, s0
	s_wait_storecnt_dscnt 0x0
	s_barrier_signal -1
	s_barrier_wait -1
	global_inv scope:SCOPE_SE
	s_clause 0x5
	scratch_load_b128 v[60:63], off, off offset:144
	scratch_load_b128 v[64:67], off, off offset:160
	;; [unrolled: 1-line block ×5, first 2 shown]
	scratch_load_b64 v[100:101], off, off offset:136
	ds_load_b128 v[80:83], v57 offset:368
	ds_load_b128 v[84:87], v57 offset:384
	;; [unrolled: 1-line block ×5, first 2 shown]
	s_mov_b32 s0, exec_lo
	s_wait_loadcnt_dscnt 0x504
	v_dual_mul_f32 v57, v80, v61 :: v_dual_mul_f32 v58, v82, v63
	v_mul_f32_e32 v61, v81, v61
	s_wait_loadcnt_dscnt 0x403
	v_dual_mul_f32 v63, v83, v63 :: v_dual_mul_f32 v102, v84, v65
	s_delay_alu instid0(VALU_DEP_3) | instskip(NEXT) | instid1(VALU_DEP_3)
	v_dual_mul_f32 v103, v86, v67 :: v_dual_fmac_f32 v58, v83, v62
	v_fma_f32 v61, v80, v60, -v61
	v_fmac_f32_e32 v57, v81, v60
	v_mul_f32_e32 v60, v85, v65
	v_fma_f32 v62, v82, v62, -v63
	v_mul_f32_e32 v63, v87, v67
	v_dual_add_f32 v61, 0, v61 :: v_dual_fmac_f32 v102, v85, v64
	s_delay_alu instid0(VALU_DEP_4) | instskip(SKIP_2) | instid1(VALU_DEP_3)
	v_fma_f32 v60, v84, v64, -v60
	s_wait_loadcnt_dscnt 0x302
	v_dual_mul_f32 v104, v88, v69 :: v_dual_mul_f32 v105, v90, v71
	v_add_f32_e32 v61, v61, v62
	v_fmac_f32_e32 v103, v87, v66
	v_fma_f32 v62, v86, v66, -v63
	s_wait_loadcnt_dscnt 0x201
	v_dual_mul_f32 v106, v92, v73 :: v_dual_mul_f32 v107, v94, v75
	v_dual_add_f32 v60, v61, v60 :: v_dual_mul_f32 v61, v91, v71
	v_fmac_f32_e32 v104, v89, v68
	s_wait_loadcnt_dscnt 0x100
	v_dual_mul_f32 v108, v96, v77 :: v_dual_mul_f32 v109, v98, v79
	s_delay_alu instid0(VALU_DEP_3) | instskip(SKIP_3) | instid1(VALU_DEP_4)
	v_dual_add_f32 v60, v60, v62 :: v_dual_add_f32 v57, 0, v57
	v_mul_f32_e32 v62, v93, v73
	v_fma_f32 v61, v90, v70, -v61
	v_dual_fmac_f32 v105, v91, v70 :: v_dual_fmac_f32 v106, v93, v72
	v_add_f32_e32 v57, v57, v58
	v_mul_f32_e32 v58, v89, v69
	v_fma_f32 v62, v92, v72, -v62
	v_dual_fmac_f32 v107, v95, v74 :: v_dual_fmac_f32 v108, v97, v76
	s_delay_alu instid0(VALU_DEP_3) | instskip(NEXT) | instid1(VALU_DEP_1)
	v_fma_f32 v58, v88, v68, -v58
	v_add_f32_e32 v58, v60, v58
	v_mul_f32_e32 v60, v95, v75
	s_delay_alu instid0(VALU_DEP_2) | instskip(SKIP_1) | instid1(VALU_DEP_3)
	v_dual_add_f32 v58, v58, v61 :: v_dual_add_f32 v57, v57, v102
	v_mul_f32_e32 v61, v97, v77
	v_fma_f32 v60, v94, v74, -v60
	s_delay_alu instid0(VALU_DEP_3) | instskip(SKIP_3) | instid1(VALU_DEP_4)
	v_add_f32_e32 v58, v58, v62
	v_mul_f32_e32 v62, v99, v79
	v_add_f32_e32 v57, v57, v103
	v_fma_f32 v61, v96, v76, -v61
	v_dual_add_f32 v58, v58, v60 :: v_dual_fmac_f32 v109, v99, v78
	s_delay_alu instid0(VALU_DEP_3) | instskip(SKIP_1) | instid1(VALU_DEP_3)
	v_add_f32_e32 v57, v57, v104
	v_fma_f32 v60, v98, v78, -v62
	v_add_f32_e32 v58, v58, v61
	s_delay_alu instid0(VALU_DEP_1) | instskip(NEXT) | instid1(VALU_DEP_1)
	v_dual_add_f32 v57, v57, v105 :: v_dual_add_f32 v58, v58, v60
	v_add_f32_e32 v57, v57, v106
	s_delay_alu instid0(VALU_DEP_1) | instskip(NEXT) | instid1(VALU_DEP_1)
	v_add_f32_e32 v57, v57, v107
	v_add_f32_e32 v57, v57, v108
	s_wait_loadcnt 0x0
	s_delay_alu instid0(VALU_DEP_1) | instskip(NEXT) | instid1(VALU_DEP_1)
	v_dual_add_f32 v60, v57, v109 :: v_dual_sub_f32 v57, v100, v58
	v_sub_f32_e32 v58, v101, v60
	scratch_store_b64 off, v[57:58], off offset:136
	v_cmpx_lt_u32_e32 16, v0
	s_cbranch_execz .LBB91_149
; %bb.148:
	scratch_load_b64 v[57:58], off, off offset:128
	v_mov_b32_e32 v60, 0
	s_delay_alu instid0(VALU_DEP_1)
	v_mov_b32_e32 v61, v60
	scratch_store_b64 off, v[60:61], off offset:128
	s_wait_loadcnt 0x0
	ds_store_b64 v59, v[57:58]
.LBB91_149:
	s_wait_alu 0xfffe
	s_or_b32 exec_lo, exec_lo, s0
	s_wait_storecnt_dscnt 0x0
	s_barrier_signal -1
	s_barrier_wait -1
	global_inv scope:SCOPE_SE
	s_clause 0x6
	scratch_load_b128 v[60:63], off, off offset:136
	scratch_load_b128 v[64:67], off, off offset:152
	;; [unrolled: 1-line block ×5, first 2 shown]
	scratch_load_b64 v[100:101], off, off offset:216
	scratch_load_b64 v[102:103], off, off offset:128
	v_mov_b32_e32 v57, 0
	ds_load_2addr_b64 v[80:83], v57 offset0:45 offset1:46
	ds_load_2addr_b64 v[84:87], v57 offset0:47 offset1:48
	;; [unrolled: 1-line block ×5, first 2 shown]
	ds_load_b64 v[104:105], v57 offset:440
	s_mov_b32 s0, exec_lo
	s_wait_loadcnt_dscnt 0x605
	v_mul_f32_e32 v58, v80, v61
	v_dual_mul_f32 v61, v81, v61 :: v_dual_mul_f32 v106, v82, v63
	s_wait_loadcnt_dscnt 0x302
	v_dual_mul_f32 v107, v84, v65 :: v_dual_mul_f32 v112, v94, v75
	s_wait_loadcnt_dscnt 0x100
	v_dual_mul_f32 v115, v104, v101 :: v_dual_fmac_f32 v58, v81, v60
	v_mul_f32_e32 v63, v83, v63
	v_fma_f32 v61, v80, v60, -v61
	v_mul_f32_e32 v60, v85, v65
	v_fmac_f32_e32 v106, v83, v62
	v_add_f32_e32 v58, 0, v58
	v_fma_f32 v62, v82, v62, -v63
	v_add_f32_e32 v61, 0, v61
	v_mul_f32_e32 v63, v87, v67
	s_delay_alu instid0(VALU_DEP_4) | instskip(SKIP_1) | instid1(VALU_DEP_4)
	v_dual_fmac_f32 v107, v85, v64 :: v_dual_add_f32 v58, v58, v106
	v_fma_f32 v60, v84, v64, -v60
	v_dual_add_f32 v61, v61, v62 :: v_dual_mul_f32 v108, v86, v67
	v_mul_f32_e32 v109, v88, v69
	v_mul_f32_e32 v62, v89, v69
	v_fma_f32 v63, v86, v66, -v63
	v_add_f32_e32 v58, v58, v107
	v_add_f32_e32 v60, v61, v60
	v_dual_fmac_f32 v108, v87, v66 :: v_dual_fmac_f32 v109, v89, v68
	v_mul_f32_e32 v61, v91, v71
	v_fma_f32 v62, v88, v68, -v62
	s_delay_alu instid0(VALU_DEP_4) | instskip(SKIP_4) | instid1(VALU_DEP_3)
	v_dual_add_f32 v60, v60, v63 :: v_dual_mul_f32 v63, v93, v73
	v_dual_mul_f32 v110, v90, v71 :: v_dual_mul_f32 v111, v92, v73
	v_dual_mul_f32 v113, v96, v77 :: v_dual_mul_f32 v114, v98, v79
	v_add_f32_e32 v58, v58, v108
	v_fma_f32 v61, v90, v70, -v61
	v_dual_add_f32 v60, v60, v62 :: v_dual_fmac_f32 v113, v97, v76
	v_dual_fmac_f32 v110, v91, v70 :: v_dual_fmac_f32 v111, v93, v72
	v_mul_f32_e32 v62, v95, v75
	s_delay_alu instid0(VALU_DEP_3)
	v_add_f32_e32 v60, v60, v61
	v_mul_f32_e32 v61, v97, v77
	v_dual_add_f32 v58, v58, v109 :: v_dual_fmac_f32 v115, v105, v100
	v_fma_f32 v63, v92, v72, -v63
	v_fmac_f32_e32 v112, v95, v74
	v_fma_f32 v62, v94, v74, -v62
	s_delay_alu instid0(VALU_DEP_4)
	v_add_f32_e32 v58, v58, v110
	v_fma_f32 v61, v96, v76, -v61
	v_add_f32_e32 v60, v60, v63
	v_mul_f32_e32 v63, v99, v79
	v_fmac_f32_e32 v114, v99, v78
	v_add_f32_e32 v58, v58, v111
	s_delay_alu instid0(VALU_DEP_4) | instskip(SKIP_2) | instid1(VALU_DEP_4)
	v_add_f32_e32 v60, v60, v62
	v_mul_f32_e32 v62, v105, v101
	v_fma_f32 v63, v98, v78, -v63
	v_add_f32_e32 v58, v58, v112
	s_delay_alu instid0(VALU_DEP_4) | instskip(NEXT) | instid1(VALU_DEP_4)
	v_add_f32_e32 v60, v60, v61
	v_fma_f32 v61, v104, v100, -v62
	s_delay_alu instid0(VALU_DEP_3) | instskip(NEXT) | instid1(VALU_DEP_3)
	v_add_f32_e32 v58, v58, v113
	v_add_f32_e32 v60, v60, v63
	s_delay_alu instid0(VALU_DEP_2) | instskip(NEXT) | instid1(VALU_DEP_2)
	v_add_f32_e32 v58, v58, v114
	v_add_f32_e32 v60, v60, v61
	s_delay_alu instid0(VALU_DEP_2) | instskip(SKIP_1) | instid1(VALU_DEP_1)
	v_add_f32_e32 v58, v58, v115
	s_wait_loadcnt 0x0
	v_dual_sub_f32 v60, v102, v60 :: v_dual_sub_f32 v61, v103, v58
	scratch_store_b64 off, v[60:61], off offset:128
	v_cmpx_lt_u32_e32 15, v0
	s_cbranch_execz .LBB91_151
; %bb.150:
	scratch_load_b64 v[60:61], off, off offset:120
	v_mov_b32_e32 v58, v57
	scratch_store_b64 off, v[57:58], off offset:120
	s_wait_loadcnt 0x0
	ds_store_b64 v59, v[60:61]
.LBB91_151:
	s_wait_alu 0xfffe
	s_or_b32 exec_lo, exec_lo, s0
	s_wait_storecnt_dscnt 0x0
	s_barrier_signal -1
	s_barrier_wait -1
	global_inv scope:SCOPE_SE
	s_clause 0x6
	scratch_load_b128 v[60:63], off, off offset:128
	scratch_load_b128 v[64:67], off, off offset:144
	scratch_load_b128 v[68:71], off, off offset:160
	scratch_load_b128 v[72:75], off, off offset:176
	scratch_load_b128 v[76:79], off, off offset:192
	scratch_load_b128 v[80:83], off, off offset:208
	scratch_load_b64 v[108:109], off, off offset:120
	ds_load_b128 v[84:87], v57 offset:352
	ds_load_b128 v[88:91], v57 offset:368
	;; [unrolled: 1-line block ×6, first 2 shown]
	s_mov_b32 s0, exec_lo
	s_wait_loadcnt_dscnt 0x605
	v_dual_mul_f32 v57, v84, v61 :: v_dual_mul_f32 v58, v86, v63
	v_mul_f32_e32 v61, v85, v61
	s_wait_loadcnt_dscnt 0x504
	v_dual_mul_f32 v63, v87, v63 :: v_dual_mul_f32 v110, v88, v65
	s_delay_alu instid0(VALU_DEP_3) | instskip(NEXT) | instid1(VALU_DEP_3)
	v_dual_mul_f32 v111, v90, v67 :: v_dual_fmac_f32 v58, v87, v62
	v_fma_f32 v61, v84, v60, -v61
	v_fmac_f32_e32 v57, v85, v60
	v_mul_f32_e32 v60, v89, v65
	v_fma_f32 v62, v86, v62, -v63
	v_mul_f32_e32 v63, v91, v67
	v_dual_add_f32 v61, 0, v61 :: v_dual_fmac_f32 v110, v89, v64
	s_delay_alu instid0(VALU_DEP_4) | instskip(SKIP_2) | instid1(VALU_DEP_3)
	v_fma_f32 v60, v88, v64, -v60
	s_wait_loadcnt_dscnt 0x403
	v_dual_mul_f32 v112, v92, v69 :: v_dual_mul_f32 v113, v94, v71
	v_add_f32_e32 v61, v61, v62
	v_fmac_f32_e32 v111, v91, v66
	v_fma_f32 v62, v90, v66, -v63
	s_wait_loadcnt_dscnt 0x302
	v_dual_mul_f32 v114, v96, v73 :: v_dual_mul_f32 v115, v98, v75
	v_dual_add_f32 v60, v61, v60 :: v_dual_mul_f32 v61, v95, v71
	v_fmac_f32_e32 v112, v93, v68
	s_wait_loadcnt_dscnt 0x201
	v_dual_mul_f32 v116, v100, v77 :: v_dual_mul_f32 v117, v102, v79
	s_delay_alu instid0(VALU_DEP_3) | instskip(SKIP_3) | instid1(VALU_DEP_4)
	v_dual_add_f32 v60, v60, v62 :: v_dual_add_f32 v57, 0, v57
	v_mul_f32_e32 v62, v97, v73
	v_fma_f32 v61, v94, v70, -v61
	v_dual_fmac_f32 v113, v95, v70 :: v_dual_fmac_f32 v114, v97, v72
	v_add_f32_e32 v57, v57, v58
	v_mul_f32_e32 v58, v93, v69
	v_fma_f32 v62, v96, v72, -v62
	v_dual_fmac_f32 v115, v99, v74 :: v_dual_fmac_f32 v116, v101, v76
	s_wait_loadcnt_dscnt 0x100
	v_dual_mul_f32 v118, v104, v81 :: v_dual_mul_f32 v119, v106, v83
	v_fma_f32 v58, v92, v68, -v58
	s_delay_alu instid0(VALU_DEP_2) | instskip(NEXT) | instid1(VALU_DEP_3)
	v_dual_fmac_f32 v117, v103, v78 :: v_dual_fmac_f32 v118, v105, v80
	v_fmac_f32_e32 v119, v107, v82
	s_delay_alu instid0(VALU_DEP_3) | instskip(SKIP_1) | instid1(VALU_DEP_2)
	v_add_f32_e32 v58, v60, v58
	v_mul_f32_e32 v60, v99, v75
	v_dual_add_f32 v58, v58, v61 :: v_dual_add_f32 v57, v57, v110
	v_mul_f32_e32 v61, v101, v77
	s_delay_alu instid0(VALU_DEP_3) | instskip(NEXT) | instid1(VALU_DEP_3)
	v_fma_f32 v60, v98, v74, -v60
	v_add_f32_e32 v58, v58, v62
	v_mul_f32_e32 v62, v103, v79
	v_add_f32_e32 v57, v57, v111
	v_fma_f32 v61, v100, v76, -v61
	s_delay_alu instid0(VALU_DEP_4) | instskip(SKIP_1) | instid1(VALU_DEP_4)
	v_add_f32_e32 v58, v58, v60
	v_mul_f32_e32 v60, v105, v81
	v_add_f32_e32 v57, v57, v112
	v_fma_f32 v62, v102, v78, -v62
	s_delay_alu instid0(VALU_DEP_4) | instskip(NEXT) | instid1(VALU_DEP_3)
	v_dual_add_f32 v58, v58, v61 :: v_dual_mul_f32 v61, v107, v83
	v_add_f32_e32 v57, v57, v113
	v_fma_f32 v60, v104, v80, -v60
	s_delay_alu instid0(VALU_DEP_3) | instskip(NEXT) | instid1(VALU_DEP_4)
	v_add_f32_e32 v58, v58, v62
	v_fma_f32 v61, v106, v82, -v61
	s_delay_alu instid0(VALU_DEP_2) | instskip(NEXT) | instid1(VALU_DEP_1)
	v_dual_add_f32 v57, v57, v114 :: v_dual_add_f32 v58, v58, v60
	v_dual_add_f32 v57, v57, v115 :: v_dual_add_f32 v58, v58, v61
	s_delay_alu instid0(VALU_DEP_1) | instskip(NEXT) | instid1(VALU_DEP_1)
	v_add_f32_e32 v57, v57, v116
	v_add_f32_e32 v57, v57, v117
	s_delay_alu instid0(VALU_DEP_1) | instskip(SKIP_1) | instid1(VALU_DEP_1)
	v_add_f32_e32 v57, v57, v118
	s_wait_loadcnt 0x0
	v_dual_add_f32 v60, v57, v119 :: v_dual_sub_f32 v57, v108, v58
	s_delay_alu instid0(VALU_DEP_1)
	v_sub_f32_e32 v58, v109, v60
	scratch_store_b64 off, v[57:58], off offset:120
	v_cmpx_lt_u32_e32 14, v0
	s_cbranch_execz .LBB91_153
; %bb.152:
	scratch_load_b64 v[57:58], off, off offset:112
	v_mov_b32_e32 v60, 0
	s_delay_alu instid0(VALU_DEP_1)
	v_mov_b32_e32 v61, v60
	scratch_store_b64 off, v[60:61], off offset:112
	s_wait_loadcnt 0x0
	ds_store_b64 v59, v[57:58]
.LBB91_153:
	s_wait_alu 0xfffe
	s_or_b32 exec_lo, exec_lo, s0
	s_wait_storecnt_dscnt 0x0
	s_barrier_signal -1
	s_barrier_wait -1
	global_inv scope:SCOPE_SE
	s_clause 0x7
	scratch_load_b128 v[60:63], off, off offset:120
	scratch_load_b128 v[64:67], off, off offset:136
	;; [unrolled: 1-line block ×6, first 2 shown]
	scratch_load_b64 v[108:109], off, off offset:216
	scratch_load_b64 v[110:111], off, off offset:112
	v_mov_b32_e32 v57, 0
	ds_load_2addr_b64 v[84:87], v57 offset0:43 offset1:44
	ds_load_2addr_b64 v[88:91], v57 offset0:45 offset1:46
	;; [unrolled: 1-line block ×6, first 2 shown]
	ds_load_b64 v[112:113], v57 offset:440
	s_mov_b32 s0, exec_lo
	s_wait_loadcnt_dscnt 0x706
	v_mul_f32_e32 v58, v84, v61
	v_dual_mul_f32 v61, v85, v61 :: v_dual_mul_f32 v114, v86, v63
	s_wait_loadcnt_dscnt 0x302
	v_dual_mul_f32 v115, v88, v65 :: v_dual_mul_f32 v122, v102, v79
	v_mul_f32_e32 v63, v87, v63
	s_wait_loadcnt_dscnt 0x100
	v_dual_mul_f32 v125, v112, v109 :: v_dual_fmac_f32 v58, v85, v60
	v_fma_f32 v61, v84, v60, -v61
	v_mul_f32_e32 v60, v89, v65
	v_fmac_f32_e32 v114, v87, v62
	v_fma_f32 v62, v86, v62, -v63
	v_dual_add_f32 v58, 0, v58 :: v_dual_mul_f32 v63, v91, v67
	v_add_f32_e32 v61, 0, v61
	v_fmac_f32_e32 v115, v89, v64
	v_fma_f32 v60, v88, v64, -v60
	s_delay_alu instid0(VALU_DEP_4)
	v_add_f32_e32 v58, v58, v114
	v_fma_f32 v63, v90, v66, -v63
	v_add_f32_e32 v61, v61, v62
	v_mul_f32_e32 v62, v93, v69
	v_dual_mul_f32 v116, v90, v67 :: v_dual_mul_f32 v117, v92, v69
	v_add_f32_e32 v58, v58, v115
	s_delay_alu instid0(VALU_DEP_4) | instskip(NEXT) | instid1(VALU_DEP_4)
	v_dual_add_f32 v60, v61, v60 :: v_dual_mul_f32 v61, v95, v71
	v_fma_f32 v62, v92, v68, -v62
	v_dual_mul_f32 v120, v98, v75 :: v_dual_mul_f32 v121, v100, v77
	s_delay_alu instid0(VALU_DEP_3) | instskip(NEXT) | instid1(VALU_DEP_4)
	v_dual_add_f32 v60, v60, v63 :: v_dual_mul_f32 v63, v97, v73
	v_fma_f32 v61, v94, v70, -v61
	v_dual_mul_f32 v123, v104, v81 :: v_dual_mul_f32 v124, v106, v83
	s_delay_alu instid0(VALU_DEP_3) | instskip(SKIP_1) | instid1(VALU_DEP_3)
	v_dual_add_f32 v60, v60, v62 :: v_dual_fmac_f32 v121, v101, v76
	v_dual_fmac_f32 v116, v91, v66 :: v_dual_fmac_f32 v117, v93, v68
	v_dual_mul_f32 v62, v99, v75 :: v_dual_fmac_f32 v123, v105, v80
	v_fma_f32 v63, v96, v72, -v63
	s_delay_alu instid0(VALU_DEP_4) | instskip(SKIP_3) | instid1(VALU_DEP_4)
	v_dual_add_f32 v60, v60, v61 :: v_dual_fmac_f32 v125, v113, v108
	v_dual_mul_f32 v118, v94, v71 :: v_dual_mul_f32 v119, v96, v73
	v_dual_add_f32 v58, v58, v116 :: v_dual_mul_f32 v61, v101, v77
	v_fma_f32 v62, v98, v74, -v62
	v_add_f32_e32 v60, v60, v63
	s_delay_alu instid0(VALU_DEP_4) | instskip(NEXT) | instid1(VALU_DEP_4)
	v_dual_fmac_f32 v118, v95, v70 :: v_dual_fmac_f32 v119, v97, v72
	v_dual_add_f32 v58, v58, v117 :: v_dual_mul_f32 v63, v103, v79
	v_fma_f32 v61, v100, v76, -v61
	s_delay_alu instid0(VALU_DEP_4)
	v_add_f32_e32 v60, v60, v62
	v_fmac_f32_e32 v120, v99, v74
	v_mul_f32_e32 v62, v105, v81
	v_fma_f32 v63, v102, v78, -v63
	v_fmac_f32_e32 v122, v103, v78
	v_dual_add_f32 v60, v60, v61 :: v_dual_mul_f32 v61, v107, v83
	v_add_f32_e32 v58, v58, v118
	v_fma_f32 v62, v104, v80, -v62
	v_fmac_f32_e32 v124, v107, v82
	s_delay_alu instid0(VALU_DEP_4) | instskip(NEXT) | instid1(VALU_DEP_4)
	v_dual_add_f32 v60, v60, v63 :: v_dual_mul_f32 v63, v113, v109
	v_add_f32_e32 v58, v58, v119
	v_fma_f32 v61, v106, v82, -v61
	s_delay_alu instid0(VALU_DEP_3) | instskip(NEXT) | instid1(VALU_DEP_4)
	v_add_f32_e32 v60, v60, v62
	v_fma_f32 v62, v112, v108, -v63
	s_delay_alu instid0(VALU_DEP_4) | instskip(NEXT) | instid1(VALU_DEP_3)
	v_add_f32_e32 v58, v58, v120
	v_add_f32_e32 v60, v60, v61
	s_delay_alu instid0(VALU_DEP_2) | instskip(NEXT) | instid1(VALU_DEP_2)
	v_add_f32_e32 v58, v58, v121
	v_add_f32_e32 v60, v60, v62
	s_delay_alu instid0(VALU_DEP_2) | instskip(SKIP_1) | instid1(VALU_DEP_2)
	v_add_f32_e32 v58, v58, v122
	s_wait_loadcnt 0x0
	v_sub_f32_e32 v60, v110, v60
	s_delay_alu instid0(VALU_DEP_2) | instskip(NEXT) | instid1(VALU_DEP_1)
	v_add_f32_e32 v58, v58, v123
	v_add_f32_e32 v58, v58, v124
	s_delay_alu instid0(VALU_DEP_1) | instskip(NEXT) | instid1(VALU_DEP_1)
	v_add_f32_e32 v58, v58, v125
	v_sub_f32_e32 v61, v111, v58
	scratch_store_b64 off, v[60:61], off offset:112
	v_cmpx_lt_u32_e32 13, v0
	s_cbranch_execz .LBB91_155
; %bb.154:
	scratch_load_b64 v[60:61], off, off offset:104
	v_mov_b32_e32 v58, v57
	scratch_store_b64 off, v[57:58], off offset:104
	s_wait_loadcnt 0x0
	ds_store_b64 v59, v[60:61]
.LBB91_155:
	s_wait_alu 0xfffe
	s_or_b32 exec_lo, exec_lo, s0
	s_wait_storecnt_dscnt 0x0
	s_barrier_signal -1
	s_barrier_wait -1
	global_inv scope:SCOPE_SE
	s_clause 0x7
	scratch_load_b128 v[60:63], off, off offset:112
	scratch_load_b128 v[64:67], off, off offset:128
	;; [unrolled: 1-line block ×7, first 2 shown]
	scratch_load_b64 v[116:117], off, off offset:104
	ds_load_b128 v[88:91], v57 offset:336
	ds_load_b128 v[92:95], v57 offset:352
	;; [unrolled: 1-line block ×7, first 2 shown]
	s_mov_b32 s0, exec_lo
	s_wait_loadcnt_dscnt 0x706
	v_dual_mul_f32 v57, v88, v61 :: v_dual_mul_f32 v58, v90, v63
	v_mul_f32_e32 v61, v89, v61
	s_wait_loadcnt_dscnt 0x605
	v_dual_mul_f32 v63, v91, v63 :: v_dual_mul_f32 v118, v92, v65
	s_delay_alu instid0(VALU_DEP_3) | instskip(NEXT) | instid1(VALU_DEP_3)
	v_dual_mul_f32 v119, v94, v67 :: v_dual_fmac_f32 v58, v91, v62
	v_fma_f32 v61, v88, v60, -v61
	v_fmac_f32_e32 v57, v89, v60
	v_mul_f32_e32 v60, v93, v65
	v_fma_f32 v62, v90, v62, -v63
	v_mul_f32_e32 v63, v95, v67
	v_dual_add_f32 v61, 0, v61 :: v_dual_fmac_f32 v118, v93, v64
	s_delay_alu instid0(VALU_DEP_4) | instskip(SKIP_2) | instid1(VALU_DEP_3)
	v_fma_f32 v60, v92, v64, -v60
	s_wait_loadcnt_dscnt 0x504
	v_dual_mul_f32 v120, v96, v69 :: v_dual_mul_f32 v121, v98, v71
	v_add_f32_e32 v61, v61, v62
	v_fmac_f32_e32 v119, v95, v66
	v_fma_f32 v62, v94, v66, -v63
	s_wait_loadcnt_dscnt 0x403
	v_dual_mul_f32 v122, v100, v73 :: v_dual_mul_f32 v123, v102, v75
	v_dual_add_f32 v60, v61, v60 :: v_dual_mul_f32 v61, v99, v71
	v_fmac_f32_e32 v120, v97, v68
	s_wait_loadcnt_dscnt 0x302
	v_dual_mul_f32 v124, v104, v77 :: v_dual_mul_f32 v125, v106, v79
	s_delay_alu instid0(VALU_DEP_3) | instskip(SKIP_3) | instid1(VALU_DEP_4)
	v_dual_add_f32 v60, v60, v62 :: v_dual_add_f32 v57, 0, v57
	v_mul_f32_e32 v62, v101, v73
	v_fma_f32 v61, v98, v70, -v61
	v_dual_fmac_f32 v121, v99, v70 :: v_dual_fmac_f32 v122, v101, v72
	v_add_f32_e32 v57, v57, v58
	v_mul_f32_e32 v58, v97, v69
	v_fma_f32 v62, v100, v72, -v62
	v_dual_fmac_f32 v123, v103, v74 :: v_dual_fmac_f32 v124, v105, v76
	s_wait_loadcnt_dscnt 0x201
	v_dual_mul_f32 v126, v108, v81 :: v_dual_mul_f32 v127, v110, v83
	v_fma_f32 v58, v96, v68, -v58
	s_wait_loadcnt_dscnt 0x100
	v_dual_mul_f32 v128, v112, v85 :: v_dual_mul_f32 v129, v114, v87
	s_delay_alu instid0(VALU_DEP_3) | instskip(NEXT) | instid1(VALU_DEP_3)
	v_dual_fmac_f32 v125, v107, v78 :: v_dual_fmac_f32 v126, v109, v80
	v_add_f32_e32 v58, v60, v58
	v_mul_f32_e32 v60, v103, v75
	s_delay_alu instid0(VALU_DEP_4) | instskip(NEXT) | instid1(VALU_DEP_3)
	v_dual_fmac_f32 v128, v113, v84 :: v_dual_fmac_f32 v129, v115, v86
	v_dual_fmac_f32 v127, v111, v82 :: v_dual_add_f32 v58, v58, v61
	v_add_f32_e32 v57, v57, v118
	v_mul_f32_e32 v61, v105, v77
	v_fma_f32 v60, v102, v74, -v60
	s_delay_alu instid0(VALU_DEP_4) | instskip(SKIP_3) | instid1(VALU_DEP_4)
	v_add_f32_e32 v58, v58, v62
	v_mul_f32_e32 v62, v107, v79
	v_add_f32_e32 v57, v57, v119
	v_fma_f32 v61, v104, v76, -v61
	v_add_f32_e32 v58, v58, v60
	v_mul_f32_e32 v60, v109, v81
	s_delay_alu instid0(VALU_DEP_4) | instskip(SKIP_1) | instid1(VALU_DEP_4)
	v_add_f32_e32 v57, v57, v120
	v_fma_f32 v62, v106, v78, -v62
	v_dual_add_f32 v58, v58, v61 :: v_dual_mul_f32 v61, v111, v83
	s_delay_alu instid0(VALU_DEP_3) | instskip(SKIP_1) | instid1(VALU_DEP_3)
	v_add_f32_e32 v57, v57, v121
	v_fma_f32 v60, v108, v80, -v60
	v_add_f32_e32 v58, v58, v62
	s_delay_alu instid0(VALU_DEP_4) | instskip(NEXT) | instid1(VALU_DEP_4)
	v_fma_f32 v61, v110, v82, -v61
	v_add_f32_e32 v57, v57, v122
	v_mul_f32_e32 v62, v113, v85
	s_delay_alu instid0(VALU_DEP_4) | instskip(SKIP_1) | instid1(VALU_DEP_4)
	v_add_f32_e32 v58, v58, v60
	v_mul_f32_e32 v60, v115, v87
	v_add_f32_e32 v57, v57, v123
	s_delay_alu instid0(VALU_DEP_4) | instskip(NEXT) | instid1(VALU_DEP_4)
	v_fma_f32 v62, v112, v84, -v62
	v_add_f32_e32 v58, v58, v61
	s_delay_alu instid0(VALU_DEP_4) | instskip(NEXT) | instid1(VALU_DEP_2)
	v_fma_f32 v60, v114, v86, -v60
	v_dual_add_f32 v57, v57, v124 :: v_dual_add_f32 v58, v58, v62
	s_delay_alu instid0(VALU_DEP_1) | instskip(NEXT) | instid1(VALU_DEP_1)
	v_dual_add_f32 v57, v57, v125 :: v_dual_add_f32 v58, v58, v60
	v_add_f32_e32 v57, v57, v126
	s_delay_alu instid0(VALU_DEP_1) | instskip(NEXT) | instid1(VALU_DEP_1)
	v_add_f32_e32 v57, v57, v127
	v_add_f32_e32 v57, v57, v128
	s_wait_loadcnt 0x0
	s_delay_alu instid0(VALU_DEP_1) | instskip(NEXT) | instid1(VALU_DEP_1)
	v_dual_add_f32 v60, v57, v129 :: v_dual_sub_f32 v57, v116, v58
	v_sub_f32_e32 v58, v117, v60
	scratch_store_b64 off, v[57:58], off offset:104
	v_cmpx_lt_u32_e32 12, v0
	s_cbranch_execz .LBB91_157
; %bb.156:
	scratch_load_b64 v[57:58], off, off offset:96
	v_mov_b32_e32 v60, 0
	s_delay_alu instid0(VALU_DEP_1)
	v_mov_b32_e32 v61, v60
	scratch_store_b64 off, v[60:61], off offset:96
	s_wait_loadcnt 0x0
	ds_store_b64 v59, v[57:58]
.LBB91_157:
	s_wait_alu 0xfffe
	s_or_b32 exec_lo, exec_lo, s0
	s_wait_storecnt_dscnt 0x0
	s_barrier_signal -1
	s_barrier_wait -1
	global_inv scope:SCOPE_SE
	s_clause 0x8
	scratch_load_b128 v[60:63], off, off offset:104
	scratch_load_b128 v[64:67], off, off offset:120
	;; [unrolled: 1-line block ×7, first 2 shown]
	scratch_load_b64 v[116:117], off, off offset:216
	scratch_load_b64 v[118:119], off, off offset:96
	v_mov_b32_e32 v57, 0
	ds_load_2addr_b64 v[88:91], v57 offset0:41 offset1:42
	ds_load_2addr_b64 v[92:95], v57 offset0:43 offset1:44
	;; [unrolled: 1-line block ×7, first 2 shown]
	ds_load_b64 v[120:121], v57 offset:440
	s_mov_b32 s0, exec_lo
	s_wait_loadcnt_dscnt 0x807
	v_mul_f32_e32 v58, v88, v61
	v_dual_mul_f32 v61, v89, v61 :: v_dual_mul_f32 v122, v90, v63
	s_wait_loadcnt_dscnt 0x706
	v_mul_f32_e32 v123, v92, v65
	v_mul_f32_e32 v63, v91, v63
	s_wait_loadcnt_dscnt 0x302
	v_mul_f32_e32 v132, v110, v83
	v_fma_f32 v61, v88, v60, -v61
	s_wait_loadcnt_dscnt 0x100
	v_dual_mul_f32 v135, v120, v117 :: v_dual_fmac_f32 v58, v89, v60
	v_mul_f32_e32 v60, v93, v65
	s_delay_alu instid0(VALU_DEP_3) | instskip(SKIP_1) | instid1(VALU_DEP_4)
	v_dual_fmac_f32 v122, v91, v62 :: v_dual_add_f32 v61, 0, v61
	v_fma_f32 v62, v90, v62, -v63
	v_dual_add_f32 v58, 0, v58 :: v_dual_mul_f32 v63, v95, v67
	v_fmac_f32_e32 v123, v93, v64
	v_fma_f32 v60, v92, v64, -v60
	v_dual_mul_f32 v124, v94, v67 :: v_dual_mul_f32 v125, v96, v69
	s_delay_alu instid0(VALU_DEP_4)
	v_add_f32_e32 v58, v58, v122
	v_add_f32_e32 v61, v61, v62
	v_mul_f32_e32 v62, v97, v69
	v_fma_f32 v63, v94, v66, -v63
	v_dual_mul_f32 v128, v102, v75 :: v_dual_mul_f32 v129, v104, v77
	v_add_f32_e32 v58, v58, v123
	v_dual_add_f32 v60, v61, v60 :: v_dual_mul_f32 v61, v99, v71
	v_fma_f32 v62, v96, v68, -v62
	v_dual_mul_f32 v130, v106, v79 :: v_dual_mul_f32 v131, v108, v81
	s_delay_alu instid0(VALU_DEP_3) | instskip(NEXT) | instid1(VALU_DEP_4)
	v_dual_add_f32 v60, v60, v63 :: v_dual_mul_f32 v63, v101, v73
	v_fma_f32 v61, v98, v70, -v61
	v_dual_mul_f32 v133, v112, v85 :: v_dual_mul_f32 v134, v114, v87
	s_delay_alu instid0(VALU_DEP_3) | instskip(SKIP_3) | instid1(VALU_DEP_4)
	v_dual_add_f32 v60, v60, v62 :: v_dual_fmac_f32 v129, v105, v76
	v_dual_fmac_f32 v124, v95, v66 :: v_dual_fmac_f32 v125, v97, v68
	v_dual_mul_f32 v62, v103, v75 :: v_dual_fmac_f32 v131, v109, v80
	v_fma_f32 v63, v100, v72, -v63
	v_dual_add_f32 v60, v60, v61 :: v_dual_fmac_f32 v133, v113, v84
	s_delay_alu instid0(VALU_DEP_4) | instskip(NEXT) | instid1(VALU_DEP_4)
	v_dual_add_f32 v58, v58, v124 :: v_dual_mul_f32 v61, v105, v77
	v_fma_f32 v62, v102, v74, -v62
	s_delay_alu instid0(VALU_DEP_3) | instskip(SKIP_3) | instid1(VALU_DEP_4)
	v_dual_add_f32 v60, v60, v63 :: v_dual_fmac_f32 v135, v121, v116
	v_dual_mul_f32 v126, v98, v71 :: v_dual_mul_f32 v127, v100, v73
	v_mul_f32_e32 v63, v107, v79
	v_fma_f32 v61, v104, v76, -v61
	v_add_f32_e32 v60, v60, v62
	s_delay_alu instid0(VALU_DEP_4) | instskip(SKIP_4) | instid1(VALU_DEP_4)
	v_dual_fmac_f32 v126, v99, v70 :: v_dual_fmac_f32 v127, v101, v72
	v_add_f32_e32 v58, v58, v125
	v_mul_f32_e32 v62, v109, v81
	v_fma_f32 v63, v106, v78, -v63
	v_dual_add_f32 v60, v60, v61 :: v_dual_mul_f32 v61, v111, v83
	v_add_f32_e32 v58, v58, v126
	s_delay_alu instid0(VALU_DEP_4) | instskip(SKIP_1) | instid1(VALU_DEP_4)
	v_fma_f32 v62, v108, v80, -v62
	v_fmac_f32_e32 v128, v103, v74
	v_dual_add_f32 v60, v60, v63 :: v_dual_mul_f32 v63, v113, v85
	s_delay_alu instid0(VALU_DEP_4) | instskip(SKIP_2) | instid1(VALU_DEP_4)
	v_add_f32_e32 v58, v58, v127
	v_fma_f32 v61, v110, v82, -v61
	v_fmac_f32_e32 v130, v107, v78
	v_add_f32_e32 v60, v60, v62
	v_fmac_f32_e32 v132, v111, v82
	v_mul_f32_e32 v62, v115, v87
	v_fma_f32 v63, v112, v84, -v63
	v_fmac_f32_e32 v134, v115, v86
	v_add_f32_e32 v60, v60, v61
	v_dual_mul_f32 v61, v121, v117 :: v_dual_add_f32 v58, v58, v128
	v_fma_f32 v62, v114, v86, -v62
	s_delay_alu instid0(VALU_DEP_3) | instskip(NEXT) | instid1(VALU_DEP_3)
	v_add_f32_e32 v60, v60, v63
	v_fma_f32 v61, v120, v116, -v61
	s_delay_alu instid0(VALU_DEP_4) | instskip(NEXT) | instid1(VALU_DEP_3)
	v_add_f32_e32 v58, v58, v129
	v_add_f32_e32 v60, v60, v62
	s_delay_alu instid0(VALU_DEP_2) | instskip(NEXT) | instid1(VALU_DEP_2)
	v_add_f32_e32 v58, v58, v130
	v_add_f32_e32 v60, v60, v61
	s_delay_alu instid0(VALU_DEP_2) | instskip(SKIP_1) | instid1(VALU_DEP_2)
	v_add_f32_e32 v58, v58, v131
	s_wait_loadcnt 0x0
	v_sub_f32_e32 v60, v118, v60
	s_delay_alu instid0(VALU_DEP_2) | instskip(NEXT) | instid1(VALU_DEP_1)
	v_add_f32_e32 v58, v58, v132
	v_add_f32_e32 v58, v58, v133
	s_delay_alu instid0(VALU_DEP_1) | instskip(NEXT) | instid1(VALU_DEP_1)
	v_add_f32_e32 v58, v58, v134
	v_add_f32_e32 v58, v58, v135
	s_delay_alu instid0(VALU_DEP_1)
	v_sub_f32_e32 v61, v119, v58
	scratch_store_b64 off, v[60:61], off offset:96
	v_cmpx_lt_u32_e32 11, v0
	s_cbranch_execz .LBB91_159
; %bb.158:
	scratch_load_b64 v[60:61], off, off offset:88
	v_mov_b32_e32 v58, v57
	scratch_store_b64 off, v[57:58], off offset:88
	s_wait_loadcnt 0x0
	ds_store_b64 v59, v[60:61]
.LBB91_159:
	s_wait_alu 0xfffe
	s_or_b32 exec_lo, exec_lo, s0
	s_wait_storecnt_dscnt 0x0
	s_barrier_signal -1
	s_barrier_wait -1
	global_inv scope:SCOPE_SE
	s_clause 0x8
	scratch_load_b128 v[60:63], off, off offset:96
	scratch_load_b128 v[64:67], off, off offset:112
	;; [unrolled: 1-line block ×8, first 2 shown]
	scratch_load_b64 v[124:125], off, off offset:88
	ds_load_b128 v[92:95], v57 offset:320
	ds_load_b128 v[96:99], v57 offset:336
	;; [unrolled: 1-line block ×8, first 2 shown]
	s_mov_b32 s0, exec_lo
	s_wait_loadcnt_dscnt 0x807
	v_dual_mul_f32 v57, v92, v61 :: v_dual_mul_f32 v58, v94, v63
	v_mul_f32_e32 v61, v93, v61
	s_wait_loadcnt_dscnt 0x706
	v_dual_mul_f32 v63, v95, v63 :: v_dual_mul_f32 v126, v96, v65
	s_delay_alu instid0(VALU_DEP_3) | instskip(NEXT) | instid1(VALU_DEP_3)
	v_dual_mul_f32 v127, v98, v67 :: v_dual_fmac_f32 v58, v95, v62
	v_fma_f32 v61, v92, v60, -v61
	v_fmac_f32_e32 v57, v93, v60
	v_mul_f32_e32 v60, v97, v65
	v_fma_f32 v62, v94, v62, -v63
	v_mul_f32_e32 v63, v99, v67
	v_dual_add_f32 v61, 0, v61 :: v_dual_fmac_f32 v126, v97, v64
	s_delay_alu instid0(VALU_DEP_4) | instskip(SKIP_2) | instid1(VALU_DEP_3)
	v_fma_f32 v60, v96, v64, -v60
	s_wait_loadcnt_dscnt 0x605
	v_dual_mul_f32 v128, v100, v69 :: v_dual_mul_f32 v129, v102, v71
	v_add_f32_e32 v61, v61, v62
	v_fmac_f32_e32 v127, v99, v66
	v_fma_f32 v62, v98, v66, -v63
	s_wait_loadcnt_dscnt 0x504
	v_dual_mul_f32 v130, v104, v73 :: v_dual_mul_f32 v131, v106, v75
	v_dual_add_f32 v60, v61, v60 :: v_dual_mul_f32 v61, v103, v71
	v_fmac_f32_e32 v128, v101, v68
	s_wait_loadcnt_dscnt 0x403
	v_dual_mul_f32 v132, v108, v77 :: v_dual_mul_f32 v133, v110, v79
	s_delay_alu instid0(VALU_DEP_3) | instskip(SKIP_3) | instid1(VALU_DEP_4)
	v_dual_add_f32 v60, v60, v62 :: v_dual_add_f32 v57, 0, v57
	v_mul_f32_e32 v62, v105, v73
	v_fma_f32 v61, v102, v70, -v61
	v_dual_fmac_f32 v129, v103, v70 :: v_dual_fmac_f32 v130, v105, v72
	v_add_f32_e32 v57, v57, v58
	v_mul_f32_e32 v58, v101, v69
	v_fma_f32 v62, v104, v72, -v62
	v_dual_fmac_f32 v131, v107, v74 :: v_dual_fmac_f32 v132, v109, v76
	s_wait_loadcnt_dscnt 0x302
	v_dual_mul_f32 v134, v112, v81 :: v_dual_mul_f32 v135, v114, v83
	v_fma_f32 v58, v100, v68, -v58
	s_wait_loadcnt_dscnt 0x201
	v_dual_mul_f32 v136, v116, v85 :: v_dual_mul_f32 v137, v118, v87
	s_wait_loadcnt_dscnt 0x100
	v_dual_mul_f32 v138, v120, v89 :: v_dual_mul_f32 v139, v122, v91
	v_add_f32_e32 v58, v60, v58
	v_mul_f32_e32 v60, v107, v75
	v_dual_fmac_f32 v136, v117, v84 :: v_dual_fmac_f32 v137, v119, v86
	s_delay_alu instid0(VALU_DEP_4) | instskip(NEXT) | instid1(VALU_DEP_4)
	v_dual_fmac_f32 v138, v121, v88 :: v_dual_fmac_f32 v139, v123, v90
	v_dual_add_f32 v58, v58, v61 :: v_dual_add_f32 v57, v57, v126
	v_mul_f32_e32 v61, v109, v77
	v_fma_f32 v60, v106, v74, -v60
	v_fmac_f32_e32 v133, v111, v78
	s_delay_alu instid0(VALU_DEP_4)
	v_add_f32_e32 v58, v58, v62
	v_mul_f32_e32 v62, v111, v79
	v_add_f32_e32 v57, v57, v127
	v_fma_f32 v61, v108, v76, -v61
	v_fmac_f32_e32 v134, v113, v80
	v_add_f32_e32 v58, v58, v60
	v_mul_f32_e32 v60, v113, v81
	v_add_f32_e32 v57, v57, v128
	v_fma_f32 v62, v110, v78, -v62
	s_delay_alu instid0(VALU_DEP_4) | instskip(SKIP_1) | instid1(VALU_DEP_4)
	v_dual_fmac_f32 v135, v115, v82 :: v_dual_add_f32 v58, v58, v61
	v_mul_f32_e32 v61, v115, v83
	v_add_f32_e32 v57, v57, v129
	v_fma_f32 v60, v112, v80, -v60
	s_delay_alu instid0(VALU_DEP_4) | instskip(NEXT) | instid1(VALU_DEP_4)
	v_add_f32_e32 v58, v58, v62
	v_fma_f32 v61, v114, v82, -v61
	s_delay_alu instid0(VALU_DEP_4) | instskip(SKIP_1) | instid1(VALU_DEP_4)
	v_add_f32_e32 v57, v57, v130
	v_mul_f32_e32 v62, v117, v85
	v_add_f32_e32 v58, v58, v60
	v_mul_f32_e32 v60, v119, v87
	s_delay_alu instid0(VALU_DEP_4) | instskip(NEXT) | instid1(VALU_DEP_4)
	v_add_f32_e32 v57, v57, v131
	v_fma_f32 v62, v116, v84, -v62
	s_delay_alu instid0(VALU_DEP_4) | instskip(SKIP_1) | instid1(VALU_DEP_4)
	v_add_f32_e32 v58, v58, v61
	v_mul_f32_e32 v61, v121, v89
	v_add_f32_e32 v57, v57, v132
	v_fma_f32 v60, v118, v86, -v60
	s_delay_alu instid0(VALU_DEP_4) | instskip(NEXT) | instid1(VALU_DEP_3)
	v_add_f32_e32 v58, v58, v62
	v_dual_mul_f32 v62, v123, v91 :: v_dual_add_f32 v57, v57, v133
	v_fma_f32 v61, v120, v88, -v61
	s_delay_alu instid0(VALU_DEP_3) | instskip(NEXT) | instid1(VALU_DEP_3)
	v_add_f32_e32 v58, v58, v60
	v_fma_f32 v60, v122, v90, -v62
	s_delay_alu instid0(VALU_DEP_2) | instskip(NEXT) | instid1(VALU_DEP_1)
	v_dual_add_f32 v57, v57, v134 :: v_dual_add_f32 v58, v58, v61
	v_dual_add_f32 v57, v57, v135 :: v_dual_add_f32 v58, v58, v60
	s_delay_alu instid0(VALU_DEP_1) | instskip(NEXT) | instid1(VALU_DEP_1)
	v_add_f32_e32 v57, v57, v136
	v_add_f32_e32 v57, v57, v137
	s_delay_alu instid0(VALU_DEP_1) | instskip(SKIP_1) | instid1(VALU_DEP_1)
	v_add_f32_e32 v57, v57, v138
	s_wait_loadcnt 0x0
	v_dual_add_f32 v60, v57, v139 :: v_dual_sub_f32 v57, v124, v58
	s_delay_alu instid0(VALU_DEP_1)
	v_sub_f32_e32 v58, v125, v60
	scratch_store_b64 off, v[57:58], off offset:88
	v_cmpx_lt_u32_e32 10, v0
	s_cbranch_execz .LBB91_161
; %bb.160:
	scratch_load_b64 v[57:58], off, off offset:80
	v_mov_b32_e32 v60, 0
	s_delay_alu instid0(VALU_DEP_1)
	v_mov_b32_e32 v61, v60
	scratch_store_b64 off, v[60:61], off offset:80
	s_wait_loadcnt 0x0
	ds_store_b64 v59, v[57:58]
.LBB91_161:
	s_wait_alu 0xfffe
	s_or_b32 exec_lo, exec_lo, s0
	s_wait_storecnt_dscnt 0x0
	s_barrier_signal -1
	s_barrier_wait -1
	global_inv scope:SCOPE_SE
	s_clause 0x9
	scratch_load_b128 v[60:63], off, off offset:88
	scratch_load_b128 v[64:67], off, off offset:104
	;; [unrolled: 1-line block ×8, first 2 shown]
	scratch_load_b64 v[124:125], off, off offset:216
	scratch_load_b64 v[126:127], off, off offset:80
	v_mov_b32_e32 v57, 0
	ds_load_2addr_b64 v[92:95], v57 offset0:39 offset1:40
	ds_load_2addr_b64 v[96:99], v57 offset0:41 offset1:42
	;; [unrolled: 1-line block ×8, first 2 shown]
	ds_load_b64 v[128:129], v57 offset:440
	s_mov_b32 s0, exec_lo
	s_wait_loadcnt_dscnt 0x908
	v_mul_f32_e32 v58, v92, v61
	s_wait_loadcnt_dscnt 0x807
	v_dual_mul_f32 v130, v94, v63 :: v_dual_mul_f32 v131, v96, v65
	v_mul_f32_e32 v61, v93, v61
	s_delay_alu instid0(VALU_DEP_3)
	v_dual_mul_f32 v63, v95, v63 :: v_dual_fmac_f32 v58, v93, v60
	s_wait_loadcnt_dscnt 0x302
	v_mul_f32_e32 v142, v118, v87
	v_dual_mul_f32 v132, v98, v67 :: v_dual_mul_f32 v133, v100, v69
	s_wait_loadcnt_dscnt 0x100
	v_mul_f32_e32 v145, v128, v125
	v_fma_f32 v61, v92, v60, -v61
	v_mul_f32_e32 v60, v97, v65
	v_fmac_f32_e32 v130, v95, v62
	v_fma_f32 v62, v94, v62, -v63
	v_dual_add_f32 v58, 0, v58 :: v_dual_mul_f32 v63, v99, v67
	v_add_f32_e32 v61, 0, v61
	v_fmac_f32_e32 v131, v97, v64
	v_fma_f32 v60, v96, v64, -v60
	s_delay_alu instid0(VALU_DEP_4)
	v_add_f32_e32 v58, v58, v130
	v_fma_f32 v63, v98, v66, -v63
	v_add_f32_e32 v61, v61, v62
	v_mul_f32_e32 v62, v101, v69
	v_dual_mul_f32 v136, v106, v75 :: v_dual_mul_f32 v137, v108, v77
	v_add_f32_e32 v58, v58, v131
	s_delay_alu instid0(VALU_DEP_4) | instskip(NEXT) | instid1(VALU_DEP_4)
	v_dual_add_f32 v60, v61, v60 :: v_dual_mul_f32 v61, v103, v71
	v_fma_f32 v62, v100, v68, -v62
	v_dual_mul_f32 v138, v110, v79 :: v_dual_mul_f32 v139, v112, v81
	s_delay_alu instid0(VALU_DEP_3) | instskip(NEXT) | instid1(VALU_DEP_4)
	v_dual_add_f32 v60, v60, v63 :: v_dual_mul_f32 v63, v105, v73
	v_fma_f32 v61, v102, v70, -v61
	v_dual_mul_f32 v140, v114, v83 :: v_dual_mul_f32 v141, v116, v85
	s_delay_alu instid0(VALU_DEP_3) | instskip(SKIP_3) | instid1(VALU_DEP_4)
	v_dual_add_f32 v60, v60, v62 :: v_dual_fmac_f32 v137, v109, v76
	v_dual_fmac_f32 v132, v99, v66 :: v_dual_fmac_f32 v133, v101, v68
	v_dual_mul_f32 v62, v107, v75 :: v_dual_fmac_f32 v139, v113, v80
	v_fma_f32 v63, v104, v72, -v63
	v_dual_add_f32 v60, v60, v61 :: v_dual_fmac_f32 v141, v117, v84
	v_dual_mul_f32 v143, v120, v89 :: v_dual_mul_f32 v144, v122, v91
	v_dual_add_f32 v58, v58, v132 :: v_dual_mul_f32 v61, v109, v77
	v_fma_f32 v62, v106, v74, -v62
	s_delay_alu instid0(VALU_DEP_3) | instskip(SKIP_3) | instid1(VALU_DEP_4)
	v_dual_add_f32 v60, v60, v63 :: v_dual_fmac_f32 v143, v121, v88
	v_dual_mul_f32 v134, v102, v71 :: v_dual_mul_f32 v135, v104, v73
	v_mul_f32_e32 v63, v111, v79
	v_fma_f32 v61, v108, v76, -v61
	v_add_f32_e32 v60, v60, v62
	s_delay_alu instid0(VALU_DEP_4) | instskip(SKIP_4) | instid1(VALU_DEP_4)
	v_dual_fmac_f32 v134, v103, v70 :: v_dual_fmac_f32 v135, v105, v72
	v_add_f32_e32 v58, v58, v133
	v_mul_f32_e32 v62, v113, v81
	v_fma_f32 v63, v110, v78, -v63
	v_dual_add_f32 v60, v60, v61 :: v_dual_mul_f32 v61, v115, v83
	v_add_f32_e32 v58, v58, v134
	s_delay_alu instid0(VALU_DEP_4) | instskip(SKIP_1) | instid1(VALU_DEP_4)
	v_fma_f32 v62, v112, v80, -v62
	v_fmac_f32_e32 v136, v107, v74
	v_dual_add_f32 v60, v60, v63 :: v_dual_mul_f32 v63, v117, v85
	s_delay_alu instid0(VALU_DEP_4) | instskip(SKIP_1) | instid1(VALU_DEP_3)
	v_dual_add_f32 v58, v58, v135 :: v_dual_fmac_f32 v145, v129, v124
	v_fma_f32 v61, v114, v82, -v61
	v_add_f32_e32 v60, v60, v62
	v_fmac_f32_e32 v138, v111, v78
	v_fmac_f32_e32 v140, v115, v82
	v_mul_f32_e32 v62, v119, v87
	v_fma_f32 v63, v116, v84, -v63
	v_add_f32_e32 v60, v60, v61
	v_dual_mul_f32 v61, v121, v89 :: v_dual_add_f32 v58, v58, v136
	v_fmac_f32_e32 v142, v119, v86
	v_fma_f32 v62, v118, v86, -v62
	s_delay_alu instid0(VALU_DEP_4) | instskip(NEXT) | instid1(VALU_DEP_4)
	v_add_f32_e32 v60, v60, v63
	v_dual_mul_f32 v63, v123, v91 :: v_dual_add_f32 v58, v58, v137
	v_fma_f32 v61, v120, v88, -v61
	v_fmac_f32_e32 v144, v123, v90
	s_delay_alu instid0(VALU_DEP_4) | instskip(SKIP_3) | instid1(VALU_DEP_4)
	v_add_f32_e32 v60, v60, v62
	v_mul_f32_e32 v62, v129, v125
	v_add_f32_e32 v58, v58, v138
	v_fma_f32 v63, v122, v90, -v63
	v_add_f32_e32 v60, v60, v61
	s_delay_alu instid0(VALU_DEP_4) | instskip(NEXT) | instid1(VALU_DEP_4)
	v_fma_f32 v61, v128, v124, -v62
	v_add_f32_e32 v58, v58, v139
	s_delay_alu instid0(VALU_DEP_3) | instskip(NEXT) | instid1(VALU_DEP_2)
	v_add_f32_e32 v60, v60, v63
	v_add_f32_e32 v58, v58, v140
	s_delay_alu instid0(VALU_DEP_2) | instskip(NEXT) | instid1(VALU_DEP_2)
	v_add_f32_e32 v60, v60, v61
	v_add_f32_e32 v58, v58, v141
	s_wait_loadcnt 0x0
	s_delay_alu instid0(VALU_DEP_2) | instskip(NEXT) | instid1(VALU_DEP_2)
	v_sub_f32_e32 v60, v126, v60
	v_add_f32_e32 v58, v58, v142
	s_delay_alu instid0(VALU_DEP_1) | instskip(NEXT) | instid1(VALU_DEP_1)
	v_add_f32_e32 v58, v58, v143
	v_add_f32_e32 v58, v58, v144
	s_delay_alu instid0(VALU_DEP_1) | instskip(NEXT) | instid1(VALU_DEP_1)
	v_add_f32_e32 v58, v58, v145
	v_sub_f32_e32 v61, v127, v58
	scratch_store_b64 off, v[60:61], off offset:80
	v_cmpx_lt_u32_e32 9, v0
	s_cbranch_execz .LBB91_163
; %bb.162:
	scratch_load_b64 v[60:61], off, off offset:72
	v_mov_b32_e32 v58, v57
	scratch_store_b64 off, v[57:58], off offset:72
	s_wait_loadcnt 0x0
	ds_store_b64 v59, v[60:61]
.LBB91_163:
	s_wait_alu 0xfffe
	s_or_b32 exec_lo, exec_lo, s0
	s_wait_storecnt_dscnt 0x0
	s_barrier_signal -1
	s_barrier_wait -1
	global_inv scope:SCOPE_SE
	s_clause 0x9
	scratch_load_b128 v[60:63], off, off offset:80
	scratch_load_b128 v[64:67], off, off offset:96
	;; [unrolled: 1-line block ×9, first 2 shown]
	scratch_load_b64 v[132:133], off, off offset:72
	ds_load_b128 v[96:99], v57 offset:304
	ds_load_b128 v[100:103], v57 offset:320
	;; [unrolled: 1-line block ×9, first 2 shown]
	s_mov_b32 s0, exec_lo
	s_wait_loadcnt_dscnt 0x908
	v_dual_mul_f32 v57, v96, v61 :: v_dual_mul_f32 v58, v98, v63
	v_mul_f32_e32 v61, v97, v61
	s_wait_loadcnt_dscnt 0x807
	v_dual_mul_f32 v63, v99, v63 :: v_dual_mul_f32 v134, v100, v65
	s_delay_alu instid0(VALU_DEP_3) | instskip(NEXT) | instid1(VALU_DEP_3)
	v_dual_mul_f32 v135, v102, v67 :: v_dual_fmac_f32 v58, v99, v62
	v_fma_f32 v61, v96, v60, -v61
	v_fmac_f32_e32 v57, v97, v60
	v_mul_f32_e32 v60, v101, v65
	v_fma_f32 v62, v98, v62, -v63
	v_mul_f32_e32 v63, v103, v67
	v_dual_add_f32 v61, 0, v61 :: v_dual_fmac_f32 v134, v101, v64
	s_delay_alu instid0(VALU_DEP_4) | instskip(SKIP_2) | instid1(VALU_DEP_3)
	v_fma_f32 v60, v100, v64, -v60
	s_wait_loadcnt_dscnt 0x706
	v_dual_mul_f32 v136, v104, v69 :: v_dual_mul_f32 v137, v106, v71
	v_add_f32_e32 v61, v61, v62
	v_fmac_f32_e32 v135, v103, v66
	v_fma_f32 v62, v102, v66, -v63
	s_wait_loadcnt_dscnt 0x605
	v_dual_mul_f32 v138, v108, v73 :: v_dual_mul_f32 v139, v110, v75
	v_dual_add_f32 v60, v61, v60 :: v_dual_mul_f32 v61, v107, v71
	v_fmac_f32_e32 v136, v105, v68
	s_wait_loadcnt_dscnt 0x504
	v_dual_mul_f32 v140, v112, v77 :: v_dual_mul_f32 v141, v114, v79
	s_delay_alu instid0(VALU_DEP_3) | instskip(SKIP_3) | instid1(VALU_DEP_4)
	v_dual_add_f32 v60, v60, v62 :: v_dual_add_f32 v57, 0, v57
	v_mul_f32_e32 v62, v109, v73
	v_fma_f32 v61, v106, v70, -v61
	v_dual_fmac_f32 v137, v107, v70 :: v_dual_fmac_f32 v138, v109, v72
	v_add_f32_e32 v57, v57, v58
	v_mul_f32_e32 v58, v105, v69
	v_fma_f32 v62, v108, v72, -v62
	v_dual_fmac_f32 v139, v111, v74 :: v_dual_fmac_f32 v140, v113, v76
	s_wait_loadcnt_dscnt 0x403
	v_dual_mul_f32 v142, v116, v81 :: v_dual_mul_f32 v143, v118, v83
	v_fma_f32 v58, v104, v68, -v58
	s_wait_loadcnt_dscnt 0x302
	v_dual_mul_f32 v144, v120, v85 :: v_dual_mul_f32 v145, v122, v87
	s_wait_loadcnt_dscnt 0x201
	v_dual_mul_f32 v146, v124, v89 :: v_dual_mul_f32 v147, v126, v91
	v_add_f32_e32 v58, v60, v58
	v_mul_f32_e32 v60, v111, v75
	v_dual_fmac_f32 v144, v121, v84 :: v_dual_fmac_f32 v145, v123, v86
	s_delay_alu instid0(VALU_DEP_4) | instskip(NEXT) | instid1(VALU_DEP_4)
	v_dual_fmac_f32 v146, v125, v88 :: v_dual_fmac_f32 v147, v127, v90
	v_dual_add_f32 v58, v58, v61 :: v_dual_add_f32 v57, v57, v134
	v_mul_f32_e32 v61, v113, v77
	v_fma_f32 v60, v110, v74, -v60
	v_fmac_f32_e32 v141, v115, v78
	s_delay_alu instid0(VALU_DEP_4)
	v_add_f32_e32 v58, v58, v62
	v_mul_f32_e32 v62, v115, v79
	v_add_f32_e32 v57, v57, v135
	v_fma_f32 v61, v112, v76, -v61
	v_fmac_f32_e32 v142, v117, v80
	v_add_f32_e32 v58, v58, v60
	v_mul_f32_e32 v60, v117, v81
	v_add_f32_e32 v57, v57, v136
	v_fma_f32 v62, v114, v78, -v62
	s_delay_alu instid0(VALU_DEP_4) | instskip(SKIP_1) | instid1(VALU_DEP_4)
	v_dual_fmac_f32 v143, v119, v82 :: v_dual_add_f32 v58, v58, v61
	v_mul_f32_e32 v61, v119, v83
	v_add_f32_e32 v57, v57, v137
	v_fma_f32 v60, v116, v80, -v60
	s_wait_loadcnt_dscnt 0x100
	v_dual_mul_f32 v148, v128, v93 :: v_dual_mul_f32 v149, v130, v95
	v_add_f32_e32 v58, v58, v62
	v_add_f32_e32 v57, v57, v138
	v_fma_f32 v61, v118, v82, -v61
	v_mul_f32_e32 v62, v121, v85
	v_dual_fmac_f32 v148, v129, v92 :: v_dual_fmac_f32 v149, v131, v94
	s_delay_alu instid0(VALU_DEP_4) | instskip(SKIP_1) | instid1(VALU_DEP_4)
	v_dual_add_f32 v58, v58, v60 :: v_dual_add_f32 v57, v57, v139
	v_mul_f32_e32 v60, v123, v87
	v_fma_f32 v62, v120, v84, -v62
	s_delay_alu instid0(VALU_DEP_3) | instskip(SKIP_1) | instid1(VALU_DEP_4)
	v_dual_add_f32 v58, v58, v61 :: v_dual_add_f32 v57, v57, v140
	v_mul_f32_e32 v61, v125, v89
	v_fma_f32 v60, v122, v86, -v60
	s_delay_alu instid0(VALU_DEP_3) | instskip(SKIP_1) | instid1(VALU_DEP_4)
	;; [unrolled: 4-line block ×4, first 2 shown]
	v_dual_add_f32 v58, v58, v61 :: v_dual_add_f32 v57, v57, v143
	v_mul_f32_e32 v61, v131, v95
	v_fma_f32 v60, v128, v92, -v60
	s_delay_alu instid0(VALU_DEP_3) | instskip(NEXT) | instid1(VALU_DEP_3)
	v_dual_add_f32 v58, v58, v62 :: v_dual_add_f32 v57, v57, v144
	v_fma_f32 v61, v130, v94, -v61
	s_delay_alu instid0(VALU_DEP_2) | instskip(NEXT) | instid1(VALU_DEP_1)
	v_dual_add_f32 v58, v58, v60 :: v_dual_add_f32 v57, v57, v145
	v_dual_add_f32 v58, v58, v61 :: v_dual_add_f32 v57, v57, v146
	s_delay_alu instid0(VALU_DEP_1) | instskip(NEXT) | instid1(VALU_DEP_1)
	v_add_f32_e32 v57, v57, v147
	v_add_f32_e32 v57, v57, v148
	s_wait_loadcnt 0x0
	s_delay_alu instid0(VALU_DEP_1) | instskip(NEXT) | instid1(VALU_DEP_1)
	v_dual_add_f32 v60, v57, v149 :: v_dual_sub_f32 v57, v132, v58
	v_sub_f32_e32 v58, v133, v60
	scratch_store_b64 off, v[57:58], off offset:72
	v_cmpx_lt_u32_e32 8, v0
	s_cbranch_execz .LBB91_165
; %bb.164:
	scratch_load_b64 v[57:58], off, off offset:64
	v_mov_b32_e32 v60, 0
	s_delay_alu instid0(VALU_DEP_1)
	v_mov_b32_e32 v61, v60
	scratch_store_b64 off, v[60:61], off offset:64
	s_wait_loadcnt 0x0
	ds_store_b64 v59, v[57:58]
.LBB91_165:
	s_wait_alu 0xfffe
	s_or_b32 exec_lo, exec_lo, s0
	s_wait_storecnt_dscnt 0x0
	s_barrier_signal -1
	s_barrier_wait -1
	global_inv scope:SCOPE_SE
	s_clause 0xa
	scratch_load_b128 v[60:63], off, off offset:72
	scratch_load_b128 v[64:67], off, off offset:88
	;; [unrolled: 1-line block ×9, first 2 shown]
	scratch_load_b64 v[132:133], off, off offset:216
	scratch_load_b64 v[134:135], off, off offset:64
	v_mov_b32_e32 v57, 0
	ds_load_2addr_b64 v[96:99], v57 offset0:37 offset1:38
	ds_load_2addr_b64 v[100:103], v57 offset0:39 offset1:40
	;; [unrolled: 1-line block ×9, first 2 shown]
	ds_load_b64 v[136:137], v57 offset:440
	s_mov_b32 s0, exec_lo
	s_wait_loadcnt_dscnt 0xa09
	v_mul_f32_e32 v58, v96, v61
	s_wait_loadcnt_dscnt 0x908
	v_dual_mul_f32 v138, v98, v63 :: v_dual_mul_f32 v139, v100, v65
	v_mul_f32_e32 v61, v97, v61
	s_delay_alu instid0(VALU_DEP_3)
	v_dual_mul_f32 v63, v99, v63 :: v_dual_fmac_f32 v58, v97, v60
	s_wait_loadcnt_dscnt 0x807
	v_dual_mul_f32 v140, v102, v67 :: v_dual_mul_f32 v141, v104, v69
	s_wait_loadcnt_dscnt 0x100
	v_dual_mul_f32 v152, v126, v91 :: v_dual_mul_f32 v155, v136, v133
	v_fma_f32 v61, v96, v60, -v61
	v_mul_f32_e32 v60, v101, v65
	v_fmac_f32_e32 v138, v99, v62
	v_fma_f32 v62, v98, v62, -v63
	v_dual_add_f32 v58, 0, v58 :: v_dual_mul_f32 v63, v103, v67
	v_add_f32_e32 v61, 0, v61
	v_fmac_f32_e32 v139, v101, v64
	v_fma_f32 v60, v100, v64, -v60
	s_delay_alu instid0(VALU_DEP_4)
	v_add_f32_e32 v58, v58, v138
	v_fma_f32 v63, v102, v66, -v63
	v_add_f32_e32 v61, v61, v62
	v_mul_f32_e32 v62, v105, v69
	v_dual_mul_f32 v144, v110, v75 :: v_dual_mul_f32 v145, v112, v77
	v_add_f32_e32 v58, v58, v139
	s_delay_alu instid0(VALU_DEP_4) | instskip(NEXT) | instid1(VALU_DEP_4)
	v_dual_add_f32 v60, v61, v60 :: v_dual_mul_f32 v61, v107, v71
	v_fma_f32 v62, v104, v68, -v62
	v_dual_mul_f32 v146, v114, v79 :: v_dual_mul_f32 v147, v116, v81
	s_delay_alu instid0(VALU_DEP_3) | instskip(NEXT) | instid1(VALU_DEP_4)
	v_dual_add_f32 v60, v60, v63 :: v_dual_mul_f32 v63, v109, v73
	v_fma_f32 v61, v106, v70, -v61
	v_dual_mul_f32 v148, v118, v83 :: v_dual_mul_f32 v149, v120, v85
	s_delay_alu instid0(VALU_DEP_3) | instskip(SKIP_3) | instid1(VALU_DEP_4)
	v_dual_add_f32 v60, v60, v62 :: v_dual_fmac_f32 v145, v113, v76
	v_dual_fmac_f32 v140, v103, v66 :: v_dual_fmac_f32 v141, v105, v68
	v_dual_mul_f32 v62, v111, v75 :: v_dual_fmac_f32 v147, v117, v80
	v_fma_f32 v63, v108, v72, -v63
	v_dual_add_f32 v60, v60, v61 :: v_dual_fmac_f32 v149, v121, v84
	v_dual_mul_f32 v150, v122, v87 :: v_dual_mul_f32 v151, v124, v89
	v_dual_add_f32 v58, v58, v140 :: v_dual_mul_f32 v61, v113, v77
	v_fma_f32 v62, v110, v74, -v62
	s_delay_alu instid0(VALU_DEP_3) | instskip(SKIP_1) | instid1(VALU_DEP_4)
	v_dual_add_f32 v60, v60, v63 :: v_dual_fmac_f32 v151, v125, v88
	v_mul_f32_e32 v63, v115, v79
	v_fma_f32 v61, v112, v76, -v61
	v_dual_mul_f32 v142, v106, v71 :: v_dual_mul_f32 v143, v108, v73
	s_delay_alu instid0(VALU_DEP_4) | instskip(SKIP_2) | instid1(VALU_DEP_4)
	v_add_f32_e32 v60, v60, v62
	v_mul_f32_e32 v62, v117, v81
	v_fma_f32 v63, v114, v78, -v63
	v_dual_fmac_f32 v142, v107, v70 :: v_dual_fmac_f32 v143, v109, v72
	s_delay_alu instid0(VALU_DEP_4) | instskip(SKIP_2) | instid1(VALU_DEP_3)
	v_dual_add_f32 v60, v60, v61 :: v_dual_fmac_f32 v155, v137, v132
	v_dual_add_f32 v58, v58, v141 :: v_dual_mul_f32 v61, v119, v83
	v_fma_f32 v62, v116, v80, -v62
	v_dual_add_f32 v60, v60, v63 :: v_dual_mul_f32 v63, v121, v85
	s_delay_alu instid0(VALU_DEP_3) | instskip(NEXT) | instid1(VALU_DEP_4)
	v_add_f32_e32 v58, v58, v142
	v_fma_f32 v61, v118, v82, -v61
	v_dual_mul_f32 v153, v128, v93 :: v_dual_mul_f32 v154, v130, v95
	s_delay_alu instid0(VALU_DEP_4)
	v_add_f32_e32 v60, v60, v62
	v_mul_f32_e32 v62, v123, v87
	v_fma_f32 v63, v120, v84, -v63
	v_fmac_f32_e32 v144, v111, v74
	v_dual_add_f32 v58, v58, v143 :: v_dual_fmac_f32 v153, v129, v92
	v_add_f32_e32 v60, v60, v61
	v_mul_f32_e32 v61, v125, v89
	v_fma_f32 v62, v122, v86, -v62
	s_delay_alu instid0(VALU_DEP_4)
	v_add_f32_e32 v58, v58, v144
	v_fmac_f32_e32 v146, v115, v78
	v_add_f32_e32 v60, v60, v63
	v_mul_f32_e32 v63, v127, v91
	v_fma_f32 v61, v124, v88, -v61
	v_fmac_f32_e32 v148, v119, v82
	v_fmac_f32_e32 v150, v123, v86
	v_add_f32_e32 v60, v60, v62
	v_fma_f32 v63, v126, v90, -v63
	v_mul_f32_e32 v62, v129, v93
	v_fmac_f32_e32 v152, v127, v90
	v_fmac_f32_e32 v154, v131, v94
	v_dual_add_f32 v60, v60, v61 :: v_dual_mul_f32 v61, v131, v95
	v_add_f32_e32 v58, v58, v145
	v_fma_f32 v62, v128, v92, -v62
	s_delay_alu instid0(VALU_DEP_3) | instskip(NEXT) | instid1(VALU_DEP_3)
	v_dual_add_f32 v60, v60, v63 :: v_dual_mul_f32 v63, v137, v133
	v_add_f32_e32 v58, v58, v146
	v_fma_f32 v61, v130, v94, -v61
	s_delay_alu instid0(VALU_DEP_3) | instskip(NEXT) | instid1(VALU_DEP_4)
	v_add_f32_e32 v60, v60, v62
	v_fma_f32 v62, v136, v132, -v63
	s_delay_alu instid0(VALU_DEP_4) | instskip(NEXT) | instid1(VALU_DEP_3)
	v_add_f32_e32 v58, v58, v147
	v_add_f32_e32 v60, v60, v61
	s_delay_alu instid0(VALU_DEP_2) | instskip(NEXT) | instid1(VALU_DEP_2)
	v_add_f32_e32 v58, v58, v148
	v_add_f32_e32 v60, v60, v62
	s_delay_alu instid0(VALU_DEP_2) | instskip(SKIP_1) | instid1(VALU_DEP_2)
	v_add_f32_e32 v58, v58, v149
	s_wait_loadcnt 0x0
	v_sub_f32_e32 v60, v134, v60
	s_delay_alu instid0(VALU_DEP_2) | instskip(NEXT) | instid1(VALU_DEP_1)
	v_add_f32_e32 v58, v58, v150
	v_add_f32_e32 v58, v58, v151
	s_delay_alu instid0(VALU_DEP_1) | instskip(NEXT) | instid1(VALU_DEP_1)
	v_add_f32_e32 v58, v58, v152
	v_add_f32_e32 v58, v58, v153
	s_delay_alu instid0(VALU_DEP_1) | instskip(NEXT) | instid1(VALU_DEP_1)
	v_add_f32_e32 v58, v58, v154
	v_add_f32_e32 v58, v58, v155
	s_delay_alu instid0(VALU_DEP_1)
	v_sub_f32_e32 v61, v135, v58
	scratch_store_b64 off, v[60:61], off offset:64
	v_cmpx_lt_u32_e32 7, v0
	s_cbranch_execz .LBB91_167
; %bb.166:
	scratch_load_b64 v[60:61], off, off offset:56
	v_mov_b32_e32 v58, v57
	scratch_store_b64 off, v[57:58], off offset:56
	s_wait_loadcnt 0x0
	ds_store_b64 v59, v[60:61]
.LBB91_167:
	s_wait_alu 0xfffe
	s_or_b32 exec_lo, exec_lo, s0
	s_wait_storecnt_dscnt 0x0
	s_barrier_signal -1
	s_barrier_wait -1
	global_inv scope:SCOPE_SE
	s_clause 0xa
	scratch_load_b128 v[60:63], off, off offset:64
	scratch_load_b128 v[64:67], off, off offset:80
	;; [unrolled: 1-line block ×10, first 2 shown]
	scratch_load_b64 v[140:141], off, off offset:56
	ds_load_b128 v[100:103], v57 offset:288
	ds_load_b128 v[104:107], v57 offset:304
	;; [unrolled: 1-line block ×10, first 2 shown]
	s_mov_b32 s0, exec_lo
	s_wait_loadcnt_dscnt 0xa09
	v_dual_mul_f32 v57, v100, v61 :: v_dual_mul_f32 v58, v102, v63
	v_mul_f32_e32 v61, v101, v61
	s_wait_loadcnt_dscnt 0x908
	v_dual_mul_f32 v63, v103, v63 :: v_dual_mul_f32 v142, v104, v65
	s_delay_alu instid0(VALU_DEP_3) | instskip(NEXT) | instid1(VALU_DEP_3)
	v_dual_mul_f32 v143, v106, v67 :: v_dual_fmac_f32 v58, v103, v62
	v_fma_f32 v61, v100, v60, -v61
	v_fmac_f32_e32 v57, v101, v60
	v_mul_f32_e32 v60, v105, v65
	v_fma_f32 v62, v102, v62, -v63
	v_mul_f32_e32 v63, v107, v67
	v_dual_add_f32 v61, 0, v61 :: v_dual_fmac_f32 v142, v105, v64
	s_delay_alu instid0(VALU_DEP_4) | instskip(SKIP_2) | instid1(VALU_DEP_3)
	v_fma_f32 v60, v104, v64, -v60
	s_wait_loadcnt_dscnt 0x807
	v_dual_mul_f32 v144, v108, v69 :: v_dual_mul_f32 v145, v110, v71
	v_add_f32_e32 v61, v61, v62
	v_fmac_f32_e32 v143, v107, v66
	v_fma_f32 v62, v106, v66, -v63
	s_wait_loadcnt_dscnt 0x706
	v_dual_mul_f32 v146, v112, v73 :: v_dual_mul_f32 v147, v114, v75
	v_dual_add_f32 v60, v61, v60 :: v_dual_mul_f32 v61, v111, v71
	v_fmac_f32_e32 v144, v109, v68
	s_wait_loadcnt_dscnt 0x605
	v_dual_mul_f32 v148, v116, v77 :: v_dual_mul_f32 v149, v118, v79
	s_delay_alu instid0(VALU_DEP_3) | instskip(SKIP_3) | instid1(VALU_DEP_4)
	v_dual_add_f32 v60, v60, v62 :: v_dual_add_f32 v57, 0, v57
	v_mul_f32_e32 v62, v113, v73
	v_fma_f32 v61, v110, v70, -v61
	v_dual_fmac_f32 v145, v111, v70 :: v_dual_fmac_f32 v146, v113, v72
	v_add_f32_e32 v57, v57, v58
	v_mul_f32_e32 v58, v109, v69
	v_fma_f32 v62, v112, v72, -v62
	v_dual_fmac_f32 v147, v115, v74 :: v_dual_fmac_f32 v148, v117, v76
	s_wait_loadcnt_dscnt 0x504
	v_dual_mul_f32 v150, v120, v81 :: v_dual_mul_f32 v151, v122, v83
	v_fma_f32 v58, v108, v68, -v58
	s_wait_loadcnt_dscnt 0x403
	v_dual_mul_f32 v152, v124, v85 :: v_dual_mul_f32 v153, v126, v87
	s_wait_loadcnt_dscnt 0x302
	v_dual_mul_f32 v154, v128, v89 :: v_dual_mul_f32 v155, v130, v91
	v_add_f32_e32 v58, v60, v58
	v_mul_f32_e32 v60, v115, v75
	v_dual_fmac_f32 v152, v125, v84 :: v_dual_fmac_f32 v153, v127, v86
	s_delay_alu instid0(VALU_DEP_4) | instskip(NEXT) | instid1(VALU_DEP_4)
	v_dual_fmac_f32 v154, v129, v88 :: v_dual_fmac_f32 v155, v131, v90
	v_dual_add_f32 v58, v58, v61 :: v_dual_add_f32 v57, v57, v142
	v_mul_f32_e32 v61, v117, v77
	v_fma_f32 v60, v114, v74, -v60
	v_fmac_f32_e32 v149, v119, v78
	s_delay_alu instid0(VALU_DEP_4)
	v_add_f32_e32 v58, v58, v62
	v_mul_f32_e32 v62, v119, v79
	v_add_f32_e32 v57, v57, v143
	v_fma_f32 v61, v116, v76, -v61
	v_fmac_f32_e32 v150, v121, v80
	v_add_f32_e32 v58, v58, v60
	v_mul_f32_e32 v60, v121, v81
	v_add_f32_e32 v57, v57, v144
	v_fma_f32 v62, v118, v78, -v62
	s_delay_alu instid0(VALU_DEP_4) | instskip(SKIP_1) | instid1(VALU_DEP_4)
	v_dual_fmac_f32 v151, v123, v82 :: v_dual_add_f32 v58, v58, v61
	v_mul_f32_e32 v61, v123, v83
	v_add_f32_e32 v57, v57, v145
	v_fma_f32 v60, v120, v80, -v60
	s_wait_loadcnt_dscnt 0x201
	v_dual_mul_f32 v156, v132, v93 :: v_dual_mul_f32 v157, v134, v95
	v_add_f32_e32 v58, v58, v62
	v_add_f32_e32 v57, v57, v146
	v_fma_f32 v61, v122, v82, -v61
	v_mul_f32_e32 v62, v125, v85
	s_wait_loadcnt_dscnt 0x100
	v_dual_mul_f32 v158, v136, v97 :: v_dual_mul_f32 v159, v138, v99
	v_dual_add_f32 v58, v58, v60 :: v_dual_add_f32 v57, v57, v147
	v_mul_f32_e32 v60, v127, v87
	v_fma_f32 v62, v124, v84, -v62
	v_dual_fmac_f32 v156, v133, v92 :: v_dual_fmac_f32 v157, v135, v94
	s_delay_alu instid0(VALU_DEP_4) | instskip(SKIP_3) | instid1(VALU_DEP_4)
	v_dual_add_f32 v58, v58, v61 :: v_dual_add_f32 v57, v57, v148
	v_mul_f32_e32 v61, v129, v89
	v_fma_f32 v60, v126, v86, -v60
	v_fmac_f32_e32 v159, v139, v98
	v_dual_add_f32 v58, v58, v62 :: v_dual_add_f32 v57, v57, v149
	v_mul_f32_e32 v62, v131, v91
	v_fma_f32 v61, v128, v88, -v61
	s_delay_alu instid0(VALU_DEP_3) | instskip(SKIP_1) | instid1(VALU_DEP_4)
	v_dual_add_f32 v58, v58, v60 :: v_dual_add_f32 v57, v57, v150
	v_mul_f32_e32 v60, v133, v93
	v_fma_f32 v62, v130, v90, -v62
	s_delay_alu instid0(VALU_DEP_3) | instskip(SKIP_1) | instid1(VALU_DEP_4)
	;; [unrolled: 4-line block ×4, first 2 shown]
	v_dual_add_f32 v58, v58, v60 :: v_dual_add_f32 v57, v57, v153
	v_mul_f32_e32 v60, v139, v99
	v_fma_f32 v62, v136, v96, -v62
	s_delay_alu instid0(VALU_DEP_3) | instskip(NEXT) | instid1(VALU_DEP_3)
	v_dual_add_f32 v58, v58, v61 :: v_dual_add_f32 v57, v57, v154
	v_fma_f32 v60, v138, v98, -v60
	s_delay_alu instid0(VALU_DEP_2) | instskip(NEXT) | instid1(VALU_DEP_1)
	v_dual_add_f32 v58, v58, v62 :: v_dual_add_f32 v57, v57, v155
	v_add_f32_e32 v58, v58, v60
	s_delay_alu instid0(VALU_DEP_2) | instskip(SKIP_1) | instid1(VALU_DEP_2)
	v_add_f32_e32 v57, v57, v156
	v_fmac_f32_e32 v158, v137, v96
	v_add_f32_e32 v57, v57, v157
	s_delay_alu instid0(VALU_DEP_1) | instskip(SKIP_1) | instid1(VALU_DEP_1)
	v_add_f32_e32 v57, v57, v158
	s_wait_loadcnt 0x0
	v_dual_add_f32 v60, v57, v159 :: v_dual_sub_f32 v57, v140, v58
	s_delay_alu instid0(VALU_DEP_1)
	v_sub_f32_e32 v58, v141, v60
	scratch_store_b64 off, v[57:58], off offset:56
	v_cmpx_lt_u32_e32 6, v0
	s_cbranch_execz .LBB91_169
; %bb.168:
	scratch_load_b64 v[57:58], off, off offset:48
	v_mov_b32_e32 v60, 0
	s_delay_alu instid0(VALU_DEP_1)
	v_mov_b32_e32 v61, v60
	scratch_store_b64 off, v[60:61], off offset:48
	s_wait_loadcnt 0x0
	ds_store_b64 v59, v[57:58]
.LBB91_169:
	s_wait_alu 0xfffe
	s_or_b32 exec_lo, exec_lo, s0
	s_wait_storecnt_dscnt 0x0
	s_barrier_signal -1
	s_barrier_wait -1
	global_inv scope:SCOPE_SE
	s_clause 0xb
	scratch_load_b128 v[60:63], off, off offset:56
	scratch_load_b128 v[64:67], off, off offset:72
	;; [unrolled: 1-line block ×10, first 2 shown]
	scratch_load_b64 v[140:141], off, off offset:216
	scratch_load_b64 v[142:143], off, off offset:48
	v_mov_b32_e32 v57, 0
	ds_load_2addr_b64 v[100:103], v57 offset0:35 offset1:36
	ds_load_2addr_b64 v[104:107], v57 offset0:37 offset1:38
	;; [unrolled: 1-line block ×10, first 2 shown]
	ds_load_b64 v[144:145], v57 offset:440
	s_mov_b32 s0, exec_lo
	s_wait_loadcnt_dscnt 0xb0a
	v_mul_f32_e32 v58, v100, v61
	s_wait_loadcnt_dscnt 0xa09
	v_dual_mul_f32 v146, v102, v63 :: v_dual_mul_f32 v147, v104, v65
	v_mul_f32_e32 v63, v103, v63
	v_dual_mul_f32 v61, v101, v61 :: v_dual_mul_f32 v148, v106, v67
	s_wait_loadcnt_dscnt 0x908
	v_dual_mul_f32 v149, v108, v69 :: v_dual_fmac_f32 v58, v101, v60
	s_wait_loadcnt_dscnt 0x302
	v_mul_f32_e32 v162, v134, v95
	v_fma_f32 v61, v100, v60, -v61
	s_wait_loadcnt_dscnt 0x100
	v_mul_f32_e32 v165, v144, v141
	v_mul_f32_e32 v60, v105, v65
	v_fmac_f32_e32 v146, v103, v62
	v_fma_f32 v62, v102, v62, -v63
	v_dual_add_f32 v61, 0, v61 :: v_dual_add_f32 v58, 0, v58
	v_mul_f32_e32 v63, v107, v67
	v_fmac_f32_e32 v147, v105, v64
	v_fma_f32 v60, v104, v64, -v60
	v_dual_mul_f32 v152, v114, v75 :: v_dual_mul_f32 v153, v116, v77
	v_add_f32_e32 v58, v58, v146
	v_add_f32_e32 v61, v61, v62
	v_mul_f32_e32 v62, v109, v69
	v_fma_f32 v63, v106, v66, -v63
	v_dual_mul_f32 v154, v118, v79 :: v_dual_mul_f32 v155, v120, v81
	v_add_f32_e32 v58, v58, v147
	v_dual_add_f32 v60, v61, v60 :: v_dual_mul_f32 v61, v111, v71
	v_fma_f32 v62, v108, v68, -v62
	v_dual_mul_f32 v156, v122, v83 :: v_dual_mul_f32 v157, v124, v85
	s_delay_alu instid0(VALU_DEP_3) | instskip(NEXT) | instid1(VALU_DEP_4)
	v_dual_add_f32 v60, v60, v63 :: v_dual_mul_f32 v63, v113, v73
	v_fma_f32 v61, v110, v70, -v61
	v_dual_fmac_f32 v148, v107, v66 :: v_dual_fmac_f32 v149, v109, v68
	s_delay_alu instid0(VALU_DEP_3) | instskip(SKIP_2) | instid1(VALU_DEP_3)
	v_dual_add_f32 v60, v60, v62 :: v_dual_fmac_f32 v153, v117, v76
	v_dual_mul_f32 v62, v115, v75 :: v_dual_fmac_f32 v155, v121, v80
	v_fma_f32 v63, v112, v72, -v63
	v_dual_add_f32 v60, v60, v61 :: v_dual_fmac_f32 v157, v125, v84
	v_dual_mul_f32 v158, v126, v87 :: v_dual_mul_f32 v159, v128, v89
	v_dual_add_f32 v58, v58, v148 :: v_dual_mul_f32 v61, v117, v77
	v_fma_f32 v62, v114, v74, -v62
	s_delay_alu instid0(VALU_DEP_3) | instskip(SKIP_1) | instid1(VALU_DEP_4)
	v_dual_add_f32 v60, v60, v63 :: v_dual_fmac_f32 v159, v129, v88
	v_mul_f32_e32 v63, v119, v79
	v_fma_f32 v61, v116, v76, -v61
	v_dual_mul_f32 v150, v110, v71 :: v_dual_mul_f32 v151, v112, v73
	s_delay_alu instid0(VALU_DEP_4) | instskip(SKIP_3) | instid1(VALU_DEP_3)
	v_add_f32_e32 v60, v60, v62
	v_dual_mul_f32 v163, v136, v97 :: v_dual_mul_f32 v164, v138, v99
	v_mul_f32_e32 v62, v121, v81
	v_fma_f32 v63, v118, v78, -v63
	v_dual_add_f32 v60, v60, v61 :: v_dual_fmac_f32 v163, v137, v96
	v_dual_fmac_f32 v150, v111, v70 :: v_dual_fmac_f32 v151, v113, v72
	v_dual_add_f32 v58, v58, v149 :: v_dual_mul_f32 v61, v123, v83
	v_fma_f32 v62, v120, v80, -v62
	s_delay_alu instid0(VALU_DEP_4) | instskip(NEXT) | instid1(VALU_DEP_3)
	v_dual_add_f32 v60, v60, v63 :: v_dual_mul_f32 v63, v125, v85
	v_add_f32_e32 v58, v58, v150
	s_delay_alu instid0(VALU_DEP_4) | instskip(SKIP_1) | instid1(VALU_DEP_4)
	v_fma_f32 v61, v122, v82, -v61
	v_dual_mul_f32 v160, v130, v91 :: v_dual_mul_f32 v161, v132, v93
	v_add_f32_e32 v60, v60, v62
	v_mul_f32_e32 v62, v127, v87
	v_fma_f32 v63, v124, v84, -v63
	v_fmac_f32_e32 v152, v115, v74
	v_dual_add_f32 v58, v58, v151 :: v_dual_fmac_f32 v161, v133, v92
	v_add_f32_e32 v60, v60, v61
	v_mul_f32_e32 v61, v129, v89
	v_fma_f32 v62, v126, v86, -v62
	s_delay_alu instid0(VALU_DEP_4)
	v_add_f32_e32 v58, v58, v152
	v_fmac_f32_e32 v154, v119, v78
	v_add_f32_e32 v60, v60, v63
	v_mul_f32_e32 v63, v131, v91
	v_fma_f32 v61, v128, v88, -v61
	v_dual_fmac_f32 v165, v145, v140 :: v_dual_fmac_f32 v156, v123, v82
	s_delay_alu instid0(VALU_DEP_4) | instskip(NEXT) | instid1(VALU_DEP_4)
	v_add_f32_e32 v60, v60, v62
	v_fma_f32 v63, v130, v90, -v63
	v_fmac_f32_e32 v158, v127, v86
	v_mul_f32_e32 v62, v133, v93
	v_fmac_f32_e32 v160, v131, v90
	v_dual_add_f32 v60, v60, v61 :: v_dual_mul_f32 v61, v135, v95
	v_add_f32_e32 v58, v58, v153
	s_delay_alu instid0(VALU_DEP_4) | instskip(SKIP_1) | instid1(VALU_DEP_4)
	v_fma_f32 v62, v132, v92, -v62
	v_fmac_f32_e32 v162, v135, v94
	v_dual_add_f32 v60, v60, v63 :: v_dual_mul_f32 v63, v137, v97
	s_delay_alu instid0(VALU_DEP_4) | instskip(SKIP_2) | instid1(VALU_DEP_4)
	v_add_f32_e32 v58, v58, v154
	v_fma_f32 v61, v134, v94, -v61
	v_fmac_f32_e32 v164, v139, v98
	v_add_f32_e32 v60, v60, v62
	v_mul_f32_e32 v62, v139, v99
	v_add_f32_e32 v58, v58, v155
	v_fma_f32 v63, v136, v96, -v63
	s_delay_alu instid0(VALU_DEP_4) | instskip(NEXT) | instid1(VALU_DEP_3)
	v_add_f32_e32 v60, v60, v61
	v_dual_mul_f32 v61, v145, v141 :: v_dual_add_f32 v58, v58, v156
	v_fma_f32 v62, v138, v98, -v62
	s_delay_alu instid0(VALU_DEP_3) | instskip(NEXT) | instid1(VALU_DEP_3)
	v_add_f32_e32 v60, v60, v63
	v_fma_f32 v61, v144, v140, -v61
	s_delay_alu instid0(VALU_DEP_4) | instskip(NEXT) | instid1(VALU_DEP_3)
	v_add_f32_e32 v58, v58, v157
	v_add_f32_e32 v60, v60, v62
	s_delay_alu instid0(VALU_DEP_2) | instskip(NEXT) | instid1(VALU_DEP_2)
	v_add_f32_e32 v58, v58, v158
	v_add_f32_e32 v60, v60, v61
	s_delay_alu instid0(VALU_DEP_2) | instskip(SKIP_1) | instid1(VALU_DEP_2)
	v_add_f32_e32 v58, v58, v159
	s_wait_loadcnt 0x0
	v_sub_f32_e32 v60, v142, v60
	s_delay_alu instid0(VALU_DEP_2) | instskip(NEXT) | instid1(VALU_DEP_1)
	v_add_f32_e32 v58, v58, v160
	v_add_f32_e32 v58, v58, v161
	s_delay_alu instid0(VALU_DEP_1) | instskip(NEXT) | instid1(VALU_DEP_1)
	v_add_f32_e32 v58, v58, v162
	v_add_f32_e32 v58, v58, v163
	s_delay_alu instid0(VALU_DEP_1) | instskip(NEXT) | instid1(VALU_DEP_1)
	v_add_f32_e32 v58, v58, v164
	v_add_f32_e32 v58, v58, v165
	s_delay_alu instid0(VALU_DEP_1)
	v_sub_f32_e32 v61, v143, v58
	scratch_store_b64 off, v[60:61], off offset:48
	v_cmpx_lt_u32_e32 5, v0
	s_cbranch_execz .LBB91_171
; %bb.170:
	scratch_load_b64 v[60:61], off, off offset:40
	v_mov_b32_e32 v58, v57
	scratch_store_b64 off, v[57:58], off offset:40
	s_wait_loadcnt 0x0
	ds_store_b64 v59, v[60:61]
.LBB91_171:
	s_wait_alu 0xfffe
	s_or_b32 exec_lo, exec_lo, s0
	s_wait_storecnt_dscnt 0x0
	s_barrier_signal -1
	s_barrier_wait -1
	global_inv scope:SCOPE_SE
	s_clause 0xb
	scratch_load_b128 v[60:63], off, off offset:48
	scratch_load_b128 v[64:67], off, off offset:64
	;; [unrolled: 1-line block ×11, first 2 shown]
	scratch_load_b64 v[148:149], off, off offset:40
	ds_load_b128 v[104:107], v57 offset:272
	ds_load_b128 v[108:111], v57 offset:288
	ds_load_b128 v[112:115], v57 offset:304
	ds_load_b128 v[116:119], v57 offset:320
	ds_load_b128 v[120:123], v57 offset:336
	ds_load_b128 v[124:127], v57 offset:352
	ds_load_b128 v[128:131], v57 offset:368
	ds_load_b128 v[132:135], v57 offset:384
	ds_load_b128 v[136:139], v57 offset:400
	ds_load_b128 v[140:143], v57 offset:416
	ds_load_b128 v[144:147], v57 offset:432
	s_mov_b32 s0, exec_lo
	s_wait_loadcnt_dscnt 0xb0a
	v_dual_mul_f32 v57, v104, v61 :: v_dual_mul_f32 v58, v106, v63
	v_mul_f32_e32 v61, v105, v61
	s_wait_loadcnt_dscnt 0xa09
	v_dual_mul_f32 v63, v107, v63 :: v_dual_mul_f32 v150, v108, v65
	s_delay_alu instid0(VALU_DEP_3) | instskip(NEXT) | instid1(VALU_DEP_3)
	v_dual_mul_f32 v151, v110, v67 :: v_dual_fmac_f32 v58, v107, v62
	v_fma_f32 v61, v104, v60, -v61
	v_fmac_f32_e32 v57, v105, v60
	v_mul_f32_e32 v60, v109, v65
	v_fma_f32 v62, v106, v62, -v63
	v_mul_f32_e32 v63, v111, v67
	v_dual_add_f32 v61, 0, v61 :: v_dual_fmac_f32 v150, v109, v64
	s_delay_alu instid0(VALU_DEP_4) | instskip(SKIP_2) | instid1(VALU_DEP_3)
	v_fma_f32 v60, v108, v64, -v60
	s_wait_loadcnt_dscnt 0x908
	v_dual_mul_f32 v152, v112, v69 :: v_dual_mul_f32 v153, v114, v71
	v_add_f32_e32 v61, v61, v62
	v_fmac_f32_e32 v151, v111, v66
	v_fma_f32 v62, v110, v66, -v63
	s_wait_loadcnt_dscnt 0x807
	v_dual_mul_f32 v154, v116, v73 :: v_dual_mul_f32 v155, v118, v75
	v_dual_add_f32 v60, v61, v60 :: v_dual_mul_f32 v61, v115, v71
	v_fmac_f32_e32 v152, v113, v68
	s_wait_loadcnt_dscnt 0x706
	v_dual_mul_f32 v156, v120, v77 :: v_dual_mul_f32 v157, v122, v79
	s_delay_alu instid0(VALU_DEP_3) | instskip(SKIP_3) | instid1(VALU_DEP_4)
	v_dual_add_f32 v60, v60, v62 :: v_dual_add_f32 v57, 0, v57
	v_mul_f32_e32 v62, v117, v73
	v_fma_f32 v61, v114, v70, -v61
	v_dual_fmac_f32 v153, v115, v70 :: v_dual_fmac_f32 v154, v117, v72
	v_add_f32_e32 v57, v57, v58
	v_mul_f32_e32 v58, v113, v69
	v_fma_f32 v62, v116, v72, -v62
	v_dual_fmac_f32 v155, v119, v74 :: v_dual_fmac_f32 v156, v121, v76
	s_wait_loadcnt_dscnt 0x605
	v_dual_mul_f32 v158, v124, v81 :: v_dual_mul_f32 v159, v126, v83
	v_fma_f32 v58, v112, v68, -v58
	s_wait_loadcnt_dscnt 0x504
	v_dual_mul_f32 v160, v128, v85 :: v_dual_mul_f32 v161, v130, v87
	s_wait_loadcnt_dscnt 0x403
	v_dual_mul_f32 v162, v132, v89 :: v_dual_mul_f32 v163, v134, v91
	v_add_f32_e32 v58, v60, v58
	v_mul_f32_e32 v60, v119, v75
	v_dual_fmac_f32 v160, v129, v84 :: v_dual_fmac_f32 v161, v131, v86
	s_delay_alu instid0(VALU_DEP_4) | instskip(NEXT) | instid1(VALU_DEP_4)
	v_dual_fmac_f32 v162, v133, v88 :: v_dual_fmac_f32 v163, v135, v90
	v_dual_add_f32 v58, v58, v61 :: v_dual_add_f32 v57, v57, v150
	v_mul_f32_e32 v61, v121, v77
	v_fma_f32 v60, v118, v74, -v60
	v_fmac_f32_e32 v157, v123, v78
	s_delay_alu instid0(VALU_DEP_4)
	v_add_f32_e32 v58, v58, v62
	v_mul_f32_e32 v62, v123, v79
	v_add_f32_e32 v57, v57, v151
	v_fma_f32 v61, v120, v76, -v61
	v_fmac_f32_e32 v158, v125, v80
	v_add_f32_e32 v58, v58, v60
	v_mul_f32_e32 v60, v125, v81
	v_add_f32_e32 v57, v57, v152
	v_fma_f32 v62, v122, v78, -v62
	s_delay_alu instid0(VALU_DEP_4) | instskip(SKIP_1) | instid1(VALU_DEP_4)
	v_dual_fmac_f32 v159, v127, v82 :: v_dual_add_f32 v58, v58, v61
	v_mul_f32_e32 v61, v127, v83
	v_add_f32_e32 v57, v57, v153
	v_fma_f32 v60, v124, v80, -v60
	s_wait_loadcnt_dscnt 0x302
	v_dual_mul_f32 v164, v136, v93 :: v_dual_mul_f32 v165, v138, v95
	v_add_f32_e32 v58, v58, v62
	v_add_f32_e32 v57, v57, v154
	v_fma_f32 v61, v126, v82, -v61
	v_mul_f32_e32 v62, v129, v85
	s_wait_loadcnt_dscnt 0x201
	v_dual_mul_f32 v166, v140, v97 :: v_dual_mul_f32 v167, v142, v99
	v_dual_add_f32 v58, v58, v60 :: v_dual_add_f32 v57, v57, v155
	v_mul_f32_e32 v60, v131, v87
	v_fma_f32 v62, v128, v84, -v62
	v_dual_fmac_f32 v164, v137, v92 :: v_dual_fmac_f32 v165, v139, v94
	s_delay_alu instid0(VALU_DEP_4)
	v_dual_add_f32 v58, v58, v61 :: v_dual_add_f32 v57, v57, v156
	v_mul_f32_e32 v61, v133, v89
	v_fma_f32 v60, v130, v86, -v60
	s_wait_loadcnt_dscnt 0x100
	v_dual_mul_f32 v168, v144, v101 :: v_dual_mul_f32 v169, v146, v103
	v_dual_add_f32 v57, v57, v157 :: v_dual_add_f32 v58, v58, v62
	v_mul_f32_e32 v62, v135, v91
	v_fma_f32 v61, v132, v88, -v61
	s_delay_alu instid0(VALU_DEP_4) | instskip(NEXT) | instid1(VALU_DEP_4)
	v_dual_fmac_f32 v166, v141, v96 :: v_dual_fmac_f32 v169, v147, v102
	v_dual_add_f32 v57, v57, v158 :: v_dual_add_f32 v58, v58, v60
	v_mul_f32_e32 v60, v137, v93
	v_fma_f32 v62, v134, v90, -v62
	v_fmac_f32_e32 v167, v143, v98
	s_delay_alu instid0(VALU_DEP_4) | instskip(SKIP_2) | instid1(VALU_DEP_3)
	v_dual_add_f32 v57, v57, v159 :: v_dual_add_f32 v58, v58, v61
	v_mul_f32_e32 v61, v139, v95
	v_fma_f32 v60, v136, v92, -v60
	v_dual_add_f32 v57, v57, v160 :: v_dual_add_f32 v58, v58, v62
	v_mul_f32_e32 v62, v141, v97
	s_delay_alu instid0(VALU_DEP_4) | instskip(NEXT) | instid1(VALU_DEP_3)
	v_fma_f32 v61, v138, v94, -v61
	v_dual_add_f32 v57, v57, v161 :: v_dual_add_f32 v58, v58, v60
	v_mul_f32_e32 v60, v143, v99
	s_delay_alu instid0(VALU_DEP_4) | instskip(NEXT) | instid1(VALU_DEP_3)
	;; [unrolled: 4-line block ×4, first 2 shown]
	v_fma_f32 v61, v144, v100, -v61
	v_add_f32_e32 v57, v57, v164
	s_delay_alu instid0(VALU_DEP_4) | instskip(NEXT) | instid1(VALU_DEP_4)
	v_add_f32_e32 v58, v58, v60
	v_fma_f32 v60, v146, v102, -v62
	s_delay_alu instid0(VALU_DEP_3) | instskip(NEXT) | instid1(VALU_DEP_1)
	v_add_f32_e32 v57, v57, v165
	v_dual_add_f32 v58, v58, v61 :: v_dual_add_f32 v57, v57, v166
	s_delay_alu instid0(VALU_DEP_1) | instskip(SKIP_1) | instid1(VALU_DEP_3)
	v_add_f32_e32 v58, v58, v60
	v_fmac_f32_e32 v168, v145, v100
	v_add_f32_e32 v57, v57, v167
	s_delay_alu instid0(VALU_DEP_1) | instskip(SKIP_1) | instid1(VALU_DEP_1)
	v_add_f32_e32 v57, v57, v168
	s_wait_loadcnt 0x0
	v_dual_add_f32 v60, v57, v169 :: v_dual_sub_f32 v57, v148, v58
	s_delay_alu instid0(VALU_DEP_1)
	v_sub_f32_e32 v58, v149, v60
	scratch_store_b64 off, v[57:58], off offset:40
	v_cmpx_lt_u32_e32 4, v0
	s_cbranch_execz .LBB91_173
; %bb.172:
	scratch_load_b64 v[57:58], off, off offset:32
	v_mov_b32_e32 v60, 0
	s_delay_alu instid0(VALU_DEP_1)
	v_mov_b32_e32 v61, v60
	scratch_store_b64 off, v[60:61], off offset:32
	s_wait_loadcnt 0x0
	ds_store_b64 v59, v[57:58]
.LBB91_173:
	s_wait_alu 0xfffe
	s_or_b32 exec_lo, exec_lo, s0
	s_wait_storecnt_dscnt 0x0
	s_barrier_signal -1
	s_barrier_wait -1
	global_inv scope:SCOPE_SE
	s_clause 0xc
	scratch_load_b128 v[60:63], off, off offset:40
	scratch_load_b128 v[64:67], off, off offset:56
	;; [unrolled: 1-line block ×11, first 2 shown]
	scratch_load_b64 v[148:149], off, off offset:216
	scratch_load_b64 v[150:151], off, off offset:32
	v_mov_b32_e32 v57, 0
	ds_load_2addr_b64 v[104:107], v57 offset0:33 offset1:34
	ds_load_2addr_b64 v[108:111], v57 offset0:35 offset1:36
	;; [unrolled: 1-line block ×11, first 2 shown]
	ds_load_b64 v[152:153], v57 offset:440
	s_mov_b32 s0, exec_lo
	s_wait_loadcnt_dscnt 0xc0b
	v_mul_f32_e32 v58, v104, v61
	s_wait_loadcnt_dscnt 0xb0a
	v_dual_mul_f32 v154, v106, v63 :: v_dual_mul_f32 v155, v108, v65
	v_mul_f32_e32 v63, v107, v63
	s_wait_loadcnt_dscnt 0xa09
	v_dual_mul_f32 v156, v110, v67 :: v_dual_mul_f32 v157, v112, v69
	v_mul_f32_e32 v61, v105, v61
	v_fmac_f32_e32 v58, v105, v60
	s_wait_loadcnt_dscnt 0x807
	v_dual_mul_f32 v160, v118, v75 :: v_dual_mul_f32 v161, v120, v77
	s_wait_loadcnt_dscnt 0x100
	v_dual_mul_f32 v172, v142, v99 :: v_dual_mul_f32 v175, v152, v149
	v_fma_f32 v61, v104, v60, -v61
	v_mul_f32_e32 v60, v109, v65
	v_fmac_f32_e32 v154, v107, v62
	v_fma_f32 v62, v106, v62, -v63
	v_dual_add_f32 v58, 0, v58 :: v_dual_mul_f32 v63, v111, v67
	v_add_f32_e32 v61, 0, v61
	v_fmac_f32_e32 v155, v109, v64
	v_fma_f32 v60, v108, v64, -v60
	s_delay_alu instid0(VALU_DEP_4)
	v_add_f32_e32 v58, v58, v154
	v_fma_f32 v63, v110, v66, -v63
	v_add_f32_e32 v61, v61, v62
	v_mul_f32_e32 v62, v113, v69
	v_dual_mul_f32 v162, v122, v79 :: v_dual_mul_f32 v163, v124, v81
	v_add_f32_e32 v58, v58, v155
	s_delay_alu instid0(VALU_DEP_4) | instskip(NEXT) | instid1(VALU_DEP_4)
	v_dual_add_f32 v60, v61, v60 :: v_dual_mul_f32 v61, v115, v71
	v_fma_f32 v62, v112, v68, -v62
	v_dual_mul_f32 v164, v126, v83 :: v_dual_mul_f32 v165, v128, v85
	s_delay_alu instid0(VALU_DEP_3) | instskip(NEXT) | instid1(VALU_DEP_4)
	v_dual_add_f32 v60, v60, v63 :: v_dual_mul_f32 v63, v117, v73
	v_fma_f32 v61, v114, v70, -v61
	v_dual_fmac_f32 v156, v111, v66 :: v_dual_fmac_f32 v157, v113, v68
	s_delay_alu instid0(VALU_DEP_3) | instskip(SKIP_2) | instid1(VALU_DEP_3)
	v_dual_add_f32 v60, v60, v62 :: v_dual_fmac_f32 v161, v121, v76
	v_dual_mul_f32 v62, v119, v75 :: v_dual_fmac_f32 v163, v125, v80
	v_fma_f32 v63, v116, v72, -v63
	v_dual_add_f32 v60, v60, v61 :: v_dual_fmac_f32 v165, v129, v84
	v_dual_mul_f32 v166, v130, v87 :: v_dual_mul_f32 v167, v132, v89
	v_dual_add_f32 v58, v58, v156 :: v_dual_mul_f32 v61, v121, v77
	v_fma_f32 v62, v118, v74, -v62
	s_delay_alu instid0(VALU_DEP_3) | instskip(SKIP_1) | instid1(VALU_DEP_4)
	v_dual_add_f32 v60, v60, v63 :: v_dual_fmac_f32 v167, v133, v88
	v_mul_f32_e32 v63, v123, v79
	v_fma_f32 v61, v120, v76, -v61
	v_dual_mul_f32 v158, v114, v71 :: v_dual_mul_f32 v159, v116, v73
	s_delay_alu instid0(VALU_DEP_4) | instskip(SKIP_3) | instid1(VALU_DEP_4)
	v_add_f32_e32 v60, v60, v62
	v_dual_mul_f32 v170, v138, v95 :: v_dual_mul_f32 v171, v140, v97
	v_mul_f32_e32 v62, v125, v81
	v_fma_f32 v63, v122, v78, -v63
	v_add_f32_e32 v60, v60, v61
	v_dual_fmac_f32 v158, v115, v70 :: v_dual_fmac_f32 v159, v117, v72
	v_dual_add_f32 v58, v58, v157 :: v_dual_mul_f32 v61, v127, v83
	v_fma_f32 v62, v124, v80, -v62
	s_delay_alu instid0(VALU_DEP_4) | instskip(NEXT) | instid1(VALU_DEP_3)
	v_dual_fmac_f32 v171, v141, v96 :: v_dual_add_f32 v60, v60, v63
	v_dual_add_f32 v58, v58, v158 :: v_dual_mul_f32 v63, v129, v85
	s_delay_alu instid0(VALU_DEP_4) | instskip(SKIP_1) | instid1(VALU_DEP_4)
	v_fma_f32 v61, v126, v82, -v61
	v_dual_mul_f32 v168, v134, v91 :: v_dual_mul_f32 v169, v136, v93
	v_add_f32_e32 v60, v60, v62
	v_mul_f32_e32 v62, v131, v87
	v_fma_f32 v63, v128, v84, -v63
	v_fmac_f32_e32 v160, v119, v74
	v_dual_add_f32 v58, v58, v159 :: v_dual_fmac_f32 v169, v137, v92
	v_add_f32_e32 v60, v60, v61
	v_mul_f32_e32 v61, v133, v89
	v_fma_f32 v62, v130, v86, -v62
	s_delay_alu instid0(VALU_DEP_4)
	v_dual_add_f32 v58, v58, v160 :: v_dual_mul_f32 v173, v144, v101
	v_mul_f32_e32 v174, v146, v103
	v_add_f32_e32 v60, v60, v63
	v_mul_f32_e32 v63, v135, v91
	v_fma_f32 v61, v132, v88, -v61
	v_dual_fmac_f32 v162, v123, v78 :: v_dual_fmac_f32 v173, v145, v100
	s_delay_alu instid0(VALU_DEP_4) | instskip(NEXT) | instid1(VALU_DEP_4)
	v_add_f32_e32 v60, v60, v62
	v_fma_f32 v63, v134, v90, -v63
	v_dual_fmac_f32 v164, v127, v82 :: v_dual_fmac_f32 v175, v153, v148
	v_fmac_f32_e32 v166, v131, v86
	s_delay_alu instid0(VALU_DEP_4) | instskip(SKIP_3) | instid1(VALU_DEP_4)
	v_dual_add_f32 v60, v60, v61 :: v_dual_mul_f32 v61, v139, v95
	v_add_f32_e32 v58, v58, v161
	v_mul_f32_e32 v62, v137, v93
	v_fmac_f32_e32 v168, v135, v90
	v_dual_add_f32 v60, v60, v63 :: v_dual_mul_f32 v63, v141, v97
	s_delay_alu instid0(VALU_DEP_4) | instskip(NEXT) | instid1(VALU_DEP_4)
	v_add_f32_e32 v58, v58, v162
	v_fma_f32 v62, v136, v92, -v62
	v_fmac_f32_e32 v170, v139, v94
	v_fma_f32 v61, v138, v94, -v61
	v_fma_f32 v63, v140, v96, -v63
	v_add_f32_e32 v58, v58, v163
	v_add_f32_e32 v60, v60, v62
	v_mul_f32_e32 v62, v143, v99
	v_fmac_f32_e32 v172, v143, v98
	v_fmac_f32_e32 v174, v147, v102
	v_add_f32_e32 v58, v58, v164
	v_add_f32_e32 v60, v60, v61
	v_mul_f32_e32 v61, v145, v101
	v_fma_f32 v62, v142, v98, -v62
	s_delay_alu instid0(VALU_DEP_4) | instskip(NEXT) | instid1(VALU_DEP_4)
	v_add_f32_e32 v58, v58, v165
	v_add_f32_e32 v60, v60, v63
	v_mul_f32_e32 v63, v147, v103
	v_fma_f32 v61, v144, v100, -v61
	s_delay_alu instid0(VALU_DEP_4) | instskip(NEXT) | instid1(VALU_DEP_4)
	;; [unrolled: 5-line block ×3, first 2 shown]
	v_add_f32_e32 v58, v58, v167
	v_add_f32_e32 v60, v60, v61
	s_delay_alu instid0(VALU_DEP_4) | instskip(NEXT) | instid1(VALU_DEP_3)
	v_fma_f32 v61, v152, v148, -v62
	v_add_f32_e32 v58, v58, v168
	s_delay_alu instid0(VALU_DEP_3) | instskip(NEXT) | instid1(VALU_DEP_2)
	v_add_f32_e32 v60, v60, v63
	v_add_f32_e32 v58, v58, v169
	s_delay_alu instid0(VALU_DEP_2) | instskip(NEXT) | instid1(VALU_DEP_2)
	v_add_f32_e32 v60, v60, v61
	v_add_f32_e32 v58, v58, v170
	s_wait_loadcnt 0x0
	s_delay_alu instid0(VALU_DEP_2) | instskip(NEXT) | instid1(VALU_DEP_2)
	v_sub_f32_e32 v60, v150, v60
	v_add_f32_e32 v58, v58, v171
	s_delay_alu instid0(VALU_DEP_1) | instskip(NEXT) | instid1(VALU_DEP_1)
	v_add_f32_e32 v58, v58, v172
	v_add_f32_e32 v58, v58, v173
	s_delay_alu instid0(VALU_DEP_1) | instskip(NEXT) | instid1(VALU_DEP_1)
	v_add_f32_e32 v58, v58, v174
	v_add_f32_e32 v58, v58, v175
	s_delay_alu instid0(VALU_DEP_1)
	v_sub_f32_e32 v61, v151, v58
	scratch_store_b64 off, v[60:61], off offset:32
	v_cmpx_lt_u32_e32 3, v0
	s_cbranch_execz .LBB91_175
; %bb.174:
	scratch_load_b64 v[60:61], off, off offset:24
	v_mov_b32_e32 v58, v57
	scratch_store_b64 off, v[57:58], off offset:24
	s_wait_loadcnt 0x0
	ds_store_b64 v59, v[60:61]
.LBB91_175:
	s_wait_alu 0xfffe
	s_or_b32 exec_lo, exec_lo, s0
	s_wait_storecnt_dscnt 0x0
	s_barrier_signal -1
	s_barrier_wait -1
	global_inv scope:SCOPE_SE
	s_clause 0xc
	scratch_load_b128 v[60:63], off, off offset:32
	scratch_load_b128 v[64:67], off, off offset:48
	;; [unrolled: 1-line block ×12, first 2 shown]
	scratch_load_b64 v[156:157], off, off offset:24
	ds_load_b128 v[108:111], v57 offset:256
	ds_load_b128 v[112:115], v57 offset:272
	;; [unrolled: 1-line block ×12, first 2 shown]
	s_mov_b32 s0, exec_lo
	s_wait_loadcnt_dscnt 0xc0b
	v_dual_mul_f32 v57, v108, v61 :: v_dual_mul_f32 v58, v110, v63
	v_mul_f32_e32 v61, v109, v61
	s_wait_loadcnt_dscnt 0xb0a
	v_dual_mul_f32 v63, v111, v63 :: v_dual_mul_f32 v158, v112, v65
	s_delay_alu instid0(VALU_DEP_3) | instskip(NEXT) | instid1(VALU_DEP_3)
	v_dual_mul_f32 v159, v114, v67 :: v_dual_fmac_f32 v58, v111, v62
	v_fma_f32 v61, v108, v60, -v61
	v_fmac_f32_e32 v57, v109, v60
	v_mul_f32_e32 v60, v113, v65
	v_fma_f32 v62, v110, v62, -v63
	v_mul_f32_e32 v63, v115, v67
	v_dual_add_f32 v61, 0, v61 :: v_dual_fmac_f32 v158, v113, v64
	s_delay_alu instid0(VALU_DEP_4) | instskip(SKIP_2) | instid1(VALU_DEP_3)
	v_fma_f32 v60, v112, v64, -v60
	s_wait_loadcnt_dscnt 0xa09
	v_dual_mul_f32 v160, v116, v69 :: v_dual_mul_f32 v161, v118, v71
	v_add_f32_e32 v61, v61, v62
	v_fmac_f32_e32 v159, v115, v66
	v_fma_f32 v62, v114, v66, -v63
	s_wait_loadcnt_dscnt 0x908
	v_dual_mul_f32 v162, v120, v73 :: v_dual_mul_f32 v163, v122, v75
	v_dual_add_f32 v60, v61, v60 :: v_dual_mul_f32 v61, v119, v71
	v_fmac_f32_e32 v160, v117, v68
	s_wait_loadcnt_dscnt 0x807
	v_dual_mul_f32 v164, v124, v77 :: v_dual_mul_f32 v165, v126, v79
	s_delay_alu instid0(VALU_DEP_3) | instskip(SKIP_3) | instid1(VALU_DEP_4)
	v_dual_add_f32 v60, v60, v62 :: v_dual_add_f32 v57, 0, v57
	v_mul_f32_e32 v62, v121, v73
	v_fma_f32 v61, v118, v70, -v61
	v_dual_fmac_f32 v161, v119, v70 :: v_dual_fmac_f32 v162, v121, v72
	v_add_f32_e32 v57, v57, v58
	v_mul_f32_e32 v58, v117, v69
	v_fma_f32 v62, v120, v72, -v62
	v_dual_fmac_f32 v163, v123, v74 :: v_dual_fmac_f32 v164, v125, v76
	s_wait_loadcnt_dscnt 0x706
	v_dual_mul_f32 v166, v128, v81 :: v_dual_mul_f32 v167, v130, v83
	v_fma_f32 v58, v116, v68, -v58
	s_wait_loadcnt_dscnt 0x605
	v_dual_mul_f32 v168, v132, v85 :: v_dual_mul_f32 v169, v134, v87
	s_wait_loadcnt_dscnt 0x504
	v_dual_mul_f32 v170, v136, v89 :: v_dual_mul_f32 v171, v138, v91
	v_add_f32_e32 v58, v60, v58
	v_mul_f32_e32 v60, v123, v75
	v_dual_fmac_f32 v168, v133, v84 :: v_dual_fmac_f32 v169, v135, v86
	s_delay_alu instid0(VALU_DEP_4) | instskip(NEXT) | instid1(VALU_DEP_4)
	v_dual_fmac_f32 v170, v137, v88 :: v_dual_fmac_f32 v171, v139, v90
	v_dual_add_f32 v58, v58, v61 :: v_dual_add_f32 v57, v57, v158
	v_mul_f32_e32 v61, v125, v77
	v_fma_f32 v60, v122, v74, -v60
	v_fmac_f32_e32 v165, v127, v78
	s_delay_alu instid0(VALU_DEP_4)
	v_add_f32_e32 v58, v58, v62
	v_mul_f32_e32 v62, v127, v79
	v_add_f32_e32 v57, v57, v159
	v_fma_f32 v61, v124, v76, -v61
	v_fmac_f32_e32 v166, v129, v80
	v_add_f32_e32 v58, v58, v60
	v_mul_f32_e32 v60, v129, v81
	v_add_f32_e32 v57, v57, v160
	v_fma_f32 v62, v126, v78, -v62
	s_delay_alu instid0(VALU_DEP_4) | instskip(SKIP_1) | instid1(VALU_DEP_4)
	v_dual_fmac_f32 v167, v131, v82 :: v_dual_add_f32 v58, v58, v61
	v_mul_f32_e32 v61, v131, v83
	v_add_f32_e32 v57, v57, v161
	v_fma_f32 v60, v128, v80, -v60
	s_wait_loadcnt_dscnt 0x403
	v_dual_mul_f32 v172, v140, v93 :: v_dual_mul_f32 v173, v142, v95
	v_add_f32_e32 v58, v58, v62
	v_add_f32_e32 v57, v57, v162
	v_fma_f32 v61, v130, v82, -v61
	v_mul_f32_e32 v62, v133, v85
	s_wait_loadcnt_dscnt 0x302
	v_dual_mul_f32 v174, v144, v97 :: v_dual_mul_f32 v175, v146, v99
	v_dual_add_f32 v58, v58, v60 :: v_dual_add_f32 v57, v57, v163
	v_mul_f32_e32 v60, v135, v87
	v_fma_f32 v62, v132, v84, -v62
	v_dual_fmac_f32 v172, v141, v92 :: v_dual_fmac_f32 v173, v143, v94
	s_delay_alu instid0(VALU_DEP_4)
	v_dual_add_f32 v58, v58, v61 :: v_dual_add_f32 v57, v57, v164
	v_mul_f32_e32 v61, v137, v89
	v_fma_f32 v60, v134, v86, -v60
	s_wait_loadcnt_dscnt 0x201
	v_dual_mul_f32 v176, v148, v101 :: v_dual_mul_f32 v177, v150, v103
	v_dual_add_f32 v57, v57, v165 :: v_dual_add_f32 v58, v58, v62
	v_mul_f32_e32 v62, v139, v91
	v_fma_f32 v61, v136, v88, -v61
	s_delay_alu instid0(VALU_DEP_4) | instskip(NEXT) | instid1(VALU_DEP_4)
	v_dual_fmac_f32 v174, v145, v96 :: v_dual_fmac_f32 v177, v151, v102
	v_dual_add_f32 v57, v57, v166 :: v_dual_add_f32 v58, v58, v60
	v_mul_f32_e32 v60, v141, v93
	v_fma_f32 v62, v138, v90, -v62
	v_fmac_f32_e32 v175, v147, v98
	s_delay_alu instid0(VALU_DEP_4)
	v_dual_add_f32 v57, v57, v167 :: v_dual_add_f32 v58, v58, v61
	v_mul_f32_e32 v61, v143, v95
	v_fma_f32 v60, v140, v92, -v60
	s_wait_loadcnt_dscnt 0x100
	v_dual_mul_f32 v178, v152, v105 :: v_dual_mul_f32 v179, v154, v107
	v_dual_add_f32 v57, v57, v168 :: v_dual_add_f32 v58, v58, v62
	v_mul_f32_e32 v62, v145, v97
	v_fma_f32 v61, v142, v94, -v61
	v_fmac_f32_e32 v176, v149, v100
	s_delay_alu instid0(VALU_DEP_4) | instskip(SKIP_3) | instid1(VALU_DEP_4)
	v_dual_add_f32 v57, v57, v169 :: v_dual_add_f32 v58, v58, v60
	v_mul_f32_e32 v60, v147, v99
	v_fma_f32 v62, v144, v96, -v62
	v_fmac_f32_e32 v179, v155, v106
	v_dual_add_f32 v57, v57, v170 :: v_dual_add_f32 v58, v58, v61
	v_mul_f32_e32 v61, v149, v101
	v_fma_f32 v60, v146, v98, -v60
	s_delay_alu instid0(VALU_DEP_3) | instskip(SKIP_1) | instid1(VALU_DEP_4)
	v_dual_add_f32 v57, v57, v171 :: v_dual_add_f32 v58, v58, v62
	v_mul_f32_e32 v62, v151, v103
	v_fma_f32 v61, v148, v100, -v61
	s_delay_alu instid0(VALU_DEP_3) | instskip(NEXT) | instid1(VALU_DEP_4)
	v_add_f32_e32 v57, v57, v172
	v_add_f32_e32 v58, v58, v60
	v_mul_f32_e32 v60, v153, v105
	v_fma_f32 v62, v150, v102, -v62
	s_delay_alu instid0(VALU_DEP_4) | instskip(NEXT) | instid1(VALU_DEP_4)
	v_add_f32_e32 v57, v57, v173
	v_dual_add_f32 v58, v58, v61 :: v_dual_mul_f32 v61, v155, v107
	s_delay_alu instid0(VALU_DEP_4) | instskip(NEXT) | instid1(VALU_DEP_3)
	v_fma_f32 v60, v152, v104, -v60
	v_add_f32_e32 v57, v57, v174
	s_delay_alu instid0(VALU_DEP_3) | instskip(NEXT) | instid1(VALU_DEP_4)
	v_add_f32_e32 v58, v58, v62
	v_fma_f32 v61, v154, v106, -v61
	s_delay_alu instid0(VALU_DEP_2) | instskip(NEXT) | instid1(VALU_DEP_1)
	v_dual_add_f32 v57, v57, v175 :: v_dual_add_f32 v58, v58, v60
	v_dual_add_f32 v57, v57, v176 :: v_dual_add_f32 v58, v58, v61
	v_fmac_f32_e32 v178, v153, v104
	s_delay_alu instid0(VALU_DEP_2) | instskip(NEXT) | instid1(VALU_DEP_1)
	v_add_f32_e32 v57, v57, v177
	v_add_f32_e32 v57, v57, v178
	s_wait_loadcnt 0x0
	s_delay_alu instid0(VALU_DEP_1) | instskip(NEXT) | instid1(VALU_DEP_1)
	v_dual_add_f32 v60, v57, v179 :: v_dual_sub_f32 v57, v156, v58
	v_sub_f32_e32 v58, v157, v60
	scratch_store_b64 off, v[57:58], off offset:24
	v_cmpx_lt_u32_e32 2, v0
	s_cbranch_execz .LBB91_177
; %bb.176:
	scratch_load_b64 v[57:58], off, off offset:16
	v_mov_b32_e32 v60, 0
	s_delay_alu instid0(VALU_DEP_1)
	v_mov_b32_e32 v61, v60
	scratch_store_b64 off, v[60:61], off offset:16
	s_wait_loadcnt 0x0
	ds_store_b64 v59, v[57:58]
.LBB91_177:
	s_wait_alu 0xfffe
	s_or_b32 exec_lo, exec_lo, s0
	s_wait_storecnt_dscnt 0x0
	s_barrier_signal -1
	s_barrier_wait -1
	global_inv scope:SCOPE_SE
	s_clause 0xd
	scratch_load_b128 v[60:63], off, off offset:24
	scratch_load_b128 v[64:67], off, off offset:40
	;; [unrolled: 1-line block ×12, first 2 shown]
	scratch_load_b64 v[156:157], off, off offset:216
	scratch_load_b64 v[158:159], off, off offset:16
	v_mov_b32_e32 v57, 0
	ds_load_2addr_b64 v[108:111], v57 offset0:31 offset1:32
	ds_load_2addr_b64 v[112:115], v57 offset0:33 offset1:34
	;; [unrolled: 1-line block ×12, first 2 shown]
	ds_load_b64 v[160:161], v57 offset:440
	s_mov_b32 s0, exec_lo
	s_wait_loadcnt_dscnt 0xd0c
	v_mul_f32_e32 v58, v108, v61
	s_wait_loadcnt_dscnt 0xc0b
	v_dual_mul_f32 v162, v110, v63 :: v_dual_mul_f32 v163, v112, v65
	v_mul_f32_e32 v63, v111, v63
	s_wait_loadcnt_dscnt 0xb0a
	v_dual_mul_f32 v164, v114, v67 :: v_dual_mul_f32 v165, v116, v69
	s_wait_loadcnt_dscnt 0xa09
	v_dual_mul_f32 v61, v109, v61 :: v_dual_mul_f32 v168, v122, v75
	s_wait_loadcnt_dscnt 0x908
	v_dual_mul_f32 v169, v124, v77 :: v_dual_fmac_f32 v58, v109, v60
	s_wait_loadcnt_dscnt 0x302
	v_mul_f32_e32 v182, v150, v103
	v_fma_f32 v61, v108, v60, -v61
	s_wait_loadcnt_dscnt 0x100
	v_mul_f32_e32 v185, v160, v157
	v_mul_f32_e32 v60, v113, v65
	v_fmac_f32_e32 v162, v111, v62
	v_fma_f32 v62, v110, v62, -v63
	v_dual_add_f32 v61, 0, v61 :: v_dual_add_f32 v58, 0, v58
	v_mul_f32_e32 v63, v115, v67
	v_fmac_f32_e32 v163, v113, v64
	v_fma_f32 v60, v112, v64, -v60
	v_dual_mul_f32 v170, v126, v79 :: v_dual_mul_f32 v171, v128, v81
	v_add_f32_e32 v58, v58, v162
	v_add_f32_e32 v61, v61, v62
	v_mul_f32_e32 v62, v117, v69
	v_fma_f32 v63, v114, v66, -v63
	v_dual_mul_f32 v172, v130, v83 :: v_dual_mul_f32 v173, v132, v85
	v_add_f32_e32 v58, v58, v163
	v_dual_add_f32 v60, v61, v60 :: v_dual_mul_f32 v61, v119, v71
	v_fma_f32 v62, v116, v68, -v62
	v_dual_fmac_f32 v164, v115, v66 :: v_dual_fmac_f32 v165, v117, v68
	s_delay_alu instid0(VALU_DEP_3) | instskip(NEXT) | instid1(VALU_DEP_4)
	v_dual_add_f32 v60, v60, v63 :: v_dual_mul_f32 v63, v121, v73
	v_fma_f32 v61, v118, v70, -v61
	v_dual_fmac_f32 v169, v125, v76 :: v_dual_mul_f32 v174, v134, v87
	v_mul_f32_e32 v175, v136, v89
	s_delay_alu instid0(VALU_DEP_4) | instskip(SKIP_3) | instid1(VALU_DEP_4)
	v_add_f32_e32 v60, v60, v62
	v_dual_mul_f32 v62, v123, v75 :: v_dual_fmac_f32 v171, v129, v80
	v_fma_f32 v63, v120, v72, -v63
	v_add_f32_e32 v58, v58, v164
	v_dual_add_f32 v60, v60, v61 :: v_dual_fmac_f32 v173, v133, v84
	v_mul_f32_e32 v61, v125, v77
	v_fma_f32 v62, v122, v74, -v62
	s_delay_alu instid0(VALU_DEP_3) | instskip(SKIP_1) | instid1(VALU_DEP_4)
	v_dual_fmac_f32 v175, v137, v88 :: v_dual_add_f32 v60, v60, v63
	v_mul_f32_e32 v63, v127, v79
	v_fma_f32 v61, v124, v76, -v61
	v_dual_mul_f32 v166, v118, v71 :: v_dual_mul_f32 v167, v120, v73
	s_delay_alu instid0(VALU_DEP_4) | instskip(SKIP_3) | instid1(VALU_DEP_4)
	v_add_f32_e32 v60, v60, v62
	v_dual_mul_f32 v178, v142, v95 :: v_dual_mul_f32 v179, v144, v97
	v_mul_f32_e32 v62, v129, v81
	v_fma_f32 v63, v126, v78, -v63
	v_add_f32_e32 v60, v60, v61
	v_dual_fmac_f32 v166, v119, v70 :: v_dual_fmac_f32 v167, v121, v72
	v_dual_add_f32 v58, v58, v165 :: v_dual_mul_f32 v61, v131, v83
	v_fma_f32 v62, v128, v80, -v62
	s_delay_alu instid0(VALU_DEP_4) | instskip(NEXT) | instid1(VALU_DEP_3)
	v_dual_fmac_f32 v179, v145, v96 :: v_dual_add_f32 v60, v60, v63
	v_dual_add_f32 v58, v58, v166 :: v_dual_mul_f32 v63, v133, v85
	s_delay_alu instid0(VALU_DEP_4) | instskip(SKIP_1) | instid1(VALU_DEP_4)
	v_fma_f32 v61, v130, v82, -v61
	v_fmac_f32_e32 v168, v123, v74
	v_add_f32_e32 v60, v60, v62
	v_mul_f32_e32 v62, v135, v87
	v_fma_f32 v63, v132, v84, -v63
	v_dual_mul_f32 v176, v138, v91 :: v_dual_mul_f32 v177, v140, v93
	s_delay_alu instid0(VALU_DEP_4) | instskip(SKIP_2) | instid1(VALU_DEP_4)
	v_add_f32_e32 v60, v60, v61
	v_mul_f32_e32 v61, v137, v89
	v_fma_f32 v62, v134, v86, -v62
	v_dual_add_f32 v58, v58, v167 :: v_dual_fmac_f32 v177, v141, v92
	s_delay_alu instid0(VALU_DEP_4) | instskip(SKIP_2) | instid1(VALU_DEP_4)
	v_add_f32_e32 v60, v60, v63
	v_mul_f32_e32 v63, v139, v91
	v_fma_f32 v61, v136, v88, -v61
	v_add_f32_e32 v58, v58, v168
	v_fmac_f32_e32 v170, v127, v78
	v_add_f32_e32 v60, v60, v62
	v_mul_f32_e32 v62, v141, v93
	v_fma_f32 v63, v138, v90, -v63
	v_dual_mul_f32 v180, v146, v99 :: v_dual_mul_f32 v181, v148, v101
	s_delay_alu instid0(VALU_DEP_4) | instskip(NEXT) | instid1(VALU_DEP_4)
	v_dual_add_f32 v60, v60, v61 :: v_dual_mul_f32 v61, v143, v95
	v_fma_f32 v62, v140, v92, -v62
	s_delay_alu instid0(VALU_DEP_3) | instskip(NEXT) | instid1(VALU_DEP_3)
	v_dual_add_f32 v58, v58, v169 :: v_dual_fmac_f32 v181, v149, v100
	v_dual_add_f32 v60, v60, v63 :: v_dual_mul_f32 v63, v145, v97
	s_delay_alu instid0(VALU_DEP_4) | instskip(NEXT) | instid1(VALU_DEP_3)
	v_fma_f32 v61, v142, v94, -v61
	v_dual_add_f32 v58, v58, v170 :: v_dual_mul_f32 v183, v152, v105
	v_mul_f32_e32 v184, v154, v107
	s_delay_alu instid0(VALU_DEP_4) | instskip(SKIP_3) | instid1(VALU_DEP_4)
	v_add_f32_e32 v60, v60, v62
	v_mul_f32_e32 v62, v147, v99
	v_fma_f32 v63, v144, v96, -v63
	v_dual_fmac_f32 v172, v131, v82 :: v_dual_fmac_f32 v183, v153, v104
	v_add_f32_e32 v60, v60, v61
	v_mul_f32_e32 v61, v149, v101
	v_fma_f32 v62, v146, v98, -v62
	v_fmac_f32_e32 v174, v135, v86
	v_fmac_f32_e32 v176, v139, v90
	v_add_f32_e32 v60, v60, v63
	v_fma_f32 v61, v148, v100, -v61
	v_dual_fmac_f32 v185, v161, v156 :: v_dual_fmac_f32 v178, v143, v94
	v_fmac_f32_e32 v180, v147, v98
	s_delay_alu instid0(VALU_DEP_4) | instskip(SKIP_3) | instid1(VALU_DEP_4)
	v_dual_add_f32 v60, v60, v62 :: v_dual_mul_f32 v63, v151, v103
	v_mul_f32_e32 v62, v153, v105
	v_fmac_f32_e32 v182, v151, v102
	v_fmac_f32_e32 v184, v155, v106
	v_dual_add_f32 v60, v60, v61 :: v_dual_mul_f32 v61, v155, v107
	v_add_f32_e32 v58, v58, v171
	v_fma_f32 v63, v150, v102, -v63
	v_fma_f32 v62, v152, v104, -v62
	s_delay_alu instid0(VALU_DEP_4) | instskip(NEXT) | instid1(VALU_DEP_4)
	v_fma_f32 v61, v154, v106, -v61
	v_add_f32_e32 v58, v58, v172
	s_delay_alu instid0(VALU_DEP_4) | instskip(NEXT) | instid1(VALU_DEP_2)
	v_dual_add_f32 v60, v60, v63 :: v_dual_mul_f32 v63, v161, v157
	v_add_f32_e32 v58, v58, v173
	s_delay_alu instid0(VALU_DEP_2) | instskip(NEXT) | instid1(VALU_DEP_3)
	v_add_f32_e32 v60, v60, v62
	v_fma_f32 v62, v160, v156, -v63
	s_delay_alu instid0(VALU_DEP_3) | instskip(NEXT) | instid1(VALU_DEP_3)
	v_add_f32_e32 v58, v58, v174
	v_add_f32_e32 v60, v60, v61
	s_delay_alu instid0(VALU_DEP_2) | instskip(NEXT) | instid1(VALU_DEP_2)
	v_add_f32_e32 v58, v58, v175
	v_add_f32_e32 v60, v60, v62
	s_delay_alu instid0(VALU_DEP_2) | instskip(SKIP_1) | instid1(VALU_DEP_2)
	v_add_f32_e32 v58, v58, v176
	s_wait_loadcnt 0x0
	v_sub_f32_e32 v60, v158, v60
	s_delay_alu instid0(VALU_DEP_2) | instskip(NEXT) | instid1(VALU_DEP_1)
	v_add_f32_e32 v58, v58, v177
	v_add_f32_e32 v58, v58, v178
	s_delay_alu instid0(VALU_DEP_1) | instskip(NEXT) | instid1(VALU_DEP_1)
	v_add_f32_e32 v58, v58, v179
	v_add_f32_e32 v58, v58, v180
	s_delay_alu instid0(VALU_DEP_1) | instskip(NEXT) | instid1(VALU_DEP_1)
	;; [unrolled: 3-line block ×4, first 2 shown]
	v_add_f32_e32 v58, v58, v185
	v_sub_f32_e32 v61, v159, v58
	scratch_store_b64 off, v[60:61], off offset:16
	v_cmpx_lt_u32_e32 1, v0
	s_cbranch_execz .LBB91_179
; %bb.178:
	scratch_load_b64 v[60:61], off, off offset:8
	v_mov_b32_e32 v58, v57
	scratch_store_b64 off, v[57:58], off offset:8
	s_wait_loadcnt 0x0
	ds_store_b64 v59, v[60:61]
.LBB91_179:
	s_wait_alu 0xfffe
	s_or_b32 exec_lo, exec_lo, s0
	s_wait_storecnt_dscnt 0x0
	s_barrier_signal -1
	s_barrier_wait -1
	global_inv scope:SCOPE_SE
	s_clause 0xd
	scratch_load_b128 v[60:63], off, off offset:16
	scratch_load_b128 v[64:67], off, off offset:32
	scratch_load_b128 v[68:71], off, off offset:48
	scratch_load_b128 v[72:75], off, off offset:64
	scratch_load_b128 v[76:79], off, off offset:80
	scratch_load_b128 v[80:83], off, off offset:96
	scratch_load_b128 v[84:87], off, off offset:112
	scratch_load_b128 v[88:91], off, off offset:128
	scratch_load_b128 v[92:95], off, off offset:144
	scratch_load_b128 v[96:99], off, off offset:160
	scratch_load_b128 v[100:103], off, off offset:176
	scratch_load_b128 v[104:107], off, off offset:192
	scratch_load_b128 v[108:111], off, off offset:208
	scratch_load_b64 v[164:165], off, off offset:8
	ds_load_b128 v[112:115], v57 offset:240
	ds_load_b128 v[116:119], v57 offset:256
	;; [unrolled: 1-line block ×13, first 2 shown]
	s_mov_b32 s0, exec_lo
	s_wait_loadcnt_dscnt 0xd0c
	v_dual_mul_f32 v57, v112, v61 :: v_dual_mul_f32 v58, v114, v63
	v_mul_f32_e32 v61, v113, v61
	s_wait_loadcnt_dscnt 0xc0b
	v_dual_mul_f32 v63, v115, v63 :: v_dual_mul_f32 v166, v116, v65
	s_delay_alu instid0(VALU_DEP_3) | instskip(NEXT) | instid1(VALU_DEP_3)
	v_dual_mul_f32 v167, v118, v67 :: v_dual_fmac_f32 v58, v115, v62
	v_fma_f32 v61, v112, v60, -v61
	v_fmac_f32_e32 v57, v113, v60
	v_mul_f32_e32 v60, v117, v65
	v_fma_f32 v62, v114, v62, -v63
	v_mul_f32_e32 v63, v119, v67
	v_dual_add_f32 v61, 0, v61 :: v_dual_fmac_f32 v166, v117, v64
	s_delay_alu instid0(VALU_DEP_4) | instskip(SKIP_2) | instid1(VALU_DEP_3)
	v_fma_f32 v60, v116, v64, -v60
	s_wait_loadcnt_dscnt 0xb0a
	v_dual_mul_f32 v168, v120, v69 :: v_dual_mul_f32 v169, v122, v71
	v_add_f32_e32 v61, v61, v62
	v_fmac_f32_e32 v167, v119, v66
	v_fma_f32 v62, v118, v66, -v63
	s_wait_loadcnt_dscnt 0xa09
	v_dual_mul_f32 v170, v124, v73 :: v_dual_mul_f32 v171, v126, v75
	v_dual_add_f32 v60, v61, v60 :: v_dual_mul_f32 v61, v123, v71
	v_fmac_f32_e32 v168, v121, v68
	s_wait_loadcnt_dscnt 0x908
	v_dual_mul_f32 v172, v128, v77 :: v_dual_mul_f32 v173, v130, v79
	s_delay_alu instid0(VALU_DEP_3) | instskip(SKIP_3) | instid1(VALU_DEP_4)
	v_dual_add_f32 v60, v60, v62 :: v_dual_add_f32 v57, 0, v57
	v_mul_f32_e32 v62, v125, v73
	v_fma_f32 v61, v122, v70, -v61
	v_dual_fmac_f32 v169, v123, v70 :: v_dual_fmac_f32 v170, v125, v72
	v_add_f32_e32 v57, v57, v58
	v_mul_f32_e32 v58, v121, v69
	v_fma_f32 v62, v124, v72, -v62
	v_dual_fmac_f32 v171, v127, v74 :: v_dual_fmac_f32 v172, v129, v76
	s_wait_loadcnt_dscnt 0x807
	v_dual_mul_f32 v174, v132, v81 :: v_dual_mul_f32 v175, v134, v83
	v_fma_f32 v58, v120, v68, -v58
	s_wait_loadcnt_dscnt 0x706
	v_dual_mul_f32 v176, v136, v85 :: v_dual_mul_f32 v177, v138, v87
	s_wait_loadcnt_dscnt 0x605
	v_dual_mul_f32 v178, v140, v89 :: v_dual_mul_f32 v179, v142, v91
	v_add_f32_e32 v58, v60, v58
	v_mul_f32_e32 v60, v127, v75
	v_dual_fmac_f32 v176, v137, v84 :: v_dual_fmac_f32 v177, v139, v86
	s_delay_alu instid0(VALU_DEP_4) | instskip(NEXT) | instid1(VALU_DEP_4)
	v_dual_fmac_f32 v178, v141, v88 :: v_dual_fmac_f32 v179, v143, v90
	v_dual_add_f32 v58, v58, v61 :: v_dual_add_f32 v57, v57, v166
	v_mul_f32_e32 v61, v129, v77
	v_fma_f32 v60, v126, v74, -v60
	v_fmac_f32_e32 v173, v131, v78
	s_delay_alu instid0(VALU_DEP_4)
	v_add_f32_e32 v58, v58, v62
	v_mul_f32_e32 v62, v131, v79
	v_add_f32_e32 v57, v57, v167
	v_fma_f32 v61, v128, v76, -v61
	v_fmac_f32_e32 v174, v133, v80
	v_add_f32_e32 v58, v58, v60
	v_mul_f32_e32 v60, v133, v81
	v_add_f32_e32 v57, v57, v168
	v_fma_f32 v62, v130, v78, -v62
	s_delay_alu instid0(VALU_DEP_4) | instskip(SKIP_1) | instid1(VALU_DEP_4)
	v_dual_fmac_f32 v175, v135, v82 :: v_dual_add_f32 v58, v58, v61
	v_mul_f32_e32 v61, v135, v83
	v_add_f32_e32 v57, v57, v169
	v_fma_f32 v60, v132, v80, -v60
	s_wait_loadcnt_dscnt 0x504
	v_dual_mul_f32 v180, v144, v93 :: v_dual_mul_f32 v181, v146, v95
	v_add_f32_e32 v58, v58, v62
	v_add_f32_e32 v57, v57, v170
	v_fma_f32 v61, v134, v82, -v61
	v_mul_f32_e32 v62, v137, v85
	v_dual_fmac_f32 v180, v145, v92 :: v_dual_fmac_f32 v181, v147, v94
	s_delay_alu instid0(VALU_DEP_4) | instskip(SKIP_1) | instid1(VALU_DEP_4)
	v_dual_add_f32 v58, v58, v60 :: v_dual_add_f32 v57, v57, v171
	v_mul_f32_e32 v60, v139, v87
	v_fma_f32 v62, v136, v84, -v62
	s_wait_loadcnt_dscnt 0x403
	v_dual_mul_f32 v182, v148, v97 :: v_dual_mul_f32 v183, v150, v99
	v_dual_add_f32 v58, v58, v61 :: v_dual_add_f32 v57, v57, v172
	v_mul_f32_e32 v61, v141, v89
	v_fma_f32 v60, v138, v86, -v60
	s_wait_loadcnt_dscnt 0x302
	v_dual_mul_f32 v184, v152, v101 :: v_dual_mul_f32 v185, v154, v103
	v_dual_add_f32 v57, v57, v173 :: v_dual_add_f32 v58, v58, v62
	v_mul_f32_e32 v62, v143, v91
	v_fma_f32 v61, v140, v88, -v61
	s_delay_alu instid0(VALU_DEP_4) | instskip(NEXT) | instid1(VALU_DEP_4)
	v_dual_fmac_f32 v182, v149, v96 :: v_dual_fmac_f32 v185, v155, v102
	v_dual_add_f32 v57, v57, v174 :: v_dual_add_f32 v58, v58, v60
	v_mul_f32_e32 v60, v145, v93
	v_fma_f32 v62, v142, v90, -v62
	v_fmac_f32_e32 v183, v151, v98
	s_delay_alu instid0(VALU_DEP_4) | instskip(SKIP_3) | instid1(VALU_DEP_4)
	v_dual_add_f32 v57, v57, v175 :: v_dual_add_f32 v58, v58, v61
	v_mul_f32_e32 v61, v147, v95
	v_fma_f32 v60, v144, v92, -v60
	v_fmac_f32_e32 v184, v153, v100
	v_dual_add_f32 v57, v57, v176 :: v_dual_add_f32 v58, v58, v62
	s_delay_alu instid0(VALU_DEP_4)
	v_fma_f32 v61, v146, v94, -v61
	v_mul_f32_e32 v62, v149, v97
	s_wait_loadcnt_dscnt 0x201
	v_dual_mul_f32 v186, v156, v105 :: v_dual_mul_f32 v187, v158, v107
	v_dual_add_f32 v57, v57, v177 :: v_dual_add_f32 v58, v58, v60
	v_mul_f32_e32 v60, v151, v99
	v_fma_f32 v62, v148, v96, -v62
	s_wait_loadcnt_dscnt 0x100
	v_dual_mul_f32 v188, v160, v109 :: v_dual_mul_f32 v189, v162, v111
	v_dual_add_f32 v57, v57, v178 :: v_dual_add_f32 v58, v58, v61
	v_mul_f32_e32 v61, v153, v101
	v_fma_f32 v60, v150, v98, -v60
	s_delay_alu instid0(VALU_DEP_4) | instskip(NEXT) | instid1(VALU_DEP_4)
	v_dual_fmac_f32 v186, v157, v104 :: v_dual_fmac_f32 v189, v163, v110
	v_dual_add_f32 v57, v57, v179 :: v_dual_add_f32 v58, v58, v62
	v_mul_f32_e32 v62, v155, v103
	v_fma_f32 v61, v152, v100, -v61
	v_fmac_f32_e32 v187, v159, v106
	s_delay_alu instid0(VALU_DEP_4)
	v_add_f32_e32 v57, v57, v180
	v_add_f32_e32 v58, v58, v60
	v_mul_f32_e32 v60, v157, v105
	v_fma_f32 v62, v154, v102, -v62
	v_fmac_f32_e32 v188, v161, v108
	v_add_f32_e32 v57, v57, v181
	v_dual_add_f32 v58, v58, v61 :: v_dual_mul_f32 v61, v159, v107
	v_fma_f32 v60, v156, v104, -v60
	s_delay_alu instid0(VALU_DEP_3) | instskip(NEXT) | instid1(VALU_DEP_3)
	v_add_f32_e32 v57, v57, v182
	v_add_f32_e32 v58, v58, v62
	v_mul_f32_e32 v62, v161, v109
	v_fma_f32 v61, v158, v106, -v61
	s_delay_alu instid0(VALU_DEP_3) | instskip(SKIP_1) | instid1(VALU_DEP_4)
	v_dual_add_f32 v57, v57, v183 :: v_dual_add_f32 v58, v58, v60
	v_mul_f32_e32 v60, v163, v111
	v_fma_f32 v62, v160, v108, -v62
	s_delay_alu instid0(VALU_DEP_3) | instskip(NEXT) | instid1(VALU_DEP_3)
	v_add_f32_e32 v57, v57, v184
	v_fma_f32 v60, v162, v110, -v60
	s_delay_alu instid0(VALU_DEP_2) | instskip(NEXT) | instid1(VALU_DEP_1)
	v_add_f32_e32 v57, v57, v185
	v_dual_add_f32 v57, v57, v186 :: v_dual_add_f32 v58, v58, v61
	s_delay_alu instid0(VALU_DEP_1) | instskip(NEXT) | instid1(VALU_DEP_1)
	v_dual_add_f32 v57, v57, v187 :: v_dual_add_f32 v58, v58, v62
	v_add_f32_e32 v57, v57, v188
	s_delay_alu instid0(VALU_DEP_2) | instskip(SKIP_1) | instid1(VALU_DEP_1)
	v_add_f32_e32 v58, v58, v60
	s_wait_loadcnt 0x0
	v_dual_add_f32 v60, v57, v189 :: v_dual_sub_f32 v57, v164, v58
	s_delay_alu instid0(VALU_DEP_1)
	v_sub_f32_e32 v58, v165, v60
	scratch_store_b64 off, v[57:58], off offset:8
	v_cmpx_ne_u32_e32 0, v0
	s_cbranch_execz .LBB91_181
; %bb.180:
	scratch_load_b64 v[57:58], off, off
	v_mov_b32_e32 v60, 0
	s_delay_alu instid0(VALU_DEP_1)
	v_mov_b32_e32 v61, v60
	scratch_store_b64 off, v[60:61], off
	s_wait_loadcnt 0x0
	ds_store_b64 v59, v[57:58]
.LBB91_181:
	s_wait_alu 0xfffe
	s_or_b32 exec_lo, exec_lo, s0
	s_wait_storecnt_dscnt 0x0
	s_barrier_signal -1
	s_barrier_wait -1
	global_inv scope:SCOPE_SE
	s_clause 0xe
	scratch_load_b128 v[57:60], off, off offset:8
	scratch_load_b128 v[61:64], off, off offset:24
	;; [unrolled: 1-line block ×13, first 2 shown]
	scratch_load_b64 v[161:162], off, off offset:216
	scratch_load_b64 v[163:164], off, off
	v_mov_b32_e32 v0, 0
	ds_load_2addr_b64 v[109:112], v0 offset0:29 offset1:30
	ds_load_2addr_b64 v[113:116], v0 offset0:31 offset1:32
	;; [unrolled: 1-line block ×13, first 2 shown]
	ds_load_b64 v[165:166], v0 offset:440
	s_and_b32 vcc_lo, exec_lo, s12
	s_wait_loadcnt_dscnt 0xe0d
	v_dual_mul_f32 v167, v109, v58 :: v_dual_mul_f32 v168, v111, v60
	s_wait_loadcnt_dscnt 0xd0c
	v_dual_mul_f32 v169, v113, v62 :: v_dual_mul_f32 v60, v112, v60
	;; [unrolled: 2-line block ×3, first 2 shown]
	v_dual_fmac_f32 v167, v110, v57 :: v_dual_fmac_f32 v168, v112, v59
	s_delay_alu instid0(VALU_DEP_3) | instskip(SKIP_1) | instid1(VALU_DEP_4)
	v_fmac_f32_e32 v169, v114, v61
	v_fma_f32 v59, v111, v59, -v60
	v_dual_fmac_f32 v170, v116, v63 :: v_dual_fmac_f32 v171, v118, v65
	s_delay_alu instid0(VALU_DEP_4)
	v_add_f32_e32 v60, 0, v167
	v_mul_f32_e32 v58, v110, v58
	s_wait_loadcnt_dscnt 0xb0a
	v_dual_mul_f32 v172, v119, v68 :: v_dual_mul_f32 v173, v121, v70
	s_wait_loadcnt_dscnt 0xa09
	v_dual_mul_f32 v174, v123, v72 :: v_dual_mul_f32 v175, v125, v74
	v_fma_f32 v58, v109, v57, -v58
	v_dual_mul_f32 v57, v114, v62 :: v_dual_mul_f32 v62, v116, v64
	v_dual_fmac_f32 v172, v120, v67 :: v_dual_fmac_f32 v173, v122, v69
	s_delay_alu instid0(VALU_DEP_3) | instskip(NEXT) | instid1(VALU_DEP_3)
	v_add_f32_e32 v58, 0, v58
	v_fma_f32 v57, v113, v61, -v57
	s_delay_alu instid0(VALU_DEP_4) | instskip(SKIP_1) | instid1(VALU_DEP_4)
	v_fma_f32 v61, v115, v63, -v62
	v_dual_fmac_f32 v174, v124, v71 :: v_dual_fmac_f32 v175, v126, v73
	v_add_f32_e32 v58, v58, v59
	s_wait_loadcnt_dscnt 0x908
	v_dual_mul_f32 v176, v127, v76 :: v_dual_mul_f32 v177, v129, v78
	s_wait_loadcnt_dscnt 0x807
	v_dual_mul_f32 v178, v131, v80 :: v_dual_mul_f32 v179, v133, v82
	v_add_f32_e32 v57, v58, v57
	v_add_f32_e32 v59, v60, v168
	v_dual_fmac_f32 v176, v128, v75 :: v_dual_fmac_f32 v177, v130, v77
	s_wait_loadcnt_dscnt 0x706
	v_dual_mul_f32 v180, v135, v84 :: v_dual_mul_f32 v181, v137, v86
	s_delay_alu instid0(VALU_DEP_3)
	v_dual_add_f32 v58, v59, v169 :: v_dual_mul_f32 v59, v120, v68
	v_add_f32_e32 v57, v57, v61
	v_dual_mul_f32 v61, v122, v70 :: v_dual_mul_f32 v182, v139, v88
	s_wait_loadcnt_dscnt 0x605
	v_mul_f32_e32 v183, v141, v90
	v_fma_f32 v59, v119, v67, -v59
	v_mul_f32_e32 v60, v118, v66
	v_fma_f32 v61, v121, v69, -v61
	v_dual_fmac_f32 v181, v138, v85 :: v_dual_fmac_f32 v182, v140, v87
	s_wait_loadcnt_dscnt 0x504
	v_dual_mul_f32 v184, v143, v92 :: v_dual_mul_f32 v185, v145, v94
	v_fma_f32 v60, v117, v65, -v60
	v_add_f32_e32 v58, v58, v170
	s_delay_alu instid0(VALU_DEP_3) | instskip(SKIP_4) | instid1(VALU_DEP_3)
	v_dual_fmac_f32 v183, v142, v89 :: v_dual_fmac_f32 v184, v144, v91
	s_wait_loadcnt_dscnt 0x403
	v_dual_mul_f32 v186, v147, v96 :: v_dual_mul_f32 v187, v149, v98
	v_add_f32_e32 v57, v57, v60
	v_dual_mul_f32 v60, v124, v72 :: v_dual_fmac_f32 v185, v146, v93
	v_fmac_f32_e32 v186, v148, v95
	s_wait_loadcnt_dscnt 0x302
	v_dual_mul_f32 v188, v151, v100 :: v_dual_mul_f32 v189, v153, v102
	v_add_f32_e32 v57, v57, v59
	v_add_f32_e32 v58, v58, v171
	v_mul_f32_e32 v59, v126, v74
	v_fma_f32 v60, v123, v71, -v60
	s_wait_loadcnt_dscnt 0x201
	v_dual_mul_f32 v190, v155, v104 :: v_dual_mul_f32 v191, v157, v106
	v_add_f32_e32 v57, v57, v61
	v_fma_f32 v59, v125, v73, -v59
	v_mul_f32_e32 v61, v128, v76
	s_delay_alu instid0(VALU_DEP_4) | instskip(NEXT) | instid1(VALU_DEP_4)
	v_dual_fmac_f32 v187, v150, v97 :: v_dual_fmac_f32 v190, v156, v103
	v_add_f32_e32 v57, v57, v60
	v_add_f32_e32 v58, v58, v172
	v_mul_f32_e32 v60, v130, v78
	v_fma_f32 v61, v127, v75, -v61
	v_fmac_f32_e32 v178, v132, v79
	s_delay_alu instid0(VALU_DEP_4) | instskip(SKIP_3) | instid1(VALU_DEP_4)
	v_dual_add_f32 v57, v57, v59 :: v_dual_add_f32 v58, v58, v173
	v_mul_f32_e32 v59, v132, v80
	v_fma_f32 v60, v129, v77, -v60
	v_fmac_f32_e32 v179, v134, v81
	v_dual_add_f32 v57, v57, v61 :: v_dual_add_f32 v58, v58, v174
	s_delay_alu instid0(VALU_DEP_4) | instskip(SKIP_1) | instid1(VALU_DEP_3)
	v_fma_f32 v59, v131, v79, -v59
	v_dual_mul_f32 v61, v134, v82 :: v_dual_fmac_f32 v180, v136, v83
	v_dual_add_f32 v57, v57, v60 :: v_dual_add_f32 v58, v58, v175
	v_mul_f32_e32 v60, v136, v84
	s_delay_alu instid0(VALU_DEP_3) | instskip(SKIP_1) | instid1(VALU_DEP_4)
	v_fma_f32 v61, v133, v81, -v61
	v_fmac_f32_e32 v189, v154, v101
	v_dual_add_f32 v57, v57, v59 :: v_dual_add_f32 v58, v58, v176
	v_mul_f32_e32 v59, v138, v86
	v_fma_f32 v60, v135, v83, -v60
	s_wait_loadcnt_dscnt 0x100
	v_dual_mul_f32 v192, v159, v108 :: v_dual_mul_f32 v193, v165, v162
	v_add_f32_e32 v58, v58, v177
	v_add_f32_e32 v57, v57, v61
	v_mul_f32_e32 v61, v140, v88
	v_fma_f32 v59, v137, v85, -v59
	v_fmac_f32_e32 v191, v158, v105
	s_delay_alu instid0(VALU_DEP_4) | instskip(SKIP_3) | instid1(VALU_DEP_4)
	v_dual_add_f32 v58, v58, v178 :: v_dual_add_f32 v57, v57, v60
	v_mul_f32_e32 v60, v142, v90
	v_fma_f32 v61, v139, v87, -v61
	v_fmac_f32_e32 v193, v166, v161
	v_add_f32_e32 v58, v58, v179
	v_add_f32_e32 v57, v57, v59
	v_mul_f32_e32 v59, v144, v92
	v_fma_f32 v60, v141, v89, -v60
	v_fmac_f32_e32 v188, v152, v99
	v_add_f32_e32 v58, v58, v180
	v_fmac_f32_e32 v192, v160, v107
	v_fma_f32 v59, v143, v91, -v59
	s_delay_alu instid0(VALU_DEP_3) | instskip(SKIP_2) | instid1(VALU_DEP_2)
	v_add_f32_e32 v58, v58, v181
	v_add_f32_e32 v57, v57, v61
	v_mul_f32_e32 v61, v146, v94
	v_dual_add_f32 v58, v58, v182 :: v_dual_add_f32 v57, v57, v60
	v_mul_f32_e32 v60, v148, v96
	s_delay_alu instid0(VALU_DEP_3) | instskip(NEXT) | instid1(VALU_DEP_3)
	v_fma_f32 v61, v145, v93, -v61
	v_add_f32_e32 v58, v58, v183
	s_delay_alu instid0(VALU_DEP_4) | instskip(SKIP_2) | instid1(VALU_DEP_4)
	v_add_f32_e32 v57, v57, v59
	v_mul_f32_e32 v59, v150, v98
	v_fma_f32 v60, v147, v95, -v60
	v_add_f32_e32 v58, v58, v184
	s_delay_alu instid0(VALU_DEP_3) | instskip(NEXT) | instid1(VALU_DEP_2)
	v_fma_f32 v59, v149, v97, -v59
	v_add_f32_e32 v58, v58, v185
	v_add_f32_e32 v57, v57, v61
	s_delay_alu instid0(VALU_DEP_2) | instskip(NEXT) | instid1(VALU_DEP_2)
	v_dual_mul_f32 v61, v152, v100 :: v_dual_add_f32 v58, v58, v186
	v_dual_add_f32 v57, v57, v60 :: v_dual_mul_f32 v60, v154, v102
	s_delay_alu instid0(VALU_DEP_2) | instskip(NEXT) | instid1(VALU_DEP_3)
	v_fma_f32 v61, v151, v99, -v61
	v_add_f32_e32 v58, v58, v187
	s_delay_alu instid0(VALU_DEP_3) | instskip(SKIP_2) | instid1(VALU_DEP_3)
	v_add_f32_e32 v57, v57, v59
	v_mul_f32_e32 v59, v156, v104
	v_fma_f32 v60, v153, v101, -v60
	v_dual_add_f32 v58, v58, v188 :: v_dual_add_f32 v57, v57, v61
	v_mul_f32_e32 v61, v158, v106
	s_delay_alu instid0(VALU_DEP_4) | instskip(NEXT) | instid1(VALU_DEP_3)
	v_fma_f32 v59, v155, v103, -v59
	v_add_f32_e32 v57, v57, v60
	v_mul_f32_e32 v60, v160, v108
	v_add_f32_e32 v58, v58, v189
	v_fma_f32 v61, v157, v105, -v61
	s_delay_alu instid0(VALU_DEP_3) | instskip(NEXT) | instid1(VALU_DEP_3)
	v_fma_f32 v60, v159, v107, -v60
	v_add_f32_e32 v58, v58, v190
	s_delay_alu instid0(VALU_DEP_1) | instskip(SKIP_2) | instid1(VALU_DEP_2)
	v_add_f32_e32 v58, v58, v191
	v_add_f32_e32 v57, v57, v59
	v_mul_f32_e32 v59, v166, v162
	v_dual_add_f32 v58, v58, v192 :: v_dual_add_f32 v57, v57, v61
	s_delay_alu instid0(VALU_DEP_2) | instskip(NEXT) | instid1(VALU_DEP_2)
	v_fma_f32 v59, v165, v161, -v59
	v_dual_add_f32 v58, v58, v193 :: v_dual_add_f32 v57, v57, v60
	s_wait_loadcnt 0x0
	s_delay_alu instid0(VALU_DEP_1) | instskip(NEXT) | instid1(VALU_DEP_1)
	v_dual_sub_f32 v58, v164, v58 :: v_dual_add_f32 v57, v57, v59
	v_sub_f32_e32 v57, v163, v57
	scratch_store_b64 off, v[57:58], off
	s_wait_alu 0xfffe
	s_cbranch_vccz .LBB91_236
; %bb.182:
	global_load_b32 v0, v0, s[2:3] offset:104
	s_wait_loadcnt 0x0
	v_cmp_ne_u32_e32 vcc_lo, 27, v0
	s_cbranch_vccz .LBB91_184
; %bb.183:
	v_lshlrev_b32_e32 v0, 3, v0
	scratch_load_b64 v[57:58], v0, off offset:-8
	scratch_load_b64 v[59:60], off, off offset:208
	s_wait_loadcnt 0x1
	scratch_store_b64 off, v[57:58], off offset:208
	s_wait_loadcnt 0x0
	scratch_store_b64 v0, v[59:60], off offset:-8
.LBB91_184:
	v_mov_b32_e32 v0, 0
	global_load_b32 v57, v0, s[2:3] offset:100
	s_wait_loadcnt 0x0
	v_cmp_eq_u32_e32 vcc_lo, 26, v57
	s_cbranch_vccnz .LBB91_186
; %bb.185:
	v_lshlrev_b32_e32 v57, 3, v57
	s_delay_alu instid0(VALU_DEP_1)
	v_mov_b32_e32 v61, v57
	scratch_load_b64 v[57:58], v61, off offset:-8
	scratch_load_b64 v[59:60], off, off offset:200
	s_wait_loadcnt 0x1
	scratch_store_b64 off, v[57:58], off offset:200
	s_wait_loadcnt 0x0
	scratch_store_b64 v61, v[59:60], off offset:-8
.LBB91_186:
	global_load_b32 v0, v0, s[2:3] offset:96
	s_wait_loadcnt 0x0
	v_cmp_eq_u32_e32 vcc_lo, 25, v0
	s_cbranch_vccnz .LBB91_188
; %bb.187:
	v_lshlrev_b32_e32 v0, 3, v0
	scratch_load_b64 v[57:58], v0, off offset:-8
	scratch_load_b64 v[59:60], off, off offset:192
	s_wait_loadcnt 0x1
	scratch_store_b64 off, v[57:58], off offset:192
	s_wait_loadcnt 0x0
	scratch_store_b64 v0, v[59:60], off offset:-8
.LBB91_188:
	v_mov_b32_e32 v0, 0
	global_load_b32 v57, v0, s[2:3] offset:92
	s_wait_loadcnt 0x0
	v_cmp_eq_u32_e32 vcc_lo, 24, v57
	s_cbranch_vccnz .LBB91_190
; %bb.189:
	v_lshlrev_b32_e32 v57, 3, v57
	s_delay_alu instid0(VALU_DEP_1)
	v_mov_b32_e32 v61, v57
	scratch_load_b64 v[57:58], v61, off offset:-8
	scratch_load_b64 v[59:60], off, off offset:184
	s_wait_loadcnt 0x1
	scratch_store_b64 off, v[57:58], off offset:184
	s_wait_loadcnt 0x0
	scratch_store_b64 v61, v[59:60], off offset:-8
.LBB91_190:
	global_load_b32 v0, v0, s[2:3] offset:88
	s_wait_loadcnt 0x0
	v_cmp_eq_u32_e32 vcc_lo, 23, v0
	s_cbranch_vccnz .LBB91_192
; %bb.191:
	v_lshlrev_b32_e32 v0, 3, v0
	scratch_load_b64 v[57:58], v0, off offset:-8
	scratch_load_b64 v[59:60], off, off offset:176
	s_wait_loadcnt 0x1
	scratch_store_b64 off, v[57:58], off offset:176
	s_wait_loadcnt 0x0
	scratch_store_b64 v0, v[59:60], off offset:-8
.LBB91_192:
	;; [unrolled: 29-line block ×12, first 2 shown]
	v_mov_b32_e32 v0, 0
	global_load_b32 v57, v0, s[2:3] offset:4
	s_wait_loadcnt 0x0
	v_cmp_eq_u32_e32 vcc_lo, 2, v57
	s_cbranch_vccnz .LBB91_234
; %bb.233:
	v_lshlrev_b32_e32 v57, 3, v57
	s_delay_alu instid0(VALU_DEP_1)
	v_mov_b32_e32 v61, v57
	scratch_load_b64 v[57:58], v61, off offset:-8
	scratch_load_b64 v[59:60], off, off offset:8
	s_wait_loadcnt 0x1
	scratch_store_b64 off, v[57:58], off offset:8
	s_wait_loadcnt 0x0
	scratch_store_b64 v61, v[59:60], off offset:-8
.LBB91_234:
	global_load_b32 v0, v0, s[2:3]
	s_wait_loadcnt 0x0
	v_cmp_eq_u32_e32 vcc_lo, 1, v0
	s_cbranch_vccnz .LBB91_236
; %bb.235:
	v_lshlrev_b32_e32 v0, 3, v0
	scratch_load_b64 v[57:58], v0, off offset:-8
	scratch_load_b64 v[59:60], off, off
	s_wait_loadcnt 0x1
	scratch_store_b64 off, v[57:58], off
	s_wait_loadcnt 0x0
	scratch_store_b64 v0, v[59:60], off offset:-8
.LBB91_236:
	scratch_load_b64 v[57:58], off, off
	s_wait_loadcnt 0x0
	flat_store_b64 v[1:2], v[57:58]
	scratch_load_b64 v[0:1], off, off offset:8
	s_wait_loadcnt 0x0
	flat_store_b64 v[3:4], v[0:1]
	scratch_load_b64 v[0:1], off, off offset:16
	;; [unrolled: 3-line block ×27, first 2 shown]
	s_wait_loadcnt 0x0
	flat_store_b64 v[55:56], v[0:1]
	s_nop 0
	s_sendmsg sendmsg(MSG_DEALLOC_VGPRS)
	s_endpgm
	.section	.rodata,"a",@progbits
	.p2align	6, 0x0
	.amdhsa_kernel _ZN9rocsolver6v33100L18getri_kernel_smallILi28E19rocblas_complex_numIfEPKPS3_EEvT1_iilPiilS8_bb
		.amdhsa_group_segment_fixed_size 452
		.amdhsa_private_segment_fixed_size 240
		.amdhsa_kernarg_size 60
		.amdhsa_user_sgpr_count 2
		.amdhsa_user_sgpr_dispatch_ptr 0
		.amdhsa_user_sgpr_queue_ptr 0
		.amdhsa_user_sgpr_kernarg_segment_ptr 1
		.amdhsa_user_sgpr_dispatch_id 0
		.amdhsa_user_sgpr_private_segment_size 0
		.amdhsa_wavefront_size32 1
		.amdhsa_uses_dynamic_stack 0
		.amdhsa_enable_private_segment 1
		.amdhsa_system_sgpr_workgroup_id_x 1
		.amdhsa_system_sgpr_workgroup_id_y 0
		.amdhsa_system_sgpr_workgroup_id_z 0
		.amdhsa_system_sgpr_workgroup_info 0
		.amdhsa_system_vgpr_workitem_id 0
		.amdhsa_next_free_vgpr 194
		.amdhsa_next_free_sgpr 19
		.amdhsa_reserve_vcc 1
		.amdhsa_float_round_mode_32 0
		.amdhsa_float_round_mode_16_64 0
		.amdhsa_float_denorm_mode_32 3
		.amdhsa_float_denorm_mode_16_64 3
		.amdhsa_fp16_overflow 0
		.amdhsa_workgroup_processor_mode 1
		.amdhsa_memory_ordered 1
		.amdhsa_forward_progress 1
		.amdhsa_inst_pref_size 255
		.amdhsa_round_robin_scheduling 0
		.amdhsa_exception_fp_ieee_invalid_op 0
		.amdhsa_exception_fp_denorm_src 0
		.amdhsa_exception_fp_ieee_div_zero 0
		.amdhsa_exception_fp_ieee_overflow 0
		.amdhsa_exception_fp_ieee_underflow 0
		.amdhsa_exception_fp_ieee_inexact 0
		.amdhsa_exception_int_div_zero 0
	.end_amdhsa_kernel
	.section	.text._ZN9rocsolver6v33100L18getri_kernel_smallILi28E19rocblas_complex_numIfEPKPS3_EEvT1_iilPiilS8_bb,"axG",@progbits,_ZN9rocsolver6v33100L18getri_kernel_smallILi28E19rocblas_complex_numIfEPKPS3_EEvT1_iilPiilS8_bb,comdat
.Lfunc_end91:
	.size	_ZN9rocsolver6v33100L18getri_kernel_smallILi28E19rocblas_complex_numIfEPKPS3_EEvT1_iilPiilS8_bb, .Lfunc_end91-_ZN9rocsolver6v33100L18getri_kernel_smallILi28E19rocblas_complex_numIfEPKPS3_EEvT1_iilPiilS8_bb
                                        ; -- End function
	.set _ZN9rocsolver6v33100L18getri_kernel_smallILi28E19rocblas_complex_numIfEPKPS3_EEvT1_iilPiilS8_bb.num_vgpr, 194
	.set _ZN9rocsolver6v33100L18getri_kernel_smallILi28E19rocblas_complex_numIfEPKPS3_EEvT1_iilPiilS8_bb.num_agpr, 0
	.set _ZN9rocsolver6v33100L18getri_kernel_smallILi28E19rocblas_complex_numIfEPKPS3_EEvT1_iilPiilS8_bb.numbered_sgpr, 19
	.set _ZN9rocsolver6v33100L18getri_kernel_smallILi28E19rocblas_complex_numIfEPKPS3_EEvT1_iilPiilS8_bb.num_named_barrier, 0
	.set _ZN9rocsolver6v33100L18getri_kernel_smallILi28E19rocblas_complex_numIfEPKPS3_EEvT1_iilPiilS8_bb.private_seg_size, 240
	.set _ZN9rocsolver6v33100L18getri_kernel_smallILi28E19rocblas_complex_numIfEPKPS3_EEvT1_iilPiilS8_bb.uses_vcc, 1
	.set _ZN9rocsolver6v33100L18getri_kernel_smallILi28E19rocblas_complex_numIfEPKPS3_EEvT1_iilPiilS8_bb.uses_flat_scratch, 1
	.set _ZN9rocsolver6v33100L18getri_kernel_smallILi28E19rocblas_complex_numIfEPKPS3_EEvT1_iilPiilS8_bb.has_dyn_sized_stack, 0
	.set _ZN9rocsolver6v33100L18getri_kernel_smallILi28E19rocblas_complex_numIfEPKPS3_EEvT1_iilPiilS8_bb.has_recursion, 0
	.set _ZN9rocsolver6v33100L18getri_kernel_smallILi28E19rocblas_complex_numIfEPKPS3_EEvT1_iilPiilS8_bb.has_indirect_call, 0
	.section	.AMDGPU.csdata,"",@progbits
; Kernel info:
; codeLenInByte = 33792
; TotalNumSgprs: 21
; NumVgprs: 194
; ScratchSize: 240
; MemoryBound: 0
; FloatMode: 240
; IeeeMode: 1
; LDSByteSize: 452 bytes/workgroup (compile time only)
; SGPRBlocks: 0
; VGPRBlocks: 24
; NumSGPRsForWavesPerEU: 21
; NumVGPRsForWavesPerEU: 194
; Occupancy: 7
; WaveLimiterHint : 1
; COMPUTE_PGM_RSRC2:SCRATCH_EN: 1
; COMPUTE_PGM_RSRC2:USER_SGPR: 2
; COMPUTE_PGM_RSRC2:TRAP_HANDLER: 0
; COMPUTE_PGM_RSRC2:TGID_X_EN: 1
; COMPUTE_PGM_RSRC2:TGID_Y_EN: 0
; COMPUTE_PGM_RSRC2:TGID_Z_EN: 0
; COMPUTE_PGM_RSRC2:TIDIG_COMP_CNT: 0
	.section	.text._ZN9rocsolver6v33100L18getri_kernel_smallILi29E19rocblas_complex_numIfEPKPS3_EEvT1_iilPiilS8_bb,"axG",@progbits,_ZN9rocsolver6v33100L18getri_kernel_smallILi29E19rocblas_complex_numIfEPKPS3_EEvT1_iilPiilS8_bb,comdat
	.globl	_ZN9rocsolver6v33100L18getri_kernel_smallILi29E19rocblas_complex_numIfEPKPS3_EEvT1_iilPiilS8_bb ; -- Begin function _ZN9rocsolver6v33100L18getri_kernel_smallILi29E19rocblas_complex_numIfEPKPS3_EEvT1_iilPiilS8_bb
	.p2align	8
	.type	_ZN9rocsolver6v33100L18getri_kernel_smallILi29E19rocblas_complex_numIfEPKPS3_EEvT1_iilPiilS8_bb,@function
_ZN9rocsolver6v33100L18getri_kernel_smallILi29E19rocblas_complex_numIfEPKPS3_EEvT1_iilPiilS8_bb: ; @_ZN9rocsolver6v33100L18getri_kernel_smallILi29E19rocblas_complex_numIfEPKPS3_EEvT1_iilPiilS8_bb
; %bb.0:
	s_mov_b32 s2, exec_lo
	v_cmpx_gt_u32_e32 29, v0
	s_cbranch_execz .LBB92_130
; %bb.1:
	s_clause 0x1
	s_load_b32 s13, s[0:1], 0x38
	s_load_b64 s[2:3], s[0:1], 0x0
	s_mov_b32 s8, ttmp9
	s_load_b128 s[4:7], s[0:1], 0x28
	s_wait_kmcnt 0x0
	s_bitcmp1_b32 s13, 8
	s_cselect_b32 s12, -1, 0
	s_ashr_i32 s9, ttmp9, 31
	s_delay_alu instid0(SALU_CYCLE_1) | instskip(NEXT) | instid1(SALU_CYCLE_1)
	s_lshl_b64 s[10:11], s[8:9], 3
	s_add_nc_u64 s[2:3], s[2:3], s[10:11]
	s_load_b64 s[10:11], s[2:3], 0x0
	s_bfe_u32 s2, s13, 0x10008
	s_delay_alu instid0(SALU_CYCLE_1)
	s_cmp_eq_u32 s2, 0
                                        ; implicit-def: $sgpr2_sgpr3
	s_cbranch_scc1 .LBB92_3
; %bb.2:
	s_load_b96 s[16:18], s[0:1], 0x18
	s_mul_u64 s[2:3], s[4:5], s[8:9]
	s_delay_alu instid0(SALU_CYCLE_1)
	s_lshl_b64 s[2:3], s[2:3], 2
	s_wait_kmcnt 0x0
	s_ashr_i32 s5, s18, 31
	s_mov_b32 s4, s18
	s_add_nc_u64 s[2:3], s[16:17], s[2:3]
	s_lshl_b64 s[4:5], s[4:5], 2
	s_delay_alu instid0(SALU_CYCLE_1)
	s_add_nc_u64 s[2:3], s[2:3], s[4:5]
.LBB92_3:
	s_clause 0x1
	s_load_b64 s[4:5], s[0:1], 0x8
	s_load_b32 s13, s[0:1], 0x38
	v_lshlrev_b32_e32 v65, 3, v0
	s_wait_kmcnt 0x0
	s_ashr_i32 s1, s4, 31
	s_mov_b32 s0, s4
	v_add3_u32 v9, s5, s5, v0
	s_lshl_b64 s[0:1], s[0:1], 3
	s_delay_alu instid0(SALU_CYCLE_1)
	s_add_nc_u64 s[0:1], s[10:11], s[0:1]
	s_ashr_i32 s11, s5, 31
	v_add_co_u32 v1, s4, s0, v65
	s_wait_alu 0xf1ff
	v_add_co_ci_u32_e64 v2, null, s1, 0, s4
	s_mov_b32 s10, s5
	v_ashrrev_i32_e32 v10, 31, v9
	s_lshl_b64 s[10:11], s[10:11], 3
	flat_load_b64 v[5:6], v[1:2]
	v_add_co_u32 v3, vcc_lo, v1, s10
	s_delay_alu instid0(VALU_DEP_1) | instskip(SKIP_2) | instid1(VALU_DEP_1)
	v_add_co_ci_u32_e64 v4, null, s11, v2, vcc_lo
	v_add_nc_u32_e32 v12, s5, v9
	s_bitcmp0_b32 s13, 0
	v_ashrrev_i32_e32 v13, 31, v12
	s_wait_loadcnt_dscnt 0x0
	scratch_store_b64 off, v[5:6], off
	flat_load_b64 v[7:8], v[3:4]
	v_lshlrev_b64_e32 v[5:6], 3, v[9:10]
	s_delay_alu instid0(VALU_DEP_1) | instskip(SKIP_1) | instid1(VALU_DEP_2)
	v_add_co_u32 v5, vcc_lo, s0, v5
	s_wait_alu 0xfffd
	v_add_co_ci_u32_e64 v6, null, s1, v6, vcc_lo
	s_wait_loadcnt_dscnt 0x0
	scratch_store_b64 off, v[7:8], off offset:8
	flat_load_b64 v[10:11], v[5:6]
	v_lshlrev_b64_e32 v[7:8], 3, v[12:13]
	s_delay_alu instid0(VALU_DEP_1) | instskip(SKIP_1) | instid1(VALU_DEP_2)
	v_add_co_u32 v7, vcc_lo, s0, v7
	s_wait_alu 0xfffd
	v_add_co_ci_u32_e64 v8, null, s1, v8, vcc_lo
	s_wait_loadcnt_dscnt 0x0
	scratch_store_b64 off, v[10:11], off offset:16
	flat_load_b64 v[13:14], v[7:8]
	v_add_nc_u32_e32 v11, s5, v12
	s_delay_alu instid0(VALU_DEP_1) | instskip(SKIP_1) | instid1(VALU_DEP_2)
	v_ashrrev_i32_e32 v12, 31, v11
	v_add_nc_u32_e32 v15, s5, v11
	v_lshlrev_b64_e32 v[9:10], 3, v[11:12]
	s_delay_alu instid0(VALU_DEP_2) | instskip(SKIP_1) | instid1(VALU_DEP_3)
	v_ashrrev_i32_e32 v16, 31, v15
	v_add_nc_u32_e32 v18, s5, v15
	v_add_co_u32 v9, vcc_lo, s0, v9
	s_wait_alu 0xfffd
	s_delay_alu instid0(VALU_DEP_4) | instskip(SKIP_2) | instid1(VALU_DEP_2)
	v_add_co_ci_u32_e64 v10, null, s1, v10, vcc_lo
	v_lshlrev_b64_e32 v[11:12], 3, v[15:16]
	v_ashrrev_i32_e32 v19, 31, v18
	v_add_co_u32 v11, vcc_lo, s0, v11
	s_wait_alu 0xfffd
	s_delay_alu instid0(VALU_DEP_3)
	v_add_co_ci_u32_e64 v12, null, s1, v12, vcc_lo
	s_wait_loadcnt_dscnt 0x0
	scratch_store_b64 off, v[13:14], off offset:24
	flat_load_b64 v[13:14], v[9:10]
	s_wait_loadcnt_dscnt 0x0
	scratch_store_b64 off, v[13:14], off offset:32
	flat_load_b64 v[16:17], v[11:12]
	v_lshlrev_b64_e32 v[13:14], 3, v[18:19]
	s_delay_alu instid0(VALU_DEP_1) | instskip(SKIP_1) | instid1(VALU_DEP_2)
	v_add_co_u32 v13, vcc_lo, s0, v13
	s_wait_alu 0xfffd
	v_add_co_ci_u32_e64 v14, null, s1, v14, vcc_lo
	s_wait_loadcnt_dscnt 0x0
	scratch_store_b64 off, v[16:17], off offset:40
	flat_load_b64 v[19:20], v[13:14]
	v_add_nc_u32_e32 v17, s5, v18
	s_delay_alu instid0(VALU_DEP_1) | instskip(SKIP_1) | instid1(VALU_DEP_2)
	v_ashrrev_i32_e32 v18, 31, v17
	v_add_nc_u32_e32 v21, s5, v17
	v_lshlrev_b64_e32 v[15:16], 3, v[17:18]
	s_delay_alu instid0(VALU_DEP_2) | instskip(SKIP_1) | instid1(VALU_DEP_3)
	v_ashrrev_i32_e32 v22, 31, v21
	v_add_nc_u32_e32 v24, s5, v21
	v_add_co_u32 v15, vcc_lo, s0, v15
	s_wait_alu 0xfffd
	s_delay_alu instid0(VALU_DEP_4) | instskip(SKIP_2) | instid1(VALU_DEP_2)
	v_add_co_ci_u32_e64 v16, null, s1, v16, vcc_lo
	v_lshlrev_b64_e32 v[17:18], 3, v[21:22]
	v_ashrrev_i32_e32 v25, 31, v24
	v_add_co_u32 v17, vcc_lo, s0, v17
	s_wait_alu 0xfffd
	s_delay_alu instid0(VALU_DEP_3)
	v_add_co_ci_u32_e64 v18, null, s1, v18, vcc_lo
	s_wait_loadcnt_dscnt 0x0
	scratch_store_b64 off, v[19:20], off offset:48
	flat_load_b64 v[19:20], v[15:16]
	;; [unrolled: 32-line block ×7, first 2 shown]
	s_wait_loadcnt_dscnt 0x0
	scratch_store_b64 off, v[49:50], off offset:176
	flat_load_b64 v[52:53], v[47:48]
	v_lshlrev_b64_e32 v[49:50], 3, v[54:55]
	s_delay_alu instid0(VALU_DEP_1) | instskip(SKIP_1) | instid1(VALU_DEP_2)
	v_add_co_u32 v49, vcc_lo, s0, v49
	s_wait_alu 0xfffd
	v_add_co_ci_u32_e64 v50, null, s1, v50, vcc_lo
	s_wait_loadcnt_dscnt 0x0
	scratch_store_b64 off, v[52:53], off offset:184
	flat_load_b64 v[55:56], v[49:50]
	v_add_nc_u32_e32 v53, s5, v54
	s_delay_alu instid0(VALU_DEP_1) | instskip(SKIP_1) | instid1(VALU_DEP_2)
	v_ashrrev_i32_e32 v54, 31, v53
	v_add_nc_u32_e32 v57, s5, v53
	v_lshlrev_b64_e32 v[51:52], 3, v[53:54]
	s_delay_alu instid0(VALU_DEP_2) | instskip(SKIP_1) | instid1(VALU_DEP_3)
	v_ashrrev_i32_e32 v58, 31, v57
	v_add_nc_u32_e32 v60, s5, v57
	v_add_co_u32 v51, vcc_lo, s0, v51
	s_wait_alu 0xfffd
	s_delay_alu instid0(VALU_DEP_4) | instskip(SKIP_3) | instid1(VALU_DEP_3)
	v_add_co_ci_u32_e64 v52, null, s1, v52, vcc_lo
	v_lshlrev_b64_e32 v[53:54], 3, v[57:58]
	v_ashrrev_i32_e32 v61, 31, v60
	v_add_nc_u32_e32 v57, s5, v60
	v_add_co_u32 v53, vcc_lo, s0, v53
	s_wait_alu 0xfffd
	s_delay_alu instid0(VALU_DEP_4)
	v_add_co_ci_u32_e64 v54, null, s1, v54, vcc_lo
	s_wait_loadcnt_dscnt 0x0
	scratch_store_b64 off, v[55:56], off offset:192
	flat_load_b64 v[55:56], v[51:52]
	s_wait_loadcnt_dscnt 0x0
	scratch_store_b64 off, v[55:56], off offset:200
	flat_load_b64 v[58:59], v[53:54]
	v_lshlrev_b64_e32 v[55:56], 3, v[60:61]
	s_delay_alu instid0(VALU_DEP_1) | instskip(SKIP_1) | instid1(VALU_DEP_2)
	v_add_co_u32 v55, vcc_lo, s0, v55
	s_wait_alu 0xfffd
	v_add_co_ci_u32_e64 v56, null, s1, v56, vcc_lo
	s_wait_loadcnt_dscnt 0x0
	scratch_store_b64 off, v[58:59], off offset:208
	flat_load_b64 v[61:62], v[55:56]
	v_ashrrev_i32_e32 v58, 31, v57
	s_delay_alu instid0(VALU_DEP_1) | instskip(NEXT) | instid1(VALU_DEP_1)
	v_lshlrev_b64_e32 v[57:58], 3, v[57:58]
	v_add_co_u32 v57, vcc_lo, s0, v57
	s_wait_alu 0xfffd
	s_delay_alu instid0(VALU_DEP_2)
	v_add_co_ci_u32_e64 v58, null, s1, v58, vcc_lo
	s_mov_b32 s1, -1
	s_wait_loadcnt_dscnt 0x0
	scratch_store_b64 off, v[61:62], off offset:216
	flat_load_b64 v[59:60], v[57:58]
	s_wait_loadcnt_dscnt 0x0
	scratch_store_b64 off, v[59:60], off offset:224
	s_cbranch_scc1 .LBB92_128
; %bb.4:
	v_cmp_eq_u32_e64 s0, 0, v0
	s_and_saveexec_b32 s1, s0
; %bb.5:
	v_mov_b32_e32 v59, 0
	ds_store_b32 v59, v59 offset:232
; %bb.6:
	s_wait_alu 0xfffe
	s_or_b32 exec_lo, exec_lo, s1
	s_wait_storecnt_dscnt 0x0
	s_barrier_signal -1
	s_barrier_wait -1
	global_inv scope:SCOPE_SE
	scratch_load_b64 v[59:60], v65, off
	s_wait_loadcnt 0x0
	v_cmp_eq_f32_e32 vcc_lo, 0, v59
	v_cmp_eq_f32_e64 s1, 0, v60
	s_and_b32 s1, vcc_lo, s1
	s_wait_alu 0xfffe
	s_and_saveexec_b32 s4, s1
	s_cbranch_execz .LBB92_10
; %bb.7:
	v_mov_b32_e32 v59, 0
	s_mov_b32 s5, 0
	ds_load_b32 v60, v59 offset:232
	s_wait_dscnt 0x0
	v_readfirstlane_b32 s1, v60
	v_add_nc_u32_e32 v60, 1, v0
	s_cmp_eq_u32 s1, 0
	s_delay_alu instid0(VALU_DEP_1)
	v_cmp_gt_i32_e32 vcc_lo, s1, v60
	s_cselect_b32 s10, -1, 0
	s_wait_alu 0xfffe
	s_or_b32 s10, s10, vcc_lo
	s_wait_alu 0xfffe
	s_and_b32 exec_lo, exec_lo, s10
	s_cbranch_execz .LBB92_10
; %bb.8:
	v_mov_b32_e32 v61, s1
.LBB92_9:                               ; =>This Inner Loop Header: Depth=1
	ds_cmpstore_rtn_b32 v61, v59, v60, v61 offset:232
	s_wait_dscnt 0x0
	v_cmp_ne_u32_e32 vcc_lo, 0, v61
	v_cmp_le_i32_e64 s1, v61, v60
	s_and_b32 s1, vcc_lo, s1
	s_wait_alu 0xfffe
	s_and_b32 s1, exec_lo, s1
	s_wait_alu 0xfffe
	s_or_b32 s5, s1, s5
	s_wait_alu 0xfffe
	s_and_not1_b32 exec_lo, exec_lo, s5
	s_cbranch_execnz .LBB92_9
.LBB92_10:
	s_wait_alu 0xfffe
	s_or_b32 exec_lo, exec_lo, s4
	v_mov_b32_e32 v59, 0
	s_barrier_signal -1
	s_barrier_wait -1
	global_inv scope:SCOPE_SE
	ds_load_b32 v60, v59 offset:232
	s_and_saveexec_b32 s1, s0
	s_cbranch_execz .LBB92_12
; %bb.11:
	s_lshl_b64 s[4:5], s[8:9], 2
	s_wait_alu 0xfffe
	s_add_nc_u64 s[4:5], s[6:7], s[4:5]
	s_wait_dscnt 0x0
	global_store_b32 v59, v60, s[4:5]
.LBB92_12:
	s_wait_alu 0xfffe
	s_or_b32 exec_lo, exec_lo, s1
	s_wait_dscnt 0x0
	v_cmp_ne_u32_e32 vcc_lo, 0, v60
	s_mov_b32 s1, 0
	s_cbranch_vccnz .LBB92_128
; %bb.13:
	v_mov_b32_e32 v66, v65
                                        ; implicit-def: $vgpr61
                                        ; implicit-def: $vgpr63
	scratch_load_b64 v[59:60], v66, off
	s_wait_loadcnt 0x0
	v_cmp_ngt_f32_e64 s1, |v59|, |v60|
	s_wait_alu 0xfffe
	s_and_saveexec_b32 s4, s1
	s_wait_alu 0xfffe
	s_xor_b32 s1, exec_lo, s4
	s_cbranch_execz .LBB92_15
; %bb.14:
	v_div_scale_f32 v61, null, v60, v60, v59
	v_div_scale_f32 v64, vcc_lo, v59, v60, v59
	s_delay_alu instid0(VALU_DEP_2) | instskip(NEXT) | instid1(TRANS32_DEP_1)
	v_rcp_f32_e32 v62, v61
	v_fma_f32 v63, -v61, v62, 1.0
	s_delay_alu instid0(VALU_DEP_1) | instskip(NEXT) | instid1(VALU_DEP_1)
	v_fmac_f32_e32 v62, v63, v62
	v_mul_f32_e32 v63, v64, v62
	s_delay_alu instid0(VALU_DEP_1) | instskip(NEXT) | instid1(VALU_DEP_1)
	v_fma_f32 v67, -v61, v63, v64
	v_fmac_f32_e32 v63, v67, v62
	s_delay_alu instid0(VALU_DEP_1) | instskip(SKIP_1) | instid1(VALU_DEP_1)
	v_fma_f32 v61, -v61, v63, v64
	s_wait_alu 0xfffd
	v_div_fmas_f32 v61, v61, v62, v63
	s_delay_alu instid0(VALU_DEP_1) | instskip(NEXT) | instid1(VALU_DEP_1)
	v_div_fixup_f32 v61, v61, v60, v59
	v_fmac_f32_e32 v60, v59, v61
	s_delay_alu instid0(VALU_DEP_1) | instskip(NEXT) | instid1(VALU_DEP_1)
	v_div_scale_f32 v59, null, v60, v60, 1.0
	v_rcp_f32_e32 v62, v59
	s_delay_alu instid0(TRANS32_DEP_1) | instskip(NEXT) | instid1(VALU_DEP_1)
	v_fma_f32 v63, -v59, v62, 1.0
	v_fmac_f32_e32 v62, v63, v62
	v_div_scale_f32 v63, vcc_lo, 1.0, v60, 1.0
	s_delay_alu instid0(VALU_DEP_1) | instskip(NEXT) | instid1(VALU_DEP_1)
	v_mul_f32_e32 v64, v63, v62
	v_fma_f32 v67, -v59, v64, v63
	s_delay_alu instid0(VALU_DEP_1) | instskip(NEXT) | instid1(VALU_DEP_1)
	v_fmac_f32_e32 v64, v67, v62
	v_fma_f32 v59, -v59, v64, v63
	s_wait_alu 0xfffd
	s_delay_alu instid0(VALU_DEP_1) | instskip(NEXT) | instid1(VALU_DEP_1)
	v_div_fmas_f32 v59, v59, v62, v64
	v_div_fixup_f32 v59, v59, v60, 1.0
	s_delay_alu instid0(VALU_DEP_1) | instskip(SKIP_1) | instid1(VALU_DEP_2)
	v_mul_f32_e32 v61, v61, v59
	v_xor_b32_e32 v62, 0x80000000, v59
                                        ; implicit-def: $vgpr59_vgpr60
	v_xor_b32_e32 v63, 0x80000000, v61
.LBB92_15:
	s_wait_alu 0xfffe
	s_and_not1_saveexec_b32 s1, s1
	s_cbranch_execz .LBB92_17
; %bb.16:
	v_div_scale_f32 v61, null, v59, v59, v60
	v_div_scale_f32 v64, vcc_lo, v60, v59, v60
	s_delay_alu instid0(VALU_DEP_2) | instskip(NEXT) | instid1(TRANS32_DEP_1)
	v_rcp_f32_e32 v62, v61
	v_fma_f32 v63, -v61, v62, 1.0
	s_delay_alu instid0(VALU_DEP_1) | instskip(NEXT) | instid1(VALU_DEP_1)
	v_fmac_f32_e32 v62, v63, v62
	v_mul_f32_e32 v63, v64, v62
	s_delay_alu instid0(VALU_DEP_1) | instskip(NEXT) | instid1(VALU_DEP_1)
	v_fma_f32 v67, -v61, v63, v64
	v_fmac_f32_e32 v63, v67, v62
	s_delay_alu instid0(VALU_DEP_1) | instskip(SKIP_1) | instid1(VALU_DEP_1)
	v_fma_f32 v61, -v61, v63, v64
	s_wait_alu 0xfffd
	v_div_fmas_f32 v61, v61, v62, v63
	s_delay_alu instid0(VALU_DEP_1) | instskip(NEXT) | instid1(VALU_DEP_1)
	v_div_fixup_f32 v62, v61, v59, v60
	v_fmac_f32_e32 v59, v60, v62
	s_delay_alu instid0(VALU_DEP_1) | instskip(SKIP_1) | instid1(VALU_DEP_2)
	v_div_scale_f32 v60, null, v59, v59, 1.0
	v_div_scale_f32 v64, vcc_lo, 1.0, v59, 1.0
	v_rcp_f32_e32 v61, v60
	s_delay_alu instid0(TRANS32_DEP_1) | instskip(NEXT) | instid1(VALU_DEP_1)
	v_fma_f32 v63, -v60, v61, 1.0
	v_fmac_f32_e32 v61, v63, v61
	s_delay_alu instid0(VALU_DEP_1) | instskip(NEXT) | instid1(VALU_DEP_1)
	v_mul_f32_e32 v63, v64, v61
	v_fma_f32 v67, -v60, v63, v64
	s_delay_alu instid0(VALU_DEP_1) | instskip(NEXT) | instid1(VALU_DEP_1)
	v_fmac_f32_e32 v63, v67, v61
	v_fma_f32 v60, -v60, v63, v64
	s_wait_alu 0xfffd
	s_delay_alu instid0(VALU_DEP_1) | instskip(NEXT) | instid1(VALU_DEP_1)
	v_div_fmas_f32 v60, v60, v61, v63
	v_div_fixup_f32 v61, v60, v59, 1.0
	s_delay_alu instid0(VALU_DEP_1)
	v_xor_b32_e32 v63, 0x80000000, v61
	v_mul_f32_e64 v62, v62, -v61
.LBB92_17:
	s_wait_alu 0xfffe
	s_or_b32 exec_lo, exec_lo, s1
	scratch_store_b64 v66, v[61:62], off
	scratch_load_b64 v[60:61], off, off offset:8
	v_xor_b32_e32 v64, 0x80000000, v62
	v_add_nc_u32_e32 v59, 0xf0, v65
	s_wait_loadcnt 0x0
	ds_store_2addr_b64 v65, v[63:64], v[60:61] offset1:30
	s_wait_storecnt_dscnt 0x0
	s_barrier_signal -1
	s_barrier_wait -1
	global_inv scope:SCOPE_SE
	s_and_saveexec_b32 s1, s0
	s_cbranch_execz .LBB92_19
; %bb.18:
	scratch_load_b64 v[60:61], v66, off
	ds_load_b64 v[62:63], v59
	v_mov_b32_e32 v64, 0
	ds_load_b64 v[67:68], v64 offset:8
	s_wait_loadcnt_dscnt 0x1
	v_mul_f32_e32 v64, v62, v61
	v_mul_f32_e32 v61, v63, v61
	s_delay_alu instid0(VALU_DEP_2) | instskip(NEXT) | instid1(VALU_DEP_2)
	v_fmac_f32_e32 v64, v63, v60
	v_fma_f32 v60, v62, v60, -v61
	s_delay_alu instid0(VALU_DEP_2) | instskip(NEXT) | instid1(VALU_DEP_2)
	v_add_f32_e32 v62, 0, v64
	v_add_f32_e32 v60, 0, v60
	s_wait_dscnt 0x0
	s_delay_alu instid0(VALU_DEP_2) | instskip(NEXT) | instid1(VALU_DEP_2)
	v_mul_f32_e32 v63, v62, v68
	v_mul_f32_e32 v61, v60, v68
	s_delay_alu instid0(VALU_DEP_2) | instskip(NEXT) | instid1(VALU_DEP_2)
	v_fma_f32 v60, v60, v67, -v63
	v_fmac_f32_e32 v61, v62, v67
	scratch_store_b64 off, v[60:61], off offset:8
.LBB92_19:
	s_wait_alu 0xfffe
	s_or_b32 exec_lo, exec_lo, s1
	s_wait_loadcnt 0x0
	s_wait_storecnt 0x0
	s_barrier_signal -1
	s_barrier_wait -1
	global_inv scope:SCOPE_SE
	scratch_load_b64 v[60:61], off, off offset:16
	s_mov_b32 s1, exec_lo
	s_wait_loadcnt 0x0
	ds_store_b64 v59, v[60:61]
	s_wait_dscnt 0x0
	s_barrier_signal -1
	s_barrier_wait -1
	global_inv scope:SCOPE_SE
	v_cmpx_gt_u32_e32 2, v0
	s_cbranch_execz .LBB92_23
; %bb.20:
	scratch_load_b64 v[60:61], v66, off
	ds_load_b64 v[62:63], v59
	s_wait_loadcnt_dscnt 0x0
	v_mul_f32_e32 v64, v63, v61
	v_mul_f32_e32 v67, v62, v61
	s_delay_alu instid0(VALU_DEP_2) | instskip(NEXT) | instid1(VALU_DEP_2)
	v_fma_f32 v61, v62, v60, -v64
	v_fmac_f32_e32 v67, v63, v60
	s_delay_alu instid0(VALU_DEP_1)
	v_dual_add_f32 v61, 0, v61 :: v_dual_add_f32 v60, 0, v67
	s_and_saveexec_b32 s4, s0
	s_cbranch_execz .LBB92_22
; %bb.21:
	scratch_load_b64 v[62:63], off, off offset:8
	v_mov_b32_e32 v64, 0
	ds_load_b64 v[67:68], v64 offset:248
	s_wait_loadcnt_dscnt 0x0
	v_mul_f32_e32 v64, v67, v63
	v_mul_f32_e32 v63, v68, v63
	s_delay_alu instid0(VALU_DEP_2) | instskip(NEXT) | instid1(VALU_DEP_2)
	v_fmac_f32_e32 v64, v68, v62
	v_fma_f32 v62, v67, v62, -v63
	s_delay_alu instid0(VALU_DEP_1)
	v_dual_add_f32 v60, v60, v64 :: v_dual_add_f32 v61, v61, v62
.LBB92_22:
	s_wait_alu 0xfffe
	s_or_b32 exec_lo, exec_lo, s4
	v_mov_b32_e32 v62, 0
	ds_load_b64 v[62:63], v62 offset:16
	s_wait_dscnt 0x0
	v_mul_f32_e32 v67, v60, v63
	v_mul_f32_e32 v64, v61, v63
	s_delay_alu instid0(VALU_DEP_2) | instskip(NEXT) | instid1(VALU_DEP_2)
	v_fma_f32 v63, v61, v62, -v67
	v_fmac_f32_e32 v64, v60, v62
	scratch_store_b64 off, v[63:64], off offset:16
.LBB92_23:
	s_wait_alu 0xfffe
	s_or_b32 exec_lo, exec_lo, s1
	s_wait_loadcnt 0x0
	s_wait_storecnt 0x0
	s_barrier_signal -1
	s_barrier_wait -1
	global_inv scope:SCOPE_SE
	scratch_load_b64 v[61:62], off, off offset:24
	v_add_nc_u32_e32 v60, -1, v0
	s_mov_b32 s0, exec_lo
	s_wait_loadcnt 0x0
	ds_store_b64 v59, v[61:62]
	s_wait_dscnt 0x0
	s_barrier_signal -1
	s_barrier_wait -1
	global_inv scope:SCOPE_SE
	v_cmpx_gt_u32_e32 3, v0
	s_cbranch_execz .LBB92_27
; %bb.24:
	v_dual_mov_b32 v61, 0 :: v_dual_add_nc_u32 v62, -1, v0
	v_dual_mov_b32 v64, v65 :: v_dual_add_nc_u32 v63, 0xf0, v65
	v_mov_b32_e32 v67, 0
	s_mov_b32 s1, 0
.LBB92_25:                              ; =>This Inner Loop Header: Depth=1
	scratch_load_b64 v[68:69], v64, off
	ds_load_b64 v[70:71], v63
	v_add_nc_u32_e32 v62, 1, v62
	v_add_nc_u32_e32 v63, 8, v63
	s_delay_alu instid0(VALU_DEP_2)
	v_cmp_lt_u32_e32 vcc_lo, 1, v62
	s_wait_alu 0xfffe
	s_or_b32 s1, vcc_lo, s1
	s_wait_loadcnt_dscnt 0x0
	v_mul_f32_e32 v72, v71, v69
	v_mul_f32_e32 v69, v70, v69
	s_delay_alu instid0(VALU_DEP_2) | instskip(NEXT) | instid1(VALU_DEP_2)
	v_fma_f32 v70, v70, v68, -v72
	v_fmac_f32_e32 v69, v71, v68
	s_delay_alu instid0(VALU_DEP_2) | instskip(NEXT) | instid1(VALU_DEP_2)
	v_dual_add_f32 v67, v67, v70 :: v_dual_add_nc_u32 v64, 8, v64
	v_add_f32_e32 v61, v61, v69
	s_wait_alu 0xfffe
	s_and_not1_b32 exec_lo, exec_lo, s1
	s_cbranch_execnz .LBB92_25
; %bb.26:
	s_or_b32 exec_lo, exec_lo, s1
	v_mov_b32_e32 v62, 0
	ds_load_b64 v[62:63], v62 offset:24
	s_wait_dscnt 0x0
	v_mul_f32_e32 v68, v61, v63
	v_mul_f32_e32 v64, v67, v63
	s_delay_alu instid0(VALU_DEP_2) | instskip(NEXT) | instid1(VALU_DEP_2)
	v_fma_f32 v63, v67, v62, -v68
	v_fmac_f32_e32 v64, v61, v62
	scratch_store_b64 off, v[63:64], off offset:24
.LBB92_27:
	s_wait_alu 0xfffe
	s_or_b32 exec_lo, exec_lo, s0
	s_wait_loadcnt 0x0
	s_wait_storecnt 0x0
	s_barrier_signal -1
	s_barrier_wait -1
	global_inv scope:SCOPE_SE
	scratch_load_b64 v[61:62], off, off offset:32
	s_mov_b32 s0, exec_lo
	s_wait_loadcnt 0x0
	ds_store_b64 v59, v[61:62]
	s_wait_dscnt 0x0
	s_barrier_signal -1
	s_barrier_wait -1
	global_inv scope:SCOPE_SE
	v_cmpx_gt_u32_e32 4, v0
	s_cbranch_execz .LBB92_31
; %bb.28:
	v_dual_mov_b32 v61, 0 :: v_dual_add_nc_u32 v62, -1, v0
	v_dual_mov_b32 v64, v65 :: v_dual_add_nc_u32 v63, 0xf0, v65
	v_mov_b32_e32 v67, 0
	s_mov_b32 s1, 0
.LBB92_29:                              ; =>This Inner Loop Header: Depth=1
	scratch_load_b64 v[68:69], v64, off
	ds_load_b64 v[70:71], v63
	v_add_nc_u32_e32 v62, 1, v62
	v_add_nc_u32_e32 v63, 8, v63
	s_delay_alu instid0(VALU_DEP_2)
	v_cmp_lt_u32_e32 vcc_lo, 2, v62
	s_wait_alu 0xfffe
	s_or_b32 s1, vcc_lo, s1
	s_wait_loadcnt_dscnt 0x0
	v_mul_f32_e32 v72, v71, v69
	v_mul_f32_e32 v69, v70, v69
	s_delay_alu instid0(VALU_DEP_2) | instskip(NEXT) | instid1(VALU_DEP_2)
	v_fma_f32 v70, v70, v68, -v72
	v_fmac_f32_e32 v69, v71, v68
	s_delay_alu instid0(VALU_DEP_2) | instskip(NEXT) | instid1(VALU_DEP_2)
	v_dual_add_f32 v67, v67, v70 :: v_dual_add_nc_u32 v64, 8, v64
	v_add_f32_e32 v61, v61, v69
	s_wait_alu 0xfffe
	s_and_not1_b32 exec_lo, exec_lo, s1
	s_cbranch_execnz .LBB92_29
; %bb.30:
	s_or_b32 exec_lo, exec_lo, s1
	v_mov_b32_e32 v62, 0
	ds_load_b64 v[62:63], v62 offset:32
	s_wait_dscnt 0x0
	v_mul_f32_e32 v68, v61, v63
	v_mul_f32_e32 v64, v67, v63
	s_delay_alu instid0(VALU_DEP_2) | instskip(NEXT) | instid1(VALU_DEP_2)
	v_fma_f32 v63, v67, v62, -v68
	v_fmac_f32_e32 v64, v61, v62
	scratch_store_b64 off, v[63:64], off offset:32
.LBB92_31:
	s_wait_alu 0xfffe
	s_or_b32 exec_lo, exec_lo, s0
	s_wait_loadcnt 0x0
	s_wait_storecnt 0x0
	s_barrier_signal -1
	s_barrier_wait -1
	global_inv scope:SCOPE_SE
	scratch_load_b64 v[61:62], off, off offset:40
	;; [unrolled: 55-line block ×19, first 2 shown]
	s_mov_b32 s0, exec_lo
	s_wait_loadcnt 0x0
	ds_store_b64 v59, v[61:62]
	s_wait_dscnt 0x0
	s_barrier_signal -1
	s_barrier_wait -1
	global_inv scope:SCOPE_SE
	v_cmpx_gt_u32_e32 22, v0
	s_cbranch_execz .LBB92_103
; %bb.100:
	v_dual_mov_b32 v61, 0 :: v_dual_add_nc_u32 v62, -1, v0
	v_dual_mov_b32 v64, v65 :: v_dual_add_nc_u32 v63, 0xf0, v65
	v_mov_b32_e32 v67, 0
	s_mov_b32 s1, 0
.LBB92_101:                             ; =>This Inner Loop Header: Depth=1
	scratch_load_b64 v[68:69], v64, off
	ds_load_b64 v[70:71], v63
	v_add_nc_u32_e32 v62, 1, v62
	v_add_nc_u32_e32 v63, 8, v63
	s_delay_alu instid0(VALU_DEP_2)
	v_cmp_lt_u32_e32 vcc_lo, 20, v62
	s_wait_alu 0xfffe
	s_or_b32 s1, vcc_lo, s1
	s_wait_loadcnt_dscnt 0x0
	v_mul_f32_e32 v72, v71, v69
	v_mul_f32_e32 v69, v70, v69
	s_delay_alu instid0(VALU_DEP_2) | instskip(NEXT) | instid1(VALU_DEP_2)
	v_fma_f32 v70, v70, v68, -v72
	v_fmac_f32_e32 v69, v71, v68
	s_delay_alu instid0(VALU_DEP_2) | instskip(NEXT) | instid1(VALU_DEP_2)
	v_dual_add_f32 v67, v67, v70 :: v_dual_add_nc_u32 v64, 8, v64
	v_add_f32_e32 v61, v61, v69
	s_wait_alu 0xfffe
	s_and_not1_b32 exec_lo, exec_lo, s1
	s_cbranch_execnz .LBB92_101
; %bb.102:
	s_or_b32 exec_lo, exec_lo, s1
	v_mov_b32_e32 v62, 0
	ds_load_b64 v[62:63], v62 offset:176
	s_wait_dscnt 0x0
	v_mul_f32_e32 v68, v61, v63
	v_mul_f32_e32 v64, v67, v63
	s_delay_alu instid0(VALU_DEP_2) | instskip(NEXT) | instid1(VALU_DEP_2)
	v_fma_f32 v63, v67, v62, -v68
	v_fmac_f32_e32 v64, v61, v62
	scratch_store_b64 off, v[63:64], off offset:176
.LBB92_103:
	s_wait_alu 0xfffe
	s_or_b32 exec_lo, exec_lo, s0
	s_wait_loadcnt 0x0
	s_wait_storecnt 0x0
	s_barrier_signal -1
	s_barrier_wait -1
	global_inv scope:SCOPE_SE
	scratch_load_b64 v[61:62], off, off offset:184
	s_mov_b32 s0, exec_lo
	s_wait_loadcnt 0x0
	ds_store_b64 v59, v[61:62]
	s_wait_dscnt 0x0
	s_barrier_signal -1
	s_barrier_wait -1
	global_inv scope:SCOPE_SE
	v_cmpx_gt_u32_e32 23, v0
	s_cbranch_execz .LBB92_107
; %bb.104:
	v_dual_mov_b32 v61, 0 :: v_dual_add_nc_u32 v62, -1, v0
	v_dual_mov_b32 v64, v65 :: v_dual_add_nc_u32 v63, 0xf0, v65
	v_mov_b32_e32 v67, 0
	s_mov_b32 s1, 0
.LBB92_105:                             ; =>This Inner Loop Header: Depth=1
	scratch_load_b64 v[68:69], v64, off
	ds_load_b64 v[70:71], v63
	v_add_nc_u32_e32 v62, 1, v62
	v_add_nc_u32_e32 v63, 8, v63
	s_delay_alu instid0(VALU_DEP_2)
	v_cmp_lt_u32_e32 vcc_lo, 21, v62
	s_wait_alu 0xfffe
	s_or_b32 s1, vcc_lo, s1
	s_wait_loadcnt_dscnt 0x0
	v_mul_f32_e32 v72, v71, v69
	v_mul_f32_e32 v69, v70, v69
	s_delay_alu instid0(VALU_DEP_2) | instskip(NEXT) | instid1(VALU_DEP_2)
	v_fma_f32 v70, v70, v68, -v72
	v_fmac_f32_e32 v69, v71, v68
	s_delay_alu instid0(VALU_DEP_2) | instskip(NEXT) | instid1(VALU_DEP_2)
	v_dual_add_f32 v67, v67, v70 :: v_dual_add_nc_u32 v64, 8, v64
	v_add_f32_e32 v61, v61, v69
	s_wait_alu 0xfffe
	s_and_not1_b32 exec_lo, exec_lo, s1
	s_cbranch_execnz .LBB92_105
; %bb.106:
	s_or_b32 exec_lo, exec_lo, s1
	v_mov_b32_e32 v62, 0
	ds_load_b64 v[62:63], v62 offset:184
	s_wait_dscnt 0x0
	v_mul_f32_e32 v68, v61, v63
	v_mul_f32_e32 v64, v67, v63
	s_delay_alu instid0(VALU_DEP_2) | instskip(NEXT) | instid1(VALU_DEP_2)
	v_fma_f32 v63, v67, v62, -v68
	v_fmac_f32_e32 v64, v61, v62
	scratch_store_b64 off, v[63:64], off offset:184
.LBB92_107:
	s_wait_alu 0xfffe
	s_or_b32 exec_lo, exec_lo, s0
	s_wait_loadcnt 0x0
	s_wait_storecnt 0x0
	s_barrier_signal -1
	s_barrier_wait -1
	global_inv scope:SCOPE_SE
	scratch_load_b64 v[61:62], off, off offset:192
	;; [unrolled: 55-line block ×5, first 2 shown]
	s_mov_b32 s0, exec_lo
	s_wait_loadcnt 0x0
	ds_store_b64 v59, v[61:62]
	s_wait_dscnt 0x0
	s_barrier_signal -1
	s_barrier_wait -1
	global_inv scope:SCOPE_SE
	v_cmpx_gt_u32_e32 27, v0
	s_cbranch_execz .LBB92_123
; %bb.120:
	v_dual_mov_b32 v61, 0 :: v_dual_add_nc_u32 v62, -1, v0
	v_dual_mov_b32 v64, v65 :: v_dual_add_nc_u32 v63, 0xf0, v65
	v_mov_b32_e32 v65, 0
	s_mov_b32 s1, 0
.LBB92_121:                             ; =>This Inner Loop Header: Depth=1
	scratch_load_b64 v[67:68], v64, off
	ds_load_b64 v[69:70], v63
	v_add_nc_u32_e32 v64, 8, v64
	v_add_nc_u32_e32 v62, 1, v62
	;; [unrolled: 1-line block ×3, first 2 shown]
	s_delay_alu instid0(VALU_DEP_2)
	v_cmp_lt_u32_e32 vcc_lo, 25, v62
	s_wait_alu 0xfffe
	s_or_b32 s1, vcc_lo, s1
	s_wait_loadcnt_dscnt 0x0
	v_mul_f32_e32 v71, v70, v68
	v_mul_f32_e32 v68, v69, v68
	s_delay_alu instid0(VALU_DEP_2) | instskip(NEXT) | instid1(VALU_DEP_1)
	v_fma_f32 v69, v69, v67, -v71
	v_dual_fmac_f32 v68, v70, v67 :: v_dual_add_f32 v65, v65, v69
	s_delay_alu instid0(VALU_DEP_1)
	v_add_f32_e32 v61, v61, v68
	s_wait_alu 0xfffe
	s_and_not1_b32 exec_lo, exec_lo, s1
	s_cbranch_execnz .LBB92_121
; %bb.122:
	s_or_b32 exec_lo, exec_lo, s1
	v_mov_b32_e32 v62, 0
	ds_load_b64 v[62:63], v62 offset:216
	s_wait_dscnt 0x0
	v_mul_f32_e32 v67, v61, v63
	v_mul_f32_e32 v64, v65, v63
	s_delay_alu instid0(VALU_DEP_2) | instskip(NEXT) | instid1(VALU_DEP_2)
	v_fma_f32 v63, v65, v62, -v67
	v_fmac_f32_e32 v64, v61, v62
	scratch_store_b64 off, v[63:64], off offset:216
.LBB92_123:
	s_wait_alu 0xfffe
	s_or_b32 exec_lo, exec_lo, s0
	s_wait_loadcnt 0x0
	s_wait_storecnt 0x0
	s_barrier_signal -1
	s_barrier_wait -1
	global_inv scope:SCOPE_SE
	scratch_load_b64 v[61:62], off, off offset:224
	s_mov_b32 s0, exec_lo
	s_wait_loadcnt 0x0
	ds_store_b64 v59, v[61:62]
	s_wait_dscnt 0x0
	s_barrier_signal -1
	s_barrier_wait -1
	global_inv scope:SCOPE_SE
	v_cmpx_ne_u32_e32 28, v0
	s_cbranch_execz .LBB92_127
; %bb.124:
	v_dual_mov_b32 v61, 0 :: v_dual_mov_b32 v62, 0
	s_mov_b32 s1, 0
.LBB92_125:                             ; =>This Inner Loop Header: Depth=1
	scratch_load_b64 v[63:64], v66, off
	ds_load_b64 v[67:68], v59
	v_add_nc_u32_e32 v60, 1, v60
	v_add_nc_u32_e32 v59, 8, v59
	;; [unrolled: 1-line block ×3, first 2 shown]
	s_delay_alu instid0(VALU_DEP_3)
	v_cmp_lt_u32_e32 vcc_lo, 26, v60
	s_wait_alu 0xfffe
	s_or_b32 s1, vcc_lo, s1
	s_wait_loadcnt_dscnt 0x0
	v_mul_f32_e32 v65, v68, v64
	v_mul_f32_e32 v64, v67, v64
	s_delay_alu instid0(VALU_DEP_2) | instskip(NEXT) | instid1(VALU_DEP_2)
	v_fma_f32 v65, v67, v63, -v65
	v_fmac_f32_e32 v64, v68, v63
	s_delay_alu instid0(VALU_DEP_1)
	v_dual_add_f32 v62, v62, v65 :: v_dual_add_f32 v61, v61, v64
	s_wait_alu 0xfffe
	s_and_not1_b32 exec_lo, exec_lo, s1
	s_cbranch_execnz .LBB92_125
; %bb.126:
	s_or_b32 exec_lo, exec_lo, s1
	v_mov_b32_e32 v59, 0
	ds_load_b64 v[59:60], v59 offset:224
	s_wait_dscnt 0x0
	v_mul_f32_e32 v64, v61, v60
	v_mul_f32_e32 v63, v62, v60
	s_delay_alu instid0(VALU_DEP_2) | instskip(NEXT) | instid1(VALU_DEP_2)
	v_fma_f32 v62, v62, v59, -v64
	v_fmac_f32_e32 v63, v61, v59
	scratch_store_b64 off, v[62:63], off offset:224
.LBB92_127:
	s_wait_alu 0xfffe
	s_or_b32 exec_lo, exec_lo, s0
	s_mov_b32 s1, -1
	s_wait_loadcnt 0x0
	s_wait_storecnt 0x0
	s_barrier_signal -1
	s_barrier_wait -1
	global_inv scope:SCOPE_SE
.LBB92_128:
	s_wait_alu 0xfffe
	s_and_b32 vcc_lo, exec_lo, s1
	s_wait_alu 0xfffe
	s_cbranch_vccz .LBB92_130
; %bb.129:
	v_mov_b32_e32 v59, 0
	s_lshl_b64 s[0:1], s[8:9], 2
	s_wait_alu 0xfffe
	s_add_nc_u64 s[0:1], s[6:7], s[0:1]
	global_load_b32 v59, v59, s[0:1]
	s_wait_loadcnt 0x0
	v_cmp_ne_u32_e32 vcc_lo, 0, v59
	s_cbranch_vccz .LBB92_131
.LBB92_130:
	s_nop 0
	s_sendmsg sendmsg(MSG_DEALLOC_VGPRS)
	s_endpgm
.LBB92_131:
	v_lshl_add_u32 v61, v0, 3, 0xf0
	s_mov_b32 s0, exec_lo
	v_cmpx_eq_u32_e32 28, v0
	s_cbranch_execz .LBB92_133
; %bb.132:
	scratch_load_b64 v[59:60], off, off offset:216
	v_mov_b32_e32 v62, 0
	s_delay_alu instid0(VALU_DEP_1)
	v_mov_b32_e32 v63, v62
	scratch_store_b64 off, v[62:63], off offset:216
	s_wait_loadcnt 0x0
	ds_store_b64 v61, v[59:60]
.LBB92_133:
	s_wait_alu 0xfffe
	s_or_b32 exec_lo, exec_lo, s0
	s_wait_storecnt_dscnt 0x0
	s_barrier_signal -1
	s_barrier_wait -1
	global_inv scope:SCOPE_SE
	s_clause 0x1
	scratch_load_b64 v[62:63], off, off offset:224
	scratch_load_b64 v[64:65], off, off offset:216
	v_mov_b32_e32 v59, 0
	s_mov_b32 s0, exec_lo
	ds_load_b64 v[66:67], v59 offset:464
	s_wait_loadcnt_dscnt 0x100
	v_mul_f32_e32 v60, v67, v63
	s_delay_alu instid0(VALU_DEP_1) | instskip(NEXT) | instid1(VALU_DEP_1)
	v_fma_f32 v60, v66, v62, -v60
	v_dual_mul_f32 v63, v66, v63 :: v_dual_add_f32 v60, 0, v60
	s_wait_loadcnt 0x0
	s_delay_alu instid0(VALU_DEP_1) | instskip(NEXT) | instid1(VALU_DEP_1)
	v_dual_fmac_f32 v63, v67, v62 :: v_dual_sub_f32 v62, v64, v60
	v_add_f32_e32 v63, 0, v63
	s_delay_alu instid0(VALU_DEP_1)
	v_sub_f32_e32 v63, v65, v63
	scratch_store_b64 off, v[62:63], off offset:216
	v_cmpx_lt_u32_e32 26, v0
	s_cbranch_execz .LBB92_135
; %bb.134:
	scratch_load_b64 v[62:63], off, off offset:208
	v_mov_b32_e32 v60, v59
	scratch_store_b64 off, v[59:60], off offset:208
	s_wait_loadcnt 0x0
	ds_store_b64 v61, v[62:63]
.LBB92_135:
	s_wait_alu 0xfffe
	s_or_b32 exec_lo, exec_lo, s0
	s_wait_storecnt_dscnt 0x0
	s_barrier_signal -1
	s_barrier_wait -1
	global_inv scope:SCOPE_SE
	s_clause 0x1
	scratch_load_b128 v[62:65], off, off offset:216
	scratch_load_b64 v[70:71], off, off offset:208
	ds_load_2addr_b64 v[66:69], v59 offset0:57 offset1:58
	s_mov_b32 s0, exec_lo
	s_wait_loadcnt_dscnt 0x100
	v_mul_f32_e32 v60, v66, v63
	s_delay_alu instid0(VALU_DEP_1) | instskip(SKIP_2) | instid1(VALU_DEP_1)
	v_fmac_f32_e32 v60, v67, v62
	v_mul_f32_e32 v59, v67, v63
	v_mul_f32_e32 v63, v68, v65
	v_fmac_f32_e32 v63, v69, v64
	s_delay_alu instid0(VALU_DEP_4) | instskip(NEXT) | instid1(VALU_DEP_4)
	v_dual_add_f32 v60, 0, v60 :: v_dual_mul_f32 v65, v69, v65
	v_fma_f32 v59, v66, v62, -v59
	s_delay_alu instid0(VALU_DEP_2) | instskip(NEXT) | instid1(VALU_DEP_3)
	v_add_f32_e32 v60, v60, v63
	v_fma_f32 v62, v68, v64, -v65
	s_wait_loadcnt 0x0
	s_delay_alu instid0(VALU_DEP_2) | instskip(NEXT) | instid1(VALU_DEP_1)
	v_dual_add_f32 v59, 0, v59 :: v_dual_sub_f32 v60, v71, v60
	v_add_f32_e32 v59, v59, v62
	s_delay_alu instid0(VALU_DEP_1)
	v_sub_f32_e32 v59, v70, v59
	scratch_store_b64 off, v[59:60], off offset:208
	v_cmpx_lt_u32_e32 25, v0
	s_cbranch_execz .LBB92_137
; %bb.136:
	scratch_load_b64 v[59:60], off, off offset:200
	v_mov_b32_e32 v62, 0
	s_delay_alu instid0(VALU_DEP_1)
	v_mov_b32_e32 v63, v62
	scratch_store_b64 off, v[62:63], off offset:200
	s_wait_loadcnt 0x0
	ds_store_b64 v61, v[59:60]
.LBB92_137:
	s_wait_alu 0xfffe
	s_or_b32 exec_lo, exec_lo, s0
	s_wait_storecnt_dscnt 0x0
	s_barrier_signal -1
	s_barrier_wait -1
	global_inv scope:SCOPE_SE
	s_clause 0x2
	scratch_load_b128 v[62:65], off, off offset:208
	scratch_load_b64 v[70:71], off, off offset:224
	scratch_load_b64 v[72:73], off, off offset:200
	v_mov_b32_e32 v59, 0
	ds_load_b128 v[66:69], v59 offset:448
	ds_load_b64 v[74:75], v59 offset:464
	s_mov_b32 s0, exec_lo
	s_wait_loadcnt_dscnt 0x201
	v_mul_f32_e32 v60, v67, v63
	v_dual_mul_f32 v63, v66, v63 :: v_dual_mul_f32 v76, v68, v65
	v_mul_f32_e32 v65, v69, v65
	s_wait_loadcnt_dscnt 0x100
	v_mul_f32_e32 v77, v74, v71
	v_fma_f32 v60, v66, v62, -v60
	v_fmac_f32_e32 v63, v67, v62
	v_mul_f32_e32 v62, v75, v71
	v_fmac_f32_e32 v76, v69, v64
	v_fma_f32 v64, v68, v64, -v65
	s_delay_alu instid0(VALU_DEP_4) | instskip(NEXT) | instid1(VALU_DEP_4)
	v_dual_add_f32 v60, 0, v60 :: v_dual_add_f32 v63, 0, v63
	v_fma_f32 v62, v74, v70, -v62
	s_delay_alu instid0(VALU_DEP_2) | instskip(NEXT) | instid1(VALU_DEP_1)
	v_add_f32_e32 v60, v60, v64
	v_dual_add_f32 v63, v63, v76 :: v_dual_add_f32 v60, v60, v62
	s_wait_loadcnt 0x0
	s_delay_alu instid0(VALU_DEP_1) | instskip(NEXT) | instid1(VALU_DEP_1)
	v_dual_fmac_f32 v77, v75, v70 :: v_dual_sub_f32 v62, v72, v60
	v_add_f32_e32 v63, v63, v77
	s_delay_alu instid0(VALU_DEP_1)
	v_sub_f32_e32 v63, v73, v63
	scratch_store_b64 off, v[62:63], off offset:200
	v_cmpx_lt_u32_e32 24, v0
	s_cbranch_execz .LBB92_139
; %bb.138:
	scratch_load_b64 v[62:63], off, off offset:192
	v_mov_b32_e32 v60, v59
	scratch_store_b64 off, v[59:60], off offset:192
	s_wait_loadcnt 0x0
	ds_store_b64 v61, v[62:63]
.LBB92_139:
	s_wait_alu 0xfffe
	s_or_b32 exec_lo, exec_lo, s0
	s_wait_storecnt_dscnt 0x0
	s_barrier_signal -1
	s_barrier_wait -1
	global_inv scope:SCOPE_SE
	s_clause 0x2
	scratch_load_b128 v[62:65], off, off offset:200
	scratch_load_b128 v[66:69], off, off offset:216
	scratch_load_b64 v[78:79], off, off offset:192
	ds_load_2addr_b64 v[70:73], v59 offset0:55 offset1:56
	ds_load_2addr_b64 v[74:77], v59 offset0:57 offset1:58
	s_mov_b32 s0, exec_lo
	s_wait_loadcnt_dscnt 0x201
	v_mul_f32_e32 v60, v71, v63
	s_wait_loadcnt_dscnt 0x100
	v_dual_mul_f32 v80, v74, v67 :: v_dual_mul_f32 v81, v76, v69
	s_delay_alu instid0(VALU_DEP_2) | instskip(SKIP_2) | instid1(VALU_DEP_4)
	v_fma_f32 v60, v70, v62, -v60
	v_mul_f32_e32 v59, v70, v63
	v_mul_f32_e32 v63, v72, v65
	v_dual_mul_f32 v65, v73, v65 :: v_dual_fmac_f32 v80, v75, v66
	s_delay_alu instid0(VALU_DEP_3) | instskip(NEXT) | instid1(VALU_DEP_3)
	v_dual_add_f32 v60, 0, v60 :: v_dual_fmac_f32 v59, v71, v62
	v_dual_mul_f32 v62, v75, v67 :: v_dual_fmac_f32 v63, v73, v64
	s_delay_alu instid0(VALU_DEP_3) | instskip(SKIP_1) | instid1(VALU_DEP_3)
	v_fma_f32 v64, v72, v64, -v65
	v_fmac_f32_e32 v81, v77, v68
	v_fma_f32 v62, v74, v66, -v62
	s_delay_alu instid0(VALU_DEP_3) | instskip(NEXT) | instid1(VALU_DEP_1)
	v_dual_add_f32 v60, v60, v64 :: v_dual_add_f32 v59, 0, v59
	v_dual_add_f32 v60, v60, v62 :: v_dual_mul_f32 v65, v77, v69
	s_delay_alu instid0(VALU_DEP_2) | instskip(NEXT) | instid1(VALU_DEP_2)
	v_add_f32_e32 v59, v59, v63
	v_fma_f32 v63, v76, v68, -v65
	s_delay_alu instid0(VALU_DEP_1) | instskip(SKIP_1) | instid1(VALU_DEP_1)
	v_dual_add_f32 v59, v59, v80 :: v_dual_add_f32 v60, v60, v63
	s_wait_loadcnt 0x0
	v_dual_add_f32 v62, v59, v81 :: v_dual_sub_f32 v59, v78, v60
	s_delay_alu instid0(VALU_DEP_1)
	v_sub_f32_e32 v60, v79, v62
	scratch_store_b64 off, v[59:60], off offset:192
	v_cmpx_lt_u32_e32 23, v0
	s_cbranch_execz .LBB92_141
; %bb.140:
	scratch_load_b64 v[59:60], off, off offset:184
	v_mov_b32_e32 v62, 0
	s_delay_alu instid0(VALU_DEP_1)
	v_mov_b32_e32 v63, v62
	scratch_store_b64 off, v[62:63], off offset:184
	s_wait_loadcnt 0x0
	ds_store_b64 v61, v[59:60]
.LBB92_141:
	s_wait_alu 0xfffe
	s_or_b32 exec_lo, exec_lo, s0
	s_wait_storecnt_dscnt 0x0
	s_barrier_signal -1
	s_barrier_wait -1
	global_inv scope:SCOPE_SE
	s_clause 0x3
	scratch_load_b128 v[62:65], off, off offset:192
	scratch_load_b128 v[66:69], off, off offset:208
	scratch_load_b64 v[78:79], off, off offset:224
	scratch_load_b64 v[80:81], off, off offset:184
	v_mov_b32_e32 v59, 0
	ds_load_b128 v[70:73], v59 offset:432
	ds_load_b128 v[74:77], v59 offset:448
	ds_load_b64 v[82:83], v59 offset:464
	s_mov_b32 s0, exec_lo
	s_wait_loadcnt_dscnt 0x302
	v_mul_f32_e32 v60, v70, v63
	v_dual_mul_f32 v84, v72, v65 :: v_dual_mul_f32 v63, v71, v63
	s_wait_loadcnt_dscnt 0x100
	v_mul_f32_e32 v87, v82, v79
	v_dual_mul_f32 v85, v74, v67 :: v_dual_mul_f32 v86, v76, v69
	v_dual_fmac_f32 v60, v71, v62 :: v_dual_mul_f32 v65, v73, v65
	v_fma_f32 v63, v70, v62, -v63
	v_fmac_f32_e32 v84, v73, v64
	v_mul_f32_e32 v62, v75, v67
	s_delay_alu instid0(VALU_DEP_4) | instskip(SKIP_3) | instid1(VALU_DEP_4)
	v_add_f32_e32 v60, 0, v60
	v_fma_f32 v64, v72, v64, -v65
	v_add_f32_e32 v63, 0, v63
	v_mul_f32_e32 v65, v77, v69
	v_dual_fmac_f32 v85, v75, v66 :: v_dual_add_f32 v60, v60, v84
	v_dual_fmac_f32 v86, v77, v68 :: v_dual_fmac_f32 v87, v83, v78
	s_delay_alu instid0(VALU_DEP_4) | instskip(SKIP_1) | instid1(VALU_DEP_4)
	v_add_f32_e32 v63, v63, v64
	v_fma_f32 v62, v74, v66, -v62
	v_add_f32_e32 v60, v60, v85
	v_fma_f32 v65, v76, v68, -v65
	s_delay_alu instid0(VALU_DEP_3) | instskip(NEXT) | instid1(VALU_DEP_3)
	v_add_f32_e32 v62, v63, v62
	v_add_f32_e32 v60, v60, v86
	s_delay_alu instid0(VALU_DEP_2) | instskip(NEXT) | instid1(VALU_DEP_2)
	v_add_f32_e32 v62, v62, v65
	v_add_f32_e32 v60, v60, v87
	v_mul_f32_e32 v64, v83, v79
	s_delay_alu instid0(VALU_DEP_1) | instskip(SKIP_1) | instid1(VALU_DEP_1)
	v_fma_f32 v63, v82, v78, -v64
	s_wait_loadcnt 0x0
	v_dual_add_f32 v62, v62, v63 :: v_dual_sub_f32 v63, v81, v60
	s_delay_alu instid0(VALU_DEP_1)
	v_sub_f32_e32 v62, v80, v62
	scratch_store_b64 off, v[62:63], off offset:184
	v_cmpx_lt_u32_e32 22, v0
	s_cbranch_execz .LBB92_143
; %bb.142:
	scratch_load_b64 v[62:63], off, off offset:176
	v_mov_b32_e32 v60, v59
	scratch_store_b64 off, v[59:60], off offset:176
	s_wait_loadcnt 0x0
	ds_store_b64 v61, v[62:63]
.LBB92_143:
	s_wait_alu 0xfffe
	s_or_b32 exec_lo, exec_lo, s0
	s_wait_storecnt_dscnt 0x0
	s_barrier_signal -1
	s_barrier_wait -1
	global_inv scope:SCOPE_SE
	s_clause 0x3
	scratch_load_b128 v[62:65], off, off offset:184
	scratch_load_b128 v[66:69], off, off offset:200
	;; [unrolled: 1-line block ×3, first 2 shown]
	scratch_load_b64 v[86:87], off, off offset:176
	ds_load_2addr_b64 v[74:77], v59 offset0:53 offset1:54
	ds_load_2addr_b64 v[78:81], v59 offset0:55 offset1:56
	ds_load_2addr_b64 v[82:85], v59 offset0:57 offset1:58
	s_mov_b32 s0, exec_lo
	s_wait_loadcnt_dscnt 0x302
	v_dual_mul_f32 v59, v74, v63 :: v_dual_mul_f32 v60, v76, v65
	v_mul_f32_e32 v63, v75, v63
	s_wait_loadcnt_dscnt 0x201
	v_dual_mul_f32 v65, v77, v65 :: v_dual_mul_f32 v88, v78, v67
	s_delay_alu instid0(VALU_DEP_3) | instskip(NEXT) | instid1(VALU_DEP_3)
	v_dual_mul_f32 v89, v80, v69 :: v_dual_fmac_f32 v60, v77, v64
	v_fma_f32 v63, v74, v62, -v63
	v_fmac_f32_e32 v59, v75, v62
	v_mul_f32_e32 v62, v79, v67
	v_fma_f32 v64, v76, v64, -v65
	v_mul_f32_e32 v65, v81, v69
	v_dual_add_f32 v63, 0, v63 :: v_dual_fmac_f32 v88, v79, v66
	s_delay_alu instid0(VALU_DEP_4) | instskip(SKIP_2) | instid1(VALU_DEP_3)
	v_fma_f32 v62, v78, v66, -v62
	s_wait_loadcnt_dscnt 0x100
	v_dual_mul_f32 v90, v82, v71 :: v_dual_mul_f32 v91, v84, v73
	v_add_f32_e32 v63, v63, v64
	v_fmac_f32_e32 v89, v81, v68
	v_fma_f32 v64, v80, v68, -v65
	s_delay_alu instid0(VALU_DEP_4) | instskip(NEXT) | instid1(VALU_DEP_4)
	v_dual_fmac_f32 v90, v83, v70 :: v_dual_fmac_f32 v91, v85, v72
	v_add_f32_e32 v62, v63, v62
	s_delay_alu instid0(VALU_DEP_1) | instskip(SKIP_1) | instid1(VALU_DEP_1)
	v_dual_add_f32 v62, v62, v64 :: v_dual_add_f32 v59, 0, v59
	v_mul_f32_e32 v63, v85, v73
	v_fma_f32 v63, v84, v72, -v63
	s_delay_alu instid0(VALU_DEP_3) | instskip(SKIP_1) | instid1(VALU_DEP_1)
	v_add_f32_e32 v59, v59, v60
	v_mul_f32_e32 v60, v83, v71
	v_fma_f32 v60, v82, v70, -v60
	s_delay_alu instid0(VALU_DEP_1) | instskip(NEXT) | instid1(VALU_DEP_1)
	v_add_f32_e32 v60, v62, v60
	v_dual_add_f32 v60, v60, v63 :: v_dual_add_f32 v59, v59, v88
	s_delay_alu instid0(VALU_DEP_1) | instskip(NEXT) | instid1(VALU_DEP_1)
	v_add_f32_e32 v59, v59, v89
	v_add_f32_e32 v59, v59, v90
	s_wait_loadcnt 0x0
	s_delay_alu instid0(VALU_DEP_1) | instskip(NEXT) | instid1(VALU_DEP_1)
	v_dual_add_f32 v62, v59, v91 :: v_dual_sub_f32 v59, v86, v60
	v_sub_f32_e32 v60, v87, v62
	scratch_store_b64 off, v[59:60], off offset:176
	v_cmpx_lt_u32_e32 21, v0
	s_cbranch_execz .LBB92_145
; %bb.144:
	scratch_load_b64 v[59:60], off, off offset:168
	v_mov_b32_e32 v62, 0
	s_delay_alu instid0(VALU_DEP_1)
	v_mov_b32_e32 v63, v62
	scratch_store_b64 off, v[62:63], off offset:168
	s_wait_loadcnt 0x0
	ds_store_b64 v61, v[59:60]
.LBB92_145:
	s_wait_alu 0xfffe
	s_or_b32 exec_lo, exec_lo, s0
	s_wait_storecnt_dscnt 0x0
	s_barrier_signal -1
	s_barrier_wait -1
	global_inv scope:SCOPE_SE
	s_clause 0x4
	scratch_load_b128 v[62:65], off, off offset:176
	scratch_load_b128 v[66:69], off, off offset:192
	;; [unrolled: 1-line block ×3, first 2 shown]
	scratch_load_b64 v[86:87], off, off offset:224
	scratch_load_b64 v[88:89], off, off offset:168
	v_mov_b32_e32 v59, 0
	ds_load_b128 v[74:77], v59 offset:416
	ds_load_b128 v[78:81], v59 offset:432
	ds_load_b128 v[82:85], v59 offset:448
	ds_load_b64 v[90:91], v59 offset:464
	s_mov_b32 s0, exec_lo
	s_wait_loadcnt_dscnt 0x403
	v_mul_f32_e32 v60, v74, v63
	s_wait_loadcnt_dscnt 0x302
	v_dual_mul_f32 v92, v76, v65 :: v_dual_mul_f32 v93, v78, v67
	v_dual_mul_f32 v94, v80, v69 :: v_dual_mul_f32 v63, v75, v63
	s_wait_loadcnt_dscnt 0x100
	v_dual_mul_f32 v97, v90, v87 :: v_dual_fmac_f32 v60, v75, v62
	v_mul_f32_e32 v65, v77, v65
	v_dual_mul_f32 v95, v82, v71 :: v_dual_mul_f32 v96, v84, v73
	v_fma_f32 v63, v74, v62, -v63
	v_fmac_f32_e32 v92, v77, v64
	v_add_f32_e32 v60, 0, v60
	v_mul_f32_e32 v62, v79, v67
	v_fma_f32 v64, v76, v64, -v65
	v_add_f32_e32 v63, 0, v63
	v_mul_f32_e32 v65, v81, v69
	v_dual_fmac_f32 v93, v79, v66 :: v_dual_add_f32 v60, v60, v92
	v_dual_fmac_f32 v94, v81, v68 :: v_dual_fmac_f32 v95, v83, v70
	s_delay_alu instid0(VALU_DEP_4) | instskip(SKIP_1) | instid1(VALU_DEP_4)
	v_add_f32_e32 v63, v63, v64
	v_dual_fmac_f32 v96, v85, v72 :: v_dual_fmac_f32 v97, v91, v86
	v_add_f32_e32 v60, v60, v93
	v_fma_f32 v62, v78, v66, -v62
	v_mul_f32_e32 v64, v83, v71
	v_fma_f32 v65, v80, v68, -v65
	s_delay_alu instid0(VALU_DEP_4) | instskip(NEXT) | instid1(VALU_DEP_1)
	v_add_f32_e32 v60, v60, v94
	v_add_f32_e32 v60, v60, v95
	s_delay_alu instid0(VALU_DEP_1) | instskip(NEXT) | instid1(VALU_DEP_1)
	v_add_f32_e32 v60, v60, v96
	v_add_f32_e32 v60, v60, v97
	v_dual_add_f32 v62, v63, v62 :: v_dual_mul_f32 v63, v85, v73
	v_fma_f32 v64, v82, v70, -v64
	s_delay_alu instid0(VALU_DEP_2) | instskip(NEXT) | instid1(VALU_DEP_3)
	v_dual_add_f32 v62, v62, v65 :: v_dual_mul_f32 v65, v91, v87
	v_fma_f32 v63, v84, v72, -v63
	s_delay_alu instid0(VALU_DEP_2) | instskip(NEXT) | instid1(VALU_DEP_3)
	v_add_f32_e32 v62, v62, v64
	v_fma_f32 v64, v90, v86, -v65
	s_wait_loadcnt 0x0
	s_delay_alu instid0(VALU_DEP_2) | instskip(NEXT) | instid1(VALU_DEP_1)
	v_dual_add_f32 v62, v62, v63 :: v_dual_sub_f32 v63, v89, v60
	v_add_f32_e32 v62, v62, v64
	s_delay_alu instid0(VALU_DEP_1)
	v_sub_f32_e32 v62, v88, v62
	scratch_store_b64 off, v[62:63], off offset:168
	v_cmpx_lt_u32_e32 20, v0
	s_cbranch_execz .LBB92_147
; %bb.146:
	scratch_load_b64 v[62:63], off, off offset:160
	v_mov_b32_e32 v60, v59
	scratch_store_b64 off, v[59:60], off offset:160
	s_wait_loadcnt 0x0
	ds_store_b64 v61, v[62:63]
.LBB92_147:
	s_wait_alu 0xfffe
	s_or_b32 exec_lo, exec_lo, s0
	s_wait_storecnt_dscnt 0x0
	s_barrier_signal -1
	s_barrier_wait -1
	global_inv scope:SCOPE_SE
	s_clause 0x4
	scratch_load_b128 v[62:65], off, off offset:168
	scratch_load_b128 v[66:69], off, off offset:184
	;; [unrolled: 1-line block ×4, first 2 shown]
	scratch_load_b64 v[94:95], off, off offset:160
	ds_load_2addr_b64 v[78:81], v59 offset0:51 offset1:52
	ds_load_2addr_b64 v[82:85], v59 offset0:53 offset1:54
	;; [unrolled: 1-line block ×4, first 2 shown]
	s_mov_b32 s0, exec_lo
	s_wait_loadcnt_dscnt 0x403
	v_dual_mul_f32 v59, v78, v63 :: v_dual_mul_f32 v60, v80, v65
	v_mul_f32_e32 v63, v79, v63
	s_wait_loadcnt_dscnt 0x302
	v_dual_mul_f32 v65, v81, v65 :: v_dual_mul_f32 v96, v82, v67
	s_delay_alu instid0(VALU_DEP_3) | instskip(NEXT) | instid1(VALU_DEP_3)
	v_dual_mul_f32 v97, v84, v69 :: v_dual_fmac_f32 v60, v81, v64
	v_fma_f32 v63, v78, v62, -v63
	v_fmac_f32_e32 v59, v79, v62
	v_mul_f32_e32 v62, v83, v67
	v_fma_f32 v64, v80, v64, -v65
	v_mul_f32_e32 v65, v85, v69
	v_dual_add_f32 v63, 0, v63 :: v_dual_fmac_f32 v96, v83, v66
	s_delay_alu instid0(VALU_DEP_4) | instskip(SKIP_2) | instid1(VALU_DEP_3)
	v_fma_f32 v62, v82, v66, -v62
	s_wait_loadcnt_dscnt 0x201
	v_dual_mul_f32 v98, v86, v71 :: v_dual_mul_f32 v99, v88, v73
	v_add_f32_e32 v63, v63, v64
	v_fmac_f32_e32 v97, v85, v68
	v_fma_f32 v64, v84, v68, -v65
	s_wait_loadcnt_dscnt 0x100
	v_dual_mul_f32 v100, v90, v75 :: v_dual_mul_f32 v101, v92, v77
	v_dual_add_f32 v62, v63, v62 :: v_dual_mul_f32 v63, v89, v73
	v_dual_fmac_f32 v98, v87, v70 :: v_dual_fmac_f32 v99, v89, v72
	s_delay_alu instid0(VALU_DEP_3) | instskip(NEXT) | instid1(VALU_DEP_3)
	v_fmac_f32_e32 v100, v91, v74
	v_dual_add_f32 v62, v62, v64 :: v_dual_add_f32 v59, 0, v59
	v_mul_f32_e32 v64, v91, v75
	v_fma_f32 v63, v88, v72, -v63
	v_fmac_f32_e32 v101, v93, v76
	s_delay_alu instid0(VALU_DEP_4) | instskip(SKIP_2) | instid1(VALU_DEP_2)
	v_add_f32_e32 v59, v59, v60
	v_mul_f32_e32 v60, v87, v71
	v_fma_f32 v64, v90, v74, -v64
	v_fma_f32 v60, v86, v70, -v60
	s_delay_alu instid0(VALU_DEP_1) | instskip(SKIP_1) | instid1(VALU_DEP_2)
	v_add_f32_e32 v60, v62, v60
	v_mul_f32_e32 v62, v93, v77
	v_add_f32_e32 v60, v60, v63
	s_delay_alu instid0(VALU_DEP_2) | instskip(NEXT) | instid1(VALU_DEP_2)
	v_fma_f32 v62, v92, v76, -v62
	v_add_f32_e32 v60, v60, v64
	s_delay_alu instid0(VALU_DEP_1) | instskip(NEXT) | instid1(VALU_DEP_1)
	v_dual_add_f32 v59, v59, v96 :: v_dual_add_f32 v60, v60, v62
	v_add_f32_e32 v59, v59, v97
	s_delay_alu instid0(VALU_DEP_1) | instskip(NEXT) | instid1(VALU_DEP_1)
	v_add_f32_e32 v59, v59, v98
	v_add_f32_e32 v59, v59, v99
	s_delay_alu instid0(VALU_DEP_1) | instskip(SKIP_1) | instid1(VALU_DEP_1)
	v_add_f32_e32 v59, v59, v100
	s_wait_loadcnt 0x0
	v_dual_add_f32 v62, v59, v101 :: v_dual_sub_f32 v59, v94, v60
	s_delay_alu instid0(VALU_DEP_1)
	v_sub_f32_e32 v60, v95, v62
	scratch_store_b64 off, v[59:60], off offset:160
	v_cmpx_lt_u32_e32 19, v0
	s_cbranch_execz .LBB92_149
; %bb.148:
	scratch_load_b64 v[59:60], off, off offset:152
	v_mov_b32_e32 v62, 0
	s_delay_alu instid0(VALU_DEP_1)
	v_mov_b32_e32 v63, v62
	scratch_store_b64 off, v[62:63], off offset:152
	s_wait_loadcnt 0x0
	ds_store_b64 v61, v[59:60]
.LBB92_149:
	s_wait_alu 0xfffe
	s_or_b32 exec_lo, exec_lo, s0
	s_wait_storecnt_dscnt 0x0
	s_barrier_signal -1
	s_barrier_wait -1
	global_inv scope:SCOPE_SE
	s_clause 0x5
	scratch_load_b128 v[62:65], off, off offset:160
	scratch_load_b128 v[66:69], off, off offset:176
	;; [unrolled: 1-line block ×4, first 2 shown]
	scratch_load_b64 v[94:95], off, off offset:224
	scratch_load_b64 v[96:97], off, off offset:152
	v_mov_b32_e32 v59, 0
	ds_load_b128 v[78:81], v59 offset:400
	ds_load_b128 v[82:85], v59 offset:416
	ds_load_b128 v[86:89], v59 offset:432
	ds_load_b128 v[90:93], v59 offset:448
	ds_load_b64 v[98:99], v59 offset:464
	s_mov_b32 s0, exec_lo
	s_wait_loadcnt_dscnt 0x504
	v_mul_f32_e32 v60, v78, v63
	s_wait_loadcnt_dscnt 0x403
	v_dual_mul_f32 v100, v80, v65 :: v_dual_mul_f32 v101, v82, v67
	s_wait_loadcnt_dscnt 0x302
	v_dual_mul_f32 v104, v88, v73 :: v_dual_mul_f32 v63, v79, v63
	s_wait_loadcnt_dscnt 0x100
	v_dual_mul_f32 v107, v98, v95 :: v_dual_fmac_f32 v60, v79, v62
	v_mul_f32_e32 v65, v81, v65
	v_dual_mul_f32 v102, v84, v69 :: v_dual_mul_f32 v103, v86, v71
	v_fma_f32 v63, v78, v62, -v63
	v_fmac_f32_e32 v100, v81, v64
	v_add_f32_e32 v60, 0, v60
	v_mul_f32_e32 v62, v83, v67
	v_fma_f32 v64, v80, v64, -v65
	v_add_f32_e32 v63, 0, v63
	v_mul_f32_e32 v65, v85, v69
	v_dual_fmac_f32 v101, v83, v66 :: v_dual_add_f32 v60, v60, v100
	v_dual_fmac_f32 v102, v85, v68 :: v_dual_fmac_f32 v103, v87, v70
	s_delay_alu instid0(VALU_DEP_4) | instskip(SKIP_1) | instid1(VALU_DEP_4)
	v_add_f32_e32 v63, v63, v64
	v_dual_mul_f32 v105, v90, v75 :: v_dual_mul_f32 v106, v92, v77
	v_add_f32_e32 v60, v60, v101
	v_dual_fmac_f32 v104, v89, v72 :: v_dual_fmac_f32 v107, v99, v94
	s_delay_alu instid0(VALU_DEP_3) | instskip(NEXT) | instid1(VALU_DEP_3)
	v_dual_fmac_f32 v105, v91, v74 :: v_dual_fmac_f32 v106, v93, v76
	v_add_f32_e32 v60, v60, v102
	v_fma_f32 v62, v82, v66, -v62
	v_mul_f32_e32 v64, v87, v71
	v_fma_f32 v65, v84, v68, -v65
	s_delay_alu instid0(VALU_DEP_4) | instskip(NEXT) | instid1(VALU_DEP_1)
	v_add_f32_e32 v60, v60, v103
	v_add_f32_e32 v60, v60, v104
	s_delay_alu instid0(VALU_DEP_1) | instskip(NEXT) | instid1(VALU_DEP_1)
	v_add_f32_e32 v60, v60, v105
	v_add_f32_e32 v60, v60, v106
	s_delay_alu instid0(VALU_DEP_1) | instskip(SKIP_2) | instid1(VALU_DEP_2)
	v_add_f32_e32 v60, v60, v107
	v_dual_add_f32 v62, v63, v62 :: v_dual_mul_f32 v63, v89, v73
	v_fma_f32 v64, v86, v70, -v64
	v_dual_add_f32 v62, v62, v65 :: v_dual_mul_f32 v65, v91, v75
	s_delay_alu instid0(VALU_DEP_3) | instskip(NEXT) | instid1(VALU_DEP_2)
	v_fma_f32 v63, v88, v72, -v63
	v_add_f32_e32 v62, v62, v64
	v_mul_f32_e32 v64, v93, v77
	s_delay_alu instid0(VALU_DEP_4) | instskip(NEXT) | instid1(VALU_DEP_3)
	v_fma_f32 v65, v90, v74, -v65
	v_add_f32_e32 v62, v62, v63
	v_mul_f32_e32 v63, v99, v95
	s_delay_alu instid0(VALU_DEP_4) | instskip(NEXT) | instid1(VALU_DEP_3)
	v_fma_f32 v64, v92, v76, -v64
	v_add_f32_e32 v62, v62, v65
	s_delay_alu instid0(VALU_DEP_3) | instskip(NEXT) | instid1(VALU_DEP_2)
	v_fma_f32 v63, v98, v94, -v63
	v_add_f32_e32 v62, v62, v64
	s_wait_loadcnt 0x0
	s_delay_alu instid0(VALU_DEP_1) | instskip(NEXT) | instid1(VALU_DEP_1)
	v_dual_add_f32 v62, v62, v63 :: v_dual_sub_f32 v63, v97, v60
	v_sub_f32_e32 v62, v96, v62
	scratch_store_b64 off, v[62:63], off offset:152
	v_cmpx_lt_u32_e32 18, v0
	s_cbranch_execz .LBB92_151
; %bb.150:
	scratch_load_b64 v[62:63], off, off offset:144
	v_mov_b32_e32 v60, v59
	scratch_store_b64 off, v[59:60], off offset:144
	s_wait_loadcnt 0x0
	ds_store_b64 v61, v[62:63]
.LBB92_151:
	s_wait_alu 0xfffe
	s_or_b32 exec_lo, exec_lo, s0
	s_wait_storecnt_dscnt 0x0
	s_barrier_signal -1
	s_barrier_wait -1
	global_inv scope:SCOPE_SE
	s_clause 0x5
	scratch_load_b128 v[62:65], off, off offset:152
	scratch_load_b128 v[66:69], off, off offset:168
	;; [unrolled: 1-line block ×5, first 2 shown]
	scratch_load_b64 v[102:103], off, off offset:144
	ds_load_2addr_b64 v[82:85], v59 offset0:49 offset1:50
	ds_load_2addr_b64 v[86:89], v59 offset0:51 offset1:52
	;; [unrolled: 1-line block ×5, first 2 shown]
	s_mov_b32 s0, exec_lo
	s_wait_loadcnt_dscnt 0x504
	v_dual_mul_f32 v59, v82, v63 :: v_dual_mul_f32 v60, v84, v65
	v_mul_f32_e32 v63, v83, v63
	s_wait_loadcnt_dscnt 0x403
	v_dual_mul_f32 v65, v85, v65 :: v_dual_mul_f32 v104, v86, v67
	s_delay_alu instid0(VALU_DEP_3) | instskip(NEXT) | instid1(VALU_DEP_3)
	v_dual_mul_f32 v105, v88, v69 :: v_dual_fmac_f32 v60, v85, v64
	v_fma_f32 v63, v82, v62, -v63
	v_fmac_f32_e32 v59, v83, v62
	v_mul_f32_e32 v62, v87, v67
	v_fma_f32 v64, v84, v64, -v65
	v_mul_f32_e32 v65, v89, v69
	v_dual_add_f32 v63, 0, v63 :: v_dual_fmac_f32 v104, v87, v66
	s_delay_alu instid0(VALU_DEP_4) | instskip(SKIP_2) | instid1(VALU_DEP_3)
	v_fma_f32 v62, v86, v66, -v62
	s_wait_loadcnt_dscnt 0x302
	v_dual_mul_f32 v106, v90, v71 :: v_dual_mul_f32 v107, v92, v73
	v_add_f32_e32 v63, v63, v64
	v_fmac_f32_e32 v105, v89, v68
	v_fma_f32 v64, v88, v68, -v65
	s_wait_loadcnt_dscnt 0x201
	v_dual_mul_f32 v108, v94, v75 :: v_dual_mul_f32 v109, v96, v77
	v_dual_add_f32 v62, v63, v62 :: v_dual_mul_f32 v63, v93, v73
	v_fmac_f32_e32 v106, v91, v70
	s_wait_loadcnt_dscnt 0x100
	v_dual_mul_f32 v110, v98, v79 :: v_dual_mul_f32 v111, v100, v81
	s_delay_alu instid0(VALU_DEP_3) | instskip(SKIP_3) | instid1(VALU_DEP_4)
	v_dual_add_f32 v62, v62, v64 :: v_dual_add_f32 v59, 0, v59
	v_mul_f32_e32 v64, v95, v75
	v_fma_f32 v63, v92, v72, -v63
	v_dual_fmac_f32 v107, v93, v72 :: v_dual_fmac_f32 v108, v95, v74
	v_add_f32_e32 v59, v59, v60
	v_mul_f32_e32 v60, v91, v71
	v_fma_f32 v64, v94, v74, -v64
	v_dual_fmac_f32 v109, v97, v76 :: v_dual_fmac_f32 v110, v99, v78
	s_delay_alu instid0(VALU_DEP_3) | instskip(NEXT) | instid1(VALU_DEP_1)
	v_fma_f32 v60, v90, v70, -v60
	v_add_f32_e32 v60, v62, v60
	v_mul_f32_e32 v62, v97, v77
	s_delay_alu instid0(VALU_DEP_2) | instskip(SKIP_1) | instid1(VALU_DEP_3)
	v_dual_add_f32 v60, v60, v63 :: v_dual_add_f32 v59, v59, v104
	v_mul_f32_e32 v63, v99, v79
	v_fma_f32 v62, v96, v76, -v62
	s_delay_alu instid0(VALU_DEP_3) | instskip(SKIP_3) | instid1(VALU_DEP_4)
	v_add_f32_e32 v60, v60, v64
	v_mul_f32_e32 v64, v101, v81
	v_add_f32_e32 v59, v59, v105
	v_fma_f32 v63, v98, v78, -v63
	v_dual_add_f32 v60, v60, v62 :: v_dual_fmac_f32 v111, v101, v80
	s_delay_alu instid0(VALU_DEP_3) | instskip(SKIP_1) | instid1(VALU_DEP_3)
	v_add_f32_e32 v59, v59, v106
	v_fma_f32 v62, v100, v80, -v64
	v_add_f32_e32 v60, v60, v63
	s_delay_alu instid0(VALU_DEP_1) | instskip(NEXT) | instid1(VALU_DEP_1)
	v_dual_add_f32 v59, v59, v107 :: v_dual_add_f32 v60, v60, v62
	v_add_f32_e32 v59, v59, v108
	s_delay_alu instid0(VALU_DEP_1) | instskip(NEXT) | instid1(VALU_DEP_1)
	v_add_f32_e32 v59, v59, v109
	v_add_f32_e32 v59, v59, v110
	s_wait_loadcnt 0x0
	s_delay_alu instid0(VALU_DEP_1) | instskip(NEXT) | instid1(VALU_DEP_1)
	v_dual_add_f32 v62, v59, v111 :: v_dual_sub_f32 v59, v102, v60
	v_sub_f32_e32 v60, v103, v62
	scratch_store_b64 off, v[59:60], off offset:144
	v_cmpx_lt_u32_e32 17, v0
	s_cbranch_execz .LBB92_153
; %bb.152:
	scratch_load_b64 v[59:60], off, off offset:136
	v_mov_b32_e32 v62, 0
	s_delay_alu instid0(VALU_DEP_1)
	v_mov_b32_e32 v63, v62
	scratch_store_b64 off, v[62:63], off offset:136
	s_wait_loadcnt 0x0
	ds_store_b64 v61, v[59:60]
.LBB92_153:
	s_wait_alu 0xfffe
	s_or_b32 exec_lo, exec_lo, s0
	s_wait_storecnt_dscnt 0x0
	s_barrier_signal -1
	s_barrier_wait -1
	global_inv scope:SCOPE_SE
	s_clause 0x6
	scratch_load_b128 v[62:65], off, off offset:144
	scratch_load_b128 v[66:69], off, off offset:160
	;; [unrolled: 1-line block ×5, first 2 shown]
	scratch_load_b64 v[102:103], off, off offset:224
	scratch_load_b64 v[104:105], off, off offset:136
	v_mov_b32_e32 v59, 0
	ds_load_b128 v[82:85], v59 offset:384
	ds_load_b128 v[86:89], v59 offset:400
	;; [unrolled: 1-line block ×5, first 2 shown]
	ds_load_b64 v[106:107], v59 offset:464
	s_mov_b32 s0, exec_lo
	s_wait_loadcnt_dscnt 0x605
	v_mul_f32_e32 v60, v82, v63
	v_dual_mul_f32 v63, v83, v63 :: v_dual_mul_f32 v108, v84, v65
	s_wait_loadcnt_dscnt 0x302
	v_dual_mul_f32 v109, v86, v67 :: v_dual_mul_f32 v114, v96, v77
	s_wait_loadcnt_dscnt 0x100
	v_dual_mul_f32 v117, v106, v103 :: v_dual_fmac_f32 v60, v83, v62
	v_mul_f32_e32 v65, v85, v65
	v_fma_f32 v63, v82, v62, -v63
	v_mul_f32_e32 v62, v87, v67
	v_fmac_f32_e32 v108, v85, v64
	v_add_f32_e32 v60, 0, v60
	v_fma_f32 v64, v84, v64, -v65
	v_add_f32_e32 v63, 0, v63
	v_mul_f32_e32 v65, v89, v69
	s_delay_alu instid0(VALU_DEP_4) | instskip(SKIP_1) | instid1(VALU_DEP_4)
	v_dual_fmac_f32 v109, v87, v66 :: v_dual_add_f32 v60, v60, v108
	v_fma_f32 v62, v86, v66, -v62
	v_dual_add_f32 v63, v63, v64 :: v_dual_mul_f32 v110, v88, v69
	v_mul_f32_e32 v111, v90, v71
	v_mul_f32_e32 v64, v91, v71
	v_fma_f32 v65, v88, v68, -v65
	v_add_f32_e32 v60, v60, v109
	v_add_f32_e32 v62, v63, v62
	v_dual_fmac_f32 v110, v89, v68 :: v_dual_fmac_f32 v111, v91, v70
	v_mul_f32_e32 v63, v93, v73
	v_fma_f32 v64, v90, v70, -v64
	s_delay_alu instid0(VALU_DEP_4) | instskip(SKIP_4) | instid1(VALU_DEP_3)
	v_dual_add_f32 v62, v62, v65 :: v_dual_mul_f32 v65, v95, v75
	v_dual_mul_f32 v112, v92, v73 :: v_dual_mul_f32 v113, v94, v75
	v_dual_mul_f32 v115, v98, v79 :: v_dual_mul_f32 v116, v100, v81
	v_add_f32_e32 v60, v60, v110
	v_fma_f32 v63, v92, v72, -v63
	v_dual_add_f32 v62, v62, v64 :: v_dual_fmac_f32 v115, v99, v78
	v_dual_fmac_f32 v112, v93, v72 :: v_dual_fmac_f32 v113, v95, v74
	v_mul_f32_e32 v64, v97, v77
	s_delay_alu instid0(VALU_DEP_3)
	v_add_f32_e32 v62, v62, v63
	v_mul_f32_e32 v63, v99, v79
	v_dual_add_f32 v60, v60, v111 :: v_dual_fmac_f32 v117, v107, v102
	v_fma_f32 v65, v94, v74, -v65
	v_fmac_f32_e32 v114, v97, v76
	v_fma_f32 v64, v96, v76, -v64
	s_delay_alu instid0(VALU_DEP_4)
	v_add_f32_e32 v60, v60, v112
	v_fma_f32 v63, v98, v78, -v63
	v_add_f32_e32 v62, v62, v65
	v_mul_f32_e32 v65, v101, v81
	v_fmac_f32_e32 v116, v101, v80
	v_add_f32_e32 v60, v60, v113
	s_delay_alu instid0(VALU_DEP_4) | instskip(SKIP_2) | instid1(VALU_DEP_4)
	v_add_f32_e32 v62, v62, v64
	v_mul_f32_e32 v64, v107, v103
	v_fma_f32 v65, v100, v80, -v65
	v_add_f32_e32 v60, v60, v114
	s_delay_alu instid0(VALU_DEP_4) | instskip(NEXT) | instid1(VALU_DEP_4)
	v_add_f32_e32 v62, v62, v63
	v_fma_f32 v63, v106, v102, -v64
	s_delay_alu instid0(VALU_DEP_3) | instskip(NEXT) | instid1(VALU_DEP_3)
	v_add_f32_e32 v60, v60, v115
	v_add_f32_e32 v62, v62, v65
	s_delay_alu instid0(VALU_DEP_2) | instskip(NEXT) | instid1(VALU_DEP_2)
	v_add_f32_e32 v60, v60, v116
	v_add_f32_e32 v62, v62, v63
	s_delay_alu instid0(VALU_DEP_2) | instskip(SKIP_1) | instid1(VALU_DEP_1)
	v_add_f32_e32 v60, v60, v117
	s_wait_loadcnt 0x0
	v_dual_sub_f32 v62, v104, v62 :: v_dual_sub_f32 v63, v105, v60
	scratch_store_b64 off, v[62:63], off offset:136
	v_cmpx_lt_u32_e32 16, v0
	s_cbranch_execz .LBB92_155
; %bb.154:
	scratch_load_b64 v[62:63], off, off offset:128
	v_mov_b32_e32 v60, v59
	scratch_store_b64 off, v[59:60], off offset:128
	s_wait_loadcnt 0x0
	ds_store_b64 v61, v[62:63]
.LBB92_155:
	s_wait_alu 0xfffe
	s_or_b32 exec_lo, exec_lo, s0
	s_wait_storecnt_dscnt 0x0
	s_barrier_signal -1
	s_barrier_wait -1
	global_inv scope:SCOPE_SE
	s_clause 0x6
	scratch_load_b128 v[62:65], off, off offset:136
	scratch_load_b128 v[66:69], off, off offset:152
	;; [unrolled: 1-line block ×6, first 2 shown]
	scratch_load_b64 v[110:111], off, off offset:128
	ds_load_2addr_b64 v[86:89], v59 offset0:47 offset1:48
	ds_load_2addr_b64 v[90:93], v59 offset0:49 offset1:50
	;; [unrolled: 1-line block ×6, first 2 shown]
	s_mov_b32 s0, exec_lo
	s_wait_loadcnt_dscnt 0x605
	v_dual_mul_f32 v59, v86, v63 :: v_dual_mul_f32 v60, v88, v65
	v_mul_f32_e32 v63, v87, v63
	s_wait_loadcnt_dscnt 0x504
	v_dual_mul_f32 v65, v89, v65 :: v_dual_mul_f32 v112, v90, v67
	s_delay_alu instid0(VALU_DEP_3) | instskip(NEXT) | instid1(VALU_DEP_3)
	v_dual_mul_f32 v113, v92, v69 :: v_dual_fmac_f32 v60, v89, v64
	v_fma_f32 v63, v86, v62, -v63
	v_fmac_f32_e32 v59, v87, v62
	v_mul_f32_e32 v62, v91, v67
	v_fma_f32 v64, v88, v64, -v65
	v_mul_f32_e32 v65, v93, v69
	v_dual_add_f32 v63, 0, v63 :: v_dual_fmac_f32 v112, v91, v66
	s_delay_alu instid0(VALU_DEP_4) | instskip(SKIP_2) | instid1(VALU_DEP_3)
	v_fma_f32 v62, v90, v66, -v62
	s_wait_loadcnt_dscnt 0x403
	v_dual_mul_f32 v114, v94, v71 :: v_dual_mul_f32 v115, v96, v73
	v_add_f32_e32 v63, v63, v64
	v_fmac_f32_e32 v113, v93, v68
	v_fma_f32 v64, v92, v68, -v65
	s_wait_loadcnt_dscnt 0x302
	v_dual_mul_f32 v116, v98, v75 :: v_dual_mul_f32 v117, v100, v77
	v_dual_add_f32 v62, v63, v62 :: v_dual_mul_f32 v63, v97, v73
	v_fmac_f32_e32 v114, v95, v70
	s_wait_loadcnt_dscnt 0x201
	v_dual_mul_f32 v118, v102, v79 :: v_dual_mul_f32 v119, v104, v81
	s_delay_alu instid0(VALU_DEP_3) | instskip(SKIP_3) | instid1(VALU_DEP_4)
	v_dual_add_f32 v62, v62, v64 :: v_dual_add_f32 v59, 0, v59
	v_mul_f32_e32 v64, v99, v75
	v_fma_f32 v63, v96, v72, -v63
	v_dual_fmac_f32 v115, v97, v72 :: v_dual_fmac_f32 v116, v99, v74
	v_add_f32_e32 v59, v59, v60
	v_mul_f32_e32 v60, v95, v71
	v_fma_f32 v64, v98, v74, -v64
	v_dual_fmac_f32 v117, v101, v76 :: v_dual_fmac_f32 v118, v103, v78
	s_wait_loadcnt_dscnt 0x100
	v_dual_mul_f32 v120, v106, v83 :: v_dual_mul_f32 v121, v108, v85
	v_fma_f32 v60, v94, v70, -v60
	s_delay_alu instid0(VALU_DEP_2) | instskip(NEXT) | instid1(VALU_DEP_3)
	v_dual_fmac_f32 v119, v105, v80 :: v_dual_fmac_f32 v120, v107, v82
	v_fmac_f32_e32 v121, v109, v84
	s_delay_alu instid0(VALU_DEP_3) | instskip(SKIP_1) | instid1(VALU_DEP_2)
	v_add_f32_e32 v60, v62, v60
	v_mul_f32_e32 v62, v101, v77
	v_dual_add_f32 v60, v60, v63 :: v_dual_add_f32 v59, v59, v112
	v_mul_f32_e32 v63, v103, v79
	s_delay_alu instid0(VALU_DEP_3) | instskip(NEXT) | instid1(VALU_DEP_3)
	v_fma_f32 v62, v100, v76, -v62
	v_add_f32_e32 v60, v60, v64
	v_mul_f32_e32 v64, v105, v81
	v_add_f32_e32 v59, v59, v113
	v_fma_f32 v63, v102, v78, -v63
	s_delay_alu instid0(VALU_DEP_4) | instskip(SKIP_1) | instid1(VALU_DEP_4)
	v_add_f32_e32 v60, v60, v62
	v_mul_f32_e32 v62, v107, v83
	v_add_f32_e32 v59, v59, v114
	v_fma_f32 v64, v104, v80, -v64
	s_delay_alu instid0(VALU_DEP_4) | instskip(NEXT) | instid1(VALU_DEP_3)
	v_dual_add_f32 v60, v60, v63 :: v_dual_mul_f32 v63, v109, v85
	v_add_f32_e32 v59, v59, v115
	v_fma_f32 v62, v106, v82, -v62
	s_delay_alu instid0(VALU_DEP_3) | instskip(NEXT) | instid1(VALU_DEP_4)
	v_add_f32_e32 v60, v60, v64
	v_fma_f32 v63, v108, v84, -v63
	s_delay_alu instid0(VALU_DEP_2) | instskip(NEXT) | instid1(VALU_DEP_1)
	v_dual_add_f32 v59, v59, v116 :: v_dual_add_f32 v60, v60, v62
	v_dual_add_f32 v59, v59, v117 :: v_dual_add_f32 v60, v60, v63
	s_delay_alu instid0(VALU_DEP_1) | instskip(NEXT) | instid1(VALU_DEP_1)
	v_add_f32_e32 v59, v59, v118
	v_add_f32_e32 v59, v59, v119
	s_delay_alu instid0(VALU_DEP_1) | instskip(SKIP_1) | instid1(VALU_DEP_1)
	v_add_f32_e32 v59, v59, v120
	s_wait_loadcnt 0x0
	v_dual_add_f32 v62, v59, v121 :: v_dual_sub_f32 v59, v110, v60
	s_delay_alu instid0(VALU_DEP_1)
	v_sub_f32_e32 v60, v111, v62
	scratch_store_b64 off, v[59:60], off offset:128
	v_cmpx_lt_u32_e32 15, v0
	s_cbranch_execz .LBB92_157
; %bb.156:
	scratch_load_b64 v[59:60], off, off offset:120
	v_mov_b32_e32 v62, 0
	s_delay_alu instid0(VALU_DEP_1)
	v_mov_b32_e32 v63, v62
	scratch_store_b64 off, v[62:63], off offset:120
	s_wait_loadcnt 0x0
	ds_store_b64 v61, v[59:60]
.LBB92_157:
	s_wait_alu 0xfffe
	s_or_b32 exec_lo, exec_lo, s0
	s_wait_storecnt_dscnt 0x0
	s_barrier_signal -1
	s_barrier_wait -1
	global_inv scope:SCOPE_SE
	s_clause 0x7
	scratch_load_b128 v[62:65], off, off offset:128
	scratch_load_b128 v[66:69], off, off offset:144
	scratch_load_b128 v[70:73], off, off offset:160
	scratch_load_b128 v[74:77], off, off offset:176
	scratch_load_b128 v[78:81], off, off offset:192
	scratch_load_b128 v[82:85], off, off offset:208
	scratch_load_b64 v[110:111], off, off offset:224
	scratch_load_b64 v[112:113], off, off offset:120
	v_mov_b32_e32 v59, 0
	ds_load_b128 v[86:89], v59 offset:368
	ds_load_b128 v[90:93], v59 offset:384
	;; [unrolled: 1-line block ×6, first 2 shown]
	ds_load_b64 v[114:115], v59 offset:464
	s_mov_b32 s0, exec_lo
	s_wait_loadcnt_dscnt 0x706
	v_mul_f32_e32 v60, v86, v63
	v_dual_mul_f32 v63, v87, v63 :: v_dual_mul_f32 v116, v88, v65
	s_wait_loadcnt_dscnt 0x302
	v_dual_mul_f32 v117, v90, v67 :: v_dual_mul_f32 v124, v104, v81
	v_mul_f32_e32 v65, v89, v65
	s_wait_loadcnt_dscnt 0x100
	v_dual_mul_f32 v127, v114, v111 :: v_dual_fmac_f32 v60, v87, v62
	v_fma_f32 v63, v86, v62, -v63
	v_mul_f32_e32 v62, v91, v67
	v_fmac_f32_e32 v116, v89, v64
	v_fma_f32 v64, v88, v64, -v65
	v_dual_add_f32 v60, 0, v60 :: v_dual_mul_f32 v65, v93, v69
	v_add_f32_e32 v63, 0, v63
	v_fmac_f32_e32 v117, v91, v66
	v_fma_f32 v62, v90, v66, -v62
	s_delay_alu instid0(VALU_DEP_4)
	v_add_f32_e32 v60, v60, v116
	v_fma_f32 v65, v92, v68, -v65
	v_add_f32_e32 v63, v63, v64
	v_mul_f32_e32 v64, v95, v71
	v_dual_mul_f32 v118, v92, v69 :: v_dual_mul_f32 v119, v94, v71
	v_add_f32_e32 v60, v60, v117
	s_delay_alu instid0(VALU_DEP_4) | instskip(NEXT) | instid1(VALU_DEP_4)
	v_dual_add_f32 v62, v63, v62 :: v_dual_mul_f32 v63, v97, v73
	v_fma_f32 v64, v94, v70, -v64
	v_dual_mul_f32 v122, v100, v77 :: v_dual_mul_f32 v123, v102, v79
	s_delay_alu instid0(VALU_DEP_3) | instskip(NEXT) | instid1(VALU_DEP_4)
	v_dual_add_f32 v62, v62, v65 :: v_dual_mul_f32 v65, v99, v75
	v_fma_f32 v63, v96, v72, -v63
	v_dual_mul_f32 v125, v106, v83 :: v_dual_mul_f32 v126, v108, v85
	s_delay_alu instid0(VALU_DEP_3) | instskip(SKIP_1) | instid1(VALU_DEP_3)
	v_dual_add_f32 v62, v62, v64 :: v_dual_fmac_f32 v123, v103, v78
	v_dual_fmac_f32 v118, v93, v68 :: v_dual_fmac_f32 v119, v95, v70
	v_dual_mul_f32 v64, v101, v77 :: v_dual_fmac_f32 v125, v107, v82
	v_fma_f32 v65, v98, v74, -v65
	s_delay_alu instid0(VALU_DEP_4) | instskip(SKIP_3) | instid1(VALU_DEP_4)
	v_dual_add_f32 v62, v62, v63 :: v_dual_fmac_f32 v127, v115, v110
	v_dual_mul_f32 v120, v96, v73 :: v_dual_mul_f32 v121, v98, v75
	v_dual_add_f32 v60, v60, v118 :: v_dual_mul_f32 v63, v103, v79
	v_fma_f32 v64, v100, v76, -v64
	v_add_f32_e32 v62, v62, v65
	s_delay_alu instid0(VALU_DEP_4) | instskip(NEXT) | instid1(VALU_DEP_4)
	v_dual_fmac_f32 v120, v97, v72 :: v_dual_fmac_f32 v121, v99, v74
	v_dual_add_f32 v60, v60, v119 :: v_dual_mul_f32 v65, v105, v81
	v_fma_f32 v63, v102, v78, -v63
	s_delay_alu instid0(VALU_DEP_4)
	v_add_f32_e32 v62, v62, v64
	v_fmac_f32_e32 v122, v101, v76
	v_mul_f32_e32 v64, v107, v83
	v_fma_f32 v65, v104, v80, -v65
	v_fmac_f32_e32 v124, v105, v80
	v_dual_add_f32 v62, v62, v63 :: v_dual_mul_f32 v63, v109, v85
	v_add_f32_e32 v60, v60, v120
	v_fma_f32 v64, v106, v82, -v64
	v_fmac_f32_e32 v126, v109, v84
	s_delay_alu instid0(VALU_DEP_4) | instskip(NEXT) | instid1(VALU_DEP_4)
	v_dual_add_f32 v62, v62, v65 :: v_dual_mul_f32 v65, v115, v111
	v_add_f32_e32 v60, v60, v121
	v_fma_f32 v63, v108, v84, -v63
	s_delay_alu instid0(VALU_DEP_3) | instskip(NEXT) | instid1(VALU_DEP_4)
	v_add_f32_e32 v62, v62, v64
	v_fma_f32 v64, v114, v110, -v65
	s_delay_alu instid0(VALU_DEP_4) | instskip(NEXT) | instid1(VALU_DEP_3)
	v_add_f32_e32 v60, v60, v122
	v_add_f32_e32 v62, v62, v63
	s_delay_alu instid0(VALU_DEP_2) | instskip(NEXT) | instid1(VALU_DEP_2)
	v_add_f32_e32 v60, v60, v123
	v_add_f32_e32 v62, v62, v64
	s_delay_alu instid0(VALU_DEP_2) | instskip(SKIP_1) | instid1(VALU_DEP_2)
	v_add_f32_e32 v60, v60, v124
	s_wait_loadcnt 0x0
	v_sub_f32_e32 v62, v112, v62
	s_delay_alu instid0(VALU_DEP_2) | instskip(NEXT) | instid1(VALU_DEP_1)
	v_add_f32_e32 v60, v60, v125
	v_add_f32_e32 v60, v60, v126
	s_delay_alu instid0(VALU_DEP_1) | instskip(NEXT) | instid1(VALU_DEP_1)
	v_add_f32_e32 v60, v60, v127
	v_sub_f32_e32 v63, v113, v60
	scratch_store_b64 off, v[62:63], off offset:120
	v_cmpx_lt_u32_e32 14, v0
	s_cbranch_execz .LBB92_159
; %bb.158:
	scratch_load_b64 v[62:63], off, off offset:112
	v_mov_b32_e32 v60, v59
	scratch_store_b64 off, v[59:60], off offset:112
	s_wait_loadcnt 0x0
	ds_store_b64 v61, v[62:63]
.LBB92_159:
	s_wait_alu 0xfffe
	s_or_b32 exec_lo, exec_lo, s0
	s_wait_storecnt_dscnt 0x0
	s_barrier_signal -1
	s_barrier_wait -1
	global_inv scope:SCOPE_SE
	s_clause 0x7
	scratch_load_b128 v[62:65], off, off offset:120
	scratch_load_b128 v[66:69], off, off offset:136
	;; [unrolled: 1-line block ×7, first 2 shown]
	scratch_load_b64 v[118:119], off, off offset:112
	ds_load_2addr_b64 v[90:93], v59 offset0:45 offset1:46
	ds_load_2addr_b64 v[94:97], v59 offset0:47 offset1:48
	;; [unrolled: 1-line block ×7, first 2 shown]
	s_mov_b32 s0, exec_lo
	s_wait_loadcnt_dscnt 0x706
	v_dual_mul_f32 v59, v90, v63 :: v_dual_mul_f32 v60, v92, v65
	v_mul_f32_e32 v63, v91, v63
	s_wait_loadcnt_dscnt 0x605
	v_dual_mul_f32 v65, v93, v65 :: v_dual_mul_f32 v120, v94, v67
	s_delay_alu instid0(VALU_DEP_3) | instskip(NEXT) | instid1(VALU_DEP_3)
	v_dual_mul_f32 v121, v96, v69 :: v_dual_fmac_f32 v60, v93, v64
	v_fma_f32 v63, v90, v62, -v63
	v_fmac_f32_e32 v59, v91, v62
	v_mul_f32_e32 v62, v95, v67
	v_fma_f32 v64, v92, v64, -v65
	v_mul_f32_e32 v65, v97, v69
	v_dual_add_f32 v63, 0, v63 :: v_dual_fmac_f32 v120, v95, v66
	s_delay_alu instid0(VALU_DEP_4) | instskip(SKIP_2) | instid1(VALU_DEP_3)
	v_fma_f32 v62, v94, v66, -v62
	s_wait_loadcnt_dscnt 0x504
	v_dual_mul_f32 v122, v98, v71 :: v_dual_mul_f32 v123, v100, v73
	v_add_f32_e32 v63, v63, v64
	v_fmac_f32_e32 v121, v97, v68
	v_fma_f32 v64, v96, v68, -v65
	s_wait_loadcnt_dscnt 0x403
	v_dual_mul_f32 v124, v102, v75 :: v_dual_mul_f32 v125, v104, v77
	v_dual_add_f32 v62, v63, v62 :: v_dual_mul_f32 v63, v101, v73
	v_fmac_f32_e32 v122, v99, v70
	s_wait_loadcnt_dscnt 0x302
	v_dual_mul_f32 v126, v106, v79 :: v_dual_mul_f32 v127, v108, v81
	s_delay_alu instid0(VALU_DEP_3) | instskip(SKIP_3) | instid1(VALU_DEP_4)
	v_dual_add_f32 v62, v62, v64 :: v_dual_add_f32 v59, 0, v59
	v_mul_f32_e32 v64, v103, v75
	v_fma_f32 v63, v100, v72, -v63
	v_dual_fmac_f32 v123, v101, v72 :: v_dual_fmac_f32 v124, v103, v74
	v_add_f32_e32 v59, v59, v60
	v_mul_f32_e32 v60, v99, v71
	v_fma_f32 v64, v102, v74, -v64
	v_dual_fmac_f32 v125, v105, v76 :: v_dual_fmac_f32 v126, v107, v78
	s_wait_loadcnt_dscnt 0x201
	v_dual_mul_f32 v128, v110, v83 :: v_dual_mul_f32 v129, v112, v85
	v_fma_f32 v60, v98, v70, -v60
	s_wait_loadcnt_dscnt 0x100
	v_dual_mul_f32 v130, v114, v87 :: v_dual_mul_f32 v131, v116, v89
	s_delay_alu instid0(VALU_DEP_3) | instskip(NEXT) | instid1(VALU_DEP_3)
	v_dual_fmac_f32 v127, v109, v80 :: v_dual_fmac_f32 v128, v111, v82
	v_add_f32_e32 v60, v62, v60
	v_mul_f32_e32 v62, v105, v77
	s_delay_alu instid0(VALU_DEP_4) | instskip(NEXT) | instid1(VALU_DEP_3)
	v_dual_fmac_f32 v130, v115, v86 :: v_dual_fmac_f32 v131, v117, v88
	v_dual_fmac_f32 v129, v113, v84 :: v_dual_add_f32 v60, v60, v63
	v_add_f32_e32 v59, v59, v120
	v_mul_f32_e32 v63, v107, v79
	v_fma_f32 v62, v104, v76, -v62
	s_delay_alu instid0(VALU_DEP_4) | instskip(SKIP_3) | instid1(VALU_DEP_4)
	v_add_f32_e32 v60, v60, v64
	v_mul_f32_e32 v64, v109, v81
	v_add_f32_e32 v59, v59, v121
	v_fma_f32 v63, v106, v78, -v63
	v_add_f32_e32 v60, v60, v62
	v_mul_f32_e32 v62, v111, v83
	s_delay_alu instid0(VALU_DEP_4) | instskip(SKIP_1) | instid1(VALU_DEP_4)
	v_add_f32_e32 v59, v59, v122
	v_fma_f32 v64, v108, v80, -v64
	v_dual_add_f32 v60, v60, v63 :: v_dual_mul_f32 v63, v113, v85
	s_delay_alu instid0(VALU_DEP_3) | instskip(SKIP_1) | instid1(VALU_DEP_3)
	v_add_f32_e32 v59, v59, v123
	v_fma_f32 v62, v110, v82, -v62
	v_add_f32_e32 v60, v60, v64
	s_delay_alu instid0(VALU_DEP_4) | instskip(NEXT) | instid1(VALU_DEP_4)
	v_fma_f32 v63, v112, v84, -v63
	v_add_f32_e32 v59, v59, v124
	v_mul_f32_e32 v64, v115, v87
	s_delay_alu instid0(VALU_DEP_4) | instskip(SKIP_1) | instid1(VALU_DEP_4)
	v_add_f32_e32 v60, v60, v62
	v_mul_f32_e32 v62, v117, v89
	v_add_f32_e32 v59, v59, v125
	s_delay_alu instid0(VALU_DEP_4) | instskip(NEXT) | instid1(VALU_DEP_4)
	v_fma_f32 v64, v114, v86, -v64
	v_add_f32_e32 v60, v60, v63
	s_delay_alu instid0(VALU_DEP_4) | instskip(NEXT) | instid1(VALU_DEP_2)
	v_fma_f32 v62, v116, v88, -v62
	v_dual_add_f32 v59, v59, v126 :: v_dual_add_f32 v60, v60, v64
	s_delay_alu instid0(VALU_DEP_1) | instskip(NEXT) | instid1(VALU_DEP_1)
	v_dual_add_f32 v59, v59, v127 :: v_dual_add_f32 v60, v60, v62
	v_add_f32_e32 v59, v59, v128
	s_delay_alu instid0(VALU_DEP_1) | instskip(NEXT) | instid1(VALU_DEP_1)
	v_add_f32_e32 v59, v59, v129
	v_add_f32_e32 v59, v59, v130
	s_wait_loadcnt 0x0
	s_delay_alu instid0(VALU_DEP_1) | instskip(NEXT) | instid1(VALU_DEP_1)
	v_dual_add_f32 v62, v59, v131 :: v_dual_sub_f32 v59, v118, v60
	v_sub_f32_e32 v60, v119, v62
	scratch_store_b64 off, v[59:60], off offset:112
	v_cmpx_lt_u32_e32 13, v0
	s_cbranch_execz .LBB92_161
; %bb.160:
	scratch_load_b64 v[59:60], off, off offset:104
	v_mov_b32_e32 v62, 0
	s_delay_alu instid0(VALU_DEP_1)
	v_mov_b32_e32 v63, v62
	scratch_store_b64 off, v[62:63], off offset:104
	s_wait_loadcnt 0x0
	ds_store_b64 v61, v[59:60]
.LBB92_161:
	s_wait_alu 0xfffe
	s_or_b32 exec_lo, exec_lo, s0
	s_wait_storecnt_dscnt 0x0
	s_barrier_signal -1
	s_barrier_wait -1
	global_inv scope:SCOPE_SE
	s_clause 0x8
	scratch_load_b128 v[62:65], off, off offset:112
	scratch_load_b128 v[66:69], off, off offset:128
	;; [unrolled: 1-line block ×7, first 2 shown]
	scratch_load_b64 v[118:119], off, off offset:224
	scratch_load_b64 v[120:121], off, off offset:104
	v_mov_b32_e32 v59, 0
	ds_load_b128 v[90:93], v59 offset:352
	ds_load_b128 v[94:97], v59 offset:368
	;; [unrolled: 1-line block ×7, first 2 shown]
	ds_load_b64 v[122:123], v59 offset:464
	s_mov_b32 s0, exec_lo
	s_wait_loadcnt_dscnt 0x807
	v_mul_f32_e32 v60, v90, v63
	v_dual_mul_f32 v63, v91, v63 :: v_dual_mul_f32 v124, v92, v65
	s_wait_loadcnt_dscnt 0x706
	v_mul_f32_e32 v125, v94, v67
	v_mul_f32_e32 v65, v93, v65
	s_wait_loadcnt_dscnt 0x302
	v_mul_f32_e32 v134, v112, v85
	v_fma_f32 v63, v90, v62, -v63
	s_wait_loadcnt_dscnt 0x100
	v_dual_mul_f32 v137, v122, v119 :: v_dual_fmac_f32 v60, v91, v62
	v_mul_f32_e32 v62, v95, v67
	s_delay_alu instid0(VALU_DEP_3) | instskip(SKIP_1) | instid1(VALU_DEP_4)
	v_dual_fmac_f32 v124, v93, v64 :: v_dual_add_f32 v63, 0, v63
	v_fma_f32 v64, v92, v64, -v65
	v_dual_add_f32 v60, 0, v60 :: v_dual_mul_f32 v65, v97, v69
	v_fmac_f32_e32 v125, v95, v66
	v_fma_f32 v62, v94, v66, -v62
	v_dual_mul_f32 v126, v96, v69 :: v_dual_mul_f32 v127, v98, v71
	s_delay_alu instid0(VALU_DEP_4)
	v_add_f32_e32 v60, v60, v124
	v_add_f32_e32 v63, v63, v64
	v_mul_f32_e32 v64, v99, v71
	v_fma_f32 v65, v96, v68, -v65
	v_dual_mul_f32 v130, v104, v77 :: v_dual_mul_f32 v131, v106, v79
	v_add_f32_e32 v60, v60, v125
	v_dual_add_f32 v62, v63, v62 :: v_dual_mul_f32 v63, v101, v73
	v_fma_f32 v64, v98, v70, -v64
	v_dual_mul_f32 v132, v108, v81 :: v_dual_mul_f32 v133, v110, v83
	s_delay_alu instid0(VALU_DEP_3) | instskip(NEXT) | instid1(VALU_DEP_4)
	v_dual_add_f32 v62, v62, v65 :: v_dual_mul_f32 v65, v103, v75
	v_fma_f32 v63, v100, v72, -v63
	v_dual_mul_f32 v135, v114, v87 :: v_dual_mul_f32 v136, v116, v89
	s_delay_alu instid0(VALU_DEP_3) | instskip(SKIP_3) | instid1(VALU_DEP_4)
	v_dual_add_f32 v62, v62, v64 :: v_dual_fmac_f32 v131, v107, v78
	v_dual_fmac_f32 v126, v97, v68 :: v_dual_fmac_f32 v127, v99, v70
	v_dual_mul_f32 v64, v105, v77 :: v_dual_fmac_f32 v133, v111, v82
	v_fma_f32 v65, v102, v74, -v65
	v_dual_add_f32 v62, v62, v63 :: v_dual_fmac_f32 v135, v115, v86
	s_delay_alu instid0(VALU_DEP_4) | instskip(NEXT) | instid1(VALU_DEP_4)
	v_dual_add_f32 v60, v60, v126 :: v_dual_mul_f32 v63, v107, v79
	v_fma_f32 v64, v104, v76, -v64
	s_delay_alu instid0(VALU_DEP_3) | instskip(SKIP_3) | instid1(VALU_DEP_4)
	v_dual_add_f32 v62, v62, v65 :: v_dual_fmac_f32 v137, v123, v118
	v_dual_mul_f32 v128, v100, v73 :: v_dual_mul_f32 v129, v102, v75
	v_mul_f32_e32 v65, v109, v81
	v_fma_f32 v63, v106, v78, -v63
	v_add_f32_e32 v62, v62, v64
	s_delay_alu instid0(VALU_DEP_4) | instskip(SKIP_4) | instid1(VALU_DEP_4)
	v_dual_fmac_f32 v128, v101, v72 :: v_dual_fmac_f32 v129, v103, v74
	v_add_f32_e32 v60, v60, v127
	v_mul_f32_e32 v64, v111, v83
	v_fma_f32 v65, v108, v80, -v65
	v_dual_add_f32 v62, v62, v63 :: v_dual_mul_f32 v63, v113, v85
	v_add_f32_e32 v60, v60, v128
	s_delay_alu instid0(VALU_DEP_4) | instskip(SKIP_1) | instid1(VALU_DEP_4)
	v_fma_f32 v64, v110, v82, -v64
	v_fmac_f32_e32 v130, v105, v76
	v_dual_add_f32 v62, v62, v65 :: v_dual_mul_f32 v65, v115, v87
	s_delay_alu instid0(VALU_DEP_4) | instskip(SKIP_2) | instid1(VALU_DEP_4)
	v_add_f32_e32 v60, v60, v129
	v_fma_f32 v63, v112, v84, -v63
	v_fmac_f32_e32 v132, v109, v80
	v_add_f32_e32 v62, v62, v64
	v_fmac_f32_e32 v134, v113, v84
	v_mul_f32_e32 v64, v117, v89
	v_fma_f32 v65, v114, v86, -v65
	v_fmac_f32_e32 v136, v117, v88
	v_add_f32_e32 v62, v62, v63
	v_dual_mul_f32 v63, v123, v119 :: v_dual_add_f32 v60, v60, v130
	v_fma_f32 v64, v116, v88, -v64
	s_delay_alu instid0(VALU_DEP_3) | instskip(NEXT) | instid1(VALU_DEP_3)
	v_add_f32_e32 v62, v62, v65
	v_fma_f32 v63, v122, v118, -v63
	s_delay_alu instid0(VALU_DEP_4) | instskip(NEXT) | instid1(VALU_DEP_3)
	v_add_f32_e32 v60, v60, v131
	v_add_f32_e32 v62, v62, v64
	s_delay_alu instid0(VALU_DEP_2) | instskip(NEXT) | instid1(VALU_DEP_2)
	v_add_f32_e32 v60, v60, v132
	v_add_f32_e32 v62, v62, v63
	s_delay_alu instid0(VALU_DEP_2) | instskip(SKIP_1) | instid1(VALU_DEP_2)
	v_add_f32_e32 v60, v60, v133
	s_wait_loadcnt 0x0
	v_sub_f32_e32 v62, v120, v62
	s_delay_alu instid0(VALU_DEP_2) | instskip(NEXT) | instid1(VALU_DEP_1)
	v_add_f32_e32 v60, v60, v134
	v_add_f32_e32 v60, v60, v135
	s_delay_alu instid0(VALU_DEP_1) | instskip(NEXT) | instid1(VALU_DEP_1)
	v_add_f32_e32 v60, v60, v136
	v_add_f32_e32 v60, v60, v137
	s_delay_alu instid0(VALU_DEP_1)
	v_sub_f32_e32 v63, v121, v60
	scratch_store_b64 off, v[62:63], off offset:104
	v_cmpx_lt_u32_e32 12, v0
	s_cbranch_execz .LBB92_163
; %bb.162:
	scratch_load_b64 v[62:63], off, off offset:96
	v_mov_b32_e32 v60, v59
	scratch_store_b64 off, v[59:60], off offset:96
	s_wait_loadcnt 0x0
	ds_store_b64 v61, v[62:63]
.LBB92_163:
	s_wait_alu 0xfffe
	s_or_b32 exec_lo, exec_lo, s0
	s_wait_storecnt_dscnt 0x0
	s_barrier_signal -1
	s_barrier_wait -1
	global_inv scope:SCOPE_SE
	s_clause 0x8
	scratch_load_b128 v[62:65], off, off offset:104
	scratch_load_b128 v[66:69], off, off offset:120
	;; [unrolled: 1-line block ×8, first 2 shown]
	scratch_load_b64 v[126:127], off, off offset:96
	ds_load_2addr_b64 v[94:97], v59 offset0:43 offset1:44
	ds_load_2addr_b64 v[98:101], v59 offset0:45 offset1:46
	;; [unrolled: 1-line block ×8, first 2 shown]
	s_mov_b32 s0, exec_lo
	s_wait_loadcnt_dscnt 0x807
	v_dual_mul_f32 v59, v94, v63 :: v_dual_mul_f32 v60, v96, v65
	v_mul_f32_e32 v63, v95, v63
	s_wait_loadcnt_dscnt 0x706
	v_dual_mul_f32 v65, v97, v65 :: v_dual_mul_f32 v128, v98, v67
	s_delay_alu instid0(VALU_DEP_3) | instskip(NEXT) | instid1(VALU_DEP_3)
	v_dual_mul_f32 v129, v100, v69 :: v_dual_fmac_f32 v60, v97, v64
	v_fma_f32 v63, v94, v62, -v63
	v_fmac_f32_e32 v59, v95, v62
	v_mul_f32_e32 v62, v99, v67
	v_fma_f32 v64, v96, v64, -v65
	v_mul_f32_e32 v65, v101, v69
	v_dual_add_f32 v63, 0, v63 :: v_dual_fmac_f32 v128, v99, v66
	s_delay_alu instid0(VALU_DEP_4) | instskip(SKIP_2) | instid1(VALU_DEP_3)
	v_fma_f32 v62, v98, v66, -v62
	s_wait_loadcnt_dscnt 0x605
	v_dual_mul_f32 v130, v102, v71 :: v_dual_mul_f32 v131, v104, v73
	v_add_f32_e32 v63, v63, v64
	v_fmac_f32_e32 v129, v101, v68
	v_fma_f32 v64, v100, v68, -v65
	s_wait_loadcnt_dscnt 0x504
	v_dual_mul_f32 v132, v106, v75 :: v_dual_mul_f32 v133, v108, v77
	v_dual_add_f32 v62, v63, v62 :: v_dual_mul_f32 v63, v105, v73
	v_fmac_f32_e32 v130, v103, v70
	s_wait_loadcnt_dscnt 0x403
	v_dual_mul_f32 v134, v110, v79 :: v_dual_mul_f32 v135, v112, v81
	s_delay_alu instid0(VALU_DEP_3) | instskip(SKIP_3) | instid1(VALU_DEP_4)
	v_dual_add_f32 v62, v62, v64 :: v_dual_add_f32 v59, 0, v59
	v_mul_f32_e32 v64, v107, v75
	v_fma_f32 v63, v104, v72, -v63
	v_dual_fmac_f32 v131, v105, v72 :: v_dual_fmac_f32 v132, v107, v74
	v_add_f32_e32 v59, v59, v60
	v_mul_f32_e32 v60, v103, v71
	v_fma_f32 v64, v106, v74, -v64
	v_dual_fmac_f32 v133, v109, v76 :: v_dual_fmac_f32 v134, v111, v78
	s_wait_loadcnt_dscnt 0x302
	v_dual_mul_f32 v136, v114, v83 :: v_dual_mul_f32 v137, v116, v85
	v_fma_f32 v60, v102, v70, -v60
	s_wait_loadcnt_dscnt 0x201
	v_dual_mul_f32 v138, v118, v87 :: v_dual_mul_f32 v139, v120, v89
	s_wait_loadcnt_dscnt 0x100
	v_dual_mul_f32 v140, v122, v91 :: v_dual_mul_f32 v141, v124, v93
	v_add_f32_e32 v60, v62, v60
	v_mul_f32_e32 v62, v109, v77
	v_dual_fmac_f32 v138, v119, v86 :: v_dual_fmac_f32 v139, v121, v88
	s_delay_alu instid0(VALU_DEP_4) | instskip(NEXT) | instid1(VALU_DEP_4)
	v_dual_fmac_f32 v140, v123, v90 :: v_dual_fmac_f32 v141, v125, v92
	v_dual_add_f32 v60, v60, v63 :: v_dual_add_f32 v59, v59, v128
	v_mul_f32_e32 v63, v111, v79
	v_fma_f32 v62, v108, v76, -v62
	v_fmac_f32_e32 v135, v113, v80
	s_delay_alu instid0(VALU_DEP_4)
	v_add_f32_e32 v60, v60, v64
	v_mul_f32_e32 v64, v113, v81
	v_add_f32_e32 v59, v59, v129
	v_fma_f32 v63, v110, v78, -v63
	v_fmac_f32_e32 v136, v115, v82
	v_add_f32_e32 v60, v60, v62
	v_mul_f32_e32 v62, v115, v83
	v_add_f32_e32 v59, v59, v130
	v_fma_f32 v64, v112, v80, -v64
	s_delay_alu instid0(VALU_DEP_4) | instskip(SKIP_1) | instid1(VALU_DEP_4)
	v_dual_fmac_f32 v137, v117, v84 :: v_dual_add_f32 v60, v60, v63
	v_mul_f32_e32 v63, v117, v85
	v_add_f32_e32 v59, v59, v131
	v_fma_f32 v62, v114, v82, -v62
	s_delay_alu instid0(VALU_DEP_4) | instskip(NEXT) | instid1(VALU_DEP_4)
	v_add_f32_e32 v60, v60, v64
	v_fma_f32 v63, v116, v84, -v63
	s_delay_alu instid0(VALU_DEP_4) | instskip(SKIP_1) | instid1(VALU_DEP_4)
	v_add_f32_e32 v59, v59, v132
	v_mul_f32_e32 v64, v119, v87
	v_add_f32_e32 v60, v60, v62
	v_mul_f32_e32 v62, v121, v89
	s_delay_alu instid0(VALU_DEP_4) | instskip(NEXT) | instid1(VALU_DEP_4)
	v_add_f32_e32 v59, v59, v133
	v_fma_f32 v64, v118, v86, -v64
	s_delay_alu instid0(VALU_DEP_4) | instskip(SKIP_1) | instid1(VALU_DEP_4)
	v_add_f32_e32 v60, v60, v63
	v_mul_f32_e32 v63, v123, v91
	v_add_f32_e32 v59, v59, v134
	v_fma_f32 v62, v120, v88, -v62
	s_delay_alu instid0(VALU_DEP_4) | instskip(NEXT) | instid1(VALU_DEP_3)
	v_add_f32_e32 v60, v60, v64
	v_dual_mul_f32 v64, v125, v93 :: v_dual_add_f32 v59, v59, v135
	v_fma_f32 v63, v122, v90, -v63
	s_delay_alu instid0(VALU_DEP_3) | instskip(NEXT) | instid1(VALU_DEP_3)
	v_add_f32_e32 v60, v60, v62
	v_fma_f32 v62, v124, v92, -v64
	s_delay_alu instid0(VALU_DEP_2) | instskip(NEXT) | instid1(VALU_DEP_1)
	v_dual_add_f32 v59, v59, v136 :: v_dual_add_f32 v60, v60, v63
	v_dual_add_f32 v59, v59, v137 :: v_dual_add_f32 v60, v60, v62
	s_delay_alu instid0(VALU_DEP_1) | instskip(NEXT) | instid1(VALU_DEP_1)
	v_add_f32_e32 v59, v59, v138
	v_add_f32_e32 v59, v59, v139
	s_delay_alu instid0(VALU_DEP_1) | instskip(SKIP_1) | instid1(VALU_DEP_1)
	v_add_f32_e32 v59, v59, v140
	s_wait_loadcnt 0x0
	v_dual_add_f32 v62, v59, v141 :: v_dual_sub_f32 v59, v126, v60
	s_delay_alu instid0(VALU_DEP_1)
	v_sub_f32_e32 v60, v127, v62
	scratch_store_b64 off, v[59:60], off offset:96
	v_cmpx_lt_u32_e32 11, v0
	s_cbranch_execz .LBB92_165
; %bb.164:
	scratch_load_b64 v[59:60], off, off offset:88
	v_mov_b32_e32 v62, 0
	s_delay_alu instid0(VALU_DEP_1)
	v_mov_b32_e32 v63, v62
	scratch_store_b64 off, v[62:63], off offset:88
	s_wait_loadcnt 0x0
	ds_store_b64 v61, v[59:60]
.LBB92_165:
	s_wait_alu 0xfffe
	s_or_b32 exec_lo, exec_lo, s0
	s_wait_storecnt_dscnt 0x0
	s_barrier_signal -1
	s_barrier_wait -1
	global_inv scope:SCOPE_SE
	s_clause 0x9
	scratch_load_b128 v[62:65], off, off offset:96
	scratch_load_b128 v[66:69], off, off offset:112
	;; [unrolled: 1-line block ×8, first 2 shown]
	scratch_load_b64 v[126:127], off, off offset:224
	scratch_load_b64 v[128:129], off, off offset:88
	v_mov_b32_e32 v59, 0
	ds_load_b128 v[94:97], v59 offset:336
	ds_load_b128 v[98:101], v59 offset:352
	;; [unrolled: 1-line block ×8, first 2 shown]
	ds_load_b64 v[130:131], v59 offset:464
	s_mov_b32 s0, exec_lo
	s_wait_loadcnt_dscnt 0x908
	v_mul_f32_e32 v60, v94, v63
	s_wait_loadcnt_dscnt 0x807
	v_dual_mul_f32 v132, v96, v65 :: v_dual_mul_f32 v133, v98, v67
	v_mul_f32_e32 v63, v95, v63
	s_delay_alu instid0(VALU_DEP_3)
	v_dual_mul_f32 v65, v97, v65 :: v_dual_fmac_f32 v60, v95, v62
	s_wait_loadcnt_dscnt 0x302
	v_mul_f32_e32 v144, v120, v89
	v_dual_mul_f32 v134, v100, v69 :: v_dual_mul_f32 v135, v102, v71
	s_wait_loadcnt_dscnt 0x100
	v_mul_f32_e32 v147, v130, v127
	v_fma_f32 v63, v94, v62, -v63
	v_mul_f32_e32 v62, v99, v67
	v_fmac_f32_e32 v132, v97, v64
	v_fma_f32 v64, v96, v64, -v65
	v_dual_add_f32 v60, 0, v60 :: v_dual_mul_f32 v65, v101, v69
	v_add_f32_e32 v63, 0, v63
	v_fmac_f32_e32 v133, v99, v66
	v_fma_f32 v62, v98, v66, -v62
	s_delay_alu instid0(VALU_DEP_4)
	v_add_f32_e32 v60, v60, v132
	v_fma_f32 v65, v100, v68, -v65
	v_add_f32_e32 v63, v63, v64
	v_mul_f32_e32 v64, v103, v71
	v_dual_mul_f32 v138, v108, v77 :: v_dual_mul_f32 v139, v110, v79
	v_add_f32_e32 v60, v60, v133
	s_delay_alu instid0(VALU_DEP_4) | instskip(NEXT) | instid1(VALU_DEP_4)
	v_dual_add_f32 v62, v63, v62 :: v_dual_mul_f32 v63, v105, v73
	v_fma_f32 v64, v102, v70, -v64
	v_dual_mul_f32 v140, v112, v81 :: v_dual_mul_f32 v141, v114, v83
	s_delay_alu instid0(VALU_DEP_3) | instskip(NEXT) | instid1(VALU_DEP_4)
	v_dual_add_f32 v62, v62, v65 :: v_dual_mul_f32 v65, v107, v75
	v_fma_f32 v63, v104, v72, -v63
	v_dual_mul_f32 v142, v116, v85 :: v_dual_mul_f32 v143, v118, v87
	s_delay_alu instid0(VALU_DEP_3) | instskip(SKIP_3) | instid1(VALU_DEP_4)
	v_dual_add_f32 v62, v62, v64 :: v_dual_fmac_f32 v139, v111, v78
	v_dual_fmac_f32 v134, v101, v68 :: v_dual_fmac_f32 v135, v103, v70
	v_dual_mul_f32 v64, v109, v77 :: v_dual_fmac_f32 v141, v115, v82
	v_fma_f32 v65, v106, v74, -v65
	v_dual_add_f32 v62, v62, v63 :: v_dual_fmac_f32 v143, v119, v86
	v_dual_mul_f32 v145, v122, v91 :: v_dual_mul_f32 v146, v124, v93
	v_dual_add_f32 v60, v60, v134 :: v_dual_mul_f32 v63, v111, v79
	v_fma_f32 v64, v108, v76, -v64
	s_delay_alu instid0(VALU_DEP_3) | instskip(SKIP_3) | instid1(VALU_DEP_4)
	v_dual_add_f32 v62, v62, v65 :: v_dual_fmac_f32 v145, v123, v90
	v_dual_mul_f32 v136, v104, v73 :: v_dual_mul_f32 v137, v106, v75
	v_mul_f32_e32 v65, v113, v81
	v_fma_f32 v63, v110, v78, -v63
	v_add_f32_e32 v62, v62, v64
	s_delay_alu instid0(VALU_DEP_4) | instskip(SKIP_4) | instid1(VALU_DEP_4)
	v_dual_fmac_f32 v136, v105, v72 :: v_dual_fmac_f32 v137, v107, v74
	v_add_f32_e32 v60, v60, v135
	v_mul_f32_e32 v64, v115, v83
	v_fma_f32 v65, v112, v80, -v65
	v_dual_add_f32 v62, v62, v63 :: v_dual_mul_f32 v63, v117, v85
	v_add_f32_e32 v60, v60, v136
	s_delay_alu instid0(VALU_DEP_4) | instskip(SKIP_1) | instid1(VALU_DEP_4)
	v_fma_f32 v64, v114, v82, -v64
	v_fmac_f32_e32 v138, v109, v76
	v_dual_add_f32 v62, v62, v65 :: v_dual_mul_f32 v65, v119, v87
	s_delay_alu instid0(VALU_DEP_4) | instskip(SKIP_1) | instid1(VALU_DEP_3)
	v_dual_add_f32 v60, v60, v137 :: v_dual_fmac_f32 v147, v131, v126
	v_fma_f32 v63, v116, v84, -v63
	v_add_f32_e32 v62, v62, v64
	v_fmac_f32_e32 v140, v113, v80
	v_fmac_f32_e32 v142, v117, v84
	v_mul_f32_e32 v64, v121, v89
	v_fma_f32 v65, v118, v86, -v65
	v_add_f32_e32 v62, v62, v63
	v_dual_mul_f32 v63, v123, v91 :: v_dual_add_f32 v60, v60, v138
	v_fmac_f32_e32 v144, v121, v88
	v_fma_f32 v64, v120, v88, -v64
	s_delay_alu instid0(VALU_DEP_4) | instskip(NEXT) | instid1(VALU_DEP_4)
	v_add_f32_e32 v62, v62, v65
	v_dual_mul_f32 v65, v125, v93 :: v_dual_add_f32 v60, v60, v139
	v_fma_f32 v63, v122, v90, -v63
	v_fmac_f32_e32 v146, v125, v92
	s_delay_alu instid0(VALU_DEP_4) | instskip(SKIP_3) | instid1(VALU_DEP_4)
	v_add_f32_e32 v62, v62, v64
	v_mul_f32_e32 v64, v131, v127
	v_add_f32_e32 v60, v60, v140
	v_fma_f32 v65, v124, v92, -v65
	v_add_f32_e32 v62, v62, v63
	s_delay_alu instid0(VALU_DEP_4) | instskip(NEXT) | instid1(VALU_DEP_4)
	v_fma_f32 v63, v130, v126, -v64
	v_add_f32_e32 v60, v60, v141
	s_delay_alu instid0(VALU_DEP_3) | instskip(NEXT) | instid1(VALU_DEP_2)
	v_add_f32_e32 v62, v62, v65
	v_add_f32_e32 v60, v60, v142
	s_delay_alu instid0(VALU_DEP_2) | instskip(NEXT) | instid1(VALU_DEP_2)
	v_add_f32_e32 v62, v62, v63
	v_add_f32_e32 v60, v60, v143
	s_wait_loadcnt 0x0
	s_delay_alu instid0(VALU_DEP_2) | instskip(NEXT) | instid1(VALU_DEP_2)
	v_sub_f32_e32 v62, v128, v62
	v_add_f32_e32 v60, v60, v144
	s_delay_alu instid0(VALU_DEP_1) | instskip(NEXT) | instid1(VALU_DEP_1)
	v_add_f32_e32 v60, v60, v145
	v_add_f32_e32 v60, v60, v146
	s_delay_alu instid0(VALU_DEP_1) | instskip(NEXT) | instid1(VALU_DEP_1)
	v_add_f32_e32 v60, v60, v147
	v_sub_f32_e32 v63, v129, v60
	scratch_store_b64 off, v[62:63], off offset:88
	v_cmpx_lt_u32_e32 10, v0
	s_cbranch_execz .LBB92_167
; %bb.166:
	scratch_load_b64 v[62:63], off, off offset:80
	v_mov_b32_e32 v60, v59
	scratch_store_b64 off, v[59:60], off offset:80
	s_wait_loadcnt 0x0
	ds_store_b64 v61, v[62:63]
.LBB92_167:
	s_wait_alu 0xfffe
	s_or_b32 exec_lo, exec_lo, s0
	s_wait_storecnt_dscnt 0x0
	s_barrier_signal -1
	s_barrier_wait -1
	global_inv scope:SCOPE_SE
	s_clause 0x9
	scratch_load_b128 v[62:65], off, off offset:88
	scratch_load_b128 v[66:69], off, off offset:104
	;; [unrolled: 1-line block ×9, first 2 shown]
	scratch_load_b64 v[134:135], off, off offset:80
	ds_load_2addr_b64 v[98:101], v59 offset0:41 offset1:42
	ds_load_2addr_b64 v[102:105], v59 offset0:43 offset1:44
	;; [unrolled: 1-line block ×9, first 2 shown]
	s_mov_b32 s0, exec_lo
	s_wait_loadcnt_dscnt 0x908
	v_dual_mul_f32 v59, v98, v63 :: v_dual_mul_f32 v60, v100, v65
	v_mul_f32_e32 v63, v99, v63
	s_wait_loadcnt_dscnt 0x807
	v_dual_mul_f32 v65, v101, v65 :: v_dual_mul_f32 v136, v102, v67
	s_delay_alu instid0(VALU_DEP_3) | instskip(NEXT) | instid1(VALU_DEP_3)
	v_dual_mul_f32 v137, v104, v69 :: v_dual_fmac_f32 v60, v101, v64
	v_fma_f32 v63, v98, v62, -v63
	v_fmac_f32_e32 v59, v99, v62
	v_mul_f32_e32 v62, v103, v67
	v_fma_f32 v64, v100, v64, -v65
	v_mul_f32_e32 v65, v105, v69
	v_dual_add_f32 v63, 0, v63 :: v_dual_fmac_f32 v136, v103, v66
	s_delay_alu instid0(VALU_DEP_4) | instskip(SKIP_2) | instid1(VALU_DEP_3)
	v_fma_f32 v62, v102, v66, -v62
	s_wait_loadcnt_dscnt 0x706
	v_dual_mul_f32 v138, v106, v71 :: v_dual_mul_f32 v139, v108, v73
	v_add_f32_e32 v63, v63, v64
	v_fmac_f32_e32 v137, v105, v68
	v_fma_f32 v64, v104, v68, -v65
	s_wait_loadcnt_dscnt 0x605
	v_dual_mul_f32 v140, v110, v75 :: v_dual_mul_f32 v141, v112, v77
	v_dual_add_f32 v62, v63, v62 :: v_dual_mul_f32 v63, v109, v73
	v_fmac_f32_e32 v138, v107, v70
	s_wait_loadcnt_dscnt 0x504
	v_dual_mul_f32 v142, v114, v79 :: v_dual_mul_f32 v143, v116, v81
	s_delay_alu instid0(VALU_DEP_3) | instskip(SKIP_3) | instid1(VALU_DEP_4)
	v_dual_add_f32 v62, v62, v64 :: v_dual_add_f32 v59, 0, v59
	v_mul_f32_e32 v64, v111, v75
	v_fma_f32 v63, v108, v72, -v63
	v_dual_fmac_f32 v139, v109, v72 :: v_dual_fmac_f32 v140, v111, v74
	v_add_f32_e32 v59, v59, v60
	v_mul_f32_e32 v60, v107, v71
	v_fma_f32 v64, v110, v74, -v64
	v_dual_fmac_f32 v141, v113, v76 :: v_dual_fmac_f32 v142, v115, v78
	s_wait_loadcnt_dscnt 0x403
	v_dual_mul_f32 v144, v118, v83 :: v_dual_mul_f32 v145, v120, v85
	v_fma_f32 v60, v106, v70, -v60
	s_wait_loadcnt_dscnt 0x302
	v_dual_mul_f32 v146, v122, v87 :: v_dual_mul_f32 v147, v124, v89
	s_wait_loadcnt_dscnt 0x201
	v_dual_mul_f32 v148, v126, v91 :: v_dual_mul_f32 v149, v128, v93
	v_add_f32_e32 v60, v62, v60
	v_mul_f32_e32 v62, v113, v77
	v_dual_fmac_f32 v146, v123, v86 :: v_dual_fmac_f32 v147, v125, v88
	s_delay_alu instid0(VALU_DEP_4) | instskip(NEXT) | instid1(VALU_DEP_4)
	v_dual_fmac_f32 v148, v127, v90 :: v_dual_fmac_f32 v149, v129, v92
	v_dual_add_f32 v60, v60, v63 :: v_dual_add_f32 v59, v59, v136
	v_mul_f32_e32 v63, v115, v79
	v_fma_f32 v62, v112, v76, -v62
	v_fmac_f32_e32 v143, v117, v80
	s_delay_alu instid0(VALU_DEP_4)
	v_add_f32_e32 v60, v60, v64
	v_mul_f32_e32 v64, v117, v81
	v_add_f32_e32 v59, v59, v137
	v_fma_f32 v63, v114, v78, -v63
	v_fmac_f32_e32 v144, v119, v82
	v_add_f32_e32 v60, v60, v62
	v_mul_f32_e32 v62, v119, v83
	v_add_f32_e32 v59, v59, v138
	v_fma_f32 v64, v116, v80, -v64
	s_delay_alu instid0(VALU_DEP_4) | instskip(SKIP_1) | instid1(VALU_DEP_4)
	v_dual_fmac_f32 v145, v121, v84 :: v_dual_add_f32 v60, v60, v63
	v_mul_f32_e32 v63, v121, v85
	v_add_f32_e32 v59, v59, v139
	v_fma_f32 v62, v118, v82, -v62
	s_wait_loadcnt_dscnt 0x100
	v_dual_mul_f32 v150, v130, v95 :: v_dual_mul_f32 v151, v132, v97
	v_add_f32_e32 v60, v60, v64
	v_add_f32_e32 v59, v59, v140
	v_fma_f32 v63, v120, v84, -v63
	v_mul_f32_e32 v64, v123, v87
	v_dual_fmac_f32 v150, v131, v94 :: v_dual_fmac_f32 v151, v133, v96
	s_delay_alu instid0(VALU_DEP_4) | instskip(SKIP_1) | instid1(VALU_DEP_4)
	v_dual_add_f32 v60, v60, v62 :: v_dual_add_f32 v59, v59, v141
	v_mul_f32_e32 v62, v125, v89
	v_fma_f32 v64, v122, v86, -v64
	s_delay_alu instid0(VALU_DEP_3) | instskip(SKIP_1) | instid1(VALU_DEP_4)
	v_dual_add_f32 v60, v60, v63 :: v_dual_add_f32 v59, v59, v142
	v_mul_f32_e32 v63, v127, v91
	v_fma_f32 v62, v124, v88, -v62
	s_delay_alu instid0(VALU_DEP_3) | instskip(SKIP_1) | instid1(VALU_DEP_4)
	;; [unrolled: 4-line block ×4, first 2 shown]
	v_dual_add_f32 v60, v60, v63 :: v_dual_add_f32 v59, v59, v145
	v_mul_f32_e32 v63, v133, v97
	v_fma_f32 v62, v130, v94, -v62
	s_delay_alu instid0(VALU_DEP_3) | instskip(NEXT) | instid1(VALU_DEP_3)
	v_dual_add_f32 v60, v60, v64 :: v_dual_add_f32 v59, v59, v146
	v_fma_f32 v63, v132, v96, -v63
	s_delay_alu instid0(VALU_DEP_2) | instskip(NEXT) | instid1(VALU_DEP_1)
	v_dual_add_f32 v60, v60, v62 :: v_dual_add_f32 v59, v59, v147
	v_dual_add_f32 v60, v60, v63 :: v_dual_add_f32 v59, v59, v148
	s_delay_alu instid0(VALU_DEP_1) | instskip(NEXT) | instid1(VALU_DEP_1)
	v_add_f32_e32 v59, v59, v149
	v_add_f32_e32 v59, v59, v150
	s_wait_loadcnt 0x0
	s_delay_alu instid0(VALU_DEP_1) | instskip(NEXT) | instid1(VALU_DEP_1)
	v_dual_add_f32 v62, v59, v151 :: v_dual_sub_f32 v59, v134, v60
	v_sub_f32_e32 v60, v135, v62
	scratch_store_b64 off, v[59:60], off offset:80
	v_cmpx_lt_u32_e32 9, v0
	s_cbranch_execz .LBB92_169
; %bb.168:
	scratch_load_b64 v[59:60], off, off offset:72
	v_mov_b32_e32 v62, 0
	s_delay_alu instid0(VALU_DEP_1)
	v_mov_b32_e32 v63, v62
	scratch_store_b64 off, v[62:63], off offset:72
	s_wait_loadcnt 0x0
	ds_store_b64 v61, v[59:60]
.LBB92_169:
	s_wait_alu 0xfffe
	s_or_b32 exec_lo, exec_lo, s0
	s_wait_storecnt_dscnt 0x0
	s_barrier_signal -1
	s_barrier_wait -1
	global_inv scope:SCOPE_SE
	s_clause 0xa
	scratch_load_b128 v[62:65], off, off offset:80
	scratch_load_b128 v[66:69], off, off offset:96
	;; [unrolled: 1-line block ×9, first 2 shown]
	scratch_load_b64 v[134:135], off, off offset:224
	scratch_load_b64 v[136:137], off, off offset:72
	v_mov_b32_e32 v59, 0
	ds_load_b128 v[98:101], v59 offset:320
	ds_load_b128 v[102:105], v59 offset:336
	;; [unrolled: 1-line block ×9, first 2 shown]
	ds_load_b64 v[138:139], v59 offset:464
	s_mov_b32 s0, exec_lo
	s_wait_loadcnt_dscnt 0xa09
	v_mul_f32_e32 v60, v98, v63
	s_wait_loadcnt_dscnt 0x908
	v_dual_mul_f32 v140, v100, v65 :: v_dual_mul_f32 v141, v102, v67
	v_mul_f32_e32 v63, v99, v63
	s_delay_alu instid0(VALU_DEP_3)
	v_dual_mul_f32 v65, v101, v65 :: v_dual_fmac_f32 v60, v99, v62
	s_wait_loadcnt_dscnt 0x807
	v_dual_mul_f32 v142, v104, v69 :: v_dual_mul_f32 v143, v106, v71
	s_wait_loadcnt_dscnt 0x100
	v_dual_mul_f32 v154, v128, v93 :: v_dual_mul_f32 v157, v138, v135
	v_fma_f32 v63, v98, v62, -v63
	v_mul_f32_e32 v62, v103, v67
	v_fmac_f32_e32 v140, v101, v64
	v_fma_f32 v64, v100, v64, -v65
	v_dual_add_f32 v60, 0, v60 :: v_dual_mul_f32 v65, v105, v69
	v_add_f32_e32 v63, 0, v63
	v_fmac_f32_e32 v141, v103, v66
	v_fma_f32 v62, v102, v66, -v62
	s_delay_alu instid0(VALU_DEP_4)
	v_add_f32_e32 v60, v60, v140
	v_fma_f32 v65, v104, v68, -v65
	v_add_f32_e32 v63, v63, v64
	v_mul_f32_e32 v64, v107, v71
	v_dual_mul_f32 v146, v112, v77 :: v_dual_mul_f32 v147, v114, v79
	v_add_f32_e32 v60, v60, v141
	s_delay_alu instid0(VALU_DEP_4) | instskip(NEXT) | instid1(VALU_DEP_4)
	v_dual_add_f32 v62, v63, v62 :: v_dual_mul_f32 v63, v109, v73
	v_fma_f32 v64, v106, v70, -v64
	v_dual_mul_f32 v148, v116, v81 :: v_dual_mul_f32 v149, v118, v83
	s_delay_alu instid0(VALU_DEP_3) | instskip(NEXT) | instid1(VALU_DEP_4)
	v_dual_add_f32 v62, v62, v65 :: v_dual_mul_f32 v65, v111, v75
	v_fma_f32 v63, v108, v72, -v63
	v_dual_mul_f32 v150, v120, v85 :: v_dual_mul_f32 v151, v122, v87
	s_delay_alu instid0(VALU_DEP_3) | instskip(SKIP_3) | instid1(VALU_DEP_4)
	v_dual_add_f32 v62, v62, v64 :: v_dual_fmac_f32 v147, v115, v78
	v_dual_fmac_f32 v142, v105, v68 :: v_dual_fmac_f32 v143, v107, v70
	v_dual_mul_f32 v64, v113, v77 :: v_dual_fmac_f32 v149, v119, v82
	v_fma_f32 v65, v110, v74, -v65
	v_dual_add_f32 v62, v62, v63 :: v_dual_fmac_f32 v151, v123, v86
	v_dual_mul_f32 v152, v124, v89 :: v_dual_mul_f32 v153, v126, v91
	v_dual_add_f32 v60, v60, v142 :: v_dual_mul_f32 v63, v115, v79
	v_fma_f32 v64, v112, v76, -v64
	s_delay_alu instid0(VALU_DEP_3) | instskip(SKIP_1) | instid1(VALU_DEP_4)
	v_dual_add_f32 v62, v62, v65 :: v_dual_fmac_f32 v153, v127, v90
	v_mul_f32_e32 v65, v117, v81
	v_fma_f32 v63, v114, v78, -v63
	v_dual_mul_f32 v144, v108, v73 :: v_dual_mul_f32 v145, v110, v75
	s_delay_alu instid0(VALU_DEP_4) | instskip(SKIP_2) | instid1(VALU_DEP_4)
	v_add_f32_e32 v62, v62, v64
	v_mul_f32_e32 v64, v119, v83
	v_fma_f32 v65, v116, v80, -v65
	v_dual_fmac_f32 v144, v109, v72 :: v_dual_fmac_f32 v145, v111, v74
	s_delay_alu instid0(VALU_DEP_4) | instskip(SKIP_2) | instid1(VALU_DEP_3)
	v_dual_add_f32 v62, v62, v63 :: v_dual_fmac_f32 v157, v139, v134
	v_dual_add_f32 v60, v60, v143 :: v_dual_mul_f32 v63, v121, v85
	v_fma_f32 v64, v118, v82, -v64
	v_dual_add_f32 v62, v62, v65 :: v_dual_mul_f32 v65, v123, v87
	s_delay_alu instid0(VALU_DEP_3) | instskip(NEXT) | instid1(VALU_DEP_4)
	v_add_f32_e32 v60, v60, v144
	v_fma_f32 v63, v120, v84, -v63
	v_dual_mul_f32 v155, v130, v95 :: v_dual_mul_f32 v156, v132, v97
	s_delay_alu instid0(VALU_DEP_4)
	v_add_f32_e32 v62, v62, v64
	v_mul_f32_e32 v64, v125, v89
	v_fma_f32 v65, v122, v86, -v65
	v_fmac_f32_e32 v146, v113, v76
	v_dual_add_f32 v60, v60, v145 :: v_dual_fmac_f32 v155, v131, v94
	v_add_f32_e32 v62, v62, v63
	v_mul_f32_e32 v63, v127, v91
	v_fma_f32 v64, v124, v88, -v64
	s_delay_alu instid0(VALU_DEP_4)
	v_add_f32_e32 v60, v60, v146
	v_fmac_f32_e32 v148, v117, v80
	v_add_f32_e32 v62, v62, v65
	v_mul_f32_e32 v65, v129, v93
	v_fma_f32 v63, v126, v90, -v63
	v_fmac_f32_e32 v150, v121, v84
	v_fmac_f32_e32 v152, v125, v88
	v_add_f32_e32 v62, v62, v64
	v_fma_f32 v65, v128, v92, -v65
	v_mul_f32_e32 v64, v131, v95
	v_fmac_f32_e32 v154, v129, v92
	v_fmac_f32_e32 v156, v133, v96
	v_dual_add_f32 v62, v62, v63 :: v_dual_mul_f32 v63, v133, v97
	v_add_f32_e32 v60, v60, v147
	v_fma_f32 v64, v130, v94, -v64
	s_delay_alu instid0(VALU_DEP_3) | instskip(NEXT) | instid1(VALU_DEP_3)
	v_dual_add_f32 v62, v62, v65 :: v_dual_mul_f32 v65, v139, v135
	v_add_f32_e32 v60, v60, v148
	v_fma_f32 v63, v132, v96, -v63
	s_delay_alu instid0(VALU_DEP_3) | instskip(NEXT) | instid1(VALU_DEP_4)
	v_add_f32_e32 v62, v62, v64
	v_fma_f32 v64, v138, v134, -v65
	s_delay_alu instid0(VALU_DEP_4) | instskip(NEXT) | instid1(VALU_DEP_3)
	v_add_f32_e32 v60, v60, v149
	v_add_f32_e32 v62, v62, v63
	s_delay_alu instid0(VALU_DEP_2) | instskip(NEXT) | instid1(VALU_DEP_2)
	v_add_f32_e32 v60, v60, v150
	v_add_f32_e32 v62, v62, v64
	s_delay_alu instid0(VALU_DEP_2) | instskip(SKIP_1) | instid1(VALU_DEP_2)
	v_add_f32_e32 v60, v60, v151
	s_wait_loadcnt 0x0
	v_sub_f32_e32 v62, v136, v62
	s_delay_alu instid0(VALU_DEP_2) | instskip(NEXT) | instid1(VALU_DEP_1)
	v_add_f32_e32 v60, v60, v152
	v_add_f32_e32 v60, v60, v153
	s_delay_alu instid0(VALU_DEP_1) | instskip(NEXT) | instid1(VALU_DEP_1)
	v_add_f32_e32 v60, v60, v154
	v_add_f32_e32 v60, v60, v155
	s_delay_alu instid0(VALU_DEP_1) | instskip(NEXT) | instid1(VALU_DEP_1)
	v_add_f32_e32 v60, v60, v156
	v_add_f32_e32 v60, v60, v157
	s_delay_alu instid0(VALU_DEP_1)
	v_sub_f32_e32 v63, v137, v60
	scratch_store_b64 off, v[62:63], off offset:72
	v_cmpx_lt_u32_e32 8, v0
	s_cbranch_execz .LBB92_171
; %bb.170:
	scratch_load_b64 v[62:63], off, off offset:64
	v_mov_b32_e32 v60, v59
	scratch_store_b64 off, v[59:60], off offset:64
	s_wait_loadcnt 0x0
	ds_store_b64 v61, v[62:63]
.LBB92_171:
	s_wait_alu 0xfffe
	s_or_b32 exec_lo, exec_lo, s0
	s_wait_storecnt_dscnt 0x0
	s_barrier_signal -1
	s_barrier_wait -1
	global_inv scope:SCOPE_SE
	s_clause 0xa
	scratch_load_b128 v[62:65], off, off offset:72
	scratch_load_b128 v[66:69], off, off offset:88
	;; [unrolled: 1-line block ×10, first 2 shown]
	scratch_load_b64 v[142:143], off, off offset:64
	ds_load_2addr_b64 v[102:105], v59 offset0:39 offset1:40
	ds_load_2addr_b64 v[106:109], v59 offset0:41 offset1:42
	;; [unrolled: 1-line block ×10, first 2 shown]
	s_mov_b32 s0, exec_lo
	s_wait_loadcnt_dscnt 0xa09
	v_dual_mul_f32 v59, v102, v63 :: v_dual_mul_f32 v60, v104, v65
	v_mul_f32_e32 v63, v103, v63
	s_wait_loadcnt_dscnt 0x908
	v_dual_mul_f32 v65, v105, v65 :: v_dual_mul_f32 v144, v106, v67
	s_delay_alu instid0(VALU_DEP_3) | instskip(NEXT) | instid1(VALU_DEP_3)
	v_dual_mul_f32 v145, v108, v69 :: v_dual_fmac_f32 v60, v105, v64
	v_fma_f32 v63, v102, v62, -v63
	v_fmac_f32_e32 v59, v103, v62
	v_mul_f32_e32 v62, v107, v67
	v_fma_f32 v64, v104, v64, -v65
	v_mul_f32_e32 v65, v109, v69
	v_dual_add_f32 v63, 0, v63 :: v_dual_fmac_f32 v144, v107, v66
	s_delay_alu instid0(VALU_DEP_4) | instskip(SKIP_2) | instid1(VALU_DEP_3)
	v_fma_f32 v62, v106, v66, -v62
	s_wait_loadcnt_dscnt 0x807
	v_dual_mul_f32 v146, v110, v71 :: v_dual_mul_f32 v147, v112, v73
	v_add_f32_e32 v63, v63, v64
	v_fmac_f32_e32 v145, v109, v68
	v_fma_f32 v64, v108, v68, -v65
	s_wait_loadcnt_dscnt 0x706
	v_dual_mul_f32 v148, v114, v75 :: v_dual_mul_f32 v149, v116, v77
	v_dual_add_f32 v62, v63, v62 :: v_dual_mul_f32 v63, v113, v73
	v_fmac_f32_e32 v146, v111, v70
	s_wait_loadcnt_dscnt 0x605
	v_dual_mul_f32 v150, v118, v79 :: v_dual_mul_f32 v151, v120, v81
	s_delay_alu instid0(VALU_DEP_3) | instskip(SKIP_3) | instid1(VALU_DEP_4)
	v_dual_add_f32 v62, v62, v64 :: v_dual_add_f32 v59, 0, v59
	v_mul_f32_e32 v64, v115, v75
	v_fma_f32 v63, v112, v72, -v63
	v_dual_fmac_f32 v147, v113, v72 :: v_dual_fmac_f32 v148, v115, v74
	v_add_f32_e32 v59, v59, v60
	v_mul_f32_e32 v60, v111, v71
	v_fma_f32 v64, v114, v74, -v64
	v_dual_fmac_f32 v149, v117, v76 :: v_dual_fmac_f32 v150, v119, v78
	s_wait_loadcnt_dscnt 0x504
	v_dual_mul_f32 v152, v122, v83 :: v_dual_mul_f32 v153, v124, v85
	v_fma_f32 v60, v110, v70, -v60
	s_wait_loadcnt_dscnt 0x403
	v_dual_mul_f32 v154, v126, v87 :: v_dual_mul_f32 v155, v128, v89
	s_wait_loadcnt_dscnt 0x302
	v_dual_mul_f32 v156, v130, v91 :: v_dual_mul_f32 v157, v132, v93
	v_add_f32_e32 v60, v62, v60
	v_mul_f32_e32 v62, v117, v77
	v_dual_fmac_f32 v154, v127, v86 :: v_dual_fmac_f32 v155, v129, v88
	s_delay_alu instid0(VALU_DEP_4) | instskip(NEXT) | instid1(VALU_DEP_4)
	v_dual_fmac_f32 v156, v131, v90 :: v_dual_fmac_f32 v157, v133, v92
	v_dual_add_f32 v60, v60, v63 :: v_dual_add_f32 v59, v59, v144
	v_mul_f32_e32 v63, v119, v79
	v_fma_f32 v62, v116, v76, -v62
	v_fmac_f32_e32 v151, v121, v80
	s_delay_alu instid0(VALU_DEP_4)
	v_add_f32_e32 v60, v60, v64
	v_mul_f32_e32 v64, v121, v81
	v_add_f32_e32 v59, v59, v145
	v_fma_f32 v63, v118, v78, -v63
	v_fmac_f32_e32 v152, v123, v82
	v_add_f32_e32 v60, v60, v62
	v_mul_f32_e32 v62, v123, v83
	v_add_f32_e32 v59, v59, v146
	v_fma_f32 v64, v120, v80, -v64
	s_delay_alu instid0(VALU_DEP_4) | instskip(SKIP_1) | instid1(VALU_DEP_4)
	v_dual_fmac_f32 v153, v125, v84 :: v_dual_add_f32 v60, v60, v63
	v_mul_f32_e32 v63, v125, v85
	v_add_f32_e32 v59, v59, v147
	v_fma_f32 v62, v122, v82, -v62
	s_wait_loadcnt_dscnt 0x201
	v_dual_mul_f32 v158, v134, v95 :: v_dual_mul_f32 v159, v136, v97
	v_add_f32_e32 v60, v60, v64
	v_add_f32_e32 v59, v59, v148
	v_fma_f32 v63, v124, v84, -v63
	v_mul_f32_e32 v64, v127, v87
	s_wait_loadcnt_dscnt 0x100
	v_dual_mul_f32 v160, v138, v99 :: v_dual_mul_f32 v161, v140, v101
	v_dual_add_f32 v60, v60, v62 :: v_dual_add_f32 v59, v59, v149
	v_mul_f32_e32 v62, v129, v89
	v_fma_f32 v64, v126, v86, -v64
	v_dual_fmac_f32 v158, v135, v94 :: v_dual_fmac_f32 v159, v137, v96
	s_delay_alu instid0(VALU_DEP_4) | instskip(SKIP_3) | instid1(VALU_DEP_4)
	v_dual_add_f32 v60, v60, v63 :: v_dual_add_f32 v59, v59, v150
	v_mul_f32_e32 v63, v131, v91
	v_fma_f32 v62, v128, v88, -v62
	v_fmac_f32_e32 v161, v141, v100
	v_dual_add_f32 v60, v60, v64 :: v_dual_add_f32 v59, v59, v151
	v_mul_f32_e32 v64, v133, v93
	v_fma_f32 v63, v130, v90, -v63
	s_delay_alu instid0(VALU_DEP_3) | instskip(SKIP_1) | instid1(VALU_DEP_4)
	v_dual_add_f32 v60, v60, v62 :: v_dual_add_f32 v59, v59, v152
	v_mul_f32_e32 v62, v135, v95
	v_fma_f32 v64, v132, v92, -v64
	s_delay_alu instid0(VALU_DEP_3) | instskip(SKIP_1) | instid1(VALU_DEP_4)
	;; [unrolled: 4-line block ×4, first 2 shown]
	v_dual_add_f32 v60, v60, v62 :: v_dual_add_f32 v59, v59, v155
	v_mul_f32_e32 v62, v141, v101
	v_fma_f32 v64, v138, v98, -v64
	s_delay_alu instid0(VALU_DEP_3) | instskip(NEXT) | instid1(VALU_DEP_3)
	v_dual_add_f32 v60, v60, v63 :: v_dual_add_f32 v59, v59, v156
	v_fma_f32 v62, v140, v100, -v62
	s_delay_alu instid0(VALU_DEP_2) | instskip(NEXT) | instid1(VALU_DEP_1)
	v_dual_add_f32 v60, v60, v64 :: v_dual_add_f32 v59, v59, v157
	v_add_f32_e32 v60, v60, v62
	s_delay_alu instid0(VALU_DEP_2) | instskip(SKIP_1) | instid1(VALU_DEP_2)
	v_add_f32_e32 v59, v59, v158
	v_fmac_f32_e32 v160, v139, v98
	v_add_f32_e32 v59, v59, v159
	s_delay_alu instid0(VALU_DEP_1) | instskip(SKIP_1) | instid1(VALU_DEP_1)
	v_add_f32_e32 v59, v59, v160
	s_wait_loadcnt 0x0
	v_dual_add_f32 v62, v59, v161 :: v_dual_sub_f32 v59, v142, v60
	s_delay_alu instid0(VALU_DEP_1)
	v_sub_f32_e32 v60, v143, v62
	scratch_store_b64 off, v[59:60], off offset:64
	v_cmpx_lt_u32_e32 7, v0
	s_cbranch_execz .LBB92_173
; %bb.172:
	scratch_load_b64 v[59:60], off, off offset:56
	v_mov_b32_e32 v62, 0
	s_delay_alu instid0(VALU_DEP_1)
	v_mov_b32_e32 v63, v62
	scratch_store_b64 off, v[62:63], off offset:56
	s_wait_loadcnt 0x0
	ds_store_b64 v61, v[59:60]
.LBB92_173:
	s_wait_alu 0xfffe
	s_or_b32 exec_lo, exec_lo, s0
	s_wait_storecnt_dscnt 0x0
	s_barrier_signal -1
	s_barrier_wait -1
	global_inv scope:SCOPE_SE
	s_clause 0xb
	scratch_load_b128 v[62:65], off, off offset:64
	scratch_load_b128 v[66:69], off, off offset:80
	;; [unrolled: 1-line block ×10, first 2 shown]
	scratch_load_b64 v[142:143], off, off offset:224
	scratch_load_b64 v[144:145], off, off offset:56
	v_mov_b32_e32 v59, 0
	ds_load_b128 v[102:105], v59 offset:304
	ds_load_b128 v[106:109], v59 offset:320
	;; [unrolled: 1-line block ×10, first 2 shown]
	ds_load_b64 v[146:147], v59 offset:464
	s_mov_b32 s0, exec_lo
	s_wait_loadcnt_dscnt 0xb0a
	v_mul_f32_e32 v60, v102, v63
	s_wait_loadcnt_dscnt 0xa09
	v_dual_mul_f32 v148, v104, v65 :: v_dual_mul_f32 v149, v106, v67
	v_mul_f32_e32 v65, v105, v65
	v_dual_mul_f32 v63, v103, v63 :: v_dual_mul_f32 v150, v108, v69
	s_wait_loadcnt_dscnt 0x908
	v_dual_mul_f32 v151, v110, v71 :: v_dual_fmac_f32 v60, v103, v62
	s_wait_loadcnt_dscnt 0x302
	v_mul_f32_e32 v164, v136, v97
	v_fma_f32 v63, v102, v62, -v63
	s_wait_loadcnt_dscnt 0x100
	v_mul_f32_e32 v167, v146, v143
	v_mul_f32_e32 v62, v107, v67
	v_fmac_f32_e32 v148, v105, v64
	v_fma_f32 v64, v104, v64, -v65
	v_dual_add_f32 v63, 0, v63 :: v_dual_add_f32 v60, 0, v60
	v_mul_f32_e32 v65, v109, v69
	v_fmac_f32_e32 v149, v107, v66
	v_fma_f32 v62, v106, v66, -v62
	v_dual_mul_f32 v154, v116, v77 :: v_dual_mul_f32 v155, v118, v79
	v_add_f32_e32 v60, v60, v148
	v_add_f32_e32 v63, v63, v64
	v_mul_f32_e32 v64, v111, v71
	v_fma_f32 v65, v108, v68, -v65
	v_dual_mul_f32 v156, v120, v81 :: v_dual_mul_f32 v157, v122, v83
	v_add_f32_e32 v60, v60, v149
	v_dual_add_f32 v62, v63, v62 :: v_dual_mul_f32 v63, v113, v73
	v_fma_f32 v64, v110, v70, -v64
	v_dual_mul_f32 v158, v124, v85 :: v_dual_mul_f32 v159, v126, v87
	s_delay_alu instid0(VALU_DEP_3) | instskip(NEXT) | instid1(VALU_DEP_4)
	v_dual_add_f32 v62, v62, v65 :: v_dual_mul_f32 v65, v115, v75
	v_fma_f32 v63, v112, v72, -v63
	v_dual_fmac_f32 v150, v109, v68 :: v_dual_fmac_f32 v151, v111, v70
	s_delay_alu instid0(VALU_DEP_3) | instskip(SKIP_2) | instid1(VALU_DEP_3)
	v_dual_add_f32 v62, v62, v64 :: v_dual_fmac_f32 v155, v119, v78
	v_dual_mul_f32 v64, v117, v77 :: v_dual_fmac_f32 v157, v123, v82
	v_fma_f32 v65, v114, v74, -v65
	v_dual_add_f32 v62, v62, v63 :: v_dual_fmac_f32 v159, v127, v86
	v_dual_mul_f32 v160, v128, v89 :: v_dual_mul_f32 v161, v130, v91
	v_dual_add_f32 v60, v60, v150 :: v_dual_mul_f32 v63, v119, v79
	v_fma_f32 v64, v116, v76, -v64
	s_delay_alu instid0(VALU_DEP_3) | instskip(SKIP_1) | instid1(VALU_DEP_4)
	v_dual_add_f32 v62, v62, v65 :: v_dual_fmac_f32 v161, v131, v90
	v_mul_f32_e32 v65, v121, v81
	v_fma_f32 v63, v118, v78, -v63
	v_dual_mul_f32 v152, v112, v73 :: v_dual_mul_f32 v153, v114, v75
	s_delay_alu instid0(VALU_DEP_4) | instskip(SKIP_3) | instid1(VALU_DEP_3)
	v_add_f32_e32 v62, v62, v64
	v_dual_mul_f32 v165, v138, v99 :: v_dual_mul_f32 v166, v140, v101
	v_mul_f32_e32 v64, v123, v83
	v_fma_f32 v65, v120, v80, -v65
	v_dual_add_f32 v62, v62, v63 :: v_dual_fmac_f32 v165, v139, v98
	v_dual_fmac_f32 v152, v113, v72 :: v_dual_fmac_f32 v153, v115, v74
	v_dual_add_f32 v60, v60, v151 :: v_dual_mul_f32 v63, v125, v85
	v_fma_f32 v64, v122, v82, -v64
	s_delay_alu instid0(VALU_DEP_4) | instskip(NEXT) | instid1(VALU_DEP_3)
	v_dual_add_f32 v62, v62, v65 :: v_dual_mul_f32 v65, v127, v87
	v_add_f32_e32 v60, v60, v152
	s_delay_alu instid0(VALU_DEP_4) | instskip(SKIP_1) | instid1(VALU_DEP_4)
	v_fma_f32 v63, v124, v84, -v63
	v_dual_mul_f32 v162, v132, v93 :: v_dual_mul_f32 v163, v134, v95
	v_add_f32_e32 v62, v62, v64
	v_mul_f32_e32 v64, v129, v89
	v_fma_f32 v65, v126, v86, -v65
	v_fmac_f32_e32 v154, v117, v76
	v_dual_add_f32 v60, v60, v153 :: v_dual_fmac_f32 v163, v135, v94
	v_add_f32_e32 v62, v62, v63
	v_mul_f32_e32 v63, v131, v91
	v_fma_f32 v64, v128, v88, -v64
	s_delay_alu instid0(VALU_DEP_4)
	v_add_f32_e32 v60, v60, v154
	v_fmac_f32_e32 v156, v121, v80
	v_add_f32_e32 v62, v62, v65
	v_mul_f32_e32 v65, v133, v93
	v_fma_f32 v63, v130, v90, -v63
	v_dual_fmac_f32 v167, v147, v142 :: v_dual_fmac_f32 v158, v125, v84
	s_delay_alu instid0(VALU_DEP_4) | instskip(NEXT) | instid1(VALU_DEP_4)
	v_add_f32_e32 v62, v62, v64
	v_fma_f32 v65, v132, v92, -v65
	v_fmac_f32_e32 v160, v129, v88
	v_mul_f32_e32 v64, v135, v95
	v_fmac_f32_e32 v162, v133, v92
	v_dual_add_f32 v62, v62, v63 :: v_dual_mul_f32 v63, v137, v97
	v_add_f32_e32 v60, v60, v155
	s_delay_alu instid0(VALU_DEP_4) | instskip(SKIP_1) | instid1(VALU_DEP_4)
	v_fma_f32 v64, v134, v94, -v64
	v_fmac_f32_e32 v164, v137, v96
	v_dual_add_f32 v62, v62, v65 :: v_dual_mul_f32 v65, v139, v99
	s_delay_alu instid0(VALU_DEP_4) | instskip(SKIP_2) | instid1(VALU_DEP_4)
	v_add_f32_e32 v60, v60, v156
	v_fma_f32 v63, v136, v96, -v63
	v_fmac_f32_e32 v166, v141, v100
	v_add_f32_e32 v62, v62, v64
	v_mul_f32_e32 v64, v141, v101
	v_add_f32_e32 v60, v60, v157
	v_fma_f32 v65, v138, v98, -v65
	s_delay_alu instid0(VALU_DEP_4) | instskip(NEXT) | instid1(VALU_DEP_3)
	v_add_f32_e32 v62, v62, v63
	v_dual_mul_f32 v63, v147, v143 :: v_dual_add_f32 v60, v60, v158
	v_fma_f32 v64, v140, v100, -v64
	s_delay_alu instid0(VALU_DEP_3) | instskip(NEXT) | instid1(VALU_DEP_3)
	v_add_f32_e32 v62, v62, v65
	v_fma_f32 v63, v146, v142, -v63
	s_delay_alu instid0(VALU_DEP_4) | instskip(NEXT) | instid1(VALU_DEP_3)
	v_add_f32_e32 v60, v60, v159
	v_add_f32_e32 v62, v62, v64
	s_delay_alu instid0(VALU_DEP_2) | instskip(NEXT) | instid1(VALU_DEP_2)
	v_add_f32_e32 v60, v60, v160
	v_add_f32_e32 v62, v62, v63
	s_delay_alu instid0(VALU_DEP_2) | instskip(SKIP_1) | instid1(VALU_DEP_2)
	v_add_f32_e32 v60, v60, v161
	s_wait_loadcnt 0x0
	v_sub_f32_e32 v62, v144, v62
	s_delay_alu instid0(VALU_DEP_2) | instskip(NEXT) | instid1(VALU_DEP_1)
	v_add_f32_e32 v60, v60, v162
	v_add_f32_e32 v60, v60, v163
	s_delay_alu instid0(VALU_DEP_1) | instskip(NEXT) | instid1(VALU_DEP_1)
	v_add_f32_e32 v60, v60, v164
	v_add_f32_e32 v60, v60, v165
	s_delay_alu instid0(VALU_DEP_1) | instskip(NEXT) | instid1(VALU_DEP_1)
	v_add_f32_e32 v60, v60, v166
	v_add_f32_e32 v60, v60, v167
	s_delay_alu instid0(VALU_DEP_1)
	v_sub_f32_e32 v63, v145, v60
	scratch_store_b64 off, v[62:63], off offset:56
	v_cmpx_lt_u32_e32 6, v0
	s_cbranch_execz .LBB92_175
; %bb.174:
	scratch_load_b64 v[62:63], off, off offset:48
	v_mov_b32_e32 v60, v59
	scratch_store_b64 off, v[59:60], off offset:48
	s_wait_loadcnt 0x0
	ds_store_b64 v61, v[62:63]
.LBB92_175:
	s_wait_alu 0xfffe
	s_or_b32 exec_lo, exec_lo, s0
	s_wait_storecnt_dscnt 0x0
	s_barrier_signal -1
	s_barrier_wait -1
	global_inv scope:SCOPE_SE
	s_clause 0xb
	scratch_load_b128 v[62:65], off, off offset:56
	scratch_load_b128 v[66:69], off, off offset:72
	;; [unrolled: 1-line block ×11, first 2 shown]
	scratch_load_b64 v[150:151], off, off offset:48
	ds_load_2addr_b64 v[106:109], v59 offset0:37 offset1:38
	ds_load_2addr_b64 v[110:113], v59 offset0:39 offset1:40
	;; [unrolled: 1-line block ×11, first 2 shown]
	s_mov_b32 s0, exec_lo
	s_wait_loadcnt_dscnt 0xb0a
	v_dual_mul_f32 v59, v106, v63 :: v_dual_mul_f32 v60, v108, v65
	v_mul_f32_e32 v63, v107, v63
	s_wait_loadcnt_dscnt 0xa09
	v_dual_mul_f32 v65, v109, v65 :: v_dual_mul_f32 v152, v110, v67
	s_delay_alu instid0(VALU_DEP_3) | instskip(NEXT) | instid1(VALU_DEP_3)
	v_dual_mul_f32 v153, v112, v69 :: v_dual_fmac_f32 v60, v109, v64
	v_fma_f32 v63, v106, v62, -v63
	v_fmac_f32_e32 v59, v107, v62
	v_mul_f32_e32 v62, v111, v67
	v_fma_f32 v64, v108, v64, -v65
	v_mul_f32_e32 v65, v113, v69
	v_dual_add_f32 v63, 0, v63 :: v_dual_fmac_f32 v152, v111, v66
	s_delay_alu instid0(VALU_DEP_4) | instskip(SKIP_2) | instid1(VALU_DEP_3)
	v_fma_f32 v62, v110, v66, -v62
	s_wait_loadcnt_dscnt 0x908
	v_dual_mul_f32 v154, v114, v71 :: v_dual_mul_f32 v155, v116, v73
	v_add_f32_e32 v63, v63, v64
	v_fmac_f32_e32 v153, v113, v68
	v_fma_f32 v64, v112, v68, -v65
	s_wait_loadcnt_dscnt 0x807
	v_dual_mul_f32 v156, v118, v75 :: v_dual_mul_f32 v157, v120, v77
	v_dual_add_f32 v62, v63, v62 :: v_dual_mul_f32 v63, v117, v73
	v_fmac_f32_e32 v154, v115, v70
	s_wait_loadcnt_dscnt 0x706
	v_dual_mul_f32 v158, v122, v79 :: v_dual_mul_f32 v159, v124, v81
	s_delay_alu instid0(VALU_DEP_3) | instskip(SKIP_3) | instid1(VALU_DEP_4)
	v_dual_add_f32 v62, v62, v64 :: v_dual_add_f32 v59, 0, v59
	v_mul_f32_e32 v64, v119, v75
	v_fma_f32 v63, v116, v72, -v63
	v_dual_fmac_f32 v155, v117, v72 :: v_dual_fmac_f32 v156, v119, v74
	v_add_f32_e32 v59, v59, v60
	v_mul_f32_e32 v60, v115, v71
	v_fma_f32 v64, v118, v74, -v64
	v_dual_fmac_f32 v157, v121, v76 :: v_dual_fmac_f32 v158, v123, v78
	s_wait_loadcnt_dscnt 0x605
	v_dual_mul_f32 v160, v126, v83 :: v_dual_mul_f32 v161, v128, v85
	v_fma_f32 v60, v114, v70, -v60
	s_wait_loadcnt_dscnt 0x504
	v_dual_mul_f32 v162, v130, v87 :: v_dual_mul_f32 v163, v132, v89
	s_wait_loadcnt_dscnt 0x403
	v_dual_mul_f32 v164, v134, v91 :: v_dual_mul_f32 v165, v136, v93
	v_add_f32_e32 v60, v62, v60
	v_mul_f32_e32 v62, v121, v77
	v_dual_fmac_f32 v162, v131, v86 :: v_dual_fmac_f32 v163, v133, v88
	s_delay_alu instid0(VALU_DEP_4) | instskip(NEXT) | instid1(VALU_DEP_4)
	v_dual_fmac_f32 v164, v135, v90 :: v_dual_fmac_f32 v165, v137, v92
	v_dual_add_f32 v60, v60, v63 :: v_dual_add_f32 v59, v59, v152
	v_mul_f32_e32 v63, v123, v79
	v_fma_f32 v62, v120, v76, -v62
	v_fmac_f32_e32 v159, v125, v80
	s_delay_alu instid0(VALU_DEP_4)
	v_add_f32_e32 v60, v60, v64
	v_mul_f32_e32 v64, v125, v81
	v_add_f32_e32 v59, v59, v153
	v_fma_f32 v63, v122, v78, -v63
	v_fmac_f32_e32 v160, v127, v82
	v_add_f32_e32 v60, v60, v62
	v_mul_f32_e32 v62, v127, v83
	v_add_f32_e32 v59, v59, v154
	v_fma_f32 v64, v124, v80, -v64
	s_delay_alu instid0(VALU_DEP_4) | instskip(SKIP_1) | instid1(VALU_DEP_4)
	v_dual_fmac_f32 v161, v129, v84 :: v_dual_add_f32 v60, v60, v63
	v_mul_f32_e32 v63, v129, v85
	v_add_f32_e32 v59, v59, v155
	v_fma_f32 v62, v126, v82, -v62
	s_wait_loadcnt_dscnt 0x302
	v_dual_mul_f32 v166, v138, v95 :: v_dual_mul_f32 v167, v140, v97
	v_add_f32_e32 v60, v60, v64
	v_add_f32_e32 v59, v59, v156
	v_fma_f32 v63, v128, v84, -v63
	v_mul_f32_e32 v64, v131, v87
	s_wait_loadcnt_dscnt 0x201
	v_dual_mul_f32 v168, v142, v99 :: v_dual_mul_f32 v169, v144, v101
	v_dual_add_f32 v60, v60, v62 :: v_dual_add_f32 v59, v59, v157
	v_mul_f32_e32 v62, v133, v89
	v_fma_f32 v64, v130, v86, -v64
	v_dual_fmac_f32 v166, v139, v94 :: v_dual_fmac_f32 v167, v141, v96
	s_delay_alu instid0(VALU_DEP_4)
	v_dual_add_f32 v60, v60, v63 :: v_dual_add_f32 v59, v59, v158
	v_mul_f32_e32 v63, v135, v91
	v_fma_f32 v62, v132, v88, -v62
	s_wait_loadcnt_dscnt 0x100
	v_dual_mul_f32 v170, v146, v103 :: v_dual_mul_f32 v171, v148, v105
	v_dual_add_f32 v59, v59, v159 :: v_dual_add_f32 v60, v60, v64
	v_mul_f32_e32 v64, v137, v93
	v_fma_f32 v63, v134, v90, -v63
	s_delay_alu instid0(VALU_DEP_4) | instskip(NEXT) | instid1(VALU_DEP_4)
	v_dual_fmac_f32 v168, v143, v98 :: v_dual_fmac_f32 v171, v149, v104
	v_dual_add_f32 v59, v59, v160 :: v_dual_add_f32 v60, v60, v62
	v_mul_f32_e32 v62, v139, v95
	v_fma_f32 v64, v136, v92, -v64
	v_fmac_f32_e32 v169, v145, v100
	s_delay_alu instid0(VALU_DEP_4) | instskip(SKIP_2) | instid1(VALU_DEP_3)
	v_dual_add_f32 v59, v59, v161 :: v_dual_add_f32 v60, v60, v63
	v_mul_f32_e32 v63, v141, v97
	v_fma_f32 v62, v138, v94, -v62
	v_dual_add_f32 v59, v59, v162 :: v_dual_add_f32 v60, v60, v64
	v_mul_f32_e32 v64, v143, v99
	s_delay_alu instid0(VALU_DEP_4) | instskip(NEXT) | instid1(VALU_DEP_3)
	v_fma_f32 v63, v140, v96, -v63
	v_dual_add_f32 v59, v59, v163 :: v_dual_add_f32 v60, v60, v62
	v_mul_f32_e32 v62, v145, v101
	s_delay_alu instid0(VALU_DEP_4) | instskip(NEXT) | instid1(VALU_DEP_3)
	;; [unrolled: 4-line block ×4, first 2 shown]
	v_fma_f32 v63, v146, v102, -v63
	v_add_f32_e32 v59, v59, v166
	s_delay_alu instid0(VALU_DEP_4) | instskip(NEXT) | instid1(VALU_DEP_4)
	v_add_f32_e32 v60, v60, v62
	v_fma_f32 v62, v148, v104, -v64
	s_delay_alu instid0(VALU_DEP_3) | instskip(NEXT) | instid1(VALU_DEP_1)
	v_add_f32_e32 v59, v59, v167
	v_dual_add_f32 v60, v60, v63 :: v_dual_add_f32 v59, v59, v168
	s_delay_alu instid0(VALU_DEP_1) | instskip(SKIP_1) | instid1(VALU_DEP_3)
	v_add_f32_e32 v60, v60, v62
	v_fmac_f32_e32 v170, v147, v102
	v_add_f32_e32 v59, v59, v169
	s_delay_alu instid0(VALU_DEP_1) | instskip(SKIP_1) | instid1(VALU_DEP_1)
	v_add_f32_e32 v59, v59, v170
	s_wait_loadcnt 0x0
	v_dual_add_f32 v62, v59, v171 :: v_dual_sub_f32 v59, v150, v60
	s_delay_alu instid0(VALU_DEP_1)
	v_sub_f32_e32 v60, v151, v62
	scratch_store_b64 off, v[59:60], off offset:48
	v_cmpx_lt_u32_e32 5, v0
	s_cbranch_execz .LBB92_177
; %bb.176:
	scratch_load_b64 v[59:60], off, off offset:40
	v_mov_b32_e32 v62, 0
	s_delay_alu instid0(VALU_DEP_1)
	v_mov_b32_e32 v63, v62
	scratch_store_b64 off, v[62:63], off offset:40
	s_wait_loadcnt 0x0
	ds_store_b64 v61, v[59:60]
.LBB92_177:
	s_wait_alu 0xfffe
	s_or_b32 exec_lo, exec_lo, s0
	s_wait_storecnt_dscnt 0x0
	s_barrier_signal -1
	s_barrier_wait -1
	global_inv scope:SCOPE_SE
	s_clause 0xc
	scratch_load_b128 v[62:65], off, off offset:48
	scratch_load_b128 v[66:69], off, off offset:64
	;; [unrolled: 1-line block ×11, first 2 shown]
	scratch_load_b64 v[150:151], off, off offset:224
	scratch_load_b64 v[152:153], off, off offset:40
	v_mov_b32_e32 v59, 0
	ds_load_b128 v[106:109], v59 offset:288
	ds_load_b128 v[110:113], v59 offset:304
	ds_load_b128 v[114:117], v59 offset:320
	ds_load_b128 v[118:121], v59 offset:336
	ds_load_b128 v[122:125], v59 offset:352
	ds_load_b128 v[126:129], v59 offset:368
	ds_load_b128 v[130:133], v59 offset:384
	ds_load_b128 v[134:137], v59 offset:400
	ds_load_b128 v[138:141], v59 offset:416
	ds_load_b128 v[142:145], v59 offset:432
	ds_load_b128 v[146:149], v59 offset:448
	ds_load_b64 v[154:155], v59 offset:464
	s_mov_b32 s0, exec_lo
	s_wait_loadcnt_dscnt 0xc0b
	v_mul_f32_e32 v60, v106, v63
	s_wait_loadcnt_dscnt 0xb0a
	v_dual_mul_f32 v156, v108, v65 :: v_dual_mul_f32 v157, v110, v67
	v_mul_f32_e32 v65, v109, v65
	s_wait_loadcnt_dscnt 0xa09
	v_dual_mul_f32 v158, v112, v69 :: v_dual_mul_f32 v159, v114, v71
	v_mul_f32_e32 v63, v107, v63
	v_fmac_f32_e32 v60, v107, v62
	s_wait_loadcnt_dscnt 0x807
	v_dual_mul_f32 v162, v120, v77 :: v_dual_mul_f32 v163, v122, v79
	s_wait_loadcnt_dscnt 0x100
	v_dual_mul_f32 v174, v144, v101 :: v_dual_mul_f32 v177, v154, v151
	v_fma_f32 v63, v106, v62, -v63
	v_mul_f32_e32 v62, v111, v67
	v_fmac_f32_e32 v156, v109, v64
	v_fma_f32 v64, v108, v64, -v65
	v_dual_add_f32 v60, 0, v60 :: v_dual_mul_f32 v65, v113, v69
	v_add_f32_e32 v63, 0, v63
	v_fmac_f32_e32 v157, v111, v66
	v_fma_f32 v62, v110, v66, -v62
	s_delay_alu instid0(VALU_DEP_4)
	v_add_f32_e32 v60, v60, v156
	v_fma_f32 v65, v112, v68, -v65
	v_add_f32_e32 v63, v63, v64
	v_mul_f32_e32 v64, v115, v71
	v_dual_mul_f32 v164, v124, v81 :: v_dual_mul_f32 v165, v126, v83
	v_add_f32_e32 v60, v60, v157
	s_delay_alu instid0(VALU_DEP_4) | instskip(NEXT) | instid1(VALU_DEP_4)
	v_dual_add_f32 v62, v63, v62 :: v_dual_mul_f32 v63, v117, v73
	v_fma_f32 v64, v114, v70, -v64
	v_dual_mul_f32 v166, v128, v85 :: v_dual_mul_f32 v167, v130, v87
	s_delay_alu instid0(VALU_DEP_3) | instskip(NEXT) | instid1(VALU_DEP_4)
	v_dual_add_f32 v62, v62, v65 :: v_dual_mul_f32 v65, v119, v75
	v_fma_f32 v63, v116, v72, -v63
	v_dual_fmac_f32 v158, v113, v68 :: v_dual_fmac_f32 v159, v115, v70
	s_delay_alu instid0(VALU_DEP_3) | instskip(SKIP_2) | instid1(VALU_DEP_3)
	v_dual_add_f32 v62, v62, v64 :: v_dual_fmac_f32 v163, v123, v78
	v_dual_mul_f32 v64, v121, v77 :: v_dual_fmac_f32 v165, v127, v82
	v_fma_f32 v65, v118, v74, -v65
	v_dual_add_f32 v62, v62, v63 :: v_dual_fmac_f32 v167, v131, v86
	v_dual_mul_f32 v168, v132, v89 :: v_dual_mul_f32 v169, v134, v91
	v_dual_add_f32 v60, v60, v158 :: v_dual_mul_f32 v63, v123, v79
	v_fma_f32 v64, v120, v76, -v64
	s_delay_alu instid0(VALU_DEP_3) | instskip(SKIP_1) | instid1(VALU_DEP_4)
	v_dual_add_f32 v62, v62, v65 :: v_dual_fmac_f32 v169, v135, v90
	v_mul_f32_e32 v65, v125, v81
	v_fma_f32 v63, v122, v78, -v63
	v_dual_mul_f32 v160, v116, v73 :: v_dual_mul_f32 v161, v118, v75
	s_delay_alu instid0(VALU_DEP_4) | instskip(SKIP_3) | instid1(VALU_DEP_4)
	v_add_f32_e32 v62, v62, v64
	v_dual_mul_f32 v172, v140, v97 :: v_dual_mul_f32 v173, v142, v99
	v_mul_f32_e32 v64, v127, v83
	v_fma_f32 v65, v124, v80, -v65
	v_add_f32_e32 v62, v62, v63
	v_dual_fmac_f32 v160, v117, v72 :: v_dual_fmac_f32 v161, v119, v74
	v_dual_add_f32 v60, v60, v159 :: v_dual_mul_f32 v63, v129, v85
	v_fma_f32 v64, v126, v82, -v64
	s_delay_alu instid0(VALU_DEP_4) | instskip(NEXT) | instid1(VALU_DEP_3)
	v_dual_fmac_f32 v173, v143, v98 :: v_dual_add_f32 v62, v62, v65
	v_dual_add_f32 v60, v60, v160 :: v_dual_mul_f32 v65, v131, v87
	s_delay_alu instid0(VALU_DEP_4) | instskip(SKIP_1) | instid1(VALU_DEP_4)
	v_fma_f32 v63, v128, v84, -v63
	v_dual_mul_f32 v170, v136, v93 :: v_dual_mul_f32 v171, v138, v95
	v_add_f32_e32 v62, v62, v64
	v_mul_f32_e32 v64, v133, v89
	v_fma_f32 v65, v130, v86, -v65
	v_fmac_f32_e32 v162, v121, v76
	v_dual_add_f32 v60, v60, v161 :: v_dual_fmac_f32 v171, v139, v94
	v_add_f32_e32 v62, v62, v63
	v_mul_f32_e32 v63, v135, v91
	v_fma_f32 v64, v132, v88, -v64
	s_delay_alu instid0(VALU_DEP_4)
	v_dual_add_f32 v60, v60, v162 :: v_dual_mul_f32 v175, v146, v103
	v_mul_f32_e32 v176, v148, v105
	v_add_f32_e32 v62, v62, v65
	v_mul_f32_e32 v65, v137, v93
	v_fma_f32 v63, v134, v90, -v63
	v_dual_fmac_f32 v164, v125, v80 :: v_dual_fmac_f32 v175, v147, v102
	s_delay_alu instid0(VALU_DEP_4) | instskip(NEXT) | instid1(VALU_DEP_4)
	v_add_f32_e32 v62, v62, v64
	v_fma_f32 v65, v136, v92, -v65
	v_dual_fmac_f32 v166, v129, v84 :: v_dual_fmac_f32 v177, v155, v150
	v_fmac_f32_e32 v168, v133, v88
	s_delay_alu instid0(VALU_DEP_4) | instskip(SKIP_3) | instid1(VALU_DEP_4)
	v_dual_add_f32 v62, v62, v63 :: v_dual_mul_f32 v63, v141, v97
	v_add_f32_e32 v60, v60, v163
	v_mul_f32_e32 v64, v139, v95
	v_fmac_f32_e32 v170, v137, v92
	v_dual_add_f32 v62, v62, v65 :: v_dual_mul_f32 v65, v143, v99
	s_delay_alu instid0(VALU_DEP_4) | instskip(NEXT) | instid1(VALU_DEP_4)
	v_add_f32_e32 v60, v60, v164
	v_fma_f32 v64, v138, v94, -v64
	v_fmac_f32_e32 v172, v141, v96
	v_fma_f32 v63, v140, v96, -v63
	v_fma_f32 v65, v142, v98, -v65
	v_add_f32_e32 v60, v60, v165
	v_add_f32_e32 v62, v62, v64
	v_mul_f32_e32 v64, v145, v101
	v_fmac_f32_e32 v174, v145, v100
	v_fmac_f32_e32 v176, v149, v104
	v_add_f32_e32 v60, v60, v166
	v_add_f32_e32 v62, v62, v63
	v_mul_f32_e32 v63, v147, v103
	v_fma_f32 v64, v144, v100, -v64
	s_delay_alu instid0(VALU_DEP_4) | instskip(NEXT) | instid1(VALU_DEP_4)
	v_add_f32_e32 v60, v60, v167
	v_add_f32_e32 v62, v62, v65
	v_mul_f32_e32 v65, v149, v105
	v_fma_f32 v63, v146, v102, -v63
	s_delay_alu instid0(VALU_DEP_4) | instskip(NEXT) | instid1(VALU_DEP_4)
	;; [unrolled: 5-line block ×3, first 2 shown]
	v_add_f32_e32 v60, v60, v169
	v_add_f32_e32 v62, v62, v63
	s_delay_alu instid0(VALU_DEP_4) | instskip(NEXT) | instid1(VALU_DEP_3)
	v_fma_f32 v63, v154, v150, -v64
	v_add_f32_e32 v60, v60, v170
	s_delay_alu instid0(VALU_DEP_3) | instskip(NEXT) | instid1(VALU_DEP_2)
	v_add_f32_e32 v62, v62, v65
	v_add_f32_e32 v60, v60, v171
	s_delay_alu instid0(VALU_DEP_2) | instskip(NEXT) | instid1(VALU_DEP_2)
	v_add_f32_e32 v62, v62, v63
	v_add_f32_e32 v60, v60, v172
	s_wait_loadcnt 0x0
	s_delay_alu instid0(VALU_DEP_2) | instskip(NEXT) | instid1(VALU_DEP_2)
	v_sub_f32_e32 v62, v152, v62
	v_add_f32_e32 v60, v60, v173
	s_delay_alu instid0(VALU_DEP_1) | instskip(NEXT) | instid1(VALU_DEP_1)
	v_add_f32_e32 v60, v60, v174
	v_add_f32_e32 v60, v60, v175
	s_delay_alu instid0(VALU_DEP_1) | instskip(NEXT) | instid1(VALU_DEP_1)
	v_add_f32_e32 v60, v60, v176
	v_add_f32_e32 v60, v60, v177
	s_delay_alu instid0(VALU_DEP_1)
	v_sub_f32_e32 v63, v153, v60
	scratch_store_b64 off, v[62:63], off offset:40
	v_cmpx_lt_u32_e32 4, v0
	s_cbranch_execz .LBB92_179
; %bb.178:
	scratch_load_b64 v[62:63], off, off offset:32
	v_mov_b32_e32 v60, v59
	scratch_store_b64 off, v[59:60], off offset:32
	s_wait_loadcnt 0x0
	ds_store_b64 v61, v[62:63]
.LBB92_179:
	s_wait_alu 0xfffe
	s_or_b32 exec_lo, exec_lo, s0
	s_wait_storecnt_dscnt 0x0
	s_barrier_signal -1
	s_barrier_wait -1
	global_inv scope:SCOPE_SE
	s_clause 0xc
	scratch_load_b128 v[62:65], off, off offset:40
	scratch_load_b128 v[66:69], off, off offset:56
	;; [unrolled: 1-line block ×12, first 2 shown]
	scratch_load_b64 v[158:159], off, off offset:32
	ds_load_2addr_b64 v[110:113], v59 offset0:35 offset1:36
	ds_load_2addr_b64 v[114:117], v59 offset0:37 offset1:38
	;; [unrolled: 1-line block ×12, first 2 shown]
	s_mov_b32 s0, exec_lo
	s_wait_loadcnt_dscnt 0xc0b
	v_dual_mul_f32 v59, v110, v63 :: v_dual_mul_f32 v60, v112, v65
	v_mul_f32_e32 v63, v111, v63
	s_wait_loadcnt_dscnt 0xb0a
	v_dual_mul_f32 v65, v113, v65 :: v_dual_mul_f32 v160, v114, v67
	s_delay_alu instid0(VALU_DEP_3) | instskip(NEXT) | instid1(VALU_DEP_3)
	v_dual_mul_f32 v161, v116, v69 :: v_dual_fmac_f32 v60, v113, v64
	v_fma_f32 v63, v110, v62, -v63
	v_fmac_f32_e32 v59, v111, v62
	v_mul_f32_e32 v62, v115, v67
	v_fma_f32 v64, v112, v64, -v65
	v_mul_f32_e32 v65, v117, v69
	v_dual_add_f32 v63, 0, v63 :: v_dual_fmac_f32 v160, v115, v66
	s_delay_alu instid0(VALU_DEP_4) | instskip(SKIP_2) | instid1(VALU_DEP_3)
	v_fma_f32 v62, v114, v66, -v62
	s_wait_loadcnt_dscnt 0xa09
	v_dual_mul_f32 v162, v118, v71 :: v_dual_mul_f32 v163, v120, v73
	v_add_f32_e32 v63, v63, v64
	v_fmac_f32_e32 v161, v117, v68
	v_fma_f32 v64, v116, v68, -v65
	s_wait_loadcnt_dscnt 0x908
	v_dual_mul_f32 v164, v122, v75 :: v_dual_mul_f32 v165, v124, v77
	v_dual_add_f32 v62, v63, v62 :: v_dual_mul_f32 v63, v121, v73
	v_fmac_f32_e32 v162, v119, v70
	s_wait_loadcnt_dscnt 0x807
	v_dual_mul_f32 v166, v126, v79 :: v_dual_mul_f32 v167, v128, v81
	s_delay_alu instid0(VALU_DEP_3) | instskip(SKIP_3) | instid1(VALU_DEP_4)
	v_dual_add_f32 v62, v62, v64 :: v_dual_add_f32 v59, 0, v59
	v_mul_f32_e32 v64, v123, v75
	v_fma_f32 v63, v120, v72, -v63
	v_dual_fmac_f32 v163, v121, v72 :: v_dual_fmac_f32 v164, v123, v74
	v_add_f32_e32 v59, v59, v60
	v_mul_f32_e32 v60, v119, v71
	v_fma_f32 v64, v122, v74, -v64
	v_dual_fmac_f32 v165, v125, v76 :: v_dual_fmac_f32 v166, v127, v78
	s_wait_loadcnt_dscnt 0x706
	v_dual_mul_f32 v168, v130, v83 :: v_dual_mul_f32 v169, v132, v85
	v_fma_f32 v60, v118, v70, -v60
	s_wait_loadcnt_dscnt 0x605
	v_dual_mul_f32 v170, v134, v87 :: v_dual_mul_f32 v171, v136, v89
	s_wait_loadcnt_dscnt 0x504
	v_dual_mul_f32 v172, v138, v91 :: v_dual_mul_f32 v173, v140, v93
	v_add_f32_e32 v60, v62, v60
	v_mul_f32_e32 v62, v125, v77
	v_dual_fmac_f32 v170, v135, v86 :: v_dual_fmac_f32 v171, v137, v88
	s_delay_alu instid0(VALU_DEP_4) | instskip(NEXT) | instid1(VALU_DEP_4)
	v_dual_fmac_f32 v172, v139, v90 :: v_dual_fmac_f32 v173, v141, v92
	v_dual_add_f32 v60, v60, v63 :: v_dual_add_f32 v59, v59, v160
	v_mul_f32_e32 v63, v127, v79
	v_fma_f32 v62, v124, v76, -v62
	v_fmac_f32_e32 v167, v129, v80
	s_delay_alu instid0(VALU_DEP_4)
	v_add_f32_e32 v60, v60, v64
	v_mul_f32_e32 v64, v129, v81
	v_add_f32_e32 v59, v59, v161
	v_fma_f32 v63, v126, v78, -v63
	v_fmac_f32_e32 v168, v131, v82
	v_add_f32_e32 v60, v60, v62
	v_mul_f32_e32 v62, v131, v83
	v_add_f32_e32 v59, v59, v162
	v_fma_f32 v64, v128, v80, -v64
	s_delay_alu instid0(VALU_DEP_4) | instskip(SKIP_1) | instid1(VALU_DEP_4)
	v_dual_fmac_f32 v169, v133, v84 :: v_dual_add_f32 v60, v60, v63
	v_mul_f32_e32 v63, v133, v85
	v_add_f32_e32 v59, v59, v163
	v_fma_f32 v62, v130, v82, -v62
	s_wait_loadcnt_dscnt 0x403
	v_dual_mul_f32 v174, v142, v95 :: v_dual_mul_f32 v175, v144, v97
	v_add_f32_e32 v60, v60, v64
	v_add_f32_e32 v59, v59, v164
	v_fma_f32 v63, v132, v84, -v63
	v_mul_f32_e32 v64, v135, v87
	s_wait_loadcnt_dscnt 0x302
	v_dual_mul_f32 v176, v146, v99 :: v_dual_mul_f32 v177, v148, v101
	v_dual_add_f32 v60, v60, v62 :: v_dual_add_f32 v59, v59, v165
	v_mul_f32_e32 v62, v137, v89
	v_fma_f32 v64, v134, v86, -v64
	v_dual_fmac_f32 v174, v143, v94 :: v_dual_fmac_f32 v175, v145, v96
	s_delay_alu instid0(VALU_DEP_4)
	v_dual_add_f32 v60, v60, v63 :: v_dual_add_f32 v59, v59, v166
	v_mul_f32_e32 v63, v139, v91
	v_fma_f32 v62, v136, v88, -v62
	s_wait_loadcnt_dscnt 0x201
	v_dual_mul_f32 v178, v150, v103 :: v_dual_mul_f32 v179, v152, v105
	v_dual_add_f32 v59, v59, v167 :: v_dual_add_f32 v60, v60, v64
	v_mul_f32_e32 v64, v141, v93
	v_fma_f32 v63, v138, v90, -v63
	s_delay_alu instid0(VALU_DEP_4) | instskip(NEXT) | instid1(VALU_DEP_4)
	v_dual_fmac_f32 v176, v147, v98 :: v_dual_fmac_f32 v179, v153, v104
	v_dual_add_f32 v59, v59, v168 :: v_dual_add_f32 v60, v60, v62
	v_mul_f32_e32 v62, v143, v95
	v_fma_f32 v64, v140, v92, -v64
	v_fmac_f32_e32 v177, v149, v100
	s_delay_alu instid0(VALU_DEP_4)
	v_dual_add_f32 v59, v59, v169 :: v_dual_add_f32 v60, v60, v63
	v_mul_f32_e32 v63, v145, v97
	v_fma_f32 v62, v142, v94, -v62
	s_wait_loadcnt_dscnt 0x100
	v_dual_mul_f32 v180, v154, v107 :: v_dual_mul_f32 v181, v156, v109
	v_dual_add_f32 v59, v59, v170 :: v_dual_add_f32 v60, v60, v64
	v_mul_f32_e32 v64, v147, v99
	v_fma_f32 v63, v144, v96, -v63
	v_fmac_f32_e32 v178, v151, v102
	s_delay_alu instid0(VALU_DEP_4) | instskip(SKIP_3) | instid1(VALU_DEP_4)
	v_dual_add_f32 v59, v59, v171 :: v_dual_add_f32 v60, v60, v62
	v_mul_f32_e32 v62, v149, v101
	v_fma_f32 v64, v146, v98, -v64
	v_fmac_f32_e32 v181, v157, v108
	v_dual_add_f32 v59, v59, v172 :: v_dual_add_f32 v60, v60, v63
	v_mul_f32_e32 v63, v151, v103
	v_fma_f32 v62, v148, v100, -v62
	s_delay_alu instid0(VALU_DEP_3) | instskip(SKIP_1) | instid1(VALU_DEP_4)
	v_dual_add_f32 v59, v59, v173 :: v_dual_add_f32 v60, v60, v64
	v_mul_f32_e32 v64, v153, v105
	v_fma_f32 v63, v150, v102, -v63
	s_delay_alu instid0(VALU_DEP_3) | instskip(NEXT) | instid1(VALU_DEP_4)
	v_add_f32_e32 v59, v59, v174
	v_add_f32_e32 v60, v60, v62
	v_mul_f32_e32 v62, v155, v107
	v_fma_f32 v64, v152, v104, -v64
	s_delay_alu instid0(VALU_DEP_4) | instskip(NEXT) | instid1(VALU_DEP_4)
	v_add_f32_e32 v59, v59, v175
	v_dual_add_f32 v60, v60, v63 :: v_dual_mul_f32 v63, v157, v109
	s_delay_alu instid0(VALU_DEP_4) | instskip(NEXT) | instid1(VALU_DEP_3)
	v_fma_f32 v62, v154, v106, -v62
	v_add_f32_e32 v59, v59, v176
	s_delay_alu instid0(VALU_DEP_3) | instskip(NEXT) | instid1(VALU_DEP_4)
	v_add_f32_e32 v60, v60, v64
	v_fma_f32 v63, v156, v108, -v63
	s_delay_alu instid0(VALU_DEP_2) | instskip(NEXT) | instid1(VALU_DEP_1)
	v_dual_add_f32 v59, v59, v177 :: v_dual_add_f32 v60, v60, v62
	v_dual_add_f32 v59, v59, v178 :: v_dual_add_f32 v60, v60, v63
	v_fmac_f32_e32 v180, v155, v106
	s_delay_alu instid0(VALU_DEP_2) | instskip(NEXT) | instid1(VALU_DEP_1)
	v_add_f32_e32 v59, v59, v179
	v_add_f32_e32 v59, v59, v180
	s_wait_loadcnt 0x0
	s_delay_alu instid0(VALU_DEP_1) | instskip(NEXT) | instid1(VALU_DEP_1)
	v_dual_add_f32 v62, v59, v181 :: v_dual_sub_f32 v59, v158, v60
	v_sub_f32_e32 v60, v159, v62
	scratch_store_b64 off, v[59:60], off offset:32
	v_cmpx_lt_u32_e32 3, v0
	s_cbranch_execz .LBB92_181
; %bb.180:
	scratch_load_b64 v[59:60], off, off offset:24
	v_mov_b32_e32 v62, 0
	s_delay_alu instid0(VALU_DEP_1)
	v_mov_b32_e32 v63, v62
	scratch_store_b64 off, v[62:63], off offset:24
	s_wait_loadcnt 0x0
	ds_store_b64 v61, v[59:60]
.LBB92_181:
	s_wait_alu 0xfffe
	s_or_b32 exec_lo, exec_lo, s0
	s_wait_storecnt_dscnt 0x0
	s_barrier_signal -1
	s_barrier_wait -1
	global_inv scope:SCOPE_SE
	s_clause 0xd
	scratch_load_b128 v[62:65], off, off offset:32
	scratch_load_b128 v[66:69], off, off offset:48
	;; [unrolled: 1-line block ×12, first 2 shown]
	scratch_load_b64 v[158:159], off, off offset:224
	scratch_load_b64 v[160:161], off, off offset:24
	v_mov_b32_e32 v59, 0
	ds_load_b128 v[110:113], v59 offset:272
	ds_load_b128 v[114:117], v59 offset:288
	;; [unrolled: 1-line block ×12, first 2 shown]
	ds_load_b64 v[162:163], v59 offset:464
	s_mov_b32 s0, exec_lo
	s_wait_loadcnt_dscnt 0xd0c
	v_mul_f32_e32 v60, v110, v63
	s_wait_loadcnt_dscnt 0xc0b
	v_dual_mul_f32 v164, v112, v65 :: v_dual_mul_f32 v165, v114, v67
	v_mul_f32_e32 v65, v113, v65
	s_wait_loadcnt_dscnt 0xb0a
	v_dual_mul_f32 v166, v116, v69 :: v_dual_mul_f32 v167, v118, v71
	s_wait_loadcnt_dscnt 0xa09
	v_dual_mul_f32 v63, v111, v63 :: v_dual_mul_f32 v170, v124, v77
	s_wait_loadcnt_dscnt 0x908
	v_dual_mul_f32 v171, v126, v79 :: v_dual_fmac_f32 v60, v111, v62
	s_wait_loadcnt_dscnt 0x302
	v_mul_f32_e32 v184, v152, v105
	v_fma_f32 v63, v110, v62, -v63
	s_wait_loadcnt_dscnt 0x100
	v_mul_f32_e32 v187, v162, v159
	v_mul_f32_e32 v62, v115, v67
	v_fmac_f32_e32 v164, v113, v64
	v_fma_f32 v64, v112, v64, -v65
	v_dual_add_f32 v63, 0, v63 :: v_dual_add_f32 v60, 0, v60
	v_mul_f32_e32 v65, v117, v69
	v_fmac_f32_e32 v165, v115, v66
	v_fma_f32 v62, v114, v66, -v62
	v_dual_mul_f32 v172, v128, v81 :: v_dual_mul_f32 v173, v130, v83
	v_add_f32_e32 v60, v60, v164
	v_add_f32_e32 v63, v63, v64
	v_mul_f32_e32 v64, v119, v71
	v_fma_f32 v65, v116, v68, -v65
	v_dual_mul_f32 v174, v132, v85 :: v_dual_mul_f32 v175, v134, v87
	v_add_f32_e32 v60, v60, v165
	v_dual_add_f32 v62, v63, v62 :: v_dual_mul_f32 v63, v121, v73
	v_fma_f32 v64, v118, v70, -v64
	v_dual_fmac_f32 v166, v117, v68 :: v_dual_fmac_f32 v167, v119, v70
	s_delay_alu instid0(VALU_DEP_3) | instskip(NEXT) | instid1(VALU_DEP_4)
	v_dual_add_f32 v62, v62, v65 :: v_dual_mul_f32 v65, v123, v75
	v_fma_f32 v63, v120, v72, -v63
	v_dual_fmac_f32 v171, v127, v78 :: v_dual_mul_f32 v176, v136, v89
	v_mul_f32_e32 v177, v138, v91
	s_delay_alu instid0(VALU_DEP_4) | instskip(SKIP_3) | instid1(VALU_DEP_4)
	v_add_f32_e32 v62, v62, v64
	v_dual_mul_f32 v64, v125, v77 :: v_dual_fmac_f32 v173, v131, v82
	v_fma_f32 v65, v122, v74, -v65
	v_add_f32_e32 v60, v60, v166
	v_dual_add_f32 v62, v62, v63 :: v_dual_fmac_f32 v175, v135, v86
	v_mul_f32_e32 v63, v127, v79
	v_fma_f32 v64, v124, v76, -v64
	s_delay_alu instid0(VALU_DEP_3) | instskip(SKIP_1) | instid1(VALU_DEP_4)
	v_dual_fmac_f32 v177, v139, v90 :: v_dual_add_f32 v62, v62, v65
	v_mul_f32_e32 v65, v129, v81
	v_fma_f32 v63, v126, v78, -v63
	v_dual_mul_f32 v168, v120, v73 :: v_dual_mul_f32 v169, v122, v75
	s_delay_alu instid0(VALU_DEP_4) | instskip(SKIP_3) | instid1(VALU_DEP_4)
	v_add_f32_e32 v62, v62, v64
	v_dual_mul_f32 v180, v144, v97 :: v_dual_mul_f32 v181, v146, v99
	v_mul_f32_e32 v64, v131, v83
	v_fma_f32 v65, v128, v80, -v65
	v_add_f32_e32 v62, v62, v63
	v_dual_fmac_f32 v168, v121, v72 :: v_dual_fmac_f32 v169, v123, v74
	v_dual_add_f32 v60, v60, v167 :: v_dual_mul_f32 v63, v133, v85
	v_fma_f32 v64, v130, v82, -v64
	s_delay_alu instid0(VALU_DEP_4) | instskip(NEXT) | instid1(VALU_DEP_3)
	v_dual_fmac_f32 v181, v147, v98 :: v_dual_add_f32 v62, v62, v65
	v_dual_add_f32 v60, v60, v168 :: v_dual_mul_f32 v65, v135, v87
	s_delay_alu instid0(VALU_DEP_4) | instskip(SKIP_1) | instid1(VALU_DEP_4)
	v_fma_f32 v63, v132, v84, -v63
	v_fmac_f32_e32 v170, v125, v76
	v_add_f32_e32 v62, v62, v64
	v_mul_f32_e32 v64, v137, v89
	v_fma_f32 v65, v134, v86, -v65
	v_dual_mul_f32 v178, v140, v93 :: v_dual_mul_f32 v179, v142, v95
	s_delay_alu instid0(VALU_DEP_4) | instskip(SKIP_2) | instid1(VALU_DEP_4)
	v_add_f32_e32 v62, v62, v63
	v_mul_f32_e32 v63, v139, v91
	v_fma_f32 v64, v136, v88, -v64
	v_dual_add_f32 v60, v60, v169 :: v_dual_fmac_f32 v179, v143, v94
	s_delay_alu instid0(VALU_DEP_4) | instskip(SKIP_2) | instid1(VALU_DEP_4)
	v_add_f32_e32 v62, v62, v65
	v_mul_f32_e32 v65, v141, v93
	v_fma_f32 v63, v138, v90, -v63
	v_add_f32_e32 v60, v60, v170
	v_fmac_f32_e32 v172, v129, v80
	v_add_f32_e32 v62, v62, v64
	v_mul_f32_e32 v64, v143, v95
	v_fma_f32 v65, v140, v92, -v65
	v_dual_mul_f32 v182, v148, v101 :: v_dual_mul_f32 v183, v150, v103
	s_delay_alu instid0(VALU_DEP_4) | instskip(NEXT) | instid1(VALU_DEP_4)
	v_dual_add_f32 v62, v62, v63 :: v_dual_mul_f32 v63, v145, v97
	v_fma_f32 v64, v142, v94, -v64
	s_delay_alu instid0(VALU_DEP_3) | instskip(NEXT) | instid1(VALU_DEP_3)
	v_dual_add_f32 v60, v60, v171 :: v_dual_fmac_f32 v183, v151, v102
	v_dual_add_f32 v62, v62, v65 :: v_dual_mul_f32 v65, v147, v99
	s_delay_alu instid0(VALU_DEP_4) | instskip(NEXT) | instid1(VALU_DEP_3)
	v_fma_f32 v63, v144, v96, -v63
	v_dual_add_f32 v60, v60, v172 :: v_dual_mul_f32 v185, v154, v107
	v_mul_f32_e32 v186, v156, v109
	s_delay_alu instid0(VALU_DEP_4) | instskip(SKIP_3) | instid1(VALU_DEP_4)
	v_add_f32_e32 v62, v62, v64
	v_mul_f32_e32 v64, v149, v101
	v_fma_f32 v65, v146, v98, -v65
	v_dual_fmac_f32 v174, v133, v84 :: v_dual_fmac_f32 v185, v155, v106
	v_add_f32_e32 v62, v62, v63
	v_mul_f32_e32 v63, v151, v103
	v_fma_f32 v64, v148, v100, -v64
	v_fmac_f32_e32 v176, v137, v88
	v_fmac_f32_e32 v178, v141, v92
	v_add_f32_e32 v62, v62, v65
	v_fma_f32 v63, v150, v102, -v63
	v_dual_fmac_f32 v187, v163, v158 :: v_dual_fmac_f32 v180, v145, v96
	v_fmac_f32_e32 v182, v149, v100
	s_delay_alu instid0(VALU_DEP_4) | instskip(SKIP_3) | instid1(VALU_DEP_4)
	v_dual_add_f32 v62, v62, v64 :: v_dual_mul_f32 v65, v153, v105
	v_mul_f32_e32 v64, v155, v107
	v_fmac_f32_e32 v184, v153, v104
	v_fmac_f32_e32 v186, v157, v108
	v_dual_add_f32 v62, v62, v63 :: v_dual_mul_f32 v63, v157, v109
	v_add_f32_e32 v60, v60, v173
	v_fma_f32 v65, v152, v104, -v65
	v_fma_f32 v64, v154, v106, -v64
	s_delay_alu instid0(VALU_DEP_4) | instskip(NEXT) | instid1(VALU_DEP_4)
	v_fma_f32 v63, v156, v108, -v63
	v_add_f32_e32 v60, v60, v174
	s_delay_alu instid0(VALU_DEP_4) | instskip(NEXT) | instid1(VALU_DEP_2)
	v_dual_add_f32 v62, v62, v65 :: v_dual_mul_f32 v65, v163, v159
	v_add_f32_e32 v60, v60, v175
	s_delay_alu instid0(VALU_DEP_2) | instskip(NEXT) | instid1(VALU_DEP_3)
	v_add_f32_e32 v62, v62, v64
	v_fma_f32 v64, v162, v158, -v65
	s_delay_alu instid0(VALU_DEP_3) | instskip(NEXT) | instid1(VALU_DEP_3)
	v_add_f32_e32 v60, v60, v176
	v_add_f32_e32 v62, v62, v63
	s_delay_alu instid0(VALU_DEP_2) | instskip(NEXT) | instid1(VALU_DEP_2)
	v_add_f32_e32 v60, v60, v177
	v_add_f32_e32 v62, v62, v64
	s_delay_alu instid0(VALU_DEP_2) | instskip(SKIP_1) | instid1(VALU_DEP_2)
	v_add_f32_e32 v60, v60, v178
	s_wait_loadcnt 0x0
	v_sub_f32_e32 v62, v160, v62
	s_delay_alu instid0(VALU_DEP_2) | instskip(NEXT) | instid1(VALU_DEP_1)
	v_add_f32_e32 v60, v60, v179
	v_add_f32_e32 v60, v60, v180
	s_delay_alu instid0(VALU_DEP_1) | instskip(NEXT) | instid1(VALU_DEP_1)
	v_add_f32_e32 v60, v60, v181
	v_add_f32_e32 v60, v60, v182
	s_delay_alu instid0(VALU_DEP_1) | instskip(NEXT) | instid1(VALU_DEP_1)
	;; [unrolled: 3-line block ×4, first 2 shown]
	v_add_f32_e32 v60, v60, v187
	v_sub_f32_e32 v63, v161, v60
	scratch_store_b64 off, v[62:63], off offset:24
	v_cmpx_lt_u32_e32 2, v0
	s_cbranch_execz .LBB92_183
; %bb.182:
	scratch_load_b64 v[62:63], off, off offset:16
	v_mov_b32_e32 v60, v59
	scratch_store_b64 off, v[59:60], off offset:16
	s_wait_loadcnt 0x0
	ds_store_b64 v61, v[62:63]
.LBB92_183:
	s_wait_alu 0xfffe
	s_or_b32 exec_lo, exec_lo, s0
	s_wait_storecnt_dscnt 0x0
	s_barrier_signal -1
	s_barrier_wait -1
	global_inv scope:SCOPE_SE
	s_clause 0xd
	scratch_load_b128 v[62:65], off, off offset:24
	scratch_load_b128 v[66:69], off, off offset:40
	scratch_load_b128 v[70:73], off, off offset:56
	scratch_load_b128 v[74:77], off, off offset:72
	scratch_load_b128 v[78:81], off, off offset:88
	scratch_load_b128 v[82:85], off, off offset:104
	scratch_load_b128 v[86:89], off, off offset:120
	scratch_load_b128 v[90:93], off, off offset:136
	scratch_load_b128 v[94:97], off, off offset:152
	scratch_load_b128 v[98:101], off, off offset:168
	scratch_load_b128 v[102:105], off, off offset:184
	scratch_load_b128 v[106:109], off, off offset:200
	scratch_load_b128 v[110:113], off, off offset:216
	scratch_load_b64 v[166:167], off, off offset:16
	ds_load_2addr_b64 v[114:117], v59 offset0:33 offset1:34
	ds_load_2addr_b64 v[118:121], v59 offset0:35 offset1:36
	;; [unrolled: 1-line block ×13, first 2 shown]
	s_mov_b32 s0, exec_lo
	s_wait_loadcnt_dscnt 0xd0c
	v_dual_mul_f32 v59, v114, v63 :: v_dual_mul_f32 v60, v116, v65
	v_mul_f32_e32 v63, v115, v63
	s_wait_loadcnt_dscnt 0xc0b
	v_dual_mul_f32 v65, v117, v65 :: v_dual_mul_f32 v168, v118, v67
	s_delay_alu instid0(VALU_DEP_3) | instskip(NEXT) | instid1(VALU_DEP_3)
	v_dual_mul_f32 v169, v120, v69 :: v_dual_fmac_f32 v60, v117, v64
	v_fma_f32 v63, v114, v62, -v63
	v_fmac_f32_e32 v59, v115, v62
	v_mul_f32_e32 v62, v119, v67
	v_fma_f32 v64, v116, v64, -v65
	v_mul_f32_e32 v65, v121, v69
	v_dual_add_f32 v63, 0, v63 :: v_dual_fmac_f32 v168, v119, v66
	s_delay_alu instid0(VALU_DEP_4) | instskip(SKIP_2) | instid1(VALU_DEP_3)
	v_fma_f32 v62, v118, v66, -v62
	s_wait_loadcnt_dscnt 0xb0a
	v_dual_mul_f32 v170, v122, v71 :: v_dual_mul_f32 v171, v124, v73
	v_add_f32_e32 v63, v63, v64
	v_fmac_f32_e32 v169, v121, v68
	v_fma_f32 v64, v120, v68, -v65
	s_wait_loadcnt_dscnt 0xa09
	v_dual_mul_f32 v172, v126, v75 :: v_dual_mul_f32 v173, v128, v77
	v_dual_add_f32 v62, v63, v62 :: v_dual_mul_f32 v63, v125, v73
	v_fmac_f32_e32 v170, v123, v70
	s_wait_loadcnt_dscnt 0x908
	v_dual_mul_f32 v174, v130, v79 :: v_dual_mul_f32 v175, v132, v81
	s_delay_alu instid0(VALU_DEP_3) | instskip(SKIP_3) | instid1(VALU_DEP_4)
	v_dual_add_f32 v62, v62, v64 :: v_dual_add_f32 v59, 0, v59
	v_mul_f32_e32 v64, v127, v75
	v_fma_f32 v63, v124, v72, -v63
	v_dual_fmac_f32 v171, v125, v72 :: v_dual_fmac_f32 v172, v127, v74
	v_add_f32_e32 v59, v59, v60
	v_mul_f32_e32 v60, v123, v71
	v_fma_f32 v64, v126, v74, -v64
	v_dual_fmac_f32 v173, v129, v76 :: v_dual_fmac_f32 v174, v131, v78
	s_wait_loadcnt_dscnt 0x807
	v_dual_mul_f32 v176, v134, v83 :: v_dual_mul_f32 v177, v136, v85
	v_fma_f32 v60, v122, v70, -v60
	s_wait_loadcnt_dscnt 0x706
	v_dual_mul_f32 v178, v138, v87 :: v_dual_mul_f32 v179, v140, v89
	s_wait_loadcnt_dscnt 0x605
	v_dual_mul_f32 v180, v142, v91 :: v_dual_mul_f32 v181, v144, v93
	v_add_f32_e32 v60, v62, v60
	v_mul_f32_e32 v62, v129, v77
	v_dual_fmac_f32 v178, v139, v86 :: v_dual_fmac_f32 v179, v141, v88
	s_delay_alu instid0(VALU_DEP_4) | instskip(NEXT) | instid1(VALU_DEP_4)
	v_dual_fmac_f32 v180, v143, v90 :: v_dual_fmac_f32 v181, v145, v92
	v_dual_add_f32 v60, v60, v63 :: v_dual_add_f32 v59, v59, v168
	v_mul_f32_e32 v63, v131, v79
	v_fma_f32 v62, v128, v76, -v62
	v_fmac_f32_e32 v175, v133, v80
	s_delay_alu instid0(VALU_DEP_4)
	v_add_f32_e32 v60, v60, v64
	v_mul_f32_e32 v64, v133, v81
	v_add_f32_e32 v59, v59, v169
	v_fma_f32 v63, v130, v78, -v63
	v_fmac_f32_e32 v176, v135, v82
	v_add_f32_e32 v60, v60, v62
	v_mul_f32_e32 v62, v135, v83
	v_add_f32_e32 v59, v59, v170
	v_fma_f32 v64, v132, v80, -v64
	s_delay_alu instid0(VALU_DEP_4) | instskip(SKIP_1) | instid1(VALU_DEP_4)
	v_dual_fmac_f32 v177, v137, v84 :: v_dual_add_f32 v60, v60, v63
	v_mul_f32_e32 v63, v137, v85
	v_add_f32_e32 v59, v59, v171
	v_fma_f32 v62, v134, v82, -v62
	s_wait_loadcnt_dscnt 0x504
	v_dual_mul_f32 v182, v146, v95 :: v_dual_mul_f32 v183, v148, v97
	v_add_f32_e32 v60, v60, v64
	v_add_f32_e32 v59, v59, v172
	v_fma_f32 v63, v136, v84, -v63
	v_mul_f32_e32 v64, v139, v87
	v_dual_fmac_f32 v182, v147, v94 :: v_dual_fmac_f32 v183, v149, v96
	s_delay_alu instid0(VALU_DEP_4) | instskip(SKIP_1) | instid1(VALU_DEP_4)
	v_dual_add_f32 v60, v60, v62 :: v_dual_add_f32 v59, v59, v173
	v_mul_f32_e32 v62, v141, v89
	v_fma_f32 v64, v138, v86, -v64
	s_wait_loadcnt_dscnt 0x403
	v_dual_mul_f32 v184, v150, v99 :: v_dual_mul_f32 v185, v152, v101
	v_dual_add_f32 v60, v60, v63 :: v_dual_add_f32 v59, v59, v174
	v_mul_f32_e32 v63, v143, v91
	v_fma_f32 v62, v140, v88, -v62
	s_wait_loadcnt_dscnt 0x302
	v_dual_mul_f32 v186, v154, v103 :: v_dual_mul_f32 v187, v156, v105
	v_dual_add_f32 v59, v59, v175 :: v_dual_add_f32 v60, v60, v64
	v_mul_f32_e32 v64, v145, v93
	v_fma_f32 v63, v142, v90, -v63
	s_delay_alu instid0(VALU_DEP_4) | instskip(NEXT) | instid1(VALU_DEP_4)
	v_dual_fmac_f32 v184, v151, v98 :: v_dual_fmac_f32 v187, v157, v104
	v_dual_add_f32 v59, v59, v176 :: v_dual_add_f32 v60, v60, v62
	v_mul_f32_e32 v62, v147, v95
	v_fma_f32 v64, v144, v92, -v64
	v_fmac_f32_e32 v185, v153, v100
	s_delay_alu instid0(VALU_DEP_4) | instskip(SKIP_3) | instid1(VALU_DEP_4)
	v_dual_add_f32 v59, v59, v177 :: v_dual_add_f32 v60, v60, v63
	v_mul_f32_e32 v63, v149, v97
	v_fma_f32 v62, v146, v94, -v62
	v_fmac_f32_e32 v186, v155, v102
	v_dual_add_f32 v59, v59, v178 :: v_dual_add_f32 v60, v60, v64
	s_delay_alu instid0(VALU_DEP_4)
	v_fma_f32 v63, v148, v96, -v63
	v_mul_f32_e32 v64, v151, v99
	s_wait_loadcnt_dscnt 0x201
	v_dual_mul_f32 v188, v158, v107 :: v_dual_mul_f32 v189, v160, v109
	v_dual_add_f32 v59, v59, v179 :: v_dual_add_f32 v60, v60, v62
	v_mul_f32_e32 v62, v153, v101
	v_fma_f32 v64, v150, v98, -v64
	s_wait_loadcnt_dscnt 0x100
	v_dual_mul_f32 v190, v162, v111 :: v_dual_mul_f32 v191, v164, v113
	v_dual_add_f32 v59, v59, v180 :: v_dual_add_f32 v60, v60, v63
	v_mul_f32_e32 v63, v155, v103
	v_fma_f32 v62, v152, v100, -v62
	s_delay_alu instid0(VALU_DEP_4) | instskip(NEXT) | instid1(VALU_DEP_4)
	v_dual_fmac_f32 v188, v159, v106 :: v_dual_fmac_f32 v191, v165, v112
	v_dual_add_f32 v59, v59, v181 :: v_dual_add_f32 v60, v60, v64
	v_mul_f32_e32 v64, v157, v105
	v_fma_f32 v63, v154, v102, -v63
	v_fmac_f32_e32 v189, v161, v108
	s_delay_alu instid0(VALU_DEP_4)
	v_add_f32_e32 v59, v59, v182
	v_add_f32_e32 v60, v60, v62
	v_mul_f32_e32 v62, v159, v107
	v_fma_f32 v64, v156, v104, -v64
	v_fmac_f32_e32 v190, v163, v110
	v_add_f32_e32 v59, v59, v183
	v_dual_add_f32 v60, v60, v63 :: v_dual_mul_f32 v63, v161, v109
	v_fma_f32 v62, v158, v106, -v62
	s_delay_alu instid0(VALU_DEP_3) | instskip(NEXT) | instid1(VALU_DEP_3)
	v_add_f32_e32 v59, v59, v184
	v_add_f32_e32 v60, v60, v64
	v_mul_f32_e32 v64, v163, v111
	v_fma_f32 v63, v160, v108, -v63
	s_delay_alu instid0(VALU_DEP_3) | instskip(SKIP_1) | instid1(VALU_DEP_4)
	v_dual_add_f32 v59, v59, v185 :: v_dual_add_f32 v60, v60, v62
	v_mul_f32_e32 v62, v165, v113
	v_fma_f32 v64, v162, v110, -v64
	s_delay_alu instid0(VALU_DEP_3) | instskip(NEXT) | instid1(VALU_DEP_3)
	v_add_f32_e32 v59, v59, v186
	v_fma_f32 v62, v164, v112, -v62
	s_delay_alu instid0(VALU_DEP_2) | instskip(NEXT) | instid1(VALU_DEP_1)
	v_add_f32_e32 v59, v59, v187
	v_dual_add_f32 v59, v59, v188 :: v_dual_add_f32 v60, v60, v63
	s_delay_alu instid0(VALU_DEP_1) | instskip(NEXT) | instid1(VALU_DEP_1)
	v_dual_add_f32 v59, v59, v189 :: v_dual_add_f32 v60, v60, v64
	v_add_f32_e32 v59, v59, v190
	s_delay_alu instid0(VALU_DEP_2) | instskip(SKIP_1) | instid1(VALU_DEP_1)
	v_add_f32_e32 v60, v60, v62
	s_wait_loadcnt 0x0
	v_dual_add_f32 v62, v59, v191 :: v_dual_sub_f32 v59, v166, v60
	s_delay_alu instid0(VALU_DEP_1)
	v_sub_f32_e32 v60, v167, v62
	scratch_store_b64 off, v[59:60], off offset:16
	v_cmpx_lt_u32_e32 1, v0
	s_cbranch_execz .LBB92_185
; %bb.184:
	scratch_load_b64 v[59:60], off, off offset:8
	v_mov_b32_e32 v62, 0
	s_delay_alu instid0(VALU_DEP_1)
	v_mov_b32_e32 v63, v62
	scratch_store_b64 off, v[62:63], off offset:8
	s_wait_loadcnt 0x0
	ds_store_b64 v61, v[59:60]
.LBB92_185:
	s_wait_alu 0xfffe
	s_or_b32 exec_lo, exec_lo, s0
	s_wait_storecnt_dscnt 0x0
	s_barrier_signal -1
	s_barrier_wait -1
	global_inv scope:SCOPE_SE
	s_clause 0xe
	scratch_load_b128 v[62:65], off, off offset:16
	scratch_load_b128 v[66:69], off, off offset:32
	;; [unrolled: 1-line block ×13, first 2 shown]
	scratch_load_b64 v[166:167], off, off offset:224
	scratch_load_b64 v[168:169], off, off offset:8
	v_mov_b32_e32 v59, 0
	ds_load_b128 v[114:117], v59 offset:256
	ds_load_b128 v[118:121], v59 offset:272
	;; [unrolled: 1-line block ×13, first 2 shown]
	ds_load_b64 v[170:171], v59 offset:464
	s_mov_b32 s0, exec_lo
	s_wait_loadcnt_dscnt 0xe0d
	v_mul_f32_e32 v60, v114, v63
	s_wait_loadcnt_dscnt 0xd0c
	v_dual_mul_f32 v172, v116, v65 :: v_dual_mul_f32 v173, v118, v67
	v_mul_f32_e32 v65, v117, v65
	s_wait_loadcnt_dscnt 0xc0b
	v_dual_mul_f32 v174, v120, v69 :: v_dual_mul_f32 v175, v122, v71
	s_wait_loadcnt_dscnt 0xa09
	v_dual_mul_f32 v178, v128, v77 :: v_dual_mul_f32 v179, v130, v79
	v_mul_f32_e32 v63, v115, v63
	v_fmac_f32_e32 v60, v115, v62
	s_wait_loadcnt_dscnt 0x908
	v_dual_mul_f32 v180, v132, v81 :: v_dual_mul_f32 v181, v134, v83
	s_wait_loadcnt_dscnt 0x100
	v_dual_mul_f32 v194, v160, v109 :: v_dual_mul_f32 v197, v170, v167
	v_fma_f32 v63, v114, v62, -v63
	v_mul_f32_e32 v62, v119, v67
	v_fmac_f32_e32 v172, v117, v64
	v_fma_f32 v64, v116, v64, -v65
	v_dual_add_f32 v60, 0, v60 :: v_dual_mul_f32 v65, v121, v69
	v_add_f32_e32 v63, 0, v63
	v_fmac_f32_e32 v173, v119, v66
	v_fma_f32 v62, v118, v66, -v62
	s_delay_alu instid0(VALU_DEP_4)
	v_add_f32_e32 v60, v60, v172
	v_fma_f32 v65, v120, v68, -v65
	v_add_f32_e32 v63, v63, v64
	v_mul_f32_e32 v64, v123, v71
	v_dual_mul_f32 v182, v136, v85 :: v_dual_mul_f32 v183, v138, v87
	v_add_f32_e32 v60, v60, v173
	s_delay_alu instid0(VALU_DEP_4) | instskip(NEXT) | instid1(VALU_DEP_4)
	v_dual_add_f32 v62, v63, v62 :: v_dual_mul_f32 v63, v125, v73
	v_fma_f32 v64, v122, v70, -v64
	v_dual_fmac_f32 v174, v121, v68 :: v_dual_fmac_f32 v175, v123, v70
	s_delay_alu instid0(VALU_DEP_3) | instskip(NEXT) | instid1(VALU_DEP_4)
	v_dual_add_f32 v62, v62, v65 :: v_dual_mul_f32 v65, v127, v75
	v_fma_f32 v63, v124, v72, -v63
	v_dual_fmac_f32 v179, v131, v78 :: v_dual_mul_f32 v184, v140, v89
	v_mul_f32_e32 v185, v142, v91
	s_delay_alu instid0(VALU_DEP_4) | instskip(SKIP_3) | instid1(VALU_DEP_4)
	v_add_f32_e32 v62, v62, v64
	v_dual_mul_f32 v64, v129, v77 :: v_dual_fmac_f32 v181, v135, v82
	v_fma_f32 v65, v126, v74, -v65
	v_add_f32_e32 v60, v60, v174
	v_dual_add_f32 v62, v62, v63 :: v_dual_fmac_f32 v183, v139, v86
	v_mul_f32_e32 v63, v131, v79
	v_fma_f32 v64, v128, v76, -v64
	s_delay_alu instid0(VALU_DEP_3) | instskip(SKIP_1) | instid1(VALU_DEP_4)
	v_dual_fmac_f32 v185, v143, v90 :: v_dual_add_f32 v62, v62, v65
	v_mul_f32_e32 v65, v133, v81
	v_fma_f32 v63, v130, v78, -v63
	v_dual_mul_f32 v176, v124, v73 :: v_dual_mul_f32 v177, v126, v75
	s_delay_alu instid0(VALU_DEP_4) | instskip(SKIP_3) | instid1(VALU_DEP_4)
	v_add_f32_e32 v62, v62, v64
	v_dual_mul_f32 v188, v148, v97 :: v_dual_mul_f32 v189, v150, v99
	v_mul_f32_e32 v64, v135, v83
	v_fma_f32 v65, v132, v80, -v65
	v_add_f32_e32 v62, v62, v63
	v_dual_fmac_f32 v176, v125, v72 :: v_dual_fmac_f32 v177, v127, v74
	v_dual_add_f32 v60, v60, v175 :: v_dual_mul_f32 v63, v137, v85
	v_fma_f32 v64, v134, v82, -v64
	s_delay_alu instid0(VALU_DEP_4) | instskip(NEXT) | instid1(VALU_DEP_3)
	v_dual_fmac_f32 v189, v151, v98 :: v_dual_add_f32 v62, v62, v65
	v_dual_add_f32 v60, v60, v176 :: v_dual_mul_f32 v65, v139, v87
	s_delay_alu instid0(VALU_DEP_4) | instskip(SKIP_1) | instid1(VALU_DEP_4)
	v_fma_f32 v63, v136, v84, -v63
	v_fmac_f32_e32 v178, v129, v76
	v_add_f32_e32 v62, v62, v64
	v_mul_f32_e32 v64, v141, v89
	v_fma_f32 v65, v138, v86, -v65
	v_dual_fmac_f32 v197, v171, v166 :: v_dual_mul_f32 v186, v144, v93
	v_mul_f32_e32 v187, v146, v95
	v_add_f32_e32 v62, v62, v63
	v_mul_f32_e32 v63, v143, v91
	v_fma_f32 v64, v140, v88, -v64
	s_delay_alu instid0(VALU_DEP_4) | instskip(NEXT) | instid1(VALU_DEP_4)
	v_dual_add_f32 v60, v60, v177 :: v_dual_fmac_f32 v187, v147, v94
	v_add_f32_e32 v62, v62, v65
	v_mul_f32_e32 v65, v145, v93
	v_fma_f32 v63, v142, v90, -v63
	s_delay_alu instid0(VALU_DEP_4)
	v_add_f32_e32 v60, v60, v178
	v_fmac_f32_e32 v180, v133, v80
	v_add_f32_e32 v62, v62, v64
	v_mul_f32_e32 v64, v147, v95
	v_fma_f32 v65, v144, v92, -v65
	v_dual_mul_f32 v190, v152, v101 :: v_dual_mul_f32 v191, v154, v103
	s_delay_alu instid0(VALU_DEP_4) | instskip(NEXT) | instid1(VALU_DEP_4)
	v_dual_add_f32 v62, v62, v63 :: v_dual_mul_f32 v63, v149, v97
	v_fma_f32 v64, v146, v94, -v64
	s_delay_alu instid0(VALU_DEP_3) | instskip(NEXT) | instid1(VALU_DEP_3)
	v_dual_add_f32 v60, v60, v179 :: v_dual_fmac_f32 v191, v155, v102
	v_dual_add_f32 v62, v62, v65 :: v_dual_mul_f32 v65, v151, v99
	s_delay_alu instid0(VALU_DEP_4) | instskip(NEXT) | instid1(VALU_DEP_3)
	v_fma_f32 v63, v148, v96, -v63
	v_add_f32_e32 v60, v60, v180
	v_dual_mul_f32 v192, v156, v105 :: v_dual_mul_f32 v193, v158, v107
	s_delay_alu instid0(VALU_DEP_4) | instskip(SKIP_3) | instid1(VALU_DEP_4)
	v_add_f32_e32 v62, v62, v64
	v_mul_f32_e32 v64, v153, v101
	v_fma_f32 v65, v150, v98, -v65
	v_dual_mul_f32 v195, v162, v111 :: v_dual_mul_f32 v196, v164, v113
	v_add_f32_e32 v62, v62, v63
	v_mul_f32_e32 v63, v155, v103
	v_fma_f32 v64, v152, v100, -v64
	v_dual_fmac_f32 v182, v137, v84 :: v_dual_fmac_f32 v193, v159, v106
	s_delay_alu instid0(VALU_DEP_4) | instskip(NEXT) | instid1(VALU_DEP_4)
	v_add_f32_e32 v62, v62, v65
	v_fma_f32 v63, v154, v102, -v63
	v_dual_fmac_f32 v195, v163, v110 :: v_dual_fmac_f32 v184, v141, v88
	v_fmac_f32_e32 v186, v145, v92
	s_delay_alu instid0(VALU_DEP_4) | instskip(SKIP_3) | instid1(VALU_DEP_4)
	v_add_f32_e32 v62, v62, v64
	v_fmac_f32_e32 v188, v149, v96
	v_fmac_f32_e32 v190, v153, v100
	v_dual_mul_f32 v65, v157, v105 :: v_dual_mul_f32 v64, v159, v107
	v_dual_add_f32 v62, v62, v63 :: v_dual_mul_f32 v63, v161, v109
	v_add_f32_e32 v60, v60, v181
	v_fmac_f32_e32 v192, v157, v104
	s_delay_alu instid0(VALU_DEP_4)
	v_fma_f32 v65, v156, v104, -v65
	v_fma_f32 v64, v158, v106, -v64
	v_fmac_f32_e32 v194, v161, v108
	v_add_f32_e32 v60, v60, v182
	v_fma_f32 v63, v160, v108, -v63
	v_dual_add_f32 v62, v62, v65 :: v_dual_mul_f32 v65, v163, v111
	v_fmac_f32_e32 v196, v165, v112
	s_delay_alu instid0(VALU_DEP_4) | instskip(NEXT) | instid1(VALU_DEP_3)
	v_add_f32_e32 v60, v60, v183
	v_add_f32_e32 v62, v62, v64
	v_mul_f32_e32 v64, v165, v113
	v_fma_f32 v65, v162, v110, -v65
	s_delay_alu instid0(VALU_DEP_4) | instskip(NEXT) | instid1(VALU_DEP_4)
	v_add_f32_e32 v60, v60, v184
	v_add_f32_e32 v62, v62, v63
	v_mul_f32_e32 v63, v171, v167
	v_fma_f32 v64, v164, v112, -v64
	s_delay_alu instid0(VALU_DEP_4) | instskip(NEXT) | instid1(VALU_DEP_4)
	v_add_f32_e32 v60, v60, v185
	v_add_f32_e32 v62, v62, v65
	s_delay_alu instid0(VALU_DEP_4) | instskip(NEXT) | instid1(VALU_DEP_3)
	v_fma_f32 v63, v170, v166, -v63
	v_add_f32_e32 v60, v60, v186
	s_delay_alu instid0(VALU_DEP_3) | instskip(NEXT) | instid1(VALU_DEP_2)
	v_add_f32_e32 v62, v62, v64
	v_add_f32_e32 v60, v60, v187
	s_delay_alu instid0(VALU_DEP_2) | instskip(NEXT) | instid1(VALU_DEP_2)
	v_add_f32_e32 v62, v62, v63
	v_add_f32_e32 v60, v60, v188
	s_wait_loadcnt 0x0
	s_delay_alu instid0(VALU_DEP_2) | instskip(NEXT) | instid1(VALU_DEP_2)
	v_sub_f32_e32 v62, v168, v62
	v_add_f32_e32 v60, v60, v189
	s_delay_alu instid0(VALU_DEP_1) | instskip(NEXT) | instid1(VALU_DEP_1)
	v_add_f32_e32 v60, v60, v190
	v_add_f32_e32 v60, v60, v191
	s_delay_alu instid0(VALU_DEP_1) | instskip(NEXT) | instid1(VALU_DEP_1)
	v_add_f32_e32 v60, v60, v192
	;; [unrolled: 3-line block ×4, first 2 shown]
	v_add_f32_e32 v60, v60, v197
	s_delay_alu instid0(VALU_DEP_1)
	v_sub_f32_e32 v63, v169, v60
	scratch_store_b64 off, v[62:63], off offset:8
	v_cmpx_ne_u32_e32 0, v0
	s_cbranch_execz .LBB92_187
; %bb.186:
	scratch_load_b64 v[62:63], off, off
	v_mov_b32_e32 v60, v59
	scratch_store_b64 off, v[59:60], off
	s_wait_loadcnt 0x0
	ds_store_b64 v61, v[62:63]
.LBB92_187:
	s_wait_alu 0xfffe
	s_or_b32 exec_lo, exec_lo, s0
	s_wait_storecnt_dscnt 0x0
	s_barrier_signal -1
	s_barrier_wait -1
	global_inv scope:SCOPE_SE
	s_clause 0xe
	scratch_load_b128 v[60:63], off, off offset:8
	scratch_load_b128 v[64:67], off, off offset:24
	;; [unrolled: 1-line block ×14, first 2 shown]
	scratch_load_b64 v[172:173], off, off
	ds_load_2addr_b64 v[116:119], v59 offset0:31 offset1:32
	ds_load_2addr_b64 v[120:123], v59 offset0:33 offset1:34
	;; [unrolled: 1-line block ×14, first 2 shown]
	s_and_b32 vcc_lo, exec_lo, s12
	s_wait_loadcnt_dscnt 0xe0d
	v_dual_mul_f32 v0, v116, v61 :: v_dual_mul_f32 v59, v118, v63
	s_wait_loadcnt_dscnt 0xd0c
	v_dual_mul_f32 v63, v119, v63 :: v_dual_mul_f32 v174, v120, v65
	s_delay_alu instid0(VALU_DEP_2) | instskip(SKIP_2) | instid1(VALU_DEP_4)
	v_dual_mul_f32 v175, v122, v67 :: v_dual_fmac_f32 v0, v117, v60
	v_mul_f32_e32 v61, v117, v61
	v_fmac_f32_e32 v59, v119, v62
	v_fma_f32 v62, v118, v62, -v63
	s_wait_loadcnt_dscnt 0xc0b
	v_dual_mul_f32 v176, v124, v69 :: v_dual_mul_f32 v177, v126, v71
	v_add_f32_e32 v0, 0, v0
	v_fma_f32 v61, v116, v60, -v61
	v_mul_f32_e32 v60, v121, v65
	v_dual_fmac_f32 v174, v121, v64 :: v_dual_fmac_f32 v175, v123, v66
	s_delay_alu instid0(VALU_DEP_3) | instskip(NEXT) | instid1(VALU_DEP_3)
	v_dual_fmac_f32 v176, v125, v68 :: v_dual_add_f32 v61, 0, v61
	v_fma_f32 v60, v120, v64, -v60
	v_dual_add_f32 v0, v0, v59 :: v_dual_mul_f32 v59, v125, v69
	s_wait_loadcnt_dscnt 0xb0a
	v_dual_mul_f32 v178, v128, v73 :: v_dual_mul_f32 v179, v130, v75
	v_add_f32_e32 v61, v61, v62
	s_delay_alu instid0(VALU_DEP_3) | instskip(SKIP_1) | instid1(VALU_DEP_3)
	v_dual_mul_f32 v63, v123, v67 :: v_dual_add_f32 v0, v0, v174
	v_fma_f32 v59, v124, v68, -v59
	v_dual_fmac_f32 v177, v127, v70 :: v_dual_add_f32 v60, v61, v60
	s_delay_alu instid0(VALU_DEP_3) | instskip(SKIP_3) | instid1(VALU_DEP_4)
	v_fma_f32 v62, v122, v66, -v63
	v_mul_f32_e32 v61, v127, v71
	v_add_f32_e32 v0, v0, v175
	v_dual_fmac_f32 v178, v129, v72 :: v_dual_fmac_f32 v179, v131, v74
	v_add_f32_e32 v60, v60, v62
	v_mul_f32_e32 v62, v129, v73
	v_fma_f32 v61, v126, v70, -v61
	s_wait_loadcnt_dscnt 0xa09
	v_dual_mul_f32 v180, v132, v77 :: v_dual_mul_f32 v181, v134, v79
	v_add_f32_e32 v59, v60, v59
	v_add_f32_e32 v0, v0, v176
	v_mul_f32_e32 v60, v131, v75
	v_fma_f32 v62, v128, v72, -v62
	v_dual_fmac_f32 v180, v133, v76 :: v_dual_fmac_f32 v181, v135, v78
	v_add_f32_e32 v59, v59, v61
	v_add_f32_e32 v0, v0, v177
	v_mul_f32_e32 v61, v133, v77
	v_fma_f32 v60, v130, v74, -v60
	s_wait_loadcnt_dscnt 0x908
	v_dual_mul_f32 v182, v136, v81 :: v_dual_mul_f32 v183, v138, v83
	v_add_f32_e32 v59, v59, v62
	v_add_f32_e32 v0, v0, v178
	v_mul_f32_e32 v62, v135, v79
	v_fma_f32 v61, v132, v76, -v61
	s_wait_loadcnt_dscnt 0x807
	v_dual_mul_f32 v184, v140, v85 :: v_dual_mul_f32 v185, v142, v87
	v_dual_add_f32 v59, v59, v60 :: v_dual_add_f32 v0, v0, v179
	v_mul_f32_e32 v60, v137, v81
	v_fma_f32 v62, v134, v78, -v62
	v_dual_fmac_f32 v182, v137, v80 :: v_dual_fmac_f32 v183, v139, v82
	s_delay_alu instid0(VALU_DEP_4) | instskip(SKIP_3) | instid1(VALU_DEP_4)
	v_dual_add_f32 v59, v59, v61 :: v_dual_add_f32 v0, v0, v180
	v_mul_f32_e32 v61, v139, v83
	v_fma_f32 v60, v136, v80, -v60
	v_fmac_f32_e32 v185, v143, v86
	v_dual_add_f32 v59, v59, v62 :: v_dual_add_f32 v0, v0, v181
	v_mul_f32_e32 v62, v141, v85
	v_fma_f32 v61, v138, v82, -v61
	s_wait_loadcnt_dscnt 0x706
	v_dual_mul_f32 v186, v144, v89 :: v_dual_mul_f32 v187, v146, v91
	v_dual_add_f32 v59, v59, v60 :: v_dual_add_f32 v0, v0, v182
	v_mul_f32_e32 v60, v143, v87
	v_fma_f32 v62, v140, v84, -v62
	s_delay_alu instid0(VALU_DEP_4) | instskip(NEXT) | instid1(VALU_DEP_4)
	v_fmac_f32_e32 v187, v147, v90
	v_dual_add_f32 v59, v59, v61 :: v_dual_fmac_f32 v184, v141, v84
	v_mul_f32_e32 v61, v145, v89
	v_fma_f32 v60, v142, v86, -v60
	s_wait_loadcnt_dscnt 0x605
	v_dual_mul_f32 v188, v148, v93 :: v_dual_mul_f32 v189, v150, v95
	v_dual_add_f32 v59, v59, v62 :: v_dual_add_f32 v0, v0, v183
	v_mul_f32_e32 v62, v147, v91
	v_fma_f32 v61, v144, v88, -v61
	s_wait_loadcnt_dscnt 0x504
	v_dual_mul_f32 v190, v152, v97 :: v_dual_mul_f32 v191, v154, v99
	v_add_f32_e32 v59, v59, v60
	v_add_f32_e32 v0, v0, v184
	v_fmac_f32_e32 v186, v145, v88
	v_fma_f32 v62, v146, v90, -v62
	v_dual_fmac_f32 v188, v149, v92 :: v_dual_fmac_f32 v189, v151, v94
	v_add_f32_e32 v59, v59, v61
	v_mul_f32_e32 v60, v149, v93
	v_dual_add_f32 v0, v0, v185 :: v_dual_mul_f32 v61, v151, v95
	v_fmac_f32_e32 v191, v155, v98
	s_delay_alu instid0(VALU_DEP_4) | instskip(NEXT) | instid1(VALU_DEP_4)
	v_add_f32_e32 v59, v59, v62
	v_fma_f32 v60, v148, v92, -v60
	s_delay_alu instid0(VALU_DEP_4)
	v_add_f32_e32 v0, v0, v186
	v_mul_f32_e32 v62, v153, v97
	v_fma_f32 v61, v150, v94, -v61
	s_wait_loadcnt_dscnt 0x403
	v_dual_mul_f32 v192, v156, v101 :: v_dual_mul_f32 v193, v158, v103
	v_dual_add_f32 v59, v59, v60 :: v_dual_add_f32 v0, v0, v187
	v_mul_f32_e32 v60, v155, v99
	v_fma_f32 v62, v152, v96, -v62
	s_delay_alu instid0(VALU_DEP_4) | instskip(NEXT) | instid1(VALU_DEP_4)
	v_dual_fmac_f32 v190, v153, v96 :: v_dual_fmac_f32 v193, v159, v102
	v_dual_add_f32 v59, v59, v61 :: v_dual_add_f32 v0, v0, v188
	v_mul_f32_e32 v61, v157, v101
	v_fma_f32 v60, v154, v98, -v60
	s_wait_loadcnt_dscnt 0x302
	v_dual_mul_f32 v194, v160, v105 :: v_dual_mul_f32 v195, v162, v107
	v_dual_add_f32 v59, v59, v62 :: v_dual_add_f32 v0, v0, v189
	v_mul_f32_e32 v62, v159, v103
	v_fma_f32 v61, v156, v100, -v61
	v_fmac_f32_e32 v192, v157, v100
	s_delay_alu instid0(VALU_DEP_4) | instskip(SKIP_2) | instid1(VALU_DEP_3)
	v_dual_add_f32 v59, v59, v60 :: v_dual_add_f32 v0, v0, v190
	v_dual_mul_f32 v60, v161, v105 :: v_dual_fmac_f32 v195, v163, v106
	v_fma_f32 v62, v158, v102, -v62
	v_dual_add_f32 v59, v59, v61 :: v_dual_add_f32 v0, v0, v191
	v_mul_f32_e32 v61, v163, v107
	s_delay_alu instid0(VALU_DEP_4) | instskip(SKIP_4) | instid1(VALU_DEP_3)
	v_fma_f32 v60, v160, v104, -v60
	s_wait_loadcnt_dscnt 0x201
	v_dual_mul_f32 v196, v164, v109 :: v_dual_mul_f32 v197, v166, v111
	v_dual_add_f32 v59, v59, v62 :: v_dual_mul_f32 v62, v165, v109
	v_fma_f32 v61, v162, v106, -v61
	v_dual_fmac_f32 v194, v161, v104 :: v_dual_fmac_f32 v197, v167, v110
	s_delay_alu instid0(VALU_DEP_3)
	v_add_f32_e32 v59, v59, v60
	v_add_f32_e32 v0, v0, v192
	v_mul_f32_e32 v60, v167, v111
	v_fma_f32 v62, v164, v108, -v62
	s_wait_loadcnt_dscnt 0x100
	v_dual_mul_f32 v198, v168, v113 :: v_dual_mul_f32 v199, v170, v115
	v_add_f32_e32 v59, v59, v61
	v_add_f32_e32 v0, v0, v193
	v_mul_f32_e32 v61, v169, v113
	v_fma_f32 v60, v166, v110, -v60
	v_dual_fmac_f32 v196, v165, v108 :: v_dual_fmac_f32 v199, v171, v114
	v_add_f32_e32 v59, v59, v62
	v_add_f32_e32 v0, v0, v194
	v_mul_f32_e32 v62, v171, v115
	v_fma_f32 v61, v168, v112, -v61
	s_delay_alu instid0(VALU_DEP_3) | instskip(NEXT) | instid1(VALU_DEP_3)
	v_dual_add_f32 v59, v59, v60 :: v_dual_add_f32 v0, v0, v195
	v_fma_f32 v60, v170, v114, -v62
	s_delay_alu instid0(VALU_DEP_2) | instskip(NEXT) | instid1(VALU_DEP_1)
	v_dual_add_f32 v59, v59, v61 :: v_dual_add_f32 v0, v0, v196
	v_dual_add_f32 v59, v59, v60 :: v_dual_add_f32 v0, v0, v197
	s_wait_loadcnt 0x0
	s_delay_alu instid0(VALU_DEP_1) | instskip(NEXT) | instid1(VALU_DEP_1)
	v_dual_fmac_f32 v198, v169, v112 :: v_dual_sub_f32 v59, v172, v59
	v_add_f32_e32 v0, v0, v198
	s_delay_alu instid0(VALU_DEP_1) | instskip(NEXT) | instid1(VALU_DEP_1)
	v_add_f32_e32 v0, v0, v199
	v_sub_f32_e32 v60, v173, v0
	scratch_store_b64 off, v[59:60], off
	s_wait_alu 0xfffe
	s_cbranch_vccz .LBB92_244
; %bb.188:
	v_mov_b32_e32 v0, 0
	global_load_b32 v59, v0, s[2:3] offset:108
	s_wait_loadcnt 0x0
	v_cmp_ne_u32_e32 vcc_lo, 28, v59
	s_cbranch_vccz .LBB92_190
; %bb.189:
	v_lshlrev_b32_e32 v59, 3, v59
	s_delay_alu instid0(VALU_DEP_1)
	v_mov_b32_e32 v63, v59
	scratch_load_b64 v[59:60], v63, off offset:-8
	scratch_load_b64 v[61:62], off, off offset:216
	s_wait_loadcnt 0x1
	scratch_store_b64 off, v[59:60], off offset:216
	s_wait_loadcnt 0x0
	scratch_store_b64 v63, v[61:62], off offset:-8
.LBB92_190:
	global_load_b32 v0, v0, s[2:3] offset:104
	s_wait_loadcnt 0x0
	v_cmp_eq_u32_e32 vcc_lo, 27, v0
	s_cbranch_vccnz .LBB92_192
; %bb.191:
	v_lshlrev_b32_e32 v0, 3, v0
	scratch_load_b64 v[59:60], v0, off offset:-8
	scratch_load_b64 v[61:62], off, off offset:208
	s_wait_loadcnt 0x1
	scratch_store_b64 off, v[59:60], off offset:208
	s_wait_loadcnt 0x0
	scratch_store_b64 v0, v[61:62], off offset:-8
.LBB92_192:
	v_mov_b32_e32 v0, 0
	global_load_b32 v59, v0, s[2:3] offset:100
	s_wait_loadcnt 0x0
	v_cmp_eq_u32_e32 vcc_lo, 26, v59
	s_cbranch_vccnz .LBB92_194
; %bb.193:
	v_lshlrev_b32_e32 v59, 3, v59
	s_delay_alu instid0(VALU_DEP_1)
	v_mov_b32_e32 v63, v59
	scratch_load_b64 v[59:60], v63, off offset:-8
	scratch_load_b64 v[61:62], off, off offset:200
	s_wait_loadcnt 0x1
	scratch_store_b64 off, v[59:60], off offset:200
	s_wait_loadcnt 0x0
	scratch_store_b64 v63, v[61:62], off offset:-8
.LBB92_194:
	global_load_b32 v0, v0, s[2:3] offset:96
	s_wait_loadcnt 0x0
	v_cmp_eq_u32_e32 vcc_lo, 25, v0
	s_cbranch_vccnz .LBB92_196
; %bb.195:
	v_lshlrev_b32_e32 v0, 3, v0
	scratch_load_b64 v[59:60], v0, off offset:-8
	scratch_load_b64 v[61:62], off, off offset:192
	s_wait_loadcnt 0x1
	scratch_store_b64 off, v[59:60], off offset:192
	s_wait_loadcnt 0x0
	scratch_store_b64 v0, v[61:62], off offset:-8
.LBB92_196:
	v_mov_b32_e32 v0, 0
	global_load_b32 v59, v0, s[2:3] offset:92
	s_wait_loadcnt 0x0
	v_cmp_eq_u32_e32 vcc_lo, 24, v59
	s_cbranch_vccnz .LBB92_198
; %bb.197:
	v_lshlrev_b32_e32 v59, 3, v59
	s_delay_alu instid0(VALU_DEP_1)
	v_mov_b32_e32 v63, v59
	scratch_load_b64 v[59:60], v63, off offset:-8
	scratch_load_b64 v[61:62], off, off offset:184
	s_wait_loadcnt 0x1
	scratch_store_b64 off, v[59:60], off offset:184
	s_wait_loadcnt 0x0
	scratch_store_b64 v63, v[61:62], off offset:-8
.LBB92_198:
	global_load_b32 v0, v0, s[2:3] offset:88
	s_wait_loadcnt 0x0
	v_cmp_eq_u32_e32 vcc_lo, 23, v0
	s_cbranch_vccnz .LBB92_200
; %bb.199:
	v_lshlrev_b32_e32 v0, 3, v0
	scratch_load_b64 v[59:60], v0, off offset:-8
	scratch_load_b64 v[61:62], off, off offset:176
	s_wait_loadcnt 0x1
	scratch_store_b64 off, v[59:60], off offset:176
	s_wait_loadcnt 0x0
	scratch_store_b64 v0, v[61:62], off offset:-8
.LBB92_200:
	v_mov_b32_e32 v0, 0
	global_load_b32 v59, v0, s[2:3] offset:84
	s_wait_loadcnt 0x0
	v_cmp_eq_u32_e32 vcc_lo, 22, v59
	s_cbranch_vccnz .LBB92_202
; %bb.201:
	v_lshlrev_b32_e32 v59, 3, v59
	s_delay_alu instid0(VALU_DEP_1)
	v_mov_b32_e32 v63, v59
	scratch_load_b64 v[59:60], v63, off offset:-8
	scratch_load_b64 v[61:62], off, off offset:168
	s_wait_loadcnt 0x1
	scratch_store_b64 off, v[59:60], off offset:168
	s_wait_loadcnt 0x0
	scratch_store_b64 v63, v[61:62], off offset:-8
.LBB92_202:
	global_load_b32 v0, v0, s[2:3] offset:80
	s_wait_loadcnt 0x0
	v_cmp_eq_u32_e32 vcc_lo, 21, v0
	s_cbranch_vccnz .LBB92_204
; %bb.203:
	v_lshlrev_b32_e32 v0, 3, v0
	scratch_load_b64 v[59:60], v0, off offset:-8
	scratch_load_b64 v[61:62], off, off offset:160
	s_wait_loadcnt 0x1
	scratch_store_b64 off, v[59:60], off offset:160
	s_wait_loadcnt 0x0
	scratch_store_b64 v0, v[61:62], off offset:-8
.LBB92_204:
	v_mov_b32_e32 v0, 0
	global_load_b32 v59, v0, s[2:3] offset:76
	s_wait_loadcnt 0x0
	v_cmp_eq_u32_e32 vcc_lo, 20, v59
	s_cbranch_vccnz .LBB92_206
; %bb.205:
	v_lshlrev_b32_e32 v59, 3, v59
	s_delay_alu instid0(VALU_DEP_1)
	v_mov_b32_e32 v63, v59
	scratch_load_b64 v[59:60], v63, off offset:-8
	scratch_load_b64 v[61:62], off, off offset:152
	s_wait_loadcnt 0x1
	scratch_store_b64 off, v[59:60], off offset:152
	s_wait_loadcnt 0x0
	scratch_store_b64 v63, v[61:62], off offset:-8
.LBB92_206:
	global_load_b32 v0, v0, s[2:3] offset:72
	s_wait_loadcnt 0x0
	v_cmp_eq_u32_e32 vcc_lo, 19, v0
	s_cbranch_vccnz .LBB92_208
; %bb.207:
	v_lshlrev_b32_e32 v0, 3, v0
	scratch_load_b64 v[59:60], v0, off offset:-8
	scratch_load_b64 v[61:62], off, off offset:144
	s_wait_loadcnt 0x1
	scratch_store_b64 off, v[59:60], off offset:144
	s_wait_loadcnt 0x0
	scratch_store_b64 v0, v[61:62], off offset:-8
.LBB92_208:
	v_mov_b32_e32 v0, 0
	global_load_b32 v59, v0, s[2:3] offset:68
	s_wait_loadcnt 0x0
	v_cmp_eq_u32_e32 vcc_lo, 18, v59
	s_cbranch_vccnz .LBB92_210
; %bb.209:
	v_lshlrev_b32_e32 v59, 3, v59
	s_delay_alu instid0(VALU_DEP_1)
	v_mov_b32_e32 v63, v59
	scratch_load_b64 v[59:60], v63, off offset:-8
	scratch_load_b64 v[61:62], off, off offset:136
	s_wait_loadcnt 0x1
	scratch_store_b64 off, v[59:60], off offset:136
	s_wait_loadcnt 0x0
	scratch_store_b64 v63, v[61:62], off offset:-8
.LBB92_210:
	global_load_b32 v0, v0, s[2:3] offset:64
	s_wait_loadcnt 0x0
	v_cmp_eq_u32_e32 vcc_lo, 17, v0
	s_cbranch_vccnz .LBB92_212
; %bb.211:
	v_lshlrev_b32_e32 v0, 3, v0
	scratch_load_b64 v[59:60], v0, off offset:-8
	scratch_load_b64 v[61:62], off, off offset:128
	s_wait_loadcnt 0x1
	scratch_store_b64 off, v[59:60], off offset:128
	s_wait_loadcnt 0x0
	scratch_store_b64 v0, v[61:62], off offset:-8
.LBB92_212:
	v_mov_b32_e32 v0, 0
	global_load_b32 v59, v0, s[2:3] offset:60
	s_wait_loadcnt 0x0
	v_cmp_eq_u32_e32 vcc_lo, 16, v59
	s_cbranch_vccnz .LBB92_214
; %bb.213:
	v_lshlrev_b32_e32 v59, 3, v59
	s_delay_alu instid0(VALU_DEP_1)
	v_mov_b32_e32 v63, v59
	scratch_load_b64 v[59:60], v63, off offset:-8
	scratch_load_b64 v[61:62], off, off offset:120
	s_wait_loadcnt 0x1
	scratch_store_b64 off, v[59:60], off offset:120
	s_wait_loadcnt 0x0
	scratch_store_b64 v63, v[61:62], off offset:-8
.LBB92_214:
	global_load_b32 v0, v0, s[2:3] offset:56
	s_wait_loadcnt 0x0
	v_cmp_eq_u32_e32 vcc_lo, 15, v0
	s_cbranch_vccnz .LBB92_216
; %bb.215:
	v_lshlrev_b32_e32 v0, 3, v0
	scratch_load_b64 v[59:60], v0, off offset:-8
	scratch_load_b64 v[61:62], off, off offset:112
	s_wait_loadcnt 0x1
	scratch_store_b64 off, v[59:60], off offset:112
	s_wait_loadcnt 0x0
	scratch_store_b64 v0, v[61:62], off offset:-8
.LBB92_216:
	v_mov_b32_e32 v0, 0
	global_load_b32 v59, v0, s[2:3] offset:52
	s_wait_loadcnt 0x0
	v_cmp_eq_u32_e32 vcc_lo, 14, v59
	s_cbranch_vccnz .LBB92_218
; %bb.217:
	v_lshlrev_b32_e32 v59, 3, v59
	s_delay_alu instid0(VALU_DEP_1)
	v_mov_b32_e32 v63, v59
	scratch_load_b64 v[59:60], v63, off offset:-8
	scratch_load_b64 v[61:62], off, off offset:104
	s_wait_loadcnt 0x1
	scratch_store_b64 off, v[59:60], off offset:104
	s_wait_loadcnt 0x0
	scratch_store_b64 v63, v[61:62], off offset:-8
.LBB92_218:
	global_load_b32 v0, v0, s[2:3] offset:48
	s_wait_loadcnt 0x0
	v_cmp_eq_u32_e32 vcc_lo, 13, v0
	s_cbranch_vccnz .LBB92_220
; %bb.219:
	v_lshlrev_b32_e32 v0, 3, v0
	scratch_load_b64 v[59:60], v0, off offset:-8
	scratch_load_b64 v[61:62], off, off offset:96
	s_wait_loadcnt 0x1
	scratch_store_b64 off, v[59:60], off offset:96
	s_wait_loadcnt 0x0
	scratch_store_b64 v0, v[61:62], off offset:-8
.LBB92_220:
	v_mov_b32_e32 v0, 0
	global_load_b32 v59, v0, s[2:3] offset:44
	s_wait_loadcnt 0x0
	v_cmp_eq_u32_e32 vcc_lo, 12, v59
	s_cbranch_vccnz .LBB92_222
; %bb.221:
	v_lshlrev_b32_e32 v59, 3, v59
	s_delay_alu instid0(VALU_DEP_1)
	v_mov_b32_e32 v63, v59
	scratch_load_b64 v[59:60], v63, off offset:-8
	scratch_load_b64 v[61:62], off, off offset:88
	s_wait_loadcnt 0x1
	scratch_store_b64 off, v[59:60], off offset:88
	s_wait_loadcnt 0x0
	scratch_store_b64 v63, v[61:62], off offset:-8
.LBB92_222:
	global_load_b32 v0, v0, s[2:3] offset:40
	s_wait_loadcnt 0x0
	v_cmp_eq_u32_e32 vcc_lo, 11, v0
	s_cbranch_vccnz .LBB92_224
; %bb.223:
	v_lshlrev_b32_e32 v0, 3, v0
	scratch_load_b64 v[59:60], v0, off offset:-8
	scratch_load_b64 v[61:62], off, off offset:80
	s_wait_loadcnt 0x1
	scratch_store_b64 off, v[59:60], off offset:80
	s_wait_loadcnt 0x0
	scratch_store_b64 v0, v[61:62], off offset:-8
.LBB92_224:
	v_mov_b32_e32 v0, 0
	global_load_b32 v59, v0, s[2:3] offset:36
	s_wait_loadcnt 0x0
	v_cmp_eq_u32_e32 vcc_lo, 10, v59
	s_cbranch_vccnz .LBB92_226
; %bb.225:
	v_lshlrev_b32_e32 v59, 3, v59
	s_delay_alu instid0(VALU_DEP_1)
	v_mov_b32_e32 v63, v59
	scratch_load_b64 v[59:60], v63, off offset:-8
	scratch_load_b64 v[61:62], off, off offset:72
	s_wait_loadcnt 0x1
	scratch_store_b64 off, v[59:60], off offset:72
	s_wait_loadcnt 0x0
	scratch_store_b64 v63, v[61:62], off offset:-8
.LBB92_226:
	global_load_b32 v0, v0, s[2:3] offset:32
	s_wait_loadcnt 0x0
	v_cmp_eq_u32_e32 vcc_lo, 9, v0
	s_cbranch_vccnz .LBB92_228
; %bb.227:
	v_lshlrev_b32_e32 v0, 3, v0
	scratch_load_b64 v[59:60], v0, off offset:-8
	scratch_load_b64 v[61:62], off, off offset:64
	s_wait_loadcnt 0x1
	scratch_store_b64 off, v[59:60], off offset:64
	s_wait_loadcnt 0x0
	scratch_store_b64 v0, v[61:62], off offset:-8
.LBB92_228:
	v_mov_b32_e32 v0, 0
	global_load_b32 v59, v0, s[2:3] offset:28
	s_wait_loadcnt 0x0
	v_cmp_eq_u32_e32 vcc_lo, 8, v59
	s_cbranch_vccnz .LBB92_230
; %bb.229:
	v_lshlrev_b32_e32 v59, 3, v59
	s_delay_alu instid0(VALU_DEP_1)
	v_mov_b32_e32 v63, v59
	scratch_load_b64 v[59:60], v63, off offset:-8
	scratch_load_b64 v[61:62], off, off offset:56
	s_wait_loadcnt 0x1
	scratch_store_b64 off, v[59:60], off offset:56
	s_wait_loadcnt 0x0
	scratch_store_b64 v63, v[61:62], off offset:-8
.LBB92_230:
	global_load_b32 v0, v0, s[2:3] offset:24
	s_wait_loadcnt 0x0
	v_cmp_eq_u32_e32 vcc_lo, 7, v0
	s_cbranch_vccnz .LBB92_232
; %bb.231:
	v_lshlrev_b32_e32 v0, 3, v0
	scratch_load_b64 v[59:60], v0, off offset:-8
	scratch_load_b64 v[61:62], off, off offset:48
	s_wait_loadcnt 0x1
	scratch_store_b64 off, v[59:60], off offset:48
	s_wait_loadcnt 0x0
	scratch_store_b64 v0, v[61:62], off offset:-8
.LBB92_232:
	v_mov_b32_e32 v0, 0
	global_load_b32 v59, v0, s[2:3] offset:20
	s_wait_loadcnt 0x0
	v_cmp_eq_u32_e32 vcc_lo, 6, v59
	s_cbranch_vccnz .LBB92_234
; %bb.233:
	v_lshlrev_b32_e32 v59, 3, v59
	s_delay_alu instid0(VALU_DEP_1)
	v_mov_b32_e32 v63, v59
	scratch_load_b64 v[59:60], v63, off offset:-8
	scratch_load_b64 v[61:62], off, off offset:40
	s_wait_loadcnt 0x1
	scratch_store_b64 off, v[59:60], off offset:40
	s_wait_loadcnt 0x0
	scratch_store_b64 v63, v[61:62], off offset:-8
.LBB92_234:
	global_load_b32 v0, v0, s[2:3] offset:16
	s_wait_loadcnt 0x0
	v_cmp_eq_u32_e32 vcc_lo, 5, v0
	s_cbranch_vccnz .LBB92_236
; %bb.235:
	v_lshlrev_b32_e32 v0, 3, v0
	scratch_load_b64 v[59:60], v0, off offset:-8
	scratch_load_b64 v[61:62], off, off offset:32
	s_wait_loadcnt 0x1
	scratch_store_b64 off, v[59:60], off offset:32
	s_wait_loadcnt 0x0
	scratch_store_b64 v0, v[61:62], off offset:-8
.LBB92_236:
	v_mov_b32_e32 v0, 0
	global_load_b32 v59, v0, s[2:3] offset:12
	s_wait_loadcnt 0x0
	v_cmp_eq_u32_e32 vcc_lo, 4, v59
	s_cbranch_vccnz .LBB92_238
; %bb.237:
	v_lshlrev_b32_e32 v59, 3, v59
	s_delay_alu instid0(VALU_DEP_1)
	v_mov_b32_e32 v63, v59
	scratch_load_b64 v[59:60], v63, off offset:-8
	scratch_load_b64 v[61:62], off, off offset:24
	s_wait_loadcnt 0x1
	scratch_store_b64 off, v[59:60], off offset:24
	s_wait_loadcnt 0x0
	scratch_store_b64 v63, v[61:62], off offset:-8
.LBB92_238:
	global_load_b32 v0, v0, s[2:3] offset:8
	s_wait_loadcnt 0x0
	v_cmp_eq_u32_e32 vcc_lo, 3, v0
	s_cbranch_vccnz .LBB92_240
; %bb.239:
	v_lshlrev_b32_e32 v0, 3, v0
	scratch_load_b64 v[59:60], v0, off offset:-8
	scratch_load_b64 v[61:62], off, off offset:16
	s_wait_loadcnt 0x1
	scratch_store_b64 off, v[59:60], off offset:16
	s_wait_loadcnt 0x0
	scratch_store_b64 v0, v[61:62], off offset:-8
.LBB92_240:
	v_mov_b32_e32 v0, 0
	global_load_b32 v59, v0, s[2:3] offset:4
	s_wait_loadcnt 0x0
	v_cmp_eq_u32_e32 vcc_lo, 2, v59
	s_cbranch_vccnz .LBB92_242
; %bb.241:
	v_lshlrev_b32_e32 v59, 3, v59
	s_delay_alu instid0(VALU_DEP_1)
	v_mov_b32_e32 v63, v59
	scratch_load_b64 v[59:60], v63, off offset:-8
	scratch_load_b64 v[61:62], off, off offset:8
	s_wait_loadcnt 0x1
	scratch_store_b64 off, v[59:60], off offset:8
	s_wait_loadcnt 0x0
	scratch_store_b64 v63, v[61:62], off offset:-8
.LBB92_242:
	global_load_b32 v0, v0, s[2:3]
	s_wait_loadcnt 0x0
	v_cmp_eq_u32_e32 vcc_lo, 1, v0
	s_cbranch_vccnz .LBB92_244
; %bb.243:
	v_lshlrev_b32_e32 v0, 3, v0
	scratch_load_b64 v[59:60], v0, off offset:-8
	scratch_load_b64 v[61:62], off, off
	s_wait_loadcnt 0x1
	scratch_store_b64 off, v[59:60], off
	s_wait_loadcnt 0x0
	scratch_store_b64 v0, v[61:62], off offset:-8
.LBB92_244:
	scratch_load_b64 v[59:60], off, off
	s_wait_loadcnt 0x0
	flat_store_b64 v[1:2], v[59:60]
	scratch_load_b64 v[0:1], off, off offset:8
	s_wait_loadcnt 0x0
	flat_store_b64 v[3:4], v[0:1]
	scratch_load_b64 v[0:1], off, off offset:16
	;; [unrolled: 3-line block ×28, first 2 shown]
	s_wait_loadcnt 0x0
	flat_store_b64 v[57:58], v[0:1]
	s_nop 0
	s_sendmsg sendmsg(MSG_DEALLOC_VGPRS)
	s_endpgm
	.section	.rodata,"a",@progbits
	.p2align	6, 0x0
	.amdhsa_kernel _ZN9rocsolver6v33100L18getri_kernel_smallILi29E19rocblas_complex_numIfEPKPS3_EEvT1_iilPiilS8_bb
		.amdhsa_group_segment_fixed_size 472
		.amdhsa_private_segment_fixed_size 240
		.amdhsa_kernarg_size 60
		.amdhsa_user_sgpr_count 2
		.amdhsa_user_sgpr_dispatch_ptr 0
		.amdhsa_user_sgpr_queue_ptr 0
		.amdhsa_user_sgpr_kernarg_segment_ptr 1
		.amdhsa_user_sgpr_dispatch_id 0
		.amdhsa_user_sgpr_private_segment_size 0
		.amdhsa_wavefront_size32 1
		.amdhsa_uses_dynamic_stack 0
		.amdhsa_enable_private_segment 1
		.amdhsa_system_sgpr_workgroup_id_x 1
		.amdhsa_system_sgpr_workgroup_id_y 0
		.amdhsa_system_sgpr_workgroup_id_z 0
		.amdhsa_system_sgpr_workgroup_info 0
		.amdhsa_system_vgpr_workitem_id 0
		.amdhsa_next_free_vgpr 200
		.amdhsa_next_free_sgpr 19
		.amdhsa_reserve_vcc 1
		.amdhsa_float_round_mode_32 0
		.amdhsa_float_round_mode_16_64 0
		.amdhsa_float_denorm_mode_32 3
		.amdhsa_float_denorm_mode_16_64 3
		.amdhsa_fp16_overflow 0
		.amdhsa_workgroup_processor_mode 1
		.amdhsa_memory_ordered 1
		.amdhsa_forward_progress 1
		.amdhsa_inst_pref_size 255
		.amdhsa_round_robin_scheduling 0
		.amdhsa_exception_fp_ieee_invalid_op 0
		.amdhsa_exception_fp_denorm_src 0
		.amdhsa_exception_fp_ieee_div_zero 0
		.amdhsa_exception_fp_ieee_overflow 0
		.amdhsa_exception_fp_ieee_underflow 0
		.amdhsa_exception_fp_ieee_inexact 0
		.amdhsa_exception_int_div_zero 0
	.end_amdhsa_kernel
	.section	.text._ZN9rocsolver6v33100L18getri_kernel_smallILi29E19rocblas_complex_numIfEPKPS3_EEvT1_iilPiilS8_bb,"axG",@progbits,_ZN9rocsolver6v33100L18getri_kernel_smallILi29E19rocblas_complex_numIfEPKPS3_EEvT1_iilPiilS8_bb,comdat
.Lfunc_end92:
	.size	_ZN9rocsolver6v33100L18getri_kernel_smallILi29E19rocblas_complex_numIfEPKPS3_EEvT1_iilPiilS8_bb, .Lfunc_end92-_ZN9rocsolver6v33100L18getri_kernel_smallILi29E19rocblas_complex_numIfEPKPS3_EEvT1_iilPiilS8_bb
                                        ; -- End function
	.set _ZN9rocsolver6v33100L18getri_kernel_smallILi29E19rocblas_complex_numIfEPKPS3_EEvT1_iilPiilS8_bb.num_vgpr, 200
	.set _ZN9rocsolver6v33100L18getri_kernel_smallILi29E19rocblas_complex_numIfEPKPS3_EEvT1_iilPiilS8_bb.num_agpr, 0
	.set _ZN9rocsolver6v33100L18getri_kernel_smallILi29E19rocblas_complex_numIfEPKPS3_EEvT1_iilPiilS8_bb.numbered_sgpr, 19
	.set _ZN9rocsolver6v33100L18getri_kernel_smallILi29E19rocblas_complex_numIfEPKPS3_EEvT1_iilPiilS8_bb.num_named_barrier, 0
	.set _ZN9rocsolver6v33100L18getri_kernel_smallILi29E19rocblas_complex_numIfEPKPS3_EEvT1_iilPiilS8_bb.private_seg_size, 240
	.set _ZN9rocsolver6v33100L18getri_kernel_smallILi29E19rocblas_complex_numIfEPKPS3_EEvT1_iilPiilS8_bb.uses_vcc, 1
	.set _ZN9rocsolver6v33100L18getri_kernel_smallILi29E19rocblas_complex_numIfEPKPS3_EEvT1_iilPiilS8_bb.uses_flat_scratch, 1
	.set _ZN9rocsolver6v33100L18getri_kernel_smallILi29E19rocblas_complex_numIfEPKPS3_EEvT1_iilPiilS8_bb.has_dyn_sized_stack, 0
	.set _ZN9rocsolver6v33100L18getri_kernel_smallILi29E19rocblas_complex_numIfEPKPS3_EEvT1_iilPiilS8_bb.has_recursion, 0
	.set _ZN9rocsolver6v33100L18getri_kernel_smallILi29E19rocblas_complex_numIfEPKPS3_EEvT1_iilPiilS8_bb.has_indirect_call, 0
	.section	.AMDGPU.csdata,"",@progbits
; Kernel info:
; codeLenInByte = 35560
; TotalNumSgprs: 21
; NumVgprs: 200
; ScratchSize: 240
; MemoryBound: 0
; FloatMode: 240
; IeeeMode: 1
; LDSByteSize: 472 bytes/workgroup (compile time only)
; SGPRBlocks: 0
; VGPRBlocks: 24
; NumSGPRsForWavesPerEU: 21
; NumVGPRsForWavesPerEU: 200
; Occupancy: 7
; WaveLimiterHint : 1
; COMPUTE_PGM_RSRC2:SCRATCH_EN: 1
; COMPUTE_PGM_RSRC2:USER_SGPR: 2
; COMPUTE_PGM_RSRC2:TRAP_HANDLER: 0
; COMPUTE_PGM_RSRC2:TGID_X_EN: 1
; COMPUTE_PGM_RSRC2:TGID_Y_EN: 0
; COMPUTE_PGM_RSRC2:TGID_Z_EN: 0
; COMPUTE_PGM_RSRC2:TIDIG_COMP_CNT: 0
	.section	.text._ZN9rocsolver6v33100L18getri_kernel_smallILi30E19rocblas_complex_numIfEPKPS3_EEvT1_iilPiilS8_bb,"axG",@progbits,_ZN9rocsolver6v33100L18getri_kernel_smallILi30E19rocblas_complex_numIfEPKPS3_EEvT1_iilPiilS8_bb,comdat
	.globl	_ZN9rocsolver6v33100L18getri_kernel_smallILi30E19rocblas_complex_numIfEPKPS3_EEvT1_iilPiilS8_bb ; -- Begin function _ZN9rocsolver6v33100L18getri_kernel_smallILi30E19rocblas_complex_numIfEPKPS3_EEvT1_iilPiilS8_bb
	.p2align	8
	.type	_ZN9rocsolver6v33100L18getri_kernel_smallILi30E19rocblas_complex_numIfEPKPS3_EEvT1_iilPiilS8_bb,@function
_ZN9rocsolver6v33100L18getri_kernel_smallILi30E19rocblas_complex_numIfEPKPS3_EEvT1_iilPiilS8_bb: ; @_ZN9rocsolver6v33100L18getri_kernel_smallILi30E19rocblas_complex_numIfEPKPS3_EEvT1_iilPiilS8_bb
; %bb.0:
	s_mov_b32 s2, exec_lo
	v_cmpx_gt_u32_e32 30, v0
	s_cbranch_execz .LBB93_134
; %bb.1:
	s_clause 0x1
	s_load_b32 s13, s[0:1], 0x38
	s_load_b64 s[2:3], s[0:1], 0x0
	s_mov_b32 s8, ttmp9
	s_load_b128 s[4:7], s[0:1], 0x28
	s_wait_kmcnt 0x0
	s_bitcmp1_b32 s13, 8
	s_cselect_b32 s12, -1, 0
	s_ashr_i32 s9, ttmp9, 31
	s_delay_alu instid0(SALU_CYCLE_1) | instskip(NEXT) | instid1(SALU_CYCLE_1)
	s_lshl_b64 s[10:11], s[8:9], 3
	s_add_nc_u64 s[2:3], s[2:3], s[10:11]
	s_load_b64 s[10:11], s[2:3], 0x0
	s_bfe_u32 s2, s13, 0x10008
	s_delay_alu instid0(SALU_CYCLE_1)
	s_cmp_eq_u32 s2, 0
                                        ; implicit-def: $sgpr2_sgpr3
	s_cbranch_scc1 .LBB93_3
; %bb.2:
	s_load_b96 s[16:18], s[0:1], 0x18
	s_mul_u64 s[2:3], s[4:5], s[8:9]
	s_delay_alu instid0(SALU_CYCLE_1)
	s_lshl_b64 s[2:3], s[2:3], 2
	s_wait_kmcnt 0x0
	s_ashr_i32 s5, s18, 31
	s_mov_b32 s4, s18
	s_add_nc_u64 s[2:3], s[16:17], s[2:3]
	s_lshl_b64 s[4:5], s[4:5], 2
	s_delay_alu instid0(SALU_CYCLE_1)
	s_add_nc_u64 s[2:3], s[2:3], s[4:5]
.LBB93_3:
	s_clause 0x1
	s_load_b64 s[4:5], s[0:1], 0x8
	s_load_b32 s13, s[0:1], 0x38
	v_lshlrev_b32_e32 v67, 3, v0
	s_wait_kmcnt 0x0
	s_ashr_i32 s1, s4, 31
	s_mov_b32 s0, s4
	v_add3_u32 v9, s5, s5, v0
	s_lshl_b64 s[0:1], s[0:1], 3
	s_delay_alu instid0(SALU_CYCLE_1)
	s_add_nc_u64 s[0:1], s[10:11], s[0:1]
	s_ashr_i32 s11, s5, 31
	v_add_co_u32 v1, s4, s0, v67
	s_wait_alu 0xf1ff
	v_add_co_ci_u32_e64 v2, null, s1, 0, s4
	s_mov_b32 s10, s5
	v_ashrrev_i32_e32 v10, 31, v9
	s_lshl_b64 s[10:11], s[10:11], 3
	flat_load_b64 v[5:6], v[1:2]
	v_add_co_u32 v3, vcc_lo, v1, s10
	s_delay_alu instid0(VALU_DEP_1) | instskip(SKIP_2) | instid1(VALU_DEP_1)
	v_add_co_ci_u32_e64 v4, null, s11, v2, vcc_lo
	v_add_nc_u32_e32 v12, s5, v9
	s_bitcmp0_b32 s13, 0
	v_ashrrev_i32_e32 v13, 31, v12
	s_wait_loadcnt_dscnt 0x0
	scratch_store_b64 off, v[5:6], off
	flat_load_b64 v[7:8], v[3:4]
	v_lshlrev_b64_e32 v[5:6], 3, v[9:10]
	s_delay_alu instid0(VALU_DEP_1) | instskip(SKIP_1) | instid1(VALU_DEP_2)
	v_add_co_u32 v5, vcc_lo, s0, v5
	s_wait_alu 0xfffd
	v_add_co_ci_u32_e64 v6, null, s1, v6, vcc_lo
	s_wait_loadcnt_dscnt 0x0
	scratch_store_b64 off, v[7:8], off offset:8
	flat_load_b64 v[10:11], v[5:6]
	v_lshlrev_b64_e32 v[7:8], 3, v[12:13]
	s_delay_alu instid0(VALU_DEP_1) | instskip(SKIP_1) | instid1(VALU_DEP_2)
	v_add_co_u32 v7, vcc_lo, s0, v7
	s_wait_alu 0xfffd
	v_add_co_ci_u32_e64 v8, null, s1, v8, vcc_lo
	s_wait_loadcnt_dscnt 0x0
	scratch_store_b64 off, v[10:11], off offset:16
	flat_load_b64 v[13:14], v[7:8]
	v_add_nc_u32_e32 v11, s5, v12
	s_delay_alu instid0(VALU_DEP_1) | instskip(SKIP_1) | instid1(VALU_DEP_2)
	v_ashrrev_i32_e32 v12, 31, v11
	v_add_nc_u32_e32 v15, s5, v11
	v_lshlrev_b64_e32 v[9:10], 3, v[11:12]
	s_delay_alu instid0(VALU_DEP_2) | instskip(SKIP_1) | instid1(VALU_DEP_3)
	v_ashrrev_i32_e32 v16, 31, v15
	v_add_nc_u32_e32 v18, s5, v15
	v_add_co_u32 v9, vcc_lo, s0, v9
	s_wait_alu 0xfffd
	s_delay_alu instid0(VALU_DEP_4) | instskip(SKIP_2) | instid1(VALU_DEP_2)
	v_add_co_ci_u32_e64 v10, null, s1, v10, vcc_lo
	v_lshlrev_b64_e32 v[11:12], 3, v[15:16]
	v_ashrrev_i32_e32 v19, 31, v18
	v_add_co_u32 v11, vcc_lo, s0, v11
	s_wait_alu 0xfffd
	s_delay_alu instid0(VALU_DEP_3)
	v_add_co_ci_u32_e64 v12, null, s1, v12, vcc_lo
	s_wait_loadcnt_dscnt 0x0
	scratch_store_b64 off, v[13:14], off offset:24
	flat_load_b64 v[13:14], v[9:10]
	s_wait_loadcnt_dscnt 0x0
	scratch_store_b64 off, v[13:14], off offset:32
	flat_load_b64 v[16:17], v[11:12]
	v_lshlrev_b64_e32 v[13:14], 3, v[18:19]
	s_delay_alu instid0(VALU_DEP_1) | instskip(SKIP_1) | instid1(VALU_DEP_2)
	v_add_co_u32 v13, vcc_lo, s0, v13
	s_wait_alu 0xfffd
	v_add_co_ci_u32_e64 v14, null, s1, v14, vcc_lo
	s_wait_loadcnt_dscnt 0x0
	scratch_store_b64 off, v[16:17], off offset:40
	flat_load_b64 v[19:20], v[13:14]
	v_add_nc_u32_e32 v17, s5, v18
	s_delay_alu instid0(VALU_DEP_1) | instskip(SKIP_1) | instid1(VALU_DEP_2)
	v_ashrrev_i32_e32 v18, 31, v17
	v_add_nc_u32_e32 v21, s5, v17
	v_lshlrev_b64_e32 v[15:16], 3, v[17:18]
	s_delay_alu instid0(VALU_DEP_2) | instskip(SKIP_1) | instid1(VALU_DEP_3)
	v_ashrrev_i32_e32 v22, 31, v21
	v_add_nc_u32_e32 v24, s5, v21
	v_add_co_u32 v15, vcc_lo, s0, v15
	s_wait_alu 0xfffd
	s_delay_alu instid0(VALU_DEP_4) | instskip(SKIP_2) | instid1(VALU_DEP_2)
	v_add_co_ci_u32_e64 v16, null, s1, v16, vcc_lo
	v_lshlrev_b64_e32 v[17:18], 3, v[21:22]
	v_ashrrev_i32_e32 v25, 31, v24
	v_add_co_u32 v17, vcc_lo, s0, v17
	s_wait_alu 0xfffd
	s_delay_alu instid0(VALU_DEP_3)
	v_add_co_ci_u32_e64 v18, null, s1, v18, vcc_lo
	s_wait_loadcnt_dscnt 0x0
	scratch_store_b64 off, v[19:20], off offset:48
	flat_load_b64 v[19:20], v[15:16]
	;; [unrolled: 32-line block ×8, first 2 shown]
	s_wait_loadcnt_dscnt 0x0
	scratch_store_b64 off, v[55:56], off offset:200
	flat_load_b64 v[58:59], v[53:54]
	v_lshlrev_b64_e32 v[55:56], 3, v[60:61]
	s_delay_alu instid0(VALU_DEP_1) | instskip(SKIP_1) | instid1(VALU_DEP_2)
	v_add_co_u32 v55, vcc_lo, s0, v55
	s_wait_alu 0xfffd
	v_add_co_ci_u32_e64 v56, null, s1, v56, vcc_lo
	s_wait_loadcnt_dscnt 0x0
	scratch_store_b64 off, v[58:59], off offset:208
	flat_load_b64 v[61:62], v[55:56]
	v_add_nc_u32_e32 v59, s5, v60
	s_delay_alu instid0(VALU_DEP_1) | instskip(NEXT) | instid1(VALU_DEP_1)
	v_ashrrev_i32_e32 v60, 31, v59
	v_lshlrev_b64_e32 v[57:58], 3, v[59:60]
	v_add_nc_u32_e32 v59, s5, v59
	s_delay_alu instid0(VALU_DEP_1) | instskip(NEXT) | instid1(VALU_DEP_3)
	v_ashrrev_i32_e32 v60, 31, v59
	v_add_co_u32 v57, vcc_lo, s0, v57
	s_wait_alu 0xfffd
	s_delay_alu instid0(VALU_DEP_4) | instskip(NEXT) | instid1(VALU_DEP_3)
	v_add_co_ci_u32_e64 v58, null, s1, v58, vcc_lo
	v_lshlrev_b64_e32 v[59:60], 3, v[59:60]
	s_delay_alu instid0(VALU_DEP_1) | instskip(SKIP_1) | instid1(VALU_DEP_2)
	v_add_co_u32 v59, vcc_lo, s0, v59
	s_wait_alu 0xfffd
	v_add_co_ci_u32_e64 v60, null, s1, v60, vcc_lo
	s_mov_b32 s1, -1
	s_wait_loadcnt_dscnt 0x0
	scratch_store_b64 off, v[61:62], off offset:216
	flat_load_b64 v[61:62], v[57:58]
	s_wait_loadcnt_dscnt 0x0
	scratch_store_b64 off, v[61:62], off offset:224
	flat_load_b64 v[61:62], v[59:60]
	s_wait_loadcnt_dscnt 0x0
	scratch_store_b64 off, v[61:62], off offset:232
	s_cbranch_scc1 .LBB93_132
; %bb.4:
	v_cmp_eq_u32_e64 s0, 0, v0
	s_and_saveexec_b32 s1, s0
; %bb.5:
	v_mov_b32_e32 v61, 0
	ds_store_b32 v61, v61 offset:480
; %bb.6:
	s_wait_alu 0xfffe
	s_or_b32 exec_lo, exec_lo, s1
	s_wait_storecnt_dscnt 0x0
	s_barrier_signal -1
	s_barrier_wait -1
	global_inv scope:SCOPE_SE
	scratch_load_b64 v[61:62], v67, off
	s_wait_loadcnt 0x0
	v_cmp_eq_f32_e32 vcc_lo, 0, v61
	v_cmp_eq_f32_e64 s1, 0, v62
	s_and_b32 s1, vcc_lo, s1
	s_wait_alu 0xfffe
	s_and_saveexec_b32 s4, s1
	s_cbranch_execz .LBB93_10
; %bb.7:
	v_mov_b32_e32 v61, 0
	s_mov_b32 s5, 0
	ds_load_b32 v62, v61 offset:480
	s_wait_dscnt 0x0
	v_readfirstlane_b32 s1, v62
	v_add_nc_u32_e32 v62, 1, v0
	s_cmp_eq_u32 s1, 0
	s_delay_alu instid0(VALU_DEP_1)
	v_cmp_gt_i32_e32 vcc_lo, s1, v62
	s_cselect_b32 s10, -1, 0
	s_wait_alu 0xfffe
	s_or_b32 s10, s10, vcc_lo
	s_wait_alu 0xfffe
	s_and_b32 exec_lo, exec_lo, s10
	s_cbranch_execz .LBB93_10
; %bb.8:
	v_mov_b32_e32 v63, s1
.LBB93_9:                               ; =>This Inner Loop Header: Depth=1
	ds_cmpstore_rtn_b32 v63, v61, v62, v63 offset:480
	s_wait_dscnt 0x0
	v_cmp_ne_u32_e32 vcc_lo, 0, v63
	v_cmp_le_i32_e64 s1, v63, v62
	s_and_b32 s1, vcc_lo, s1
	s_wait_alu 0xfffe
	s_and_b32 s1, exec_lo, s1
	s_wait_alu 0xfffe
	s_or_b32 s5, s1, s5
	s_wait_alu 0xfffe
	s_and_not1_b32 exec_lo, exec_lo, s5
	s_cbranch_execnz .LBB93_9
.LBB93_10:
	s_wait_alu 0xfffe
	s_or_b32 exec_lo, exec_lo, s4
	v_mov_b32_e32 v61, 0
	s_barrier_signal -1
	s_barrier_wait -1
	global_inv scope:SCOPE_SE
	ds_load_b32 v62, v61 offset:480
	s_and_saveexec_b32 s1, s0
	s_cbranch_execz .LBB93_12
; %bb.11:
	s_lshl_b64 s[4:5], s[8:9], 2
	s_wait_alu 0xfffe
	s_add_nc_u64 s[4:5], s[6:7], s[4:5]
	s_wait_dscnt 0x0
	global_store_b32 v61, v62, s[4:5]
.LBB93_12:
	s_wait_alu 0xfffe
	s_or_b32 exec_lo, exec_lo, s1
	s_wait_dscnt 0x0
	v_cmp_ne_u32_e32 vcc_lo, 0, v62
	s_mov_b32 s1, 0
	s_cbranch_vccnz .LBB93_132
; %bb.13:
	v_mov_b32_e32 v68, v67
                                        ; implicit-def: $vgpr63
                                        ; implicit-def: $vgpr65
	scratch_load_b64 v[61:62], v68, off
	s_wait_loadcnt 0x0
	v_cmp_ngt_f32_e64 s1, |v61|, |v62|
	s_wait_alu 0xfffe
	s_and_saveexec_b32 s4, s1
	s_wait_alu 0xfffe
	s_xor_b32 s1, exec_lo, s4
	s_cbranch_execz .LBB93_15
; %bb.14:
	v_div_scale_f32 v63, null, v62, v62, v61
	v_div_scale_f32 v66, vcc_lo, v61, v62, v61
	s_delay_alu instid0(VALU_DEP_2) | instskip(NEXT) | instid1(TRANS32_DEP_1)
	v_rcp_f32_e32 v64, v63
	v_fma_f32 v65, -v63, v64, 1.0
	s_delay_alu instid0(VALU_DEP_1) | instskip(NEXT) | instid1(VALU_DEP_1)
	v_fmac_f32_e32 v64, v65, v64
	v_mul_f32_e32 v65, v66, v64
	s_delay_alu instid0(VALU_DEP_1) | instskip(NEXT) | instid1(VALU_DEP_1)
	v_fma_f32 v69, -v63, v65, v66
	v_fmac_f32_e32 v65, v69, v64
	s_delay_alu instid0(VALU_DEP_1) | instskip(SKIP_1) | instid1(VALU_DEP_1)
	v_fma_f32 v63, -v63, v65, v66
	s_wait_alu 0xfffd
	v_div_fmas_f32 v63, v63, v64, v65
	s_delay_alu instid0(VALU_DEP_1) | instskip(NEXT) | instid1(VALU_DEP_1)
	v_div_fixup_f32 v63, v63, v62, v61
	v_fmac_f32_e32 v62, v61, v63
	s_delay_alu instid0(VALU_DEP_1) | instskip(NEXT) | instid1(VALU_DEP_1)
	v_div_scale_f32 v61, null, v62, v62, 1.0
	v_rcp_f32_e32 v64, v61
	s_delay_alu instid0(TRANS32_DEP_1) | instskip(NEXT) | instid1(VALU_DEP_1)
	v_fma_f32 v65, -v61, v64, 1.0
	v_fmac_f32_e32 v64, v65, v64
	v_div_scale_f32 v65, vcc_lo, 1.0, v62, 1.0
	s_delay_alu instid0(VALU_DEP_1) | instskip(NEXT) | instid1(VALU_DEP_1)
	v_mul_f32_e32 v66, v65, v64
	v_fma_f32 v69, -v61, v66, v65
	s_delay_alu instid0(VALU_DEP_1) | instskip(NEXT) | instid1(VALU_DEP_1)
	v_fmac_f32_e32 v66, v69, v64
	v_fma_f32 v61, -v61, v66, v65
	s_wait_alu 0xfffd
	s_delay_alu instid0(VALU_DEP_1) | instskip(NEXT) | instid1(VALU_DEP_1)
	v_div_fmas_f32 v61, v61, v64, v66
	v_div_fixup_f32 v61, v61, v62, 1.0
	s_delay_alu instid0(VALU_DEP_1) | instskip(SKIP_1) | instid1(VALU_DEP_2)
	v_mul_f32_e32 v63, v63, v61
	v_xor_b32_e32 v64, 0x80000000, v61
                                        ; implicit-def: $vgpr61_vgpr62
	v_xor_b32_e32 v65, 0x80000000, v63
.LBB93_15:
	s_wait_alu 0xfffe
	s_and_not1_saveexec_b32 s1, s1
	s_cbranch_execz .LBB93_17
; %bb.16:
	v_div_scale_f32 v63, null, v61, v61, v62
	v_div_scale_f32 v66, vcc_lo, v62, v61, v62
	s_delay_alu instid0(VALU_DEP_2) | instskip(NEXT) | instid1(TRANS32_DEP_1)
	v_rcp_f32_e32 v64, v63
	v_fma_f32 v65, -v63, v64, 1.0
	s_delay_alu instid0(VALU_DEP_1) | instskip(NEXT) | instid1(VALU_DEP_1)
	v_fmac_f32_e32 v64, v65, v64
	v_mul_f32_e32 v65, v66, v64
	s_delay_alu instid0(VALU_DEP_1) | instskip(NEXT) | instid1(VALU_DEP_1)
	v_fma_f32 v69, -v63, v65, v66
	v_fmac_f32_e32 v65, v69, v64
	s_delay_alu instid0(VALU_DEP_1) | instskip(SKIP_1) | instid1(VALU_DEP_1)
	v_fma_f32 v63, -v63, v65, v66
	s_wait_alu 0xfffd
	v_div_fmas_f32 v63, v63, v64, v65
	s_delay_alu instid0(VALU_DEP_1) | instskip(NEXT) | instid1(VALU_DEP_1)
	v_div_fixup_f32 v64, v63, v61, v62
	v_fmac_f32_e32 v61, v62, v64
	s_delay_alu instid0(VALU_DEP_1) | instskip(SKIP_1) | instid1(VALU_DEP_2)
	v_div_scale_f32 v62, null, v61, v61, 1.0
	v_div_scale_f32 v66, vcc_lo, 1.0, v61, 1.0
	v_rcp_f32_e32 v63, v62
	s_delay_alu instid0(TRANS32_DEP_1) | instskip(NEXT) | instid1(VALU_DEP_1)
	v_fma_f32 v65, -v62, v63, 1.0
	v_fmac_f32_e32 v63, v65, v63
	s_delay_alu instid0(VALU_DEP_1) | instskip(NEXT) | instid1(VALU_DEP_1)
	v_mul_f32_e32 v65, v66, v63
	v_fma_f32 v69, -v62, v65, v66
	s_delay_alu instid0(VALU_DEP_1) | instskip(NEXT) | instid1(VALU_DEP_1)
	v_fmac_f32_e32 v65, v69, v63
	v_fma_f32 v62, -v62, v65, v66
	s_wait_alu 0xfffd
	s_delay_alu instid0(VALU_DEP_1) | instskip(NEXT) | instid1(VALU_DEP_1)
	v_div_fmas_f32 v62, v62, v63, v65
	v_div_fixup_f32 v63, v62, v61, 1.0
	s_delay_alu instid0(VALU_DEP_1)
	v_xor_b32_e32 v65, 0x80000000, v63
	v_mul_f32_e64 v64, v64, -v63
.LBB93_17:
	s_wait_alu 0xfffe
	s_or_b32 exec_lo, exec_lo, s1
	scratch_store_b64 v68, v[63:64], off
	scratch_load_b64 v[62:63], off, off offset:8
	v_xor_b32_e32 v66, 0x80000000, v64
	v_add_nc_u32_e32 v61, 0xf0, v67
	s_wait_loadcnt 0x0
	ds_store_2addr_b64 v67, v[65:66], v[62:63] offset1:30
	s_wait_storecnt_dscnt 0x0
	s_barrier_signal -1
	s_barrier_wait -1
	global_inv scope:SCOPE_SE
	s_and_saveexec_b32 s1, s0
	s_cbranch_execz .LBB93_19
; %bb.18:
	scratch_load_b64 v[62:63], v68, off
	ds_load_b64 v[64:65], v61
	v_mov_b32_e32 v66, 0
	ds_load_b64 v[69:70], v66 offset:8
	s_wait_loadcnt_dscnt 0x1
	v_mul_f32_e32 v66, v64, v63
	v_mul_f32_e32 v63, v65, v63
	s_delay_alu instid0(VALU_DEP_2) | instskip(NEXT) | instid1(VALU_DEP_2)
	v_fmac_f32_e32 v66, v65, v62
	v_fma_f32 v62, v64, v62, -v63
	s_delay_alu instid0(VALU_DEP_2) | instskip(NEXT) | instid1(VALU_DEP_2)
	v_add_f32_e32 v64, 0, v66
	v_add_f32_e32 v62, 0, v62
	s_wait_dscnt 0x0
	s_delay_alu instid0(VALU_DEP_2) | instskip(NEXT) | instid1(VALU_DEP_2)
	v_mul_f32_e32 v65, v64, v70
	v_mul_f32_e32 v63, v62, v70
	s_delay_alu instid0(VALU_DEP_2) | instskip(NEXT) | instid1(VALU_DEP_2)
	v_fma_f32 v62, v62, v69, -v65
	v_fmac_f32_e32 v63, v64, v69
	scratch_store_b64 off, v[62:63], off offset:8
.LBB93_19:
	s_wait_alu 0xfffe
	s_or_b32 exec_lo, exec_lo, s1
	s_wait_loadcnt 0x0
	s_wait_storecnt 0x0
	s_barrier_signal -1
	s_barrier_wait -1
	global_inv scope:SCOPE_SE
	scratch_load_b64 v[62:63], off, off offset:16
	s_mov_b32 s1, exec_lo
	s_wait_loadcnt 0x0
	ds_store_b64 v61, v[62:63]
	s_wait_dscnt 0x0
	s_barrier_signal -1
	s_barrier_wait -1
	global_inv scope:SCOPE_SE
	v_cmpx_gt_u32_e32 2, v0
	s_cbranch_execz .LBB93_23
; %bb.20:
	scratch_load_b64 v[62:63], v68, off
	ds_load_b64 v[64:65], v61
	s_wait_loadcnt_dscnt 0x0
	v_mul_f32_e32 v66, v65, v63
	v_mul_f32_e32 v69, v64, v63
	s_delay_alu instid0(VALU_DEP_2) | instskip(NEXT) | instid1(VALU_DEP_2)
	v_fma_f32 v63, v64, v62, -v66
	v_fmac_f32_e32 v69, v65, v62
	s_delay_alu instid0(VALU_DEP_1)
	v_dual_add_f32 v63, 0, v63 :: v_dual_add_f32 v62, 0, v69
	s_and_saveexec_b32 s4, s0
	s_cbranch_execz .LBB93_22
; %bb.21:
	scratch_load_b64 v[64:65], off, off offset:8
	v_mov_b32_e32 v66, 0
	ds_load_b64 v[69:70], v66 offset:248
	s_wait_loadcnt_dscnt 0x0
	v_mul_f32_e32 v66, v69, v65
	v_mul_f32_e32 v65, v70, v65
	s_delay_alu instid0(VALU_DEP_2) | instskip(NEXT) | instid1(VALU_DEP_2)
	v_fmac_f32_e32 v66, v70, v64
	v_fma_f32 v64, v69, v64, -v65
	s_delay_alu instid0(VALU_DEP_1)
	v_dual_add_f32 v62, v62, v66 :: v_dual_add_f32 v63, v63, v64
.LBB93_22:
	s_wait_alu 0xfffe
	s_or_b32 exec_lo, exec_lo, s4
	v_mov_b32_e32 v64, 0
	ds_load_b64 v[64:65], v64 offset:16
	s_wait_dscnt 0x0
	v_mul_f32_e32 v69, v62, v65
	v_mul_f32_e32 v66, v63, v65
	s_delay_alu instid0(VALU_DEP_2) | instskip(NEXT) | instid1(VALU_DEP_2)
	v_fma_f32 v65, v63, v64, -v69
	v_fmac_f32_e32 v66, v62, v64
	scratch_store_b64 off, v[65:66], off offset:16
.LBB93_23:
	s_wait_alu 0xfffe
	s_or_b32 exec_lo, exec_lo, s1
	s_wait_loadcnt 0x0
	s_wait_storecnt 0x0
	s_barrier_signal -1
	s_barrier_wait -1
	global_inv scope:SCOPE_SE
	scratch_load_b64 v[63:64], off, off offset:24
	v_add_nc_u32_e32 v62, -1, v0
	s_mov_b32 s0, exec_lo
	s_wait_loadcnt 0x0
	ds_store_b64 v61, v[63:64]
	s_wait_dscnt 0x0
	s_barrier_signal -1
	s_barrier_wait -1
	global_inv scope:SCOPE_SE
	v_cmpx_gt_u32_e32 3, v0
	s_cbranch_execz .LBB93_27
; %bb.24:
	v_dual_mov_b32 v63, 0 :: v_dual_add_nc_u32 v64, -1, v0
	v_dual_mov_b32 v66, v67 :: v_dual_add_nc_u32 v65, 0xf0, v67
	v_mov_b32_e32 v69, 0
	s_mov_b32 s1, 0
.LBB93_25:                              ; =>This Inner Loop Header: Depth=1
	scratch_load_b64 v[70:71], v66, off
	ds_load_b64 v[72:73], v65
	v_add_nc_u32_e32 v64, 1, v64
	v_add_nc_u32_e32 v65, 8, v65
	s_delay_alu instid0(VALU_DEP_2)
	v_cmp_lt_u32_e32 vcc_lo, 1, v64
	s_wait_alu 0xfffe
	s_or_b32 s1, vcc_lo, s1
	s_wait_loadcnt_dscnt 0x0
	v_mul_f32_e32 v74, v73, v71
	v_mul_f32_e32 v71, v72, v71
	s_delay_alu instid0(VALU_DEP_2) | instskip(NEXT) | instid1(VALU_DEP_2)
	v_fma_f32 v72, v72, v70, -v74
	v_fmac_f32_e32 v71, v73, v70
	s_delay_alu instid0(VALU_DEP_2) | instskip(NEXT) | instid1(VALU_DEP_2)
	v_dual_add_f32 v69, v69, v72 :: v_dual_add_nc_u32 v66, 8, v66
	v_add_f32_e32 v63, v63, v71
	s_wait_alu 0xfffe
	s_and_not1_b32 exec_lo, exec_lo, s1
	s_cbranch_execnz .LBB93_25
; %bb.26:
	s_or_b32 exec_lo, exec_lo, s1
	v_mov_b32_e32 v64, 0
	ds_load_b64 v[64:65], v64 offset:24
	s_wait_dscnt 0x0
	v_mul_f32_e32 v70, v63, v65
	v_mul_f32_e32 v66, v69, v65
	s_delay_alu instid0(VALU_DEP_2) | instskip(NEXT) | instid1(VALU_DEP_2)
	v_fma_f32 v65, v69, v64, -v70
	v_fmac_f32_e32 v66, v63, v64
	scratch_store_b64 off, v[65:66], off offset:24
.LBB93_27:
	s_wait_alu 0xfffe
	s_or_b32 exec_lo, exec_lo, s0
	s_wait_loadcnt 0x0
	s_wait_storecnt 0x0
	s_barrier_signal -1
	s_barrier_wait -1
	global_inv scope:SCOPE_SE
	scratch_load_b64 v[63:64], off, off offset:32
	s_mov_b32 s0, exec_lo
	s_wait_loadcnt 0x0
	ds_store_b64 v61, v[63:64]
	s_wait_dscnt 0x0
	s_barrier_signal -1
	s_barrier_wait -1
	global_inv scope:SCOPE_SE
	v_cmpx_gt_u32_e32 4, v0
	s_cbranch_execz .LBB93_31
; %bb.28:
	v_dual_mov_b32 v63, 0 :: v_dual_add_nc_u32 v64, -1, v0
	v_dual_mov_b32 v66, v67 :: v_dual_add_nc_u32 v65, 0xf0, v67
	v_mov_b32_e32 v69, 0
	s_mov_b32 s1, 0
.LBB93_29:                              ; =>This Inner Loop Header: Depth=1
	scratch_load_b64 v[70:71], v66, off
	ds_load_b64 v[72:73], v65
	v_add_nc_u32_e32 v64, 1, v64
	v_add_nc_u32_e32 v65, 8, v65
	s_delay_alu instid0(VALU_DEP_2)
	v_cmp_lt_u32_e32 vcc_lo, 2, v64
	s_wait_alu 0xfffe
	s_or_b32 s1, vcc_lo, s1
	s_wait_loadcnt_dscnt 0x0
	v_mul_f32_e32 v74, v73, v71
	v_mul_f32_e32 v71, v72, v71
	s_delay_alu instid0(VALU_DEP_2) | instskip(NEXT) | instid1(VALU_DEP_2)
	v_fma_f32 v72, v72, v70, -v74
	v_fmac_f32_e32 v71, v73, v70
	s_delay_alu instid0(VALU_DEP_2) | instskip(NEXT) | instid1(VALU_DEP_2)
	v_dual_add_f32 v69, v69, v72 :: v_dual_add_nc_u32 v66, 8, v66
	v_add_f32_e32 v63, v63, v71
	s_wait_alu 0xfffe
	s_and_not1_b32 exec_lo, exec_lo, s1
	s_cbranch_execnz .LBB93_29
; %bb.30:
	s_or_b32 exec_lo, exec_lo, s1
	v_mov_b32_e32 v64, 0
	ds_load_b64 v[64:65], v64 offset:32
	s_wait_dscnt 0x0
	v_mul_f32_e32 v70, v63, v65
	v_mul_f32_e32 v66, v69, v65
	s_delay_alu instid0(VALU_DEP_2) | instskip(NEXT) | instid1(VALU_DEP_2)
	v_fma_f32 v65, v69, v64, -v70
	v_fmac_f32_e32 v66, v63, v64
	scratch_store_b64 off, v[65:66], off offset:32
.LBB93_31:
	s_wait_alu 0xfffe
	s_or_b32 exec_lo, exec_lo, s0
	s_wait_loadcnt 0x0
	s_wait_storecnt 0x0
	s_barrier_signal -1
	s_barrier_wait -1
	global_inv scope:SCOPE_SE
	scratch_load_b64 v[63:64], off, off offset:40
	;; [unrolled: 55-line block ×19, first 2 shown]
	s_mov_b32 s0, exec_lo
	s_wait_loadcnt 0x0
	ds_store_b64 v61, v[63:64]
	s_wait_dscnt 0x0
	s_barrier_signal -1
	s_barrier_wait -1
	global_inv scope:SCOPE_SE
	v_cmpx_gt_u32_e32 22, v0
	s_cbranch_execz .LBB93_103
; %bb.100:
	v_dual_mov_b32 v63, 0 :: v_dual_add_nc_u32 v64, -1, v0
	v_dual_mov_b32 v66, v67 :: v_dual_add_nc_u32 v65, 0xf0, v67
	v_mov_b32_e32 v69, 0
	s_mov_b32 s1, 0
.LBB93_101:                             ; =>This Inner Loop Header: Depth=1
	scratch_load_b64 v[70:71], v66, off
	ds_load_b64 v[72:73], v65
	v_add_nc_u32_e32 v64, 1, v64
	v_add_nc_u32_e32 v65, 8, v65
	s_delay_alu instid0(VALU_DEP_2)
	v_cmp_lt_u32_e32 vcc_lo, 20, v64
	s_wait_alu 0xfffe
	s_or_b32 s1, vcc_lo, s1
	s_wait_loadcnt_dscnt 0x0
	v_mul_f32_e32 v74, v73, v71
	v_mul_f32_e32 v71, v72, v71
	s_delay_alu instid0(VALU_DEP_2) | instskip(NEXT) | instid1(VALU_DEP_2)
	v_fma_f32 v72, v72, v70, -v74
	v_fmac_f32_e32 v71, v73, v70
	s_delay_alu instid0(VALU_DEP_2) | instskip(NEXT) | instid1(VALU_DEP_2)
	v_dual_add_f32 v69, v69, v72 :: v_dual_add_nc_u32 v66, 8, v66
	v_add_f32_e32 v63, v63, v71
	s_wait_alu 0xfffe
	s_and_not1_b32 exec_lo, exec_lo, s1
	s_cbranch_execnz .LBB93_101
; %bb.102:
	s_or_b32 exec_lo, exec_lo, s1
	v_mov_b32_e32 v64, 0
	ds_load_b64 v[64:65], v64 offset:176
	s_wait_dscnt 0x0
	v_mul_f32_e32 v70, v63, v65
	v_mul_f32_e32 v66, v69, v65
	s_delay_alu instid0(VALU_DEP_2) | instskip(NEXT) | instid1(VALU_DEP_2)
	v_fma_f32 v65, v69, v64, -v70
	v_fmac_f32_e32 v66, v63, v64
	scratch_store_b64 off, v[65:66], off offset:176
.LBB93_103:
	s_wait_alu 0xfffe
	s_or_b32 exec_lo, exec_lo, s0
	s_wait_loadcnt 0x0
	s_wait_storecnt 0x0
	s_barrier_signal -1
	s_barrier_wait -1
	global_inv scope:SCOPE_SE
	scratch_load_b64 v[63:64], off, off offset:184
	s_mov_b32 s0, exec_lo
	s_wait_loadcnt 0x0
	ds_store_b64 v61, v[63:64]
	s_wait_dscnt 0x0
	s_barrier_signal -1
	s_barrier_wait -1
	global_inv scope:SCOPE_SE
	v_cmpx_gt_u32_e32 23, v0
	s_cbranch_execz .LBB93_107
; %bb.104:
	v_dual_mov_b32 v63, 0 :: v_dual_add_nc_u32 v64, -1, v0
	v_dual_mov_b32 v66, v67 :: v_dual_add_nc_u32 v65, 0xf0, v67
	v_mov_b32_e32 v69, 0
	s_mov_b32 s1, 0
.LBB93_105:                             ; =>This Inner Loop Header: Depth=1
	scratch_load_b64 v[70:71], v66, off
	ds_load_b64 v[72:73], v65
	v_add_nc_u32_e32 v64, 1, v64
	v_add_nc_u32_e32 v65, 8, v65
	s_delay_alu instid0(VALU_DEP_2)
	v_cmp_lt_u32_e32 vcc_lo, 21, v64
	s_wait_alu 0xfffe
	s_or_b32 s1, vcc_lo, s1
	s_wait_loadcnt_dscnt 0x0
	v_mul_f32_e32 v74, v73, v71
	v_mul_f32_e32 v71, v72, v71
	s_delay_alu instid0(VALU_DEP_2) | instskip(NEXT) | instid1(VALU_DEP_2)
	v_fma_f32 v72, v72, v70, -v74
	v_fmac_f32_e32 v71, v73, v70
	s_delay_alu instid0(VALU_DEP_2) | instskip(NEXT) | instid1(VALU_DEP_2)
	v_dual_add_f32 v69, v69, v72 :: v_dual_add_nc_u32 v66, 8, v66
	v_add_f32_e32 v63, v63, v71
	s_wait_alu 0xfffe
	s_and_not1_b32 exec_lo, exec_lo, s1
	s_cbranch_execnz .LBB93_105
; %bb.106:
	s_or_b32 exec_lo, exec_lo, s1
	v_mov_b32_e32 v64, 0
	ds_load_b64 v[64:65], v64 offset:184
	s_wait_dscnt 0x0
	v_mul_f32_e32 v70, v63, v65
	v_mul_f32_e32 v66, v69, v65
	s_delay_alu instid0(VALU_DEP_2) | instskip(NEXT) | instid1(VALU_DEP_2)
	v_fma_f32 v65, v69, v64, -v70
	v_fmac_f32_e32 v66, v63, v64
	scratch_store_b64 off, v[65:66], off offset:184
.LBB93_107:
	s_wait_alu 0xfffe
	s_or_b32 exec_lo, exec_lo, s0
	s_wait_loadcnt 0x0
	s_wait_storecnt 0x0
	s_barrier_signal -1
	s_barrier_wait -1
	global_inv scope:SCOPE_SE
	scratch_load_b64 v[63:64], off, off offset:192
	;; [unrolled: 55-line block ×6, first 2 shown]
	s_mov_b32 s0, exec_lo
	s_wait_loadcnt 0x0
	ds_store_b64 v61, v[63:64]
	s_wait_dscnt 0x0
	s_barrier_signal -1
	s_barrier_wait -1
	global_inv scope:SCOPE_SE
	v_cmpx_gt_u32_e32 28, v0
	s_cbranch_execz .LBB93_127
; %bb.124:
	v_dual_mov_b32 v63, 0 :: v_dual_add_nc_u32 v64, -1, v0
	v_dual_mov_b32 v66, v67 :: v_dual_add_nc_u32 v65, 0xf0, v67
	v_mov_b32_e32 v67, 0
	s_mov_b32 s1, 0
.LBB93_125:                             ; =>This Inner Loop Header: Depth=1
	scratch_load_b64 v[69:70], v66, off
	ds_load_b64 v[71:72], v65
	v_add_nc_u32_e32 v66, 8, v66
	v_add_nc_u32_e32 v64, 1, v64
	;; [unrolled: 1-line block ×3, first 2 shown]
	s_delay_alu instid0(VALU_DEP_2)
	v_cmp_lt_u32_e32 vcc_lo, 26, v64
	s_wait_alu 0xfffe
	s_or_b32 s1, vcc_lo, s1
	s_wait_loadcnt_dscnt 0x0
	v_mul_f32_e32 v73, v72, v70
	v_mul_f32_e32 v70, v71, v70
	s_delay_alu instid0(VALU_DEP_2) | instskip(NEXT) | instid1(VALU_DEP_1)
	v_fma_f32 v71, v71, v69, -v73
	v_dual_fmac_f32 v70, v72, v69 :: v_dual_add_f32 v67, v67, v71
	s_delay_alu instid0(VALU_DEP_1)
	v_add_f32_e32 v63, v63, v70
	s_wait_alu 0xfffe
	s_and_not1_b32 exec_lo, exec_lo, s1
	s_cbranch_execnz .LBB93_125
; %bb.126:
	s_or_b32 exec_lo, exec_lo, s1
	v_mov_b32_e32 v64, 0
	ds_load_b64 v[64:65], v64 offset:224
	s_wait_dscnt 0x0
	v_mul_f32_e32 v69, v63, v65
	v_mul_f32_e32 v66, v67, v65
	s_delay_alu instid0(VALU_DEP_2) | instskip(NEXT) | instid1(VALU_DEP_2)
	v_fma_f32 v65, v67, v64, -v69
	v_fmac_f32_e32 v66, v63, v64
	scratch_store_b64 off, v[65:66], off offset:224
.LBB93_127:
	s_wait_alu 0xfffe
	s_or_b32 exec_lo, exec_lo, s0
	s_wait_loadcnt 0x0
	s_wait_storecnt 0x0
	s_barrier_signal -1
	s_barrier_wait -1
	global_inv scope:SCOPE_SE
	scratch_load_b64 v[63:64], off, off offset:232
	s_mov_b32 s0, exec_lo
	s_wait_loadcnt 0x0
	ds_store_b64 v61, v[63:64]
	s_wait_dscnt 0x0
	s_barrier_signal -1
	s_barrier_wait -1
	global_inv scope:SCOPE_SE
	v_cmpx_ne_u32_e32 29, v0
	s_cbranch_execz .LBB93_131
; %bb.128:
	v_dual_mov_b32 v63, 0 :: v_dual_mov_b32 v64, 0
	s_mov_b32 s1, 0
.LBB93_129:                             ; =>This Inner Loop Header: Depth=1
	scratch_load_b64 v[65:66], v68, off
	ds_load_b64 v[69:70], v61
	v_add_nc_u32_e32 v62, 1, v62
	v_add_nc_u32_e32 v61, 8, v61
	;; [unrolled: 1-line block ×3, first 2 shown]
	s_delay_alu instid0(VALU_DEP_3)
	v_cmp_lt_u32_e32 vcc_lo, 27, v62
	s_wait_alu 0xfffe
	s_or_b32 s1, vcc_lo, s1
	s_wait_loadcnt_dscnt 0x0
	v_mul_f32_e32 v67, v70, v66
	v_mul_f32_e32 v66, v69, v66
	s_delay_alu instid0(VALU_DEP_2) | instskip(NEXT) | instid1(VALU_DEP_2)
	v_fma_f32 v67, v69, v65, -v67
	v_fmac_f32_e32 v66, v70, v65
	s_delay_alu instid0(VALU_DEP_1)
	v_dual_add_f32 v64, v64, v67 :: v_dual_add_f32 v63, v63, v66
	s_wait_alu 0xfffe
	s_and_not1_b32 exec_lo, exec_lo, s1
	s_cbranch_execnz .LBB93_129
; %bb.130:
	s_or_b32 exec_lo, exec_lo, s1
	v_mov_b32_e32 v61, 0
	ds_load_b64 v[61:62], v61 offset:232
	s_wait_dscnt 0x0
	v_mul_f32_e32 v66, v63, v62
	v_mul_f32_e32 v65, v64, v62
	s_delay_alu instid0(VALU_DEP_2) | instskip(NEXT) | instid1(VALU_DEP_2)
	v_fma_f32 v64, v64, v61, -v66
	v_fmac_f32_e32 v65, v63, v61
	scratch_store_b64 off, v[64:65], off offset:232
.LBB93_131:
	s_wait_alu 0xfffe
	s_or_b32 exec_lo, exec_lo, s0
	s_mov_b32 s1, -1
	s_wait_loadcnt 0x0
	s_wait_storecnt 0x0
	s_barrier_signal -1
	s_barrier_wait -1
	global_inv scope:SCOPE_SE
.LBB93_132:
	s_wait_alu 0xfffe
	s_and_b32 vcc_lo, exec_lo, s1
	s_wait_alu 0xfffe
	s_cbranch_vccz .LBB93_134
; %bb.133:
	v_mov_b32_e32 v61, 0
	s_lshl_b64 s[0:1], s[8:9], 2
	s_wait_alu 0xfffe
	s_add_nc_u64 s[0:1], s[6:7], s[0:1]
	global_load_b32 v61, v61, s[0:1]
	s_wait_loadcnt 0x0
	v_cmp_ne_u32_e32 vcc_lo, 0, v61
	s_cbranch_vccz .LBB93_135
.LBB93_134:
	s_nop 0
	s_sendmsg sendmsg(MSG_DEALLOC_VGPRS)
	s_endpgm
.LBB93_135:
	v_lshl_add_u32 v63, v0, 3, 0xf0
	s_mov_b32 s0, exec_lo
	v_cmpx_eq_u32_e32 29, v0
	s_cbranch_execz .LBB93_137
; %bb.136:
	scratch_load_b64 v[61:62], off, off offset:224
	v_mov_b32_e32 v64, 0
	s_delay_alu instid0(VALU_DEP_1)
	v_mov_b32_e32 v65, v64
	scratch_store_b64 off, v[64:65], off offset:224
	s_wait_loadcnt 0x0
	ds_store_b64 v63, v[61:62]
.LBB93_137:
	s_wait_alu 0xfffe
	s_or_b32 exec_lo, exec_lo, s0
	s_wait_storecnt_dscnt 0x0
	s_barrier_signal -1
	s_barrier_wait -1
	global_inv scope:SCOPE_SE
	s_clause 0x1
	scratch_load_b64 v[64:65], off, off offset:232
	scratch_load_b64 v[66:67], off, off offset:224
	v_mov_b32_e32 v61, 0
	s_mov_b32 s0, exec_lo
	ds_load_b64 v[68:69], v61 offset:472
	s_wait_loadcnt_dscnt 0x100
	v_mul_f32_e32 v62, v69, v65
	s_delay_alu instid0(VALU_DEP_1) | instskip(NEXT) | instid1(VALU_DEP_1)
	v_fma_f32 v62, v68, v64, -v62
	v_dual_mul_f32 v65, v68, v65 :: v_dual_add_f32 v62, 0, v62
	s_wait_loadcnt 0x0
	s_delay_alu instid0(VALU_DEP_1) | instskip(NEXT) | instid1(VALU_DEP_1)
	v_dual_fmac_f32 v65, v69, v64 :: v_dual_sub_f32 v64, v66, v62
	v_add_f32_e32 v65, 0, v65
	s_delay_alu instid0(VALU_DEP_1)
	v_sub_f32_e32 v65, v67, v65
	scratch_store_b64 off, v[64:65], off offset:224
	v_cmpx_lt_u32_e32 27, v0
	s_cbranch_execz .LBB93_139
; %bb.138:
	scratch_load_b64 v[64:65], off, off offset:216
	v_mov_b32_e32 v62, v61
	scratch_store_b64 off, v[61:62], off offset:216
	s_wait_loadcnt 0x0
	ds_store_b64 v63, v[64:65]
.LBB93_139:
	s_wait_alu 0xfffe
	s_or_b32 exec_lo, exec_lo, s0
	s_wait_storecnt_dscnt 0x0
	s_barrier_signal -1
	s_barrier_wait -1
	global_inv scope:SCOPE_SE
	s_clause 0x1
	scratch_load_b128 v[64:67], off, off offset:224
	scratch_load_b64 v[72:73], off, off offset:216
	ds_load_b128 v[68:71], v61 offset:464
	s_mov_b32 s0, exec_lo
	s_wait_loadcnt_dscnt 0x100
	v_mul_f32_e32 v62, v68, v65
	s_delay_alu instid0(VALU_DEP_1) | instskip(SKIP_2) | instid1(VALU_DEP_1)
	v_fmac_f32_e32 v62, v69, v64
	v_mul_f32_e32 v61, v69, v65
	v_mul_f32_e32 v65, v70, v67
	v_fmac_f32_e32 v65, v71, v66
	s_delay_alu instid0(VALU_DEP_4) | instskip(NEXT) | instid1(VALU_DEP_4)
	v_dual_add_f32 v62, 0, v62 :: v_dual_mul_f32 v67, v71, v67
	v_fma_f32 v61, v68, v64, -v61
	s_delay_alu instid0(VALU_DEP_2) | instskip(NEXT) | instid1(VALU_DEP_3)
	v_add_f32_e32 v62, v62, v65
	v_fma_f32 v64, v70, v66, -v67
	s_wait_loadcnt 0x0
	s_delay_alu instid0(VALU_DEP_2) | instskip(NEXT) | instid1(VALU_DEP_1)
	v_dual_add_f32 v61, 0, v61 :: v_dual_sub_f32 v62, v73, v62
	v_add_f32_e32 v61, v61, v64
	s_delay_alu instid0(VALU_DEP_1)
	v_sub_f32_e32 v61, v72, v61
	scratch_store_b64 off, v[61:62], off offset:216
	v_cmpx_lt_u32_e32 26, v0
	s_cbranch_execz .LBB93_141
; %bb.140:
	scratch_load_b64 v[61:62], off, off offset:208
	v_mov_b32_e32 v64, 0
	s_delay_alu instid0(VALU_DEP_1)
	v_mov_b32_e32 v65, v64
	scratch_store_b64 off, v[64:65], off offset:208
	s_wait_loadcnt 0x0
	ds_store_b64 v63, v[61:62]
.LBB93_141:
	s_wait_alu 0xfffe
	s_or_b32 exec_lo, exec_lo, s0
	s_wait_storecnt_dscnt 0x0
	s_barrier_signal -1
	s_barrier_wait -1
	global_inv scope:SCOPE_SE
	s_clause 0x2
	scratch_load_b128 v[64:67], off, off offset:216
	scratch_load_b64 v[72:73], off, off offset:232
	scratch_load_b64 v[74:75], off, off offset:208
	v_mov_b32_e32 v61, 0
	ds_load_2addr_b64 v[68:71], v61 offset0:57 offset1:58
	ds_load_b64 v[76:77], v61 offset:472
	s_mov_b32 s0, exec_lo
	s_wait_loadcnt_dscnt 0x201
	v_mul_f32_e32 v62, v69, v65
	v_dual_mul_f32 v65, v68, v65 :: v_dual_mul_f32 v78, v70, v67
	v_mul_f32_e32 v67, v71, v67
	s_wait_loadcnt_dscnt 0x100
	v_mul_f32_e32 v79, v76, v73
	v_fma_f32 v62, v68, v64, -v62
	v_fmac_f32_e32 v65, v69, v64
	v_mul_f32_e32 v64, v77, v73
	v_fmac_f32_e32 v78, v71, v66
	v_fma_f32 v66, v70, v66, -v67
	s_delay_alu instid0(VALU_DEP_4) | instskip(NEXT) | instid1(VALU_DEP_4)
	v_dual_add_f32 v62, 0, v62 :: v_dual_add_f32 v65, 0, v65
	v_fma_f32 v64, v76, v72, -v64
	s_delay_alu instid0(VALU_DEP_2) | instskip(NEXT) | instid1(VALU_DEP_1)
	v_add_f32_e32 v62, v62, v66
	v_dual_add_f32 v65, v65, v78 :: v_dual_add_f32 v62, v62, v64
	s_wait_loadcnt 0x0
	s_delay_alu instid0(VALU_DEP_1) | instskip(NEXT) | instid1(VALU_DEP_1)
	v_dual_fmac_f32 v79, v77, v72 :: v_dual_sub_f32 v64, v74, v62
	v_add_f32_e32 v65, v65, v79
	s_delay_alu instid0(VALU_DEP_1)
	v_sub_f32_e32 v65, v75, v65
	scratch_store_b64 off, v[64:65], off offset:208
	v_cmpx_lt_u32_e32 25, v0
	s_cbranch_execz .LBB93_143
; %bb.142:
	scratch_load_b64 v[64:65], off, off offset:200
	v_mov_b32_e32 v62, v61
	scratch_store_b64 off, v[61:62], off offset:200
	s_wait_loadcnt 0x0
	ds_store_b64 v63, v[64:65]
.LBB93_143:
	s_wait_alu 0xfffe
	s_or_b32 exec_lo, exec_lo, s0
	s_wait_storecnt_dscnt 0x0
	s_barrier_signal -1
	s_barrier_wait -1
	global_inv scope:SCOPE_SE
	s_clause 0x2
	scratch_load_b128 v[64:67], off, off offset:208
	scratch_load_b128 v[68:71], off, off offset:224
	scratch_load_b64 v[80:81], off, off offset:200
	ds_load_b128 v[72:75], v61 offset:448
	ds_load_b128 v[76:79], v61 offset:464
	s_mov_b32 s0, exec_lo
	s_wait_loadcnt_dscnt 0x201
	v_mul_f32_e32 v62, v73, v65
	s_wait_loadcnt_dscnt 0x100
	v_dual_mul_f32 v82, v76, v69 :: v_dual_mul_f32 v83, v78, v71
	s_delay_alu instid0(VALU_DEP_2) | instskip(SKIP_2) | instid1(VALU_DEP_4)
	v_fma_f32 v62, v72, v64, -v62
	v_mul_f32_e32 v61, v72, v65
	v_mul_f32_e32 v65, v74, v67
	v_dual_mul_f32 v67, v75, v67 :: v_dual_fmac_f32 v82, v77, v68
	s_delay_alu instid0(VALU_DEP_3) | instskip(NEXT) | instid1(VALU_DEP_3)
	v_dual_add_f32 v62, 0, v62 :: v_dual_fmac_f32 v61, v73, v64
	v_dual_mul_f32 v64, v77, v69 :: v_dual_fmac_f32 v65, v75, v66
	s_delay_alu instid0(VALU_DEP_3) | instskip(SKIP_1) | instid1(VALU_DEP_3)
	v_fma_f32 v66, v74, v66, -v67
	v_fmac_f32_e32 v83, v79, v70
	v_fma_f32 v64, v76, v68, -v64
	s_delay_alu instid0(VALU_DEP_3) | instskip(NEXT) | instid1(VALU_DEP_1)
	v_dual_add_f32 v62, v62, v66 :: v_dual_add_f32 v61, 0, v61
	v_dual_add_f32 v62, v62, v64 :: v_dual_mul_f32 v67, v79, v71
	s_delay_alu instid0(VALU_DEP_2) | instskip(NEXT) | instid1(VALU_DEP_2)
	v_add_f32_e32 v61, v61, v65
	v_fma_f32 v65, v78, v70, -v67
	s_delay_alu instid0(VALU_DEP_1) | instskip(SKIP_1) | instid1(VALU_DEP_1)
	v_dual_add_f32 v61, v61, v82 :: v_dual_add_f32 v62, v62, v65
	s_wait_loadcnt 0x0
	v_dual_add_f32 v64, v61, v83 :: v_dual_sub_f32 v61, v80, v62
	s_delay_alu instid0(VALU_DEP_1)
	v_sub_f32_e32 v62, v81, v64
	scratch_store_b64 off, v[61:62], off offset:200
	v_cmpx_lt_u32_e32 24, v0
	s_cbranch_execz .LBB93_145
; %bb.144:
	scratch_load_b64 v[61:62], off, off offset:192
	v_mov_b32_e32 v64, 0
	s_delay_alu instid0(VALU_DEP_1)
	v_mov_b32_e32 v65, v64
	scratch_store_b64 off, v[64:65], off offset:192
	s_wait_loadcnt 0x0
	ds_store_b64 v63, v[61:62]
.LBB93_145:
	s_wait_alu 0xfffe
	s_or_b32 exec_lo, exec_lo, s0
	s_wait_storecnt_dscnt 0x0
	s_barrier_signal -1
	s_barrier_wait -1
	global_inv scope:SCOPE_SE
	s_clause 0x3
	scratch_load_b128 v[64:67], off, off offset:200
	scratch_load_b128 v[68:71], off, off offset:216
	scratch_load_b64 v[80:81], off, off offset:232
	scratch_load_b64 v[82:83], off, off offset:192
	v_mov_b32_e32 v61, 0
	ds_load_2addr_b64 v[72:75], v61 offset0:55 offset1:56
	ds_load_2addr_b64 v[76:79], v61 offset0:57 offset1:58
	ds_load_b64 v[84:85], v61 offset:472
	s_mov_b32 s0, exec_lo
	s_wait_loadcnt_dscnt 0x302
	v_mul_f32_e32 v62, v72, v65
	v_dual_mul_f32 v86, v74, v67 :: v_dual_mul_f32 v65, v73, v65
	s_wait_loadcnt_dscnt 0x100
	v_mul_f32_e32 v89, v84, v81
	v_dual_mul_f32 v87, v76, v69 :: v_dual_mul_f32 v88, v78, v71
	v_dual_fmac_f32 v62, v73, v64 :: v_dual_mul_f32 v67, v75, v67
	v_fma_f32 v65, v72, v64, -v65
	v_fmac_f32_e32 v86, v75, v66
	v_mul_f32_e32 v64, v77, v69
	s_delay_alu instid0(VALU_DEP_4) | instskip(SKIP_3) | instid1(VALU_DEP_4)
	v_add_f32_e32 v62, 0, v62
	v_fma_f32 v66, v74, v66, -v67
	v_add_f32_e32 v65, 0, v65
	v_mul_f32_e32 v67, v79, v71
	v_dual_fmac_f32 v87, v77, v68 :: v_dual_add_f32 v62, v62, v86
	v_dual_fmac_f32 v88, v79, v70 :: v_dual_fmac_f32 v89, v85, v80
	s_delay_alu instid0(VALU_DEP_4) | instskip(SKIP_1) | instid1(VALU_DEP_4)
	v_add_f32_e32 v65, v65, v66
	v_fma_f32 v64, v76, v68, -v64
	v_add_f32_e32 v62, v62, v87
	v_fma_f32 v67, v78, v70, -v67
	s_delay_alu instid0(VALU_DEP_3) | instskip(NEXT) | instid1(VALU_DEP_3)
	v_add_f32_e32 v64, v65, v64
	v_add_f32_e32 v62, v62, v88
	s_delay_alu instid0(VALU_DEP_2) | instskip(NEXT) | instid1(VALU_DEP_2)
	v_add_f32_e32 v64, v64, v67
	v_add_f32_e32 v62, v62, v89
	v_mul_f32_e32 v66, v85, v81
	s_delay_alu instid0(VALU_DEP_1) | instskip(SKIP_1) | instid1(VALU_DEP_1)
	v_fma_f32 v65, v84, v80, -v66
	s_wait_loadcnt 0x0
	v_dual_add_f32 v64, v64, v65 :: v_dual_sub_f32 v65, v83, v62
	s_delay_alu instid0(VALU_DEP_1)
	v_sub_f32_e32 v64, v82, v64
	scratch_store_b64 off, v[64:65], off offset:192
	v_cmpx_lt_u32_e32 23, v0
	s_cbranch_execz .LBB93_147
; %bb.146:
	scratch_load_b64 v[64:65], off, off offset:184
	v_mov_b32_e32 v62, v61
	scratch_store_b64 off, v[61:62], off offset:184
	s_wait_loadcnt 0x0
	ds_store_b64 v63, v[64:65]
.LBB93_147:
	s_wait_alu 0xfffe
	s_or_b32 exec_lo, exec_lo, s0
	s_wait_storecnt_dscnt 0x0
	s_barrier_signal -1
	s_barrier_wait -1
	global_inv scope:SCOPE_SE
	s_clause 0x3
	scratch_load_b128 v[64:67], off, off offset:192
	scratch_load_b128 v[68:71], off, off offset:208
	;; [unrolled: 1-line block ×3, first 2 shown]
	scratch_load_b64 v[88:89], off, off offset:184
	ds_load_b128 v[76:79], v61 offset:432
	ds_load_b128 v[80:83], v61 offset:448
	;; [unrolled: 1-line block ×3, first 2 shown]
	s_mov_b32 s0, exec_lo
	s_wait_loadcnt_dscnt 0x302
	v_dual_mul_f32 v61, v76, v65 :: v_dual_mul_f32 v62, v78, v67
	v_mul_f32_e32 v65, v77, v65
	s_wait_loadcnt_dscnt 0x201
	v_dual_mul_f32 v67, v79, v67 :: v_dual_mul_f32 v90, v80, v69
	s_delay_alu instid0(VALU_DEP_3) | instskip(NEXT) | instid1(VALU_DEP_3)
	v_dual_mul_f32 v91, v82, v71 :: v_dual_fmac_f32 v62, v79, v66
	v_fma_f32 v65, v76, v64, -v65
	v_fmac_f32_e32 v61, v77, v64
	v_mul_f32_e32 v64, v81, v69
	v_fma_f32 v66, v78, v66, -v67
	v_mul_f32_e32 v67, v83, v71
	v_dual_add_f32 v65, 0, v65 :: v_dual_fmac_f32 v90, v81, v68
	s_delay_alu instid0(VALU_DEP_4) | instskip(SKIP_2) | instid1(VALU_DEP_3)
	v_fma_f32 v64, v80, v68, -v64
	s_wait_loadcnt_dscnt 0x100
	v_dual_mul_f32 v92, v84, v73 :: v_dual_mul_f32 v93, v86, v75
	v_add_f32_e32 v65, v65, v66
	v_fmac_f32_e32 v91, v83, v70
	v_fma_f32 v66, v82, v70, -v67
	s_delay_alu instid0(VALU_DEP_4) | instskip(NEXT) | instid1(VALU_DEP_4)
	v_dual_fmac_f32 v92, v85, v72 :: v_dual_fmac_f32 v93, v87, v74
	v_add_f32_e32 v64, v65, v64
	s_delay_alu instid0(VALU_DEP_1) | instskip(SKIP_1) | instid1(VALU_DEP_1)
	v_dual_add_f32 v64, v64, v66 :: v_dual_add_f32 v61, 0, v61
	v_mul_f32_e32 v65, v87, v75
	v_fma_f32 v65, v86, v74, -v65
	s_delay_alu instid0(VALU_DEP_3) | instskip(SKIP_1) | instid1(VALU_DEP_1)
	v_add_f32_e32 v61, v61, v62
	v_mul_f32_e32 v62, v85, v73
	v_fma_f32 v62, v84, v72, -v62
	s_delay_alu instid0(VALU_DEP_1) | instskip(NEXT) | instid1(VALU_DEP_1)
	v_add_f32_e32 v62, v64, v62
	v_dual_add_f32 v62, v62, v65 :: v_dual_add_f32 v61, v61, v90
	s_delay_alu instid0(VALU_DEP_1) | instskip(NEXT) | instid1(VALU_DEP_1)
	v_add_f32_e32 v61, v61, v91
	v_add_f32_e32 v61, v61, v92
	s_wait_loadcnt 0x0
	s_delay_alu instid0(VALU_DEP_1) | instskip(NEXT) | instid1(VALU_DEP_1)
	v_dual_add_f32 v64, v61, v93 :: v_dual_sub_f32 v61, v88, v62
	v_sub_f32_e32 v62, v89, v64
	scratch_store_b64 off, v[61:62], off offset:184
	v_cmpx_lt_u32_e32 22, v0
	s_cbranch_execz .LBB93_149
; %bb.148:
	scratch_load_b64 v[61:62], off, off offset:176
	v_mov_b32_e32 v64, 0
	s_delay_alu instid0(VALU_DEP_1)
	v_mov_b32_e32 v65, v64
	scratch_store_b64 off, v[64:65], off offset:176
	s_wait_loadcnt 0x0
	ds_store_b64 v63, v[61:62]
.LBB93_149:
	s_wait_alu 0xfffe
	s_or_b32 exec_lo, exec_lo, s0
	s_wait_storecnt_dscnt 0x0
	s_barrier_signal -1
	s_barrier_wait -1
	global_inv scope:SCOPE_SE
	s_clause 0x4
	scratch_load_b128 v[64:67], off, off offset:184
	scratch_load_b128 v[68:71], off, off offset:200
	;; [unrolled: 1-line block ×3, first 2 shown]
	scratch_load_b64 v[88:89], off, off offset:232
	scratch_load_b64 v[90:91], off, off offset:176
	v_mov_b32_e32 v61, 0
	ds_load_2addr_b64 v[76:79], v61 offset0:53 offset1:54
	ds_load_2addr_b64 v[80:83], v61 offset0:55 offset1:56
	;; [unrolled: 1-line block ×3, first 2 shown]
	ds_load_b64 v[92:93], v61 offset:472
	s_mov_b32 s0, exec_lo
	s_wait_loadcnt_dscnt 0x403
	v_mul_f32_e32 v62, v76, v65
	s_wait_loadcnt_dscnt 0x302
	v_dual_mul_f32 v94, v78, v67 :: v_dual_mul_f32 v95, v80, v69
	v_dual_mul_f32 v96, v82, v71 :: v_dual_mul_f32 v65, v77, v65
	s_wait_loadcnt_dscnt 0x100
	v_dual_mul_f32 v99, v92, v89 :: v_dual_fmac_f32 v62, v77, v64
	v_mul_f32_e32 v67, v79, v67
	v_dual_mul_f32 v97, v84, v73 :: v_dual_mul_f32 v98, v86, v75
	v_fma_f32 v65, v76, v64, -v65
	v_fmac_f32_e32 v94, v79, v66
	v_add_f32_e32 v62, 0, v62
	v_mul_f32_e32 v64, v81, v69
	v_fma_f32 v66, v78, v66, -v67
	v_add_f32_e32 v65, 0, v65
	v_mul_f32_e32 v67, v83, v71
	v_dual_fmac_f32 v95, v81, v68 :: v_dual_add_f32 v62, v62, v94
	v_dual_fmac_f32 v96, v83, v70 :: v_dual_fmac_f32 v97, v85, v72
	s_delay_alu instid0(VALU_DEP_4) | instskip(SKIP_1) | instid1(VALU_DEP_4)
	v_add_f32_e32 v65, v65, v66
	v_dual_fmac_f32 v98, v87, v74 :: v_dual_fmac_f32 v99, v93, v88
	v_add_f32_e32 v62, v62, v95
	v_fma_f32 v64, v80, v68, -v64
	v_mul_f32_e32 v66, v85, v73
	v_fma_f32 v67, v82, v70, -v67
	s_delay_alu instid0(VALU_DEP_4) | instskip(NEXT) | instid1(VALU_DEP_1)
	v_add_f32_e32 v62, v62, v96
	v_add_f32_e32 v62, v62, v97
	s_delay_alu instid0(VALU_DEP_1) | instskip(NEXT) | instid1(VALU_DEP_1)
	v_add_f32_e32 v62, v62, v98
	v_add_f32_e32 v62, v62, v99
	v_dual_add_f32 v64, v65, v64 :: v_dual_mul_f32 v65, v87, v75
	v_fma_f32 v66, v84, v72, -v66
	s_delay_alu instid0(VALU_DEP_2) | instskip(NEXT) | instid1(VALU_DEP_3)
	v_dual_add_f32 v64, v64, v67 :: v_dual_mul_f32 v67, v93, v89
	v_fma_f32 v65, v86, v74, -v65
	s_delay_alu instid0(VALU_DEP_2) | instskip(NEXT) | instid1(VALU_DEP_3)
	v_add_f32_e32 v64, v64, v66
	v_fma_f32 v66, v92, v88, -v67
	s_wait_loadcnt 0x0
	s_delay_alu instid0(VALU_DEP_2) | instskip(NEXT) | instid1(VALU_DEP_1)
	v_dual_add_f32 v64, v64, v65 :: v_dual_sub_f32 v65, v91, v62
	v_add_f32_e32 v64, v64, v66
	s_delay_alu instid0(VALU_DEP_1)
	v_sub_f32_e32 v64, v90, v64
	scratch_store_b64 off, v[64:65], off offset:176
	v_cmpx_lt_u32_e32 21, v0
	s_cbranch_execz .LBB93_151
; %bb.150:
	scratch_load_b64 v[64:65], off, off offset:168
	v_mov_b32_e32 v62, v61
	scratch_store_b64 off, v[61:62], off offset:168
	s_wait_loadcnt 0x0
	ds_store_b64 v63, v[64:65]
.LBB93_151:
	s_wait_alu 0xfffe
	s_or_b32 exec_lo, exec_lo, s0
	s_wait_storecnt_dscnt 0x0
	s_barrier_signal -1
	s_barrier_wait -1
	global_inv scope:SCOPE_SE
	s_clause 0x4
	scratch_load_b128 v[64:67], off, off offset:176
	scratch_load_b128 v[68:71], off, off offset:192
	;; [unrolled: 1-line block ×4, first 2 shown]
	scratch_load_b64 v[96:97], off, off offset:168
	ds_load_b128 v[80:83], v61 offset:416
	ds_load_b128 v[84:87], v61 offset:432
	ds_load_b128 v[88:91], v61 offset:448
	ds_load_b128 v[92:95], v61 offset:464
	s_mov_b32 s0, exec_lo
	s_wait_loadcnt_dscnt 0x403
	v_dual_mul_f32 v61, v80, v65 :: v_dual_mul_f32 v62, v82, v67
	v_mul_f32_e32 v65, v81, v65
	s_wait_loadcnt_dscnt 0x302
	v_dual_mul_f32 v67, v83, v67 :: v_dual_mul_f32 v98, v84, v69
	s_delay_alu instid0(VALU_DEP_3) | instskip(NEXT) | instid1(VALU_DEP_3)
	v_dual_mul_f32 v99, v86, v71 :: v_dual_fmac_f32 v62, v83, v66
	v_fma_f32 v65, v80, v64, -v65
	v_fmac_f32_e32 v61, v81, v64
	v_mul_f32_e32 v64, v85, v69
	v_fma_f32 v66, v82, v66, -v67
	v_mul_f32_e32 v67, v87, v71
	v_dual_add_f32 v65, 0, v65 :: v_dual_fmac_f32 v98, v85, v68
	s_delay_alu instid0(VALU_DEP_4) | instskip(SKIP_2) | instid1(VALU_DEP_3)
	v_fma_f32 v64, v84, v68, -v64
	s_wait_loadcnt_dscnt 0x201
	v_dual_mul_f32 v100, v88, v73 :: v_dual_mul_f32 v101, v90, v75
	v_add_f32_e32 v65, v65, v66
	v_fmac_f32_e32 v99, v87, v70
	v_fma_f32 v66, v86, v70, -v67
	s_wait_loadcnt_dscnt 0x100
	v_dual_mul_f32 v102, v92, v77 :: v_dual_mul_f32 v103, v94, v79
	v_dual_add_f32 v64, v65, v64 :: v_dual_mul_f32 v65, v91, v75
	v_dual_fmac_f32 v100, v89, v72 :: v_dual_fmac_f32 v101, v91, v74
	s_delay_alu instid0(VALU_DEP_3) | instskip(NEXT) | instid1(VALU_DEP_3)
	v_fmac_f32_e32 v102, v93, v76
	v_dual_add_f32 v64, v64, v66 :: v_dual_add_f32 v61, 0, v61
	v_mul_f32_e32 v66, v93, v77
	v_fma_f32 v65, v90, v74, -v65
	v_fmac_f32_e32 v103, v95, v78
	s_delay_alu instid0(VALU_DEP_4) | instskip(SKIP_2) | instid1(VALU_DEP_2)
	v_add_f32_e32 v61, v61, v62
	v_mul_f32_e32 v62, v89, v73
	v_fma_f32 v66, v92, v76, -v66
	v_fma_f32 v62, v88, v72, -v62
	s_delay_alu instid0(VALU_DEP_1) | instskip(SKIP_1) | instid1(VALU_DEP_2)
	v_add_f32_e32 v62, v64, v62
	v_mul_f32_e32 v64, v95, v79
	v_add_f32_e32 v62, v62, v65
	s_delay_alu instid0(VALU_DEP_2) | instskip(NEXT) | instid1(VALU_DEP_2)
	v_fma_f32 v64, v94, v78, -v64
	v_add_f32_e32 v62, v62, v66
	s_delay_alu instid0(VALU_DEP_1) | instskip(NEXT) | instid1(VALU_DEP_1)
	v_dual_add_f32 v61, v61, v98 :: v_dual_add_f32 v62, v62, v64
	v_add_f32_e32 v61, v61, v99
	s_delay_alu instid0(VALU_DEP_1) | instskip(NEXT) | instid1(VALU_DEP_1)
	v_add_f32_e32 v61, v61, v100
	v_add_f32_e32 v61, v61, v101
	s_delay_alu instid0(VALU_DEP_1) | instskip(SKIP_1) | instid1(VALU_DEP_1)
	v_add_f32_e32 v61, v61, v102
	s_wait_loadcnt 0x0
	v_dual_add_f32 v64, v61, v103 :: v_dual_sub_f32 v61, v96, v62
	s_delay_alu instid0(VALU_DEP_1)
	v_sub_f32_e32 v62, v97, v64
	scratch_store_b64 off, v[61:62], off offset:168
	v_cmpx_lt_u32_e32 20, v0
	s_cbranch_execz .LBB93_153
; %bb.152:
	scratch_load_b64 v[61:62], off, off offset:160
	v_mov_b32_e32 v64, 0
	s_delay_alu instid0(VALU_DEP_1)
	v_mov_b32_e32 v65, v64
	scratch_store_b64 off, v[64:65], off offset:160
	s_wait_loadcnt 0x0
	ds_store_b64 v63, v[61:62]
.LBB93_153:
	s_wait_alu 0xfffe
	s_or_b32 exec_lo, exec_lo, s0
	s_wait_storecnt_dscnt 0x0
	s_barrier_signal -1
	s_barrier_wait -1
	global_inv scope:SCOPE_SE
	s_clause 0x5
	scratch_load_b128 v[64:67], off, off offset:168
	scratch_load_b128 v[68:71], off, off offset:184
	;; [unrolled: 1-line block ×4, first 2 shown]
	scratch_load_b64 v[96:97], off, off offset:232
	scratch_load_b64 v[98:99], off, off offset:160
	v_mov_b32_e32 v61, 0
	ds_load_2addr_b64 v[80:83], v61 offset0:51 offset1:52
	ds_load_2addr_b64 v[84:87], v61 offset0:53 offset1:54
	;; [unrolled: 1-line block ×4, first 2 shown]
	ds_load_b64 v[100:101], v61 offset:472
	s_mov_b32 s0, exec_lo
	s_wait_loadcnt_dscnt 0x504
	v_mul_f32_e32 v62, v80, v65
	s_wait_loadcnt_dscnt 0x403
	v_dual_mul_f32 v102, v82, v67 :: v_dual_mul_f32 v103, v84, v69
	s_wait_loadcnt_dscnt 0x302
	v_dual_mul_f32 v106, v90, v75 :: v_dual_mul_f32 v65, v81, v65
	s_wait_loadcnt_dscnt 0x100
	v_dual_mul_f32 v109, v100, v97 :: v_dual_fmac_f32 v62, v81, v64
	v_mul_f32_e32 v67, v83, v67
	v_dual_mul_f32 v104, v86, v71 :: v_dual_mul_f32 v105, v88, v73
	v_fma_f32 v65, v80, v64, -v65
	v_fmac_f32_e32 v102, v83, v66
	v_add_f32_e32 v62, 0, v62
	v_mul_f32_e32 v64, v85, v69
	v_fma_f32 v66, v82, v66, -v67
	v_add_f32_e32 v65, 0, v65
	v_mul_f32_e32 v67, v87, v71
	v_dual_fmac_f32 v103, v85, v68 :: v_dual_add_f32 v62, v62, v102
	v_dual_fmac_f32 v104, v87, v70 :: v_dual_fmac_f32 v105, v89, v72
	s_delay_alu instid0(VALU_DEP_4) | instskip(SKIP_1) | instid1(VALU_DEP_4)
	v_add_f32_e32 v65, v65, v66
	v_dual_mul_f32 v107, v92, v77 :: v_dual_mul_f32 v108, v94, v79
	v_add_f32_e32 v62, v62, v103
	v_dual_fmac_f32 v106, v91, v74 :: v_dual_fmac_f32 v109, v101, v96
	s_delay_alu instid0(VALU_DEP_3) | instskip(NEXT) | instid1(VALU_DEP_3)
	v_dual_fmac_f32 v107, v93, v76 :: v_dual_fmac_f32 v108, v95, v78
	v_add_f32_e32 v62, v62, v104
	v_fma_f32 v64, v84, v68, -v64
	v_mul_f32_e32 v66, v89, v73
	v_fma_f32 v67, v86, v70, -v67
	s_delay_alu instid0(VALU_DEP_4) | instskip(NEXT) | instid1(VALU_DEP_1)
	v_add_f32_e32 v62, v62, v105
	v_add_f32_e32 v62, v62, v106
	s_delay_alu instid0(VALU_DEP_1) | instskip(NEXT) | instid1(VALU_DEP_1)
	v_add_f32_e32 v62, v62, v107
	v_add_f32_e32 v62, v62, v108
	s_delay_alu instid0(VALU_DEP_1) | instskip(SKIP_2) | instid1(VALU_DEP_2)
	v_add_f32_e32 v62, v62, v109
	v_dual_add_f32 v64, v65, v64 :: v_dual_mul_f32 v65, v91, v75
	v_fma_f32 v66, v88, v72, -v66
	v_dual_add_f32 v64, v64, v67 :: v_dual_mul_f32 v67, v93, v77
	s_delay_alu instid0(VALU_DEP_3) | instskip(NEXT) | instid1(VALU_DEP_2)
	v_fma_f32 v65, v90, v74, -v65
	v_add_f32_e32 v64, v64, v66
	v_mul_f32_e32 v66, v95, v79
	s_delay_alu instid0(VALU_DEP_4) | instskip(NEXT) | instid1(VALU_DEP_3)
	v_fma_f32 v67, v92, v76, -v67
	v_add_f32_e32 v64, v64, v65
	v_mul_f32_e32 v65, v101, v97
	s_delay_alu instid0(VALU_DEP_4) | instskip(NEXT) | instid1(VALU_DEP_3)
	v_fma_f32 v66, v94, v78, -v66
	v_add_f32_e32 v64, v64, v67
	s_delay_alu instid0(VALU_DEP_3) | instskip(NEXT) | instid1(VALU_DEP_2)
	v_fma_f32 v65, v100, v96, -v65
	v_add_f32_e32 v64, v64, v66
	s_wait_loadcnt 0x0
	s_delay_alu instid0(VALU_DEP_1) | instskip(NEXT) | instid1(VALU_DEP_1)
	v_dual_add_f32 v64, v64, v65 :: v_dual_sub_f32 v65, v99, v62
	v_sub_f32_e32 v64, v98, v64
	scratch_store_b64 off, v[64:65], off offset:160
	v_cmpx_lt_u32_e32 19, v0
	s_cbranch_execz .LBB93_155
; %bb.154:
	scratch_load_b64 v[64:65], off, off offset:152
	v_mov_b32_e32 v62, v61
	scratch_store_b64 off, v[61:62], off offset:152
	s_wait_loadcnt 0x0
	ds_store_b64 v63, v[64:65]
.LBB93_155:
	s_wait_alu 0xfffe
	s_or_b32 exec_lo, exec_lo, s0
	s_wait_storecnt_dscnt 0x0
	s_barrier_signal -1
	s_barrier_wait -1
	global_inv scope:SCOPE_SE
	s_clause 0x5
	scratch_load_b128 v[64:67], off, off offset:160
	scratch_load_b128 v[68:71], off, off offset:176
	;; [unrolled: 1-line block ×5, first 2 shown]
	scratch_load_b64 v[104:105], off, off offset:152
	ds_load_b128 v[84:87], v61 offset:400
	ds_load_b128 v[88:91], v61 offset:416
	;; [unrolled: 1-line block ×5, first 2 shown]
	s_mov_b32 s0, exec_lo
	s_wait_loadcnt_dscnt 0x504
	v_dual_mul_f32 v61, v84, v65 :: v_dual_mul_f32 v62, v86, v67
	v_mul_f32_e32 v65, v85, v65
	s_wait_loadcnt_dscnt 0x403
	v_dual_mul_f32 v67, v87, v67 :: v_dual_mul_f32 v106, v88, v69
	s_delay_alu instid0(VALU_DEP_3) | instskip(NEXT) | instid1(VALU_DEP_3)
	v_dual_mul_f32 v107, v90, v71 :: v_dual_fmac_f32 v62, v87, v66
	v_fma_f32 v65, v84, v64, -v65
	v_fmac_f32_e32 v61, v85, v64
	v_mul_f32_e32 v64, v89, v69
	v_fma_f32 v66, v86, v66, -v67
	v_mul_f32_e32 v67, v91, v71
	v_dual_add_f32 v65, 0, v65 :: v_dual_fmac_f32 v106, v89, v68
	s_delay_alu instid0(VALU_DEP_4) | instskip(SKIP_2) | instid1(VALU_DEP_3)
	v_fma_f32 v64, v88, v68, -v64
	s_wait_loadcnt_dscnt 0x302
	v_dual_mul_f32 v108, v92, v73 :: v_dual_mul_f32 v109, v94, v75
	v_add_f32_e32 v65, v65, v66
	v_fmac_f32_e32 v107, v91, v70
	v_fma_f32 v66, v90, v70, -v67
	s_wait_loadcnt_dscnt 0x201
	v_dual_mul_f32 v110, v96, v77 :: v_dual_mul_f32 v111, v98, v79
	v_dual_add_f32 v64, v65, v64 :: v_dual_mul_f32 v65, v95, v75
	v_fmac_f32_e32 v108, v93, v72
	s_wait_loadcnt_dscnt 0x100
	v_dual_mul_f32 v112, v100, v81 :: v_dual_mul_f32 v113, v102, v83
	s_delay_alu instid0(VALU_DEP_3) | instskip(SKIP_3) | instid1(VALU_DEP_4)
	v_dual_add_f32 v64, v64, v66 :: v_dual_add_f32 v61, 0, v61
	v_mul_f32_e32 v66, v97, v77
	v_fma_f32 v65, v94, v74, -v65
	v_dual_fmac_f32 v109, v95, v74 :: v_dual_fmac_f32 v110, v97, v76
	v_add_f32_e32 v61, v61, v62
	v_mul_f32_e32 v62, v93, v73
	v_fma_f32 v66, v96, v76, -v66
	v_dual_fmac_f32 v111, v99, v78 :: v_dual_fmac_f32 v112, v101, v80
	s_delay_alu instid0(VALU_DEP_3) | instskip(NEXT) | instid1(VALU_DEP_1)
	v_fma_f32 v62, v92, v72, -v62
	v_add_f32_e32 v62, v64, v62
	v_mul_f32_e32 v64, v99, v79
	s_delay_alu instid0(VALU_DEP_2) | instskip(SKIP_1) | instid1(VALU_DEP_3)
	v_dual_add_f32 v62, v62, v65 :: v_dual_add_f32 v61, v61, v106
	v_mul_f32_e32 v65, v101, v81
	v_fma_f32 v64, v98, v78, -v64
	s_delay_alu instid0(VALU_DEP_3) | instskip(SKIP_3) | instid1(VALU_DEP_4)
	v_add_f32_e32 v62, v62, v66
	v_mul_f32_e32 v66, v103, v83
	v_add_f32_e32 v61, v61, v107
	v_fma_f32 v65, v100, v80, -v65
	v_dual_add_f32 v62, v62, v64 :: v_dual_fmac_f32 v113, v103, v82
	s_delay_alu instid0(VALU_DEP_3) | instskip(SKIP_1) | instid1(VALU_DEP_3)
	v_add_f32_e32 v61, v61, v108
	v_fma_f32 v64, v102, v82, -v66
	v_add_f32_e32 v62, v62, v65
	s_delay_alu instid0(VALU_DEP_1) | instskip(NEXT) | instid1(VALU_DEP_1)
	v_dual_add_f32 v61, v61, v109 :: v_dual_add_f32 v62, v62, v64
	v_add_f32_e32 v61, v61, v110
	s_delay_alu instid0(VALU_DEP_1) | instskip(NEXT) | instid1(VALU_DEP_1)
	v_add_f32_e32 v61, v61, v111
	v_add_f32_e32 v61, v61, v112
	s_wait_loadcnt 0x0
	s_delay_alu instid0(VALU_DEP_1) | instskip(NEXT) | instid1(VALU_DEP_1)
	v_dual_add_f32 v64, v61, v113 :: v_dual_sub_f32 v61, v104, v62
	v_sub_f32_e32 v62, v105, v64
	scratch_store_b64 off, v[61:62], off offset:152
	v_cmpx_lt_u32_e32 18, v0
	s_cbranch_execz .LBB93_157
; %bb.156:
	scratch_load_b64 v[61:62], off, off offset:144
	v_mov_b32_e32 v64, 0
	s_delay_alu instid0(VALU_DEP_1)
	v_mov_b32_e32 v65, v64
	scratch_store_b64 off, v[64:65], off offset:144
	s_wait_loadcnt 0x0
	ds_store_b64 v63, v[61:62]
.LBB93_157:
	s_wait_alu 0xfffe
	s_or_b32 exec_lo, exec_lo, s0
	s_wait_storecnt_dscnt 0x0
	s_barrier_signal -1
	s_barrier_wait -1
	global_inv scope:SCOPE_SE
	s_clause 0x6
	scratch_load_b128 v[64:67], off, off offset:152
	scratch_load_b128 v[68:71], off, off offset:168
	;; [unrolled: 1-line block ×5, first 2 shown]
	scratch_load_b64 v[104:105], off, off offset:232
	scratch_load_b64 v[106:107], off, off offset:144
	v_mov_b32_e32 v61, 0
	ds_load_2addr_b64 v[84:87], v61 offset0:49 offset1:50
	ds_load_2addr_b64 v[88:91], v61 offset0:51 offset1:52
	;; [unrolled: 1-line block ×5, first 2 shown]
	ds_load_b64 v[108:109], v61 offset:472
	s_mov_b32 s0, exec_lo
	s_wait_loadcnt_dscnt 0x605
	v_mul_f32_e32 v62, v84, v65
	v_dual_mul_f32 v65, v85, v65 :: v_dual_mul_f32 v110, v86, v67
	s_wait_loadcnt_dscnt 0x302
	v_dual_mul_f32 v111, v88, v69 :: v_dual_mul_f32 v116, v98, v79
	s_wait_loadcnt_dscnt 0x100
	v_dual_mul_f32 v119, v108, v105 :: v_dual_fmac_f32 v62, v85, v64
	v_mul_f32_e32 v67, v87, v67
	v_fma_f32 v65, v84, v64, -v65
	v_mul_f32_e32 v64, v89, v69
	v_fmac_f32_e32 v110, v87, v66
	v_add_f32_e32 v62, 0, v62
	v_fma_f32 v66, v86, v66, -v67
	v_add_f32_e32 v65, 0, v65
	v_mul_f32_e32 v67, v91, v71
	s_delay_alu instid0(VALU_DEP_4) | instskip(SKIP_1) | instid1(VALU_DEP_4)
	v_dual_fmac_f32 v111, v89, v68 :: v_dual_add_f32 v62, v62, v110
	v_fma_f32 v64, v88, v68, -v64
	v_dual_add_f32 v65, v65, v66 :: v_dual_mul_f32 v112, v90, v71
	v_mul_f32_e32 v113, v92, v73
	v_mul_f32_e32 v66, v93, v73
	v_fma_f32 v67, v90, v70, -v67
	v_add_f32_e32 v62, v62, v111
	v_add_f32_e32 v64, v65, v64
	v_dual_fmac_f32 v112, v91, v70 :: v_dual_fmac_f32 v113, v93, v72
	v_mul_f32_e32 v65, v95, v75
	v_fma_f32 v66, v92, v72, -v66
	s_delay_alu instid0(VALU_DEP_4) | instskip(SKIP_4) | instid1(VALU_DEP_3)
	v_dual_add_f32 v64, v64, v67 :: v_dual_mul_f32 v67, v97, v77
	v_dual_mul_f32 v114, v94, v75 :: v_dual_mul_f32 v115, v96, v77
	v_dual_mul_f32 v117, v100, v81 :: v_dual_mul_f32 v118, v102, v83
	v_add_f32_e32 v62, v62, v112
	v_fma_f32 v65, v94, v74, -v65
	v_dual_add_f32 v64, v64, v66 :: v_dual_fmac_f32 v117, v101, v80
	v_dual_fmac_f32 v114, v95, v74 :: v_dual_fmac_f32 v115, v97, v76
	v_mul_f32_e32 v66, v99, v79
	s_delay_alu instid0(VALU_DEP_3)
	v_add_f32_e32 v64, v64, v65
	v_mul_f32_e32 v65, v101, v81
	v_dual_add_f32 v62, v62, v113 :: v_dual_fmac_f32 v119, v109, v104
	v_fma_f32 v67, v96, v76, -v67
	v_fmac_f32_e32 v116, v99, v78
	v_fma_f32 v66, v98, v78, -v66
	s_delay_alu instid0(VALU_DEP_4)
	v_add_f32_e32 v62, v62, v114
	v_fma_f32 v65, v100, v80, -v65
	v_add_f32_e32 v64, v64, v67
	v_mul_f32_e32 v67, v103, v83
	v_fmac_f32_e32 v118, v103, v82
	v_add_f32_e32 v62, v62, v115
	s_delay_alu instid0(VALU_DEP_4) | instskip(SKIP_2) | instid1(VALU_DEP_4)
	v_add_f32_e32 v64, v64, v66
	v_mul_f32_e32 v66, v109, v105
	v_fma_f32 v67, v102, v82, -v67
	v_add_f32_e32 v62, v62, v116
	s_delay_alu instid0(VALU_DEP_4) | instskip(NEXT) | instid1(VALU_DEP_4)
	v_add_f32_e32 v64, v64, v65
	v_fma_f32 v65, v108, v104, -v66
	s_delay_alu instid0(VALU_DEP_3) | instskip(NEXT) | instid1(VALU_DEP_3)
	v_add_f32_e32 v62, v62, v117
	v_add_f32_e32 v64, v64, v67
	s_delay_alu instid0(VALU_DEP_2) | instskip(NEXT) | instid1(VALU_DEP_2)
	v_add_f32_e32 v62, v62, v118
	v_add_f32_e32 v64, v64, v65
	s_delay_alu instid0(VALU_DEP_2) | instskip(SKIP_1) | instid1(VALU_DEP_1)
	v_add_f32_e32 v62, v62, v119
	s_wait_loadcnt 0x0
	v_dual_sub_f32 v64, v106, v64 :: v_dual_sub_f32 v65, v107, v62
	scratch_store_b64 off, v[64:65], off offset:144
	v_cmpx_lt_u32_e32 17, v0
	s_cbranch_execz .LBB93_159
; %bb.158:
	scratch_load_b64 v[64:65], off, off offset:136
	v_mov_b32_e32 v62, v61
	scratch_store_b64 off, v[61:62], off offset:136
	s_wait_loadcnt 0x0
	ds_store_b64 v63, v[64:65]
.LBB93_159:
	s_wait_alu 0xfffe
	s_or_b32 exec_lo, exec_lo, s0
	s_wait_storecnt_dscnt 0x0
	s_barrier_signal -1
	s_barrier_wait -1
	global_inv scope:SCOPE_SE
	s_clause 0x6
	scratch_load_b128 v[64:67], off, off offset:144
	scratch_load_b128 v[68:71], off, off offset:160
	;; [unrolled: 1-line block ×6, first 2 shown]
	scratch_load_b64 v[112:113], off, off offset:136
	ds_load_b128 v[88:91], v61 offset:384
	ds_load_b128 v[92:95], v61 offset:400
	;; [unrolled: 1-line block ×6, first 2 shown]
	s_mov_b32 s0, exec_lo
	s_wait_loadcnt_dscnt 0x605
	v_dual_mul_f32 v61, v88, v65 :: v_dual_mul_f32 v62, v90, v67
	v_mul_f32_e32 v65, v89, v65
	s_wait_loadcnt_dscnt 0x504
	v_dual_mul_f32 v67, v91, v67 :: v_dual_mul_f32 v114, v92, v69
	s_delay_alu instid0(VALU_DEP_3) | instskip(NEXT) | instid1(VALU_DEP_3)
	v_dual_mul_f32 v115, v94, v71 :: v_dual_fmac_f32 v62, v91, v66
	v_fma_f32 v65, v88, v64, -v65
	v_fmac_f32_e32 v61, v89, v64
	v_mul_f32_e32 v64, v93, v69
	v_fma_f32 v66, v90, v66, -v67
	v_mul_f32_e32 v67, v95, v71
	v_dual_add_f32 v65, 0, v65 :: v_dual_fmac_f32 v114, v93, v68
	s_delay_alu instid0(VALU_DEP_4) | instskip(SKIP_2) | instid1(VALU_DEP_3)
	v_fma_f32 v64, v92, v68, -v64
	s_wait_loadcnt_dscnt 0x403
	v_dual_mul_f32 v116, v96, v73 :: v_dual_mul_f32 v117, v98, v75
	v_add_f32_e32 v65, v65, v66
	v_fmac_f32_e32 v115, v95, v70
	v_fma_f32 v66, v94, v70, -v67
	s_wait_loadcnt_dscnt 0x302
	v_dual_mul_f32 v118, v100, v77 :: v_dual_mul_f32 v119, v102, v79
	v_dual_add_f32 v64, v65, v64 :: v_dual_mul_f32 v65, v99, v75
	v_fmac_f32_e32 v116, v97, v72
	s_wait_loadcnt_dscnt 0x201
	v_dual_mul_f32 v120, v104, v81 :: v_dual_mul_f32 v121, v106, v83
	s_delay_alu instid0(VALU_DEP_3) | instskip(SKIP_3) | instid1(VALU_DEP_4)
	v_dual_add_f32 v64, v64, v66 :: v_dual_add_f32 v61, 0, v61
	v_mul_f32_e32 v66, v101, v77
	v_fma_f32 v65, v98, v74, -v65
	v_dual_fmac_f32 v117, v99, v74 :: v_dual_fmac_f32 v118, v101, v76
	v_add_f32_e32 v61, v61, v62
	v_mul_f32_e32 v62, v97, v73
	v_fma_f32 v66, v100, v76, -v66
	v_dual_fmac_f32 v119, v103, v78 :: v_dual_fmac_f32 v120, v105, v80
	s_wait_loadcnt_dscnt 0x100
	v_dual_mul_f32 v122, v108, v85 :: v_dual_mul_f32 v123, v110, v87
	v_fma_f32 v62, v96, v72, -v62
	s_delay_alu instid0(VALU_DEP_2) | instskip(NEXT) | instid1(VALU_DEP_3)
	v_dual_fmac_f32 v121, v107, v82 :: v_dual_fmac_f32 v122, v109, v84
	v_fmac_f32_e32 v123, v111, v86
	s_delay_alu instid0(VALU_DEP_3) | instskip(SKIP_1) | instid1(VALU_DEP_2)
	v_add_f32_e32 v62, v64, v62
	v_mul_f32_e32 v64, v103, v79
	v_dual_add_f32 v62, v62, v65 :: v_dual_add_f32 v61, v61, v114
	v_mul_f32_e32 v65, v105, v81
	s_delay_alu instid0(VALU_DEP_3) | instskip(NEXT) | instid1(VALU_DEP_3)
	v_fma_f32 v64, v102, v78, -v64
	v_add_f32_e32 v62, v62, v66
	v_mul_f32_e32 v66, v107, v83
	v_add_f32_e32 v61, v61, v115
	v_fma_f32 v65, v104, v80, -v65
	s_delay_alu instid0(VALU_DEP_4) | instskip(SKIP_1) | instid1(VALU_DEP_4)
	v_add_f32_e32 v62, v62, v64
	v_mul_f32_e32 v64, v109, v85
	v_add_f32_e32 v61, v61, v116
	v_fma_f32 v66, v106, v82, -v66
	s_delay_alu instid0(VALU_DEP_4) | instskip(NEXT) | instid1(VALU_DEP_3)
	v_dual_add_f32 v62, v62, v65 :: v_dual_mul_f32 v65, v111, v87
	v_add_f32_e32 v61, v61, v117
	v_fma_f32 v64, v108, v84, -v64
	s_delay_alu instid0(VALU_DEP_3) | instskip(NEXT) | instid1(VALU_DEP_4)
	v_add_f32_e32 v62, v62, v66
	v_fma_f32 v65, v110, v86, -v65
	s_delay_alu instid0(VALU_DEP_2) | instskip(NEXT) | instid1(VALU_DEP_1)
	v_dual_add_f32 v61, v61, v118 :: v_dual_add_f32 v62, v62, v64
	v_dual_add_f32 v61, v61, v119 :: v_dual_add_f32 v62, v62, v65
	s_delay_alu instid0(VALU_DEP_1) | instskip(NEXT) | instid1(VALU_DEP_1)
	v_add_f32_e32 v61, v61, v120
	v_add_f32_e32 v61, v61, v121
	s_delay_alu instid0(VALU_DEP_1) | instskip(SKIP_1) | instid1(VALU_DEP_1)
	v_add_f32_e32 v61, v61, v122
	s_wait_loadcnt 0x0
	v_dual_add_f32 v64, v61, v123 :: v_dual_sub_f32 v61, v112, v62
	s_delay_alu instid0(VALU_DEP_1)
	v_sub_f32_e32 v62, v113, v64
	scratch_store_b64 off, v[61:62], off offset:136
	v_cmpx_lt_u32_e32 16, v0
	s_cbranch_execz .LBB93_161
; %bb.160:
	scratch_load_b64 v[61:62], off, off offset:128
	v_mov_b32_e32 v64, 0
	s_delay_alu instid0(VALU_DEP_1)
	v_mov_b32_e32 v65, v64
	scratch_store_b64 off, v[64:65], off offset:128
	s_wait_loadcnt 0x0
	ds_store_b64 v63, v[61:62]
.LBB93_161:
	s_wait_alu 0xfffe
	s_or_b32 exec_lo, exec_lo, s0
	s_wait_storecnt_dscnt 0x0
	s_barrier_signal -1
	s_barrier_wait -1
	global_inv scope:SCOPE_SE
	s_clause 0x7
	scratch_load_b128 v[64:67], off, off offset:136
	scratch_load_b128 v[68:71], off, off offset:152
	;; [unrolled: 1-line block ×6, first 2 shown]
	scratch_load_b64 v[112:113], off, off offset:232
	scratch_load_b64 v[114:115], off, off offset:128
	v_mov_b32_e32 v61, 0
	ds_load_2addr_b64 v[88:91], v61 offset0:47 offset1:48
	ds_load_2addr_b64 v[92:95], v61 offset0:49 offset1:50
	;; [unrolled: 1-line block ×6, first 2 shown]
	ds_load_b64 v[116:117], v61 offset:472
	s_mov_b32 s0, exec_lo
	s_wait_loadcnt_dscnt 0x706
	v_mul_f32_e32 v62, v88, v65
	v_dual_mul_f32 v65, v89, v65 :: v_dual_mul_f32 v118, v90, v67
	s_wait_loadcnt_dscnt 0x302
	v_dual_mul_f32 v119, v92, v69 :: v_dual_mul_f32 v126, v106, v83
	v_mul_f32_e32 v67, v91, v67
	s_wait_loadcnt_dscnt 0x100
	v_dual_mul_f32 v129, v116, v113 :: v_dual_fmac_f32 v62, v89, v64
	v_fma_f32 v65, v88, v64, -v65
	v_mul_f32_e32 v64, v93, v69
	v_fmac_f32_e32 v118, v91, v66
	v_fma_f32 v66, v90, v66, -v67
	v_dual_add_f32 v62, 0, v62 :: v_dual_mul_f32 v67, v95, v71
	v_add_f32_e32 v65, 0, v65
	v_fmac_f32_e32 v119, v93, v68
	v_fma_f32 v64, v92, v68, -v64
	s_delay_alu instid0(VALU_DEP_4)
	v_add_f32_e32 v62, v62, v118
	v_fma_f32 v67, v94, v70, -v67
	v_add_f32_e32 v65, v65, v66
	v_mul_f32_e32 v66, v97, v73
	v_dual_mul_f32 v120, v94, v71 :: v_dual_mul_f32 v121, v96, v73
	v_add_f32_e32 v62, v62, v119
	s_delay_alu instid0(VALU_DEP_4) | instskip(NEXT) | instid1(VALU_DEP_4)
	v_dual_add_f32 v64, v65, v64 :: v_dual_mul_f32 v65, v99, v75
	v_fma_f32 v66, v96, v72, -v66
	v_dual_mul_f32 v124, v102, v79 :: v_dual_mul_f32 v125, v104, v81
	s_delay_alu instid0(VALU_DEP_3) | instskip(NEXT) | instid1(VALU_DEP_4)
	v_dual_add_f32 v64, v64, v67 :: v_dual_mul_f32 v67, v101, v77
	v_fma_f32 v65, v98, v74, -v65
	v_dual_mul_f32 v127, v108, v85 :: v_dual_mul_f32 v128, v110, v87
	s_delay_alu instid0(VALU_DEP_3) | instskip(SKIP_1) | instid1(VALU_DEP_3)
	v_dual_add_f32 v64, v64, v66 :: v_dual_fmac_f32 v125, v105, v80
	v_dual_fmac_f32 v120, v95, v70 :: v_dual_fmac_f32 v121, v97, v72
	v_dual_mul_f32 v66, v103, v79 :: v_dual_fmac_f32 v127, v109, v84
	v_fma_f32 v67, v100, v76, -v67
	s_delay_alu instid0(VALU_DEP_4) | instskip(SKIP_3) | instid1(VALU_DEP_4)
	v_dual_add_f32 v64, v64, v65 :: v_dual_fmac_f32 v129, v117, v112
	v_dual_mul_f32 v122, v98, v75 :: v_dual_mul_f32 v123, v100, v77
	v_dual_add_f32 v62, v62, v120 :: v_dual_mul_f32 v65, v105, v81
	v_fma_f32 v66, v102, v78, -v66
	v_add_f32_e32 v64, v64, v67
	s_delay_alu instid0(VALU_DEP_4) | instskip(NEXT) | instid1(VALU_DEP_4)
	v_dual_fmac_f32 v122, v99, v74 :: v_dual_fmac_f32 v123, v101, v76
	v_dual_add_f32 v62, v62, v121 :: v_dual_mul_f32 v67, v107, v83
	v_fma_f32 v65, v104, v80, -v65
	s_delay_alu instid0(VALU_DEP_4)
	v_add_f32_e32 v64, v64, v66
	v_fmac_f32_e32 v124, v103, v78
	v_mul_f32_e32 v66, v109, v85
	v_fma_f32 v67, v106, v82, -v67
	v_fmac_f32_e32 v126, v107, v82
	v_dual_add_f32 v64, v64, v65 :: v_dual_mul_f32 v65, v111, v87
	v_add_f32_e32 v62, v62, v122
	v_fma_f32 v66, v108, v84, -v66
	v_fmac_f32_e32 v128, v111, v86
	s_delay_alu instid0(VALU_DEP_4) | instskip(NEXT) | instid1(VALU_DEP_4)
	v_dual_add_f32 v64, v64, v67 :: v_dual_mul_f32 v67, v117, v113
	v_add_f32_e32 v62, v62, v123
	v_fma_f32 v65, v110, v86, -v65
	s_delay_alu instid0(VALU_DEP_3) | instskip(NEXT) | instid1(VALU_DEP_4)
	v_add_f32_e32 v64, v64, v66
	v_fma_f32 v66, v116, v112, -v67
	s_delay_alu instid0(VALU_DEP_4) | instskip(NEXT) | instid1(VALU_DEP_3)
	v_add_f32_e32 v62, v62, v124
	v_add_f32_e32 v64, v64, v65
	s_delay_alu instid0(VALU_DEP_2) | instskip(NEXT) | instid1(VALU_DEP_2)
	v_add_f32_e32 v62, v62, v125
	v_add_f32_e32 v64, v64, v66
	s_delay_alu instid0(VALU_DEP_2) | instskip(SKIP_1) | instid1(VALU_DEP_2)
	v_add_f32_e32 v62, v62, v126
	s_wait_loadcnt 0x0
	v_sub_f32_e32 v64, v114, v64
	s_delay_alu instid0(VALU_DEP_2) | instskip(NEXT) | instid1(VALU_DEP_1)
	v_add_f32_e32 v62, v62, v127
	v_add_f32_e32 v62, v62, v128
	s_delay_alu instid0(VALU_DEP_1) | instskip(NEXT) | instid1(VALU_DEP_1)
	v_add_f32_e32 v62, v62, v129
	v_sub_f32_e32 v65, v115, v62
	scratch_store_b64 off, v[64:65], off offset:128
	v_cmpx_lt_u32_e32 15, v0
	s_cbranch_execz .LBB93_163
; %bb.162:
	scratch_load_b64 v[64:65], off, off offset:120
	v_mov_b32_e32 v62, v61
	scratch_store_b64 off, v[61:62], off offset:120
	s_wait_loadcnt 0x0
	ds_store_b64 v63, v[64:65]
.LBB93_163:
	s_wait_alu 0xfffe
	s_or_b32 exec_lo, exec_lo, s0
	s_wait_storecnt_dscnt 0x0
	s_barrier_signal -1
	s_barrier_wait -1
	global_inv scope:SCOPE_SE
	s_clause 0x7
	scratch_load_b128 v[64:67], off, off offset:128
	scratch_load_b128 v[68:71], off, off offset:144
	;; [unrolled: 1-line block ×7, first 2 shown]
	scratch_load_b64 v[120:121], off, off offset:120
	ds_load_b128 v[92:95], v61 offset:368
	ds_load_b128 v[96:99], v61 offset:384
	;; [unrolled: 1-line block ×7, first 2 shown]
	s_mov_b32 s0, exec_lo
	s_wait_loadcnt_dscnt 0x706
	v_dual_mul_f32 v61, v92, v65 :: v_dual_mul_f32 v62, v94, v67
	v_mul_f32_e32 v65, v93, v65
	s_wait_loadcnt_dscnt 0x605
	v_dual_mul_f32 v67, v95, v67 :: v_dual_mul_f32 v122, v96, v69
	s_delay_alu instid0(VALU_DEP_3) | instskip(NEXT) | instid1(VALU_DEP_3)
	v_dual_mul_f32 v123, v98, v71 :: v_dual_fmac_f32 v62, v95, v66
	v_fma_f32 v65, v92, v64, -v65
	v_fmac_f32_e32 v61, v93, v64
	v_mul_f32_e32 v64, v97, v69
	v_fma_f32 v66, v94, v66, -v67
	v_mul_f32_e32 v67, v99, v71
	v_dual_add_f32 v65, 0, v65 :: v_dual_fmac_f32 v122, v97, v68
	s_delay_alu instid0(VALU_DEP_4) | instskip(SKIP_2) | instid1(VALU_DEP_3)
	v_fma_f32 v64, v96, v68, -v64
	s_wait_loadcnt_dscnt 0x504
	v_dual_mul_f32 v124, v100, v73 :: v_dual_mul_f32 v125, v102, v75
	v_add_f32_e32 v65, v65, v66
	v_fmac_f32_e32 v123, v99, v70
	v_fma_f32 v66, v98, v70, -v67
	s_wait_loadcnt_dscnt 0x403
	v_dual_mul_f32 v126, v104, v77 :: v_dual_mul_f32 v127, v106, v79
	v_dual_add_f32 v64, v65, v64 :: v_dual_mul_f32 v65, v103, v75
	v_fmac_f32_e32 v124, v101, v72
	s_wait_loadcnt_dscnt 0x302
	v_dual_mul_f32 v128, v108, v81 :: v_dual_mul_f32 v129, v110, v83
	s_delay_alu instid0(VALU_DEP_3) | instskip(SKIP_3) | instid1(VALU_DEP_4)
	v_dual_add_f32 v64, v64, v66 :: v_dual_add_f32 v61, 0, v61
	v_mul_f32_e32 v66, v105, v77
	v_fma_f32 v65, v102, v74, -v65
	v_dual_fmac_f32 v125, v103, v74 :: v_dual_fmac_f32 v126, v105, v76
	v_add_f32_e32 v61, v61, v62
	v_mul_f32_e32 v62, v101, v73
	v_fma_f32 v66, v104, v76, -v66
	v_dual_fmac_f32 v127, v107, v78 :: v_dual_fmac_f32 v128, v109, v80
	s_wait_loadcnt_dscnt 0x201
	v_dual_mul_f32 v130, v112, v85 :: v_dual_mul_f32 v131, v114, v87
	v_fma_f32 v62, v100, v72, -v62
	s_wait_loadcnt_dscnt 0x100
	v_dual_mul_f32 v132, v116, v89 :: v_dual_mul_f32 v133, v118, v91
	s_delay_alu instid0(VALU_DEP_3) | instskip(NEXT) | instid1(VALU_DEP_3)
	v_dual_fmac_f32 v129, v111, v82 :: v_dual_fmac_f32 v130, v113, v84
	v_add_f32_e32 v62, v64, v62
	v_mul_f32_e32 v64, v107, v79
	s_delay_alu instid0(VALU_DEP_4) | instskip(NEXT) | instid1(VALU_DEP_3)
	v_dual_fmac_f32 v132, v117, v88 :: v_dual_fmac_f32 v133, v119, v90
	v_dual_fmac_f32 v131, v115, v86 :: v_dual_add_f32 v62, v62, v65
	v_add_f32_e32 v61, v61, v122
	v_mul_f32_e32 v65, v109, v81
	v_fma_f32 v64, v106, v78, -v64
	s_delay_alu instid0(VALU_DEP_4) | instskip(SKIP_3) | instid1(VALU_DEP_4)
	v_add_f32_e32 v62, v62, v66
	v_mul_f32_e32 v66, v111, v83
	v_add_f32_e32 v61, v61, v123
	v_fma_f32 v65, v108, v80, -v65
	v_add_f32_e32 v62, v62, v64
	v_mul_f32_e32 v64, v113, v85
	s_delay_alu instid0(VALU_DEP_4) | instskip(SKIP_1) | instid1(VALU_DEP_4)
	v_add_f32_e32 v61, v61, v124
	v_fma_f32 v66, v110, v82, -v66
	v_dual_add_f32 v62, v62, v65 :: v_dual_mul_f32 v65, v115, v87
	s_delay_alu instid0(VALU_DEP_3) | instskip(SKIP_1) | instid1(VALU_DEP_3)
	v_add_f32_e32 v61, v61, v125
	v_fma_f32 v64, v112, v84, -v64
	v_add_f32_e32 v62, v62, v66
	s_delay_alu instid0(VALU_DEP_4) | instskip(NEXT) | instid1(VALU_DEP_4)
	v_fma_f32 v65, v114, v86, -v65
	v_add_f32_e32 v61, v61, v126
	v_mul_f32_e32 v66, v117, v89
	s_delay_alu instid0(VALU_DEP_4) | instskip(SKIP_1) | instid1(VALU_DEP_4)
	v_add_f32_e32 v62, v62, v64
	v_mul_f32_e32 v64, v119, v91
	v_add_f32_e32 v61, v61, v127
	s_delay_alu instid0(VALU_DEP_4) | instskip(NEXT) | instid1(VALU_DEP_4)
	v_fma_f32 v66, v116, v88, -v66
	v_add_f32_e32 v62, v62, v65
	s_delay_alu instid0(VALU_DEP_4) | instskip(NEXT) | instid1(VALU_DEP_2)
	v_fma_f32 v64, v118, v90, -v64
	v_dual_add_f32 v61, v61, v128 :: v_dual_add_f32 v62, v62, v66
	s_delay_alu instid0(VALU_DEP_1) | instskip(NEXT) | instid1(VALU_DEP_1)
	v_dual_add_f32 v61, v61, v129 :: v_dual_add_f32 v62, v62, v64
	v_add_f32_e32 v61, v61, v130
	s_delay_alu instid0(VALU_DEP_1) | instskip(NEXT) | instid1(VALU_DEP_1)
	v_add_f32_e32 v61, v61, v131
	v_add_f32_e32 v61, v61, v132
	s_wait_loadcnt 0x0
	s_delay_alu instid0(VALU_DEP_1) | instskip(NEXT) | instid1(VALU_DEP_1)
	v_dual_add_f32 v64, v61, v133 :: v_dual_sub_f32 v61, v120, v62
	v_sub_f32_e32 v62, v121, v64
	scratch_store_b64 off, v[61:62], off offset:120
	v_cmpx_lt_u32_e32 14, v0
	s_cbranch_execz .LBB93_165
; %bb.164:
	scratch_load_b64 v[61:62], off, off offset:112
	v_mov_b32_e32 v64, 0
	s_delay_alu instid0(VALU_DEP_1)
	v_mov_b32_e32 v65, v64
	scratch_store_b64 off, v[64:65], off offset:112
	s_wait_loadcnt 0x0
	ds_store_b64 v63, v[61:62]
.LBB93_165:
	s_wait_alu 0xfffe
	s_or_b32 exec_lo, exec_lo, s0
	s_wait_storecnt_dscnt 0x0
	s_barrier_signal -1
	s_barrier_wait -1
	global_inv scope:SCOPE_SE
	s_clause 0x8
	scratch_load_b128 v[64:67], off, off offset:120
	scratch_load_b128 v[68:71], off, off offset:136
	;; [unrolled: 1-line block ×7, first 2 shown]
	scratch_load_b64 v[120:121], off, off offset:232
	scratch_load_b64 v[122:123], off, off offset:112
	v_mov_b32_e32 v61, 0
	ds_load_2addr_b64 v[92:95], v61 offset0:45 offset1:46
	ds_load_2addr_b64 v[96:99], v61 offset0:47 offset1:48
	;; [unrolled: 1-line block ×7, first 2 shown]
	ds_load_b64 v[124:125], v61 offset:472
	s_mov_b32 s0, exec_lo
	s_wait_loadcnt_dscnt 0x807
	v_mul_f32_e32 v62, v92, v65
	v_dual_mul_f32 v65, v93, v65 :: v_dual_mul_f32 v126, v94, v67
	s_wait_loadcnt_dscnt 0x706
	v_mul_f32_e32 v127, v96, v69
	v_mul_f32_e32 v67, v95, v67
	s_wait_loadcnt_dscnt 0x302
	v_mul_f32_e32 v136, v114, v87
	v_fma_f32 v65, v92, v64, -v65
	s_wait_loadcnt_dscnt 0x100
	v_dual_mul_f32 v139, v124, v121 :: v_dual_fmac_f32 v62, v93, v64
	v_mul_f32_e32 v64, v97, v69
	s_delay_alu instid0(VALU_DEP_3) | instskip(SKIP_1) | instid1(VALU_DEP_4)
	v_dual_fmac_f32 v126, v95, v66 :: v_dual_add_f32 v65, 0, v65
	v_fma_f32 v66, v94, v66, -v67
	v_dual_add_f32 v62, 0, v62 :: v_dual_mul_f32 v67, v99, v71
	v_fmac_f32_e32 v127, v97, v68
	v_fma_f32 v64, v96, v68, -v64
	v_dual_mul_f32 v128, v98, v71 :: v_dual_mul_f32 v129, v100, v73
	s_delay_alu instid0(VALU_DEP_4)
	v_add_f32_e32 v62, v62, v126
	v_add_f32_e32 v65, v65, v66
	v_mul_f32_e32 v66, v101, v73
	v_fma_f32 v67, v98, v70, -v67
	v_dual_mul_f32 v132, v106, v79 :: v_dual_mul_f32 v133, v108, v81
	v_add_f32_e32 v62, v62, v127
	v_dual_add_f32 v64, v65, v64 :: v_dual_mul_f32 v65, v103, v75
	v_fma_f32 v66, v100, v72, -v66
	v_dual_mul_f32 v134, v110, v83 :: v_dual_mul_f32 v135, v112, v85
	s_delay_alu instid0(VALU_DEP_3) | instskip(NEXT) | instid1(VALU_DEP_4)
	v_dual_add_f32 v64, v64, v67 :: v_dual_mul_f32 v67, v105, v77
	v_fma_f32 v65, v102, v74, -v65
	v_dual_mul_f32 v137, v116, v89 :: v_dual_mul_f32 v138, v118, v91
	s_delay_alu instid0(VALU_DEP_3) | instskip(SKIP_3) | instid1(VALU_DEP_4)
	v_dual_add_f32 v64, v64, v66 :: v_dual_fmac_f32 v133, v109, v80
	v_dual_fmac_f32 v128, v99, v70 :: v_dual_fmac_f32 v129, v101, v72
	v_dual_mul_f32 v66, v107, v79 :: v_dual_fmac_f32 v135, v113, v84
	v_fma_f32 v67, v104, v76, -v67
	v_dual_add_f32 v64, v64, v65 :: v_dual_fmac_f32 v137, v117, v88
	s_delay_alu instid0(VALU_DEP_4) | instskip(NEXT) | instid1(VALU_DEP_4)
	v_dual_add_f32 v62, v62, v128 :: v_dual_mul_f32 v65, v109, v81
	v_fma_f32 v66, v106, v78, -v66
	s_delay_alu instid0(VALU_DEP_3) | instskip(SKIP_3) | instid1(VALU_DEP_4)
	v_dual_add_f32 v64, v64, v67 :: v_dual_fmac_f32 v139, v125, v120
	v_dual_mul_f32 v130, v102, v75 :: v_dual_mul_f32 v131, v104, v77
	v_mul_f32_e32 v67, v111, v83
	v_fma_f32 v65, v108, v80, -v65
	v_add_f32_e32 v64, v64, v66
	s_delay_alu instid0(VALU_DEP_4) | instskip(SKIP_4) | instid1(VALU_DEP_4)
	v_dual_fmac_f32 v130, v103, v74 :: v_dual_fmac_f32 v131, v105, v76
	v_add_f32_e32 v62, v62, v129
	v_mul_f32_e32 v66, v113, v85
	v_fma_f32 v67, v110, v82, -v67
	v_dual_add_f32 v64, v64, v65 :: v_dual_mul_f32 v65, v115, v87
	v_add_f32_e32 v62, v62, v130
	s_delay_alu instid0(VALU_DEP_4) | instskip(SKIP_1) | instid1(VALU_DEP_4)
	v_fma_f32 v66, v112, v84, -v66
	v_fmac_f32_e32 v132, v107, v78
	v_dual_add_f32 v64, v64, v67 :: v_dual_mul_f32 v67, v117, v89
	s_delay_alu instid0(VALU_DEP_4) | instskip(SKIP_2) | instid1(VALU_DEP_4)
	v_add_f32_e32 v62, v62, v131
	v_fma_f32 v65, v114, v86, -v65
	v_fmac_f32_e32 v134, v111, v82
	v_add_f32_e32 v64, v64, v66
	v_fmac_f32_e32 v136, v115, v86
	v_mul_f32_e32 v66, v119, v91
	v_fma_f32 v67, v116, v88, -v67
	v_fmac_f32_e32 v138, v119, v90
	v_add_f32_e32 v64, v64, v65
	v_dual_mul_f32 v65, v125, v121 :: v_dual_add_f32 v62, v62, v132
	v_fma_f32 v66, v118, v90, -v66
	s_delay_alu instid0(VALU_DEP_3) | instskip(NEXT) | instid1(VALU_DEP_3)
	v_add_f32_e32 v64, v64, v67
	v_fma_f32 v65, v124, v120, -v65
	s_delay_alu instid0(VALU_DEP_4) | instskip(NEXT) | instid1(VALU_DEP_3)
	v_add_f32_e32 v62, v62, v133
	v_add_f32_e32 v64, v64, v66
	s_delay_alu instid0(VALU_DEP_2) | instskip(NEXT) | instid1(VALU_DEP_2)
	v_add_f32_e32 v62, v62, v134
	v_add_f32_e32 v64, v64, v65
	s_delay_alu instid0(VALU_DEP_2) | instskip(SKIP_1) | instid1(VALU_DEP_2)
	v_add_f32_e32 v62, v62, v135
	s_wait_loadcnt 0x0
	v_sub_f32_e32 v64, v122, v64
	s_delay_alu instid0(VALU_DEP_2) | instskip(NEXT) | instid1(VALU_DEP_1)
	v_add_f32_e32 v62, v62, v136
	v_add_f32_e32 v62, v62, v137
	s_delay_alu instid0(VALU_DEP_1) | instskip(NEXT) | instid1(VALU_DEP_1)
	v_add_f32_e32 v62, v62, v138
	v_add_f32_e32 v62, v62, v139
	s_delay_alu instid0(VALU_DEP_1)
	v_sub_f32_e32 v65, v123, v62
	scratch_store_b64 off, v[64:65], off offset:112
	v_cmpx_lt_u32_e32 13, v0
	s_cbranch_execz .LBB93_167
; %bb.166:
	scratch_load_b64 v[64:65], off, off offset:104
	v_mov_b32_e32 v62, v61
	scratch_store_b64 off, v[61:62], off offset:104
	s_wait_loadcnt 0x0
	ds_store_b64 v63, v[64:65]
.LBB93_167:
	s_wait_alu 0xfffe
	s_or_b32 exec_lo, exec_lo, s0
	s_wait_storecnt_dscnt 0x0
	s_barrier_signal -1
	s_barrier_wait -1
	global_inv scope:SCOPE_SE
	s_clause 0x8
	scratch_load_b128 v[64:67], off, off offset:112
	scratch_load_b128 v[68:71], off, off offset:128
	;; [unrolled: 1-line block ×8, first 2 shown]
	scratch_load_b64 v[128:129], off, off offset:104
	ds_load_b128 v[96:99], v61 offset:352
	ds_load_b128 v[100:103], v61 offset:368
	ds_load_b128 v[104:107], v61 offset:384
	ds_load_b128 v[108:111], v61 offset:400
	ds_load_b128 v[112:115], v61 offset:416
	ds_load_b128 v[116:119], v61 offset:432
	ds_load_b128 v[120:123], v61 offset:448
	ds_load_b128 v[124:127], v61 offset:464
	s_mov_b32 s0, exec_lo
	s_wait_loadcnt_dscnt 0x807
	v_dual_mul_f32 v61, v96, v65 :: v_dual_mul_f32 v62, v98, v67
	v_mul_f32_e32 v65, v97, v65
	s_wait_loadcnt_dscnt 0x706
	v_dual_mul_f32 v67, v99, v67 :: v_dual_mul_f32 v130, v100, v69
	s_delay_alu instid0(VALU_DEP_3) | instskip(NEXT) | instid1(VALU_DEP_3)
	v_dual_mul_f32 v131, v102, v71 :: v_dual_fmac_f32 v62, v99, v66
	v_fma_f32 v65, v96, v64, -v65
	v_fmac_f32_e32 v61, v97, v64
	v_mul_f32_e32 v64, v101, v69
	v_fma_f32 v66, v98, v66, -v67
	v_mul_f32_e32 v67, v103, v71
	v_dual_add_f32 v65, 0, v65 :: v_dual_fmac_f32 v130, v101, v68
	s_delay_alu instid0(VALU_DEP_4) | instskip(SKIP_2) | instid1(VALU_DEP_3)
	v_fma_f32 v64, v100, v68, -v64
	s_wait_loadcnt_dscnt 0x605
	v_dual_mul_f32 v132, v104, v73 :: v_dual_mul_f32 v133, v106, v75
	v_add_f32_e32 v65, v65, v66
	v_fmac_f32_e32 v131, v103, v70
	v_fma_f32 v66, v102, v70, -v67
	s_wait_loadcnt_dscnt 0x504
	v_dual_mul_f32 v134, v108, v77 :: v_dual_mul_f32 v135, v110, v79
	v_dual_add_f32 v64, v65, v64 :: v_dual_mul_f32 v65, v107, v75
	v_fmac_f32_e32 v132, v105, v72
	s_wait_loadcnt_dscnt 0x403
	v_dual_mul_f32 v136, v112, v81 :: v_dual_mul_f32 v137, v114, v83
	s_delay_alu instid0(VALU_DEP_3) | instskip(SKIP_3) | instid1(VALU_DEP_4)
	v_dual_add_f32 v64, v64, v66 :: v_dual_add_f32 v61, 0, v61
	v_mul_f32_e32 v66, v109, v77
	v_fma_f32 v65, v106, v74, -v65
	v_dual_fmac_f32 v133, v107, v74 :: v_dual_fmac_f32 v134, v109, v76
	v_add_f32_e32 v61, v61, v62
	v_mul_f32_e32 v62, v105, v73
	v_fma_f32 v66, v108, v76, -v66
	v_dual_fmac_f32 v135, v111, v78 :: v_dual_fmac_f32 v136, v113, v80
	s_wait_loadcnt_dscnt 0x302
	v_dual_mul_f32 v138, v116, v85 :: v_dual_mul_f32 v139, v118, v87
	v_fma_f32 v62, v104, v72, -v62
	s_wait_loadcnt_dscnt 0x201
	v_dual_mul_f32 v140, v120, v89 :: v_dual_mul_f32 v141, v122, v91
	s_wait_loadcnt_dscnt 0x100
	v_dual_mul_f32 v142, v124, v93 :: v_dual_mul_f32 v143, v126, v95
	v_add_f32_e32 v62, v64, v62
	v_mul_f32_e32 v64, v111, v79
	v_dual_fmac_f32 v140, v121, v88 :: v_dual_fmac_f32 v141, v123, v90
	s_delay_alu instid0(VALU_DEP_4) | instskip(NEXT) | instid1(VALU_DEP_4)
	v_dual_fmac_f32 v142, v125, v92 :: v_dual_fmac_f32 v143, v127, v94
	v_dual_add_f32 v62, v62, v65 :: v_dual_add_f32 v61, v61, v130
	v_mul_f32_e32 v65, v113, v81
	v_fma_f32 v64, v110, v78, -v64
	v_fmac_f32_e32 v137, v115, v82
	s_delay_alu instid0(VALU_DEP_4)
	v_add_f32_e32 v62, v62, v66
	v_mul_f32_e32 v66, v115, v83
	v_add_f32_e32 v61, v61, v131
	v_fma_f32 v65, v112, v80, -v65
	v_fmac_f32_e32 v138, v117, v84
	v_add_f32_e32 v62, v62, v64
	v_mul_f32_e32 v64, v117, v85
	v_add_f32_e32 v61, v61, v132
	v_fma_f32 v66, v114, v82, -v66
	s_delay_alu instid0(VALU_DEP_4) | instskip(SKIP_1) | instid1(VALU_DEP_4)
	v_dual_fmac_f32 v139, v119, v86 :: v_dual_add_f32 v62, v62, v65
	v_mul_f32_e32 v65, v119, v87
	v_add_f32_e32 v61, v61, v133
	v_fma_f32 v64, v116, v84, -v64
	s_delay_alu instid0(VALU_DEP_4) | instskip(NEXT) | instid1(VALU_DEP_4)
	v_add_f32_e32 v62, v62, v66
	v_fma_f32 v65, v118, v86, -v65
	s_delay_alu instid0(VALU_DEP_4) | instskip(SKIP_1) | instid1(VALU_DEP_4)
	v_add_f32_e32 v61, v61, v134
	v_mul_f32_e32 v66, v121, v89
	v_add_f32_e32 v62, v62, v64
	v_mul_f32_e32 v64, v123, v91
	s_delay_alu instid0(VALU_DEP_4) | instskip(NEXT) | instid1(VALU_DEP_4)
	v_add_f32_e32 v61, v61, v135
	v_fma_f32 v66, v120, v88, -v66
	s_delay_alu instid0(VALU_DEP_4) | instskip(SKIP_1) | instid1(VALU_DEP_4)
	v_add_f32_e32 v62, v62, v65
	v_mul_f32_e32 v65, v125, v93
	v_add_f32_e32 v61, v61, v136
	v_fma_f32 v64, v122, v90, -v64
	s_delay_alu instid0(VALU_DEP_4) | instskip(NEXT) | instid1(VALU_DEP_3)
	v_add_f32_e32 v62, v62, v66
	v_dual_mul_f32 v66, v127, v95 :: v_dual_add_f32 v61, v61, v137
	v_fma_f32 v65, v124, v92, -v65
	s_delay_alu instid0(VALU_DEP_3) | instskip(NEXT) | instid1(VALU_DEP_3)
	v_add_f32_e32 v62, v62, v64
	v_fma_f32 v64, v126, v94, -v66
	s_delay_alu instid0(VALU_DEP_2) | instskip(NEXT) | instid1(VALU_DEP_1)
	v_dual_add_f32 v61, v61, v138 :: v_dual_add_f32 v62, v62, v65
	v_dual_add_f32 v61, v61, v139 :: v_dual_add_f32 v62, v62, v64
	s_delay_alu instid0(VALU_DEP_1) | instskip(NEXT) | instid1(VALU_DEP_1)
	v_add_f32_e32 v61, v61, v140
	v_add_f32_e32 v61, v61, v141
	s_delay_alu instid0(VALU_DEP_1) | instskip(SKIP_1) | instid1(VALU_DEP_1)
	v_add_f32_e32 v61, v61, v142
	s_wait_loadcnt 0x0
	v_dual_add_f32 v64, v61, v143 :: v_dual_sub_f32 v61, v128, v62
	s_delay_alu instid0(VALU_DEP_1)
	v_sub_f32_e32 v62, v129, v64
	scratch_store_b64 off, v[61:62], off offset:104
	v_cmpx_lt_u32_e32 12, v0
	s_cbranch_execz .LBB93_169
; %bb.168:
	scratch_load_b64 v[61:62], off, off offset:96
	v_mov_b32_e32 v64, 0
	s_delay_alu instid0(VALU_DEP_1)
	v_mov_b32_e32 v65, v64
	scratch_store_b64 off, v[64:65], off offset:96
	s_wait_loadcnt 0x0
	ds_store_b64 v63, v[61:62]
.LBB93_169:
	s_wait_alu 0xfffe
	s_or_b32 exec_lo, exec_lo, s0
	s_wait_storecnt_dscnt 0x0
	s_barrier_signal -1
	s_barrier_wait -1
	global_inv scope:SCOPE_SE
	s_clause 0x9
	scratch_load_b128 v[64:67], off, off offset:104
	scratch_load_b128 v[68:71], off, off offset:120
	;; [unrolled: 1-line block ×8, first 2 shown]
	scratch_load_b64 v[128:129], off, off offset:232
	scratch_load_b64 v[130:131], off, off offset:96
	v_mov_b32_e32 v61, 0
	ds_load_2addr_b64 v[96:99], v61 offset0:43 offset1:44
	ds_load_2addr_b64 v[100:103], v61 offset0:45 offset1:46
	;; [unrolled: 1-line block ×8, first 2 shown]
	ds_load_b64 v[132:133], v61 offset:472
	s_mov_b32 s0, exec_lo
	s_wait_loadcnt_dscnt 0x908
	v_mul_f32_e32 v62, v96, v65
	s_wait_loadcnt_dscnt 0x807
	v_dual_mul_f32 v134, v98, v67 :: v_dual_mul_f32 v135, v100, v69
	v_mul_f32_e32 v65, v97, v65
	s_delay_alu instid0(VALU_DEP_3)
	v_dual_mul_f32 v67, v99, v67 :: v_dual_fmac_f32 v62, v97, v64
	s_wait_loadcnt_dscnt 0x302
	v_mul_f32_e32 v146, v122, v91
	v_dual_mul_f32 v136, v102, v71 :: v_dual_mul_f32 v137, v104, v73
	s_wait_loadcnt_dscnt 0x100
	v_mul_f32_e32 v149, v132, v129
	v_fma_f32 v65, v96, v64, -v65
	v_mul_f32_e32 v64, v101, v69
	v_fmac_f32_e32 v134, v99, v66
	v_fma_f32 v66, v98, v66, -v67
	v_dual_add_f32 v62, 0, v62 :: v_dual_mul_f32 v67, v103, v71
	v_add_f32_e32 v65, 0, v65
	v_fmac_f32_e32 v135, v101, v68
	v_fma_f32 v64, v100, v68, -v64
	s_delay_alu instid0(VALU_DEP_4)
	v_add_f32_e32 v62, v62, v134
	v_fma_f32 v67, v102, v70, -v67
	v_add_f32_e32 v65, v65, v66
	v_mul_f32_e32 v66, v105, v73
	v_dual_mul_f32 v140, v110, v79 :: v_dual_mul_f32 v141, v112, v81
	v_add_f32_e32 v62, v62, v135
	s_delay_alu instid0(VALU_DEP_4) | instskip(NEXT) | instid1(VALU_DEP_4)
	v_dual_add_f32 v64, v65, v64 :: v_dual_mul_f32 v65, v107, v75
	v_fma_f32 v66, v104, v72, -v66
	v_dual_mul_f32 v142, v114, v83 :: v_dual_mul_f32 v143, v116, v85
	s_delay_alu instid0(VALU_DEP_3) | instskip(NEXT) | instid1(VALU_DEP_4)
	v_dual_add_f32 v64, v64, v67 :: v_dual_mul_f32 v67, v109, v77
	v_fma_f32 v65, v106, v74, -v65
	v_dual_mul_f32 v144, v118, v87 :: v_dual_mul_f32 v145, v120, v89
	s_delay_alu instid0(VALU_DEP_3) | instskip(SKIP_3) | instid1(VALU_DEP_4)
	v_dual_add_f32 v64, v64, v66 :: v_dual_fmac_f32 v141, v113, v80
	v_dual_fmac_f32 v136, v103, v70 :: v_dual_fmac_f32 v137, v105, v72
	v_dual_mul_f32 v66, v111, v79 :: v_dual_fmac_f32 v143, v117, v84
	v_fma_f32 v67, v108, v76, -v67
	v_dual_add_f32 v64, v64, v65 :: v_dual_fmac_f32 v145, v121, v88
	v_dual_mul_f32 v147, v124, v93 :: v_dual_mul_f32 v148, v126, v95
	v_dual_add_f32 v62, v62, v136 :: v_dual_mul_f32 v65, v113, v81
	v_fma_f32 v66, v110, v78, -v66
	s_delay_alu instid0(VALU_DEP_3) | instskip(SKIP_3) | instid1(VALU_DEP_4)
	v_dual_add_f32 v64, v64, v67 :: v_dual_fmac_f32 v147, v125, v92
	v_dual_mul_f32 v138, v106, v75 :: v_dual_mul_f32 v139, v108, v77
	v_mul_f32_e32 v67, v115, v83
	v_fma_f32 v65, v112, v80, -v65
	v_add_f32_e32 v64, v64, v66
	s_delay_alu instid0(VALU_DEP_4) | instskip(SKIP_4) | instid1(VALU_DEP_4)
	v_dual_fmac_f32 v138, v107, v74 :: v_dual_fmac_f32 v139, v109, v76
	v_add_f32_e32 v62, v62, v137
	v_mul_f32_e32 v66, v117, v85
	v_fma_f32 v67, v114, v82, -v67
	v_dual_add_f32 v64, v64, v65 :: v_dual_mul_f32 v65, v119, v87
	v_add_f32_e32 v62, v62, v138
	s_delay_alu instid0(VALU_DEP_4) | instskip(SKIP_1) | instid1(VALU_DEP_4)
	v_fma_f32 v66, v116, v84, -v66
	v_fmac_f32_e32 v140, v111, v78
	v_dual_add_f32 v64, v64, v67 :: v_dual_mul_f32 v67, v121, v89
	s_delay_alu instid0(VALU_DEP_4) | instskip(SKIP_1) | instid1(VALU_DEP_3)
	v_dual_add_f32 v62, v62, v139 :: v_dual_fmac_f32 v149, v133, v128
	v_fma_f32 v65, v118, v86, -v65
	v_add_f32_e32 v64, v64, v66
	v_fmac_f32_e32 v142, v115, v82
	v_fmac_f32_e32 v144, v119, v86
	v_mul_f32_e32 v66, v123, v91
	v_fma_f32 v67, v120, v88, -v67
	v_add_f32_e32 v64, v64, v65
	v_dual_mul_f32 v65, v125, v93 :: v_dual_add_f32 v62, v62, v140
	v_fmac_f32_e32 v146, v123, v90
	v_fma_f32 v66, v122, v90, -v66
	s_delay_alu instid0(VALU_DEP_4) | instskip(NEXT) | instid1(VALU_DEP_4)
	v_add_f32_e32 v64, v64, v67
	v_dual_mul_f32 v67, v127, v95 :: v_dual_add_f32 v62, v62, v141
	v_fma_f32 v65, v124, v92, -v65
	v_fmac_f32_e32 v148, v127, v94
	s_delay_alu instid0(VALU_DEP_4) | instskip(SKIP_3) | instid1(VALU_DEP_4)
	v_add_f32_e32 v64, v64, v66
	v_mul_f32_e32 v66, v133, v129
	v_add_f32_e32 v62, v62, v142
	v_fma_f32 v67, v126, v94, -v67
	v_add_f32_e32 v64, v64, v65
	s_delay_alu instid0(VALU_DEP_4) | instskip(NEXT) | instid1(VALU_DEP_4)
	v_fma_f32 v65, v132, v128, -v66
	v_add_f32_e32 v62, v62, v143
	s_delay_alu instid0(VALU_DEP_3) | instskip(NEXT) | instid1(VALU_DEP_2)
	v_add_f32_e32 v64, v64, v67
	v_add_f32_e32 v62, v62, v144
	s_delay_alu instid0(VALU_DEP_2) | instskip(NEXT) | instid1(VALU_DEP_2)
	v_add_f32_e32 v64, v64, v65
	v_add_f32_e32 v62, v62, v145
	s_wait_loadcnt 0x0
	s_delay_alu instid0(VALU_DEP_2) | instskip(NEXT) | instid1(VALU_DEP_2)
	v_sub_f32_e32 v64, v130, v64
	v_add_f32_e32 v62, v62, v146
	s_delay_alu instid0(VALU_DEP_1) | instskip(NEXT) | instid1(VALU_DEP_1)
	v_add_f32_e32 v62, v62, v147
	v_add_f32_e32 v62, v62, v148
	s_delay_alu instid0(VALU_DEP_1) | instskip(NEXT) | instid1(VALU_DEP_1)
	v_add_f32_e32 v62, v62, v149
	v_sub_f32_e32 v65, v131, v62
	scratch_store_b64 off, v[64:65], off offset:96
	v_cmpx_lt_u32_e32 11, v0
	s_cbranch_execz .LBB93_171
; %bb.170:
	scratch_load_b64 v[64:65], off, off offset:88
	v_mov_b32_e32 v62, v61
	scratch_store_b64 off, v[61:62], off offset:88
	s_wait_loadcnt 0x0
	ds_store_b64 v63, v[64:65]
.LBB93_171:
	s_wait_alu 0xfffe
	s_or_b32 exec_lo, exec_lo, s0
	s_wait_storecnt_dscnt 0x0
	s_barrier_signal -1
	s_barrier_wait -1
	global_inv scope:SCOPE_SE
	s_clause 0x9
	scratch_load_b128 v[64:67], off, off offset:96
	scratch_load_b128 v[68:71], off, off offset:112
	;; [unrolled: 1-line block ×9, first 2 shown]
	scratch_load_b64 v[136:137], off, off offset:88
	ds_load_b128 v[100:103], v61 offset:336
	ds_load_b128 v[104:107], v61 offset:352
	;; [unrolled: 1-line block ×9, first 2 shown]
	s_mov_b32 s0, exec_lo
	s_wait_loadcnt_dscnt 0x908
	v_dual_mul_f32 v61, v100, v65 :: v_dual_mul_f32 v62, v102, v67
	v_mul_f32_e32 v65, v101, v65
	s_wait_loadcnt_dscnt 0x807
	v_dual_mul_f32 v67, v103, v67 :: v_dual_mul_f32 v138, v104, v69
	s_delay_alu instid0(VALU_DEP_3) | instskip(NEXT) | instid1(VALU_DEP_3)
	v_dual_mul_f32 v139, v106, v71 :: v_dual_fmac_f32 v62, v103, v66
	v_fma_f32 v65, v100, v64, -v65
	v_fmac_f32_e32 v61, v101, v64
	v_mul_f32_e32 v64, v105, v69
	v_fma_f32 v66, v102, v66, -v67
	v_mul_f32_e32 v67, v107, v71
	v_dual_add_f32 v65, 0, v65 :: v_dual_fmac_f32 v138, v105, v68
	s_delay_alu instid0(VALU_DEP_4) | instskip(SKIP_2) | instid1(VALU_DEP_3)
	v_fma_f32 v64, v104, v68, -v64
	s_wait_loadcnt_dscnt 0x706
	v_dual_mul_f32 v140, v108, v73 :: v_dual_mul_f32 v141, v110, v75
	v_add_f32_e32 v65, v65, v66
	v_fmac_f32_e32 v139, v107, v70
	v_fma_f32 v66, v106, v70, -v67
	s_wait_loadcnt_dscnt 0x605
	v_dual_mul_f32 v142, v112, v77 :: v_dual_mul_f32 v143, v114, v79
	v_dual_add_f32 v64, v65, v64 :: v_dual_mul_f32 v65, v111, v75
	v_fmac_f32_e32 v140, v109, v72
	s_wait_loadcnt_dscnt 0x504
	v_dual_mul_f32 v144, v116, v81 :: v_dual_mul_f32 v145, v118, v83
	s_delay_alu instid0(VALU_DEP_3) | instskip(SKIP_3) | instid1(VALU_DEP_4)
	v_dual_add_f32 v64, v64, v66 :: v_dual_add_f32 v61, 0, v61
	v_mul_f32_e32 v66, v113, v77
	v_fma_f32 v65, v110, v74, -v65
	v_dual_fmac_f32 v141, v111, v74 :: v_dual_fmac_f32 v142, v113, v76
	v_add_f32_e32 v61, v61, v62
	v_mul_f32_e32 v62, v109, v73
	v_fma_f32 v66, v112, v76, -v66
	v_dual_fmac_f32 v143, v115, v78 :: v_dual_fmac_f32 v144, v117, v80
	s_wait_loadcnt_dscnt 0x403
	v_dual_mul_f32 v146, v120, v85 :: v_dual_mul_f32 v147, v122, v87
	v_fma_f32 v62, v108, v72, -v62
	s_wait_loadcnt_dscnt 0x302
	v_dual_mul_f32 v148, v124, v89 :: v_dual_mul_f32 v149, v126, v91
	s_wait_loadcnt_dscnt 0x201
	v_dual_mul_f32 v150, v128, v93 :: v_dual_mul_f32 v151, v130, v95
	v_add_f32_e32 v62, v64, v62
	v_mul_f32_e32 v64, v115, v79
	v_dual_fmac_f32 v148, v125, v88 :: v_dual_fmac_f32 v149, v127, v90
	s_delay_alu instid0(VALU_DEP_4) | instskip(NEXT) | instid1(VALU_DEP_4)
	v_dual_fmac_f32 v150, v129, v92 :: v_dual_fmac_f32 v151, v131, v94
	v_dual_add_f32 v62, v62, v65 :: v_dual_add_f32 v61, v61, v138
	v_mul_f32_e32 v65, v117, v81
	v_fma_f32 v64, v114, v78, -v64
	v_fmac_f32_e32 v145, v119, v82
	s_delay_alu instid0(VALU_DEP_4)
	v_add_f32_e32 v62, v62, v66
	v_mul_f32_e32 v66, v119, v83
	v_add_f32_e32 v61, v61, v139
	v_fma_f32 v65, v116, v80, -v65
	v_fmac_f32_e32 v146, v121, v84
	v_add_f32_e32 v62, v62, v64
	v_mul_f32_e32 v64, v121, v85
	v_add_f32_e32 v61, v61, v140
	v_fma_f32 v66, v118, v82, -v66
	s_delay_alu instid0(VALU_DEP_4) | instskip(SKIP_1) | instid1(VALU_DEP_4)
	v_dual_fmac_f32 v147, v123, v86 :: v_dual_add_f32 v62, v62, v65
	v_mul_f32_e32 v65, v123, v87
	v_add_f32_e32 v61, v61, v141
	v_fma_f32 v64, v120, v84, -v64
	s_wait_loadcnt_dscnt 0x100
	v_dual_mul_f32 v152, v132, v97 :: v_dual_mul_f32 v153, v134, v99
	v_add_f32_e32 v62, v62, v66
	v_add_f32_e32 v61, v61, v142
	v_fma_f32 v65, v122, v86, -v65
	v_mul_f32_e32 v66, v125, v89
	v_dual_fmac_f32 v152, v133, v96 :: v_dual_fmac_f32 v153, v135, v98
	s_delay_alu instid0(VALU_DEP_4) | instskip(SKIP_1) | instid1(VALU_DEP_4)
	v_dual_add_f32 v62, v62, v64 :: v_dual_add_f32 v61, v61, v143
	v_mul_f32_e32 v64, v127, v91
	v_fma_f32 v66, v124, v88, -v66
	s_delay_alu instid0(VALU_DEP_3) | instskip(SKIP_1) | instid1(VALU_DEP_4)
	v_dual_add_f32 v62, v62, v65 :: v_dual_add_f32 v61, v61, v144
	v_mul_f32_e32 v65, v129, v93
	v_fma_f32 v64, v126, v90, -v64
	s_delay_alu instid0(VALU_DEP_3) | instskip(SKIP_1) | instid1(VALU_DEP_4)
	;; [unrolled: 4-line block ×4, first 2 shown]
	v_dual_add_f32 v62, v62, v65 :: v_dual_add_f32 v61, v61, v147
	v_mul_f32_e32 v65, v135, v99
	v_fma_f32 v64, v132, v96, -v64
	s_delay_alu instid0(VALU_DEP_3) | instskip(NEXT) | instid1(VALU_DEP_3)
	v_dual_add_f32 v62, v62, v66 :: v_dual_add_f32 v61, v61, v148
	v_fma_f32 v65, v134, v98, -v65
	s_delay_alu instid0(VALU_DEP_2) | instskip(NEXT) | instid1(VALU_DEP_1)
	v_dual_add_f32 v62, v62, v64 :: v_dual_add_f32 v61, v61, v149
	v_dual_add_f32 v62, v62, v65 :: v_dual_add_f32 v61, v61, v150
	s_delay_alu instid0(VALU_DEP_1) | instskip(NEXT) | instid1(VALU_DEP_1)
	v_add_f32_e32 v61, v61, v151
	v_add_f32_e32 v61, v61, v152
	s_wait_loadcnt 0x0
	s_delay_alu instid0(VALU_DEP_1) | instskip(NEXT) | instid1(VALU_DEP_1)
	v_dual_add_f32 v64, v61, v153 :: v_dual_sub_f32 v61, v136, v62
	v_sub_f32_e32 v62, v137, v64
	scratch_store_b64 off, v[61:62], off offset:88
	v_cmpx_lt_u32_e32 10, v0
	s_cbranch_execz .LBB93_173
; %bb.172:
	scratch_load_b64 v[61:62], off, off offset:80
	v_mov_b32_e32 v64, 0
	s_delay_alu instid0(VALU_DEP_1)
	v_mov_b32_e32 v65, v64
	scratch_store_b64 off, v[64:65], off offset:80
	s_wait_loadcnt 0x0
	ds_store_b64 v63, v[61:62]
.LBB93_173:
	s_wait_alu 0xfffe
	s_or_b32 exec_lo, exec_lo, s0
	s_wait_storecnt_dscnt 0x0
	s_barrier_signal -1
	s_barrier_wait -1
	global_inv scope:SCOPE_SE
	s_clause 0xa
	scratch_load_b128 v[64:67], off, off offset:88
	scratch_load_b128 v[68:71], off, off offset:104
	;; [unrolled: 1-line block ×9, first 2 shown]
	scratch_load_b64 v[136:137], off, off offset:232
	scratch_load_b64 v[138:139], off, off offset:80
	v_mov_b32_e32 v61, 0
	ds_load_2addr_b64 v[100:103], v61 offset0:41 offset1:42
	ds_load_2addr_b64 v[104:107], v61 offset0:43 offset1:44
	;; [unrolled: 1-line block ×9, first 2 shown]
	ds_load_b64 v[140:141], v61 offset:472
	s_mov_b32 s0, exec_lo
	s_wait_loadcnt_dscnt 0xa09
	v_mul_f32_e32 v62, v100, v65
	s_wait_loadcnt_dscnt 0x908
	v_dual_mul_f32 v142, v102, v67 :: v_dual_mul_f32 v143, v104, v69
	v_mul_f32_e32 v65, v101, v65
	s_delay_alu instid0(VALU_DEP_3)
	v_dual_mul_f32 v67, v103, v67 :: v_dual_fmac_f32 v62, v101, v64
	s_wait_loadcnt_dscnt 0x807
	v_dual_mul_f32 v144, v106, v71 :: v_dual_mul_f32 v145, v108, v73
	s_wait_loadcnt_dscnt 0x100
	v_dual_mul_f32 v156, v130, v95 :: v_dual_mul_f32 v159, v140, v137
	v_fma_f32 v65, v100, v64, -v65
	v_mul_f32_e32 v64, v105, v69
	v_fmac_f32_e32 v142, v103, v66
	v_fma_f32 v66, v102, v66, -v67
	v_dual_add_f32 v62, 0, v62 :: v_dual_mul_f32 v67, v107, v71
	v_add_f32_e32 v65, 0, v65
	v_fmac_f32_e32 v143, v105, v68
	v_fma_f32 v64, v104, v68, -v64
	s_delay_alu instid0(VALU_DEP_4)
	v_add_f32_e32 v62, v62, v142
	v_fma_f32 v67, v106, v70, -v67
	v_add_f32_e32 v65, v65, v66
	v_mul_f32_e32 v66, v109, v73
	v_dual_mul_f32 v148, v114, v79 :: v_dual_mul_f32 v149, v116, v81
	v_add_f32_e32 v62, v62, v143
	s_delay_alu instid0(VALU_DEP_4) | instskip(NEXT) | instid1(VALU_DEP_4)
	v_dual_add_f32 v64, v65, v64 :: v_dual_mul_f32 v65, v111, v75
	v_fma_f32 v66, v108, v72, -v66
	v_dual_mul_f32 v150, v118, v83 :: v_dual_mul_f32 v151, v120, v85
	s_delay_alu instid0(VALU_DEP_3) | instskip(NEXT) | instid1(VALU_DEP_4)
	v_dual_add_f32 v64, v64, v67 :: v_dual_mul_f32 v67, v113, v77
	v_fma_f32 v65, v110, v74, -v65
	v_dual_mul_f32 v152, v122, v87 :: v_dual_mul_f32 v153, v124, v89
	s_delay_alu instid0(VALU_DEP_3) | instskip(SKIP_3) | instid1(VALU_DEP_4)
	v_dual_add_f32 v64, v64, v66 :: v_dual_fmac_f32 v149, v117, v80
	v_dual_fmac_f32 v144, v107, v70 :: v_dual_fmac_f32 v145, v109, v72
	v_dual_mul_f32 v66, v115, v79 :: v_dual_fmac_f32 v151, v121, v84
	v_fma_f32 v67, v112, v76, -v67
	v_dual_add_f32 v64, v64, v65 :: v_dual_fmac_f32 v153, v125, v88
	v_dual_mul_f32 v154, v126, v91 :: v_dual_mul_f32 v155, v128, v93
	v_dual_add_f32 v62, v62, v144 :: v_dual_mul_f32 v65, v117, v81
	v_fma_f32 v66, v114, v78, -v66
	s_delay_alu instid0(VALU_DEP_3) | instskip(SKIP_1) | instid1(VALU_DEP_4)
	v_dual_add_f32 v64, v64, v67 :: v_dual_fmac_f32 v155, v129, v92
	v_mul_f32_e32 v67, v119, v83
	v_fma_f32 v65, v116, v80, -v65
	v_dual_mul_f32 v146, v110, v75 :: v_dual_mul_f32 v147, v112, v77
	s_delay_alu instid0(VALU_DEP_4) | instskip(SKIP_2) | instid1(VALU_DEP_4)
	v_add_f32_e32 v64, v64, v66
	v_mul_f32_e32 v66, v121, v85
	v_fma_f32 v67, v118, v82, -v67
	v_dual_fmac_f32 v146, v111, v74 :: v_dual_fmac_f32 v147, v113, v76
	s_delay_alu instid0(VALU_DEP_4) | instskip(SKIP_2) | instid1(VALU_DEP_3)
	v_dual_add_f32 v64, v64, v65 :: v_dual_fmac_f32 v159, v141, v136
	v_dual_add_f32 v62, v62, v145 :: v_dual_mul_f32 v65, v123, v87
	v_fma_f32 v66, v120, v84, -v66
	v_dual_add_f32 v64, v64, v67 :: v_dual_mul_f32 v67, v125, v89
	s_delay_alu instid0(VALU_DEP_3) | instskip(NEXT) | instid1(VALU_DEP_4)
	v_add_f32_e32 v62, v62, v146
	v_fma_f32 v65, v122, v86, -v65
	v_dual_mul_f32 v157, v132, v97 :: v_dual_mul_f32 v158, v134, v99
	s_delay_alu instid0(VALU_DEP_4)
	v_add_f32_e32 v64, v64, v66
	v_mul_f32_e32 v66, v127, v91
	v_fma_f32 v67, v124, v88, -v67
	v_fmac_f32_e32 v148, v115, v78
	v_dual_add_f32 v62, v62, v147 :: v_dual_fmac_f32 v157, v133, v96
	v_add_f32_e32 v64, v64, v65
	v_mul_f32_e32 v65, v129, v93
	v_fma_f32 v66, v126, v90, -v66
	s_delay_alu instid0(VALU_DEP_4)
	v_add_f32_e32 v62, v62, v148
	v_fmac_f32_e32 v150, v119, v82
	v_add_f32_e32 v64, v64, v67
	v_mul_f32_e32 v67, v131, v95
	v_fma_f32 v65, v128, v92, -v65
	v_fmac_f32_e32 v152, v123, v86
	v_fmac_f32_e32 v154, v127, v90
	v_add_f32_e32 v64, v64, v66
	v_fma_f32 v67, v130, v94, -v67
	v_mul_f32_e32 v66, v133, v97
	v_fmac_f32_e32 v156, v131, v94
	v_fmac_f32_e32 v158, v135, v98
	v_dual_add_f32 v64, v64, v65 :: v_dual_mul_f32 v65, v135, v99
	v_add_f32_e32 v62, v62, v149
	v_fma_f32 v66, v132, v96, -v66
	s_delay_alu instid0(VALU_DEP_3) | instskip(NEXT) | instid1(VALU_DEP_3)
	v_dual_add_f32 v64, v64, v67 :: v_dual_mul_f32 v67, v141, v137
	v_add_f32_e32 v62, v62, v150
	v_fma_f32 v65, v134, v98, -v65
	s_delay_alu instid0(VALU_DEP_3) | instskip(NEXT) | instid1(VALU_DEP_4)
	v_add_f32_e32 v64, v64, v66
	v_fma_f32 v66, v140, v136, -v67
	s_delay_alu instid0(VALU_DEP_4) | instskip(NEXT) | instid1(VALU_DEP_3)
	v_add_f32_e32 v62, v62, v151
	v_add_f32_e32 v64, v64, v65
	s_delay_alu instid0(VALU_DEP_2) | instskip(NEXT) | instid1(VALU_DEP_2)
	v_add_f32_e32 v62, v62, v152
	v_add_f32_e32 v64, v64, v66
	s_delay_alu instid0(VALU_DEP_2) | instskip(SKIP_1) | instid1(VALU_DEP_2)
	v_add_f32_e32 v62, v62, v153
	s_wait_loadcnt 0x0
	v_sub_f32_e32 v64, v138, v64
	s_delay_alu instid0(VALU_DEP_2) | instskip(NEXT) | instid1(VALU_DEP_1)
	v_add_f32_e32 v62, v62, v154
	v_add_f32_e32 v62, v62, v155
	s_delay_alu instid0(VALU_DEP_1) | instskip(NEXT) | instid1(VALU_DEP_1)
	v_add_f32_e32 v62, v62, v156
	v_add_f32_e32 v62, v62, v157
	s_delay_alu instid0(VALU_DEP_1) | instskip(NEXT) | instid1(VALU_DEP_1)
	v_add_f32_e32 v62, v62, v158
	v_add_f32_e32 v62, v62, v159
	s_delay_alu instid0(VALU_DEP_1)
	v_sub_f32_e32 v65, v139, v62
	scratch_store_b64 off, v[64:65], off offset:80
	v_cmpx_lt_u32_e32 9, v0
	s_cbranch_execz .LBB93_175
; %bb.174:
	scratch_load_b64 v[64:65], off, off offset:72
	v_mov_b32_e32 v62, v61
	scratch_store_b64 off, v[61:62], off offset:72
	s_wait_loadcnt 0x0
	ds_store_b64 v63, v[64:65]
.LBB93_175:
	s_wait_alu 0xfffe
	s_or_b32 exec_lo, exec_lo, s0
	s_wait_storecnt_dscnt 0x0
	s_barrier_signal -1
	s_barrier_wait -1
	global_inv scope:SCOPE_SE
	s_clause 0xa
	scratch_load_b128 v[64:67], off, off offset:80
	scratch_load_b128 v[68:71], off, off offset:96
	;; [unrolled: 1-line block ×10, first 2 shown]
	scratch_load_b64 v[144:145], off, off offset:72
	ds_load_b128 v[104:107], v61 offset:320
	ds_load_b128 v[108:111], v61 offset:336
	;; [unrolled: 1-line block ×10, first 2 shown]
	s_mov_b32 s0, exec_lo
	s_wait_loadcnt_dscnt 0xa09
	v_dual_mul_f32 v61, v104, v65 :: v_dual_mul_f32 v62, v106, v67
	v_mul_f32_e32 v65, v105, v65
	s_wait_loadcnt_dscnt 0x908
	v_dual_mul_f32 v67, v107, v67 :: v_dual_mul_f32 v146, v108, v69
	s_delay_alu instid0(VALU_DEP_3) | instskip(NEXT) | instid1(VALU_DEP_3)
	v_dual_mul_f32 v147, v110, v71 :: v_dual_fmac_f32 v62, v107, v66
	v_fma_f32 v65, v104, v64, -v65
	v_fmac_f32_e32 v61, v105, v64
	v_mul_f32_e32 v64, v109, v69
	v_fma_f32 v66, v106, v66, -v67
	v_mul_f32_e32 v67, v111, v71
	v_dual_add_f32 v65, 0, v65 :: v_dual_fmac_f32 v146, v109, v68
	s_delay_alu instid0(VALU_DEP_4) | instskip(SKIP_2) | instid1(VALU_DEP_3)
	v_fma_f32 v64, v108, v68, -v64
	s_wait_loadcnt_dscnt 0x807
	v_dual_mul_f32 v148, v112, v73 :: v_dual_mul_f32 v149, v114, v75
	v_add_f32_e32 v65, v65, v66
	v_fmac_f32_e32 v147, v111, v70
	v_fma_f32 v66, v110, v70, -v67
	s_wait_loadcnt_dscnt 0x706
	v_dual_mul_f32 v150, v116, v77 :: v_dual_mul_f32 v151, v118, v79
	v_dual_add_f32 v64, v65, v64 :: v_dual_mul_f32 v65, v115, v75
	v_fmac_f32_e32 v148, v113, v72
	s_wait_loadcnt_dscnt 0x605
	v_dual_mul_f32 v152, v120, v81 :: v_dual_mul_f32 v153, v122, v83
	s_delay_alu instid0(VALU_DEP_3) | instskip(SKIP_3) | instid1(VALU_DEP_4)
	v_dual_add_f32 v64, v64, v66 :: v_dual_add_f32 v61, 0, v61
	v_mul_f32_e32 v66, v117, v77
	v_fma_f32 v65, v114, v74, -v65
	v_dual_fmac_f32 v149, v115, v74 :: v_dual_fmac_f32 v150, v117, v76
	v_add_f32_e32 v61, v61, v62
	v_mul_f32_e32 v62, v113, v73
	v_fma_f32 v66, v116, v76, -v66
	v_dual_fmac_f32 v151, v119, v78 :: v_dual_fmac_f32 v152, v121, v80
	s_wait_loadcnt_dscnt 0x504
	v_dual_mul_f32 v154, v124, v85 :: v_dual_mul_f32 v155, v126, v87
	v_fma_f32 v62, v112, v72, -v62
	s_wait_loadcnt_dscnt 0x403
	v_dual_mul_f32 v156, v128, v89 :: v_dual_mul_f32 v157, v130, v91
	s_wait_loadcnt_dscnt 0x302
	v_dual_mul_f32 v158, v132, v93 :: v_dual_mul_f32 v159, v134, v95
	v_add_f32_e32 v62, v64, v62
	v_mul_f32_e32 v64, v119, v79
	v_dual_fmac_f32 v156, v129, v88 :: v_dual_fmac_f32 v157, v131, v90
	s_delay_alu instid0(VALU_DEP_4) | instskip(NEXT) | instid1(VALU_DEP_4)
	v_dual_fmac_f32 v158, v133, v92 :: v_dual_fmac_f32 v159, v135, v94
	v_dual_add_f32 v62, v62, v65 :: v_dual_add_f32 v61, v61, v146
	v_mul_f32_e32 v65, v121, v81
	v_fma_f32 v64, v118, v78, -v64
	v_fmac_f32_e32 v153, v123, v82
	s_delay_alu instid0(VALU_DEP_4)
	v_add_f32_e32 v62, v62, v66
	v_mul_f32_e32 v66, v123, v83
	v_add_f32_e32 v61, v61, v147
	v_fma_f32 v65, v120, v80, -v65
	v_fmac_f32_e32 v154, v125, v84
	v_add_f32_e32 v62, v62, v64
	v_mul_f32_e32 v64, v125, v85
	v_add_f32_e32 v61, v61, v148
	v_fma_f32 v66, v122, v82, -v66
	s_delay_alu instid0(VALU_DEP_4) | instskip(SKIP_1) | instid1(VALU_DEP_4)
	v_dual_fmac_f32 v155, v127, v86 :: v_dual_add_f32 v62, v62, v65
	v_mul_f32_e32 v65, v127, v87
	v_add_f32_e32 v61, v61, v149
	v_fma_f32 v64, v124, v84, -v64
	s_wait_loadcnt_dscnt 0x201
	v_dual_mul_f32 v160, v136, v97 :: v_dual_mul_f32 v161, v138, v99
	v_add_f32_e32 v62, v62, v66
	v_add_f32_e32 v61, v61, v150
	v_fma_f32 v65, v126, v86, -v65
	v_mul_f32_e32 v66, v129, v89
	s_wait_loadcnt_dscnt 0x100
	v_dual_mul_f32 v162, v140, v101 :: v_dual_mul_f32 v163, v142, v103
	v_dual_add_f32 v62, v62, v64 :: v_dual_add_f32 v61, v61, v151
	v_mul_f32_e32 v64, v131, v91
	v_fma_f32 v66, v128, v88, -v66
	v_dual_fmac_f32 v160, v137, v96 :: v_dual_fmac_f32 v161, v139, v98
	s_delay_alu instid0(VALU_DEP_4) | instskip(SKIP_3) | instid1(VALU_DEP_4)
	v_dual_add_f32 v62, v62, v65 :: v_dual_add_f32 v61, v61, v152
	v_mul_f32_e32 v65, v133, v93
	v_fma_f32 v64, v130, v90, -v64
	v_fmac_f32_e32 v163, v143, v102
	v_dual_add_f32 v62, v62, v66 :: v_dual_add_f32 v61, v61, v153
	v_mul_f32_e32 v66, v135, v95
	v_fma_f32 v65, v132, v92, -v65
	s_delay_alu instid0(VALU_DEP_3) | instskip(SKIP_1) | instid1(VALU_DEP_4)
	v_dual_add_f32 v62, v62, v64 :: v_dual_add_f32 v61, v61, v154
	v_mul_f32_e32 v64, v137, v97
	v_fma_f32 v66, v134, v94, -v66
	s_delay_alu instid0(VALU_DEP_3) | instskip(SKIP_1) | instid1(VALU_DEP_4)
	;; [unrolled: 4-line block ×4, first 2 shown]
	v_dual_add_f32 v62, v62, v64 :: v_dual_add_f32 v61, v61, v157
	v_mul_f32_e32 v64, v143, v103
	v_fma_f32 v66, v140, v100, -v66
	s_delay_alu instid0(VALU_DEP_3) | instskip(NEXT) | instid1(VALU_DEP_3)
	v_dual_add_f32 v62, v62, v65 :: v_dual_add_f32 v61, v61, v158
	v_fma_f32 v64, v142, v102, -v64
	s_delay_alu instid0(VALU_DEP_2) | instskip(NEXT) | instid1(VALU_DEP_1)
	v_dual_add_f32 v62, v62, v66 :: v_dual_add_f32 v61, v61, v159
	v_add_f32_e32 v62, v62, v64
	s_delay_alu instid0(VALU_DEP_2) | instskip(SKIP_1) | instid1(VALU_DEP_2)
	v_add_f32_e32 v61, v61, v160
	v_fmac_f32_e32 v162, v141, v100
	v_add_f32_e32 v61, v61, v161
	s_delay_alu instid0(VALU_DEP_1) | instskip(SKIP_1) | instid1(VALU_DEP_1)
	v_add_f32_e32 v61, v61, v162
	s_wait_loadcnt 0x0
	v_dual_add_f32 v64, v61, v163 :: v_dual_sub_f32 v61, v144, v62
	s_delay_alu instid0(VALU_DEP_1)
	v_sub_f32_e32 v62, v145, v64
	scratch_store_b64 off, v[61:62], off offset:72
	v_cmpx_lt_u32_e32 8, v0
	s_cbranch_execz .LBB93_177
; %bb.176:
	scratch_load_b64 v[61:62], off, off offset:64
	v_mov_b32_e32 v64, 0
	s_delay_alu instid0(VALU_DEP_1)
	v_mov_b32_e32 v65, v64
	scratch_store_b64 off, v[64:65], off offset:64
	s_wait_loadcnt 0x0
	ds_store_b64 v63, v[61:62]
.LBB93_177:
	s_wait_alu 0xfffe
	s_or_b32 exec_lo, exec_lo, s0
	s_wait_storecnt_dscnt 0x0
	s_barrier_signal -1
	s_barrier_wait -1
	global_inv scope:SCOPE_SE
	s_clause 0xb
	scratch_load_b128 v[64:67], off, off offset:72
	scratch_load_b128 v[68:71], off, off offset:88
	;; [unrolled: 1-line block ×10, first 2 shown]
	scratch_load_b64 v[144:145], off, off offset:232
	scratch_load_b64 v[146:147], off, off offset:64
	v_mov_b32_e32 v61, 0
	ds_load_2addr_b64 v[104:107], v61 offset0:39 offset1:40
	ds_load_2addr_b64 v[108:111], v61 offset0:41 offset1:42
	;; [unrolled: 1-line block ×10, first 2 shown]
	ds_load_b64 v[148:149], v61 offset:472
	s_mov_b32 s0, exec_lo
	s_wait_loadcnt_dscnt 0xb0a
	v_mul_f32_e32 v62, v104, v65
	s_wait_loadcnt_dscnt 0xa09
	v_dual_mul_f32 v150, v106, v67 :: v_dual_mul_f32 v151, v108, v69
	v_mul_f32_e32 v67, v107, v67
	v_dual_mul_f32 v65, v105, v65 :: v_dual_mul_f32 v152, v110, v71
	s_wait_loadcnt_dscnt 0x908
	v_dual_mul_f32 v153, v112, v73 :: v_dual_fmac_f32 v62, v105, v64
	s_wait_loadcnt_dscnt 0x302
	v_mul_f32_e32 v166, v138, v99
	v_fma_f32 v65, v104, v64, -v65
	s_wait_loadcnt_dscnt 0x100
	v_mul_f32_e32 v169, v148, v145
	v_mul_f32_e32 v64, v109, v69
	v_fmac_f32_e32 v150, v107, v66
	v_fma_f32 v66, v106, v66, -v67
	v_dual_add_f32 v65, 0, v65 :: v_dual_add_f32 v62, 0, v62
	v_mul_f32_e32 v67, v111, v71
	v_fmac_f32_e32 v151, v109, v68
	v_fma_f32 v64, v108, v68, -v64
	v_dual_mul_f32 v156, v118, v79 :: v_dual_mul_f32 v157, v120, v81
	v_add_f32_e32 v62, v62, v150
	v_add_f32_e32 v65, v65, v66
	v_mul_f32_e32 v66, v113, v73
	v_fma_f32 v67, v110, v70, -v67
	v_dual_mul_f32 v158, v122, v83 :: v_dual_mul_f32 v159, v124, v85
	v_add_f32_e32 v62, v62, v151
	v_dual_add_f32 v64, v65, v64 :: v_dual_mul_f32 v65, v115, v75
	v_fma_f32 v66, v112, v72, -v66
	v_dual_mul_f32 v160, v126, v87 :: v_dual_mul_f32 v161, v128, v89
	s_delay_alu instid0(VALU_DEP_3) | instskip(NEXT) | instid1(VALU_DEP_4)
	v_dual_add_f32 v64, v64, v67 :: v_dual_mul_f32 v67, v117, v77
	v_fma_f32 v65, v114, v74, -v65
	v_dual_fmac_f32 v152, v111, v70 :: v_dual_fmac_f32 v153, v113, v72
	s_delay_alu instid0(VALU_DEP_3) | instskip(SKIP_2) | instid1(VALU_DEP_3)
	v_dual_add_f32 v64, v64, v66 :: v_dual_fmac_f32 v157, v121, v80
	v_dual_mul_f32 v66, v119, v79 :: v_dual_fmac_f32 v159, v125, v84
	v_fma_f32 v67, v116, v76, -v67
	v_dual_add_f32 v64, v64, v65 :: v_dual_fmac_f32 v161, v129, v88
	v_dual_mul_f32 v162, v130, v91 :: v_dual_mul_f32 v163, v132, v93
	v_dual_add_f32 v62, v62, v152 :: v_dual_mul_f32 v65, v121, v81
	v_fma_f32 v66, v118, v78, -v66
	s_delay_alu instid0(VALU_DEP_3) | instskip(SKIP_1) | instid1(VALU_DEP_4)
	v_dual_add_f32 v64, v64, v67 :: v_dual_fmac_f32 v163, v133, v92
	v_mul_f32_e32 v67, v123, v83
	v_fma_f32 v65, v120, v80, -v65
	v_dual_mul_f32 v154, v114, v75 :: v_dual_mul_f32 v155, v116, v77
	s_delay_alu instid0(VALU_DEP_4) | instskip(SKIP_3) | instid1(VALU_DEP_3)
	v_add_f32_e32 v64, v64, v66
	v_dual_mul_f32 v167, v140, v101 :: v_dual_mul_f32 v168, v142, v103
	v_mul_f32_e32 v66, v125, v85
	v_fma_f32 v67, v122, v82, -v67
	v_dual_add_f32 v64, v64, v65 :: v_dual_fmac_f32 v167, v141, v100
	v_dual_fmac_f32 v154, v115, v74 :: v_dual_fmac_f32 v155, v117, v76
	v_dual_add_f32 v62, v62, v153 :: v_dual_mul_f32 v65, v127, v87
	v_fma_f32 v66, v124, v84, -v66
	s_delay_alu instid0(VALU_DEP_4) | instskip(NEXT) | instid1(VALU_DEP_3)
	v_dual_add_f32 v64, v64, v67 :: v_dual_mul_f32 v67, v129, v89
	v_add_f32_e32 v62, v62, v154
	s_delay_alu instid0(VALU_DEP_4) | instskip(SKIP_1) | instid1(VALU_DEP_4)
	v_fma_f32 v65, v126, v86, -v65
	v_dual_mul_f32 v164, v134, v95 :: v_dual_mul_f32 v165, v136, v97
	v_add_f32_e32 v64, v64, v66
	v_mul_f32_e32 v66, v131, v91
	v_fma_f32 v67, v128, v88, -v67
	v_fmac_f32_e32 v156, v119, v78
	v_dual_add_f32 v62, v62, v155 :: v_dual_fmac_f32 v165, v137, v96
	v_add_f32_e32 v64, v64, v65
	v_mul_f32_e32 v65, v133, v93
	v_fma_f32 v66, v130, v90, -v66
	s_delay_alu instid0(VALU_DEP_4)
	v_add_f32_e32 v62, v62, v156
	v_fmac_f32_e32 v158, v123, v82
	v_add_f32_e32 v64, v64, v67
	v_mul_f32_e32 v67, v135, v95
	v_fma_f32 v65, v132, v92, -v65
	v_dual_fmac_f32 v169, v149, v144 :: v_dual_fmac_f32 v160, v127, v86
	s_delay_alu instid0(VALU_DEP_4) | instskip(NEXT) | instid1(VALU_DEP_4)
	v_add_f32_e32 v64, v64, v66
	v_fma_f32 v67, v134, v94, -v67
	v_fmac_f32_e32 v162, v131, v90
	v_mul_f32_e32 v66, v137, v97
	v_fmac_f32_e32 v164, v135, v94
	v_dual_add_f32 v64, v64, v65 :: v_dual_mul_f32 v65, v139, v99
	v_add_f32_e32 v62, v62, v157
	s_delay_alu instid0(VALU_DEP_4) | instskip(SKIP_1) | instid1(VALU_DEP_4)
	v_fma_f32 v66, v136, v96, -v66
	v_fmac_f32_e32 v166, v139, v98
	v_dual_add_f32 v64, v64, v67 :: v_dual_mul_f32 v67, v141, v101
	s_delay_alu instid0(VALU_DEP_4) | instskip(SKIP_2) | instid1(VALU_DEP_4)
	v_add_f32_e32 v62, v62, v158
	v_fma_f32 v65, v138, v98, -v65
	v_fmac_f32_e32 v168, v143, v102
	v_add_f32_e32 v64, v64, v66
	v_mul_f32_e32 v66, v143, v103
	v_add_f32_e32 v62, v62, v159
	v_fma_f32 v67, v140, v100, -v67
	s_delay_alu instid0(VALU_DEP_4) | instskip(NEXT) | instid1(VALU_DEP_3)
	v_add_f32_e32 v64, v64, v65
	v_dual_mul_f32 v65, v149, v145 :: v_dual_add_f32 v62, v62, v160
	v_fma_f32 v66, v142, v102, -v66
	s_delay_alu instid0(VALU_DEP_3) | instskip(NEXT) | instid1(VALU_DEP_3)
	v_add_f32_e32 v64, v64, v67
	v_fma_f32 v65, v148, v144, -v65
	s_delay_alu instid0(VALU_DEP_4) | instskip(NEXT) | instid1(VALU_DEP_3)
	v_add_f32_e32 v62, v62, v161
	v_add_f32_e32 v64, v64, v66
	s_delay_alu instid0(VALU_DEP_2) | instskip(NEXT) | instid1(VALU_DEP_2)
	v_add_f32_e32 v62, v62, v162
	v_add_f32_e32 v64, v64, v65
	s_delay_alu instid0(VALU_DEP_2) | instskip(SKIP_1) | instid1(VALU_DEP_2)
	v_add_f32_e32 v62, v62, v163
	s_wait_loadcnt 0x0
	v_sub_f32_e32 v64, v146, v64
	s_delay_alu instid0(VALU_DEP_2) | instskip(NEXT) | instid1(VALU_DEP_1)
	v_add_f32_e32 v62, v62, v164
	v_add_f32_e32 v62, v62, v165
	s_delay_alu instid0(VALU_DEP_1) | instskip(NEXT) | instid1(VALU_DEP_1)
	v_add_f32_e32 v62, v62, v166
	v_add_f32_e32 v62, v62, v167
	s_delay_alu instid0(VALU_DEP_1) | instskip(NEXT) | instid1(VALU_DEP_1)
	v_add_f32_e32 v62, v62, v168
	v_add_f32_e32 v62, v62, v169
	s_delay_alu instid0(VALU_DEP_1)
	v_sub_f32_e32 v65, v147, v62
	scratch_store_b64 off, v[64:65], off offset:64
	v_cmpx_lt_u32_e32 7, v0
	s_cbranch_execz .LBB93_179
; %bb.178:
	scratch_load_b64 v[64:65], off, off offset:56
	v_mov_b32_e32 v62, v61
	scratch_store_b64 off, v[61:62], off offset:56
	s_wait_loadcnt 0x0
	ds_store_b64 v63, v[64:65]
.LBB93_179:
	s_wait_alu 0xfffe
	s_or_b32 exec_lo, exec_lo, s0
	s_wait_storecnt_dscnt 0x0
	s_barrier_signal -1
	s_barrier_wait -1
	global_inv scope:SCOPE_SE
	s_clause 0xb
	scratch_load_b128 v[64:67], off, off offset:64
	scratch_load_b128 v[68:71], off, off offset:80
	;; [unrolled: 1-line block ×11, first 2 shown]
	scratch_load_b64 v[152:153], off, off offset:56
	ds_load_b128 v[108:111], v61 offset:304
	ds_load_b128 v[112:115], v61 offset:320
	;; [unrolled: 1-line block ×11, first 2 shown]
	s_mov_b32 s0, exec_lo
	s_wait_loadcnt_dscnt 0xb0a
	v_dual_mul_f32 v61, v108, v65 :: v_dual_mul_f32 v62, v110, v67
	v_mul_f32_e32 v65, v109, v65
	s_wait_loadcnt_dscnt 0xa09
	v_dual_mul_f32 v67, v111, v67 :: v_dual_mul_f32 v154, v112, v69
	s_delay_alu instid0(VALU_DEP_3) | instskip(NEXT) | instid1(VALU_DEP_3)
	v_dual_mul_f32 v155, v114, v71 :: v_dual_fmac_f32 v62, v111, v66
	v_fma_f32 v65, v108, v64, -v65
	v_fmac_f32_e32 v61, v109, v64
	v_mul_f32_e32 v64, v113, v69
	v_fma_f32 v66, v110, v66, -v67
	v_mul_f32_e32 v67, v115, v71
	v_dual_add_f32 v65, 0, v65 :: v_dual_fmac_f32 v154, v113, v68
	s_delay_alu instid0(VALU_DEP_4) | instskip(SKIP_2) | instid1(VALU_DEP_3)
	v_fma_f32 v64, v112, v68, -v64
	s_wait_loadcnt_dscnt 0x908
	v_dual_mul_f32 v156, v116, v73 :: v_dual_mul_f32 v157, v118, v75
	v_add_f32_e32 v65, v65, v66
	v_fmac_f32_e32 v155, v115, v70
	v_fma_f32 v66, v114, v70, -v67
	s_wait_loadcnt_dscnt 0x807
	v_dual_mul_f32 v158, v120, v77 :: v_dual_mul_f32 v159, v122, v79
	v_dual_add_f32 v64, v65, v64 :: v_dual_mul_f32 v65, v119, v75
	v_fmac_f32_e32 v156, v117, v72
	s_wait_loadcnt_dscnt 0x706
	v_dual_mul_f32 v160, v124, v81 :: v_dual_mul_f32 v161, v126, v83
	s_delay_alu instid0(VALU_DEP_3) | instskip(SKIP_3) | instid1(VALU_DEP_4)
	v_dual_add_f32 v64, v64, v66 :: v_dual_add_f32 v61, 0, v61
	v_mul_f32_e32 v66, v121, v77
	v_fma_f32 v65, v118, v74, -v65
	v_dual_fmac_f32 v157, v119, v74 :: v_dual_fmac_f32 v158, v121, v76
	v_add_f32_e32 v61, v61, v62
	v_mul_f32_e32 v62, v117, v73
	v_fma_f32 v66, v120, v76, -v66
	v_dual_fmac_f32 v159, v123, v78 :: v_dual_fmac_f32 v160, v125, v80
	s_wait_loadcnt_dscnt 0x605
	v_dual_mul_f32 v162, v128, v85 :: v_dual_mul_f32 v163, v130, v87
	v_fma_f32 v62, v116, v72, -v62
	s_wait_loadcnt_dscnt 0x504
	v_dual_mul_f32 v164, v132, v89 :: v_dual_mul_f32 v165, v134, v91
	s_wait_loadcnt_dscnt 0x403
	v_dual_mul_f32 v166, v136, v93 :: v_dual_mul_f32 v167, v138, v95
	v_add_f32_e32 v62, v64, v62
	v_mul_f32_e32 v64, v123, v79
	v_dual_fmac_f32 v164, v133, v88 :: v_dual_fmac_f32 v165, v135, v90
	s_delay_alu instid0(VALU_DEP_4) | instskip(NEXT) | instid1(VALU_DEP_4)
	v_dual_fmac_f32 v166, v137, v92 :: v_dual_fmac_f32 v167, v139, v94
	v_dual_add_f32 v62, v62, v65 :: v_dual_add_f32 v61, v61, v154
	v_mul_f32_e32 v65, v125, v81
	v_fma_f32 v64, v122, v78, -v64
	v_fmac_f32_e32 v161, v127, v82
	s_delay_alu instid0(VALU_DEP_4)
	v_add_f32_e32 v62, v62, v66
	v_mul_f32_e32 v66, v127, v83
	v_add_f32_e32 v61, v61, v155
	v_fma_f32 v65, v124, v80, -v65
	v_fmac_f32_e32 v162, v129, v84
	v_add_f32_e32 v62, v62, v64
	v_mul_f32_e32 v64, v129, v85
	v_add_f32_e32 v61, v61, v156
	v_fma_f32 v66, v126, v82, -v66
	s_delay_alu instid0(VALU_DEP_4) | instskip(SKIP_1) | instid1(VALU_DEP_4)
	v_dual_fmac_f32 v163, v131, v86 :: v_dual_add_f32 v62, v62, v65
	v_mul_f32_e32 v65, v131, v87
	v_add_f32_e32 v61, v61, v157
	v_fma_f32 v64, v128, v84, -v64
	s_wait_loadcnt_dscnt 0x302
	v_dual_mul_f32 v168, v140, v97 :: v_dual_mul_f32 v169, v142, v99
	v_add_f32_e32 v62, v62, v66
	v_add_f32_e32 v61, v61, v158
	v_fma_f32 v65, v130, v86, -v65
	v_mul_f32_e32 v66, v133, v89
	s_wait_loadcnt_dscnt 0x201
	v_dual_mul_f32 v170, v144, v101 :: v_dual_mul_f32 v171, v146, v103
	v_dual_add_f32 v62, v62, v64 :: v_dual_add_f32 v61, v61, v159
	v_mul_f32_e32 v64, v135, v91
	v_fma_f32 v66, v132, v88, -v66
	v_dual_fmac_f32 v168, v141, v96 :: v_dual_fmac_f32 v169, v143, v98
	s_delay_alu instid0(VALU_DEP_4)
	v_dual_add_f32 v62, v62, v65 :: v_dual_add_f32 v61, v61, v160
	v_mul_f32_e32 v65, v137, v93
	v_fma_f32 v64, v134, v90, -v64
	s_wait_loadcnt_dscnt 0x100
	v_dual_mul_f32 v172, v148, v105 :: v_dual_mul_f32 v173, v150, v107
	v_dual_add_f32 v61, v61, v161 :: v_dual_add_f32 v62, v62, v66
	v_mul_f32_e32 v66, v139, v95
	v_fma_f32 v65, v136, v92, -v65
	s_delay_alu instid0(VALU_DEP_4) | instskip(NEXT) | instid1(VALU_DEP_4)
	v_dual_fmac_f32 v170, v145, v100 :: v_dual_fmac_f32 v173, v151, v106
	v_dual_add_f32 v61, v61, v162 :: v_dual_add_f32 v62, v62, v64
	v_mul_f32_e32 v64, v141, v97
	v_fma_f32 v66, v138, v94, -v66
	v_fmac_f32_e32 v171, v147, v102
	s_delay_alu instid0(VALU_DEP_4) | instskip(SKIP_2) | instid1(VALU_DEP_3)
	v_dual_add_f32 v61, v61, v163 :: v_dual_add_f32 v62, v62, v65
	v_mul_f32_e32 v65, v143, v99
	v_fma_f32 v64, v140, v96, -v64
	v_dual_add_f32 v61, v61, v164 :: v_dual_add_f32 v62, v62, v66
	v_mul_f32_e32 v66, v145, v101
	s_delay_alu instid0(VALU_DEP_4) | instskip(NEXT) | instid1(VALU_DEP_3)
	v_fma_f32 v65, v142, v98, -v65
	v_dual_add_f32 v61, v61, v165 :: v_dual_add_f32 v62, v62, v64
	v_mul_f32_e32 v64, v147, v103
	s_delay_alu instid0(VALU_DEP_4) | instskip(NEXT) | instid1(VALU_DEP_3)
	;; [unrolled: 4-line block ×4, first 2 shown]
	v_fma_f32 v65, v148, v104, -v65
	v_add_f32_e32 v61, v61, v168
	s_delay_alu instid0(VALU_DEP_4) | instskip(NEXT) | instid1(VALU_DEP_4)
	v_add_f32_e32 v62, v62, v64
	v_fma_f32 v64, v150, v106, -v66
	s_delay_alu instid0(VALU_DEP_3) | instskip(NEXT) | instid1(VALU_DEP_1)
	v_add_f32_e32 v61, v61, v169
	v_dual_add_f32 v62, v62, v65 :: v_dual_add_f32 v61, v61, v170
	s_delay_alu instid0(VALU_DEP_1) | instskip(SKIP_1) | instid1(VALU_DEP_3)
	v_add_f32_e32 v62, v62, v64
	v_fmac_f32_e32 v172, v149, v104
	v_add_f32_e32 v61, v61, v171
	s_delay_alu instid0(VALU_DEP_1) | instskip(SKIP_1) | instid1(VALU_DEP_1)
	v_add_f32_e32 v61, v61, v172
	s_wait_loadcnt 0x0
	v_dual_add_f32 v64, v61, v173 :: v_dual_sub_f32 v61, v152, v62
	s_delay_alu instid0(VALU_DEP_1)
	v_sub_f32_e32 v62, v153, v64
	scratch_store_b64 off, v[61:62], off offset:56
	v_cmpx_lt_u32_e32 6, v0
	s_cbranch_execz .LBB93_181
; %bb.180:
	scratch_load_b64 v[61:62], off, off offset:48
	v_mov_b32_e32 v64, 0
	s_delay_alu instid0(VALU_DEP_1)
	v_mov_b32_e32 v65, v64
	scratch_store_b64 off, v[64:65], off offset:48
	s_wait_loadcnt 0x0
	ds_store_b64 v63, v[61:62]
.LBB93_181:
	s_wait_alu 0xfffe
	s_or_b32 exec_lo, exec_lo, s0
	s_wait_storecnt_dscnt 0x0
	s_barrier_signal -1
	s_barrier_wait -1
	global_inv scope:SCOPE_SE
	s_clause 0xc
	scratch_load_b128 v[64:67], off, off offset:56
	scratch_load_b128 v[68:71], off, off offset:72
	;; [unrolled: 1-line block ×11, first 2 shown]
	scratch_load_b64 v[152:153], off, off offset:232
	scratch_load_b64 v[154:155], off, off offset:48
	v_mov_b32_e32 v61, 0
	ds_load_2addr_b64 v[108:111], v61 offset0:37 offset1:38
	ds_load_2addr_b64 v[112:115], v61 offset0:39 offset1:40
	;; [unrolled: 1-line block ×11, first 2 shown]
	ds_load_b64 v[156:157], v61 offset:472
	s_mov_b32 s0, exec_lo
	s_wait_loadcnt_dscnt 0xc0b
	v_mul_f32_e32 v62, v108, v65
	s_wait_loadcnt_dscnt 0xb0a
	v_dual_mul_f32 v158, v110, v67 :: v_dual_mul_f32 v159, v112, v69
	v_mul_f32_e32 v67, v111, v67
	s_wait_loadcnt_dscnt 0xa09
	v_dual_mul_f32 v160, v114, v71 :: v_dual_mul_f32 v161, v116, v73
	v_mul_f32_e32 v65, v109, v65
	v_fmac_f32_e32 v62, v109, v64
	s_wait_loadcnt_dscnt 0x807
	v_dual_mul_f32 v164, v122, v79 :: v_dual_mul_f32 v165, v124, v81
	s_wait_loadcnt_dscnt 0x100
	v_dual_mul_f32 v176, v146, v103 :: v_dual_mul_f32 v179, v156, v153
	v_fma_f32 v65, v108, v64, -v65
	v_mul_f32_e32 v64, v113, v69
	v_fmac_f32_e32 v158, v111, v66
	v_fma_f32 v66, v110, v66, -v67
	v_dual_add_f32 v62, 0, v62 :: v_dual_mul_f32 v67, v115, v71
	v_add_f32_e32 v65, 0, v65
	v_fmac_f32_e32 v159, v113, v68
	v_fma_f32 v64, v112, v68, -v64
	s_delay_alu instid0(VALU_DEP_4)
	v_add_f32_e32 v62, v62, v158
	v_fma_f32 v67, v114, v70, -v67
	v_add_f32_e32 v65, v65, v66
	v_mul_f32_e32 v66, v117, v73
	v_dual_mul_f32 v166, v126, v83 :: v_dual_mul_f32 v167, v128, v85
	v_add_f32_e32 v62, v62, v159
	s_delay_alu instid0(VALU_DEP_4) | instskip(NEXT) | instid1(VALU_DEP_4)
	v_dual_add_f32 v64, v65, v64 :: v_dual_mul_f32 v65, v119, v75
	v_fma_f32 v66, v116, v72, -v66
	v_dual_mul_f32 v168, v130, v87 :: v_dual_mul_f32 v169, v132, v89
	s_delay_alu instid0(VALU_DEP_3) | instskip(NEXT) | instid1(VALU_DEP_4)
	v_dual_add_f32 v64, v64, v67 :: v_dual_mul_f32 v67, v121, v77
	v_fma_f32 v65, v118, v74, -v65
	v_dual_fmac_f32 v160, v115, v70 :: v_dual_fmac_f32 v161, v117, v72
	s_delay_alu instid0(VALU_DEP_3) | instskip(SKIP_2) | instid1(VALU_DEP_3)
	v_dual_add_f32 v64, v64, v66 :: v_dual_fmac_f32 v165, v125, v80
	v_dual_mul_f32 v66, v123, v79 :: v_dual_fmac_f32 v167, v129, v84
	v_fma_f32 v67, v120, v76, -v67
	v_dual_add_f32 v64, v64, v65 :: v_dual_fmac_f32 v169, v133, v88
	v_dual_mul_f32 v170, v134, v91 :: v_dual_mul_f32 v171, v136, v93
	v_dual_add_f32 v62, v62, v160 :: v_dual_mul_f32 v65, v125, v81
	v_fma_f32 v66, v122, v78, -v66
	s_delay_alu instid0(VALU_DEP_3) | instskip(SKIP_1) | instid1(VALU_DEP_4)
	v_dual_add_f32 v64, v64, v67 :: v_dual_fmac_f32 v171, v137, v92
	v_mul_f32_e32 v67, v127, v83
	v_fma_f32 v65, v124, v80, -v65
	v_dual_mul_f32 v162, v118, v75 :: v_dual_mul_f32 v163, v120, v77
	s_delay_alu instid0(VALU_DEP_4) | instskip(SKIP_3) | instid1(VALU_DEP_4)
	v_add_f32_e32 v64, v64, v66
	v_dual_mul_f32 v174, v142, v99 :: v_dual_mul_f32 v175, v144, v101
	v_mul_f32_e32 v66, v129, v85
	v_fma_f32 v67, v126, v82, -v67
	v_add_f32_e32 v64, v64, v65
	v_dual_fmac_f32 v162, v119, v74 :: v_dual_fmac_f32 v163, v121, v76
	v_dual_add_f32 v62, v62, v161 :: v_dual_mul_f32 v65, v131, v87
	v_fma_f32 v66, v128, v84, -v66
	s_delay_alu instid0(VALU_DEP_4) | instskip(NEXT) | instid1(VALU_DEP_3)
	v_dual_fmac_f32 v175, v145, v100 :: v_dual_add_f32 v64, v64, v67
	v_dual_add_f32 v62, v62, v162 :: v_dual_mul_f32 v67, v133, v89
	s_delay_alu instid0(VALU_DEP_4) | instskip(SKIP_1) | instid1(VALU_DEP_4)
	v_fma_f32 v65, v130, v86, -v65
	v_dual_mul_f32 v172, v138, v95 :: v_dual_mul_f32 v173, v140, v97
	v_add_f32_e32 v64, v64, v66
	v_mul_f32_e32 v66, v135, v91
	v_fma_f32 v67, v132, v88, -v67
	v_fmac_f32_e32 v164, v123, v78
	v_dual_add_f32 v62, v62, v163 :: v_dual_fmac_f32 v173, v141, v96
	v_add_f32_e32 v64, v64, v65
	v_mul_f32_e32 v65, v137, v93
	v_fma_f32 v66, v134, v90, -v66
	s_delay_alu instid0(VALU_DEP_4)
	v_dual_add_f32 v62, v62, v164 :: v_dual_mul_f32 v177, v148, v105
	v_mul_f32_e32 v178, v150, v107
	v_add_f32_e32 v64, v64, v67
	v_mul_f32_e32 v67, v139, v95
	v_fma_f32 v65, v136, v92, -v65
	v_dual_fmac_f32 v166, v127, v82 :: v_dual_fmac_f32 v177, v149, v104
	s_delay_alu instid0(VALU_DEP_4) | instskip(NEXT) | instid1(VALU_DEP_4)
	v_add_f32_e32 v64, v64, v66
	v_fma_f32 v67, v138, v94, -v67
	v_dual_fmac_f32 v168, v131, v86 :: v_dual_fmac_f32 v179, v157, v152
	v_fmac_f32_e32 v170, v135, v90
	s_delay_alu instid0(VALU_DEP_4) | instskip(SKIP_3) | instid1(VALU_DEP_4)
	v_dual_add_f32 v64, v64, v65 :: v_dual_mul_f32 v65, v143, v99
	v_add_f32_e32 v62, v62, v165
	v_mul_f32_e32 v66, v141, v97
	v_fmac_f32_e32 v172, v139, v94
	v_dual_add_f32 v64, v64, v67 :: v_dual_mul_f32 v67, v145, v101
	s_delay_alu instid0(VALU_DEP_4) | instskip(NEXT) | instid1(VALU_DEP_4)
	v_add_f32_e32 v62, v62, v166
	v_fma_f32 v66, v140, v96, -v66
	v_fmac_f32_e32 v174, v143, v98
	v_fma_f32 v65, v142, v98, -v65
	v_fma_f32 v67, v144, v100, -v67
	v_add_f32_e32 v62, v62, v167
	v_add_f32_e32 v64, v64, v66
	v_mul_f32_e32 v66, v147, v103
	v_fmac_f32_e32 v176, v147, v102
	v_fmac_f32_e32 v178, v151, v106
	v_add_f32_e32 v62, v62, v168
	v_add_f32_e32 v64, v64, v65
	v_mul_f32_e32 v65, v149, v105
	v_fma_f32 v66, v146, v102, -v66
	s_delay_alu instid0(VALU_DEP_4) | instskip(NEXT) | instid1(VALU_DEP_4)
	v_add_f32_e32 v62, v62, v169
	v_add_f32_e32 v64, v64, v67
	v_mul_f32_e32 v67, v151, v107
	v_fma_f32 v65, v148, v104, -v65
	s_delay_alu instid0(VALU_DEP_4) | instskip(NEXT) | instid1(VALU_DEP_4)
	;; [unrolled: 5-line block ×3, first 2 shown]
	v_add_f32_e32 v62, v62, v171
	v_add_f32_e32 v64, v64, v65
	s_delay_alu instid0(VALU_DEP_4) | instskip(NEXT) | instid1(VALU_DEP_3)
	v_fma_f32 v65, v156, v152, -v66
	v_add_f32_e32 v62, v62, v172
	s_delay_alu instid0(VALU_DEP_3) | instskip(NEXT) | instid1(VALU_DEP_2)
	v_add_f32_e32 v64, v64, v67
	v_add_f32_e32 v62, v62, v173
	s_delay_alu instid0(VALU_DEP_2) | instskip(NEXT) | instid1(VALU_DEP_2)
	v_add_f32_e32 v64, v64, v65
	v_add_f32_e32 v62, v62, v174
	s_wait_loadcnt 0x0
	s_delay_alu instid0(VALU_DEP_2) | instskip(NEXT) | instid1(VALU_DEP_2)
	v_sub_f32_e32 v64, v154, v64
	v_add_f32_e32 v62, v62, v175
	s_delay_alu instid0(VALU_DEP_1) | instskip(NEXT) | instid1(VALU_DEP_1)
	v_add_f32_e32 v62, v62, v176
	v_add_f32_e32 v62, v62, v177
	s_delay_alu instid0(VALU_DEP_1) | instskip(NEXT) | instid1(VALU_DEP_1)
	v_add_f32_e32 v62, v62, v178
	v_add_f32_e32 v62, v62, v179
	s_delay_alu instid0(VALU_DEP_1)
	v_sub_f32_e32 v65, v155, v62
	scratch_store_b64 off, v[64:65], off offset:48
	v_cmpx_lt_u32_e32 5, v0
	s_cbranch_execz .LBB93_183
; %bb.182:
	scratch_load_b64 v[64:65], off, off offset:40
	v_mov_b32_e32 v62, v61
	scratch_store_b64 off, v[61:62], off offset:40
	s_wait_loadcnt 0x0
	ds_store_b64 v63, v[64:65]
.LBB93_183:
	s_wait_alu 0xfffe
	s_or_b32 exec_lo, exec_lo, s0
	s_wait_storecnt_dscnt 0x0
	s_barrier_signal -1
	s_barrier_wait -1
	global_inv scope:SCOPE_SE
	s_clause 0xc
	scratch_load_b128 v[64:67], off, off offset:48
	scratch_load_b128 v[68:71], off, off offset:64
	;; [unrolled: 1-line block ×12, first 2 shown]
	scratch_load_b64 v[160:161], off, off offset:40
	ds_load_b128 v[112:115], v61 offset:288
	ds_load_b128 v[116:119], v61 offset:304
	;; [unrolled: 1-line block ×12, first 2 shown]
	s_mov_b32 s0, exec_lo
	s_wait_loadcnt_dscnt 0xc0b
	v_dual_mul_f32 v61, v112, v65 :: v_dual_mul_f32 v62, v114, v67
	v_mul_f32_e32 v65, v113, v65
	s_wait_loadcnt_dscnt 0xb0a
	v_dual_mul_f32 v67, v115, v67 :: v_dual_mul_f32 v162, v116, v69
	s_delay_alu instid0(VALU_DEP_3) | instskip(NEXT) | instid1(VALU_DEP_3)
	v_dual_mul_f32 v163, v118, v71 :: v_dual_fmac_f32 v62, v115, v66
	v_fma_f32 v65, v112, v64, -v65
	v_fmac_f32_e32 v61, v113, v64
	v_mul_f32_e32 v64, v117, v69
	v_fma_f32 v66, v114, v66, -v67
	v_mul_f32_e32 v67, v119, v71
	v_dual_add_f32 v65, 0, v65 :: v_dual_fmac_f32 v162, v117, v68
	s_delay_alu instid0(VALU_DEP_4) | instskip(SKIP_2) | instid1(VALU_DEP_3)
	v_fma_f32 v64, v116, v68, -v64
	s_wait_loadcnt_dscnt 0xa09
	v_dual_mul_f32 v164, v120, v73 :: v_dual_mul_f32 v165, v122, v75
	v_add_f32_e32 v65, v65, v66
	v_fmac_f32_e32 v163, v119, v70
	v_fma_f32 v66, v118, v70, -v67
	s_wait_loadcnt_dscnt 0x908
	v_dual_mul_f32 v166, v124, v77 :: v_dual_mul_f32 v167, v126, v79
	v_dual_add_f32 v64, v65, v64 :: v_dual_mul_f32 v65, v123, v75
	v_fmac_f32_e32 v164, v121, v72
	s_wait_loadcnt_dscnt 0x807
	v_dual_mul_f32 v168, v128, v81 :: v_dual_mul_f32 v169, v130, v83
	s_delay_alu instid0(VALU_DEP_3) | instskip(SKIP_3) | instid1(VALU_DEP_4)
	v_dual_add_f32 v64, v64, v66 :: v_dual_add_f32 v61, 0, v61
	v_mul_f32_e32 v66, v125, v77
	v_fma_f32 v65, v122, v74, -v65
	v_dual_fmac_f32 v165, v123, v74 :: v_dual_fmac_f32 v166, v125, v76
	v_add_f32_e32 v61, v61, v62
	v_mul_f32_e32 v62, v121, v73
	v_fma_f32 v66, v124, v76, -v66
	v_dual_fmac_f32 v167, v127, v78 :: v_dual_fmac_f32 v168, v129, v80
	s_wait_loadcnt_dscnt 0x706
	v_dual_mul_f32 v170, v132, v85 :: v_dual_mul_f32 v171, v134, v87
	v_fma_f32 v62, v120, v72, -v62
	s_wait_loadcnt_dscnt 0x605
	v_dual_mul_f32 v172, v136, v89 :: v_dual_mul_f32 v173, v138, v91
	s_wait_loadcnt_dscnt 0x504
	v_dual_mul_f32 v174, v140, v93 :: v_dual_mul_f32 v175, v142, v95
	v_add_f32_e32 v62, v64, v62
	v_mul_f32_e32 v64, v127, v79
	v_dual_fmac_f32 v172, v137, v88 :: v_dual_fmac_f32 v173, v139, v90
	s_delay_alu instid0(VALU_DEP_4) | instskip(NEXT) | instid1(VALU_DEP_4)
	v_dual_fmac_f32 v174, v141, v92 :: v_dual_fmac_f32 v175, v143, v94
	v_dual_add_f32 v62, v62, v65 :: v_dual_add_f32 v61, v61, v162
	v_mul_f32_e32 v65, v129, v81
	v_fma_f32 v64, v126, v78, -v64
	v_fmac_f32_e32 v169, v131, v82
	s_delay_alu instid0(VALU_DEP_4)
	v_add_f32_e32 v62, v62, v66
	v_mul_f32_e32 v66, v131, v83
	v_add_f32_e32 v61, v61, v163
	v_fma_f32 v65, v128, v80, -v65
	v_fmac_f32_e32 v170, v133, v84
	v_add_f32_e32 v62, v62, v64
	v_mul_f32_e32 v64, v133, v85
	v_add_f32_e32 v61, v61, v164
	v_fma_f32 v66, v130, v82, -v66
	s_delay_alu instid0(VALU_DEP_4) | instskip(SKIP_1) | instid1(VALU_DEP_4)
	v_dual_fmac_f32 v171, v135, v86 :: v_dual_add_f32 v62, v62, v65
	v_mul_f32_e32 v65, v135, v87
	v_add_f32_e32 v61, v61, v165
	v_fma_f32 v64, v132, v84, -v64
	s_wait_loadcnt_dscnt 0x403
	v_dual_mul_f32 v176, v144, v97 :: v_dual_mul_f32 v177, v146, v99
	v_add_f32_e32 v62, v62, v66
	v_add_f32_e32 v61, v61, v166
	v_fma_f32 v65, v134, v86, -v65
	v_mul_f32_e32 v66, v137, v89
	s_wait_loadcnt_dscnt 0x302
	v_dual_mul_f32 v178, v148, v101 :: v_dual_mul_f32 v179, v150, v103
	v_dual_add_f32 v62, v62, v64 :: v_dual_add_f32 v61, v61, v167
	v_mul_f32_e32 v64, v139, v91
	v_fma_f32 v66, v136, v88, -v66
	v_dual_fmac_f32 v176, v145, v96 :: v_dual_fmac_f32 v177, v147, v98
	s_delay_alu instid0(VALU_DEP_4)
	v_dual_add_f32 v62, v62, v65 :: v_dual_add_f32 v61, v61, v168
	v_mul_f32_e32 v65, v141, v93
	v_fma_f32 v64, v138, v90, -v64
	s_wait_loadcnt_dscnt 0x201
	v_dual_mul_f32 v180, v152, v105 :: v_dual_mul_f32 v181, v154, v107
	v_dual_add_f32 v61, v61, v169 :: v_dual_add_f32 v62, v62, v66
	v_mul_f32_e32 v66, v143, v95
	v_fma_f32 v65, v140, v92, -v65
	s_delay_alu instid0(VALU_DEP_4) | instskip(NEXT) | instid1(VALU_DEP_4)
	v_dual_fmac_f32 v178, v149, v100 :: v_dual_fmac_f32 v181, v155, v106
	v_dual_add_f32 v61, v61, v170 :: v_dual_add_f32 v62, v62, v64
	v_mul_f32_e32 v64, v145, v97
	v_fma_f32 v66, v142, v94, -v66
	v_fmac_f32_e32 v179, v151, v102
	s_delay_alu instid0(VALU_DEP_4)
	v_dual_add_f32 v61, v61, v171 :: v_dual_add_f32 v62, v62, v65
	v_mul_f32_e32 v65, v147, v99
	v_fma_f32 v64, v144, v96, -v64
	s_wait_loadcnt_dscnt 0x100
	v_dual_mul_f32 v182, v156, v109 :: v_dual_mul_f32 v183, v158, v111
	v_dual_add_f32 v61, v61, v172 :: v_dual_add_f32 v62, v62, v66
	v_mul_f32_e32 v66, v149, v101
	v_fma_f32 v65, v146, v98, -v65
	v_fmac_f32_e32 v180, v153, v104
	s_delay_alu instid0(VALU_DEP_4) | instskip(SKIP_3) | instid1(VALU_DEP_4)
	v_dual_add_f32 v61, v61, v173 :: v_dual_add_f32 v62, v62, v64
	v_mul_f32_e32 v64, v151, v103
	v_fma_f32 v66, v148, v100, -v66
	v_fmac_f32_e32 v183, v159, v110
	v_dual_add_f32 v61, v61, v174 :: v_dual_add_f32 v62, v62, v65
	v_mul_f32_e32 v65, v153, v105
	v_fma_f32 v64, v150, v102, -v64
	s_delay_alu instid0(VALU_DEP_3) | instskip(SKIP_1) | instid1(VALU_DEP_4)
	v_dual_add_f32 v61, v61, v175 :: v_dual_add_f32 v62, v62, v66
	v_mul_f32_e32 v66, v155, v107
	v_fma_f32 v65, v152, v104, -v65
	s_delay_alu instid0(VALU_DEP_3) | instskip(NEXT) | instid1(VALU_DEP_4)
	v_add_f32_e32 v61, v61, v176
	v_add_f32_e32 v62, v62, v64
	v_mul_f32_e32 v64, v157, v109
	v_fma_f32 v66, v154, v106, -v66
	s_delay_alu instid0(VALU_DEP_4) | instskip(NEXT) | instid1(VALU_DEP_4)
	v_add_f32_e32 v61, v61, v177
	v_dual_add_f32 v62, v62, v65 :: v_dual_mul_f32 v65, v159, v111
	s_delay_alu instid0(VALU_DEP_4) | instskip(NEXT) | instid1(VALU_DEP_3)
	v_fma_f32 v64, v156, v108, -v64
	v_add_f32_e32 v61, v61, v178
	s_delay_alu instid0(VALU_DEP_3) | instskip(NEXT) | instid1(VALU_DEP_4)
	v_add_f32_e32 v62, v62, v66
	v_fma_f32 v65, v158, v110, -v65
	s_delay_alu instid0(VALU_DEP_2) | instskip(NEXT) | instid1(VALU_DEP_1)
	v_dual_add_f32 v61, v61, v179 :: v_dual_add_f32 v62, v62, v64
	v_dual_add_f32 v61, v61, v180 :: v_dual_add_f32 v62, v62, v65
	v_fmac_f32_e32 v182, v157, v108
	s_delay_alu instid0(VALU_DEP_2) | instskip(NEXT) | instid1(VALU_DEP_1)
	v_add_f32_e32 v61, v61, v181
	v_add_f32_e32 v61, v61, v182
	s_wait_loadcnt 0x0
	s_delay_alu instid0(VALU_DEP_1) | instskip(NEXT) | instid1(VALU_DEP_1)
	v_dual_add_f32 v64, v61, v183 :: v_dual_sub_f32 v61, v160, v62
	v_sub_f32_e32 v62, v161, v64
	scratch_store_b64 off, v[61:62], off offset:40
	v_cmpx_lt_u32_e32 4, v0
	s_cbranch_execz .LBB93_185
; %bb.184:
	scratch_load_b64 v[61:62], off, off offset:32
	v_mov_b32_e32 v64, 0
	s_delay_alu instid0(VALU_DEP_1)
	v_mov_b32_e32 v65, v64
	scratch_store_b64 off, v[64:65], off offset:32
	s_wait_loadcnt 0x0
	ds_store_b64 v63, v[61:62]
.LBB93_185:
	s_wait_alu 0xfffe
	s_or_b32 exec_lo, exec_lo, s0
	s_wait_storecnt_dscnt 0x0
	s_barrier_signal -1
	s_barrier_wait -1
	global_inv scope:SCOPE_SE
	s_clause 0xd
	scratch_load_b128 v[64:67], off, off offset:40
	scratch_load_b128 v[68:71], off, off offset:56
	;; [unrolled: 1-line block ×12, first 2 shown]
	scratch_load_b64 v[160:161], off, off offset:232
	scratch_load_b64 v[162:163], off, off offset:32
	v_mov_b32_e32 v61, 0
	ds_load_2addr_b64 v[112:115], v61 offset0:35 offset1:36
	ds_load_2addr_b64 v[116:119], v61 offset0:37 offset1:38
	;; [unrolled: 1-line block ×12, first 2 shown]
	ds_load_b64 v[164:165], v61 offset:472
	s_mov_b32 s0, exec_lo
	s_wait_loadcnt_dscnt 0xd0c
	v_mul_f32_e32 v62, v112, v65
	s_wait_loadcnt_dscnt 0xc0b
	v_dual_mul_f32 v166, v114, v67 :: v_dual_mul_f32 v167, v116, v69
	v_mul_f32_e32 v67, v115, v67
	s_wait_loadcnt_dscnt 0xb0a
	v_dual_mul_f32 v168, v118, v71 :: v_dual_mul_f32 v169, v120, v73
	s_wait_loadcnt_dscnt 0xa09
	v_dual_mul_f32 v65, v113, v65 :: v_dual_mul_f32 v172, v126, v79
	s_wait_loadcnt_dscnt 0x908
	v_dual_mul_f32 v173, v128, v81 :: v_dual_fmac_f32 v62, v113, v64
	s_wait_loadcnt_dscnt 0x302
	v_mul_f32_e32 v186, v154, v107
	v_fma_f32 v65, v112, v64, -v65
	s_wait_loadcnt_dscnt 0x100
	v_mul_f32_e32 v189, v164, v161
	v_mul_f32_e32 v64, v117, v69
	v_fmac_f32_e32 v166, v115, v66
	v_fma_f32 v66, v114, v66, -v67
	v_dual_add_f32 v65, 0, v65 :: v_dual_add_f32 v62, 0, v62
	v_mul_f32_e32 v67, v119, v71
	v_fmac_f32_e32 v167, v117, v68
	v_fma_f32 v64, v116, v68, -v64
	v_dual_mul_f32 v174, v130, v83 :: v_dual_mul_f32 v175, v132, v85
	v_add_f32_e32 v62, v62, v166
	v_add_f32_e32 v65, v65, v66
	v_mul_f32_e32 v66, v121, v73
	v_fma_f32 v67, v118, v70, -v67
	v_dual_mul_f32 v176, v134, v87 :: v_dual_mul_f32 v177, v136, v89
	v_add_f32_e32 v62, v62, v167
	v_dual_add_f32 v64, v65, v64 :: v_dual_mul_f32 v65, v123, v75
	v_fma_f32 v66, v120, v72, -v66
	v_dual_fmac_f32 v168, v119, v70 :: v_dual_fmac_f32 v169, v121, v72
	s_delay_alu instid0(VALU_DEP_3) | instskip(NEXT) | instid1(VALU_DEP_4)
	v_dual_add_f32 v64, v64, v67 :: v_dual_mul_f32 v67, v125, v77
	v_fma_f32 v65, v122, v74, -v65
	v_dual_fmac_f32 v173, v129, v80 :: v_dual_mul_f32 v178, v138, v91
	v_mul_f32_e32 v179, v140, v93
	s_delay_alu instid0(VALU_DEP_4) | instskip(SKIP_3) | instid1(VALU_DEP_4)
	v_add_f32_e32 v64, v64, v66
	v_dual_mul_f32 v66, v127, v79 :: v_dual_fmac_f32 v175, v133, v84
	v_fma_f32 v67, v124, v76, -v67
	v_add_f32_e32 v62, v62, v168
	v_dual_add_f32 v64, v64, v65 :: v_dual_fmac_f32 v177, v137, v88
	v_mul_f32_e32 v65, v129, v81
	v_fma_f32 v66, v126, v78, -v66
	s_delay_alu instid0(VALU_DEP_3) | instskip(SKIP_1) | instid1(VALU_DEP_4)
	v_dual_fmac_f32 v179, v141, v92 :: v_dual_add_f32 v64, v64, v67
	v_mul_f32_e32 v67, v131, v83
	v_fma_f32 v65, v128, v80, -v65
	v_dual_mul_f32 v170, v122, v75 :: v_dual_mul_f32 v171, v124, v77
	s_delay_alu instid0(VALU_DEP_4) | instskip(SKIP_3) | instid1(VALU_DEP_4)
	v_add_f32_e32 v64, v64, v66
	v_dual_mul_f32 v182, v146, v99 :: v_dual_mul_f32 v183, v148, v101
	v_mul_f32_e32 v66, v133, v85
	v_fma_f32 v67, v130, v82, -v67
	v_add_f32_e32 v64, v64, v65
	v_dual_fmac_f32 v170, v123, v74 :: v_dual_fmac_f32 v171, v125, v76
	v_dual_add_f32 v62, v62, v169 :: v_dual_mul_f32 v65, v135, v87
	v_fma_f32 v66, v132, v84, -v66
	s_delay_alu instid0(VALU_DEP_4) | instskip(NEXT) | instid1(VALU_DEP_3)
	v_dual_fmac_f32 v183, v149, v100 :: v_dual_add_f32 v64, v64, v67
	v_dual_add_f32 v62, v62, v170 :: v_dual_mul_f32 v67, v137, v89
	s_delay_alu instid0(VALU_DEP_4) | instskip(SKIP_1) | instid1(VALU_DEP_4)
	v_fma_f32 v65, v134, v86, -v65
	v_fmac_f32_e32 v172, v127, v78
	v_add_f32_e32 v64, v64, v66
	v_mul_f32_e32 v66, v139, v91
	v_fma_f32 v67, v136, v88, -v67
	v_dual_mul_f32 v180, v142, v95 :: v_dual_mul_f32 v181, v144, v97
	s_delay_alu instid0(VALU_DEP_4) | instskip(SKIP_2) | instid1(VALU_DEP_4)
	v_add_f32_e32 v64, v64, v65
	v_mul_f32_e32 v65, v141, v93
	v_fma_f32 v66, v138, v90, -v66
	v_dual_add_f32 v62, v62, v171 :: v_dual_fmac_f32 v181, v145, v96
	s_delay_alu instid0(VALU_DEP_4) | instskip(SKIP_2) | instid1(VALU_DEP_4)
	v_add_f32_e32 v64, v64, v67
	v_mul_f32_e32 v67, v143, v95
	v_fma_f32 v65, v140, v92, -v65
	v_add_f32_e32 v62, v62, v172
	v_fmac_f32_e32 v174, v131, v82
	v_add_f32_e32 v64, v64, v66
	v_mul_f32_e32 v66, v145, v97
	v_fma_f32 v67, v142, v94, -v67
	v_dual_mul_f32 v184, v150, v103 :: v_dual_mul_f32 v185, v152, v105
	s_delay_alu instid0(VALU_DEP_4) | instskip(NEXT) | instid1(VALU_DEP_4)
	v_dual_add_f32 v64, v64, v65 :: v_dual_mul_f32 v65, v147, v99
	v_fma_f32 v66, v144, v96, -v66
	s_delay_alu instid0(VALU_DEP_3) | instskip(NEXT) | instid1(VALU_DEP_3)
	v_dual_add_f32 v62, v62, v173 :: v_dual_fmac_f32 v185, v153, v104
	v_dual_add_f32 v64, v64, v67 :: v_dual_mul_f32 v67, v149, v101
	s_delay_alu instid0(VALU_DEP_4) | instskip(NEXT) | instid1(VALU_DEP_3)
	v_fma_f32 v65, v146, v98, -v65
	v_dual_add_f32 v62, v62, v174 :: v_dual_mul_f32 v187, v156, v109
	v_mul_f32_e32 v188, v158, v111
	s_delay_alu instid0(VALU_DEP_4) | instskip(SKIP_3) | instid1(VALU_DEP_4)
	v_add_f32_e32 v64, v64, v66
	v_mul_f32_e32 v66, v151, v103
	v_fma_f32 v67, v148, v100, -v67
	v_dual_fmac_f32 v176, v135, v86 :: v_dual_fmac_f32 v187, v157, v108
	v_add_f32_e32 v64, v64, v65
	v_mul_f32_e32 v65, v153, v105
	v_fma_f32 v66, v150, v102, -v66
	v_fmac_f32_e32 v178, v139, v90
	v_fmac_f32_e32 v180, v143, v94
	v_add_f32_e32 v64, v64, v67
	v_fma_f32 v65, v152, v104, -v65
	v_dual_fmac_f32 v189, v165, v160 :: v_dual_fmac_f32 v182, v147, v98
	v_fmac_f32_e32 v184, v151, v102
	s_delay_alu instid0(VALU_DEP_4) | instskip(SKIP_3) | instid1(VALU_DEP_4)
	v_dual_add_f32 v64, v64, v66 :: v_dual_mul_f32 v67, v155, v107
	v_mul_f32_e32 v66, v157, v109
	v_fmac_f32_e32 v186, v155, v106
	v_fmac_f32_e32 v188, v159, v110
	v_dual_add_f32 v64, v64, v65 :: v_dual_mul_f32 v65, v159, v111
	v_add_f32_e32 v62, v62, v175
	v_fma_f32 v67, v154, v106, -v67
	v_fma_f32 v66, v156, v108, -v66
	s_delay_alu instid0(VALU_DEP_4) | instskip(NEXT) | instid1(VALU_DEP_4)
	v_fma_f32 v65, v158, v110, -v65
	v_add_f32_e32 v62, v62, v176
	s_delay_alu instid0(VALU_DEP_4) | instskip(NEXT) | instid1(VALU_DEP_2)
	v_dual_add_f32 v64, v64, v67 :: v_dual_mul_f32 v67, v165, v161
	v_add_f32_e32 v62, v62, v177
	s_delay_alu instid0(VALU_DEP_2) | instskip(NEXT) | instid1(VALU_DEP_3)
	v_add_f32_e32 v64, v64, v66
	v_fma_f32 v66, v164, v160, -v67
	s_delay_alu instid0(VALU_DEP_3) | instskip(NEXT) | instid1(VALU_DEP_3)
	v_add_f32_e32 v62, v62, v178
	v_add_f32_e32 v64, v64, v65
	s_delay_alu instid0(VALU_DEP_2) | instskip(NEXT) | instid1(VALU_DEP_2)
	v_add_f32_e32 v62, v62, v179
	v_add_f32_e32 v64, v64, v66
	s_delay_alu instid0(VALU_DEP_2) | instskip(SKIP_1) | instid1(VALU_DEP_2)
	v_add_f32_e32 v62, v62, v180
	s_wait_loadcnt 0x0
	v_sub_f32_e32 v64, v162, v64
	s_delay_alu instid0(VALU_DEP_2) | instskip(NEXT) | instid1(VALU_DEP_1)
	v_add_f32_e32 v62, v62, v181
	v_add_f32_e32 v62, v62, v182
	s_delay_alu instid0(VALU_DEP_1) | instskip(NEXT) | instid1(VALU_DEP_1)
	v_add_f32_e32 v62, v62, v183
	v_add_f32_e32 v62, v62, v184
	s_delay_alu instid0(VALU_DEP_1) | instskip(NEXT) | instid1(VALU_DEP_1)
	;; [unrolled: 3-line block ×4, first 2 shown]
	v_add_f32_e32 v62, v62, v189
	v_sub_f32_e32 v65, v163, v62
	scratch_store_b64 off, v[64:65], off offset:32
	v_cmpx_lt_u32_e32 3, v0
	s_cbranch_execz .LBB93_187
; %bb.186:
	scratch_load_b64 v[64:65], off, off offset:24
	v_mov_b32_e32 v62, v61
	scratch_store_b64 off, v[61:62], off offset:24
	s_wait_loadcnt 0x0
	ds_store_b64 v63, v[64:65]
.LBB93_187:
	s_wait_alu 0xfffe
	s_or_b32 exec_lo, exec_lo, s0
	s_wait_storecnt_dscnt 0x0
	s_barrier_signal -1
	s_barrier_wait -1
	global_inv scope:SCOPE_SE
	s_clause 0xd
	scratch_load_b128 v[64:67], off, off offset:32
	scratch_load_b128 v[68:71], off, off offset:48
	scratch_load_b128 v[72:75], off, off offset:64
	scratch_load_b128 v[76:79], off, off offset:80
	scratch_load_b128 v[80:83], off, off offset:96
	scratch_load_b128 v[84:87], off, off offset:112
	scratch_load_b128 v[88:91], off, off offset:128
	scratch_load_b128 v[92:95], off, off offset:144
	scratch_load_b128 v[96:99], off, off offset:160
	scratch_load_b128 v[100:103], off, off offset:176
	scratch_load_b128 v[104:107], off, off offset:192
	scratch_load_b128 v[108:111], off, off offset:208
	scratch_load_b128 v[112:115], off, off offset:224
	scratch_load_b64 v[168:169], off, off offset:24
	ds_load_b128 v[116:119], v61 offset:272
	ds_load_b128 v[120:123], v61 offset:288
	;; [unrolled: 1-line block ×13, first 2 shown]
	s_mov_b32 s0, exec_lo
	s_wait_loadcnt_dscnt 0xd0c
	v_dual_mul_f32 v61, v116, v65 :: v_dual_mul_f32 v62, v118, v67
	v_mul_f32_e32 v65, v117, v65
	s_wait_loadcnt_dscnt 0xc0b
	v_dual_mul_f32 v67, v119, v67 :: v_dual_mul_f32 v170, v120, v69
	s_delay_alu instid0(VALU_DEP_3) | instskip(NEXT) | instid1(VALU_DEP_3)
	v_dual_mul_f32 v171, v122, v71 :: v_dual_fmac_f32 v62, v119, v66
	v_fma_f32 v65, v116, v64, -v65
	v_fmac_f32_e32 v61, v117, v64
	v_mul_f32_e32 v64, v121, v69
	v_fma_f32 v66, v118, v66, -v67
	v_mul_f32_e32 v67, v123, v71
	v_dual_add_f32 v65, 0, v65 :: v_dual_fmac_f32 v170, v121, v68
	s_delay_alu instid0(VALU_DEP_4) | instskip(SKIP_2) | instid1(VALU_DEP_3)
	v_fma_f32 v64, v120, v68, -v64
	s_wait_loadcnt_dscnt 0xb0a
	v_dual_mul_f32 v172, v124, v73 :: v_dual_mul_f32 v173, v126, v75
	v_add_f32_e32 v65, v65, v66
	v_fmac_f32_e32 v171, v123, v70
	v_fma_f32 v66, v122, v70, -v67
	s_wait_loadcnt_dscnt 0xa09
	v_dual_mul_f32 v174, v128, v77 :: v_dual_mul_f32 v175, v130, v79
	v_dual_add_f32 v64, v65, v64 :: v_dual_mul_f32 v65, v127, v75
	v_fmac_f32_e32 v172, v125, v72
	s_wait_loadcnt_dscnt 0x908
	v_dual_mul_f32 v176, v132, v81 :: v_dual_mul_f32 v177, v134, v83
	s_delay_alu instid0(VALU_DEP_3) | instskip(SKIP_3) | instid1(VALU_DEP_4)
	v_dual_add_f32 v64, v64, v66 :: v_dual_add_f32 v61, 0, v61
	v_mul_f32_e32 v66, v129, v77
	v_fma_f32 v65, v126, v74, -v65
	v_dual_fmac_f32 v173, v127, v74 :: v_dual_fmac_f32 v174, v129, v76
	v_add_f32_e32 v61, v61, v62
	v_mul_f32_e32 v62, v125, v73
	v_fma_f32 v66, v128, v76, -v66
	v_dual_fmac_f32 v175, v131, v78 :: v_dual_fmac_f32 v176, v133, v80
	s_wait_loadcnt_dscnt 0x807
	v_dual_mul_f32 v178, v136, v85 :: v_dual_mul_f32 v179, v138, v87
	v_fma_f32 v62, v124, v72, -v62
	s_wait_loadcnt_dscnt 0x706
	v_dual_mul_f32 v180, v140, v89 :: v_dual_mul_f32 v181, v142, v91
	s_wait_loadcnt_dscnt 0x605
	v_dual_mul_f32 v182, v144, v93 :: v_dual_mul_f32 v183, v146, v95
	v_add_f32_e32 v62, v64, v62
	v_mul_f32_e32 v64, v131, v79
	v_dual_fmac_f32 v180, v141, v88 :: v_dual_fmac_f32 v181, v143, v90
	s_delay_alu instid0(VALU_DEP_4) | instskip(NEXT) | instid1(VALU_DEP_4)
	v_dual_fmac_f32 v182, v145, v92 :: v_dual_fmac_f32 v183, v147, v94
	v_dual_add_f32 v62, v62, v65 :: v_dual_add_f32 v61, v61, v170
	v_mul_f32_e32 v65, v133, v81
	v_fma_f32 v64, v130, v78, -v64
	v_fmac_f32_e32 v177, v135, v82
	s_delay_alu instid0(VALU_DEP_4)
	v_add_f32_e32 v62, v62, v66
	v_mul_f32_e32 v66, v135, v83
	v_add_f32_e32 v61, v61, v171
	v_fma_f32 v65, v132, v80, -v65
	v_fmac_f32_e32 v178, v137, v84
	v_add_f32_e32 v62, v62, v64
	v_mul_f32_e32 v64, v137, v85
	v_add_f32_e32 v61, v61, v172
	v_fma_f32 v66, v134, v82, -v66
	s_delay_alu instid0(VALU_DEP_4) | instskip(SKIP_1) | instid1(VALU_DEP_4)
	v_dual_fmac_f32 v179, v139, v86 :: v_dual_add_f32 v62, v62, v65
	v_mul_f32_e32 v65, v139, v87
	v_add_f32_e32 v61, v61, v173
	v_fma_f32 v64, v136, v84, -v64
	s_wait_loadcnt_dscnt 0x504
	v_dual_mul_f32 v184, v148, v97 :: v_dual_mul_f32 v185, v150, v99
	v_add_f32_e32 v62, v62, v66
	v_add_f32_e32 v61, v61, v174
	v_fma_f32 v65, v138, v86, -v65
	v_mul_f32_e32 v66, v141, v89
	v_dual_fmac_f32 v184, v149, v96 :: v_dual_fmac_f32 v185, v151, v98
	s_delay_alu instid0(VALU_DEP_4) | instskip(SKIP_1) | instid1(VALU_DEP_4)
	v_dual_add_f32 v62, v62, v64 :: v_dual_add_f32 v61, v61, v175
	v_mul_f32_e32 v64, v143, v91
	v_fma_f32 v66, v140, v88, -v66
	s_wait_loadcnt_dscnt 0x403
	v_dual_mul_f32 v186, v152, v101 :: v_dual_mul_f32 v187, v154, v103
	v_dual_add_f32 v62, v62, v65 :: v_dual_add_f32 v61, v61, v176
	v_mul_f32_e32 v65, v145, v93
	v_fma_f32 v64, v142, v90, -v64
	s_wait_loadcnt_dscnt 0x302
	v_dual_mul_f32 v188, v156, v105 :: v_dual_mul_f32 v189, v158, v107
	v_dual_add_f32 v61, v61, v177 :: v_dual_add_f32 v62, v62, v66
	v_mul_f32_e32 v66, v147, v95
	v_fma_f32 v65, v144, v92, -v65
	s_delay_alu instid0(VALU_DEP_4) | instskip(NEXT) | instid1(VALU_DEP_4)
	v_dual_fmac_f32 v186, v153, v100 :: v_dual_fmac_f32 v189, v159, v106
	v_dual_add_f32 v61, v61, v178 :: v_dual_add_f32 v62, v62, v64
	v_mul_f32_e32 v64, v149, v97
	v_fma_f32 v66, v146, v94, -v66
	v_fmac_f32_e32 v187, v155, v102
	s_delay_alu instid0(VALU_DEP_4) | instskip(SKIP_3) | instid1(VALU_DEP_4)
	v_dual_add_f32 v61, v61, v179 :: v_dual_add_f32 v62, v62, v65
	v_mul_f32_e32 v65, v151, v99
	v_fma_f32 v64, v148, v96, -v64
	v_fmac_f32_e32 v188, v157, v104
	v_dual_add_f32 v61, v61, v180 :: v_dual_add_f32 v62, v62, v66
	s_delay_alu instid0(VALU_DEP_4)
	v_fma_f32 v65, v150, v98, -v65
	v_mul_f32_e32 v66, v153, v101
	s_wait_loadcnt_dscnt 0x201
	v_dual_mul_f32 v190, v160, v109 :: v_dual_mul_f32 v191, v162, v111
	v_dual_add_f32 v61, v61, v181 :: v_dual_add_f32 v62, v62, v64
	v_mul_f32_e32 v64, v155, v103
	v_fma_f32 v66, v152, v100, -v66
	s_wait_loadcnt_dscnt 0x100
	v_dual_mul_f32 v192, v164, v113 :: v_dual_mul_f32 v193, v166, v115
	v_dual_add_f32 v61, v61, v182 :: v_dual_add_f32 v62, v62, v65
	v_mul_f32_e32 v65, v157, v105
	v_fma_f32 v64, v154, v102, -v64
	s_delay_alu instid0(VALU_DEP_4) | instskip(NEXT) | instid1(VALU_DEP_4)
	v_dual_fmac_f32 v190, v161, v108 :: v_dual_fmac_f32 v193, v167, v114
	v_dual_add_f32 v61, v61, v183 :: v_dual_add_f32 v62, v62, v66
	v_mul_f32_e32 v66, v159, v107
	v_fma_f32 v65, v156, v104, -v65
	v_fmac_f32_e32 v191, v163, v110
	s_delay_alu instid0(VALU_DEP_4)
	v_add_f32_e32 v61, v61, v184
	v_add_f32_e32 v62, v62, v64
	v_mul_f32_e32 v64, v161, v109
	v_fma_f32 v66, v158, v106, -v66
	v_fmac_f32_e32 v192, v165, v112
	v_add_f32_e32 v61, v61, v185
	v_dual_add_f32 v62, v62, v65 :: v_dual_mul_f32 v65, v163, v111
	v_fma_f32 v64, v160, v108, -v64
	s_delay_alu instid0(VALU_DEP_3) | instskip(NEXT) | instid1(VALU_DEP_3)
	v_add_f32_e32 v61, v61, v186
	v_add_f32_e32 v62, v62, v66
	v_mul_f32_e32 v66, v165, v113
	v_fma_f32 v65, v162, v110, -v65
	s_delay_alu instid0(VALU_DEP_3) | instskip(SKIP_1) | instid1(VALU_DEP_4)
	v_dual_add_f32 v61, v61, v187 :: v_dual_add_f32 v62, v62, v64
	v_mul_f32_e32 v64, v167, v115
	v_fma_f32 v66, v164, v112, -v66
	s_delay_alu instid0(VALU_DEP_3) | instskip(NEXT) | instid1(VALU_DEP_3)
	v_add_f32_e32 v61, v61, v188
	v_fma_f32 v64, v166, v114, -v64
	s_delay_alu instid0(VALU_DEP_2) | instskip(NEXT) | instid1(VALU_DEP_1)
	v_add_f32_e32 v61, v61, v189
	v_dual_add_f32 v61, v61, v190 :: v_dual_add_f32 v62, v62, v65
	s_delay_alu instid0(VALU_DEP_1) | instskip(NEXT) | instid1(VALU_DEP_1)
	v_dual_add_f32 v61, v61, v191 :: v_dual_add_f32 v62, v62, v66
	v_add_f32_e32 v61, v61, v192
	s_delay_alu instid0(VALU_DEP_2) | instskip(SKIP_1) | instid1(VALU_DEP_1)
	v_add_f32_e32 v62, v62, v64
	s_wait_loadcnt 0x0
	v_dual_add_f32 v64, v61, v193 :: v_dual_sub_f32 v61, v168, v62
	s_delay_alu instid0(VALU_DEP_1)
	v_sub_f32_e32 v62, v169, v64
	scratch_store_b64 off, v[61:62], off offset:24
	v_cmpx_lt_u32_e32 2, v0
	s_cbranch_execz .LBB93_189
; %bb.188:
	scratch_load_b64 v[61:62], off, off offset:16
	v_mov_b32_e32 v64, 0
	s_delay_alu instid0(VALU_DEP_1)
	v_mov_b32_e32 v65, v64
	scratch_store_b64 off, v[64:65], off offset:16
	s_wait_loadcnt 0x0
	ds_store_b64 v63, v[61:62]
.LBB93_189:
	s_wait_alu 0xfffe
	s_or_b32 exec_lo, exec_lo, s0
	s_wait_storecnt_dscnt 0x0
	s_barrier_signal -1
	s_barrier_wait -1
	global_inv scope:SCOPE_SE
	s_clause 0xe
	scratch_load_b128 v[64:67], off, off offset:24
	scratch_load_b128 v[68:71], off, off offset:40
	;; [unrolled: 1-line block ×13, first 2 shown]
	scratch_load_b64 v[168:169], off, off offset:232
	scratch_load_b64 v[170:171], off, off offset:16
	v_mov_b32_e32 v61, 0
	ds_load_2addr_b64 v[116:119], v61 offset0:33 offset1:34
	ds_load_2addr_b64 v[120:123], v61 offset0:35 offset1:36
	;; [unrolled: 1-line block ×13, first 2 shown]
	ds_load_b64 v[172:173], v61 offset:472
	s_mov_b32 s0, exec_lo
	s_wait_loadcnt_dscnt 0xe0d
	v_mul_f32_e32 v62, v116, v65
	s_wait_loadcnt_dscnt 0xd0c
	v_dual_mul_f32 v174, v118, v67 :: v_dual_mul_f32 v175, v120, v69
	v_mul_f32_e32 v67, v119, v67
	s_wait_loadcnt_dscnt 0xc0b
	v_dual_mul_f32 v176, v122, v71 :: v_dual_mul_f32 v177, v124, v73
	s_wait_loadcnt_dscnt 0xa09
	v_dual_mul_f32 v180, v130, v79 :: v_dual_mul_f32 v181, v132, v81
	v_mul_f32_e32 v65, v117, v65
	v_fmac_f32_e32 v62, v117, v64
	s_wait_loadcnt_dscnt 0x908
	v_dual_mul_f32 v182, v134, v83 :: v_dual_mul_f32 v183, v136, v85
	s_wait_loadcnt_dscnt 0x100
	v_dual_mul_f32 v196, v162, v111 :: v_dual_mul_f32 v199, v172, v169
	v_fma_f32 v65, v116, v64, -v65
	v_mul_f32_e32 v64, v121, v69
	v_fmac_f32_e32 v174, v119, v66
	v_fma_f32 v66, v118, v66, -v67
	v_dual_add_f32 v62, 0, v62 :: v_dual_mul_f32 v67, v123, v71
	v_add_f32_e32 v65, 0, v65
	v_fmac_f32_e32 v175, v121, v68
	v_fma_f32 v64, v120, v68, -v64
	s_delay_alu instid0(VALU_DEP_4)
	v_add_f32_e32 v62, v62, v174
	v_fma_f32 v67, v122, v70, -v67
	v_add_f32_e32 v65, v65, v66
	v_mul_f32_e32 v66, v125, v73
	v_dual_mul_f32 v184, v138, v87 :: v_dual_mul_f32 v185, v140, v89
	v_add_f32_e32 v62, v62, v175
	s_delay_alu instid0(VALU_DEP_4) | instskip(NEXT) | instid1(VALU_DEP_4)
	v_dual_add_f32 v64, v65, v64 :: v_dual_mul_f32 v65, v127, v75
	v_fma_f32 v66, v124, v72, -v66
	v_dual_fmac_f32 v176, v123, v70 :: v_dual_fmac_f32 v177, v125, v72
	s_delay_alu instid0(VALU_DEP_3) | instskip(NEXT) | instid1(VALU_DEP_4)
	v_dual_add_f32 v64, v64, v67 :: v_dual_mul_f32 v67, v129, v77
	v_fma_f32 v65, v126, v74, -v65
	v_dual_fmac_f32 v181, v133, v80 :: v_dual_mul_f32 v186, v142, v91
	v_mul_f32_e32 v187, v144, v93
	s_delay_alu instid0(VALU_DEP_4) | instskip(SKIP_3) | instid1(VALU_DEP_4)
	v_add_f32_e32 v64, v64, v66
	v_dual_mul_f32 v66, v131, v79 :: v_dual_fmac_f32 v183, v137, v84
	v_fma_f32 v67, v128, v76, -v67
	v_add_f32_e32 v62, v62, v176
	v_dual_add_f32 v64, v64, v65 :: v_dual_fmac_f32 v185, v141, v88
	v_mul_f32_e32 v65, v133, v81
	v_fma_f32 v66, v130, v78, -v66
	s_delay_alu instid0(VALU_DEP_3) | instskip(SKIP_1) | instid1(VALU_DEP_4)
	v_dual_fmac_f32 v187, v145, v92 :: v_dual_add_f32 v64, v64, v67
	v_mul_f32_e32 v67, v135, v83
	v_fma_f32 v65, v132, v80, -v65
	v_dual_mul_f32 v178, v126, v75 :: v_dual_mul_f32 v179, v128, v77
	s_delay_alu instid0(VALU_DEP_4) | instskip(SKIP_3) | instid1(VALU_DEP_4)
	v_add_f32_e32 v64, v64, v66
	v_dual_mul_f32 v190, v150, v99 :: v_dual_mul_f32 v191, v152, v101
	v_mul_f32_e32 v66, v137, v85
	v_fma_f32 v67, v134, v82, -v67
	v_add_f32_e32 v64, v64, v65
	v_dual_fmac_f32 v178, v127, v74 :: v_dual_fmac_f32 v179, v129, v76
	v_dual_add_f32 v62, v62, v177 :: v_dual_mul_f32 v65, v139, v87
	v_fma_f32 v66, v136, v84, -v66
	s_delay_alu instid0(VALU_DEP_4) | instskip(NEXT) | instid1(VALU_DEP_3)
	v_dual_fmac_f32 v191, v153, v100 :: v_dual_add_f32 v64, v64, v67
	v_dual_add_f32 v62, v62, v178 :: v_dual_mul_f32 v67, v141, v89
	s_delay_alu instid0(VALU_DEP_4) | instskip(SKIP_1) | instid1(VALU_DEP_4)
	v_fma_f32 v65, v138, v86, -v65
	v_fmac_f32_e32 v180, v131, v78
	v_add_f32_e32 v64, v64, v66
	v_mul_f32_e32 v66, v143, v91
	v_fma_f32 v67, v140, v88, -v67
	v_dual_fmac_f32 v199, v173, v168 :: v_dual_mul_f32 v188, v146, v95
	v_mul_f32_e32 v189, v148, v97
	v_add_f32_e32 v64, v64, v65
	v_mul_f32_e32 v65, v145, v93
	v_fma_f32 v66, v142, v90, -v66
	s_delay_alu instid0(VALU_DEP_4) | instskip(NEXT) | instid1(VALU_DEP_4)
	v_dual_add_f32 v62, v62, v179 :: v_dual_fmac_f32 v189, v149, v96
	v_add_f32_e32 v64, v64, v67
	v_mul_f32_e32 v67, v147, v95
	v_fma_f32 v65, v144, v92, -v65
	s_delay_alu instid0(VALU_DEP_4)
	v_add_f32_e32 v62, v62, v180
	v_fmac_f32_e32 v182, v135, v82
	v_add_f32_e32 v64, v64, v66
	v_mul_f32_e32 v66, v149, v97
	v_fma_f32 v67, v146, v94, -v67
	v_dual_mul_f32 v192, v154, v103 :: v_dual_mul_f32 v193, v156, v105
	s_delay_alu instid0(VALU_DEP_4) | instskip(NEXT) | instid1(VALU_DEP_4)
	v_dual_add_f32 v64, v64, v65 :: v_dual_mul_f32 v65, v151, v99
	v_fma_f32 v66, v148, v96, -v66
	s_delay_alu instid0(VALU_DEP_3) | instskip(NEXT) | instid1(VALU_DEP_3)
	v_dual_add_f32 v62, v62, v181 :: v_dual_fmac_f32 v193, v157, v104
	v_dual_add_f32 v64, v64, v67 :: v_dual_mul_f32 v67, v153, v101
	s_delay_alu instid0(VALU_DEP_4) | instskip(NEXT) | instid1(VALU_DEP_3)
	v_fma_f32 v65, v150, v98, -v65
	v_add_f32_e32 v62, v62, v182
	v_dual_mul_f32 v194, v158, v107 :: v_dual_mul_f32 v195, v160, v109
	s_delay_alu instid0(VALU_DEP_4) | instskip(SKIP_3) | instid1(VALU_DEP_4)
	v_add_f32_e32 v64, v64, v66
	v_mul_f32_e32 v66, v155, v103
	v_fma_f32 v67, v152, v100, -v67
	v_dual_mul_f32 v197, v164, v113 :: v_dual_mul_f32 v198, v166, v115
	v_add_f32_e32 v64, v64, v65
	v_mul_f32_e32 v65, v157, v105
	v_fma_f32 v66, v154, v102, -v66
	v_dual_fmac_f32 v184, v139, v86 :: v_dual_fmac_f32 v195, v161, v108
	s_delay_alu instid0(VALU_DEP_4) | instskip(NEXT) | instid1(VALU_DEP_4)
	v_add_f32_e32 v64, v64, v67
	v_fma_f32 v65, v156, v104, -v65
	v_dual_fmac_f32 v197, v165, v112 :: v_dual_fmac_f32 v186, v143, v90
	v_fmac_f32_e32 v188, v147, v94
	s_delay_alu instid0(VALU_DEP_4) | instskip(SKIP_3) | instid1(VALU_DEP_4)
	v_add_f32_e32 v64, v64, v66
	v_fmac_f32_e32 v190, v151, v98
	v_fmac_f32_e32 v192, v155, v102
	v_dual_mul_f32 v67, v159, v107 :: v_dual_mul_f32 v66, v161, v109
	v_dual_add_f32 v64, v64, v65 :: v_dual_mul_f32 v65, v163, v111
	v_add_f32_e32 v62, v62, v183
	v_fmac_f32_e32 v194, v159, v106
	s_delay_alu instid0(VALU_DEP_4)
	v_fma_f32 v67, v158, v106, -v67
	v_fma_f32 v66, v160, v108, -v66
	v_fmac_f32_e32 v196, v163, v110
	v_add_f32_e32 v62, v62, v184
	v_fma_f32 v65, v162, v110, -v65
	v_dual_add_f32 v64, v64, v67 :: v_dual_mul_f32 v67, v165, v113
	v_fmac_f32_e32 v198, v167, v114
	s_delay_alu instid0(VALU_DEP_4) | instskip(NEXT) | instid1(VALU_DEP_3)
	v_add_f32_e32 v62, v62, v185
	v_add_f32_e32 v64, v64, v66
	v_mul_f32_e32 v66, v167, v115
	v_fma_f32 v67, v164, v112, -v67
	s_delay_alu instid0(VALU_DEP_4) | instskip(NEXT) | instid1(VALU_DEP_4)
	v_add_f32_e32 v62, v62, v186
	v_add_f32_e32 v64, v64, v65
	v_mul_f32_e32 v65, v173, v169
	v_fma_f32 v66, v166, v114, -v66
	s_delay_alu instid0(VALU_DEP_4) | instskip(NEXT) | instid1(VALU_DEP_4)
	v_add_f32_e32 v62, v62, v187
	v_add_f32_e32 v64, v64, v67
	s_delay_alu instid0(VALU_DEP_4) | instskip(NEXT) | instid1(VALU_DEP_3)
	v_fma_f32 v65, v172, v168, -v65
	v_add_f32_e32 v62, v62, v188
	s_delay_alu instid0(VALU_DEP_3) | instskip(NEXT) | instid1(VALU_DEP_2)
	v_add_f32_e32 v64, v64, v66
	v_add_f32_e32 v62, v62, v189
	s_delay_alu instid0(VALU_DEP_2) | instskip(NEXT) | instid1(VALU_DEP_2)
	v_add_f32_e32 v64, v64, v65
	v_add_f32_e32 v62, v62, v190
	s_wait_loadcnt 0x0
	s_delay_alu instid0(VALU_DEP_2) | instskip(NEXT) | instid1(VALU_DEP_2)
	v_sub_f32_e32 v64, v170, v64
	v_add_f32_e32 v62, v62, v191
	s_delay_alu instid0(VALU_DEP_1) | instskip(NEXT) | instid1(VALU_DEP_1)
	v_add_f32_e32 v62, v62, v192
	v_add_f32_e32 v62, v62, v193
	s_delay_alu instid0(VALU_DEP_1) | instskip(NEXT) | instid1(VALU_DEP_1)
	v_add_f32_e32 v62, v62, v194
	;; [unrolled: 3-line block ×4, first 2 shown]
	v_add_f32_e32 v62, v62, v199
	s_delay_alu instid0(VALU_DEP_1)
	v_sub_f32_e32 v65, v171, v62
	scratch_store_b64 off, v[64:65], off offset:16
	v_cmpx_lt_u32_e32 1, v0
	s_cbranch_execz .LBB93_191
; %bb.190:
	scratch_load_b64 v[64:65], off, off offset:8
	v_mov_b32_e32 v62, v61
	scratch_store_b64 off, v[61:62], off offset:8
	s_wait_loadcnt 0x0
	ds_store_b64 v63, v[64:65]
.LBB93_191:
	s_wait_alu 0xfffe
	s_or_b32 exec_lo, exec_lo, s0
	s_wait_storecnt_dscnt 0x0
	s_barrier_signal -1
	s_barrier_wait -1
	global_inv scope:SCOPE_SE
	s_clause 0xe
	scratch_load_b128 v[64:67], off, off offset:16
	scratch_load_b128 v[68:71], off, off offset:32
	;; [unrolled: 1-line block ×14, first 2 shown]
	scratch_load_b64 v[176:177], off, off offset:8
	ds_load_b128 v[120:123], v61 offset:256
	ds_load_b128 v[124:127], v61 offset:272
	;; [unrolled: 1-line block ×14, first 2 shown]
	s_mov_b32 s0, exec_lo
	s_wait_loadcnt_dscnt 0xe0d
	v_dual_mul_f32 v61, v120, v65 :: v_dual_mul_f32 v62, v122, v67
	v_mul_f32_e32 v65, v121, v65
	s_wait_loadcnt_dscnt 0xd0c
	v_dual_mul_f32 v67, v123, v67 :: v_dual_mul_f32 v178, v124, v69
	s_delay_alu instid0(VALU_DEP_3) | instskip(NEXT) | instid1(VALU_DEP_3)
	v_dual_mul_f32 v179, v126, v71 :: v_dual_fmac_f32 v62, v123, v66
	v_fma_f32 v65, v120, v64, -v65
	v_fmac_f32_e32 v61, v121, v64
	v_mul_f32_e32 v64, v125, v69
	v_fma_f32 v66, v122, v66, -v67
	v_mul_f32_e32 v67, v127, v71
	v_dual_add_f32 v65, 0, v65 :: v_dual_fmac_f32 v178, v125, v68
	s_delay_alu instid0(VALU_DEP_4) | instskip(SKIP_2) | instid1(VALU_DEP_3)
	v_fma_f32 v64, v124, v68, -v64
	s_wait_loadcnt_dscnt 0xc0b
	v_dual_mul_f32 v180, v128, v73 :: v_dual_mul_f32 v181, v130, v75
	v_add_f32_e32 v65, v65, v66
	v_fmac_f32_e32 v179, v127, v70
	v_fma_f32 v66, v126, v70, -v67
	s_wait_loadcnt_dscnt 0xb0a
	v_dual_mul_f32 v182, v132, v77 :: v_dual_mul_f32 v183, v134, v79
	v_dual_add_f32 v64, v65, v64 :: v_dual_mul_f32 v65, v131, v75
	v_fmac_f32_e32 v180, v129, v72
	s_wait_loadcnt_dscnt 0xa09
	v_dual_mul_f32 v184, v136, v81 :: v_dual_mul_f32 v185, v138, v83
	s_delay_alu instid0(VALU_DEP_3) | instskip(SKIP_3) | instid1(VALU_DEP_4)
	v_dual_add_f32 v64, v64, v66 :: v_dual_add_f32 v61, 0, v61
	v_mul_f32_e32 v66, v133, v77
	v_fma_f32 v65, v130, v74, -v65
	v_dual_fmac_f32 v181, v131, v74 :: v_dual_fmac_f32 v182, v133, v76
	v_add_f32_e32 v61, v61, v62
	v_mul_f32_e32 v62, v129, v73
	v_fma_f32 v66, v132, v76, -v66
	v_dual_fmac_f32 v183, v135, v78 :: v_dual_fmac_f32 v184, v137, v80
	s_wait_loadcnt_dscnt 0x908
	v_dual_mul_f32 v186, v140, v85 :: v_dual_mul_f32 v187, v142, v87
	v_fma_f32 v62, v128, v72, -v62
	s_wait_loadcnt_dscnt 0x807
	v_dual_mul_f32 v188, v144, v89 :: v_dual_mul_f32 v189, v146, v91
	s_wait_loadcnt_dscnt 0x706
	v_dual_mul_f32 v190, v148, v93 :: v_dual_mul_f32 v191, v150, v95
	v_add_f32_e32 v62, v64, v62
	v_mul_f32_e32 v64, v135, v79
	v_dual_fmac_f32 v188, v145, v88 :: v_dual_fmac_f32 v189, v147, v90
	s_delay_alu instid0(VALU_DEP_4) | instskip(NEXT) | instid1(VALU_DEP_4)
	v_dual_fmac_f32 v190, v149, v92 :: v_dual_fmac_f32 v191, v151, v94
	v_dual_add_f32 v62, v62, v65 :: v_dual_add_f32 v61, v61, v178
	v_mul_f32_e32 v65, v137, v81
	v_fma_f32 v64, v134, v78, -v64
	v_fmac_f32_e32 v185, v139, v82
	s_delay_alu instid0(VALU_DEP_4)
	v_add_f32_e32 v62, v62, v66
	v_mul_f32_e32 v66, v139, v83
	v_add_f32_e32 v61, v61, v179
	v_fma_f32 v65, v136, v80, -v65
	v_fmac_f32_e32 v186, v141, v84
	v_add_f32_e32 v62, v62, v64
	v_mul_f32_e32 v64, v141, v85
	v_add_f32_e32 v61, v61, v180
	v_fma_f32 v66, v138, v82, -v66
	s_delay_alu instid0(VALU_DEP_4) | instskip(SKIP_1) | instid1(VALU_DEP_4)
	v_dual_fmac_f32 v187, v143, v86 :: v_dual_add_f32 v62, v62, v65
	v_mul_f32_e32 v65, v143, v87
	v_add_f32_e32 v61, v61, v181
	v_fma_f32 v64, v140, v84, -v64
	s_wait_loadcnt_dscnt 0x605
	v_dual_mul_f32 v192, v152, v97 :: v_dual_mul_f32 v193, v154, v99
	v_add_f32_e32 v62, v62, v66
	v_add_f32_e32 v61, v61, v182
	v_fma_f32 v65, v142, v86, -v65
	v_mul_f32_e32 v66, v145, v89
	s_wait_loadcnt_dscnt 0x504
	v_dual_mul_f32 v194, v156, v101 :: v_dual_mul_f32 v195, v158, v103
	v_dual_add_f32 v62, v62, v64 :: v_dual_add_f32 v61, v61, v183
	v_mul_f32_e32 v64, v147, v91
	v_fma_f32 v66, v144, v88, -v66
	v_dual_fmac_f32 v192, v153, v96 :: v_dual_fmac_f32 v193, v155, v98
	s_delay_alu instid0(VALU_DEP_4)
	v_dual_add_f32 v62, v62, v65 :: v_dual_add_f32 v61, v61, v184
	v_mul_f32_e32 v65, v149, v93
	v_fma_f32 v64, v146, v90, -v64
	s_wait_loadcnt_dscnt 0x403
	v_dual_mul_f32 v196, v160, v105 :: v_dual_mul_f32 v197, v162, v107
	v_dual_add_f32 v61, v61, v185 :: v_dual_add_f32 v62, v62, v66
	v_mul_f32_e32 v66, v151, v95
	v_fma_f32 v65, v148, v92, -v65
	s_delay_alu instid0(VALU_DEP_4) | instskip(NEXT) | instid1(VALU_DEP_4)
	v_dual_fmac_f32 v194, v157, v100 :: v_dual_fmac_f32 v197, v163, v106
	v_dual_add_f32 v61, v61, v186 :: v_dual_add_f32 v62, v62, v64
	v_mul_f32_e32 v64, v153, v97
	v_fma_f32 v66, v150, v94, -v66
	v_fmac_f32_e32 v195, v159, v102
	s_delay_alu instid0(VALU_DEP_4)
	v_dual_add_f32 v61, v61, v187 :: v_dual_add_f32 v62, v62, v65
	v_mul_f32_e32 v65, v155, v99
	v_fma_f32 v64, v152, v96, -v64
	s_wait_loadcnt_dscnt 0x302
	v_dual_mul_f32 v198, v164, v109 :: v_dual_mul_f32 v199, v166, v111
	v_dual_add_f32 v61, v61, v188 :: v_dual_add_f32 v62, v62, v66
	v_mul_f32_e32 v66, v157, v101
	v_fma_f32 v65, v154, v98, -v65
	v_fmac_f32_e32 v196, v161, v104
	s_delay_alu instid0(VALU_DEP_4)
	v_dual_add_f32 v61, v61, v189 :: v_dual_add_f32 v62, v62, v64
	v_mul_f32_e32 v64, v159, v103
	v_fma_f32 v66, v156, v100, -v66
	s_wait_loadcnt_dscnt 0x201
	v_dual_mul_f32 v200, v168, v113 :: v_dual_mul_f32 v201, v170, v115
	;; [unrolled: 10-line block ×3, first 2 shown]
	v_add_f32_e32 v61, v61, v192
	v_add_f32_e32 v62, v62, v64
	v_mul_f32_e32 v64, v165, v109
	v_fma_f32 v66, v162, v106, -v66
	v_dual_fmac_f32 v198, v165, v108 :: v_dual_fmac_f32 v201, v171, v114
	v_add_f32_e32 v61, v61, v193
	v_dual_add_f32 v62, v62, v65 :: v_dual_mul_f32 v65, v167, v111
	v_fma_f32 v64, v164, v108, -v64
	v_fmac_f32_e32 v203, v175, v118
	s_delay_alu instid0(VALU_DEP_4) | instskip(NEXT) | instid1(VALU_DEP_4)
	v_add_f32_e32 v61, v61, v194
	v_add_f32_e32 v62, v62, v66
	v_mul_f32_e32 v66, v169, v113
	v_fma_f32 v65, v166, v110, -v65
	v_fmac_f32_e32 v202, v173, v116
	s_delay_alu instid0(VALU_DEP_4) | instskip(SKIP_2) | instid1(VALU_DEP_3)
	v_dual_add_f32 v61, v61, v195 :: v_dual_add_f32 v62, v62, v64
	v_mul_f32_e32 v64, v171, v115
	v_fma_f32 v66, v168, v112, -v66
	v_add_f32_e32 v61, v61, v196
	s_delay_alu instid0(VALU_DEP_3) | instskip(NEXT) | instid1(VALU_DEP_2)
	v_fma_f32 v64, v170, v114, -v64
	v_add_f32_e32 v61, v61, v197
	s_delay_alu instid0(VALU_DEP_1) | instskip(NEXT) | instid1(VALU_DEP_1)
	v_dual_add_f32 v61, v61, v198 :: v_dual_add_f32 v62, v62, v65
	v_add_f32_e32 v61, v61, v199
	s_delay_alu instid0(VALU_DEP_2) | instskip(SKIP_1) | instid1(VALU_DEP_2)
	v_dual_mul_f32 v65, v173, v117 :: v_dual_add_f32 v62, v62, v66
	v_mul_f32_e32 v66, v175, v119
	v_fma_f32 v65, v172, v116, -v65
	s_delay_alu instid0(VALU_DEP_3) | instskip(NEXT) | instid1(VALU_DEP_3)
	v_add_f32_e32 v62, v62, v64
	v_fma_f32 v64, v174, v118, -v66
	s_delay_alu instid0(VALU_DEP_2) | instskip(NEXT) | instid1(VALU_DEP_1)
	v_add_f32_e32 v62, v62, v65
	v_add_f32_e32 v62, v62, v64
	v_fmac_f32_e32 v200, v169, v112
	s_delay_alu instid0(VALU_DEP_1) | instskip(NEXT) | instid1(VALU_DEP_1)
	v_add_f32_e32 v61, v61, v200
	v_add_f32_e32 v61, v61, v201
	s_delay_alu instid0(VALU_DEP_1) | instskip(SKIP_1) | instid1(VALU_DEP_1)
	v_add_f32_e32 v61, v61, v202
	s_wait_loadcnt 0x0
	v_dual_add_f32 v64, v61, v203 :: v_dual_sub_f32 v61, v176, v62
	s_delay_alu instid0(VALU_DEP_1)
	v_sub_f32_e32 v62, v177, v64
	scratch_store_b64 off, v[61:62], off offset:8
	v_cmpx_ne_u32_e32 0, v0
	s_cbranch_execz .LBB93_193
; %bb.192:
	scratch_load_b64 v[61:62], off, off
	v_mov_b32_e32 v64, 0
	s_delay_alu instid0(VALU_DEP_1)
	v_mov_b32_e32 v65, v64
	scratch_store_b64 off, v[64:65], off
	s_wait_loadcnt 0x0
	ds_store_b64 v63, v[61:62]
.LBB93_193:
	s_wait_alu 0xfffe
	s_or_b32 exec_lo, exec_lo, s0
	s_wait_storecnt_dscnt 0x0
	s_barrier_signal -1
	s_barrier_wait -1
	global_inv scope:SCOPE_SE
	s_clause 0xf
	scratch_load_b128 v[61:64], off, off offset:8
	scratch_load_b128 v[65:68], off, off offset:24
	;; [unrolled: 1-line block ×14, first 2 shown]
	scratch_load_b64 v[173:174], off, off offset:232
	scratch_load_b64 v[175:176], off, off
	v_mov_b32_e32 v0, 0
	ds_load_2addr_b64 v[117:120], v0 offset0:31 offset1:32
	ds_load_2addr_b64 v[121:124], v0 offset0:33 offset1:34
	;; [unrolled: 1-line block ×14, first 2 shown]
	ds_load_b64 v[177:178], v0 offset:472
	s_and_b32 vcc_lo, exec_lo, s12
	s_wait_loadcnt_dscnt 0xf0e
	v_dual_mul_f32 v179, v117, v62 :: v_dual_mul_f32 v180, v119, v64
	s_wait_loadcnt_dscnt 0xe0d
	v_dual_mul_f32 v181, v121, v66 :: v_dual_mul_f32 v64, v120, v64
	;; [unrolled: 2-line block ×3, first 2 shown]
	v_dual_fmac_f32 v179, v118, v61 :: v_dual_fmac_f32 v180, v120, v63
	s_delay_alu instid0(VALU_DEP_3) | instskip(SKIP_1) | instid1(VALU_DEP_4)
	v_fmac_f32_e32 v181, v122, v65
	v_fma_f32 v63, v119, v63, -v64
	v_dual_fmac_f32 v182, v124, v67 :: v_dual_fmac_f32 v183, v126, v69
	s_delay_alu instid0(VALU_DEP_4)
	v_add_f32_e32 v64, 0, v179
	v_mul_f32_e32 v62, v118, v62
	s_wait_loadcnt_dscnt 0xc0b
	v_dual_mul_f32 v184, v127, v72 :: v_dual_mul_f32 v185, v129, v74
	s_wait_loadcnt_dscnt 0xb0a
	v_dual_mul_f32 v186, v131, v76 :: v_dual_mul_f32 v187, v133, v78
	v_fma_f32 v62, v117, v61, -v62
	v_dual_mul_f32 v61, v122, v66 :: v_dual_mul_f32 v66, v124, v68
	v_dual_fmac_f32 v184, v128, v71 :: v_dual_fmac_f32 v185, v130, v73
	s_delay_alu instid0(VALU_DEP_3) | instskip(NEXT) | instid1(VALU_DEP_3)
	v_add_f32_e32 v62, 0, v62
	v_fma_f32 v61, v121, v65, -v61
	s_delay_alu instid0(VALU_DEP_4) | instskip(SKIP_1) | instid1(VALU_DEP_4)
	v_fma_f32 v65, v123, v67, -v66
	v_dual_fmac_f32 v186, v132, v75 :: v_dual_fmac_f32 v187, v134, v77
	v_add_f32_e32 v62, v62, v63
	s_wait_loadcnt_dscnt 0xa09
	v_dual_mul_f32 v188, v135, v80 :: v_dual_mul_f32 v189, v137, v82
	s_wait_loadcnt_dscnt 0x908
	v_dual_mul_f32 v190, v139, v84 :: v_dual_mul_f32 v191, v141, v86
	v_add_f32_e32 v61, v62, v61
	v_add_f32_e32 v63, v64, v180
	v_dual_fmac_f32 v188, v136, v79 :: v_dual_fmac_f32 v189, v138, v81
	s_wait_loadcnt_dscnt 0x807
	v_dual_mul_f32 v192, v143, v88 :: v_dual_mul_f32 v193, v145, v90
	s_delay_alu instid0(VALU_DEP_3)
	v_dual_add_f32 v62, v63, v181 :: v_dual_mul_f32 v63, v128, v72
	v_add_f32_e32 v61, v61, v65
	v_dual_mul_f32 v65, v130, v74 :: v_dual_mul_f32 v194, v147, v92
	s_wait_loadcnt_dscnt 0x706
	v_mul_f32_e32 v195, v149, v94
	v_fma_f32 v63, v127, v71, -v63
	v_mul_f32_e32 v64, v126, v70
	v_fma_f32 v65, v129, v73, -v65
	v_dual_fmac_f32 v193, v146, v89 :: v_dual_fmac_f32 v194, v148, v91
	s_wait_loadcnt_dscnt 0x605
	v_dual_mul_f32 v196, v151, v96 :: v_dual_mul_f32 v197, v153, v98
	v_fma_f32 v64, v125, v69, -v64
	v_add_f32_e32 v62, v62, v182
	s_delay_alu instid0(VALU_DEP_3) | instskip(SKIP_4) | instid1(VALU_DEP_3)
	v_dual_fmac_f32 v195, v150, v93 :: v_dual_fmac_f32 v196, v152, v95
	s_wait_loadcnt_dscnt 0x504
	v_dual_mul_f32 v198, v155, v100 :: v_dual_mul_f32 v199, v157, v102
	v_add_f32_e32 v61, v61, v64
	v_dual_mul_f32 v64, v132, v76 :: v_dual_fmac_f32 v197, v154, v97
	v_fmac_f32_e32 v198, v156, v99
	s_wait_loadcnt_dscnt 0x403
	v_dual_mul_f32 v200, v159, v104 :: v_dual_mul_f32 v201, v161, v106
	v_add_f32_e32 v61, v61, v63
	v_add_f32_e32 v62, v62, v183
	v_mul_f32_e32 v63, v134, v78
	v_fma_f32 v64, v131, v75, -v64
	s_wait_loadcnt_dscnt 0x302
	v_dual_mul_f32 v202, v163, v108 :: v_dual_mul_f32 v203, v165, v110
	v_add_f32_e32 v61, v61, v65
	v_fma_f32 v63, v133, v77, -v63
	v_mul_f32_e32 v65, v136, v80
	s_delay_alu instid0(VALU_DEP_4) | instskip(NEXT) | instid1(VALU_DEP_4)
	v_dual_fmac_f32 v199, v158, v101 :: v_dual_fmac_f32 v202, v164, v107
	v_add_f32_e32 v61, v61, v64
	v_add_f32_e32 v62, v62, v184
	v_mul_f32_e32 v64, v138, v82
	v_fma_f32 v65, v135, v79, -v65
	v_fmac_f32_e32 v190, v140, v83
	s_delay_alu instid0(VALU_DEP_4) | instskip(SKIP_3) | instid1(VALU_DEP_4)
	v_dual_add_f32 v61, v61, v63 :: v_dual_add_f32 v62, v62, v185
	v_mul_f32_e32 v63, v140, v84
	v_fma_f32 v64, v137, v81, -v64
	v_fmac_f32_e32 v191, v142, v85
	v_dual_add_f32 v61, v61, v65 :: v_dual_add_f32 v62, v62, v186
	s_delay_alu instid0(VALU_DEP_4) | instskip(SKIP_1) | instid1(VALU_DEP_3)
	v_fma_f32 v63, v139, v83, -v63
	v_dual_mul_f32 v65, v142, v86 :: v_dual_fmac_f32 v192, v144, v87
	v_dual_add_f32 v61, v61, v64 :: v_dual_add_f32 v62, v62, v187
	v_mul_f32_e32 v64, v144, v88
	s_delay_alu instid0(VALU_DEP_3) | instskip(SKIP_1) | instid1(VALU_DEP_4)
	v_fma_f32 v65, v141, v85, -v65
	v_fmac_f32_e32 v201, v162, v105
	v_dual_add_f32 v61, v61, v63 :: v_dual_add_f32 v62, v62, v188
	v_mul_f32_e32 v63, v146, v90
	v_fma_f32 v64, v143, v87, -v64
	s_wait_loadcnt_dscnt 0x201
	v_dual_mul_f32 v204, v167, v112 :: v_dual_mul_f32 v205, v169, v114
	v_add_f32_e32 v62, v62, v189
	v_add_f32_e32 v61, v61, v65
	v_mul_f32_e32 v65, v148, v92
	v_fma_f32 v63, v145, v89, -v63
	s_wait_loadcnt_dscnt 0x100
	v_dual_mul_f32 v206, v171, v116 :: v_dual_mul_f32 v207, v177, v174
	v_dual_add_f32 v62, v62, v190 :: v_dual_add_f32 v61, v61, v64
	v_mul_f32_e32 v64, v150, v94
	v_fma_f32 v65, v147, v91, -v65
	s_delay_alu instid0(VALU_DEP_4) | instskip(NEXT) | instid1(VALU_DEP_4)
	v_dual_fmac_f32 v203, v166, v109 :: v_dual_fmac_f32 v206, v172, v115
	v_add_f32_e32 v62, v62, v191
	v_add_f32_e32 v61, v61, v63
	v_mul_f32_e32 v63, v152, v96
	v_fma_f32 v64, v149, v93, -v64
	v_fmac_f32_e32 v200, v160, v103
	v_add_f32_e32 v62, v62, v192
	v_fmac_f32_e32 v205, v170, v113
	v_fma_f32 v63, v151, v95, -v63
	v_dual_fmac_f32 v207, v178, v173 :: v_dual_fmac_f32 v204, v168, v111
	s_delay_alu instid0(VALU_DEP_4) | instskip(SKIP_2) | instid1(VALU_DEP_2)
	v_add_f32_e32 v62, v62, v193
	v_add_f32_e32 v61, v61, v65
	v_mul_f32_e32 v65, v154, v98
	v_dual_add_f32 v62, v62, v194 :: v_dual_add_f32 v61, v61, v64
	v_mul_f32_e32 v64, v156, v100
	s_delay_alu instid0(VALU_DEP_3) | instskip(NEXT) | instid1(VALU_DEP_3)
	v_fma_f32 v65, v153, v97, -v65
	v_add_f32_e32 v62, v62, v195
	s_delay_alu instid0(VALU_DEP_4) | instskip(SKIP_2) | instid1(VALU_DEP_4)
	v_add_f32_e32 v61, v61, v63
	v_mul_f32_e32 v63, v158, v102
	v_fma_f32 v64, v155, v99, -v64
	v_add_f32_e32 v62, v62, v196
	s_delay_alu instid0(VALU_DEP_3) | instskip(NEXT) | instid1(VALU_DEP_2)
	v_fma_f32 v63, v157, v101, -v63
	v_add_f32_e32 v62, v62, v197
	v_add_f32_e32 v61, v61, v65
	s_delay_alu instid0(VALU_DEP_2) | instskip(NEXT) | instid1(VALU_DEP_2)
	v_dual_mul_f32 v65, v160, v104 :: v_dual_add_f32 v62, v62, v198
	v_dual_add_f32 v61, v61, v64 :: v_dual_mul_f32 v64, v162, v106
	s_delay_alu instid0(VALU_DEP_2) | instskip(NEXT) | instid1(VALU_DEP_3)
	v_fma_f32 v65, v159, v103, -v65
	v_add_f32_e32 v62, v62, v199
	s_delay_alu instid0(VALU_DEP_3) | instskip(SKIP_2) | instid1(VALU_DEP_3)
	v_add_f32_e32 v61, v61, v63
	v_mul_f32_e32 v63, v164, v108
	v_fma_f32 v64, v161, v105, -v64
	v_dual_add_f32 v62, v62, v200 :: v_dual_add_f32 v61, v61, v65
	v_mul_f32_e32 v65, v166, v110
	s_delay_alu instid0(VALU_DEP_4) | instskip(NEXT) | instid1(VALU_DEP_3)
	v_fma_f32 v63, v163, v107, -v63
	v_add_f32_e32 v61, v61, v64
	v_mul_f32_e32 v64, v168, v112
	v_add_f32_e32 v62, v62, v201
	v_fma_f32 v65, v165, v109, -v65
	s_delay_alu instid0(VALU_DEP_3) | instskip(NEXT) | instid1(VALU_DEP_3)
	v_fma_f32 v64, v167, v111, -v64
	v_add_f32_e32 v62, v62, v202
	s_delay_alu instid0(VALU_DEP_1) | instskip(SKIP_2) | instid1(VALU_DEP_2)
	v_add_f32_e32 v62, v62, v203
	v_add_f32_e32 v61, v61, v63
	v_mul_f32_e32 v63, v170, v114
	v_dual_add_f32 v62, v62, v204 :: v_dual_add_f32 v61, v61, v65
	v_mul_f32_e32 v65, v172, v116
	s_delay_alu instid0(VALU_DEP_3) | instskip(NEXT) | instid1(VALU_DEP_3)
	v_fma_f32 v63, v169, v113, -v63
	v_dual_add_f32 v62, v62, v205 :: v_dual_add_f32 v61, v61, v64
	v_mul_f32_e32 v64, v178, v174
	s_delay_alu instid0(VALU_DEP_4) | instskip(NEXT) | instid1(VALU_DEP_3)
	v_fma_f32 v65, v171, v115, -v65
	v_dual_add_f32 v62, v62, v206 :: v_dual_add_f32 v61, v61, v63
	s_delay_alu instid0(VALU_DEP_3) | instskip(NEXT) | instid1(VALU_DEP_2)
	v_fma_f32 v63, v177, v173, -v64
	v_dual_add_f32 v62, v62, v207 :: v_dual_add_f32 v61, v61, v65
	s_wait_loadcnt 0x0
	s_delay_alu instid0(VALU_DEP_1) | instskip(NEXT) | instid1(VALU_DEP_1)
	v_dual_sub_f32 v62, v176, v62 :: v_dual_add_f32 v61, v61, v63
	v_sub_f32_e32 v61, v175, v61
	scratch_store_b64 off, v[61:62], off
	s_wait_alu 0xfffe
	s_cbranch_vccz .LBB93_252
; %bb.194:
	global_load_b32 v0, v0, s[2:3] offset:112
	s_wait_loadcnt 0x0
	v_cmp_ne_u32_e32 vcc_lo, 29, v0
	s_cbranch_vccz .LBB93_196
; %bb.195:
	v_lshlrev_b32_e32 v0, 3, v0
	scratch_load_b64 v[61:62], v0, off offset:-8
	scratch_load_b64 v[63:64], off, off offset:224
	s_wait_loadcnt 0x1
	scratch_store_b64 off, v[61:62], off offset:224
	s_wait_loadcnt 0x0
	scratch_store_b64 v0, v[63:64], off offset:-8
.LBB93_196:
	v_mov_b32_e32 v0, 0
	global_load_b32 v61, v0, s[2:3] offset:108
	s_wait_loadcnt 0x0
	v_cmp_eq_u32_e32 vcc_lo, 28, v61
	s_cbranch_vccnz .LBB93_198
; %bb.197:
	v_lshlrev_b32_e32 v61, 3, v61
	s_delay_alu instid0(VALU_DEP_1)
	v_mov_b32_e32 v65, v61
	scratch_load_b64 v[61:62], v65, off offset:-8
	scratch_load_b64 v[63:64], off, off offset:216
	s_wait_loadcnt 0x1
	scratch_store_b64 off, v[61:62], off offset:216
	s_wait_loadcnt 0x0
	scratch_store_b64 v65, v[63:64], off offset:-8
.LBB93_198:
	global_load_b32 v0, v0, s[2:3] offset:104
	s_wait_loadcnt 0x0
	v_cmp_eq_u32_e32 vcc_lo, 27, v0
	s_cbranch_vccnz .LBB93_200
; %bb.199:
	v_lshlrev_b32_e32 v0, 3, v0
	scratch_load_b64 v[61:62], v0, off offset:-8
	scratch_load_b64 v[63:64], off, off offset:208
	s_wait_loadcnt 0x1
	scratch_store_b64 off, v[61:62], off offset:208
	s_wait_loadcnt 0x0
	scratch_store_b64 v0, v[63:64], off offset:-8
.LBB93_200:
	v_mov_b32_e32 v0, 0
	global_load_b32 v61, v0, s[2:3] offset:100
	s_wait_loadcnt 0x0
	v_cmp_eq_u32_e32 vcc_lo, 26, v61
	s_cbranch_vccnz .LBB93_202
; %bb.201:
	v_lshlrev_b32_e32 v61, 3, v61
	s_delay_alu instid0(VALU_DEP_1)
	v_mov_b32_e32 v65, v61
	scratch_load_b64 v[61:62], v65, off offset:-8
	scratch_load_b64 v[63:64], off, off offset:200
	s_wait_loadcnt 0x1
	scratch_store_b64 off, v[61:62], off offset:200
	s_wait_loadcnt 0x0
	scratch_store_b64 v65, v[63:64], off offset:-8
.LBB93_202:
	global_load_b32 v0, v0, s[2:3] offset:96
	s_wait_loadcnt 0x0
	v_cmp_eq_u32_e32 vcc_lo, 25, v0
	s_cbranch_vccnz .LBB93_204
; %bb.203:
	v_lshlrev_b32_e32 v0, 3, v0
	scratch_load_b64 v[61:62], v0, off offset:-8
	scratch_load_b64 v[63:64], off, off offset:192
	s_wait_loadcnt 0x1
	scratch_store_b64 off, v[61:62], off offset:192
	s_wait_loadcnt 0x0
	scratch_store_b64 v0, v[63:64], off offset:-8
.LBB93_204:
	;; [unrolled: 29-line block ×13, first 2 shown]
	v_mov_b32_e32 v0, 0
	global_load_b32 v61, v0, s[2:3] offset:4
	s_wait_loadcnt 0x0
	v_cmp_eq_u32_e32 vcc_lo, 2, v61
	s_cbranch_vccnz .LBB93_250
; %bb.249:
	v_lshlrev_b32_e32 v61, 3, v61
	s_delay_alu instid0(VALU_DEP_1)
	v_mov_b32_e32 v65, v61
	scratch_load_b64 v[61:62], v65, off offset:-8
	scratch_load_b64 v[63:64], off, off offset:8
	s_wait_loadcnt 0x1
	scratch_store_b64 off, v[61:62], off offset:8
	s_wait_loadcnt 0x0
	scratch_store_b64 v65, v[63:64], off offset:-8
.LBB93_250:
	global_load_b32 v0, v0, s[2:3]
	s_wait_loadcnt 0x0
	v_cmp_eq_u32_e32 vcc_lo, 1, v0
	s_cbranch_vccnz .LBB93_252
; %bb.251:
	v_lshlrev_b32_e32 v0, 3, v0
	scratch_load_b64 v[61:62], v0, off offset:-8
	scratch_load_b64 v[63:64], off, off
	s_wait_loadcnt 0x1
	scratch_store_b64 off, v[61:62], off
	s_wait_loadcnt 0x0
	scratch_store_b64 v0, v[63:64], off offset:-8
.LBB93_252:
	scratch_load_b64 v[61:62], off, off
	s_wait_loadcnt 0x0
	flat_store_b64 v[1:2], v[61:62]
	scratch_load_b64 v[0:1], off, off offset:8
	s_wait_loadcnt 0x0
	flat_store_b64 v[3:4], v[0:1]
	scratch_load_b64 v[0:1], off, off offset:16
	;; [unrolled: 3-line block ×29, first 2 shown]
	s_wait_loadcnt 0x0
	flat_store_b64 v[59:60], v[0:1]
	s_nop 0
	s_sendmsg sendmsg(MSG_DEALLOC_VGPRS)
	s_endpgm
	.section	.rodata,"a",@progbits
	.p2align	6, 0x0
	.amdhsa_kernel _ZN9rocsolver6v33100L18getri_kernel_smallILi30E19rocblas_complex_numIfEPKPS3_EEvT1_iilPiilS8_bb
		.amdhsa_group_segment_fixed_size 484
		.amdhsa_private_segment_fixed_size 256
		.amdhsa_kernarg_size 60
		.amdhsa_user_sgpr_count 2
		.amdhsa_user_sgpr_dispatch_ptr 0
		.amdhsa_user_sgpr_queue_ptr 0
		.amdhsa_user_sgpr_kernarg_segment_ptr 1
		.amdhsa_user_sgpr_dispatch_id 0
		.amdhsa_user_sgpr_private_segment_size 0
		.amdhsa_wavefront_size32 1
		.amdhsa_uses_dynamic_stack 0
		.amdhsa_enable_private_segment 1
		.amdhsa_system_sgpr_workgroup_id_x 1
		.amdhsa_system_sgpr_workgroup_id_y 0
		.amdhsa_system_sgpr_workgroup_id_z 0
		.amdhsa_system_sgpr_workgroup_info 0
		.amdhsa_system_vgpr_workitem_id 0
		.amdhsa_next_free_vgpr 208
		.amdhsa_next_free_sgpr 19
		.amdhsa_reserve_vcc 1
		.amdhsa_float_round_mode_32 0
		.amdhsa_float_round_mode_16_64 0
		.amdhsa_float_denorm_mode_32 3
		.amdhsa_float_denorm_mode_16_64 3
		.amdhsa_fp16_overflow 0
		.amdhsa_workgroup_processor_mode 1
		.amdhsa_memory_ordered 1
		.amdhsa_forward_progress 1
		.amdhsa_inst_pref_size 255
		.amdhsa_round_robin_scheduling 0
		.amdhsa_exception_fp_ieee_invalid_op 0
		.amdhsa_exception_fp_denorm_src 0
		.amdhsa_exception_fp_ieee_div_zero 0
		.amdhsa_exception_fp_ieee_overflow 0
		.amdhsa_exception_fp_ieee_underflow 0
		.amdhsa_exception_fp_ieee_inexact 0
		.amdhsa_exception_int_div_zero 0
	.end_amdhsa_kernel
	.section	.text._ZN9rocsolver6v33100L18getri_kernel_smallILi30E19rocblas_complex_numIfEPKPS3_EEvT1_iilPiilS8_bb,"axG",@progbits,_ZN9rocsolver6v33100L18getri_kernel_smallILi30E19rocblas_complex_numIfEPKPS3_EEvT1_iilPiilS8_bb,comdat
.Lfunc_end93:
	.size	_ZN9rocsolver6v33100L18getri_kernel_smallILi30E19rocblas_complex_numIfEPKPS3_EEvT1_iilPiilS8_bb, .Lfunc_end93-_ZN9rocsolver6v33100L18getri_kernel_smallILi30E19rocblas_complex_numIfEPKPS3_EEvT1_iilPiilS8_bb
                                        ; -- End function
	.set _ZN9rocsolver6v33100L18getri_kernel_smallILi30E19rocblas_complex_numIfEPKPS3_EEvT1_iilPiilS8_bb.num_vgpr, 208
	.set _ZN9rocsolver6v33100L18getri_kernel_smallILi30E19rocblas_complex_numIfEPKPS3_EEvT1_iilPiilS8_bb.num_agpr, 0
	.set _ZN9rocsolver6v33100L18getri_kernel_smallILi30E19rocblas_complex_numIfEPKPS3_EEvT1_iilPiilS8_bb.numbered_sgpr, 19
	.set _ZN9rocsolver6v33100L18getri_kernel_smallILi30E19rocblas_complex_numIfEPKPS3_EEvT1_iilPiilS8_bb.num_named_barrier, 0
	.set _ZN9rocsolver6v33100L18getri_kernel_smallILi30E19rocblas_complex_numIfEPKPS3_EEvT1_iilPiilS8_bb.private_seg_size, 256
	.set _ZN9rocsolver6v33100L18getri_kernel_smallILi30E19rocblas_complex_numIfEPKPS3_EEvT1_iilPiilS8_bb.uses_vcc, 1
	.set _ZN9rocsolver6v33100L18getri_kernel_smallILi30E19rocblas_complex_numIfEPKPS3_EEvT1_iilPiilS8_bb.uses_flat_scratch, 1
	.set _ZN9rocsolver6v33100L18getri_kernel_smallILi30E19rocblas_complex_numIfEPKPS3_EEvT1_iilPiilS8_bb.has_dyn_sized_stack, 0
	.set _ZN9rocsolver6v33100L18getri_kernel_smallILi30E19rocblas_complex_numIfEPKPS3_EEvT1_iilPiilS8_bb.has_recursion, 0
	.set _ZN9rocsolver6v33100L18getri_kernel_smallILi30E19rocblas_complex_numIfEPKPS3_EEvT1_iilPiilS8_bb.has_indirect_call, 0
	.section	.AMDGPU.csdata,"",@progbits
; Kernel info:
; codeLenInByte = 37448
; TotalNumSgprs: 21
; NumVgprs: 208
; ScratchSize: 256
; MemoryBound: 0
; FloatMode: 240
; IeeeMode: 1
; LDSByteSize: 484 bytes/workgroup (compile time only)
; SGPRBlocks: 0
; VGPRBlocks: 25
; NumSGPRsForWavesPerEU: 21
; NumVGPRsForWavesPerEU: 208
; Occupancy: 7
; WaveLimiterHint : 1
; COMPUTE_PGM_RSRC2:SCRATCH_EN: 1
; COMPUTE_PGM_RSRC2:USER_SGPR: 2
; COMPUTE_PGM_RSRC2:TRAP_HANDLER: 0
; COMPUTE_PGM_RSRC2:TGID_X_EN: 1
; COMPUTE_PGM_RSRC2:TGID_Y_EN: 0
; COMPUTE_PGM_RSRC2:TGID_Z_EN: 0
; COMPUTE_PGM_RSRC2:TIDIG_COMP_CNT: 0
	.section	.text._ZN9rocsolver6v33100L18getri_kernel_smallILi31E19rocblas_complex_numIfEPKPS3_EEvT1_iilPiilS8_bb,"axG",@progbits,_ZN9rocsolver6v33100L18getri_kernel_smallILi31E19rocblas_complex_numIfEPKPS3_EEvT1_iilPiilS8_bb,comdat
	.globl	_ZN9rocsolver6v33100L18getri_kernel_smallILi31E19rocblas_complex_numIfEPKPS3_EEvT1_iilPiilS8_bb ; -- Begin function _ZN9rocsolver6v33100L18getri_kernel_smallILi31E19rocblas_complex_numIfEPKPS3_EEvT1_iilPiilS8_bb
	.p2align	8
	.type	_ZN9rocsolver6v33100L18getri_kernel_smallILi31E19rocblas_complex_numIfEPKPS3_EEvT1_iilPiilS8_bb,@function
_ZN9rocsolver6v33100L18getri_kernel_smallILi31E19rocblas_complex_numIfEPKPS3_EEvT1_iilPiilS8_bb: ; @_ZN9rocsolver6v33100L18getri_kernel_smallILi31E19rocblas_complex_numIfEPKPS3_EEvT1_iilPiilS8_bb
; %bb.0:
	s_mov_b32 s2, exec_lo
	v_cmpx_gt_u32_e32 31, v0
	s_cbranch_execz .LBB94_138
; %bb.1:
	s_clause 0x1
	s_load_b32 s13, s[0:1], 0x38
	s_load_b64 s[2:3], s[0:1], 0x0
	s_mov_b32 s8, ttmp9
	s_load_b128 s[4:7], s[0:1], 0x28
	s_wait_kmcnt 0x0
	s_bitcmp1_b32 s13, 8
	s_cselect_b32 s12, -1, 0
	s_ashr_i32 s9, ttmp9, 31
	s_delay_alu instid0(SALU_CYCLE_1) | instskip(NEXT) | instid1(SALU_CYCLE_1)
	s_lshl_b64 s[10:11], s[8:9], 3
	s_add_nc_u64 s[2:3], s[2:3], s[10:11]
	s_load_b64 s[10:11], s[2:3], 0x0
	s_bfe_u32 s2, s13, 0x10008
	s_delay_alu instid0(SALU_CYCLE_1)
	s_cmp_eq_u32 s2, 0
                                        ; implicit-def: $sgpr2_sgpr3
	s_cbranch_scc1 .LBB94_3
; %bb.2:
	s_load_b96 s[16:18], s[0:1], 0x18
	s_mul_u64 s[2:3], s[4:5], s[8:9]
	s_delay_alu instid0(SALU_CYCLE_1)
	s_lshl_b64 s[2:3], s[2:3], 2
	s_wait_kmcnt 0x0
	s_ashr_i32 s5, s18, 31
	s_mov_b32 s4, s18
	s_add_nc_u64 s[2:3], s[16:17], s[2:3]
	s_lshl_b64 s[4:5], s[4:5], 2
	s_delay_alu instid0(SALU_CYCLE_1)
	s_add_nc_u64 s[2:3], s[2:3], s[4:5]
.LBB94_3:
	s_clause 0x1
	s_load_b64 s[4:5], s[0:1], 0x8
	s_load_b32 s13, s[0:1], 0x38
	v_lshlrev_b32_e32 v69, 3, v0
	s_wait_kmcnt 0x0
	s_ashr_i32 s1, s4, 31
	s_mov_b32 s0, s4
	v_add3_u32 v9, s5, s5, v0
	s_lshl_b64 s[0:1], s[0:1], 3
	s_delay_alu instid0(SALU_CYCLE_1)
	s_add_nc_u64 s[0:1], s[10:11], s[0:1]
	s_ashr_i32 s11, s5, 31
	v_add_co_u32 v1, s4, s0, v69
	s_wait_alu 0xf1ff
	v_add_co_ci_u32_e64 v2, null, s1, 0, s4
	s_mov_b32 s10, s5
	v_ashrrev_i32_e32 v10, 31, v9
	s_lshl_b64 s[10:11], s[10:11], 3
	flat_load_b64 v[5:6], v[1:2]
	v_add_co_u32 v3, vcc_lo, v1, s10
	s_delay_alu instid0(VALU_DEP_1) | instskip(SKIP_2) | instid1(VALU_DEP_1)
	v_add_co_ci_u32_e64 v4, null, s11, v2, vcc_lo
	v_add_nc_u32_e32 v12, s5, v9
	s_bitcmp0_b32 s13, 0
	v_ashrrev_i32_e32 v13, 31, v12
	s_wait_loadcnt_dscnt 0x0
	scratch_store_b64 off, v[5:6], off
	flat_load_b64 v[7:8], v[3:4]
	v_lshlrev_b64_e32 v[5:6], 3, v[9:10]
	s_delay_alu instid0(VALU_DEP_1) | instskip(SKIP_1) | instid1(VALU_DEP_2)
	v_add_co_u32 v5, vcc_lo, s0, v5
	s_wait_alu 0xfffd
	v_add_co_ci_u32_e64 v6, null, s1, v6, vcc_lo
	s_wait_loadcnt_dscnt 0x0
	scratch_store_b64 off, v[7:8], off offset:8
	flat_load_b64 v[10:11], v[5:6]
	v_lshlrev_b64_e32 v[7:8], 3, v[12:13]
	s_delay_alu instid0(VALU_DEP_1) | instskip(SKIP_1) | instid1(VALU_DEP_2)
	v_add_co_u32 v7, vcc_lo, s0, v7
	s_wait_alu 0xfffd
	v_add_co_ci_u32_e64 v8, null, s1, v8, vcc_lo
	s_wait_loadcnt_dscnt 0x0
	scratch_store_b64 off, v[10:11], off offset:16
	flat_load_b64 v[13:14], v[7:8]
	v_add_nc_u32_e32 v11, s5, v12
	s_delay_alu instid0(VALU_DEP_1) | instskip(SKIP_1) | instid1(VALU_DEP_2)
	v_ashrrev_i32_e32 v12, 31, v11
	v_add_nc_u32_e32 v15, s5, v11
	v_lshlrev_b64_e32 v[9:10], 3, v[11:12]
	s_delay_alu instid0(VALU_DEP_2) | instskip(SKIP_1) | instid1(VALU_DEP_3)
	v_ashrrev_i32_e32 v16, 31, v15
	v_add_nc_u32_e32 v18, s5, v15
	v_add_co_u32 v9, vcc_lo, s0, v9
	s_wait_alu 0xfffd
	s_delay_alu instid0(VALU_DEP_4) | instskip(SKIP_2) | instid1(VALU_DEP_2)
	v_add_co_ci_u32_e64 v10, null, s1, v10, vcc_lo
	v_lshlrev_b64_e32 v[11:12], 3, v[15:16]
	v_ashrrev_i32_e32 v19, 31, v18
	v_add_co_u32 v11, vcc_lo, s0, v11
	s_wait_alu 0xfffd
	s_delay_alu instid0(VALU_DEP_3)
	v_add_co_ci_u32_e64 v12, null, s1, v12, vcc_lo
	s_wait_loadcnt_dscnt 0x0
	scratch_store_b64 off, v[13:14], off offset:24
	flat_load_b64 v[13:14], v[9:10]
	s_wait_loadcnt_dscnt 0x0
	scratch_store_b64 off, v[13:14], off offset:32
	flat_load_b64 v[16:17], v[11:12]
	v_lshlrev_b64_e32 v[13:14], 3, v[18:19]
	s_delay_alu instid0(VALU_DEP_1) | instskip(SKIP_1) | instid1(VALU_DEP_2)
	v_add_co_u32 v13, vcc_lo, s0, v13
	s_wait_alu 0xfffd
	v_add_co_ci_u32_e64 v14, null, s1, v14, vcc_lo
	s_wait_loadcnt_dscnt 0x0
	scratch_store_b64 off, v[16:17], off offset:40
	flat_load_b64 v[19:20], v[13:14]
	v_add_nc_u32_e32 v17, s5, v18
	s_delay_alu instid0(VALU_DEP_1) | instskip(SKIP_1) | instid1(VALU_DEP_2)
	v_ashrrev_i32_e32 v18, 31, v17
	v_add_nc_u32_e32 v21, s5, v17
	v_lshlrev_b64_e32 v[15:16], 3, v[17:18]
	s_delay_alu instid0(VALU_DEP_2) | instskip(SKIP_1) | instid1(VALU_DEP_3)
	v_ashrrev_i32_e32 v22, 31, v21
	v_add_nc_u32_e32 v24, s5, v21
	v_add_co_u32 v15, vcc_lo, s0, v15
	s_wait_alu 0xfffd
	s_delay_alu instid0(VALU_DEP_4) | instskip(SKIP_2) | instid1(VALU_DEP_2)
	v_add_co_ci_u32_e64 v16, null, s1, v16, vcc_lo
	v_lshlrev_b64_e32 v[17:18], 3, v[21:22]
	v_ashrrev_i32_e32 v25, 31, v24
	v_add_co_u32 v17, vcc_lo, s0, v17
	s_wait_alu 0xfffd
	s_delay_alu instid0(VALU_DEP_3)
	v_add_co_ci_u32_e64 v18, null, s1, v18, vcc_lo
	s_wait_loadcnt_dscnt 0x0
	scratch_store_b64 off, v[19:20], off offset:48
	flat_load_b64 v[19:20], v[15:16]
	;; [unrolled: 32-line block ×8, first 2 shown]
	s_wait_loadcnt_dscnt 0x0
	scratch_store_b64 off, v[55:56], off offset:200
	flat_load_b64 v[58:59], v[53:54]
	v_lshlrev_b64_e32 v[55:56], 3, v[60:61]
	s_delay_alu instid0(VALU_DEP_1) | instskip(SKIP_1) | instid1(VALU_DEP_2)
	v_add_co_u32 v55, vcc_lo, s0, v55
	s_wait_alu 0xfffd
	v_add_co_ci_u32_e64 v56, null, s1, v56, vcc_lo
	s_wait_loadcnt_dscnt 0x0
	scratch_store_b64 off, v[58:59], off offset:208
	flat_load_b64 v[61:62], v[55:56]
	v_add_nc_u32_e32 v59, s5, v60
	s_delay_alu instid0(VALU_DEP_1) | instskip(SKIP_1) | instid1(VALU_DEP_2)
	v_ashrrev_i32_e32 v60, 31, v59
	v_add_nc_u32_e32 v63, s5, v59
	v_lshlrev_b64_e32 v[57:58], 3, v[59:60]
	s_delay_alu instid0(VALU_DEP_2) | instskip(NEXT) | instid1(VALU_DEP_1)
	v_ashrrev_i32_e32 v64, 31, v63
	v_lshlrev_b64_e32 v[59:60], 3, v[63:64]
	s_delay_alu instid0(VALU_DEP_3) | instskip(SKIP_1) | instid1(VALU_DEP_4)
	v_add_co_u32 v57, vcc_lo, s0, v57
	s_wait_alu 0xfffd
	v_add_co_ci_u32_e64 v58, null, s1, v58, vcc_lo
	s_delay_alu instid0(VALU_DEP_3)
	v_add_co_u32 v59, vcc_lo, s0, v59
	s_wait_alu 0xfffd
	v_add_co_ci_u32_e64 v60, null, s1, v60, vcc_lo
	s_wait_loadcnt_dscnt 0x0
	scratch_store_b64 off, v[61:62], off offset:216
	flat_load_b64 v[61:62], v[57:58]
	s_wait_loadcnt_dscnt 0x0
	scratch_store_b64 off, v[61:62], off offset:224
	flat_load_b64 v[64:65], v[59:60]
	v_add_nc_u32_e32 v61, s5, v63
	s_delay_alu instid0(VALU_DEP_1) | instskip(NEXT) | instid1(VALU_DEP_1)
	v_ashrrev_i32_e32 v62, 31, v61
	v_lshlrev_b64_e32 v[61:62], 3, v[61:62]
	s_delay_alu instid0(VALU_DEP_1) | instskip(SKIP_1) | instid1(VALU_DEP_2)
	v_add_co_u32 v61, vcc_lo, s0, v61
	s_wait_alu 0xfffd
	v_add_co_ci_u32_e64 v62, null, s1, v62, vcc_lo
	s_mov_b32 s1, -1
	s_wait_loadcnt_dscnt 0x0
	scratch_store_b64 off, v[64:65], off offset:232
	flat_load_b64 v[63:64], v[61:62]
	s_wait_loadcnt_dscnt 0x0
	scratch_store_b64 off, v[63:64], off offset:240
	s_cbranch_scc1 .LBB94_136
; %bb.4:
	v_cmp_eq_u32_e64 s0, 0, v0
	s_and_saveexec_b32 s1, s0
; %bb.5:
	v_mov_b32_e32 v63, 0
	ds_store_b32 v63, v63 offset:248
; %bb.6:
	s_wait_alu 0xfffe
	s_or_b32 exec_lo, exec_lo, s1
	s_wait_storecnt_dscnt 0x0
	s_barrier_signal -1
	s_barrier_wait -1
	global_inv scope:SCOPE_SE
	scratch_load_b64 v[63:64], v69, off
	s_wait_loadcnt 0x0
	v_cmp_eq_f32_e32 vcc_lo, 0, v63
	v_cmp_eq_f32_e64 s1, 0, v64
	s_and_b32 s1, vcc_lo, s1
	s_wait_alu 0xfffe
	s_and_saveexec_b32 s4, s1
	s_cbranch_execz .LBB94_10
; %bb.7:
	v_mov_b32_e32 v63, 0
	s_mov_b32 s5, 0
	ds_load_b32 v64, v63 offset:248
	s_wait_dscnt 0x0
	v_readfirstlane_b32 s1, v64
	v_add_nc_u32_e32 v64, 1, v0
	s_cmp_eq_u32 s1, 0
	s_delay_alu instid0(VALU_DEP_1)
	v_cmp_gt_i32_e32 vcc_lo, s1, v64
	s_cselect_b32 s10, -1, 0
	s_wait_alu 0xfffe
	s_or_b32 s10, s10, vcc_lo
	s_wait_alu 0xfffe
	s_and_b32 exec_lo, exec_lo, s10
	s_cbranch_execz .LBB94_10
; %bb.8:
	v_mov_b32_e32 v65, s1
.LBB94_9:                               ; =>This Inner Loop Header: Depth=1
	ds_cmpstore_rtn_b32 v65, v63, v64, v65 offset:248
	s_wait_dscnt 0x0
	v_cmp_ne_u32_e32 vcc_lo, 0, v65
	v_cmp_le_i32_e64 s1, v65, v64
	s_and_b32 s1, vcc_lo, s1
	s_wait_alu 0xfffe
	s_and_b32 s1, exec_lo, s1
	s_wait_alu 0xfffe
	s_or_b32 s5, s1, s5
	s_wait_alu 0xfffe
	s_and_not1_b32 exec_lo, exec_lo, s5
	s_cbranch_execnz .LBB94_9
.LBB94_10:
	s_wait_alu 0xfffe
	s_or_b32 exec_lo, exec_lo, s4
	v_mov_b32_e32 v63, 0
	s_barrier_signal -1
	s_barrier_wait -1
	global_inv scope:SCOPE_SE
	ds_load_b32 v64, v63 offset:248
	s_and_saveexec_b32 s1, s0
	s_cbranch_execz .LBB94_12
; %bb.11:
	s_lshl_b64 s[4:5], s[8:9], 2
	s_wait_alu 0xfffe
	s_add_nc_u64 s[4:5], s[6:7], s[4:5]
	s_wait_dscnt 0x0
	global_store_b32 v63, v64, s[4:5]
.LBB94_12:
	s_wait_alu 0xfffe
	s_or_b32 exec_lo, exec_lo, s1
	s_wait_dscnt 0x0
	v_cmp_ne_u32_e32 vcc_lo, 0, v64
	s_mov_b32 s1, 0
	s_cbranch_vccnz .LBB94_136
; %bb.13:
	v_mov_b32_e32 v70, v69
                                        ; implicit-def: $vgpr65
                                        ; implicit-def: $vgpr67
	scratch_load_b64 v[63:64], v70, off
	s_wait_loadcnt 0x0
	v_cmp_ngt_f32_e64 s1, |v63|, |v64|
	s_wait_alu 0xfffe
	s_and_saveexec_b32 s4, s1
	s_wait_alu 0xfffe
	s_xor_b32 s1, exec_lo, s4
	s_cbranch_execz .LBB94_15
; %bb.14:
	v_div_scale_f32 v65, null, v64, v64, v63
	v_div_scale_f32 v68, vcc_lo, v63, v64, v63
	s_delay_alu instid0(VALU_DEP_2) | instskip(NEXT) | instid1(TRANS32_DEP_1)
	v_rcp_f32_e32 v66, v65
	v_fma_f32 v67, -v65, v66, 1.0
	s_delay_alu instid0(VALU_DEP_1) | instskip(NEXT) | instid1(VALU_DEP_1)
	v_fmac_f32_e32 v66, v67, v66
	v_mul_f32_e32 v67, v68, v66
	s_delay_alu instid0(VALU_DEP_1) | instskip(NEXT) | instid1(VALU_DEP_1)
	v_fma_f32 v71, -v65, v67, v68
	v_fmac_f32_e32 v67, v71, v66
	s_delay_alu instid0(VALU_DEP_1) | instskip(SKIP_1) | instid1(VALU_DEP_1)
	v_fma_f32 v65, -v65, v67, v68
	s_wait_alu 0xfffd
	v_div_fmas_f32 v65, v65, v66, v67
	s_delay_alu instid0(VALU_DEP_1) | instskip(NEXT) | instid1(VALU_DEP_1)
	v_div_fixup_f32 v65, v65, v64, v63
	v_fmac_f32_e32 v64, v63, v65
	s_delay_alu instid0(VALU_DEP_1) | instskip(NEXT) | instid1(VALU_DEP_1)
	v_div_scale_f32 v63, null, v64, v64, 1.0
	v_rcp_f32_e32 v66, v63
	s_delay_alu instid0(TRANS32_DEP_1) | instskip(NEXT) | instid1(VALU_DEP_1)
	v_fma_f32 v67, -v63, v66, 1.0
	v_fmac_f32_e32 v66, v67, v66
	v_div_scale_f32 v67, vcc_lo, 1.0, v64, 1.0
	s_delay_alu instid0(VALU_DEP_1) | instskip(NEXT) | instid1(VALU_DEP_1)
	v_mul_f32_e32 v68, v67, v66
	v_fma_f32 v71, -v63, v68, v67
	s_delay_alu instid0(VALU_DEP_1) | instskip(NEXT) | instid1(VALU_DEP_1)
	v_fmac_f32_e32 v68, v71, v66
	v_fma_f32 v63, -v63, v68, v67
	s_wait_alu 0xfffd
	s_delay_alu instid0(VALU_DEP_1) | instskip(NEXT) | instid1(VALU_DEP_1)
	v_div_fmas_f32 v63, v63, v66, v68
	v_div_fixup_f32 v63, v63, v64, 1.0
	s_delay_alu instid0(VALU_DEP_1) | instskip(SKIP_1) | instid1(VALU_DEP_2)
	v_mul_f32_e32 v65, v65, v63
	v_xor_b32_e32 v66, 0x80000000, v63
                                        ; implicit-def: $vgpr63_vgpr64
	v_xor_b32_e32 v67, 0x80000000, v65
.LBB94_15:
	s_wait_alu 0xfffe
	s_and_not1_saveexec_b32 s1, s1
	s_cbranch_execz .LBB94_17
; %bb.16:
	v_div_scale_f32 v65, null, v63, v63, v64
	v_div_scale_f32 v68, vcc_lo, v64, v63, v64
	s_delay_alu instid0(VALU_DEP_2) | instskip(NEXT) | instid1(TRANS32_DEP_1)
	v_rcp_f32_e32 v66, v65
	v_fma_f32 v67, -v65, v66, 1.0
	s_delay_alu instid0(VALU_DEP_1) | instskip(NEXT) | instid1(VALU_DEP_1)
	v_fmac_f32_e32 v66, v67, v66
	v_mul_f32_e32 v67, v68, v66
	s_delay_alu instid0(VALU_DEP_1) | instskip(NEXT) | instid1(VALU_DEP_1)
	v_fma_f32 v71, -v65, v67, v68
	v_fmac_f32_e32 v67, v71, v66
	s_delay_alu instid0(VALU_DEP_1) | instskip(SKIP_1) | instid1(VALU_DEP_1)
	v_fma_f32 v65, -v65, v67, v68
	s_wait_alu 0xfffd
	v_div_fmas_f32 v65, v65, v66, v67
	s_delay_alu instid0(VALU_DEP_1) | instskip(NEXT) | instid1(VALU_DEP_1)
	v_div_fixup_f32 v66, v65, v63, v64
	v_fmac_f32_e32 v63, v64, v66
	s_delay_alu instid0(VALU_DEP_1) | instskip(SKIP_1) | instid1(VALU_DEP_2)
	v_div_scale_f32 v64, null, v63, v63, 1.0
	v_div_scale_f32 v68, vcc_lo, 1.0, v63, 1.0
	v_rcp_f32_e32 v65, v64
	s_delay_alu instid0(TRANS32_DEP_1) | instskip(NEXT) | instid1(VALU_DEP_1)
	v_fma_f32 v67, -v64, v65, 1.0
	v_fmac_f32_e32 v65, v67, v65
	s_delay_alu instid0(VALU_DEP_1) | instskip(NEXT) | instid1(VALU_DEP_1)
	v_mul_f32_e32 v67, v68, v65
	v_fma_f32 v71, -v64, v67, v68
	s_delay_alu instid0(VALU_DEP_1) | instskip(NEXT) | instid1(VALU_DEP_1)
	v_fmac_f32_e32 v67, v71, v65
	v_fma_f32 v64, -v64, v67, v68
	s_wait_alu 0xfffd
	s_delay_alu instid0(VALU_DEP_1) | instskip(NEXT) | instid1(VALU_DEP_1)
	v_div_fmas_f32 v64, v64, v65, v67
	v_div_fixup_f32 v65, v64, v63, 1.0
	s_delay_alu instid0(VALU_DEP_1)
	v_xor_b32_e32 v67, 0x80000000, v65
	v_mul_f32_e64 v66, v66, -v65
.LBB94_17:
	s_wait_alu 0xfffe
	s_or_b32 exec_lo, exec_lo, s1
	scratch_store_b64 v70, v[65:66], off
	scratch_load_b64 v[64:65], off, off offset:8
	v_xor_b32_e32 v68, 0x80000000, v66
	v_add_nc_u32_e32 v63, 0x100, v69
	s_wait_loadcnt 0x0
	ds_store_2addr_b64 v69, v[67:68], v[64:65] offset1:32
	s_wait_storecnt_dscnt 0x0
	s_barrier_signal -1
	s_barrier_wait -1
	global_inv scope:SCOPE_SE
	s_and_saveexec_b32 s1, s0
	s_cbranch_execz .LBB94_19
; %bb.18:
	scratch_load_b64 v[64:65], v70, off
	ds_load_b64 v[66:67], v63
	v_mov_b32_e32 v68, 0
	ds_load_b64 v[71:72], v68 offset:8
	s_wait_loadcnt_dscnt 0x1
	v_mul_f32_e32 v68, v66, v65
	v_mul_f32_e32 v65, v67, v65
	s_delay_alu instid0(VALU_DEP_2) | instskip(NEXT) | instid1(VALU_DEP_2)
	v_fmac_f32_e32 v68, v67, v64
	v_fma_f32 v64, v66, v64, -v65
	s_delay_alu instid0(VALU_DEP_2) | instskip(NEXT) | instid1(VALU_DEP_2)
	v_add_f32_e32 v66, 0, v68
	v_add_f32_e32 v64, 0, v64
	s_wait_dscnt 0x0
	s_delay_alu instid0(VALU_DEP_2) | instskip(NEXT) | instid1(VALU_DEP_2)
	v_mul_f32_e32 v67, v66, v72
	v_mul_f32_e32 v65, v64, v72
	s_delay_alu instid0(VALU_DEP_2) | instskip(NEXT) | instid1(VALU_DEP_2)
	v_fma_f32 v64, v64, v71, -v67
	v_fmac_f32_e32 v65, v66, v71
	scratch_store_b64 off, v[64:65], off offset:8
.LBB94_19:
	s_wait_alu 0xfffe
	s_or_b32 exec_lo, exec_lo, s1
	s_wait_loadcnt 0x0
	s_wait_storecnt 0x0
	s_barrier_signal -1
	s_barrier_wait -1
	global_inv scope:SCOPE_SE
	scratch_load_b64 v[64:65], off, off offset:16
	s_mov_b32 s1, exec_lo
	s_wait_loadcnt 0x0
	ds_store_b64 v63, v[64:65]
	s_wait_dscnt 0x0
	s_barrier_signal -1
	s_barrier_wait -1
	global_inv scope:SCOPE_SE
	v_cmpx_gt_u32_e32 2, v0
	s_cbranch_execz .LBB94_23
; %bb.20:
	scratch_load_b64 v[64:65], v70, off
	ds_load_b64 v[66:67], v63
	s_wait_loadcnt_dscnt 0x0
	v_mul_f32_e32 v68, v67, v65
	v_mul_f32_e32 v71, v66, v65
	s_delay_alu instid0(VALU_DEP_2) | instskip(NEXT) | instid1(VALU_DEP_2)
	v_fma_f32 v65, v66, v64, -v68
	v_fmac_f32_e32 v71, v67, v64
	s_delay_alu instid0(VALU_DEP_1)
	v_dual_add_f32 v65, 0, v65 :: v_dual_add_f32 v64, 0, v71
	s_and_saveexec_b32 s4, s0
	s_cbranch_execz .LBB94_22
; %bb.21:
	scratch_load_b64 v[66:67], off, off offset:8
	v_mov_b32_e32 v68, 0
	ds_load_b64 v[71:72], v68 offset:264
	s_wait_loadcnt_dscnt 0x0
	v_mul_f32_e32 v68, v71, v67
	v_mul_f32_e32 v67, v72, v67
	s_delay_alu instid0(VALU_DEP_2) | instskip(NEXT) | instid1(VALU_DEP_2)
	v_fmac_f32_e32 v68, v72, v66
	v_fma_f32 v66, v71, v66, -v67
	s_delay_alu instid0(VALU_DEP_1)
	v_dual_add_f32 v64, v64, v68 :: v_dual_add_f32 v65, v65, v66
.LBB94_22:
	s_wait_alu 0xfffe
	s_or_b32 exec_lo, exec_lo, s4
	v_mov_b32_e32 v66, 0
	ds_load_b64 v[66:67], v66 offset:16
	s_wait_dscnt 0x0
	v_mul_f32_e32 v71, v64, v67
	v_mul_f32_e32 v68, v65, v67
	s_delay_alu instid0(VALU_DEP_2) | instskip(NEXT) | instid1(VALU_DEP_2)
	v_fma_f32 v67, v65, v66, -v71
	v_fmac_f32_e32 v68, v64, v66
	scratch_store_b64 off, v[67:68], off offset:16
.LBB94_23:
	s_wait_alu 0xfffe
	s_or_b32 exec_lo, exec_lo, s1
	s_wait_loadcnt 0x0
	s_wait_storecnt 0x0
	s_barrier_signal -1
	s_barrier_wait -1
	global_inv scope:SCOPE_SE
	scratch_load_b64 v[65:66], off, off offset:24
	v_add_nc_u32_e32 v64, -1, v0
	s_mov_b32 s0, exec_lo
	s_wait_loadcnt 0x0
	ds_store_b64 v63, v[65:66]
	s_wait_dscnt 0x0
	s_barrier_signal -1
	s_barrier_wait -1
	global_inv scope:SCOPE_SE
	v_cmpx_gt_u32_e32 3, v0
	s_cbranch_execz .LBB94_27
; %bb.24:
	v_dual_mov_b32 v65, 0 :: v_dual_add_nc_u32 v66, -1, v0
	v_dual_mov_b32 v68, v69 :: v_dual_add_nc_u32 v67, 0x100, v69
	v_mov_b32_e32 v71, 0
	s_mov_b32 s1, 0
.LBB94_25:                              ; =>This Inner Loop Header: Depth=1
	scratch_load_b64 v[72:73], v68, off
	ds_load_b64 v[74:75], v67
	v_add_nc_u32_e32 v66, 1, v66
	v_add_nc_u32_e32 v67, 8, v67
	s_delay_alu instid0(VALU_DEP_2)
	v_cmp_lt_u32_e32 vcc_lo, 1, v66
	s_wait_alu 0xfffe
	s_or_b32 s1, vcc_lo, s1
	s_wait_loadcnt_dscnt 0x0
	v_mul_f32_e32 v76, v75, v73
	v_mul_f32_e32 v73, v74, v73
	s_delay_alu instid0(VALU_DEP_2) | instskip(NEXT) | instid1(VALU_DEP_2)
	v_fma_f32 v74, v74, v72, -v76
	v_fmac_f32_e32 v73, v75, v72
	s_delay_alu instid0(VALU_DEP_2) | instskip(NEXT) | instid1(VALU_DEP_2)
	v_dual_add_f32 v71, v71, v74 :: v_dual_add_nc_u32 v68, 8, v68
	v_add_f32_e32 v65, v65, v73
	s_wait_alu 0xfffe
	s_and_not1_b32 exec_lo, exec_lo, s1
	s_cbranch_execnz .LBB94_25
; %bb.26:
	s_or_b32 exec_lo, exec_lo, s1
	v_mov_b32_e32 v66, 0
	ds_load_b64 v[66:67], v66 offset:24
	s_wait_dscnt 0x0
	v_mul_f32_e32 v72, v65, v67
	v_mul_f32_e32 v68, v71, v67
	s_delay_alu instid0(VALU_DEP_2) | instskip(NEXT) | instid1(VALU_DEP_2)
	v_fma_f32 v67, v71, v66, -v72
	v_fmac_f32_e32 v68, v65, v66
	scratch_store_b64 off, v[67:68], off offset:24
.LBB94_27:
	s_wait_alu 0xfffe
	s_or_b32 exec_lo, exec_lo, s0
	s_wait_loadcnt 0x0
	s_wait_storecnt 0x0
	s_barrier_signal -1
	s_barrier_wait -1
	global_inv scope:SCOPE_SE
	scratch_load_b64 v[65:66], off, off offset:32
	s_mov_b32 s0, exec_lo
	s_wait_loadcnt 0x0
	ds_store_b64 v63, v[65:66]
	s_wait_dscnt 0x0
	s_barrier_signal -1
	s_barrier_wait -1
	global_inv scope:SCOPE_SE
	v_cmpx_gt_u32_e32 4, v0
	s_cbranch_execz .LBB94_31
; %bb.28:
	v_dual_mov_b32 v65, 0 :: v_dual_add_nc_u32 v66, -1, v0
	v_dual_mov_b32 v68, v69 :: v_dual_add_nc_u32 v67, 0x100, v69
	v_mov_b32_e32 v71, 0
	s_mov_b32 s1, 0
.LBB94_29:                              ; =>This Inner Loop Header: Depth=1
	scratch_load_b64 v[72:73], v68, off
	ds_load_b64 v[74:75], v67
	v_add_nc_u32_e32 v66, 1, v66
	v_add_nc_u32_e32 v67, 8, v67
	s_delay_alu instid0(VALU_DEP_2)
	v_cmp_lt_u32_e32 vcc_lo, 2, v66
	s_wait_alu 0xfffe
	s_or_b32 s1, vcc_lo, s1
	s_wait_loadcnt_dscnt 0x0
	v_mul_f32_e32 v76, v75, v73
	v_mul_f32_e32 v73, v74, v73
	s_delay_alu instid0(VALU_DEP_2) | instskip(NEXT) | instid1(VALU_DEP_2)
	v_fma_f32 v74, v74, v72, -v76
	v_fmac_f32_e32 v73, v75, v72
	s_delay_alu instid0(VALU_DEP_2) | instskip(NEXT) | instid1(VALU_DEP_2)
	v_dual_add_f32 v71, v71, v74 :: v_dual_add_nc_u32 v68, 8, v68
	v_add_f32_e32 v65, v65, v73
	s_wait_alu 0xfffe
	s_and_not1_b32 exec_lo, exec_lo, s1
	s_cbranch_execnz .LBB94_29
; %bb.30:
	s_or_b32 exec_lo, exec_lo, s1
	v_mov_b32_e32 v66, 0
	ds_load_b64 v[66:67], v66 offset:32
	s_wait_dscnt 0x0
	v_mul_f32_e32 v72, v65, v67
	v_mul_f32_e32 v68, v71, v67
	s_delay_alu instid0(VALU_DEP_2) | instskip(NEXT) | instid1(VALU_DEP_2)
	v_fma_f32 v67, v71, v66, -v72
	v_fmac_f32_e32 v68, v65, v66
	scratch_store_b64 off, v[67:68], off offset:32
.LBB94_31:
	s_wait_alu 0xfffe
	s_or_b32 exec_lo, exec_lo, s0
	s_wait_loadcnt 0x0
	s_wait_storecnt 0x0
	s_barrier_signal -1
	s_barrier_wait -1
	global_inv scope:SCOPE_SE
	scratch_load_b64 v[65:66], off, off offset:40
	;; [unrolled: 55-line block ×19, first 2 shown]
	s_mov_b32 s0, exec_lo
	s_wait_loadcnt 0x0
	ds_store_b64 v63, v[65:66]
	s_wait_dscnt 0x0
	s_barrier_signal -1
	s_barrier_wait -1
	global_inv scope:SCOPE_SE
	v_cmpx_gt_u32_e32 22, v0
	s_cbranch_execz .LBB94_103
; %bb.100:
	v_dual_mov_b32 v65, 0 :: v_dual_add_nc_u32 v66, -1, v0
	v_dual_mov_b32 v68, v69 :: v_dual_add_nc_u32 v67, 0x100, v69
	v_mov_b32_e32 v71, 0
	s_mov_b32 s1, 0
.LBB94_101:                             ; =>This Inner Loop Header: Depth=1
	scratch_load_b64 v[72:73], v68, off
	ds_load_b64 v[74:75], v67
	v_add_nc_u32_e32 v66, 1, v66
	v_add_nc_u32_e32 v67, 8, v67
	s_delay_alu instid0(VALU_DEP_2)
	v_cmp_lt_u32_e32 vcc_lo, 20, v66
	s_wait_alu 0xfffe
	s_or_b32 s1, vcc_lo, s1
	s_wait_loadcnt_dscnt 0x0
	v_mul_f32_e32 v76, v75, v73
	v_mul_f32_e32 v73, v74, v73
	s_delay_alu instid0(VALU_DEP_2) | instskip(NEXT) | instid1(VALU_DEP_2)
	v_fma_f32 v74, v74, v72, -v76
	v_fmac_f32_e32 v73, v75, v72
	s_delay_alu instid0(VALU_DEP_2) | instskip(NEXT) | instid1(VALU_DEP_2)
	v_dual_add_f32 v71, v71, v74 :: v_dual_add_nc_u32 v68, 8, v68
	v_add_f32_e32 v65, v65, v73
	s_wait_alu 0xfffe
	s_and_not1_b32 exec_lo, exec_lo, s1
	s_cbranch_execnz .LBB94_101
; %bb.102:
	s_or_b32 exec_lo, exec_lo, s1
	v_mov_b32_e32 v66, 0
	ds_load_b64 v[66:67], v66 offset:176
	s_wait_dscnt 0x0
	v_mul_f32_e32 v72, v65, v67
	v_mul_f32_e32 v68, v71, v67
	s_delay_alu instid0(VALU_DEP_2) | instskip(NEXT) | instid1(VALU_DEP_2)
	v_fma_f32 v67, v71, v66, -v72
	v_fmac_f32_e32 v68, v65, v66
	scratch_store_b64 off, v[67:68], off offset:176
.LBB94_103:
	s_wait_alu 0xfffe
	s_or_b32 exec_lo, exec_lo, s0
	s_wait_loadcnt 0x0
	s_wait_storecnt 0x0
	s_barrier_signal -1
	s_barrier_wait -1
	global_inv scope:SCOPE_SE
	scratch_load_b64 v[65:66], off, off offset:184
	s_mov_b32 s0, exec_lo
	s_wait_loadcnt 0x0
	ds_store_b64 v63, v[65:66]
	s_wait_dscnt 0x0
	s_barrier_signal -1
	s_barrier_wait -1
	global_inv scope:SCOPE_SE
	v_cmpx_gt_u32_e32 23, v0
	s_cbranch_execz .LBB94_107
; %bb.104:
	v_dual_mov_b32 v65, 0 :: v_dual_add_nc_u32 v66, -1, v0
	v_dual_mov_b32 v68, v69 :: v_dual_add_nc_u32 v67, 0x100, v69
	v_mov_b32_e32 v71, 0
	s_mov_b32 s1, 0
.LBB94_105:                             ; =>This Inner Loop Header: Depth=1
	scratch_load_b64 v[72:73], v68, off
	ds_load_b64 v[74:75], v67
	v_add_nc_u32_e32 v66, 1, v66
	v_add_nc_u32_e32 v67, 8, v67
	s_delay_alu instid0(VALU_DEP_2)
	v_cmp_lt_u32_e32 vcc_lo, 21, v66
	s_wait_alu 0xfffe
	s_or_b32 s1, vcc_lo, s1
	s_wait_loadcnt_dscnt 0x0
	v_mul_f32_e32 v76, v75, v73
	v_mul_f32_e32 v73, v74, v73
	s_delay_alu instid0(VALU_DEP_2) | instskip(NEXT) | instid1(VALU_DEP_2)
	v_fma_f32 v74, v74, v72, -v76
	v_fmac_f32_e32 v73, v75, v72
	s_delay_alu instid0(VALU_DEP_2) | instskip(NEXT) | instid1(VALU_DEP_2)
	v_dual_add_f32 v71, v71, v74 :: v_dual_add_nc_u32 v68, 8, v68
	v_add_f32_e32 v65, v65, v73
	s_wait_alu 0xfffe
	s_and_not1_b32 exec_lo, exec_lo, s1
	s_cbranch_execnz .LBB94_105
; %bb.106:
	s_or_b32 exec_lo, exec_lo, s1
	v_mov_b32_e32 v66, 0
	ds_load_b64 v[66:67], v66 offset:184
	s_wait_dscnt 0x0
	v_mul_f32_e32 v72, v65, v67
	v_mul_f32_e32 v68, v71, v67
	s_delay_alu instid0(VALU_DEP_2) | instskip(NEXT) | instid1(VALU_DEP_2)
	v_fma_f32 v67, v71, v66, -v72
	v_fmac_f32_e32 v68, v65, v66
	scratch_store_b64 off, v[67:68], off offset:184
.LBB94_107:
	s_wait_alu 0xfffe
	s_or_b32 exec_lo, exec_lo, s0
	s_wait_loadcnt 0x0
	s_wait_storecnt 0x0
	s_barrier_signal -1
	s_barrier_wait -1
	global_inv scope:SCOPE_SE
	scratch_load_b64 v[65:66], off, off offset:192
	;; [unrolled: 55-line block ×7, first 2 shown]
	s_mov_b32 s0, exec_lo
	s_wait_loadcnt 0x0
	ds_store_b64 v63, v[65:66]
	s_wait_dscnt 0x0
	s_barrier_signal -1
	s_barrier_wait -1
	global_inv scope:SCOPE_SE
	v_cmpx_gt_u32_e32 29, v0
	s_cbranch_execz .LBB94_131
; %bb.128:
	v_dual_mov_b32 v65, 0 :: v_dual_add_nc_u32 v66, -1, v0
	v_dual_mov_b32 v68, v69 :: v_dual_add_nc_u32 v67, 0x100, v69
	v_mov_b32_e32 v69, 0
	s_mov_b32 s1, 0
.LBB94_129:                             ; =>This Inner Loop Header: Depth=1
	scratch_load_b64 v[71:72], v68, off
	ds_load_b64 v[73:74], v67
	v_add_nc_u32_e32 v68, 8, v68
	v_add_nc_u32_e32 v66, 1, v66
	;; [unrolled: 1-line block ×3, first 2 shown]
	s_delay_alu instid0(VALU_DEP_2)
	v_cmp_lt_u32_e32 vcc_lo, 27, v66
	s_wait_alu 0xfffe
	s_or_b32 s1, vcc_lo, s1
	s_wait_loadcnt_dscnt 0x0
	v_mul_f32_e32 v75, v74, v72
	v_mul_f32_e32 v72, v73, v72
	s_delay_alu instid0(VALU_DEP_2) | instskip(NEXT) | instid1(VALU_DEP_1)
	v_fma_f32 v73, v73, v71, -v75
	v_dual_fmac_f32 v72, v74, v71 :: v_dual_add_f32 v69, v69, v73
	s_delay_alu instid0(VALU_DEP_1)
	v_add_f32_e32 v65, v65, v72
	s_wait_alu 0xfffe
	s_and_not1_b32 exec_lo, exec_lo, s1
	s_cbranch_execnz .LBB94_129
; %bb.130:
	s_or_b32 exec_lo, exec_lo, s1
	v_mov_b32_e32 v66, 0
	ds_load_b64 v[66:67], v66 offset:232
	s_wait_dscnt 0x0
	v_mul_f32_e32 v71, v65, v67
	v_mul_f32_e32 v68, v69, v67
	s_delay_alu instid0(VALU_DEP_2) | instskip(NEXT) | instid1(VALU_DEP_2)
	v_fma_f32 v67, v69, v66, -v71
	v_fmac_f32_e32 v68, v65, v66
	scratch_store_b64 off, v[67:68], off offset:232
.LBB94_131:
	s_wait_alu 0xfffe
	s_or_b32 exec_lo, exec_lo, s0
	s_wait_loadcnt 0x0
	s_wait_storecnt 0x0
	s_barrier_signal -1
	s_barrier_wait -1
	global_inv scope:SCOPE_SE
	scratch_load_b64 v[65:66], off, off offset:240
	s_mov_b32 s0, exec_lo
	s_wait_loadcnt 0x0
	ds_store_b64 v63, v[65:66]
	s_wait_dscnt 0x0
	s_barrier_signal -1
	s_barrier_wait -1
	global_inv scope:SCOPE_SE
	v_cmpx_ne_u32_e32 30, v0
	s_cbranch_execz .LBB94_135
; %bb.132:
	v_dual_mov_b32 v65, 0 :: v_dual_mov_b32 v66, 0
	s_mov_b32 s1, 0
.LBB94_133:                             ; =>This Inner Loop Header: Depth=1
	scratch_load_b64 v[67:68], v70, off
	ds_load_b64 v[71:72], v63
	v_add_nc_u32_e32 v64, 1, v64
	v_add_nc_u32_e32 v63, 8, v63
	;; [unrolled: 1-line block ×3, first 2 shown]
	s_delay_alu instid0(VALU_DEP_3)
	v_cmp_lt_u32_e32 vcc_lo, 28, v64
	s_wait_alu 0xfffe
	s_or_b32 s1, vcc_lo, s1
	s_wait_loadcnt_dscnt 0x0
	v_mul_f32_e32 v69, v72, v68
	v_mul_f32_e32 v68, v71, v68
	s_delay_alu instid0(VALU_DEP_2) | instskip(NEXT) | instid1(VALU_DEP_2)
	v_fma_f32 v69, v71, v67, -v69
	v_fmac_f32_e32 v68, v72, v67
	s_delay_alu instid0(VALU_DEP_1)
	v_dual_add_f32 v66, v66, v69 :: v_dual_add_f32 v65, v65, v68
	s_wait_alu 0xfffe
	s_and_not1_b32 exec_lo, exec_lo, s1
	s_cbranch_execnz .LBB94_133
; %bb.134:
	s_or_b32 exec_lo, exec_lo, s1
	v_mov_b32_e32 v63, 0
	ds_load_b64 v[63:64], v63 offset:240
	s_wait_dscnt 0x0
	v_mul_f32_e32 v68, v65, v64
	v_mul_f32_e32 v67, v66, v64
	s_delay_alu instid0(VALU_DEP_2) | instskip(NEXT) | instid1(VALU_DEP_2)
	v_fma_f32 v66, v66, v63, -v68
	v_fmac_f32_e32 v67, v65, v63
	scratch_store_b64 off, v[66:67], off offset:240
.LBB94_135:
	s_wait_alu 0xfffe
	s_or_b32 exec_lo, exec_lo, s0
	s_mov_b32 s1, -1
	s_wait_loadcnt 0x0
	s_wait_storecnt 0x0
	s_barrier_signal -1
	s_barrier_wait -1
	global_inv scope:SCOPE_SE
.LBB94_136:
	s_wait_alu 0xfffe
	s_and_b32 vcc_lo, exec_lo, s1
	s_wait_alu 0xfffe
	s_cbranch_vccz .LBB94_138
; %bb.137:
	v_mov_b32_e32 v63, 0
	s_lshl_b64 s[0:1], s[8:9], 2
	s_wait_alu 0xfffe
	s_add_nc_u64 s[0:1], s[6:7], s[0:1]
	global_load_b32 v63, v63, s[0:1]
	s_wait_loadcnt 0x0
	v_cmp_ne_u32_e32 vcc_lo, 0, v63
	s_cbranch_vccz .LBB94_139
.LBB94_138:
	s_nop 0
	s_sendmsg sendmsg(MSG_DEALLOC_VGPRS)
	s_endpgm
.LBB94_139:
	v_lshl_add_u32 v65, v0, 3, 0x100
	s_mov_b32 s0, exec_lo
	v_cmpx_eq_u32_e32 30, v0
	s_cbranch_execz .LBB94_141
; %bb.140:
	scratch_load_b64 v[63:64], off, off offset:232
	v_mov_b32_e32 v66, 0
	s_delay_alu instid0(VALU_DEP_1)
	v_mov_b32_e32 v67, v66
	scratch_store_b64 off, v[66:67], off offset:232
	s_wait_loadcnt 0x0
	ds_store_b64 v65, v[63:64]
.LBB94_141:
	s_wait_alu 0xfffe
	s_or_b32 exec_lo, exec_lo, s0
	s_wait_storecnt_dscnt 0x0
	s_barrier_signal -1
	s_barrier_wait -1
	global_inv scope:SCOPE_SE
	s_clause 0x1
	scratch_load_b64 v[66:67], off, off offset:240
	scratch_load_b64 v[68:69], off, off offset:232
	v_mov_b32_e32 v63, 0
	s_mov_b32 s0, exec_lo
	ds_load_b64 v[70:71], v63 offset:496
	s_wait_loadcnt_dscnt 0x100
	v_mul_f32_e32 v64, v71, v67
	s_delay_alu instid0(VALU_DEP_1) | instskip(NEXT) | instid1(VALU_DEP_1)
	v_fma_f32 v64, v70, v66, -v64
	v_dual_mul_f32 v67, v70, v67 :: v_dual_add_f32 v64, 0, v64
	s_wait_loadcnt 0x0
	s_delay_alu instid0(VALU_DEP_1) | instskip(NEXT) | instid1(VALU_DEP_1)
	v_dual_fmac_f32 v67, v71, v66 :: v_dual_sub_f32 v66, v68, v64
	v_add_f32_e32 v67, 0, v67
	s_delay_alu instid0(VALU_DEP_1)
	v_sub_f32_e32 v67, v69, v67
	scratch_store_b64 off, v[66:67], off offset:232
	v_cmpx_lt_u32_e32 28, v0
	s_cbranch_execz .LBB94_143
; %bb.142:
	scratch_load_b64 v[66:67], off, off offset:224
	v_mov_b32_e32 v64, v63
	scratch_store_b64 off, v[63:64], off offset:224
	s_wait_loadcnt 0x0
	ds_store_b64 v65, v[66:67]
.LBB94_143:
	s_wait_alu 0xfffe
	s_or_b32 exec_lo, exec_lo, s0
	s_wait_storecnt_dscnt 0x0
	s_barrier_signal -1
	s_barrier_wait -1
	global_inv scope:SCOPE_SE
	s_clause 0x1
	scratch_load_b128 v[66:69], off, off offset:232
	scratch_load_b64 v[74:75], off, off offset:224
	ds_load_2addr_b64 v[70:73], v63 offset0:61 offset1:62
	s_mov_b32 s0, exec_lo
	s_wait_loadcnt_dscnt 0x100
	v_mul_f32_e32 v64, v70, v67
	s_delay_alu instid0(VALU_DEP_1) | instskip(SKIP_2) | instid1(VALU_DEP_1)
	v_fmac_f32_e32 v64, v71, v66
	v_mul_f32_e32 v63, v71, v67
	v_mul_f32_e32 v67, v72, v69
	v_fmac_f32_e32 v67, v73, v68
	s_delay_alu instid0(VALU_DEP_4) | instskip(NEXT) | instid1(VALU_DEP_4)
	v_dual_add_f32 v64, 0, v64 :: v_dual_mul_f32 v69, v73, v69
	v_fma_f32 v63, v70, v66, -v63
	s_delay_alu instid0(VALU_DEP_2) | instskip(NEXT) | instid1(VALU_DEP_3)
	v_add_f32_e32 v64, v64, v67
	v_fma_f32 v66, v72, v68, -v69
	s_wait_loadcnt 0x0
	s_delay_alu instid0(VALU_DEP_2) | instskip(NEXT) | instid1(VALU_DEP_1)
	v_dual_add_f32 v63, 0, v63 :: v_dual_sub_f32 v64, v75, v64
	v_add_f32_e32 v63, v63, v66
	s_delay_alu instid0(VALU_DEP_1)
	v_sub_f32_e32 v63, v74, v63
	scratch_store_b64 off, v[63:64], off offset:224
	v_cmpx_lt_u32_e32 27, v0
	s_cbranch_execz .LBB94_145
; %bb.144:
	scratch_load_b64 v[63:64], off, off offset:216
	v_mov_b32_e32 v66, 0
	s_delay_alu instid0(VALU_DEP_1)
	v_mov_b32_e32 v67, v66
	scratch_store_b64 off, v[66:67], off offset:216
	s_wait_loadcnt 0x0
	ds_store_b64 v65, v[63:64]
.LBB94_145:
	s_wait_alu 0xfffe
	s_or_b32 exec_lo, exec_lo, s0
	s_wait_storecnt_dscnt 0x0
	s_barrier_signal -1
	s_barrier_wait -1
	global_inv scope:SCOPE_SE
	s_clause 0x2
	scratch_load_b128 v[66:69], off, off offset:224
	scratch_load_b64 v[74:75], off, off offset:240
	scratch_load_b64 v[76:77], off, off offset:216
	v_mov_b32_e32 v63, 0
	ds_load_b128 v[70:73], v63 offset:480
	ds_load_b64 v[78:79], v63 offset:496
	s_mov_b32 s0, exec_lo
	s_wait_loadcnt_dscnt 0x201
	v_mul_f32_e32 v64, v71, v67
	v_dual_mul_f32 v67, v70, v67 :: v_dual_mul_f32 v80, v72, v69
	v_mul_f32_e32 v69, v73, v69
	s_wait_loadcnt_dscnt 0x100
	v_mul_f32_e32 v81, v78, v75
	v_fma_f32 v64, v70, v66, -v64
	v_fmac_f32_e32 v67, v71, v66
	v_mul_f32_e32 v66, v79, v75
	v_fmac_f32_e32 v80, v73, v68
	v_fma_f32 v68, v72, v68, -v69
	s_delay_alu instid0(VALU_DEP_4) | instskip(NEXT) | instid1(VALU_DEP_4)
	v_dual_add_f32 v64, 0, v64 :: v_dual_add_f32 v67, 0, v67
	v_fma_f32 v66, v78, v74, -v66
	s_delay_alu instid0(VALU_DEP_2) | instskip(NEXT) | instid1(VALU_DEP_1)
	v_add_f32_e32 v64, v64, v68
	v_dual_add_f32 v67, v67, v80 :: v_dual_add_f32 v64, v64, v66
	s_wait_loadcnt 0x0
	s_delay_alu instid0(VALU_DEP_1) | instskip(NEXT) | instid1(VALU_DEP_1)
	v_dual_fmac_f32 v81, v79, v74 :: v_dual_sub_f32 v66, v76, v64
	v_add_f32_e32 v67, v67, v81
	s_delay_alu instid0(VALU_DEP_1)
	v_sub_f32_e32 v67, v77, v67
	scratch_store_b64 off, v[66:67], off offset:216
	v_cmpx_lt_u32_e32 26, v0
	s_cbranch_execz .LBB94_147
; %bb.146:
	scratch_load_b64 v[66:67], off, off offset:208
	v_mov_b32_e32 v64, v63
	scratch_store_b64 off, v[63:64], off offset:208
	s_wait_loadcnt 0x0
	ds_store_b64 v65, v[66:67]
.LBB94_147:
	s_wait_alu 0xfffe
	s_or_b32 exec_lo, exec_lo, s0
	s_wait_storecnt_dscnt 0x0
	s_barrier_signal -1
	s_barrier_wait -1
	global_inv scope:SCOPE_SE
	s_clause 0x2
	scratch_load_b128 v[66:69], off, off offset:216
	scratch_load_b128 v[70:73], off, off offset:232
	scratch_load_b64 v[82:83], off, off offset:208
	ds_load_2addr_b64 v[74:77], v63 offset0:59 offset1:60
	ds_load_2addr_b64 v[78:81], v63 offset0:61 offset1:62
	s_mov_b32 s0, exec_lo
	s_wait_loadcnt_dscnt 0x201
	v_mul_f32_e32 v64, v75, v67
	s_wait_loadcnt_dscnt 0x100
	v_dual_mul_f32 v84, v78, v71 :: v_dual_mul_f32 v85, v80, v73
	s_delay_alu instid0(VALU_DEP_2) | instskip(SKIP_2) | instid1(VALU_DEP_4)
	v_fma_f32 v64, v74, v66, -v64
	v_mul_f32_e32 v63, v74, v67
	v_mul_f32_e32 v67, v76, v69
	v_dual_mul_f32 v69, v77, v69 :: v_dual_fmac_f32 v84, v79, v70
	s_delay_alu instid0(VALU_DEP_3) | instskip(NEXT) | instid1(VALU_DEP_3)
	v_dual_add_f32 v64, 0, v64 :: v_dual_fmac_f32 v63, v75, v66
	v_dual_mul_f32 v66, v79, v71 :: v_dual_fmac_f32 v67, v77, v68
	s_delay_alu instid0(VALU_DEP_3) | instskip(SKIP_1) | instid1(VALU_DEP_3)
	v_fma_f32 v68, v76, v68, -v69
	v_fmac_f32_e32 v85, v81, v72
	v_fma_f32 v66, v78, v70, -v66
	s_delay_alu instid0(VALU_DEP_3) | instskip(NEXT) | instid1(VALU_DEP_1)
	v_dual_add_f32 v64, v64, v68 :: v_dual_add_f32 v63, 0, v63
	v_dual_add_f32 v64, v64, v66 :: v_dual_mul_f32 v69, v81, v73
	s_delay_alu instid0(VALU_DEP_2) | instskip(NEXT) | instid1(VALU_DEP_2)
	v_add_f32_e32 v63, v63, v67
	v_fma_f32 v67, v80, v72, -v69
	s_delay_alu instid0(VALU_DEP_1) | instskip(SKIP_1) | instid1(VALU_DEP_1)
	v_dual_add_f32 v63, v63, v84 :: v_dual_add_f32 v64, v64, v67
	s_wait_loadcnt 0x0
	v_dual_add_f32 v66, v63, v85 :: v_dual_sub_f32 v63, v82, v64
	s_delay_alu instid0(VALU_DEP_1)
	v_sub_f32_e32 v64, v83, v66
	scratch_store_b64 off, v[63:64], off offset:208
	v_cmpx_lt_u32_e32 25, v0
	s_cbranch_execz .LBB94_149
; %bb.148:
	scratch_load_b64 v[63:64], off, off offset:200
	v_mov_b32_e32 v66, 0
	s_delay_alu instid0(VALU_DEP_1)
	v_mov_b32_e32 v67, v66
	scratch_store_b64 off, v[66:67], off offset:200
	s_wait_loadcnt 0x0
	ds_store_b64 v65, v[63:64]
.LBB94_149:
	s_wait_alu 0xfffe
	s_or_b32 exec_lo, exec_lo, s0
	s_wait_storecnt_dscnt 0x0
	s_barrier_signal -1
	s_barrier_wait -1
	global_inv scope:SCOPE_SE
	s_clause 0x3
	scratch_load_b128 v[66:69], off, off offset:208
	scratch_load_b128 v[70:73], off, off offset:224
	scratch_load_b64 v[82:83], off, off offset:240
	scratch_load_b64 v[84:85], off, off offset:200
	v_mov_b32_e32 v63, 0
	ds_load_b128 v[74:77], v63 offset:464
	ds_load_b128 v[78:81], v63 offset:480
	ds_load_b64 v[86:87], v63 offset:496
	s_mov_b32 s0, exec_lo
	s_wait_loadcnt_dscnt 0x302
	v_mul_f32_e32 v64, v74, v67
	v_dual_mul_f32 v88, v76, v69 :: v_dual_mul_f32 v67, v75, v67
	s_wait_loadcnt_dscnt 0x100
	v_mul_f32_e32 v91, v86, v83
	v_dual_mul_f32 v89, v78, v71 :: v_dual_mul_f32 v90, v80, v73
	v_dual_fmac_f32 v64, v75, v66 :: v_dual_mul_f32 v69, v77, v69
	v_fma_f32 v67, v74, v66, -v67
	v_fmac_f32_e32 v88, v77, v68
	v_mul_f32_e32 v66, v79, v71
	s_delay_alu instid0(VALU_DEP_4) | instskip(SKIP_3) | instid1(VALU_DEP_4)
	v_add_f32_e32 v64, 0, v64
	v_fma_f32 v68, v76, v68, -v69
	v_add_f32_e32 v67, 0, v67
	v_mul_f32_e32 v69, v81, v73
	v_dual_fmac_f32 v89, v79, v70 :: v_dual_add_f32 v64, v64, v88
	v_dual_fmac_f32 v90, v81, v72 :: v_dual_fmac_f32 v91, v87, v82
	s_delay_alu instid0(VALU_DEP_4) | instskip(SKIP_1) | instid1(VALU_DEP_4)
	v_add_f32_e32 v67, v67, v68
	v_fma_f32 v66, v78, v70, -v66
	v_add_f32_e32 v64, v64, v89
	v_fma_f32 v69, v80, v72, -v69
	s_delay_alu instid0(VALU_DEP_3) | instskip(NEXT) | instid1(VALU_DEP_3)
	v_add_f32_e32 v66, v67, v66
	v_add_f32_e32 v64, v64, v90
	s_delay_alu instid0(VALU_DEP_2) | instskip(NEXT) | instid1(VALU_DEP_2)
	v_add_f32_e32 v66, v66, v69
	v_add_f32_e32 v64, v64, v91
	v_mul_f32_e32 v68, v87, v83
	s_delay_alu instid0(VALU_DEP_1) | instskip(SKIP_1) | instid1(VALU_DEP_1)
	v_fma_f32 v67, v86, v82, -v68
	s_wait_loadcnt 0x0
	v_dual_add_f32 v66, v66, v67 :: v_dual_sub_f32 v67, v85, v64
	s_delay_alu instid0(VALU_DEP_1)
	v_sub_f32_e32 v66, v84, v66
	scratch_store_b64 off, v[66:67], off offset:200
	v_cmpx_lt_u32_e32 24, v0
	s_cbranch_execz .LBB94_151
; %bb.150:
	scratch_load_b64 v[66:67], off, off offset:192
	v_mov_b32_e32 v64, v63
	scratch_store_b64 off, v[63:64], off offset:192
	s_wait_loadcnt 0x0
	ds_store_b64 v65, v[66:67]
.LBB94_151:
	s_wait_alu 0xfffe
	s_or_b32 exec_lo, exec_lo, s0
	s_wait_storecnt_dscnt 0x0
	s_barrier_signal -1
	s_barrier_wait -1
	global_inv scope:SCOPE_SE
	s_clause 0x3
	scratch_load_b128 v[66:69], off, off offset:200
	scratch_load_b128 v[70:73], off, off offset:216
	;; [unrolled: 1-line block ×3, first 2 shown]
	scratch_load_b64 v[90:91], off, off offset:192
	ds_load_2addr_b64 v[78:81], v63 offset0:57 offset1:58
	ds_load_2addr_b64 v[82:85], v63 offset0:59 offset1:60
	;; [unrolled: 1-line block ×3, first 2 shown]
	s_mov_b32 s0, exec_lo
	s_wait_loadcnt_dscnt 0x302
	v_dual_mul_f32 v63, v78, v67 :: v_dual_mul_f32 v64, v80, v69
	v_mul_f32_e32 v67, v79, v67
	s_wait_loadcnt_dscnt 0x201
	v_dual_mul_f32 v69, v81, v69 :: v_dual_mul_f32 v92, v82, v71
	s_delay_alu instid0(VALU_DEP_3) | instskip(NEXT) | instid1(VALU_DEP_3)
	v_dual_mul_f32 v93, v84, v73 :: v_dual_fmac_f32 v64, v81, v68
	v_fma_f32 v67, v78, v66, -v67
	v_fmac_f32_e32 v63, v79, v66
	v_mul_f32_e32 v66, v83, v71
	v_fma_f32 v68, v80, v68, -v69
	v_mul_f32_e32 v69, v85, v73
	v_dual_add_f32 v67, 0, v67 :: v_dual_fmac_f32 v92, v83, v70
	s_delay_alu instid0(VALU_DEP_4) | instskip(SKIP_2) | instid1(VALU_DEP_3)
	v_fma_f32 v66, v82, v70, -v66
	s_wait_loadcnt_dscnt 0x100
	v_dual_mul_f32 v94, v86, v75 :: v_dual_mul_f32 v95, v88, v77
	v_add_f32_e32 v67, v67, v68
	v_fmac_f32_e32 v93, v85, v72
	v_fma_f32 v68, v84, v72, -v69
	s_delay_alu instid0(VALU_DEP_4) | instskip(NEXT) | instid1(VALU_DEP_4)
	v_dual_fmac_f32 v94, v87, v74 :: v_dual_fmac_f32 v95, v89, v76
	v_add_f32_e32 v66, v67, v66
	s_delay_alu instid0(VALU_DEP_1) | instskip(SKIP_1) | instid1(VALU_DEP_1)
	v_dual_add_f32 v66, v66, v68 :: v_dual_add_f32 v63, 0, v63
	v_mul_f32_e32 v67, v89, v77
	v_fma_f32 v67, v88, v76, -v67
	s_delay_alu instid0(VALU_DEP_3) | instskip(SKIP_1) | instid1(VALU_DEP_1)
	v_add_f32_e32 v63, v63, v64
	v_mul_f32_e32 v64, v87, v75
	v_fma_f32 v64, v86, v74, -v64
	s_delay_alu instid0(VALU_DEP_1) | instskip(NEXT) | instid1(VALU_DEP_1)
	v_add_f32_e32 v64, v66, v64
	v_dual_add_f32 v64, v64, v67 :: v_dual_add_f32 v63, v63, v92
	s_delay_alu instid0(VALU_DEP_1) | instskip(NEXT) | instid1(VALU_DEP_1)
	v_add_f32_e32 v63, v63, v93
	v_add_f32_e32 v63, v63, v94
	s_wait_loadcnt 0x0
	s_delay_alu instid0(VALU_DEP_1) | instskip(NEXT) | instid1(VALU_DEP_1)
	v_dual_add_f32 v66, v63, v95 :: v_dual_sub_f32 v63, v90, v64
	v_sub_f32_e32 v64, v91, v66
	scratch_store_b64 off, v[63:64], off offset:192
	v_cmpx_lt_u32_e32 23, v0
	s_cbranch_execz .LBB94_153
; %bb.152:
	scratch_load_b64 v[63:64], off, off offset:184
	v_mov_b32_e32 v66, 0
	s_delay_alu instid0(VALU_DEP_1)
	v_mov_b32_e32 v67, v66
	scratch_store_b64 off, v[66:67], off offset:184
	s_wait_loadcnt 0x0
	ds_store_b64 v65, v[63:64]
.LBB94_153:
	s_wait_alu 0xfffe
	s_or_b32 exec_lo, exec_lo, s0
	s_wait_storecnt_dscnt 0x0
	s_barrier_signal -1
	s_barrier_wait -1
	global_inv scope:SCOPE_SE
	s_clause 0x4
	scratch_load_b128 v[66:69], off, off offset:192
	scratch_load_b128 v[70:73], off, off offset:208
	;; [unrolled: 1-line block ×3, first 2 shown]
	scratch_load_b64 v[90:91], off, off offset:240
	scratch_load_b64 v[92:93], off, off offset:184
	v_mov_b32_e32 v63, 0
	ds_load_b128 v[78:81], v63 offset:448
	ds_load_b128 v[82:85], v63 offset:464
	;; [unrolled: 1-line block ×3, first 2 shown]
	ds_load_b64 v[94:95], v63 offset:496
	s_mov_b32 s0, exec_lo
	s_wait_loadcnt_dscnt 0x403
	v_mul_f32_e32 v64, v78, v67
	s_wait_loadcnt_dscnt 0x302
	v_dual_mul_f32 v96, v80, v69 :: v_dual_mul_f32 v97, v82, v71
	v_dual_mul_f32 v98, v84, v73 :: v_dual_mul_f32 v67, v79, v67
	s_wait_loadcnt_dscnt 0x100
	v_dual_mul_f32 v101, v94, v91 :: v_dual_fmac_f32 v64, v79, v66
	v_mul_f32_e32 v69, v81, v69
	v_dual_mul_f32 v99, v86, v75 :: v_dual_mul_f32 v100, v88, v77
	v_fma_f32 v67, v78, v66, -v67
	v_fmac_f32_e32 v96, v81, v68
	v_add_f32_e32 v64, 0, v64
	v_mul_f32_e32 v66, v83, v71
	v_fma_f32 v68, v80, v68, -v69
	v_add_f32_e32 v67, 0, v67
	v_mul_f32_e32 v69, v85, v73
	v_dual_fmac_f32 v97, v83, v70 :: v_dual_add_f32 v64, v64, v96
	v_dual_fmac_f32 v98, v85, v72 :: v_dual_fmac_f32 v99, v87, v74
	s_delay_alu instid0(VALU_DEP_4) | instskip(SKIP_1) | instid1(VALU_DEP_4)
	v_add_f32_e32 v67, v67, v68
	v_dual_fmac_f32 v100, v89, v76 :: v_dual_fmac_f32 v101, v95, v90
	v_add_f32_e32 v64, v64, v97
	v_fma_f32 v66, v82, v70, -v66
	v_mul_f32_e32 v68, v87, v75
	v_fma_f32 v69, v84, v72, -v69
	s_delay_alu instid0(VALU_DEP_4) | instskip(NEXT) | instid1(VALU_DEP_1)
	v_add_f32_e32 v64, v64, v98
	v_add_f32_e32 v64, v64, v99
	s_delay_alu instid0(VALU_DEP_1) | instskip(NEXT) | instid1(VALU_DEP_1)
	v_add_f32_e32 v64, v64, v100
	v_add_f32_e32 v64, v64, v101
	v_dual_add_f32 v66, v67, v66 :: v_dual_mul_f32 v67, v89, v77
	v_fma_f32 v68, v86, v74, -v68
	s_delay_alu instid0(VALU_DEP_2) | instskip(NEXT) | instid1(VALU_DEP_3)
	v_dual_add_f32 v66, v66, v69 :: v_dual_mul_f32 v69, v95, v91
	v_fma_f32 v67, v88, v76, -v67
	s_delay_alu instid0(VALU_DEP_2) | instskip(NEXT) | instid1(VALU_DEP_3)
	v_add_f32_e32 v66, v66, v68
	v_fma_f32 v68, v94, v90, -v69
	s_wait_loadcnt 0x0
	s_delay_alu instid0(VALU_DEP_2) | instskip(NEXT) | instid1(VALU_DEP_1)
	v_dual_add_f32 v66, v66, v67 :: v_dual_sub_f32 v67, v93, v64
	v_add_f32_e32 v66, v66, v68
	s_delay_alu instid0(VALU_DEP_1)
	v_sub_f32_e32 v66, v92, v66
	scratch_store_b64 off, v[66:67], off offset:184
	v_cmpx_lt_u32_e32 22, v0
	s_cbranch_execz .LBB94_155
; %bb.154:
	scratch_load_b64 v[66:67], off, off offset:176
	v_mov_b32_e32 v64, v63
	scratch_store_b64 off, v[63:64], off offset:176
	s_wait_loadcnt 0x0
	ds_store_b64 v65, v[66:67]
.LBB94_155:
	s_wait_alu 0xfffe
	s_or_b32 exec_lo, exec_lo, s0
	s_wait_storecnt_dscnt 0x0
	s_barrier_signal -1
	s_barrier_wait -1
	global_inv scope:SCOPE_SE
	s_clause 0x4
	scratch_load_b128 v[66:69], off, off offset:184
	scratch_load_b128 v[70:73], off, off offset:200
	;; [unrolled: 1-line block ×4, first 2 shown]
	scratch_load_b64 v[98:99], off, off offset:176
	ds_load_2addr_b64 v[82:85], v63 offset0:55 offset1:56
	ds_load_2addr_b64 v[86:89], v63 offset0:57 offset1:58
	;; [unrolled: 1-line block ×4, first 2 shown]
	s_mov_b32 s0, exec_lo
	s_wait_loadcnt_dscnt 0x403
	v_dual_mul_f32 v63, v82, v67 :: v_dual_mul_f32 v64, v84, v69
	v_mul_f32_e32 v67, v83, v67
	s_wait_loadcnt_dscnt 0x302
	v_dual_mul_f32 v69, v85, v69 :: v_dual_mul_f32 v100, v86, v71
	s_delay_alu instid0(VALU_DEP_3) | instskip(NEXT) | instid1(VALU_DEP_3)
	v_dual_mul_f32 v101, v88, v73 :: v_dual_fmac_f32 v64, v85, v68
	v_fma_f32 v67, v82, v66, -v67
	v_fmac_f32_e32 v63, v83, v66
	v_mul_f32_e32 v66, v87, v71
	v_fma_f32 v68, v84, v68, -v69
	v_mul_f32_e32 v69, v89, v73
	v_dual_add_f32 v67, 0, v67 :: v_dual_fmac_f32 v100, v87, v70
	s_delay_alu instid0(VALU_DEP_4) | instskip(SKIP_2) | instid1(VALU_DEP_3)
	v_fma_f32 v66, v86, v70, -v66
	s_wait_loadcnt_dscnt 0x201
	v_dual_mul_f32 v102, v90, v75 :: v_dual_mul_f32 v103, v92, v77
	v_add_f32_e32 v67, v67, v68
	v_fmac_f32_e32 v101, v89, v72
	v_fma_f32 v68, v88, v72, -v69
	s_wait_loadcnt_dscnt 0x100
	v_dual_mul_f32 v104, v94, v79 :: v_dual_mul_f32 v105, v96, v81
	v_dual_add_f32 v66, v67, v66 :: v_dual_mul_f32 v67, v93, v77
	v_dual_fmac_f32 v102, v91, v74 :: v_dual_fmac_f32 v103, v93, v76
	s_delay_alu instid0(VALU_DEP_3) | instskip(NEXT) | instid1(VALU_DEP_3)
	v_fmac_f32_e32 v104, v95, v78
	v_dual_add_f32 v66, v66, v68 :: v_dual_add_f32 v63, 0, v63
	v_mul_f32_e32 v68, v95, v79
	v_fma_f32 v67, v92, v76, -v67
	v_fmac_f32_e32 v105, v97, v80
	s_delay_alu instid0(VALU_DEP_4) | instskip(SKIP_2) | instid1(VALU_DEP_2)
	v_add_f32_e32 v63, v63, v64
	v_mul_f32_e32 v64, v91, v75
	v_fma_f32 v68, v94, v78, -v68
	v_fma_f32 v64, v90, v74, -v64
	s_delay_alu instid0(VALU_DEP_1) | instskip(SKIP_1) | instid1(VALU_DEP_2)
	v_add_f32_e32 v64, v66, v64
	v_mul_f32_e32 v66, v97, v81
	v_add_f32_e32 v64, v64, v67
	s_delay_alu instid0(VALU_DEP_2) | instskip(NEXT) | instid1(VALU_DEP_2)
	v_fma_f32 v66, v96, v80, -v66
	v_add_f32_e32 v64, v64, v68
	s_delay_alu instid0(VALU_DEP_1) | instskip(NEXT) | instid1(VALU_DEP_1)
	v_dual_add_f32 v63, v63, v100 :: v_dual_add_f32 v64, v64, v66
	v_add_f32_e32 v63, v63, v101
	s_delay_alu instid0(VALU_DEP_1) | instskip(NEXT) | instid1(VALU_DEP_1)
	v_add_f32_e32 v63, v63, v102
	v_add_f32_e32 v63, v63, v103
	s_delay_alu instid0(VALU_DEP_1) | instskip(SKIP_1) | instid1(VALU_DEP_1)
	v_add_f32_e32 v63, v63, v104
	s_wait_loadcnt 0x0
	v_dual_add_f32 v66, v63, v105 :: v_dual_sub_f32 v63, v98, v64
	s_delay_alu instid0(VALU_DEP_1)
	v_sub_f32_e32 v64, v99, v66
	scratch_store_b64 off, v[63:64], off offset:176
	v_cmpx_lt_u32_e32 21, v0
	s_cbranch_execz .LBB94_157
; %bb.156:
	scratch_load_b64 v[63:64], off, off offset:168
	v_mov_b32_e32 v66, 0
	s_delay_alu instid0(VALU_DEP_1)
	v_mov_b32_e32 v67, v66
	scratch_store_b64 off, v[66:67], off offset:168
	s_wait_loadcnt 0x0
	ds_store_b64 v65, v[63:64]
.LBB94_157:
	s_wait_alu 0xfffe
	s_or_b32 exec_lo, exec_lo, s0
	s_wait_storecnt_dscnt 0x0
	s_barrier_signal -1
	s_barrier_wait -1
	global_inv scope:SCOPE_SE
	s_clause 0x5
	scratch_load_b128 v[66:69], off, off offset:176
	scratch_load_b128 v[70:73], off, off offset:192
	;; [unrolled: 1-line block ×4, first 2 shown]
	scratch_load_b64 v[98:99], off, off offset:240
	scratch_load_b64 v[100:101], off, off offset:168
	v_mov_b32_e32 v63, 0
	ds_load_b128 v[82:85], v63 offset:432
	ds_load_b128 v[86:89], v63 offset:448
	;; [unrolled: 1-line block ×4, first 2 shown]
	ds_load_b64 v[102:103], v63 offset:496
	s_mov_b32 s0, exec_lo
	s_wait_loadcnt_dscnt 0x504
	v_mul_f32_e32 v64, v82, v67
	s_wait_loadcnt_dscnt 0x403
	v_dual_mul_f32 v104, v84, v69 :: v_dual_mul_f32 v105, v86, v71
	s_wait_loadcnt_dscnt 0x302
	v_dual_mul_f32 v108, v92, v77 :: v_dual_mul_f32 v67, v83, v67
	s_wait_loadcnt_dscnt 0x100
	v_dual_mul_f32 v111, v102, v99 :: v_dual_fmac_f32 v64, v83, v66
	v_mul_f32_e32 v69, v85, v69
	v_dual_mul_f32 v106, v88, v73 :: v_dual_mul_f32 v107, v90, v75
	v_fma_f32 v67, v82, v66, -v67
	v_fmac_f32_e32 v104, v85, v68
	v_add_f32_e32 v64, 0, v64
	v_mul_f32_e32 v66, v87, v71
	v_fma_f32 v68, v84, v68, -v69
	v_add_f32_e32 v67, 0, v67
	v_mul_f32_e32 v69, v89, v73
	v_dual_fmac_f32 v105, v87, v70 :: v_dual_add_f32 v64, v64, v104
	v_dual_fmac_f32 v106, v89, v72 :: v_dual_fmac_f32 v107, v91, v74
	s_delay_alu instid0(VALU_DEP_4) | instskip(SKIP_1) | instid1(VALU_DEP_4)
	v_add_f32_e32 v67, v67, v68
	v_dual_mul_f32 v109, v94, v79 :: v_dual_mul_f32 v110, v96, v81
	v_add_f32_e32 v64, v64, v105
	v_dual_fmac_f32 v108, v93, v76 :: v_dual_fmac_f32 v111, v103, v98
	s_delay_alu instid0(VALU_DEP_3) | instskip(NEXT) | instid1(VALU_DEP_3)
	v_dual_fmac_f32 v109, v95, v78 :: v_dual_fmac_f32 v110, v97, v80
	v_add_f32_e32 v64, v64, v106
	v_fma_f32 v66, v86, v70, -v66
	v_mul_f32_e32 v68, v91, v75
	v_fma_f32 v69, v88, v72, -v69
	s_delay_alu instid0(VALU_DEP_4) | instskip(NEXT) | instid1(VALU_DEP_1)
	v_add_f32_e32 v64, v64, v107
	v_add_f32_e32 v64, v64, v108
	s_delay_alu instid0(VALU_DEP_1) | instskip(NEXT) | instid1(VALU_DEP_1)
	v_add_f32_e32 v64, v64, v109
	v_add_f32_e32 v64, v64, v110
	s_delay_alu instid0(VALU_DEP_1) | instskip(SKIP_2) | instid1(VALU_DEP_2)
	v_add_f32_e32 v64, v64, v111
	v_dual_add_f32 v66, v67, v66 :: v_dual_mul_f32 v67, v93, v77
	v_fma_f32 v68, v90, v74, -v68
	v_dual_add_f32 v66, v66, v69 :: v_dual_mul_f32 v69, v95, v79
	s_delay_alu instid0(VALU_DEP_3) | instskip(NEXT) | instid1(VALU_DEP_2)
	v_fma_f32 v67, v92, v76, -v67
	v_add_f32_e32 v66, v66, v68
	v_mul_f32_e32 v68, v97, v81
	s_delay_alu instid0(VALU_DEP_4) | instskip(NEXT) | instid1(VALU_DEP_3)
	v_fma_f32 v69, v94, v78, -v69
	v_add_f32_e32 v66, v66, v67
	v_mul_f32_e32 v67, v103, v99
	s_delay_alu instid0(VALU_DEP_4) | instskip(NEXT) | instid1(VALU_DEP_3)
	v_fma_f32 v68, v96, v80, -v68
	v_add_f32_e32 v66, v66, v69
	s_delay_alu instid0(VALU_DEP_3) | instskip(NEXT) | instid1(VALU_DEP_2)
	v_fma_f32 v67, v102, v98, -v67
	v_add_f32_e32 v66, v66, v68
	s_wait_loadcnt 0x0
	s_delay_alu instid0(VALU_DEP_1) | instskip(NEXT) | instid1(VALU_DEP_1)
	v_dual_add_f32 v66, v66, v67 :: v_dual_sub_f32 v67, v101, v64
	v_sub_f32_e32 v66, v100, v66
	scratch_store_b64 off, v[66:67], off offset:168
	v_cmpx_lt_u32_e32 20, v0
	s_cbranch_execz .LBB94_159
; %bb.158:
	scratch_load_b64 v[66:67], off, off offset:160
	v_mov_b32_e32 v64, v63
	scratch_store_b64 off, v[63:64], off offset:160
	s_wait_loadcnt 0x0
	ds_store_b64 v65, v[66:67]
.LBB94_159:
	s_wait_alu 0xfffe
	s_or_b32 exec_lo, exec_lo, s0
	s_wait_storecnt_dscnt 0x0
	s_barrier_signal -1
	s_barrier_wait -1
	global_inv scope:SCOPE_SE
	s_clause 0x5
	scratch_load_b128 v[66:69], off, off offset:168
	scratch_load_b128 v[70:73], off, off offset:184
	scratch_load_b128 v[74:77], off, off offset:200
	scratch_load_b128 v[78:81], off, off offset:216
	scratch_load_b128 v[82:85], off, off offset:232
	scratch_load_b64 v[106:107], off, off offset:160
	ds_load_2addr_b64 v[86:89], v63 offset0:53 offset1:54
	ds_load_2addr_b64 v[90:93], v63 offset0:55 offset1:56
	;; [unrolled: 1-line block ×5, first 2 shown]
	s_mov_b32 s0, exec_lo
	s_wait_loadcnt_dscnt 0x504
	v_dual_mul_f32 v63, v86, v67 :: v_dual_mul_f32 v64, v88, v69
	v_mul_f32_e32 v67, v87, v67
	s_wait_loadcnt_dscnt 0x403
	v_dual_mul_f32 v69, v89, v69 :: v_dual_mul_f32 v108, v90, v71
	s_delay_alu instid0(VALU_DEP_3) | instskip(NEXT) | instid1(VALU_DEP_3)
	v_dual_mul_f32 v109, v92, v73 :: v_dual_fmac_f32 v64, v89, v68
	v_fma_f32 v67, v86, v66, -v67
	v_fmac_f32_e32 v63, v87, v66
	v_mul_f32_e32 v66, v91, v71
	v_fma_f32 v68, v88, v68, -v69
	v_mul_f32_e32 v69, v93, v73
	v_dual_add_f32 v67, 0, v67 :: v_dual_fmac_f32 v108, v91, v70
	s_delay_alu instid0(VALU_DEP_4) | instskip(SKIP_2) | instid1(VALU_DEP_3)
	v_fma_f32 v66, v90, v70, -v66
	s_wait_loadcnt_dscnt 0x302
	v_dual_mul_f32 v110, v94, v75 :: v_dual_mul_f32 v111, v96, v77
	v_add_f32_e32 v67, v67, v68
	v_fmac_f32_e32 v109, v93, v72
	v_fma_f32 v68, v92, v72, -v69
	s_wait_loadcnt_dscnt 0x201
	v_dual_mul_f32 v112, v98, v79 :: v_dual_mul_f32 v113, v100, v81
	v_dual_add_f32 v66, v67, v66 :: v_dual_mul_f32 v67, v97, v77
	v_fmac_f32_e32 v110, v95, v74
	s_wait_loadcnt_dscnt 0x100
	v_dual_mul_f32 v114, v102, v83 :: v_dual_mul_f32 v115, v104, v85
	s_delay_alu instid0(VALU_DEP_3) | instskip(SKIP_3) | instid1(VALU_DEP_4)
	v_dual_add_f32 v66, v66, v68 :: v_dual_add_f32 v63, 0, v63
	v_mul_f32_e32 v68, v99, v79
	v_fma_f32 v67, v96, v76, -v67
	v_dual_fmac_f32 v111, v97, v76 :: v_dual_fmac_f32 v112, v99, v78
	v_add_f32_e32 v63, v63, v64
	v_mul_f32_e32 v64, v95, v75
	v_fma_f32 v68, v98, v78, -v68
	v_dual_fmac_f32 v113, v101, v80 :: v_dual_fmac_f32 v114, v103, v82
	s_delay_alu instid0(VALU_DEP_3) | instskip(NEXT) | instid1(VALU_DEP_1)
	v_fma_f32 v64, v94, v74, -v64
	v_add_f32_e32 v64, v66, v64
	v_mul_f32_e32 v66, v101, v81
	s_delay_alu instid0(VALU_DEP_2) | instskip(SKIP_1) | instid1(VALU_DEP_3)
	v_dual_add_f32 v64, v64, v67 :: v_dual_add_f32 v63, v63, v108
	v_mul_f32_e32 v67, v103, v83
	v_fma_f32 v66, v100, v80, -v66
	s_delay_alu instid0(VALU_DEP_3) | instskip(SKIP_3) | instid1(VALU_DEP_4)
	v_add_f32_e32 v64, v64, v68
	v_mul_f32_e32 v68, v105, v85
	v_add_f32_e32 v63, v63, v109
	v_fma_f32 v67, v102, v82, -v67
	v_dual_add_f32 v64, v64, v66 :: v_dual_fmac_f32 v115, v105, v84
	s_delay_alu instid0(VALU_DEP_3) | instskip(SKIP_1) | instid1(VALU_DEP_3)
	v_add_f32_e32 v63, v63, v110
	v_fma_f32 v66, v104, v84, -v68
	v_add_f32_e32 v64, v64, v67
	s_delay_alu instid0(VALU_DEP_1) | instskip(NEXT) | instid1(VALU_DEP_1)
	v_dual_add_f32 v63, v63, v111 :: v_dual_add_f32 v64, v64, v66
	v_add_f32_e32 v63, v63, v112
	s_delay_alu instid0(VALU_DEP_1) | instskip(NEXT) | instid1(VALU_DEP_1)
	v_add_f32_e32 v63, v63, v113
	v_add_f32_e32 v63, v63, v114
	s_wait_loadcnt 0x0
	s_delay_alu instid0(VALU_DEP_1) | instskip(NEXT) | instid1(VALU_DEP_1)
	v_dual_add_f32 v66, v63, v115 :: v_dual_sub_f32 v63, v106, v64
	v_sub_f32_e32 v64, v107, v66
	scratch_store_b64 off, v[63:64], off offset:160
	v_cmpx_lt_u32_e32 19, v0
	s_cbranch_execz .LBB94_161
; %bb.160:
	scratch_load_b64 v[63:64], off, off offset:152
	v_mov_b32_e32 v66, 0
	s_delay_alu instid0(VALU_DEP_1)
	v_mov_b32_e32 v67, v66
	scratch_store_b64 off, v[66:67], off offset:152
	s_wait_loadcnt 0x0
	ds_store_b64 v65, v[63:64]
.LBB94_161:
	s_wait_alu 0xfffe
	s_or_b32 exec_lo, exec_lo, s0
	s_wait_storecnt_dscnt 0x0
	s_barrier_signal -1
	s_barrier_wait -1
	global_inv scope:SCOPE_SE
	s_clause 0x6
	scratch_load_b128 v[66:69], off, off offset:160
	scratch_load_b128 v[70:73], off, off offset:176
	;; [unrolled: 1-line block ×5, first 2 shown]
	scratch_load_b64 v[106:107], off, off offset:240
	scratch_load_b64 v[108:109], off, off offset:152
	v_mov_b32_e32 v63, 0
	ds_load_b128 v[86:89], v63 offset:416
	ds_load_b128 v[90:93], v63 offset:432
	;; [unrolled: 1-line block ×5, first 2 shown]
	ds_load_b64 v[110:111], v63 offset:496
	s_mov_b32 s0, exec_lo
	s_wait_loadcnt_dscnt 0x605
	v_mul_f32_e32 v64, v86, v67
	v_dual_mul_f32 v67, v87, v67 :: v_dual_mul_f32 v112, v88, v69
	s_wait_loadcnt_dscnt 0x302
	v_dual_mul_f32 v113, v90, v71 :: v_dual_mul_f32 v118, v100, v81
	s_wait_loadcnt_dscnt 0x100
	v_dual_mul_f32 v121, v110, v107 :: v_dual_fmac_f32 v64, v87, v66
	v_mul_f32_e32 v69, v89, v69
	v_fma_f32 v67, v86, v66, -v67
	v_mul_f32_e32 v66, v91, v71
	v_fmac_f32_e32 v112, v89, v68
	v_add_f32_e32 v64, 0, v64
	v_fma_f32 v68, v88, v68, -v69
	v_add_f32_e32 v67, 0, v67
	v_mul_f32_e32 v69, v93, v73
	s_delay_alu instid0(VALU_DEP_4) | instskip(SKIP_1) | instid1(VALU_DEP_4)
	v_dual_fmac_f32 v113, v91, v70 :: v_dual_add_f32 v64, v64, v112
	v_fma_f32 v66, v90, v70, -v66
	v_dual_add_f32 v67, v67, v68 :: v_dual_mul_f32 v114, v92, v73
	v_mul_f32_e32 v115, v94, v75
	v_mul_f32_e32 v68, v95, v75
	v_fma_f32 v69, v92, v72, -v69
	v_add_f32_e32 v64, v64, v113
	v_add_f32_e32 v66, v67, v66
	v_dual_fmac_f32 v114, v93, v72 :: v_dual_fmac_f32 v115, v95, v74
	v_mul_f32_e32 v67, v97, v77
	v_fma_f32 v68, v94, v74, -v68
	s_delay_alu instid0(VALU_DEP_4) | instskip(SKIP_4) | instid1(VALU_DEP_3)
	v_dual_add_f32 v66, v66, v69 :: v_dual_mul_f32 v69, v99, v79
	v_dual_mul_f32 v116, v96, v77 :: v_dual_mul_f32 v117, v98, v79
	v_dual_mul_f32 v119, v102, v83 :: v_dual_mul_f32 v120, v104, v85
	v_add_f32_e32 v64, v64, v114
	v_fma_f32 v67, v96, v76, -v67
	v_dual_add_f32 v66, v66, v68 :: v_dual_fmac_f32 v119, v103, v82
	v_dual_fmac_f32 v116, v97, v76 :: v_dual_fmac_f32 v117, v99, v78
	v_mul_f32_e32 v68, v101, v81
	s_delay_alu instid0(VALU_DEP_3)
	v_add_f32_e32 v66, v66, v67
	v_mul_f32_e32 v67, v103, v83
	v_dual_add_f32 v64, v64, v115 :: v_dual_fmac_f32 v121, v111, v106
	v_fma_f32 v69, v98, v78, -v69
	v_fmac_f32_e32 v118, v101, v80
	v_fma_f32 v68, v100, v80, -v68
	s_delay_alu instid0(VALU_DEP_4)
	v_add_f32_e32 v64, v64, v116
	v_fma_f32 v67, v102, v82, -v67
	v_add_f32_e32 v66, v66, v69
	v_mul_f32_e32 v69, v105, v85
	v_fmac_f32_e32 v120, v105, v84
	v_add_f32_e32 v64, v64, v117
	s_delay_alu instid0(VALU_DEP_4) | instskip(SKIP_2) | instid1(VALU_DEP_4)
	v_add_f32_e32 v66, v66, v68
	v_mul_f32_e32 v68, v111, v107
	v_fma_f32 v69, v104, v84, -v69
	v_add_f32_e32 v64, v64, v118
	s_delay_alu instid0(VALU_DEP_4) | instskip(NEXT) | instid1(VALU_DEP_4)
	v_add_f32_e32 v66, v66, v67
	v_fma_f32 v67, v110, v106, -v68
	s_delay_alu instid0(VALU_DEP_3) | instskip(NEXT) | instid1(VALU_DEP_3)
	v_add_f32_e32 v64, v64, v119
	v_add_f32_e32 v66, v66, v69
	s_delay_alu instid0(VALU_DEP_2) | instskip(NEXT) | instid1(VALU_DEP_2)
	v_add_f32_e32 v64, v64, v120
	v_add_f32_e32 v66, v66, v67
	s_delay_alu instid0(VALU_DEP_2) | instskip(SKIP_1) | instid1(VALU_DEP_1)
	v_add_f32_e32 v64, v64, v121
	s_wait_loadcnt 0x0
	v_dual_sub_f32 v66, v108, v66 :: v_dual_sub_f32 v67, v109, v64
	scratch_store_b64 off, v[66:67], off offset:152
	v_cmpx_lt_u32_e32 18, v0
	s_cbranch_execz .LBB94_163
; %bb.162:
	scratch_load_b64 v[66:67], off, off offset:144
	v_mov_b32_e32 v64, v63
	scratch_store_b64 off, v[63:64], off offset:144
	s_wait_loadcnt 0x0
	ds_store_b64 v65, v[66:67]
.LBB94_163:
	s_wait_alu 0xfffe
	s_or_b32 exec_lo, exec_lo, s0
	s_wait_storecnt_dscnt 0x0
	s_barrier_signal -1
	s_barrier_wait -1
	global_inv scope:SCOPE_SE
	s_clause 0x6
	scratch_load_b128 v[66:69], off, off offset:152
	scratch_load_b128 v[70:73], off, off offset:168
	;; [unrolled: 1-line block ×6, first 2 shown]
	scratch_load_b64 v[114:115], off, off offset:144
	ds_load_2addr_b64 v[90:93], v63 offset0:51 offset1:52
	ds_load_2addr_b64 v[94:97], v63 offset0:53 offset1:54
	;; [unrolled: 1-line block ×6, first 2 shown]
	s_mov_b32 s0, exec_lo
	s_wait_loadcnt_dscnt 0x605
	v_dual_mul_f32 v63, v90, v67 :: v_dual_mul_f32 v64, v92, v69
	v_mul_f32_e32 v67, v91, v67
	s_wait_loadcnt_dscnt 0x504
	v_dual_mul_f32 v69, v93, v69 :: v_dual_mul_f32 v116, v94, v71
	s_delay_alu instid0(VALU_DEP_3) | instskip(NEXT) | instid1(VALU_DEP_3)
	v_dual_mul_f32 v117, v96, v73 :: v_dual_fmac_f32 v64, v93, v68
	v_fma_f32 v67, v90, v66, -v67
	v_fmac_f32_e32 v63, v91, v66
	v_mul_f32_e32 v66, v95, v71
	v_fma_f32 v68, v92, v68, -v69
	v_mul_f32_e32 v69, v97, v73
	v_dual_add_f32 v67, 0, v67 :: v_dual_fmac_f32 v116, v95, v70
	s_delay_alu instid0(VALU_DEP_4) | instskip(SKIP_2) | instid1(VALU_DEP_3)
	v_fma_f32 v66, v94, v70, -v66
	s_wait_loadcnt_dscnt 0x403
	v_dual_mul_f32 v118, v98, v75 :: v_dual_mul_f32 v119, v100, v77
	v_add_f32_e32 v67, v67, v68
	v_fmac_f32_e32 v117, v97, v72
	v_fma_f32 v68, v96, v72, -v69
	s_wait_loadcnt_dscnt 0x302
	v_dual_mul_f32 v120, v102, v79 :: v_dual_mul_f32 v121, v104, v81
	v_dual_add_f32 v66, v67, v66 :: v_dual_mul_f32 v67, v101, v77
	v_fmac_f32_e32 v118, v99, v74
	s_wait_loadcnt_dscnt 0x201
	v_dual_mul_f32 v122, v106, v83 :: v_dual_mul_f32 v123, v108, v85
	s_delay_alu instid0(VALU_DEP_3) | instskip(SKIP_3) | instid1(VALU_DEP_4)
	v_dual_add_f32 v66, v66, v68 :: v_dual_add_f32 v63, 0, v63
	v_mul_f32_e32 v68, v103, v79
	v_fma_f32 v67, v100, v76, -v67
	v_dual_fmac_f32 v119, v101, v76 :: v_dual_fmac_f32 v120, v103, v78
	v_add_f32_e32 v63, v63, v64
	v_mul_f32_e32 v64, v99, v75
	v_fma_f32 v68, v102, v78, -v68
	v_dual_fmac_f32 v121, v105, v80 :: v_dual_fmac_f32 v122, v107, v82
	s_wait_loadcnt_dscnt 0x100
	v_dual_mul_f32 v124, v110, v87 :: v_dual_mul_f32 v125, v112, v89
	v_fma_f32 v64, v98, v74, -v64
	s_delay_alu instid0(VALU_DEP_2) | instskip(NEXT) | instid1(VALU_DEP_3)
	v_dual_fmac_f32 v123, v109, v84 :: v_dual_fmac_f32 v124, v111, v86
	v_fmac_f32_e32 v125, v113, v88
	s_delay_alu instid0(VALU_DEP_3) | instskip(SKIP_1) | instid1(VALU_DEP_2)
	v_add_f32_e32 v64, v66, v64
	v_mul_f32_e32 v66, v105, v81
	v_dual_add_f32 v64, v64, v67 :: v_dual_add_f32 v63, v63, v116
	v_mul_f32_e32 v67, v107, v83
	s_delay_alu instid0(VALU_DEP_3) | instskip(NEXT) | instid1(VALU_DEP_3)
	v_fma_f32 v66, v104, v80, -v66
	v_add_f32_e32 v64, v64, v68
	v_mul_f32_e32 v68, v109, v85
	v_add_f32_e32 v63, v63, v117
	v_fma_f32 v67, v106, v82, -v67
	s_delay_alu instid0(VALU_DEP_4) | instskip(SKIP_1) | instid1(VALU_DEP_4)
	v_add_f32_e32 v64, v64, v66
	v_mul_f32_e32 v66, v111, v87
	v_add_f32_e32 v63, v63, v118
	v_fma_f32 v68, v108, v84, -v68
	s_delay_alu instid0(VALU_DEP_4) | instskip(NEXT) | instid1(VALU_DEP_3)
	v_dual_add_f32 v64, v64, v67 :: v_dual_mul_f32 v67, v113, v89
	v_add_f32_e32 v63, v63, v119
	v_fma_f32 v66, v110, v86, -v66
	s_delay_alu instid0(VALU_DEP_3) | instskip(NEXT) | instid1(VALU_DEP_4)
	v_add_f32_e32 v64, v64, v68
	v_fma_f32 v67, v112, v88, -v67
	s_delay_alu instid0(VALU_DEP_2) | instskip(NEXT) | instid1(VALU_DEP_1)
	v_dual_add_f32 v63, v63, v120 :: v_dual_add_f32 v64, v64, v66
	v_dual_add_f32 v63, v63, v121 :: v_dual_add_f32 v64, v64, v67
	s_delay_alu instid0(VALU_DEP_1) | instskip(NEXT) | instid1(VALU_DEP_1)
	v_add_f32_e32 v63, v63, v122
	v_add_f32_e32 v63, v63, v123
	s_delay_alu instid0(VALU_DEP_1) | instskip(SKIP_1) | instid1(VALU_DEP_1)
	v_add_f32_e32 v63, v63, v124
	s_wait_loadcnt 0x0
	v_dual_add_f32 v66, v63, v125 :: v_dual_sub_f32 v63, v114, v64
	s_delay_alu instid0(VALU_DEP_1)
	v_sub_f32_e32 v64, v115, v66
	scratch_store_b64 off, v[63:64], off offset:144
	v_cmpx_lt_u32_e32 17, v0
	s_cbranch_execz .LBB94_165
; %bb.164:
	scratch_load_b64 v[63:64], off, off offset:136
	v_mov_b32_e32 v66, 0
	s_delay_alu instid0(VALU_DEP_1)
	v_mov_b32_e32 v67, v66
	scratch_store_b64 off, v[66:67], off offset:136
	s_wait_loadcnt 0x0
	ds_store_b64 v65, v[63:64]
.LBB94_165:
	s_wait_alu 0xfffe
	s_or_b32 exec_lo, exec_lo, s0
	s_wait_storecnt_dscnt 0x0
	s_barrier_signal -1
	s_barrier_wait -1
	global_inv scope:SCOPE_SE
	s_clause 0x7
	scratch_load_b128 v[66:69], off, off offset:144
	scratch_load_b128 v[70:73], off, off offset:160
	;; [unrolled: 1-line block ×6, first 2 shown]
	scratch_load_b64 v[114:115], off, off offset:240
	scratch_load_b64 v[116:117], off, off offset:136
	v_mov_b32_e32 v63, 0
	ds_load_b128 v[90:93], v63 offset:400
	ds_load_b128 v[94:97], v63 offset:416
	;; [unrolled: 1-line block ×6, first 2 shown]
	ds_load_b64 v[118:119], v63 offset:496
	s_mov_b32 s0, exec_lo
	s_wait_loadcnt_dscnt 0x706
	v_mul_f32_e32 v64, v90, v67
	v_dual_mul_f32 v67, v91, v67 :: v_dual_mul_f32 v120, v92, v69
	s_wait_loadcnt_dscnt 0x302
	v_dual_mul_f32 v121, v94, v71 :: v_dual_mul_f32 v128, v108, v85
	v_mul_f32_e32 v69, v93, v69
	s_wait_loadcnt_dscnt 0x100
	v_dual_mul_f32 v131, v118, v115 :: v_dual_fmac_f32 v64, v91, v66
	v_fma_f32 v67, v90, v66, -v67
	v_mul_f32_e32 v66, v95, v71
	v_fmac_f32_e32 v120, v93, v68
	v_fma_f32 v68, v92, v68, -v69
	v_dual_add_f32 v64, 0, v64 :: v_dual_mul_f32 v69, v97, v73
	v_add_f32_e32 v67, 0, v67
	v_fmac_f32_e32 v121, v95, v70
	v_fma_f32 v66, v94, v70, -v66
	s_delay_alu instid0(VALU_DEP_4)
	v_add_f32_e32 v64, v64, v120
	v_fma_f32 v69, v96, v72, -v69
	v_add_f32_e32 v67, v67, v68
	v_mul_f32_e32 v68, v99, v75
	v_dual_mul_f32 v122, v96, v73 :: v_dual_mul_f32 v123, v98, v75
	v_add_f32_e32 v64, v64, v121
	s_delay_alu instid0(VALU_DEP_4) | instskip(NEXT) | instid1(VALU_DEP_4)
	v_dual_add_f32 v66, v67, v66 :: v_dual_mul_f32 v67, v101, v77
	v_fma_f32 v68, v98, v74, -v68
	v_dual_mul_f32 v126, v104, v81 :: v_dual_mul_f32 v127, v106, v83
	s_delay_alu instid0(VALU_DEP_3) | instskip(NEXT) | instid1(VALU_DEP_4)
	v_dual_add_f32 v66, v66, v69 :: v_dual_mul_f32 v69, v103, v79
	v_fma_f32 v67, v100, v76, -v67
	v_dual_mul_f32 v129, v110, v87 :: v_dual_mul_f32 v130, v112, v89
	s_delay_alu instid0(VALU_DEP_3) | instskip(SKIP_1) | instid1(VALU_DEP_3)
	v_dual_add_f32 v66, v66, v68 :: v_dual_fmac_f32 v127, v107, v82
	v_dual_fmac_f32 v122, v97, v72 :: v_dual_fmac_f32 v123, v99, v74
	v_dual_mul_f32 v68, v105, v81 :: v_dual_fmac_f32 v129, v111, v86
	v_fma_f32 v69, v102, v78, -v69
	s_delay_alu instid0(VALU_DEP_4) | instskip(SKIP_3) | instid1(VALU_DEP_4)
	v_dual_add_f32 v66, v66, v67 :: v_dual_fmac_f32 v131, v119, v114
	v_dual_mul_f32 v124, v100, v77 :: v_dual_mul_f32 v125, v102, v79
	v_dual_add_f32 v64, v64, v122 :: v_dual_mul_f32 v67, v107, v83
	v_fma_f32 v68, v104, v80, -v68
	v_add_f32_e32 v66, v66, v69
	s_delay_alu instid0(VALU_DEP_4) | instskip(NEXT) | instid1(VALU_DEP_4)
	v_dual_fmac_f32 v124, v101, v76 :: v_dual_fmac_f32 v125, v103, v78
	v_dual_add_f32 v64, v64, v123 :: v_dual_mul_f32 v69, v109, v85
	v_fma_f32 v67, v106, v82, -v67
	s_delay_alu instid0(VALU_DEP_4)
	v_add_f32_e32 v66, v66, v68
	v_fmac_f32_e32 v126, v105, v80
	v_mul_f32_e32 v68, v111, v87
	v_fma_f32 v69, v108, v84, -v69
	v_fmac_f32_e32 v128, v109, v84
	v_dual_add_f32 v66, v66, v67 :: v_dual_mul_f32 v67, v113, v89
	v_add_f32_e32 v64, v64, v124
	v_fma_f32 v68, v110, v86, -v68
	v_fmac_f32_e32 v130, v113, v88
	s_delay_alu instid0(VALU_DEP_4) | instskip(NEXT) | instid1(VALU_DEP_4)
	v_dual_add_f32 v66, v66, v69 :: v_dual_mul_f32 v69, v119, v115
	v_add_f32_e32 v64, v64, v125
	v_fma_f32 v67, v112, v88, -v67
	s_delay_alu instid0(VALU_DEP_3) | instskip(NEXT) | instid1(VALU_DEP_4)
	v_add_f32_e32 v66, v66, v68
	v_fma_f32 v68, v118, v114, -v69
	s_delay_alu instid0(VALU_DEP_4) | instskip(NEXT) | instid1(VALU_DEP_3)
	v_add_f32_e32 v64, v64, v126
	v_add_f32_e32 v66, v66, v67
	s_delay_alu instid0(VALU_DEP_2) | instskip(NEXT) | instid1(VALU_DEP_2)
	v_add_f32_e32 v64, v64, v127
	v_add_f32_e32 v66, v66, v68
	s_delay_alu instid0(VALU_DEP_2) | instskip(SKIP_1) | instid1(VALU_DEP_2)
	v_add_f32_e32 v64, v64, v128
	s_wait_loadcnt 0x0
	v_sub_f32_e32 v66, v116, v66
	s_delay_alu instid0(VALU_DEP_2) | instskip(NEXT) | instid1(VALU_DEP_1)
	v_add_f32_e32 v64, v64, v129
	v_add_f32_e32 v64, v64, v130
	s_delay_alu instid0(VALU_DEP_1) | instskip(NEXT) | instid1(VALU_DEP_1)
	v_add_f32_e32 v64, v64, v131
	v_sub_f32_e32 v67, v117, v64
	scratch_store_b64 off, v[66:67], off offset:136
	v_cmpx_lt_u32_e32 16, v0
	s_cbranch_execz .LBB94_167
; %bb.166:
	scratch_load_b64 v[66:67], off, off offset:128
	v_mov_b32_e32 v64, v63
	scratch_store_b64 off, v[63:64], off offset:128
	s_wait_loadcnt 0x0
	ds_store_b64 v65, v[66:67]
.LBB94_167:
	s_wait_alu 0xfffe
	s_or_b32 exec_lo, exec_lo, s0
	s_wait_storecnt_dscnt 0x0
	s_barrier_signal -1
	s_barrier_wait -1
	global_inv scope:SCOPE_SE
	s_clause 0x7
	scratch_load_b128 v[66:69], off, off offset:136
	scratch_load_b128 v[70:73], off, off offset:152
	;; [unrolled: 1-line block ×7, first 2 shown]
	scratch_load_b64 v[122:123], off, off offset:128
	ds_load_2addr_b64 v[94:97], v63 offset0:49 offset1:50
	ds_load_2addr_b64 v[98:101], v63 offset0:51 offset1:52
	;; [unrolled: 1-line block ×7, first 2 shown]
	s_mov_b32 s0, exec_lo
	s_wait_loadcnt_dscnt 0x706
	v_dual_mul_f32 v63, v94, v67 :: v_dual_mul_f32 v64, v96, v69
	v_mul_f32_e32 v67, v95, v67
	s_wait_loadcnt_dscnt 0x605
	v_dual_mul_f32 v69, v97, v69 :: v_dual_mul_f32 v124, v98, v71
	s_delay_alu instid0(VALU_DEP_3) | instskip(NEXT) | instid1(VALU_DEP_3)
	v_dual_mul_f32 v125, v100, v73 :: v_dual_fmac_f32 v64, v97, v68
	v_fma_f32 v67, v94, v66, -v67
	v_fmac_f32_e32 v63, v95, v66
	v_mul_f32_e32 v66, v99, v71
	v_fma_f32 v68, v96, v68, -v69
	v_mul_f32_e32 v69, v101, v73
	v_dual_add_f32 v67, 0, v67 :: v_dual_fmac_f32 v124, v99, v70
	s_delay_alu instid0(VALU_DEP_4) | instskip(SKIP_2) | instid1(VALU_DEP_3)
	v_fma_f32 v66, v98, v70, -v66
	s_wait_loadcnt_dscnt 0x504
	v_dual_mul_f32 v126, v102, v75 :: v_dual_mul_f32 v127, v104, v77
	v_add_f32_e32 v67, v67, v68
	v_fmac_f32_e32 v125, v101, v72
	v_fma_f32 v68, v100, v72, -v69
	s_wait_loadcnt_dscnt 0x403
	v_dual_mul_f32 v128, v106, v79 :: v_dual_mul_f32 v129, v108, v81
	v_dual_add_f32 v66, v67, v66 :: v_dual_mul_f32 v67, v105, v77
	v_fmac_f32_e32 v126, v103, v74
	s_wait_loadcnt_dscnt 0x302
	v_dual_mul_f32 v130, v110, v83 :: v_dual_mul_f32 v131, v112, v85
	s_delay_alu instid0(VALU_DEP_3) | instskip(SKIP_3) | instid1(VALU_DEP_4)
	v_dual_add_f32 v66, v66, v68 :: v_dual_add_f32 v63, 0, v63
	v_mul_f32_e32 v68, v107, v79
	v_fma_f32 v67, v104, v76, -v67
	v_dual_fmac_f32 v127, v105, v76 :: v_dual_fmac_f32 v128, v107, v78
	v_add_f32_e32 v63, v63, v64
	v_mul_f32_e32 v64, v103, v75
	v_fma_f32 v68, v106, v78, -v68
	v_dual_fmac_f32 v129, v109, v80 :: v_dual_fmac_f32 v130, v111, v82
	s_wait_loadcnt_dscnt 0x201
	v_dual_mul_f32 v132, v114, v87 :: v_dual_mul_f32 v133, v116, v89
	v_fma_f32 v64, v102, v74, -v64
	s_wait_loadcnt_dscnt 0x100
	v_dual_mul_f32 v134, v118, v91 :: v_dual_mul_f32 v135, v120, v93
	s_delay_alu instid0(VALU_DEP_3) | instskip(NEXT) | instid1(VALU_DEP_3)
	v_dual_fmac_f32 v131, v113, v84 :: v_dual_fmac_f32 v132, v115, v86
	v_add_f32_e32 v64, v66, v64
	v_mul_f32_e32 v66, v109, v81
	s_delay_alu instid0(VALU_DEP_4) | instskip(NEXT) | instid1(VALU_DEP_3)
	v_dual_fmac_f32 v134, v119, v90 :: v_dual_fmac_f32 v135, v121, v92
	v_dual_fmac_f32 v133, v117, v88 :: v_dual_add_f32 v64, v64, v67
	v_add_f32_e32 v63, v63, v124
	v_mul_f32_e32 v67, v111, v83
	v_fma_f32 v66, v108, v80, -v66
	s_delay_alu instid0(VALU_DEP_4) | instskip(SKIP_3) | instid1(VALU_DEP_4)
	v_add_f32_e32 v64, v64, v68
	v_mul_f32_e32 v68, v113, v85
	v_add_f32_e32 v63, v63, v125
	v_fma_f32 v67, v110, v82, -v67
	v_add_f32_e32 v64, v64, v66
	v_mul_f32_e32 v66, v115, v87
	s_delay_alu instid0(VALU_DEP_4) | instskip(SKIP_1) | instid1(VALU_DEP_4)
	v_add_f32_e32 v63, v63, v126
	v_fma_f32 v68, v112, v84, -v68
	v_dual_add_f32 v64, v64, v67 :: v_dual_mul_f32 v67, v117, v89
	s_delay_alu instid0(VALU_DEP_3) | instskip(SKIP_1) | instid1(VALU_DEP_3)
	v_add_f32_e32 v63, v63, v127
	v_fma_f32 v66, v114, v86, -v66
	v_add_f32_e32 v64, v64, v68
	s_delay_alu instid0(VALU_DEP_4) | instskip(NEXT) | instid1(VALU_DEP_4)
	v_fma_f32 v67, v116, v88, -v67
	v_add_f32_e32 v63, v63, v128
	v_mul_f32_e32 v68, v119, v91
	s_delay_alu instid0(VALU_DEP_4) | instskip(SKIP_1) | instid1(VALU_DEP_4)
	v_add_f32_e32 v64, v64, v66
	v_mul_f32_e32 v66, v121, v93
	v_add_f32_e32 v63, v63, v129
	s_delay_alu instid0(VALU_DEP_4) | instskip(NEXT) | instid1(VALU_DEP_4)
	v_fma_f32 v68, v118, v90, -v68
	v_add_f32_e32 v64, v64, v67
	s_delay_alu instid0(VALU_DEP_4) | instskip(NEXT) | instid1(VALU_DEP_2)
	v_fma_f32 v66, v120, v92, -v66
	v_dual_add_f32 v63, v63, v130 :: v_dual_add_f32 v64, v64, v68
	s_delay_alu instid0(VALU_DEP_1) | instskip(NEXT) | instid1(VALU_DEP_1)
	v_dual_add_f32 v63, v63, v131 :: v_dual_add_f32 v64, v64, v66
	v_add_f32_e32 v63, v63, v132
	s_delay_alu instid0(VALU_DEP_1) | instskip(NEXT) | instid1(VALU_DEP_1)
	v_add_f32_e32 v63, v63, v133
	v_add_f32_e32 v63, v63, v134
	s_wait_loadcnt 0x0
	s_delay_alu instid0(VALU_DEP_1) | instskip(NEXT) | instid1(VALU_DEP_1)
	v_dual_add_f32 v66, v63, v135 :: v_dual_sub_f32 v63, v122, v64
	v_sub_f32_e32 v64, v123, v66
	scratch_store_b64 off, v[63:64], off offset:128
	v_cmpx_lt_u32_e32 15, v0
	s_cbranch_execz .LBB94_169
; %bb.168:
	scratch_load_b64 v[63:64], off, off offset:120
	v_mov_b32_e32 v66, 0
	s_delay_alu instid0(VALU_DEP_1)
	v_mov_b32_e32 v67, v66
	scratch_store_b64 off, v[66:67], off offset:120
	s_wait_loadcnt 0x0
	ds_store_b64 v65, v[63:64]
.LBB94_169:
	s_wait_alu 0xfffe
	s_or_b32 exec_lo, exec_lo, s0
	s_wait_storecnt_dscnt 0x0
	s_barrier_signal -1
	s_barrier_wait -1
	global_inv scope:SCOPE_SE
	s_clause 0x8
	scratch_load_b128 v[66:69], off, off offset:128
	scratch_load_b128 v[70:73], off, off offset:144
	;; [unrolled: 1-line block ×7, first 2 shown]
	scratch_load_b64 v[122:123], off, off offset:240
	scratch_load_b64 v[124:125], off, off offset:120
	v_mov_b32_e32 v63, 0
	ds_load_b128 v[94:97], v63 offset:384
	ds_load_b128 v[98:101], v63 offset:400
	;; [unrolled: 1-line block ×7, first 2 shown]
	ds_load_b64 v[126:127], v63 offset:496
	s_mov_b32 s0, exec_lo
	s_wait_loadcnt_dscnt 0x807
	v_mul_f32_e32 v64, v94, v67
	v_dual_mul_f32 v67, v95, v67 :: v_dual_mul_f32 v128, v96, v69
	s_wait_loadcnt_dscnt 0x706
	v_mul_f32_e32 v129, v98, v71
	v_mul_f32_e32 v69, v97, v69
	s_wait_loadcnt_dscnt 0x302
	v_mul_f32_e32 v138, v116, v89
	v_fma_f32 v67, v94, v66, -v67
	s_wait_loadcnt_dscnt 0x100
	v_dual_mul_f32 v141, v126, v123 :: v_dual_fmac_f32 v64, v95, v66
	v_mul_f32_e32 v66, v99, v71
	s_delay_alu instid0(VALU_DEP_3) | instskip(SKIP_1) | instid1(VALU_DEP_4)
	v_dual_fmac_f32 v128, v97, v68 :: v_dual_add_f32 v67, 0, v67
	v_fma_f32 v68, v96, v68, -v69
	v_dual_add_f32 v64, 0, v64 :: v_dual_mul_f32 v69, v101, v73
	v_fmac_f32_e32 v129, v99, v70
	v_fma_f32 v66, v98, v70, -v66
	v_dual_mul_f32 v130, v100, v73 :: v_dual_mul_f32 v131, v102, v75
	s_delay_alu instid0(VALU_DEP_4)
	v_add_f32_e32 v64, v64, v128
	v_add_f32_e32 v67, v67, v68
	v_mul_f32_e32 v68, v103, v75
	v_fma_f32 v69, v100, v72, -v69
	v_dual_mul_f32 v134, v108, v81 :: v_dual_mul_f32 v135, v110, v83
	v_add_f32_e32 v64, v64, v129
	v_dual_add_f32 v66, v67, v66 :: v_dual_mul_f32 v67, v105, v77
	v_fma_f32 v68, v102, v74, -v68
	v_dual_mul_f32 v136, v112, v85 :: v_dual_mul_f32 v137, v114, v87
	s_delay_alu instid0(VALU_DEP_3) | instskip(NEXT) | instid1(VALU_DEP_4)
	v_dual_add_f32 v66, v66, v69 :: v_dual_mul_f32 v69, v107, v79
	v_fma_f32 v67, v104, v76, -v67
	v_dual_mul_f32 v139, v118, v91 :: v_dual_mul_f32 v140, v120, v93
	s_delay_alu instid0(VALU_DEP_3) | instskip(SKIP_3) | instid1(VALU_DEP_4)
	v_dual_add_f32 v66, v66, v68 :: v_dual_fmac_f32 v135, v111, v82
	v_dual_fmac_f32 v130, v101, v72 :: v_dual_fmac_f32 v131, v103, v74
	v_dual_mul_f32 v68, v109, v81 :: v_dual_fmac_f32 v137, v115, v86
	v_fma_f32 v69, v106, v78, -v69
	v_dual_add_f32 v66, v66, v67 :: v_dual_fmac_f32 v139, v119, v90
	s_delay_alu instid0(VALU_DEP_4) | instskip(NEXT) | instid1(VALU_DEP_4)
	v_dual_add_f32 v64, v64, v130 :: v_dual_mul_f32 v67, v111, v83
	v_fma_f32 v68, v108, v80, -v68
	s_delay_alu instid0(VALU_DEP_3) | instskip(SKIP_3) | instid1(VALU_DEP_4)
	v_dual_add_f32 v66, v66, v69 :: v_dual_fmac_f32 v141, v127, v122
	v_dual_mul_f32 v132, v104, v77 :: v_dual_mul_f32 v133, v106, v79
	v_mul_f32_e32 v69, v113, v85
	v_fma_f32 v67, v110, v82, -v67
	v_add_f32_e32 v66, v66, v68
	s_delay_alu instid0(VALU_DEP_4) | instskip(SKIP_4) | instid1(VALU_DEP_4)
	v_dual_fmac_f32 v132, v105, v76 :: v_dual_fmac_f32 v133, v107, v78
	v_add_f32_e32 v64, v64, v131
	v_mul_f32_e32 v68, v115, v87
	v_fma_f32 v69, v112, v84, -v69
	v_dual_add_f32 v66, v66, v67 :: v_dual_mul_f32 v67, v117, v89
	v_add_f32_e32 v64, v64, v132
	s_delay_alu instid0(VALU_DEP_4) | instskip(SKIP_1) | instid1(VALU_DEP_4)
	v_fma_f32 v68, v114, v86, -v68
	v_fmac_f32_e32 v134, v109, v80
	v_dual_add_f32 v66, v66, v69 :: v_dual_mul_f32 v69, v119, v91
	s_delay_alu instid0(VALU_DEP_4) | instskip(SKIP_2) | instid1(VALU_DEP_4)
	v_add_f32_e32 v64, v64, v133
	v_fma_f32 v67, v116, v88, -v67
	v_fmac_f32_e32 v136, v113, v84
	v_add_f32_e32 v66, v66, v68
	v_fmac_f32_e32 v138, v117, v88
	v_mul_f32_e32 v68, v121, v93
	v_fma_f32 v69, v118, v90, -v69
	v_fmac_f32_e32 v140, v121, v92
	v_add_f32_e32 v66, v66, v67
	v_dual_mul_f32 v67, v127, v123 :: v_dual_add_f32 v64, v64, v134
	v_fma_f32 v68, v120, v92, -v68
	s_delay_alu instid0(VALU_DEP_3) | instskip(NEXT) | instid1(VALU_DEP_3)
	v_add_f32_e32 v66, v66, v69
	v_fma_f32 v67, v126, v122, -v67
	s_delay_alu instid0(VALU_DEP_4) | instskip(NEXT) | instid1(VALU_DEP_3)
	v_add_f32_e32 v64, v64, v135
	v_add_f32_e32 v66, v66, v68
	s_delay_alu instid0(VALU_DEP_2) | instskip(NEXT) | instid1(VALU_DEP_2)
	v_add_f32_e32 v64, v64, v136
	v_add_f32_e32 v66, v66, v67
	s_delay_alu instid0(VALU_DEP_2) | instskip(SKIP_1) | instid1(VALU_DEP_2)
	v_add_f32_e32 v64, v64, v137
	s_wait_loadcnt 0x0
	v_sub_f32_e32 v66, v124, v66
	s_delay_alu instid0(VALU_DEP_2) | instskip(NEXT) | instid1(VALU_DEP_1)
	v_add_f32_e32 v64, v64, v138
	v_add_f32_e32 v64, v64, v139
	s_delay_alu instid0(VALU_DEP_1) | instskip(NEXT) | instid1(VALU_DEP_1)
	v_add_f32_e32 v64, v64, v140
	v_add_f32_e32 v64, v64, v141
	s_delay_alu instid0(VALU_DEP_1)
	v_sub_f32_e32 v67, v125, v64
	scratch_store_b64 off, v[66:67], off offset:120
	v_cmpx_lt_u32_e32 14, v0
	s_cbranch_execz .LBB94_171
; %bb.170:
	scratch_load_b64 v[66:67], off, off offset:112
	v_mov_b32_e32 v64, v63
	scratch_store_b64 off, v[63:64], off offset:112
	s_wait_loadcnt 0x0
	ds_store_b64 v65, v[66:67]
.LBB94_171:
	s_wait_alu 0xfffe
	s_or_b32 exec_lo, exec_lo, s0
	s_wait_storecnt_dscnt 0x0
	s_barrier_signal -1
	s_barrier_wait -1
	global_inv scope:SCOPE_SE
	s_clause 0x8
	scratch_load_b128 v[66:69], off, off offset:120
	scratch_load_b128 v[70:73], off, off offset:136
	;; [unrolled: 1-line block ×8, first 2 shown]
	scratch_load_b64 v[130:131], off, off offset:112
	ds_load_2addr_b64 v[98:101], v63 offset0:47 offset1:48
	ds_load_2addr_b64 v[102:105], v63 offset0:49 offset1:50
	;; [unrolled: 1-line block ×8, first 2 shown]
	s_mov_b32 s0, exec_lo
	s_wait_loadcnt_dscnt 0x807
	v_dual_mul_f32 v63, v98, v67 :: v_dual_mul_f32 v64, v100, v69
	v_mul_f32_e32 v67, v99, v67
	s_wait_loadcnt_dscnt 0x706
	v_dual_mul_f32 v69, v101, v69 :: v_dual_mul_f32 v132, v102, v71
	s_delay_alu instid0(VALU_DEP_3) | instskip(NEXT) | instid1(VALU_DEP_3)
	v_dual_mul_f32 v133, v104, v73 :: v_dual_fmac_f32 v64, v101, v68
	v_fma_f32 v67, v98, v66, -v67
	v_fmac_f32_e32 v63, v99, v66
	v_mul_f32_e32 v66, v103, v71
	v_fma_f32 v68, v100, v68, -v69
	v_mul_f32_e32 v69, v105, v73
	v_dual_add_f32 v67, 0, v67 :: v_dual_fmac_f32 v132, v103, v70
	s_delay_alu instid0(VALU_DEP_4) | instskip(SKIP_2) | instid1(VALU_DEP_3)
	v_fma_f32 v66, v102, v70, -v66
	s_wait_loadcnt_dscnt 0x605
	v_dual_mul_f32 v134, v106, v75 :: v_dual_mul_f32 v135, v108, v77
	v_add_f32_e32 v67, v67, v68
	v_fmac_f32_e32 v133, v105, v72
	v_fma_f32 v68, v104, v72, -v69
	s_wait_loadcnt_dscnt 0x504
	v_dual_mul_f32 v136, v110, v79 :: v_dual_mul_f32 v137, v112, v81
	v_dual_add_f32 v66, v67, v66 :: v_dual_mul_f32 v67, v109, v77
	v_fmac_f32_e32 v134, v107, v74
	s_wait_loadcnt_dscnt 0x403
	v_dual_mul_f32 v138, v114, v83 :: v_dual_mul_f32 v139, v116, v85
	s_delay_alu instid0(VALU_DEP_3) | instskip(SKIP_3) | instid1(VALU_DEP_4)
	v_dual_add_f32 v66, v66, v68 :: v_dual_add_f32 v63, 0, v63
	v_mul_f32_e32 v68, v111, v79
	v_fma_f32 v67, v108, v76, -v67
	v_dual_fmac_f32 v135, v109, v76 :: v_dual_fmac_f32 v136, v111, v78
	v_add_f32_e32 v63, v63, v64
	v_mul_f32_e32 v64, v107, v75
	v_fma_f32 v68, v110, v78, -v68
	v_dual_fmac_f32 v137, v113, v80 :: v_dual_fmac_f32 v138, v115, v82
	s_wait_loadcnt_dscnt 0x302
	v_dual_mul_f32 v140, v118, v87 :: v_dual_mul_f32 v141, v120, v89
	v_fma_f32 v64, v106, v74, -v64
	s_wait_loadcnt_dscnt 0x201
	v_dual_mul_f32 v142, v122, v91 :: v_dual_mul_f32 v143, v124, v93
	s_wait_loadcnt_dscnt 0x100
	v_dual_mul_f32 v144, v126, v95 :: v_dual_mul_f32 v145, v128, v97
	v_add_f32_e32 v64, v66, v64
	v_mul_f32_e32 v66, v113, v81
	v_dual_fmac_f32 v142, v123, v90 :: v_dual_fmac_f32 v143, v125, v92
	s_delay_alu instid0(VALU_DEP_4) | instskip(NEXT) | instid1(VALU_DEP_4)
	v_dual_fmac_f32 v144, v127, v94 :: v_dual_fmac_f32 v145, v129, v96
	v_dual_add_f32 v64, v64, v67 :: v_dual_add_f32 v63, v63, v132
	v_mul_f32_e32 v67, v115, v83
	v_fma_f32 v66, v112, v80, -v66
	v_fmac_f32_e32 v139, v117, v84
	s_delay_alu instid0(VALU_DEP_4)
	v_add_f32_e32 v64, v64, v68
	v_mul_f32_e32 v68, v117, v85
	v_add_f32_e32 v63, v63, v133
	v_fma_f32 v67, v114, v82, -v67
	v_fmac_f32_e32 v140, v119, v86
	v_add_f32_e32 v64, v64, v66
	v_mul_f32_e32 v66, v119, v87
	v_add_f32_e32 v63, v63, v134
	v_fma_f32 v68, v116, v84, -v68
	s_delay_alu instid0(VALU_DEP_4) | instskip(SKIP_1) | instid1(VALU_DEP_4)
	v_dual_fmac_f32 v141, v121, v88 :: v_dual_add_f32 v64, v64, v67
	v_mul_f32_e32 v67, v121, v89
	v_add_f32_e32 v63, v63, v135
	v_fma_f32 v66, v118, v86, -v66
	s_delay_alu instid0(VALU_DEP_4) | instskip(NEXT) | instid1(VALU_DEP_4)
	v_add_f32_e32 v64, v64, v68
	v_fma_f32 v67, v120, v88, -v67
	s_delay_alu instid0(VALU_DEP_4) | instskip(SKIP_1) | instid1(VALU_DEP_4)
	v_add_f32_e32 v63, v63, v136
	v_mul_f32_e32 v68, v123, v91
	v_add_f32_e32 v64, v64, v66
	v_mul_f32_e32 v66, v125, v93
	s_delay_alu instid0(VALU_DEP_4) | instskip(NEXT) | instid1(VALU_DEP_4)
	v_add_f32_e32 v63, v63, v137
	v_fma_f32 v68, v122, v90, -v68
	s_delay_alu instid0(VALU_DEP_4) | instskip(SKIP_1) | instid1(VALU_DEP_4)
	v_add_f32_e32 v64, v64, v67
	v_mul_f32_e32 v67, v127, v95
	v_add_f32_e32 v63, v63, v138
	v_fma_f32 v66, v124, v92, -v66
	s_delay_alu instid0(VALU_DEP_4) | instskip(NEXT) | instid1(VALU_DEP_3)
	v_add_f32_e32 v64, v64, v68
	v_dual_mul_f32 v68, v129, v97 :: v_dual_add_f32 v63, v63, v139
	v_fma_f32 v67, v126, v94, -v67
	s_delay_alu instid0(VALU_DEP_3) | instskip(NEXT) | instid1(VALU_DEP_3)
	v_add_f32_e32 v64, v64, v66
	v_fma_f32 v66, v128, v96, -v68
	s_delay_alu instid0(VALU_DEP_2) | instskip(NEXT) | instid1(VALU_DEP_1)
	v_dual_add_f32 v63, v63, v140 :: v_dual_add_f32 v64, v64, v67
	v_dual_add_f32 v63, v63, v141 :: v_dual_add_f32 v64, v64, v66
	s_delay_alu instid0(VALU_DEP_1) | instskip(NEXT) | instid1(VALU_DEP_1)
	v_add_f32_e32 v63, v63, v142
	v_add_f32_e32 v63, v63, v143
	s_delay_alu instid0(VALU_DEP_1) | instskip(SKIP_1) | instid1(VALU_DEP_1)
	v_add_f32_e32 v63, v63, v144
	s_wait_loadcnt 0x0
	v_dual_add_f32 v66, v63, v145 :: v_dual_sub_f32 v63, v130, v64
	s_delay_alu instid0(VALU_DEP_1)
	v_sub_f32_e32 v64, v131, v66
	scratch_store_b64 off, v[63:64], off offset:112
	v_cmpx_lt_u32_e32 13, v0
	s_cbranch_execz .LBB94_173
; %bb.172:
	scratch_load_b64 v[63:64], off, off offset:104
	v_mov_b32_e32 v66, 0
	s_delay_alu instid0(VALU_DEP_1)
	v_mov_b32_e32 v67, v66
	scratch_store_b64 off, v[66:67], off offset:104
	s_wait_loadcnt 0x0
	ds_store_b64 v65, v[63:64]
.LBB94_173:
	s_wait_alu 0xfffe
	s_or_b32 exec_lo, exec_lo, s0
	s_wait_storecnt_dscnt 0x0
	s_barrier_signal -1
	s_barrier_wait -1
	global_inv scope:SCOPE_SE
	s_clause 0x9
	scratch_load_b128 v[66:69], off, off offset:112
	scratch_load_b128 v[70:73], off, off offset:128
	;; [unrolled: 1-line block ×8, first 2 shown]
	scratch_load_b64 v[130:131], off, off offset:240
	scratch_load_b64 v[132:133], off, off offset:104
	v_mov_b32_e32 v63, 0
	ds_load_b128 v[98:101], v63 offset:368
	ds_load_b128 v[102:105], v63 offset:384
	;; [unrolled: 1-line block ×8, first 2 shown]
	ds_load_b64 v[134:135], v63 offset:496
	s_mov_b32 s0, exec_lo
	s_wait_loadcnt_dscnt 0x908
	v_mul_f32_e32 v64, v98, v67
	s_wait_loadcnt_dscnt 0x807
	v_dual_mul_f32 v136, v100, v69 :: v_dual_mul_f32 v137, v102, v71
	v_mul_f32_e32 v67, v99, v67
	s_delay_alu instid0(VALU_DEP_3)
	v_dual_mul_f32 v69, v101, v69 :: v_dual_fmac_f32 v64, v99, v66
	s_wait_loadcnt_dscnt 0x302
	v_mul_f32_e32 v148, v124, v93
	v_dual_mul_f32 v138, v104, v73 :: v_dual_mul_f32 v139, v106, v75
	s_wait_loadcnt_dscnt 0x100
	v_mul_f32_e32 v151, v134, v131
	v_fma_f32 v67, v98, v66, -v67
	v_mul_f32_e32 v66, v103, v71
	v_fmac_f32_e32 v136, v101, v68
	v_fma_f32 v68, v100, v68, -v69
	v_dual_add_f32 v64, 0, v64 :: v_dual_mul_f32 v69, v105, v73
	v_add_f32_e32 v67, 0, v67
	v_fmac_f32_e32 v137, v103, v70
	v_fma_f32 v66, v102, v70, -v66
	s_delay_alu instid0(VALU_DEP_4)
	v_add_f32_e32 v64, v64, v136
	v_fma_f32 v69, v104, v72, -v69
	v_add_f32_e32 v67, v67, v68
	v_mul_f32_e32 v68, v107, v75
	v_dual_mul_f32 v142, v112, v81 :: v_dual_mul_f32 v143, v114, v83
	v_add_f32_e32 v64, v64, v137
	s_delay_alu instid0(VALU_DEP_4) | instskip(NEXT) | instid1(VALU_DEP_4)
	v_dual_add_f32 v66, v67, v66 :: v_dual_mul_f32 v67, v109, v77
	v_fma_f32 v68, v106, v74, -v68
	v_dual_mul_f32 v144, v116, v85 :: v_dual_mul_f32 v145, v118, v87
	s_delay_alu instid0(VALU_DEP_3) | instskip(NEXT) | instid1(VALU_DEP_4)
	v_dual_add_f32 v66, v66, v69 :: v_dual_mul_f32 v69, v111, v79
	v_fma_f32 v67, v108, v76, -v67
	v_dual_mul_f32 v146, v120, v89 :: v_dual_mul_f32 v147, v122, v91
	s_delay_alu instid0(VALU_DEP_3) | instskip(SKIP_3) | instid1(VALU_DEP_4)
	v_dual_add_f32 v66, v66, v68 :: v_dual_fmac_f32 v143, v115, v82
	v_dual_fmac_f32 v138, v105, v72 :: v_dual_fmac_f32 v139, v107, v74
	v_dual_mul_f32 v68, v113, v81 :: v_dual_fmac_f32 v145, v119, v86
	v_fma_f32 v69, v110, v78, -v69
	v_dual_add_f32 v66, v66, v67 :: v_dual_fmac_f32 v147, v123, v90
	v_dual_mul_f32 v149, v126, v95 :: v_dual_mul_f32 v150, v128, v97
	v_dual_add_f32 v64, v64, v138 :: v_dual_mul_f32 v67, v115, v83
	v_fma_f32 v68, v112, v80, -v68
	s_delay_alu instid0(VALU_DEP_3) | instskip(SKIP_3) | instid1(VALU_DEP_4)
	v_dual_add_f32 v66, v66, v69 :: v_dual_fmac_f32 v149, v127, v94
	v_dual_mul_f32 v140, v108, v77 :: v_dual_mul_f32 v141, v110, v79
	v_mul_f32_e32 v69, v117, v85
	v_fma_f32 v67, v114, v82, -v67
	v_add_f32_e32 v66, v66, v68
	s_delay_alu instid0(VALU_DEP_4) | instskip(SKIP_4) | instid1(VALU_DEP_4)
	v_dual_fmac_f32 v140, v109, v76 :: v_dual_fmac_f32 v141, v111, v78
	v_add_f32_e32 v64, v64, v139
	v_mul_f32_e32 v68, v119, v87
	v_fma_f32 v69, v116, v84, -v69
	v_dual_add_f32 v66, v66, v67 :: v_dual_mul_f32 v67, v121, v89
	v_add_f32_e32 v64, v64, v140
	s_delay_alu instid0(VALU_DEP_4) | instskip(SKIP_1) | instid1(VALU_DEP_4)
	v_fma_f32 v68, v118, v86, -v68
	v_fmac_f32_e32 v142, v113, v80
	v_dual_add_f32 v66, v66, v69 :: v_dual_mul_f32 v69, v123, v91
	s_delay_alu instid0(VALU_DEP_4) | instskip(SKIP_1) | instid1(VALU_DEP_3)
	v_dual_add_f32 v64, v64, v141 :: v_dual_fmac_f32 v151, v135, v130
	v_fma_f32 v67, v120, v88, -v67
	v_add_f32_e32 v66, v66, v68
	v_fmac_f32_e32 v144, v117, v84
	v_fmac_f32_e32 v146, v121, v88
	v_mul_f32_e32 v68, v125, v93
	v_fma_f32 v69, v122, v90, -v69
	v_add_f32_e32 v66, v66, v67
	v_dual_mul_f32 v67, v127, v95 :: v_dual_add_f32 v64, v64, v142
	v_fmac_f32_e32 v148, v125, v92
	v_fma_f32 v68, v124, v92, -v68
	s_delay_alu instid0(VALU_DEP_4) | instskip(NEXT) | instid1(VALU_DEP_4)
	v_add_f32_e32 v66, v66, v69
	v_dual_mul_f32 v69, v129, v97 :: v_dual_add_f32 v64, v64, v143
	v_fma_f32 v67, v126, v94, -v67
	v_fmac_f32_e32 v150, v129, v96
	s_delay_alu instid0(VALU_DEP_4) | instskip(SKIP_3) | instid1(VALU_DEP_4)
	v_add_f32_e32 v66, v66, v68
	v_mul_f32_e32 v68, v135, v131
	v_add_f32_e32 v64, v64, v144
	v_fma_f32 v69, v128, v96, -v69
	v_add_f32_e32 v66, v66, v67
	s_delay_alu instid0(VALU_DEP_4) | instskip(NEXT) | instid1(VALU_DEP_4)
	v_fma_f32 v67, v134, v130, -v68
	v_add_f32_e32 v64, v64, v145
	s_delay_alu instid0(VALU_DEP_3) | instskip(NEXT) | instid1(VALU_DEP_2)
	v_add_f32_e32 v66, v66, v69
	v_add_f32_e32 v64, v64, v146
	s_delay_alu instid0(VALU_DEP_2) | instskip(NEXT) | instid1(VALU_DEP_2)
	v_add_f32_e32 v66, v66, v67
	v_add_f32_e32 v64, v64, v147
	s_wait_loadcnt 0x0
	s_delay_alu instid0(VALU_DEP_2) | instskip(NEXT) | instid1(VALU_DEP_2)
	v_sub_f32_e32 v66, v132, v66
	v_add_f32_e32 v64, v64, v148
	s_delay_alu instid0(VALU_DEP_1) | instskip(NEXT) | instid1(VALU_DEP_1)
	v_add_f32_e32 v64, v64, v149
	v_add_f32_e32 v64, v64, v150
	s_delay_alu instid0(VALU_DEP_1) | instskip(NEXT) | instid1(VALU_DEP_1)
	v_add_f32_e32 v64, v64, v151
	v_sub_f32_e32 v67, v133, v64
	scratch_store_b64 off, v[66:67], off offset:104
	v_cmpx_lt_u32_e32 12, v0
	s_cbranch_execz .LBB94_175
; %bb.174:
	scratch_load_b64 v[66:67], off, off offset:96
	v_mov_b32_e32 v64, v63
	scratch_store_b64 off, v[63:64], off offset:96
	s_wait_loadcnt 0x0
	ds_store_b64 v65, v[66:67]
.LBB94_175:
	s_wait_alu 0xfffe
	s_or_b32 exec_lo, exec_lo, s0
	s_wait_storecnt_dscnt 0x0
	s_barrier_signal -1
	s_barrier_wait -1
	global_inv scope:SCOPE_SE
	s_clause 0x9
	scratch_load_b128 v[66:69], off, off offset:104
	scratch_load_b128 v[70:73], off, off offset:120
	;; [unrolled: 1-line block ×9, first 2 shown]
	scratch_load_b64 v[138:139], off, off offset:96
	ds_load_2addr_b64 v[102:105], v63 offset0:45 offset1:46
	ds_load_2addr_b64 v[106:109], v63 offset0:47 offset1:48
	;; [unrolled: 1-line block ×9, first 2 shown]
	s_mov_b32 s0, exec_lo
	s_wait_loadcnt_dscnt 0x908
	v_dual_mul_f32 v63, v102, v67 :: v_dual_mul_f32 v64, v104, v69
	v_mul_f32_e32 v67, v103, v67
	s_wait_loadcnt_dscnt 0x807
	v_dual_mul_f32 v69, v105, v69 :: v_dual_mul_f32 v140, v106, v71
	s_delay_alu instid0(VALU_DEP_3) | instskip(NEXT) | instid1(VALU_DEP_3)
	v_dual_mul_f32 v141, v108, v73 :: v_dual_fmac_f32 v64, v105, v68
	v_fma_f32 v67, v102, v66, -v67
	v_fmac_f32_e32 v63, v103, v66
	v_mul_f32_e32 v66, v107, v71
	v_fma_f32 v68, v104, v68, -v69
	v_mul_f32_e32 v69, v109, v73
	v_dual_add_f32 v67, 0, v67 :: v_dual_fmac_f32 v140, v107, v70
	s_delay_alu instid0(VALU_DEP_4) | instskip(SKIP_2) | instid1(VALU_DEP_3)
	v_fma_f32 v66, v106, v70, -v66
	s_wait_loadcnt_dscnt 0x706
	v_dual_mul_f32 v142, v110, v75 :: v_dual_mul_f32 v143, v112, v77
	v_add_f32_e32 v67, v67, v68
	v_fmac_f32_e32 v141, v109, v72
	v_fma_f32 v68, v108, v72, -v69
	s_wait_loadcnt_dscnt 0x605
	v_dual_mul_f32 v144, v114, v79 :: v_dual_mul_f32 v145, v116, v81
	v_dual_add_f32 v66, v67, v66 :: v_dual_mul_f32 v67, v113, v77
	v_fmac_f32_e32 v142, v111, v74
	s_wait_loadcnt_dscnt 0x504
	v_dual_mul_f32 v146, v118, v83 :: v_dual_mul_f32 v147, v120, v85
	s_delay_alu instid0(VALU_DEP_3) | instskip(SKIP_3) | instid1(VALU_DEP_4)
	v_dual_add_f32 v66, v66, v68 :: v_dual_add_f32 v63, 0, v63
	v_mul_f32_e32 v68, v115, v79
	v_fma_f32 v67, v112, v76, -v67
	v_dual_fmac_f32 v143, v113, v76 :: v_dual_fmac_f32 v144, v115, v78
	v_add_f32_e32 v63, v63, v64
	v_mul_f32_e32 v64, v111, v75
	v_fma_f32 v68, v114, v78, -v68
	v_dual_fmac_f32 v145, v117, v80 :: v_dual_fmac_f32 v146, v119, v82
	s_wait_loadcnt_dscnt 0x403
	v_dual_mul_f32 v148, v122, v87 :: v_dual_mul_f32 v149, v124, v89
	v_fma_f32 v64, v110, v74, -v64
	s_wait_loadcnt_dscnt 0x302
	v_dual_mul_f32 v150, v126, v91 :: v_dual_mul_f32 v151, v128, v93
	s_wait_loadcnt_dscnt 0x201
	v_dual_mul_f32 v152, v130, v95 :: v_dual_mul_f32 v153, v132, v97
	v_add_f32_e32 v64, v66, v64
	v_mul_f32_e32 v66, v117, v81
	v_dual_fmac_f32 v150, v127, v90 :: v_dual_fmac_f32 v151, v129, v92
	s_delay_alu instid0(VALU_DEP_4) | instskip(NEXT) | instid1(VALU_DEP_4)
	v_dual_fmac_f32 v152, v131, v94 :: v_dual_fmac_f32 v153, v133, v96
	v_dual_add_f32 v64, v64, v67 :: v_dual_add_f32 v63, v63, v140
	v_mul_f32_e32 v67, v119, v83
	v_fma_f32 v66, v116, v80, -v66
	v_fmac_f32_e32 v147, v121, v84
	s_delay_alu instid0(VALU_DEP_4)
	v_add_f32_e32 v64, v64, v68
	v_mul_f32_e32 v68, v121, v85
	v_add_f32_e32 v63, v63, v141
	v_fma_f32 v67, v118, v82, -v67
	v_fmac_f32_e32 v148, v123, v86
	v_add_f32_e32 v64, v64, v66
	v_mul_f32_e32 v66, v123, v87
	v_add_f32_e32 v63, v63, v142
	v_fma_f32 v68, v120, v84, -v68
	s_delay_alu instid0(VALU_DEP_4) | instskip(SKIP_1) | instid1(VALU_DEP_4)
	v_dual_fmac_f32 v149, v125, v88 :: v_dual_add_f32 v64, v64, v67
	v_mul_f32_e32 v67, v125, v89
	v_add_f32_e32 v63, v63, v143
	v_fma_f32 v66, v122, v86, -v66
	s_wait_loadcnt_dscnt 0x100
	v_dual_mul_f32 v154, v134, v99 :: v_dual_mul_f32 v155, v136, v101
	v_add_f32_e32 v64, v64, v68
	v_add_f32_e32 v63, v63, v144
	v_fma_f32 v67, v124, v88, -v67
	v_mul_f32_e32 v68, v127, v91
	v_dual_fmac_f32 v154, v135, v98 :: v_dual_fmac_f32 v155, v137, v100
	s_delay_alu instid0(VALU_DEP_4) | instskip(SKIP_1) | instid1(VALU_DEP_4)
	v_dual_add_f32 v64, v64, v66 :: v_dual_add_f32 v63, v63, v145
	v_mul_f32_e32 v66, v129, v93
	v_fma_f32 v68, v126, v90, -v68
	s_delay_alu instid0(VALU_DEP_3) | instskip(SKIP_1) | instid1(VALU_DEP_4)
	v_dual_add_f32 v64, v64, v67 :: v_dual_add_f32 v63, v63, v146
	v_mul_f32_e32 v67, v131, v95
	v_fma_f32 v66, v128, v92, -v66
	s_delay_alu instid0(VALU_DEP_3) | instskip(SKIP_1) | instid1(VALU_DEP_4)
	;; [unrolled: 4-line block ×4, first 2 shown]
	v_dual_add_f32 v64, v64, v67 :: v_dual_add_f32 v63, v63, v149
	v_mul_f32_e32 v67, v137, v101
	v_fma_f32 v66, v134, v98, -v66
	s_delay_alu instid0(VALU_DEP_3) | instskip(NEXT) | instid1(VALU_DEP_3)
	v_dual_add_f32 v64, v64, v68 :: v_dual_add_f32 v63, v63, v150
	v_fma_f32 v67, v136, v100, -v67
	s_delay_alu instid0(VALU_DEP_2) | instskip(NEXT) | instid1(VALU_DEP_1)
	v_dual_add_f32 v64, v64, v66 :: v_dual_add_f32 v63, v63, v151
	v_dual_add_f32 v64, v64, v67 :: v_dual_add_f32 v63, v63, v152
	s_delay_alu instid0(VALU_DEP_1) | instskip(NEXT) | instid1(VALU_DEP_1)
	v_add_f32_e32 v63, v63, v153
	v_add_f32_e32 v63, v63, v154
	s_wait_loadcnt 0x0
	s_delay_alu instid0(VALU_DEP_1) | instskip(NEXT) | instid1(VALU_DEP_1)
	v_dual_add_f32 v66, v63, v155 :: v_dual_sub_f32 v63, v138, v64
	v_sub_f32_e32 v64, v139, v66
	scratch_store_b64 off, v[63:64], off offset:96
	v_cmpx_lt_u32_e32 11, v0
	s_cbranch_execz .LBB94_177
; %bb.176:
	scratch_load_b64 v[63:64], off, off offset:88
	v_mov_b32_e32 v66, 0
	s_delay_alu instid0(VALU_DEP_1)
	v_mov_b32_e32 v67, v66
	scratch_store_b64 off, v[66:67], off offset:88
	s_wait_loadcnt 0x0
	ds_store_b64 v65, v[63:64]
.LBB94_177:
	s_wait_alu 0xfffe
	s_or_b32 exec_lo, exec_lo, s0
	s_wait_storecnt_dscnt 0x0
	s_barrier_signal -1
	s_barrier_wait -1
	global_inv scope:SCOPE_SE
	s_clause 0xa
	scratch_load_b128 v[66:69], off, off offset:96
	scratch_load_b128 v[70:73], off, off offset:112
	;; [unrolled: 1-line block ×9, first 2 shown]
	scratch_load_b64 v[138:139], off, off offset:240
	scratch_load_b64 v[140:141], off, off offset:88
	v_mov_b32_e32 v63, 0
	ds_load_b128 v[102:105], v63 offset:352
	ds_load_b128 v[106:109], v63 offset:368
	;; [unrolled: 1-line block ×9, first 2 shown]
	ds_load_b64 v[142:143], v63 offset:496
	s_mov_b32 s0, exec_lo
	s_wait_loadcnt_dscnt 0xa09
	v_mul_f32_e32 v64, v102, v67
	s_wait_loadcnt_dscnt 0x908
	v_dual_mul_f32 v144, v104, v69 :: v_dual_mul_f32 v145, v106, v71
	v_mul_f32_e32 v67, v103, v67
	s_delay_alu instid0(VALU_DEP_3)
	v_dual_mul_f32 v69, v105, v69 :: v_dual_fmac_f32 v64, v103, v66
	s_wait_loadcnt_dscnt 0x807
	v_dual_mul_f32 v146, v108, v73 :: v_dual_mul_f32 v147, v110, v75
	s_wait_loadcnt_dscnt 0x100
	v_dual_mul_f32 v158, v132, v97 :: v_dual_mul_f32 v161, v142, v139
	v_fma_f32 v67, v102, v66, -v67
	v_mul_f32_e32 v66, v107, v71
	v_fmac_f32_e32 v144, v105, v68
	v_fma_f32 v68, v104, v68, -v69
	v_dual_add_f32 v64, 0, v64 :: v_dual_mul_f32 v69, v109, v73
	v_add_f32_e32 v67, 0, v67
	v_fmac_f32_e32 v145, v107, v70
	v_fma_f32 v66, v106, v70, -v66
	s_delay_alu instid0(VALU_DEP_4)
	v_add_f32_e32 v64, v64, v144
	v_fma_f32 v69, v108, v72, -v69
	v_add_f32_e32 v67, v67, v68
	v_mul_f32_e32 v68, v111, v75
	v_dual_mul_f32 v150, v116, v81 :: v_dual_mul_f32 v151, v118, v83
	v_add_f32_e32 v64, v64, v145
	s_delay_alu instid0(VALU_DEP_4) | instskip(NEXT) | instid1(VALU_DEP_4)
	v_dual_add_f32 v66, v67, v66 :: v_dual_mul_f32 v67, v113, v77
	v_fma_f32 v68, v110, v74, -v68
	v_dual_mul_f32 v152, v120, v85 :: v_dual_mul_f32 v153, v122, v87
	s_delay_alu instid0(VALU_DEP_3) | instskip(NEXT) | instid1(VALU_DEP_4)
	v_dual_add_f32 v66, v66, v69 :: v_dual_mul_f32 v69, v115, v79
	v_fma_f32 v67, v112, v76, -v67
	v_dual_mul_f32 v154, v124, v89 :: v_dual_mul_f32 v155, v126, v91
	s_delay_alu instid0(VALU_DEP_3) | instskip(SKIP_3) | instid1(VALU_DEP_4)
	v_dual_add_f32 v66, v66, v68 :: v_dual_fmac_f32 v151, v119, v82
	v_dual_fmac_f32 v146, v109, v72 :: v_dual_fmac_f32 v147, v111, v74
	v_dual_mul_f32 v68, v117, v81 :: v_dual_fmac_f32 v153, v123, v86
	v_fma_f32 v69, v114, v78, -v69
	v_dual_add_f32 v66, v66, v67 :: v_dual_fmac_f32 v155, v127, v90
	v_dual_mul_f32 v156, v128, v93 :: v_dual_mul_f32 v157, v130, v95
	v_dual_add_f32 v64, v64, v146 :: v_dual_mul_f32 v67, v119, v83
	v_fma_f32 v68, v116, v80, -v68
	s_delay_alu instid0(VALU_DEP_3) | instskip(SKIP_1) | instid1(VALU_DEP_4)
	v_dual_add_f32 v66, v66, v69 :: v_dual_fmac_f32 v157, v131, v94
	v_mul_f32_e32 v69, v121, v85
	v_fma_f32 v67, v118, v82, -v67
	v_dual_mul_f32 v148, v112, v77 :: v_dual_mul_f32 v149, v114, v79
	s_delay_alu instid0(VALU_DEP_4) | instskip(SKIP_2) | instid1(VALU_DEP_4)
	v_add_f32_e32 v66, v66, v68
	v_mul_f32_e32 v68, v123, v87
	v_fma_f32 v69, v120, v84, -v69
	v_dual_fmac_f32 v148, v113, v76 :: v_dual_fmac_f32 v149, v115, v78
	s_delay_alu instid0(VALU_DEP_4) | instskip(SKIP_2) | instid1(VALU_DEP_3)
	v_dual_add_f32 v66, v66, v67 :: v_dual_fmac_f32 v161, v143, v138
	v_dual_add_f32 v64, v64, v147 :: v_dual_mul_f32 v67, v125, v89
	v_fma_f32 v68, v122, v86, -v68
	v_dual_add_f32 v66, v66, v69 :: v_dual_mul_f32 v69, v127, v91
	s_delay_alu instid0(VALU_DEP_3) | instskip(NEXT) | instid1(VALU_DEP_4)
	v_add_f32_e32 v64, v64, v148
	v_fma_f32 v67, v124, v88, -v67
	v_dual_mul_f32 v159, v134, v99 :: v_dual_mul_f32 v160, v136, v101
	s_delay_alu instid0(VALU_DEP_4)
	v_add_f32_e32 v66, v66, v68
	v_mul_f32_e32 v68, v129, v93
	v_fma_f32 v69, v126, v90, -v69
	v_fmac_f32_e32 v150, v117, v80
	v_dual_add_f32 v64, v64, v149 :: v_dual_fmac_f32 v159, v135, v98
	v_add_f32_e32 v66, v66, v67
	v_mul_f32_e32 v67, v131, v95
	v_fma_f32 v68, v128, v92, -v68
	s_delay_alu instid0(VALU_DEP_4)
	v_add_f32_e32 v64, v64, v150
	v_fmac_f32_e32 v152, v121, v84
	v_add_f32_e32 v66, v66, v69
	v_mul_f32_e32 v69, v133, v97
	v_fma_f32 v67, v130, v94, -v67
	v_fmac_f32_e32 v154, v125, v88
	v_fmac_f32_e32 v156, v129, v92
	v_add_f32_e32 v66, v66, v68
	v_fma_f32 v69, v132, v96, -v69
	v_mul_f32_e32 v68, v135, v99
	v_fmac_f32_e32 v158, v133, v96
	v_fmac_f32_e32 v160, v137, v100
	v_dual_add_f32 v66, v66, v67 :: v_dual_mul_f32 v67, v137, v101
	v_add_f32_e32 v64, v64, v151
	v_fma_f32 v68, v134, v98, -v68
	s_delay_alu instid0(VALU_DEP_3) | instskip(NEXT) | instid1(VALU_DEP_3)
	v_dual_add_f32 v66, v66, v69 :: v_dual_mul_f32 v69, v143, v139
	v_add_f32_e32 v64, v64, v152
	v_fma_f32 v67, v136, v100, -v67
	s_delay_alu instid0(VALU_DEP_3) | instskip(NEXT) | instid1(VALU_DEP_4)
	v_add_f32_e32 v66, v66, v68
	v_fma_f32 v68, v142, v138, -v69
	s_delay_alu instid0(VALU_DEP_4) | instskip(NEXT) | instid1(VALU_DEP_3)
	v_add_f32_e32 v64, v64, v153
	v_add_f32_e32 v66, v66, v67
	s_delay_alu instid0(VALU_DEP_2) | instskip(NEXT) | instid1(VALU_DEP_2)
	v_add_f32_e32 v64, v64, v154
	v_add_f32_e32 v66, v66, v68
	s_delay_alu instid0(VALU_DEP_2) | instskip(SKIP_1) | instid1(VALU_DEP_2)
	v_add_f32_e32 v64, v64, v155
	s_wait_loadcnt 0x0
	v_sub_f32_e32 v66, v140, v66
	s_delay_alu instid0(VALU_DEP_2) | instskip(NEXT) | instid1(VALU_DEP_1)
	v_add_f32_e32 v64, v64, v156
	v_add_f32_e32 v64, v64, v157
	s_delay_alu instid0(VALU_DEP_1) | instskip(NEXT) | instid1(VALU_DEP_1)
	v_add_f32_e32 v64, v64, v158
	v_add_f32_e32 v64, v64, v159
	s_delay_alu instid0(VALU_DEP_1) | instskip(NEXT) | instid1(VALU_DEP_1)
	v_add_f32_e32 v64, v64, v160
	v_add_f32_e32 v64, v64, v161
	s_delay_alu instid0(VALU_DEP_1)
	v_sub_f32_e32 v67, v141, v64
	scratch_store_b64 off, v[66:67], off offset:88
	v_cmpx_lt_u32_e32 10, v0
	s_cbranch_execz .LBB94_179
; %bb.178:
	scratch_load_b64 v[66:67], off, off offset:80
	v_mov_b32_e32 v64, v63
	scratch_store_b64 off, v[63:64], off offset:80
	s_wait_loadcnt 0x0
	ds_store_b64 v65, v[66:67]
.LBB94_179:
	s_wait_alu 0xfffe
	s_or_b32 exec_lo, exec_lo, s0
	s_wait_storecnt_dscnt 0x0
	s_barrier_signal -1
	s_barrier_wait -1
	global_inv scope:SCOPE_SE
	s_clause 0xa
	scratch_load_b128 v[66:69], off, off offset:88
	scratch_load_b128 v[70:73], off, off offset:104
	;; [unrolled: 1-line block ×10, first 2 shown]
	scratch_load_b64 v[146:147], off, off offset:80
	ds_load_2addr_b64 v[106:109], v63 offset0:43 offset1:44
	ds_load_2addr_b64 v[110:113], v63 offset0:45 offset1:46
	;; [unrolled: 1-line block ×10, first 2 shown]
	s_mov_b32 s0, exec_lo
	s_wait_loadcnt_dscnt 0xa09
	v_dual_mul_f32 v63, v106, v67 :: v_dual_mul_f32 v64, v108, v69
	v_mul_f32_e32 v67, v107, v67
	s_wait_loadcnt_dscnt 0x908
	v_dual_mul_f32 v69, v109, v69 :: v_dual_mul_f32 v148, v110, v71
	s_delay_alu instid0(VALU_DEP_3) | instskip(NEXT) | instid1(VALU_DEP_3)
	v_dual_mul_f32 v149, v112, v73 :: v_dual_fmac_f32 v64, v109, v68
	v_fma_f32 v67, v106, v66, -v67
	v_fmac_f32_e32 v63, v107, v66
	v_mul_f32_e32 v66, v111, v71
	v_fma_f32 v68, v108, v68, -v69
	v_mul_f32_e32 v69, v113, v73
	v_dual_add_f32 v67, 0, v67 :: v_dual_fmac_f32 v148, v111, v70
	s_delay_alu instid0(VALU_DEP_4) | instskip(SKIP_2) | instid1(VALU_DEP_3)
	v_fma_f32 v66, v110, v70, -v66
	s_wait_loadcnt_dscnt 0x807
	v_dual_mul_f32 v150, v114, v75 :: v_dual_mul_f32 v151, v116, v77
	v_add_f32_e32 v67, v67, v68
	v_fmac_f32_e32 v149, v113, v72
	v_fma_f32 v68, v112, v72, -v69
	s_wait_loadcnt_dscnt 0x706
	v_dual_mul_f32 v152, v118, v79 :: v_dual_mul_f32 v153, v120, v81
	v_dual_add_f32 v66, v67, v66 :: v_dual_mul_f32 v67, v117, v77
	v_fmac_f32_e32 v150, v115, v74
	s_wait_loadcnt_dscnt 0x605
	v_dual_mul_f32 v154, v122, v83 :: v_dual_mul_f32 v155, v124, v85
	s_delay_alu instid0(VALU_DEP_3) | instskip(SKIP_3) | instid1(VALU_DEP_4)
	v_dual_add_f32 v66, v66, v68 :: v_dual_add_f32 v63, 0, v63
	v_mul_f32_e32 v68, v119, v79
	v_fma_f32 v67, v116, v76, -v67
	v_dual_fmac_f32 v151, v117, v76 :: v_dual_fmac_f32 v152, v119, v78
	v_add_f32_e32 v63, v63, v64
	v_mul_f32_e32 v64, v115, v75
	v_fma_f32 v68, v118, v78, -v68
	v_dual_fmac_f32 v153, v121, v80 :: v_dual_fmac_f32 v154, v123, v82
	s_wait_loadcnt_dscnt 0x504
	v_dual_mul_f32 v156, v126, v87 :: v_dual_mul_f32 v157, v128, v89
	v_fma_f32 v64, v114, v74, -v64
	s_wait_loadcnt_dscnt 0x403
	v_dual_mul_f32 v158, v130, v91 :: v_dual_mul_f32 v159, v132, v93
	s_wait_loadcnt_dscnt 0x302
	v_dual_mul_f32 v160, v134, v95 :: v_dual_mul_f32 v161, v136, v97
	v_add_f32_e32 v64, v66, v64
	v_mul_f32_e32 v66, v121, v81
	v_dual_fmac_f32 v158, v131, v90 :: v_dual_fmac_f32 v159, v133, v92
	s_delay_alu instid0(VALU_DEP_4) | instskip(NEXT) | instid1(VALU_DEP_4)
	v_dual_fmac_f32 v160, v135, v94 :: v_dual_fmac_f32 v161, v137, v96
	v_dual_add_f32 v64, v64, v67 :: v_dual_add_f32 v63, v63, v148
	v_mul_f32_e32 v67, v123, v83
	v_fma_f32 v66, v120, v80, -v66
	v_fmac_f32_e32 v155, v125, v84
	s_delay_alu instid0(VALU_DEP_4)
	v_add_f32_e32 v64, v64, v68
	v_mul_f32_e32 v68, v125, v85
	v_add_f32_e32 v63, v63, v149
	v_fma_f32 v67, v122, v82, -v67
	v_fmac_f32_e32 v156, v127, v86
	v_add_f32_e32 v64, v64, v66
	v_mul_f32_e32 v66, v127, v87
	v_add_f32_e32 v63, v63, v150
	v_fma_f32 v68, v124, v84, -v68
	s_delay_alu instid0(VALU_DEP_4) | instskip(SKIP_1) | instid1(VALU_DEP_4)
	v_dual_fmac_f32 v157, v129, v88 :: v_dual_add_f32 v64, v64, v67
	v_mul_f32_e32 v67, v129, v89
	v_add_f32_e32 v63, v63, v151
	v_fma_f32 v66, v126, v86, -v66
	s_wait_loadcnt_dscnt 0x201
	v_dual_mul_f32 v162, v138, v99 :: v_dual_mul_f32 v163, v140, v101
	v_add_f32_e32 v64, v64, v68
	v_add_f32_e32 v63, v63, v152
	v_fma_f32 v67, v128, v88, -v67
	v_mul_f32_e32 v68, v131, v91
	s_wait_loadcnt_dscnt 0x100
	v_dual_mul_f32 v164, v142, v103 :: v_dual_mul_f32 v165, v144, v105
	v_dual_add_f32 v64, v64, v66 :: v_dual_add_f32 v63, v63, v153
	v_mul_f32_e32 v66, v133, v93
	v_fma_f32 v68, v130, v90, -v68
	v_dual_fmac_f32 v162, v139, v98 :: v_dual_fmac_f32 v163, v141, v100
	s_delay_alu instid0(VALU_DEP_4) | instskip(SKIP_3) | instid1(VALU_DEP_4)
	v_dual_add_f32 v64, v64, v67 :: v_dual_add_f32 v63, v63, v154
	v_mul_f32_e32 v67, v135, v95
	v_fma_f32 v66, v132, v92, -v66
	v_fmac_f32_e32 v165, v145, v104
	v_dual_add_f32 v64, v64, v68 :: v_dual_add_f32 v63, v63, v155
	v_mul_f32_e32 v68, v137, v97
	v_fma_f32 v67, v134, v94, -v67
	s_delay_alu instid0(VALU_DEP_3) | instskip(SKIP_1) | instid1(VALU_DEP_4)
	v_dual_add_f32 v64, v64, v66 :: v_dual_add_f32 v63, v63, v156
	v_mul_f32_e32 v66, v139, v99
	v_fma_f32 v68, v136, v96, -v68
	s_delay_alu instid0(VALU_DEP_3) | instskip(SKIP_1) | instid1(VALU_DEP_4)
	;; [unrolled: 4-line block ×4, first 2 shown]
	v_dual_add_f32 v64, v64, v66 :: v_dual_add_f32 v63, v63, v159
	v_mul_f32_e32 v66, v145, v105
	v_fma_f32 v68, v142, v102, -v68
	s_delay_alu instid0(VALU_DEP_3) | instskip(NEXT) | instid1(VALU_DEP_3)
	v_dual_add_f32 v64, v64, v67 :: v_dual_add_f32 v63, v63, v160
	v_fma_f32 v66, v144, v104, -v66
	s_delay_alu instid0(VALU_DEP_2) | instskip(NEXT) | instid1(VALU_DEP_1)
	v_dual_add_f32 v64, v64, v68 :: v_dual_add_f32 v63, v63, v161
	v_add_f32_e32 v64, v64, v66
	s_delay_alu instid0(VALU_DEP_2) | instskip(SKIP_1) | instid1(VALU_DEP_2)
	v_add_f32_e32 v63, v63, v162
	v_fmac_f32_e32 v164, v143, v102
	v_add_f32_e32 v63, v63, v163
	s_delay_alu instid0(VALU_DEP_1) | instskip(SKIP_1) | instid1(VALU_DEP_1)
	v_add_f32_e32 v63, v63, v164
	s_wait_loadcnt 0x0
	v_dual_add_f32 v66, v63, v165 :: v_dual_sub_f32 v63, v146, v64
	s_delay_alu instid0(VALU_DEP_1)
	v_sub_f32_e32 v64, v147, v66
	scratch_store_b64 off, v[63:64], off offset:80
	v_cmpx_lt_u32_e32 9, v0
	s_cbranch_execz .LBB94_181
; %bb.180:
	scratch_load_b64 v[63:64], off, off offset:72
	v_mov_b32_e32 v66, 0
	s_delay_alu instid0(VALU_DEP_1)
	v_mov_b32_e32 v67, v66
	scratch_store_b64 off, v[66:67], off offset:72
	s_wait_loadcnt 0x0
	ds_store_b64 v65, v[63:64]
.LBB94_181:
	s_wait_alu 0xfffe
	s_or_b32 exec_lo, exec_lo, s0
	s_wait_storecnt_dscnt 0x0
	s_barrier_signal -1
	s_barrier_wait -1
	global_inv scope:SCOPE_SE
	s_clause 0xb
	scratch_load_b128 v[66:69], off, off offset:80
	scratch_load_b128 v[70:73], off, off offset:96
	;; [unrolled: 1-line block ×10, first 2 shown]
	scratch_load_b64 v[146:147], off, off offset:240
	scratch_load_b64 v[148:149], off, off offset:72
	v_mov_b32_e32 v63, 0
	ds_load_b128 v[106:109], v63 offset:336
	ds_load_b128 v[110:113], v63 offset:352
	;; [unrolled: 1-line block ×10, first 2 shown]
	ds_load_b64 v[150:151], v63 offset:496
	s_mov_b32 s0, exec_lo
	s_wait_loadcnt_dscnt 0xb0a
	v_mul_f32_e32 v64, v106, v67
	s_wait_loadcnt_dscnt 0xa09
	v_dual_mul_f32 v152, v108, v69 :: v_dual_mul_f32 v153, v110, v71
	v_mul_f32_e32 v69, v109, v69
	v_dual_mul_f32 v67, v107, v67 :: v_dual_mul_f32 v154, v112, v73
	s_wait_loadcnt_dscnt 0x908
	v_dual_mul_f32 v155, v114, v75 :: v_dual_fmac_f32 v64, v107, v66
	s_wait_loadcnt_dscnt 0x302
	v_mul_f32_e32 v168, v140, v101
	v_fma_f32 v67, v106, v66, -v67
	s_wait_loadcnt_dscnt 0x100
	v_mul_f32_e32 v171, v150, v147
	v_mul_f32_e32 v66, v111, v71
	v_fmac_f32_e32 v152, v109, v68
	v_fma_f32 v68, v108, v68, -v69
	v_dual_add_f32 v67, 0, v67 :: v_dual_add_f32 v64, 0, v64
	v_mul_f32_e32 v69, v113, v73
	v_fmac_f32_e32 v153, v111, v70
	v_fma_f32 v66, v110, v70, -v66
	v_dual_mul_f32 v158, v120, v81 :: v_dual_mul_f32 v159, v122, v83
	v_add_f32_e32 v64, v64, v152
	v_add_f32_e32 v67, v67, v68
	v_mul_f32_e32 v68, v115, v75
	v_fma_f32 v69, v112, v72, -v69
	v_dual_mul_f32 v160, v124, v85 :: v_dual_mul_f32 v161, v126, v87
	v_add_f32_e32 v64, v64, v153
	v_dual_add_f32 v66, v67, v66 :: v_dual_mul_f32 v67, v117, v77
	v_fma_f32 v68, v114, v74, -v68
	v_dual_mul_f32 v162, v128, v89 :: v_dual_mul_f32 v163, v130, v91
	s_delay_alu instid0(VALU_DEP_3) | instskip(NEXT) | instid1(VALU_DEP_4)
	v_dual_add_f32 v66, v66, v69 :: v_dual_mul_f32 v69, v119, v79
	v_fma_f32 v67, v116, v76, -v67
	v_dual_fmac_f32 v154, v113, v72 :: v_dual_fmac_f32 v155, v115, v74
	s_delay_alu instid0(VALU_DEP_3) | instskip(SKIP_2) | instid1(VALU_DEP_3)
	v_dual_add_f32 v66, v66, v68 :: v_dual_fmac_f32 v159, v123, v82
	v_dual_mul_f32 v68, v121, v81 :: v_dual_fmac_f32 v161, v127, v86
	v_fma_f32 v69, v118, v78, -v69
	v_dual_add_f32 v66, v66, v67 :: v_dual_fmac_f32 v163, v131, v90
	v_dual_mul_f32 v164, v132, v93 :: v_dual_mul_f32 v165, v134, v95
	v_dual_add_f32 v64, v64, v154 :: v_dual_mul_f32 v67, v123, v83
	v_fma_f32 v68, v120, v80, -v68
	s_delay_alu instid0(VALU_DEP_3) | instskip(SKIP_1) | instid1(VALU_DEP_4)
	v_dual_add_f32 v66, v66, v69 :: v_dual_fmac_f32 v165, v135, v94
	v_mul_f32_e32 v69, v125, v85
	v_fma_f32 v67, v122, v82, -v67
	v_dual_mul_f32 v156, v116, v77 :: v_dual_mul_f32 v157, v118, v79
	s_delay_alu instid0(VALU_DEP_4) | instskip(SKIP_3) | instid1(VALU_DEP_3)
	v_add_f32_e32 v66, v66, v68
	v_dual_mul_f32 v169, v142, v103 :: v_dual_mul_f32 v170, v144, v105
	v_mul_f32_e32 v68, v127, v87
	v_fma_f32 v69, v124, v84, -v69
	v_dual_add_f32 v66, v66, v67 :: v_dual_fmac_f32 v169, v143, v102
	v_dual_fmac_f32 v156, v117, v76 :: v_dual_fmac_f32 v157, v119, v78
	v_dual_add_f32 v64, v64, v155 :: v_dual_mul_f32 v67, v129, v89
	v_fma_f32 v68, v126, v86, -v68
	s_delay_alu instid0(VALU_DEP_4) | instskip(NEXT) | instid1(VALU_DEP_3)
	v_dual_add_f32 v66, v66, v69 :: v_dual_mul_f32 v69, v131, v91
	v_add_f32_e32 v64, v64, v156
	s_delay_alu instid0(VALU_DEP_4) | instskip(SKIP_1) | instid1(VALU_DEP_4)
	v_fma_f32 v67, v128, v88, -v67
	v_dual_mul_f32 v166, v136, v97 :: v_dual_mul_f32 v167, v138, v99
	v_add_f32_e32 v66, v66, v68
	v_mul_f32_e32 v68, v133, v93
	v_fma_f32 v69, v130, v90, -v69
	v_fmac_f32_e32 v158, v121, v80
	v_dual_add_f32 v64, v64, v157 :: v_dual_fmac_f32 v167, v139, v98
	v_add_f32_e32 v66, v66, v67
	v_mul_f32_e32 v67, v135, v95
	v_fma_f32 v68, v132, v92, -v68
	s_delay_alu instid0(VALU_DEP_4)
	v_add_f32_e32 v64, v64, v158
	v_fmac_f32_e32 v160, v125, v84
	v_add_f32_e32 v66, v66, v69
	v_mul_f32_e32 v69, v137, v97
	v_fma_f32 v67, v134, v94, -v67
	v_dual_fmac_f32 v171, v151, v146 :: v_dual_fmac_f32 v162, v129, v88
	s_delay_alu instid0(VALU_DEP_4) | instskip(NEXT) | instid1(VALU_DEP_4)
	v_add_f32_e32 v66, v66, v68
	v_fma_f32 v69, v136, v96, -v69
	v_fmac_f32_e32 v164, v133, v92
	v_mul_f32_e32 v68, v139, v99
	v_fmac_f32_e32 v166, v137, v96
	v_dual_add_f32 v66, v66, v67 :: v_dual_mul_f32 v67, v141, v101
	v_add_f32_e32 v64, v64, v159
	s_delay_alu instid0(VALU_DEP_4) | instskip(SKIP_1) | instid1(VALU_DEP_4)
	v_fma_f32 v68, v138, v98, -v68
	v_fmac_f32_e32 v168, v141, v100
	v_dual_add_f32 v66, v66, v69 :: v_dual_mul_f32 v69, v143, v103
	s_delay_alu instid0(VALU_DEP_4) | instskip(SKIP_2) | instid1(VALU_DEP_4)
	v_add_f32_e32 v64, v64, v160
	v_fma_f32 v67, v140, v100, -v67
	v_fmac_f32_e32 v170, v145, v104
	v_add_f32_e32 v66, v66, v68
	v_mul_f32_e32 v68, v145, v105
	v_add_f32_e32 v64, v64, v161
	v_fma_f32 v69, v142, v102, -v69
	s_delay_alu instid0(VALU_DEP_4) | instskip(NEXT) | instid1(VALU_DEP_3)
	v_add_f32_e32 v66, v66, v67
	v_dual_mul_f32 v67, v151, v147 :: v_dual_add_f32 v64, v64, v162
	v_fma_f32 v68, v144, v104, -v68
	s_delay_alu instid0(VALU_DEP_3) | instskip(NEXT) | instid1(VALU_DEP_3)
	v_add_f32_e32 v66, v66, v69
	v_fma_f32 v67, v150, v146, -v67
	s_delay_alu instid0(VALU_DEP_4) | instskip(NEXT) | instid1(VALU_DEP_3)
	v_add_f32_e32 v64, v64, v163
	v_add_f32_e32 v66, v66, v68
	s_delay_alu instid0(VALU_DEP_2) | instskip(NEXT) | instid1(VALU_DEP_2)
	v_add_f32_e32 v64, v64, v164
	v_add_f32_e32 v66, v66, v67
	s_delay_alu instid0(VALU_DEP_2) | instskip(SKIP_1) | instid1(VALU_DEP_2)
	v_add_f32_e32 v64, v64, v165
	s_wait_loadcnt 0x0
	v_sub_f32_e32 v66, v148, v66
	s_delay_alu instid0(VALU_DEP_2) | instskip(NEXT) | instid1(VALU_DEP_1)
	v_add_f32_e32 v64, v64, v166
	v_add_f32_e32 v64, v64, v167
	s_delay_alu instid0(VALU_DEP_1) | instskip(NEXT) | instid1(VALU_DEP_1)
	v_add_f32_e32 v64, v64, v168
	v_add_f32_e32 v64, v64, v169
	s_delay_alu instid0(VALU_DEP_1) | instskip(NEXT) | instid1(VALU_DEP_1)
	v_add_f32_e32 v64, v64, v170
	v_add_f32_e32 v64, v64, v171
	s_delay_alu instid0(VALU_DEP_1)
	v_sub_f32_e32 v67, v149, v64
	scratch_store_b64 off, v[66:67], off offset:72
	v_cmpx_lt_u32_e32 8, v0
	s_cbranch_execz .LBB94_183
; %bb.182:
	scratch_load_b64 v[66:67], off, off offset:64
	v_mov_b32_e32 v64, v63
	scratch_store_b64 off, v[63:64], off offset:64
	s_wait_loadcnt 0x0
	ds_store_b64 v65, v[66:67]
.LBB94_183:
	s_wait_alu 0xfffe
	s_or_b32 exec_lo, exec_lo, s0
	s_wait_storecnt_dscnt 0x0
	s_barrier_signal -1
	s_barrier_wait -1
	global_inv scope:SCOPE_SE
	s_clause 0xb
	scratch_load_b128 v[66:69], off, off offset:72
	scratch_load_b128 v[70:73], off, off offset:88
	;; [unrolled: 1-line block ×11, first 2 shown]
	scratch_load_b64 v[154:155], off, off offset:64
	ds_load_2addr_b64 v[110:113], v63 offset0:41 offset1:42
	ds_load_2addr_b64 v[114:117], v63 offset0:43 offset1:44
	;; [unrolled: 1-line block ×11, first 2 shown]
	s_mov_b32 s0, exec_lo
	s_wait_loadcnt_dscnt 0xb0a
	v_dual_mul_f32 v63, v110, v67 :: v_dual_mul_f32 v64, v112, v69
	v_mul_f32_e32 v67, v111, v67
	s_wait_loadcnt_dscnt 0xa09
	v_dual_mul_f32 v69, v113, v69 :: v_dual_mul_f32 v156, v114, v71
	s_delay_alu instid0(VALU_DEP_3) | instskip(NEXT) | instid1(VALU_DEP_3)
	v_dual_mul_f32 v157, v116, v73 :: v_dual_fmac_f32 v64, v113, v68
	v_fma_f32 v67, v110, v66, -v67
	v_fmac_f32_e32 v63, v111, v66
	v_mul_f32_e32 v66, v115, v71
	v_fma_f32 v68, v112, v68, -v69
	v_mul_f32_e32 v69, v117, v73
	v_dual_add_f32 v67, 0, v67 :: v_dual_fmac_f32 v156, v115, v70
	s_delay_alu instid0(VALU_DEP_4) | instskip(SKIP_2) | instid1(VALU_DEP_3)
	v_fma_f32 v66, v114, v70, -v66
	s_wait_loadcnt_dscnt 0x908
	v_dual_mul_f32 v158, v118, v75 :: v_dual_mul_f32 v159, v120, v77
	v_add_f32_e32 v67, v67, v68
	v_fmac_f32_e32 v157, v117, v72
	v_fma_f32 v68, v116, v72, -v69
	s_wait_loadcnt_dscnt 0x807
	v_dual_mul_f32 v160, v122, v79 :: v_dual_mul_f32 v161, v124, v81
	v_dual_add_f32 v66, v67, v66 :: v_dual_mul_f32 v67, v121, v77
	v_fmac_f32_e32 v158, v119, v74
	s_wait_loadcnt_dscnt 0x706
	v_dual_mul_f32 v162, v126, v83 :: v_dual_mul_f32 v163, v128, v85
	s_delay_alu instid0(VALU_DEP_3) | instskip(SKIP_3) | instid1(VALU_DEP_4)
	v_dual_add_f32 v66, v66, v68 :: v_dual_add_f32 v63, 0, v63
	v_mul_f32_e32 v68, v123, v79
	v_fma_f32 v67, v120, v76, -v67
	v_dual_fmac_f32 v159, v121, v76 :: v_dual_fmac_f32 v160, v123, v78
	v_add_f32_e32 v63, v63, v64
	v_mul_f32_e32 v64, v119, v75
	v_fma_f32 v68, v122, v78, -v68
	v_dual_fmac_f32 v161, v125, v80 :: v_dual_fmac_f32 v162, v127, v82
	s_wait_loadcnt_dscnt 0x605
	v_dual_mul_f32 v164, v130, v87 :: v_dual_mul_f32 v165, v132, v89
	v_fma_f32 v64, v118, v74, -v64
	s_wait_loadcnt_dscnt 0x504
	v_dual_mul_f32 v166, v134, v91 :: v_dual_mul_f32 v167, v136, v93
	s_wait_loadcnt_dscnt 0x403
	v_dual_mul_f32 v168, v138, v95 :: v_dual_mul_f32 v169, v140, v97
	v_add_f32_e32 v64, v66, v64
	v_mul_f32_e32 v66, v125, v81
	v_dual_fmac_f32 v166, v135, v90 :: v_dual_fmac_f32 v167, v137, v92
	s_delay_alu instid0(VALU_DEP_4) | instskip(NEXT) | instid1(VALU_DEP_4)
	v_dual_fmac_f32 v168, v139, v94 :: v_dual_fmac_f32 v169, v141, v96
	v_dual_add_f32 v64, v64, v67 :: v_dual_add_f32 v63, v63, v156
	v_mul_f32_e32 v67, v127, v83
	v_fma_f32 v66, v124, v80, -v66
	v_fmac_f32_e32 v163, v129, v84
	s_delay_alu instid0(VALU_DEP_4)
	v_add_f32_e32 v64, v64, v68
	v_mul_f32_e32 v68, v129, v85
	v_add_f32_e32 v63, v63, v157
	v_fma_f32 v67, v126, v82, -v67
	v_fmac_f32_e32 v164, v131, v86
	v_add_f32_e32 v64, v64, v66
	v_mul_f32_e32 v66, v131, v87
	v_add_f32_e32 v63, v63, v158
	v_fma_f32 v68, v128, v84, -v68
	s_delay_alu instid0(VALU_DEP_4) | instskip(SKIP_1) | instid1(VALU_DEP_4)
	v_dual_fmac_f32 v165, v133, v88 :: v_dual_add_f32 v64, v64, v67
	v_mul_f32_e32 v67, v133, v89
	v_add_f32_e32 v63, v63, v159
	v_fma_f32 v66, v130, v86, -v66
	s_wait_loadcnt_dscnt 0x302
	v_dual_mul_f32 v170, v142, v99 :: v_dual_mul_f32 v171, v144, v101
	v_add_f32_e32 v64, v64, v68
	v_add_f32_e32 v63, v63, v160
	v_fma_f32 v67, v132, v88, -v67
	v_mul_f32_e32 v68, v135, v91
	s_wait_loadcnt_dscnt 0x201
	v_dual_mul_f32 v172, v146, v103 :: v_dual_mul_f32 v173, v148, v105
	v_dual_add_f32 v64, v64, v66 :: v_dual_add_f32 v63, v63, v161
	v_mul_f32_e32 v66, v137, v93
	v_fma_f32 v68, v134, v90, -v68
	v_dual_fmac_f32 v170, v143, v98 :: v_dual_fmac_f32 v171, v145, v100
	s_delay_alu instid0(VALU_DEP_4)
	v_dual_add_f32 v64, v64, v67 :: v_dual_add_f32 v63, v63, v162
	v_mul_f32_e32 v67, v139, v95
	v_fma_f32 v66, v136, v92, -v66
	s_wait_loadcnt_dscnt 0x100
	v_dual_mul_f32 v174, v150, v107 :: v_dual_mul_f32 v175, v152, v109
	v_dual_add_f32 v63, v63, v163 :: v_dual_add_f32 v64, v64, v68
	v_mul_f32_e32 v68, v141, v97
	v_fma_f32 v67, v138, v94, -v67
	s_delay_alu instid0(VALU_DEP_4) | instskip(NEXT) | instid1(VALU_DEP_4)
	v_dual_fmac_f32 v172, v147, v102 :: v_dual_fmac_f32 v175, v153, v108
	v_dual_add_f32 v63, v63, v164 :: v_dual_add_f32 v64, v64, v66
	v_mul_f32_e32 v66, v143, v99
	v_fma_f32 v68, v140, v96, -v68
	v_fmac_f32_e32 v173, v149, v104
	s_delay_alu instid0(VALU_DEP_4) | instskip(SKIP_2) | instid1(VALU_DEP_3)
	v_dual_add_f32 v63, v63, v165 :: v_dual_add_f32 v64, v64, v67
	v_mul_f32_e32 v67, v145, v101
	v_fma_f32 v66, v142, v98, -v66
	v_dual_add_f32 v63, v63, v166 :: v_dual_add_f32 v64, v64, v68
	v_mul_f32_e32 v68, v147, v103
	s_delay_alu instid0(VALU_DEP_4) | instskip(NEXT) | instid1(VALU_DEP_3)
	v_fma_f32 v67, v144, v100, -v67
	v_dual_add_f32 v63, v63, v167 :: v_dual_add_f32 v64, v64, v66
	v_mul_f32_e32 v66, v149, v105
	s_delay_alu instid0(VALU_DEP_4) | instskip(NEXT) | instid1(VALU_DEP_3)
	;; [unrolled: 4-line block ×4, first 2 shown]
	v_fma_f32 v67, v150, v106, -v67
	v_add_f32_e32 v63, v63, v170
	s_delay_alu instid0(VALU_DEP_4) | instskip(NEXT) | instid1(VALU_DEP_4)
	v_add_f32_e32 v64, v64, v66
	v_fma_f32 v66, v152, v108, -v68
	s_delay_alu instid0(VALU_DEP_3) | instskip(NEXT) | instid1(VALU_DEP_1)
	v_add_f32_e32 v63, v63, v171
	v_dual_add_f32 v64, v64, v67 :: v_dual_add_f32 v63, v63, v172
	s_delay_alu instid0(VALU_DEP_1) | instskip(SKIP_1) | instid1(VALU_DEP_3)
	v_add_f32_e32 v64, v64, v66
	v_fmac_f32_e32 v174, v151, v106
	v_add_f32_e32 v63, v63, v173
	s_delay_alu instid0(VALU_DEP_1) | instskip(SKIP_1) | instid1(VALU_DEP_1)
	v_add_f32_e32 v63, v63, v174
	s_wait_loadcnt 0x0
	v_dual_add_f32 v66, v63, v175 :: v_dual_sub_f32 v63, v154, v64
	s_delay_alu instid0(VALU_DEP_1)
	v_sub_f32_e32 v64, v155, v66
	scratch_store_b64 off, v[63:64], off offset:64
	v_cmpx_lt_u32_e32 7, v0
	s_cbranch_execz .LBB94_185
; %bb.184:
	scratch_load_b64 v[63:64], off, off offset:56
	v_mov_b32_e32 v66, 0
	s_delay_alu instid0(VALU_DEP_1)
	v_mov_b32_e32 v67, v66
	scratch_store_b64 off, v[66:67], off offset:56
	s_wait_loadcnt 0x0
	ds_store_b64 v65, v[63:64]
.LBB94_185:
	s_wait_alu 0xfffe
	s_or_b32 exec_lo, exec_lo, s0
	s_wait_storecnt_dscnt 0x0
	s_barrier_signal -1
	s_barrier_wait -1
	global_inv scope:SCOPE_SE
	s_clause 0xc
	scratch_load_b128 v[66:69], off, off offset:64
	scratch_load_b128 v[70:73], off, off offset:80
	;; [unrolled: 1-line block ×11, first 2 shown]
	scratch_load_b64 v[154:155], off, off offset:240
	scratch_load_b64 v[156:157], off, off offset:56
	v_mov_b32_e32 v63, 0
	ds_load_b128 v[110:113], v63 offset:320
	ds_load_b128 v[114:117], v63 offset:336
	;; [unrolled: 1-line block ×11, first 2 shown]
	ds_load_b64 v[158:159], v63 offset:496
	s_mov_b32 s0, exec_lo
	s_wait_loadcnt_dscnt 0xc0b
	v_mul_f32_e32 v64, v110, v67
	s_wait_loadcnt_dscnt 0xb0a
	v_dual_mul_f32 v160, v112, v69 :: v_dual_mul_f32 v161, v114, v71
	v_mul_f32_e32 v69, v113, v69
	s_wait_loadcnt_dscnt 0xa09
	v_dual_mul_f32 v162, v116, v73 :: v_dual_mul_f32 v163, v118, v75
	v_mul_f32_e32 v67, v111, v67
	v_fmac_f32_e32 v64, v111, v66
	s_wait_loadcnt_dscnt 0x807
	v_dual_mul_f32 v166, v124, v81 :: v_dual_mul_f32 v167, v126, v83
	s_wait_loadcnt_dscnt 0x100
	v_dual_mul_f32 v178, v148, v105 :: v_dual_mul_f32 v181, v158, v155
	v_fma_f32 v67, v110, v66, -v67
	v_mul_f32_e32 v66, v115, v71
	v_fmac_f32_e32 v160, v113, v68
	v_fma_f32 v68, v112, v68, -v69
	v_dual_add_f32 v64, 0, v64 :: v_dual_mul_f32 v69, v117, v73
	v_add_f32_e32 v67, 0, v67
	v_fmac_f32_e32 v161, v115, v70
	v_fma_f32 v66, v114, v70, -v66
	s_delay_alu instid0(VALU_DEP_4)
	v_add_f32_e32 v64, v64, v160
	v_fma_f32 v69, v116, v72, -v69
	v_add_f32_e32 v67, v67, v68
	v_mul_f32_e32 v68, v119, v75
	v_dual_mul_f32 v168, v128, v85 :: v_dual_mul_f32 v169, v130, v87
	v_add_f32_e32 v64, v64, v161
	s_delay_alu instid0(VALU_DEP_4) | instskip(NEXT) | instid1(VALU_DEP_4)
	v_dual_add_f32 v66, v67, v66 :: v_dual_mul_f32 v67, v121, v77
	v_fma_f32 v68, v118, v74, -v68
	v_dual_mul_f32 v170, v132, v89 :: v_dual_mul_f32 v171, v134, v91
	s_delay_alu instid0(VALU_DEP_3) | instskip(NEXT) | instid1(VALU_DEP_4)
	v_dual_add_f32 v66, v66, v69 :: v_dual_mul_f32 v69, v123, v79
	v_fma_f32 v67, v120, v76, -v67
	v_dual_fmac_f32 v162, v117, v72 :: v_dual_fmac_f32 v163, v119, v74
	s_delay_alu instid0(VALU_DEP_3) | instskip(SKIP_2) | instid1(VALU_DEP_3)
	v_dual_add_f32 v66, v66, v68 :: v_dual_fmac_f32 v167, v127, v82
	v_dual_mul_f32 v68, v125, v81 :: v_dual_fmac_f32 v169, v131, v86
	v_fma_f32 v69, v122, v78, -v69
	v_dual_add_f32 v66, v66, v67 :: v_dual_fmac_f32 v171, v135, v90
	v_dual_mul_f32 v172, v136, v93 :: v_dual_mul_f32 v173, v138, v95
	v_dual_add_f32 v64, v64, v162 :: v_dual_mul_f32 v67, v127, v83
	v_fma_f32 v68, v124, v80, -v68
	s_delay_alu instid0(VALU_DEP_3) | instskip(SKIP_1) | instid1(VALU_DEP_4)
	v_dual_add_f32 v66, v66, v69 :: v_dual_fmac_f32 v173, v139, v94
	v_mul_f32_e32 v69, v129, v85
	v_fma_f32 v67, v126, v82, -v67
	v_dual_mul_f32 v164, v120, v77 :: v_dual_mul_f32 v165, v122, v79
	s_delay_alu instid0(VALU_DEP_4) | instskip(SKIP_3) | instid1(VALU_DEP_4)
	v_add_f32_e32 v66, v66, v68
	v_dual_mul_f32 v176, v144, v101 :: v_dual_mul_f32 v177, v146, v103
	v_mul_f32_e32 v68, v131, v87
	v_fma_f32 v69, v128, v84, -v69
	v_add_f32_e32 v66, v66, v67
	v_dual_fmac_f32 v164, v121, v76 :: v_dual_fmac_f32 v165, v123, v78
	v_dual_add_f32 v64, v64, v163 :: v_dual_mul_f32 v67, v133, v89
	v_fma_f32 v68, v130, v86, -v68
	s_delay_alu instid0(VALU_DEP_4) | instskip(NEXT) | instid1(VALU_DEP_3)
	v_dual_fmac_f32 v177, v147, v102 :: v_dual_add_f32 v66, v66, v69
	v_dual_add_f32 v64, v64, v164 :: v_dual_mul_f32 v69, v135, v91
	s_delay_alu instid0(VALU_DEP_4) | instskip(SKIP_1) | instid1(VALU_DEP_4)
	v_fma_f32 v67, v132, v88, -v67
	v_dual_mul_f32 v174, v140, v97 :: v_dual_mul_f32 v175, v142, v99
	v_add_f32_e32 v66, v66, v68
	v_mul_f32_e32 v68, v137, v93
	v_fma_f32 v69, v134, v90, -v69
	v_fmac_f32_e32 v166, v125, v80
	v_dual_add_f32 v64, v64, v165 :: v_dual_fmac_f32 v175, v143, v98
	v_add_f32_e32 v66, v66, v67
	v_mul_f32_e32 v67, v139, v95
	v_fma_f32 v68, v136, v92, -v68
	s_delay_alu instid0(VALU_DEP_4)
	v_dual_add_f32 v64, v64, v166 :: v_dual_mul_f32 v179, v150, v107
	v_mul_f32_e32 v180, v152, v109
	v_add_f32_e32 v66, v66, v69
	v_mul_f32_e32 v69, v141, v97
	v_fma_f32 v67, v138, v94, -v67
	v_dual_fmac_f32 v168, v129, v84 :: v_dual_fmac_f32 v179, v151, v106
	s_delay_alu instid0(VALU_DEP_4) | instskip(NEXT) | instid1(VALU_DEP_4)
	v_add_f32_e32 v66, v66, v68
	v_fma_f32 v69, v140, v96, -v69
	v_dual_fmac_f32 v170, v133, v88 :: v_dual_fmac_f32 v181, v159, v154
	v_fmac_f32_e32 v172, v137, v92
	s_delay_alu instid0(VALU_DEP_4) | instskip(SKIP_3) | instid1(VALU_DEP_4)
	v_dual_add_f32 v66, v66, v67 :: v_dual_mul_f32 v67, v145, v101
	v_add_f32_e32 v64, v64, v167
	v_mul_f32_e32 v68, v143, v99
	v_fmac_f32_e32 v174, v141, v96
	v_dual_add_f32 v66, v66, v69 :: v_dual_mul_f32 v69, v147, v103
	s_delay_alu instid0(VALU_DEP_4) | instskip(NEXT) | instid1(VALU_DEP_4)
	v_add_f32_e32 v64, v64, v168
	v_fma_f32 v68, v142, v98, -v68
	v_fmac_f32_e32 v176, v145, v100
	v_fma_f32 v67, v144, v100, -v67
	v_fma_f32 v69, v146, v102, -v69
	v_add_f32_e32 v64, v64, v169
	v_add_f32_e32 v66, v66, v68
	v_mul_f32_e32 v68, v149, v105
	v_fmac_f32_e32 v178, v149, v104
	v_fmac_f32_e32 v180, v153, v108
	v_add_f32_e32 v64, v64, v170
	v_add_f32_e32 v66, v66, v67
	v_mul_f32_e32 v67, v151, v107
	v_fma_f32 v68, v148, v104, -v68
	s_delay_alu instid0(VALU_DEP_4) | instskip(NEXT) | instid1(VALU_DEP_4)
	v_add_f32_e32 v64, v64, v171
	v_add_f32_e32 v66, v66, v69
	v_mul_f32_e32 v69, v153, v109
	v_fma_f32 v67, v150, v106, -v67
	s_delay_alu instid0(VALU_DEP_4) | instskip(NEXT) | instid1(VALU_DEP_4)
	;; [unrolled: 5-line block ×3, first 2 shown]
	v_add_f32_e32 v64, v64, v173
	v_add_f32_e32 v66, v66, v67
	s_delay_alu instid0(VALU_DEP_4) | instskip(NEXT) | instid1(VALU_DEP_3)
	v_fma_f32 v67, v158, v154, -v68
	v_add_f32_e32 v64, v64, v174
	s_delay_alu instid0(VALU_DEP_3) | instskip(NEXT) | instid1(VALU_DEP_2)
	v_add_f32_e32 v66, v66, v69
	v_add_f32_e32 v64, v64, v175
	s_delay_alu instid0(VALU_DEP_2) | instskip(NEXT) | instid1(VALU_DEP_2)
	v_add_f32_e32 v66, v66, v67
	v_add_f32_e32 v64, v64, v176
	s_wait_loadcnt 0x0
	s_delay_alu instid0(VALU_DEP_2) | instskip(NEXT) | instid1(VALU_DEP_2)
	v_sub_f32_e32 v66, v156, v66
	v_add_f32_e32 v64, v64, v177
	s_delay_alu instid0(VALU_DEP_1) | instskip(NEXT) | instid1(VALU_DEP_1)
	v_add_f32_e32 v64, v64, v178
	v_add_f32_e32 v64, v64, v179
	s_delay_alu instid0(VALU_DEP_1) | instskip(NEXT) | instid1(VALU_DEP_1)
	v_add_f32_e32 v64, v64, v180
	v_add_f32_e32 v64, v64, v181
	s_delay_alu instid0(VALU_DEP_1)
	v_sub_f32_e32 v67, v157, v64
	scratch_store_b64 off, v[66:67], off offset:56
	v_cmpx_lt_u32_e32 6, v0
	s_cbranch_execz .LBB94_187
; %bb.186:
	scratch_load_b64 v[66:67], off, off offset:48
	v_mov_b32_e32 v64, v63
	scratch_store_b64 off, v[63:64], off offset:48
	s_wait_loadcnt 0x0
	ds_store_b64 v65, v[66:67]
.LBB94_187:
	s_wait_alu 0xfffe
	s_or_b32 exec_lo, exec_lo, s0
	s_wait_storecnt_dscnt 0x0
	s_barrier_signal -1
	s_barrier_wait -1
	global_inv scope:SCOPE_SE
	s_clause 0xc
	scratch_load_b128 v[66:69], off, off offset:56
	scratch_load_b128 v[70:73], off, off offset:72
	;; [unrolled: 1-line block ×12, first 2 shown]
	scratch_load_b64 v[162:163], off, off offset:48
	ds_load_2addr_b64 v[114:117], v63 offset0:39 offset1:40
	ds_load_2addr_b64 v[118:121], v63 offset0:41 offset1:42
	;; [unrolled: 1-line block ×12, first 2 shown]
	s_mov_b32 s0, exec_lo
	s_wait_loadcnt_dscnt 0xc0b
	v_dual_mul_f32 v63, v114, v67 :: v_dual_mul_f32 v64, v116, v69
	v_mul_f32_e32 v67, v115, v67
	s_wait_loadcnt_dscnt 0xb0a
	v_dual_mul_f32 v69, v117, v69 :: v_dual_mul_f32 v164, v118, v71
	s_delay_alu instid0(VALU_DEP_3) | instskip(NEXT) | instid1(VALU_DEP_3)
	v_dual_mul_f32 v165, v120, v73 :: v_dual_fmac_f32 v64, v117, v68
	v_fma_f32 v67, v114, v66, -v67
	v_fmac_f32_e32 v63, v115, v66
	v_mul_f32_e32 v66, v119, v71
	v_fma_f32 v68, v116, v68, -v69
	v_mul_f32_e32 v69, v121, v73
	v_dual_add_f32 v67, 0, v67 :: v_dual_fmac_f32 v164, v119, v70
	s_delay_alu instid0(VALU_DEP_4) | instskip(SKIP_2) | instid1(VALU_DEP_3)
	v_fma_f32 v66, v118, v70, -v66
	s_wait_loadcnt_dscnt 0xa09
	v_dual_mul_f32 v166, v122, v75 :: v_dual_mul_f32 v167, v124, v77
	v_add_f32_e32 v67, v67, v68
	v_fmac_f32_e32 v165, v121, v72
	v_fma_f32 v68, v120, v72, -v69
	s_wait_loadcnt_dscnt 0x908
	v_dual_mul_f32 v168, v126, v79 :: v_dual_mul_f32 v169, v128, v81
	v_dual_add_f32 v66, v67, v66 :: v_dual_mul_f32 v67, v125, v77
	v_fmac_f32_e32 v166, v123, v74
	s_wait_loadcnt_dscnt 0x807
	v_dual_mul_f32 v170, v130, v83 :: v_dual_mul_f32 v171, v132, v85
	s_delay_alu instid0(VALU_DEP_3) | instskip(SKIP_3) | instid1(VALU_DEP_4)
	v_dual_add_f32 v66, v66, v68 :: v_dual_add_f32 v63, 0, v63
	v_mul_f32_e32 v68, v127, v79
	v_fma_f32 v67, v124, v76, -v67
	v_dual_fmac_f32 v167, v125, v76 :: v_dual_fmac_f32 v168, v127, v78
	v_add_f32_e32 v63, v63, v64
	v_mul_f32_e32 v64, v123, v75
	v_fma_f32 v68, v126, v78, -v68
	v_dual_fmac_f32 v169, v129, v80 :: v_dual_fmac_f32 v170, v131, v82
	s_wait_loadcnt_dscnt 0x706
	v_dual_mul_f32 v172, v134, v87 :: v_dual_mul_f32 v173, v136, v89
	v_fma_f32 v64, v122, v74, -v64
	s_wait_loadcnt_dscnt 0x605
	v_dual_mul_f32 v174, v138, v91 :: v_dual_mul_f32 v175, v140, v93
	s_wait_loadcnt_dscnt 0x504
	v_dual_mul_f32 v176, v142, v95 :: v_dual_mul_f32 v177, v144, v97
	v_add_f32_e32 v64, v66, v64
	v_mul_f32_e32 v66, v129, v81
	v_dual_fmac_f32 v174, v139, v90 :: v_dual_fmac_f32 v175, v141, v92
	s_delay_alu instid0(VALU_DEP_4) | instskip(NEXT) | instid1(VALU_DEP_4)
	v_dual_fmac_f32 v176, v143, v94 :: v_dual_fmac_f32 v177, v145, v96
	v_dual_add_f32 v64, v64, v67 :: v_dual_add_f32 v63, v63, v164
	v_mul_f32_e32 v67, v131, v83
	v_fma_f32 v66, v128, v80, -v66
	v_fmac_f32_e32 v171, v133, v84
	s_delay_alu instid0(VALU_DEP_4)
	v_add_f32_e32 v64, v64, v68
	v_mul_f32_e32 v68, v133, v85
	v_add_f32_e32 v63, v63, v165
	v_fma_f32 v67, v130, v82, -v67
	v_fmac_f32_e32 v172, v135, v86
	v_add_f32_e32 v64, v64, v66
	v_mul_f32_e32 v66, v135, v87
	v_add_f32_e32 v63, v63, v166
	v_fma_f32 v68, v132, v84, -v68
	s_delay_alu instid0(VALU_DEP_4) | instskip(SKIP_1) | instid1(VALU_DEP_4)
	v_dual_fmac_f32 v173, v137, v88 :: v_dual_add_f32 v64, v64, v67
	v_mul_f32_e32 v67, v137, v89
	v_add_f32_e32 v63, v63, v167
	v_fma_f32 v66, v134, v86, -v66
	s_wait_loadcnt_dscnt 0x403
	v_dual_mul_f32 v178, v146, v99 :: v_dual_mul_f32 v179, v148, v101
	v_add_f32_e32 v64, v64, v68
	v_add_f32_e32 v63, v63, v168
	v_fma_f32 v67, v136, v88, -v67
	v_mul_f32_e32 v68, v139, v91
	s_wait_loadcnt_dscnt 0x302
	v_dual_mul_f32 v180, v150, v103 :: v_dual_mul_f32 v181, v152, v105
	v_dual_add_f32 v64, v64, v66 :: v_dual_add_f32 v63, v63, v169
	v_mul_f32_e32 v66, v141, v93
	v_fma_f32 v68, v138, v90, -v68
	v_dual_fmac_f32 v178, v147, v98 :: v_dual_fmac_f32 v179, v149, v100
	s_delay_alu instid0(VALU_DEP_4)
	v_dual_add_f32 v64, v64, v67 :: v_dual_add_f32 v63, v63, v170
	v_mul_f32_e32 v67, v143, v95
	v_fma_f32 v66, v140, v92, -v66
	s_wait_loadcnt_dscnt 0x201
	v_dual_mul_f32 v182, v154, v107 :: v_dual_mul_f32 v183, v156, v109
	v_dual_add_f32 v63, v63, v171 :: v_dual_add_f32 v64, v64, v68
	v_mul_f32_e32 v68, v145, v97
	v_fma_f32 v67, v142, v94, -v67
	s_delay_alu instid0(VALU_DEP_4) | instskip(NEXT) | instid1(VALU_DEP_4)
	v_dual_fmac_f32 v180, v151, v102 :: v_dual_fmac_f32 v183, v157, v108
	v_dual_add_f32 v63, v63, v172 :: v_dual_add_f32 v64, v64, v66
	v_mul_f32_e32 v66, v147, v99
	v_fma_f32 v68, v144, v96, -v68
	v_fmac_f32_e32 v181, v153, v104
	s_delay_alu instid0(VALU_DEP_4)
	v_dual_add_f32 v63, v63, v173 :: v_dual_add_f32 v64, v64, v67
	v_mul_f32_e32 v67, v149, v101
	v_fma_f32 v66, v146, v98, -v66
	s_wait_loadcnt_dscnt 0x100
	v_dual_mul_f32 v184, v158, v111 :: v_dual_mul_f32 v185, v160, v113
	v_dual_add_f32 v63, v63, v174 :: v_dual_add_f32 v64, v64, v68
	v_mul_f32_e32 v68, v151, v103
	v_fma_f32 v67, v148, v100, -v67
	v_fmac_f32_e32 v182, v155, v106
	s_delay_alu instid0(VALU_DEP_4) | instskip(SKIP_3) | instid1(VALU_DEP_4)
	v_dual_add_f32 v63, v63, v175 :: v_dual_add_f32 v64, v64, v66
	v_mul_f32_e32 v66, v153, v105
	v_fma_f32 v68, v150, v102, -v68
	v_fmac_f32_e32 v185, v161, v112
	v_dual_add_f32 v63, v63, v176 :: v_dual_add_f32 v64, v64, v67
	v_mul_f32_e32 v67, v155, v107
	v_fma_f32 v66, v152, v104, -v66
	s_delay_alu instid0(VALU_DEP_3) | instskip(SKIP_1) | instid1(VALU_DEP_4)
	v_dual_add_f32 v63, v63, v177 :: v_dual_add_f32 v64, v64, v68
	v_mul_f32_e32 v68, v157, v109
	v_fma_f32 v67, v154, v106, -v67
	s_delay_alu instid0(VALU_DEP_3) | instskip(NEXT) | instid1(VALU_DEP_4)
	v_add_f32_e32 v63, v63, v178
	v_add_f32_e32 v64, v64, v66
	v_mul_f32_e32 v66, v159, v111
	v_fma_f32 v68, v156, v108, -v68
	s_delay_alu instid0(VALU_DEP_4) | instskip(NEXT) | instid1(VALU_DEP_4)
	v_add_f32_e32 v63, v63, v179
	v_dual_add_f32 v64, v64, v67 :: v_dual_mul_f32 v67, v161, v113
	s_delay_alu instid0(VALU_DEP_4) | instskip(NEXT) | instid1(VALU_DEP_3)
	v_fma_f32 v66, v158, v110, -v66
	v_add_f32_e32 v63, v63, v180
	s_delay_alu instid0(VALU_DEP_3) | instskip(NEXT) | instid1(VALU_DEP_4)
	v_add_f32_e32 v64, v64, v68
	v_fma_f32 v67, v160, v112, -v67
	s_delay_alu instid0(VALU_DEP_2) | instskip(NEXT) | instid1(VALU_DEP_1)
	v_dual_add_f32 v63, v63, v181 :: v_dual_add_f32 v64, v64, v66
	v_dual_add_f32 v63, v63, v182 :: v_dual_add_f32 v64, v64, v67
	v_fmac_f32_e32 v184, v159, v110
	s_delay_alu instid0(VALU_DEP_2) | instskip(NEXT) | instid1(VALU_DEP_1)
	v_add_f32_e32 v63, v63, v183
	v_add_f32_e32 v63, v63, v184
	s_wait_loadcnt 0x0
	s_delay_alu instid0(VALU_DEP_1) | instskip(NEXT) | instid1(VALU_DEP_1)
	v_dual_add_f32 v66, v63, v185 :: v_dual_sub_f32 v63, v162, v64
	v_sub_f32_e32 v64, v163, v66
	scratch_store_b64 off, v[63:64], off offset:48
	v_cmpx_lt_u32_e32 5, v0
	s_cbranch_execz .LBB94_189
; %bb.188:
	scratch_load_b64 v[63:64], off, off offset:40
	v_mov_b32_e32 v66, 0
	s_delay_alu instid0(VALU_DEP_1)
	v_mov_b32_e32 v67, v66
	scratch_store_b64 off, v[66:67], off offset:40
	s_wait_loadcnt 0x0
	ds_store_b64 v65, v[63:64]
.LBB94_189:
	s_wait_alu 0xfffe
	s_or_b32 exec_lo, exec_lo, s0
	s_wait_storecnt_dscnt 0x0
	s_barrier_signal -1
	s_barrier_wait -1
	global_inv scope:SCOPE_SE
	s_clause 0xd
	scratch_load_b128 v[66:69], off, off offset:48
	scratch_load_b128 v[70:73], off, off offset:64
	;; [unrolled: 1-line block ×12, first 2 shown]
	scratch_load_b64 v[162:163], off, off offset:240
	scratch_load_b64 v[164:165], off, off offset:40
	v_mov_b32_e32 v63, 0
	ds_load_b128 v[114:117], v63 offset:304
	ds_load_b128 v[118:121], v63 offset:320
	;; [unrolled: 1-line block ×12, first 2 shown]
	ds_load_b64 v[166:167], v63 offset:496
	s_mov_b32 s0, exec_lo
	s_wait_loadcnt_dscnt 0xd0c
	v_mul_f32_e32 v64, v114, v67
	s_wait_loadcnt_dscnt 0xc0b
	v_dual_mul_f32 v168, v116, v69 :: v_dual_mul_f32 v169, v118, v71
	v_mul_f32_e32 v69, v117, v69
	s_wait_loadcnt_dscnt 0xb0a
	v_dual_mul_f32 v170, v120, v73 :: v_dual_mul_f32 v171, v122, v75
	s_wait_loadcnt_dscnt 0xa09
	v_dual_mul_f32 v67, v115, v67 :: v_dual_mul_f32 v174, v128, v81
	s_wait_loadcnt_dscnt 0x908
	v_dual_mul_f32 v175, v130, v83 :: v_dual_fmac_f32 v64, v115, v66
	s_wait_loadcnt_dscnt 0x302
	v_mul_f32_e32 v188, v156, v109
	v_fma_f32 v67, v114, v66, -v67
	s_wait_loadcnt_dscnt 0x100
	v_mul_f32_e32 v191, v166, v163
	v_mul_f32_e32 v66, v119, v71
	v_fmac_f32_e32 v168, v117, v68
	v_fma_f32 v68, v116, v68, -v69
	v_dual_add_f32 v67, 0, v67 :: v_dual_add_f32 v64, 0, v64
	v_mul_f32_e32 v69, v121, v73
	v_fmac_f32_e32 v169, v119, v70
	v_fma_f32 v66, v118, v70, -v66
	v_dual_mul_f32 v176, v132, v85 :: v_dual_mul_f32 v177, v134, v87
	v_add_f32_e32 v64, v64, v168
	v_add_f32_e32 v67, v67, v68
	v_mul_f32_e32 v68, v123, v75
	v_fma_f32 v69, v120, v72, -v69
	v_dual_mul_f32 v178, v136, v89 :: v_dual_mul_f32 v179, v138, v91
	v_add_f32_e32 v64, v64, v169
	v_dual_add_f32 v66, v67, v66 :: v_dual_mul_f32 v67, v125, v77
	v_fma_f32 v68, v122, v74, -v68
	v_dual_fmac_f32 v170, v121, v72 :: v_dual_fmac_f32 v171, v123, v74
	s_delay_alu instid0(VALU_DEP_3) | instskip(NEXT) | instid1(VALU_DEP_4)
	v_dual_add_f32 v66, v66, v69 :: v_dual_mul_f32 v69, v127, v79
	v_fma_f32 v67, v124, v76, -v67
	v_dual_fmac_f32 v175, v131, v82 :: v_dual_mul_f32 v180, v140, v93
	v_mul_f32_e32 v181, v142, v95
	s_delay_alu instid0(VALU_DEP_4) | instskip(SKIP_3) | instid1(VALU_DEP_4)
	v_add_f32_e32 v66, v66, v68
	v_dual_mul_f32 v68, v129, v81 :: v_dual_fmac_f32 v177, v135, v86
	v_fma_f32 v69, v126, v78, -v69
	v_add_f32_e32 v64, v64, v170
	v_dual_add_f32 v66, v66, v67 :: v_dual_fmac_f32 v179, v139, v90
	v_mul_f32_e32 v67, v131, v83
	v_fma_f32 v68, v128, v80, -v68
	s_delay_alu instid0(VALU_DEP_3) | instskip(SKIP_1) | instid1(VALU_DEP_4)
	v_dual_fmac_f32 v181, v143, v94 :: v_dual_add_f32 v66, v66, v69
	v_mul_f32_e32 v69, v133, v85
	v_fma_f32 v67, v130, v82, -v67
	v_dual_mul_f32 v172, v124, v77 :: v_dual_mul_f32 v173, v126, v79
	s_delay_alu instid0(VALU_DEP_4) | instskip(SKIP_3) | instid1(VALU_DEP_4)
	v_add_f32_e32 v66, v66, v68
	v_dual_mul_f32 v184, v148, v101 :: v_dual_mul_f32 v185, v150, v103
	v_mul_f32_e32 v68, v135, v87
	v_fma_f32 v69, v132, v84, -v69
	v_add_f32_e32 v66, v66, v67
	v_dual_fmac_f32 v172, v125, v76 :: v_dual_fmac_f32 v173, v127, v78
	v_dual_add_f32 v64, v64, v171 :: v_dual_mul_f32 v67, v137, v89
	v_fma_f32 v68, v134, v86, -v68
	s_delay_alu instid0(VALU_DEP_4) | instskip(NEXT) | instid1(VALU_DEP_3)
	v_dual_fmac_f32 v185, v151, v102 :: v_dual_add_f32 v66, v66, v69
	v_dual_add_f32 v64, v64, v172 :: v_dual_mul_f32 v69, v139, v91
	s_delay_alu instid0(VALU_DEP_4) | instskip(SKIP_1) | instid1(VALU_DEP_4)
	v_fma_f32 v67, v136, v88, -v67
	v_fmac_f32_e32 v174, v129, v80
	v_add_f32_e32 v66, v66, v68
	v_mul_f32_e32 v68, v141, v93
	v_fma_f32 v69, v138, v90, -v69
	v_dual_mul_f32 v182, v144, v97 :: v_dual_mul_f32 v183, v146, v99
	s_delay_alu instid0(VALU_DEP_4) | instskip(SKIP_2) | instid1(VALU_DEP_4)
	v_add_f32_e32 v66, v66, v67
	v_mul_f32_e32 v67, v143, v95
	v_fma_f32 v68, v140, v92, -v68
	v_dual_add_f32 v64, v64, v173 :: v_dual_fmac_f32 v183, v147, v98
	s_delay_alu instid0(VALU_DEP_4) | instskip(SKIP_2) | instid1(VALU_DEP_4)
	v_add_f32_e32 v66, v66, v69
	v_mul_f32_e32 v69, v145, v97
	v_fma_f32 v67, v142, v94, -v67
	v_add_f32_e32 v64, v64, v174
	v_fmac_f32_e32 v176, v133, v84
	v_add_f32_e32 v66, v66, v68
	v_mul_f32_e32 v68, v147, v99
	v_fma_f32 v69, v144, v96, -v69
	v_dual_mul_f32 v186, v152, v105 :: v_dual_mul_f32 v187, v154, v107
	s_delay_alu instid0(VALU_DEP_4) | instskip(NEXT) | instid1(VALU_DEP_4)
	v_dual_add_f32 v66, v66, v67 :: v_dual_mul_f32 v67, v149, v101
	v_fma_f32 v68, v146, v98, -v68
	s_delay_alu instid0(VALU_DEP_3) | instskip(NEXT) | instid1(VALU_DEP_3)
	v_dual_add_f32 v64, v64, v175 :: v_dual_fmac_f32 v187, v155, v106
	v_dual_add_f32 v66, v66, v69 :: v_dual_mul_f32 v69, v151, v103
	s_delay_alu instid0(VALU_DEP_4) | instskip(NEXT) | instid1(VALU_DEP_3)
	v_fma_f32 v67, v148, v100, -v67
	v_dual_add_f32 v64, v64, v176 :: v_dual_mul_f32 v189, v158, v111
	v_mul_f32_e32 v190, v160, v113
	s_delay_alu instid0(VALU_DEP_4) | instskip(SKIP_3) | instid1(VALU_DEP_4)
	v_add_f32_e32 v66, v66, v68
	v_mul_f32_e32 v68, v153, v105
	v_fma_f32 v69, v150, v102, -v69
	v_dual_fmac_f32 v178, v137, v88 :: v_dual_fmac_f32 v189, v159, v110
	v_add_f32_e32 v66, v66, v67
	v_mul_f32_e32 v67, v155, v107
	v_fma_f32 v68, v152, v104, -v68
	v_fmac_f32_e32 v180, v141, v92
	v_fmac_f32_e32 v182, v145, v96
	v_add_f32_e32 v66, v66, v69
	v_fma_f32 v67, v154, v106, -v67
	v_dual_fmac_f32 v191, v167, v162 :: v_dual_fmac_f32 v184, v149, v100
	v_fmac_f32_e32 v186, v153, v104
	s_delay_alu instid0(VALU_DEP_4) | instskip(SKIP_3) | instid1(VALU_DEP_4)
	v_dual_add_f32 v66, v66, v68 :: v_dual_mul_f32 v69, v157, v109
	v_mul_f32_e32 v68, v159, v111
	v_fmac_f32_e32 v188, v157, v108
	v_fmac_f32_e32 v190, v161, v112
	v_dual_add_f32 v66, v66, v67 :: v_dual_mul_f32 v67, v161, v113
	v_add_f32_e32 v64, v64, v177
	v_fma_f32 v69, v156, v108, -v69
	v_fma_f32 v68, v158, v110, -v68
	s_delay_alu instid0(VALU_DEP_4) | instskip(NEXT) | instid1(VALU_DEP_4)
	v_fma_f32 v67, v160, v112, -v67
	v_add_f32_e32 v64, v64, v178
	s_delay_alu instid0(VALU_DEP_4) | instskip(NEXT) | instid1(VALU_DEP_2)
	v_dual_add_f32 v66, v66, v69 :: v_dual_mul_f32 v69, v167, v163
	v_add_f32_e32 v64, v64, v179
	s_delay_alu instid0(VALU_DEP_2) | instskip(NEXT) | instid1(VALU_DEP_3)
	v_add_f32_e32 v66, v66, v68
	v_fma_f32 v68, v166, v162, -v69
	s_delay_alu instid0(VALU_DEP_3) | instskip(NEXT) | instid1(VALU_DEP_3)
	v_add_f32_e32 v64, v64, v180
	v_add_f32_e32 v66, v66, v67
	s_delay_alu instid0(VALU_DEP_2) | instskip(NEXT) | instid1(VALU_DEP_2)
	v_add_f32_e32 v64, v64, v181
	v_add_f32_e32 v66, v66, v68
	s_delay_alu instid0(VALU_DEP_2) | instskip(SKIP_1) | instid1(VALU_DEP_2)
	v_add_f32_e32 v64, v64, v182
	s_wait_loadcnt 0x0
	v_sub_f32_e32 v66, v164, v66
	s_delay_alu instid0(VALU_DEP_2) | instskip(NEXT) | instid1(VALU_DEP_1)
	v_add_f32_e32 v64, v64, v183
	v_add_f32_e32 v64, v64, v184
	s_delay_alu instid0(VALU_DEP_1) | instskip(NEXT) | instid1(VALU_DEP_1)
	v_add_f32_e32 v64, v64, v185
	v_add_f32_e32 v64, v64, v186
	s_delay_alu instid0(VALU_DEP_1) | instskip(NEXT) | instid1(VALU_DEP_1)
	;; [unrolled: 3-line block ×4, first 2 shown]
	v_add_f32_e32 v64, v64, v191
	v_sub_f32_e32 v67, v165, v64
	scratch_store_b64 off, v[66:67], off offset:40
	v_cmpx_lt_u32_e32 4, v0
	s_cbranch_execz .LBB94_191
; %bb.190:
	scratch_load_b64 v[66:67], off, off offset:32
	v_mov_b32_e32 v64, v63
	scratch_store_b64 off, v[63:64], off offset:32
	s_wait_loadcnt 0x0
	ds_store_b64 v65, v[66:67]
.LBB94_191:
	s_wait_alu 0xfffe
	s_or_b32 exec_lo, exec_lo, s0
	s_wait_storecnt_dscnt 0x0
	s_barrier_signal -1
	s_barrier_wait -1
	global_inv scope:SCOPE_SE
	s_clause 0xd
	scratch_load_b128 v[66:69], off, off offset:40
	scratch_load_b128 v[70:73], off, off offset:56
	;; [unrolled: 1-line block ×13, first 2 shown]
	scratch_load_b64 v[170:171], off, off offset:32
	ds_load_2addr_b64 v[118:121], v63 offset0:37 offset1:38
	ds_load_2addr_b64 v[122:125], v63 offset0:39 offset1:40
	;; [unrolled: 1-line block ×13, first 2 shown]
	s_mov_b32 s0, exec_lo
	s_wait_loadcnt_dscnt 0xd0c
	v_dual_mul_f32 v63, v118, v67 :: v_dual_mul_f32 v64, v120, v69
	v_mul_f32_e32 v67, v119, v67
	s_wait_loadcnt_dscnt 0xc0b
	v_dual_mul_f32 v69, v121, v69 :: v_dual_mul_f32 v172, v122, v71
	s_delay_alu instid0(VALU_DEP_3) | instskip(NEXT) | instid1(VALU_DEP_3)
	v_dual_mul_f32 v173, v124, v73 :: v_dual_fmac_f32 v64, v121, v68
	v_fma_f32 v67, v118, v66, -v67
	v_fmac_f32_e32 v63, v119, v66
	v_mul_f32_e32 v66, v123, v71
	v_fma_f32 v68, v120, v68, -v69
	v_mul_f32_e32 v69, v125, v73
	v_dual_add_f32 v67, 0, v67 :: v_dual_fmac_f32 v172, v123, v70
	s_delay_alu instid0(VALU_DEP_4) | instskip(SKIP_2) | instid1(VALU_DEP_3)
	v_fma_f32 v66, v122, v70, -v66
	s_wait_loadcnt_dscnt 0xb0a
	v_dual_mul_f32 v174, v126, v75 :: v_dual_mul_f32 v175, v128, v77
	v_add_f32_e32 v67, v67, v68
	v_fmac_f32_e32 v173, v125, v72
	v_fma_f32 v68, v124, v72, -v69
	s_wait_loadcnt_dscnt 0xa09
	v_dual_mul_f32 v176, v130, v79 :: v_dual_mul_f32 v177, v132, v81
	v_dual_add_f32 v66, v67, v66 :: v_dual_mul_f32 v67, v129, v77
	v_fmac_f32_e32 v174, v127, v74
	s_wait_loadcnt_dscnt 0x908
	v_dual_mul_f32 v178, v134, v83 :: v_dual_mul_f32 v179, v136, v85
	s_delay_alu instid0(VALU_DEP_3) | instskip(SKIP_3) | instid1(VALU_DEP_4)
	v_dual_add_f32 v66, v66, v68 :: v_dual_add_f32 v63, 0, v63
	v_mul_f32_e32 v68, v131, v79
	v_fma_f32 v67, v128, v76, -v67
	v_dual_fmac_f32 v175, v129, v76 :: v_dual_fmac_f32 v176, v131, v78
	v_add_f32_e32 v63, v63, v64
	v_mul_f32_e32 v64, v127, v75
	v_fma_f32 v68, v130, v78, -v68
	v_dual_fmac_f32 v177, v133, v80 :: v_dual_fmac_f32 v178, v135, v82
	s_wait_loadcnt_dscnt 0x807
	v_dual_mul_f32 v180, v138, v87 :: v_dual_mul_f32 v181, v140, v89
	v_fma_f32 v64, v126, v74, -v64
	s_wait_loadcnt_dscnt 0x706
	v_dual_mul_f32 v182, v142, v91 :: v_dual_mul_f32 v183, v144, v93
	s_wait_loadcnt_dscnt 0x605
	v_dual_mul_f32 v184, v146, v95 :: v_dual_mul_f32 v185, v148, v97
	v_add_f32_e32 v64, v66, v64
	v_mul_f32_e32 v66, v133, v81
	v_dual_fmac_f32 v182, v143, v90 :: v_dual_fmac_f32 v183, v145, v92
	s_delay_alu instid0(VALU_DEP_4) | instskip(NEXT) | instid1(VALU_DEP_4)
	v_dual_fmac_f32 v184, v147, v94 :: v_dual_fmac_f32 v185, v149, v96
	v_dual_add_f32 v64, v64, v67 :: v_dual_add_f32 v63, v63, v172
	v_mul_f32_e32 v67, v135, v83
	v_fma_f32 v66, v132, v80, -v66
	v_fmac_f32_e32 v179, v137, v84
	s_delay_alu instid0(VALU_DEP_4)
	v_add_f32_e32 v64, v64, v68
	v_mul_f32_e32 v68, v137, v85
	v_add_f32_e32 v63, v63, v173
	v_fma_f32 v67, v134, v82, -v67
	v_fmac_f32_e32 v180, v139, v86
	v_add_f32_e32 v64, v64, v66
	v_mul_f32_e32 v66, v139, v87
	v_add_f32_e32 v63, v63, v174
	v_fma_f32 v68, v136, v84, -v68
	s_delay_alu instid0(VALU_DEP_4) | instskip(SKIP_1) | instid1(VALU_DEP_4)
	v_dual_fmac_f32 v181, v141, v88 :: v_dual_add_f32 v64, v64, v67
	v_mul_f32_e32 v67, v141, v89
	v_add_f32_e32 v63, v63, v175
	v_fma_f32 v66, v138, v86, -v66
	s_wait_loadcnt_dscnt 0x504
	v_dual_mul_f32 v186, v150, v99 :: v_dual_mul_f32 v187, v152, v101
	v_add_f32_e32 v64, v64, v68
	v_add_f32_e32 v63, v63, v176
	v_fma_f32 v67, v140, v88, -v67
	v_mul_f32_e32 v68, v143, v91
	v_dual_fmac_f32 v186, v151, v98 :: v_dual_fmac_f32 v187, v153, v100
	s_delay_alu instid0(VALU_DEP_4) | instskip(SKIP_1) | instid1(VALU_DEP_4)
	v_dual_add_f32 v64, v64, v66 :: v_dual_add_f32 v63, v63, v177
	v_mul_f32_e32 v66, v145, v93
	v_fma_f32 v68, v142, v90, -v68
	s_wait_loadcnt_dscnt 0x403
	v_dual_mul_f32 v188, v154, v103 :: v_dual_mul_f32 v189, v156, v105
	v_dual_add_f32 v64, v64, v67 :: v_dual_add_f32 v63, v63, v178
	v_mul_f32_e32 v67, v147, v95
	v_fma_f32 v66, v144, v92, -v66
	s_wait_loadcnt_dscnt 0x302
	v_dual_mul_f32 v190, v158, v107 :: v_dual_mul_f32 v191, v160, v109
	v_dual_add_f32 v63, v63, v179 :: v_dual_add_f32 v64, v64, v68
	v_mul_f32_e32 v68, v149, v97
	v_fma_f32 v67, v146, v94, -v67
	s_delay_alu instid0(VALU_DEP_4) | instskip(NEXT) | instid1(VALU_DEP_4)
	v_dual_fmac_f32 v188, v155, v102 :: v_dual_fmac_f32 v191, v161, v108
	v_dual_add_f32 v63, v63, v180 :: v_dual_add_f32 v64, v64, v66
	v_mul_f32_e32 v66, v151, v99
	v_fma_f32 v68, v148, v96, -v68
	v_fmac_f32_e32 v189, v157, v104
	s_delay_alu instid0(VALU_DEP_4) | instskip(SKIP_3) | instid1(VALU_DEP_4)
	v_dual_add_f32 v63, v63, v181 :: v_dual_add_f32 v64, v64, v67
	v_mul_f32_e32 v67, v153, v101
	v_fma_f32 v66, v150, v98, -v66
	v_fmac_f32_e32 v190, v159, v106
	v_dual_add_f32 v63, v63, v182 :: v_dual_add_f32 v64, v64, v68
	s_delay_alu instid0(VALU_DEP_4)
	v_fma_f32 v67, v152, v100, -v67
	v_mul_f32_e32 v68, v155, v103
	s_wait_loadcnt_dscnt 0x201
	v_dual_mul_f32 v192, v162, v111 :: v_dual_mul_f32 v193, v164, v113
	v_dual_add_f32 v63, v63, v183 :: v_dual_add_f32 v64, v64, v66
	v_mul_f32_e32 v66, v157, v105
	v_fma_f32 v68, v154, v102, -v68
	s_wait_loadcnt_dscnt 0x100
	v_dual_mul_f32 v194, v166, v115 :: v_dual_mul_f32 v195, v168, v117
	v_dual_add_f32 v63, v63, v184 :: v_dual_add_f32 v64, v64, v67
	v_mul_f32_e32 v67, v159, v107
	v_fma_f32 v66, v156, v104, -v66
	s_delay_alu instid0(VALU_DEP_4) | instskip(NEXT) | instid1(VALU_DEP_4)
	v_dual_fmac_f32 v192, v163, v110 :: v_dual_fmac_f32 v195, v169, v116
	v_dual_add_f32 v63, v63, v185 :: v_dual_add_f32 v64, v64, v68
	v_mul_f32_e32 v68, v161, v109
	v_fma_f32 v67, v158, v106, -v67
	v_fmac_f32_e32 v193, v165, v112
	s_delay_alu instid0(VALU_DEP_4)
	v_add_f32_e32 v63, v63, v186
	v_add_f32_e32 v64, v64, v66
	v_mul_f32_e32 v66, v163, v111
	v_fma_f32 v68, v160, v108, -v68
	v_fmac_f32_e32 v194, v167, v114
	v_add_f32_e32 v63, v63, v187
	v_dual_add_f32 v64, v64, v67 :: v_dual_mul_f32 v67, v165, v113
	v_fma_f32 v66, v162, v110, -v66
	s_delay_alu instid0(VALU_DEP_3) | instskip(NEXT) | instid1(VALU_DEP_3)
	v_add_f32_e32 v63, v63, v188
	v_add_f32_e32 v64, v64, v68
	v_mul_f32_e32 v68, v167, v115
	v_fma_f32 v67, v164, v112, -v67
	s_delay_alu instid0(VALU_DEP_3) | instskip(SKIP_1) | instid1(VALU_DEP_4)
	v_dual_add_f32 v63, v63, v189 :: v_dual_add_f32 v64, v64, v66
	v_mul_f32_e32 v66, v169, v117
	v_fma_f32 v68, v166, v114, -v68
	s_delay_alu instid0(VALU_DEP_3) | instskip(NEXT) | instid1(VALU_DEP_3)
	v_add_f32_e32 v63, v63, v190
	v_fma_f32 v66, v168, v116, -v66
	s_delay_alu instid0(VALU_DEP_2) | instskip(NEXT) | instid1(VALU_DEP_1)
	v_add_f32_e32 v63, v63, v191
	v_dual_add_f32 v63, v63, v192 :: v_dual_add_f32 v64, v64, v67
	s_delay_alu instid0(VALU_DEP_1) | instskip(NEXT) | instid1(VALU_DEP_1)
	v_dual_add_f32 v63, v63, v193 :: v_dual_add_f32 v64, v64, v68
	v_add_f32_e32 v63, v63, v194
	s_delay_alu instid0(VALU_DEP_2) | instskip(SKIP_1) | instid1(VALU_DEP_1)
	v_add_f32_e32 v64, v64, v66
	s_wait_loadcnt 0x0
	v_dual_add_f32 v66, v63, v195 :: v_dual_sub_f32 v63, v170, v64
	s_delay_alu instid0(VALU_DEP_1)
	v_sub_f32_e32 v64, v171, v66
	scratch_store_b64 off, v[63:64], off offset:32
	v_cmpx_lt_u32_e32 3, v0
	s_cbranch_execz .LBB94_193
; %bb.192:
	scratch_load_b64 v[63:64], off, off offset:24
	v_mov_b32_e32 v66, 0
	s_delay_alu instid0(VALU_DEP_1)
	v_mov_b32_e32 v67, v66
	scratch_store_b64 off, v[66:67], off offset:24
	s_wait_loadcnt 0x0
	ds_store_b64 v65, v[63:64]
.LBB94_193:
	s_wait_alu 0xfffe
	s_or_b32 exec_lo, exec_lo, s0
	s_wait_storecnt_dscnt 0x0
	s_barrier_signal -1
	s_barrier_wait -1
	global_inv scope:SCOPE_SE
	s_clause 0xe
	scratch_load_b128 v[66:69], off, off offset:32
	scratch_load_b128 v[70:73], off, off offset:48
	scratch_load_b128 v[74:77], off, off offset:64
	scratch_load_b128 v[78:81], off, off offset:80
	scratch_load_b128 v[82:85], off, off offset:96
	scratch_load_b128 v[86:89], off, off offset:112
	scratch_load_b128 v[90:93], off, off offset:128
	scratch_load_b128 v[94:97], off, off offset:144
	scratch_load_b128 v[98:101], off, off offset:160
	scratch_load_b128 v[102:105], off, off offset:176
	scratch_load_b128 v[106:109], off, off offset:192
	scratch_load_b128 v[110:113], off, off offset:208
	scratch_load_b128 v[114:117], off, off offset:224
	scratch_load_b64 v[170:171], off, off offset:240
	scratch_load_b64 v[172:173], off, off offset:24
	v_mov_b32_e32 v63, 0
	ds_load_b128 v[118:121], v63 offset:288
	ds_load_b128 v[122:125], v63 offset:304
	;; [unrolled: 1-line block ×13, first 2 shown]
	ds_load_b64 v[174:175], v63 offset:496
	s_mov_b32 s0, exec_lo
	s_wait_loadcnt_dscnt 0xe0d
	v_mul_f32_e32 v64, v118, v67
	s_wait_loadcnt_dscnt 0xd0c
	v_dual_mul_f32 v176, v120, v69 :: v_dual_mul_f32 v177, v122, v71
	v_mul_f32_e32 v69, v121, v69
	s_wait_loadcnt_dscnt 0xc0b
	v_dual_mul_f32 v178, v124, v73 :: v_dual_mul_f32 v179, v126, v75
	s_wait_loadcnt_dscnt 0xa09
	v_dual_mul_f32 v182, v132, v81 :: v_dual_mul_f32 v183, v134, v83
	v_mul_f32_e32 v67, v119, v67
	v_fmac_f32_e32 v64, v119, v66
	s_wait_loadcnt_dscnt 0x908
	v_dual_mul_f32 v184, v136, v85 :: v_dual_mul_f32 v185, v138, v87
	s_wait_loadcnt_dscnt 0x100
	v_dual_mul_f32 v198, v164, v113 :: v_dual_mul_f32 v201, v174, v171
	v_fma_f32 v67, v118, v66, -v67
	v_mul_f32_e32 v66, v123, v71
	v_fmac_f32_e32 v176, v121, v68
	v_fma_f32 v68, v120, v68, -v69
	v_dual_add_f32 v64, 0, v64 :: v_dual_mul_f32 v69, v125, v73
	v_add_f32_e32 v67, 0, v67
	v_fmac_f32_e32 v177, v123, v70
	v_fma_f32 v66, v122, v70, -v66
	s_delay_alu instid0(VALU_DEP_4)
	v_add_f32_e32 v64, v64, v176
	v_fma_f32 v69, v124, v72, -v69
	v_add_f32_e32 v67, v67, v68
	v_mul_f32_e32 v68, v127, v75
	v_dual_mul_f32 v186, v140, v89 :: v_dual_mul_f32 v187, v142, v91
	v_add_f32_e32 v64, v64, v177
	s_delay_alu instid0(VALU_DEP_4) | instskip(NEXT) | instid1(VALU_DEP_4)
	v_dual_add_f32 v66, v67, v66 :: v_dual_mul_f32 v67, v129, v77
	v_fma_f32 v68, v126, v74, -v68
	v_dual_fmac_f32 v178, v125, v72 :: v_dual_fmac_f32 v179, v127, v74
	s_delay_alu instid0(VALU_DEP_3) | instskip(NEXT) | instid1(VALU_DEP_4)
	v_dual_add_f32 v66, v66, v69 :: v_dual_mul_f32 v69, v131, v79
	v_fma_f32 v67, v128, v76, -v67
	v_dual_fmac_f32 v183, v135, v82 :: v_dual_mul_f32 v188, v144, v93
	v_mul_f32_e32 v189, v146, v95
	s_delay_alu instid0(VALU_DEP_4) | instskip(SKIP_3) | instid1(VALU_DEP_4)
	v_add_f32_e32 v66, v66, v68
	v_dual_mul_f32 v68, v133, v81 :: v_dual_fmac_f32 v185, v139, v86
	v_fma_f32 v69, v130, v78, -v69
	v_add_f32_e32 v64, v64, v178
	v_dual_add_f32 v66, v66, v67 :: v_dual_fmac_f32 v187, v143, v90
	v_mul_f32_e32 v67, v135, v83
	v_fma_f32 v68, v132, v80, -v68
	s_delay_alu instid0(VALU_DEP_3) | instskip(SKIP_1) | instid1(VALU_DEP_4)
	v_dual_fmac_f32 v189, v147, v94 :: v_dual_add_f32 v66, v66, v69
	v_mul_f32_e32 v69, v137, v85
	v_fma_f32 v67, v134, v82, -v67
	v_dual_mul_f32 v180, v128, v77 :: v_dual_mul_f32 v181, v130, v79
	s_delay_alu instid0(VALU_DEP_4) | instskip(SKIP_3) | instid1(VALU_DEP_4)
	v_add_f32_e32 v66, v66, v68
	v_dual_mul_f32 v192, v152, v101 :: v_dual_mul_f32 v193, v154, v103
	v_mul_f32_e32 v68, v139, v87
	v_fma_f32 v69, v136, v84, -v69
	v_add_f32_e32 v66, v66, v67
	v_dual_fmac_f32 v180, v129, v76 :: v_dual_fmac_f32 v181, v131, v78
	v_dual_add_f32 v64, v64, v179 :: v_dual_mul_f32 v67, v141, v89
	v_fma_f32 v68, v138, v86, -v68
	s_delay_alu instid0(VALU_DEP_4) | instskip(NEXT) | instid1(VALU_DEP_3)
	v_dual_fmac_f32 v193, v155, v102 :: v_dual_add_f32 v66, v66, v69
	v_dual_add_f32 v64, v64, v180 :: v_dual_mul_f32 v69, v143, v91
	s_delay_alu instid0(VALU_DEP_4) | instskip(SKIP_1) | instid1(VALU_DEP_4)
	v_fma_f32 v67, v140, v88, -v67
	v_fmac_f32_e32 v182, v133, v80
	v_add_f32_e32 v66, v66, v68
	v_mul_f32_e32 v68, v145, v93
	v_fma_f32 v69, v142, v90, -v69
	v_dual_fmac_f32 v201, v175, v170 :: v_dual_mul_f32 v190, v148, v97
	v_mul_f32_e32 v191, v150, v99
	v_add_f32_e32 v66, v66, v67
	v_mul_f32_e32 v67, v147, v95
	v_fma_f32 v68, v144, v92, -v68
	s_delay_alu instid0(VALU_DEP_4) | instskip(NEXT) | instid1(VALU_DEP_4)
	v_dual_add_f32 v64, v64, v181 :: v_dual_fmac_f32 v191, v151, v98
	v_add_f32_e32 v66, v66, v69
	v_mul_f32_e32 v69, v149, v97
	v_fma_f32 v67, v146, v94, -v67
	s_delay_alu instid0(VALU_DEP_4)
	v_add_f32_e32 v64, v64, v182
	v_fmac_f32_e32 v184, v137, v84
	v_add_f32_e32 v66, v66, v68
	v_mul_f32_e32 v68, v151, v99
	v_fma_f32 v69, v148, v96, -v69
	v_dual_mul_f32 v194, v156, v105 :: v_dual_mul_f32 v195, v158, v107
	s_delay_alu instid0(VALU_DEP_4) | instskip(NEXT) | instid1(VALU_DEP_4)
	v_dual_add_f32 v66, v66, v67 :: v_dual_mul_f32 v67, v153, v101
	v_fma_f32 v68, v150, v98, -v68
	s_delay_alu instid0(VALU_DEP_3) | instskip(NEXT) | instid1(VALU_DEP_3)
	v_dual_add_f32 v64, v64, v183 :: v_dual_fmac_f32 v195, v159, v106
	v_dual_add_f32 v66, v66, v69 :: v_dual_mul_f32 v69, v155, v103
	s_delay_alu instid0(VALU_DEP_4) | instskip(NEXT) | instid1(VALU_DEP_3)
	v_fma_f32 v67, v152, v100, -v67
	v_add_f32_e32 v64, v64, v184
	v_dual_mul_f32 v196, v160, v109 :: v_dual_mul_f32 v197, v162, v111
	s_delay_alu instid0(VALU_DEP_4) | instskip(SKIP_3) | instid1(VALU_DEP_4)
	v_add_f32_e32 v66, v66, v68
	v_mul_f32_e32 v68, v157, v105
	v_fma_f32 v69, v154, v102, -v69
	v_dual_mul_f32 v199, v166, v115 :: v_dual_mul_f32 v200, v168, v117
	v_add_f32_e32 v66, v66, v67
	v_mul_f32_e32 v67, v159, v107
	v_fma_f32 v68, v156, v104, -v68
	v_dual_fmac_f32 v186, v141, v88 :: v_dual_fmac_f32 v197, v163, v110
	s_delay_alu instid0(VALU_DEP_4) | instskip(NEXT) | instid1(VALU_DEP_4)
	v_add_f32_e32 v66, v66, v69
	v_fma_f32 v67, v158, v106, -v67
	v_dual_fmac_f32 v199, v167, v114 :: v_dual_fmac_f32 v188, v145, v92
	v_fmac_f32_e32 v190, v149, v96
	s_delay_alu instid0(VALU_DEP_4) | instskip(SKIP_3) | instid1(VALU_DEP_4)
	v_add_f32_e32 v66, v66, v68
	v_fmac_f32_e32 v192, v153, v100
	v_fmac_f32_e32 v194, v157, v104
	v_dual_mul_f32 v69, v161, v109 :: v_dual_mul_f32 v68, v163, v111
	v_dual_add_f32 v66, v66, v67 :: v_dual_mul_f32 v67, v165, v113
	v_add_f32_e32 v64, v64, v185
	v_fmac_f32_e32 v196, v161, v108
	s_delay_alu instid0(VALU_DEP_4)
	v_fma_f32 v69, v160, v108, -v69
	v_fma_f32 v68, v162, v110, -v68
	v_fmac_f32_e32 v198, v165, v112
	v_add_f32_e32 v64, v64, v186
	v_fma_f32 v67, v164, v112, -v67
	v_dual_add_f32 v66, v66, v69 :: v_dual_mul_f32 v69, v167, v115
	v_fmac_f32_e32 v200, v169, v116
	s_delay_alu instid0(VALU_DEP_4) | instskip(NEXT) | instid1(VALU_DEP_3)
	v_add_f32_e32 v64, v64, v187
	v_add_f32_e32 v66, v66, v68
	v_mul_f32_e32 v68, v169, v117
	v_fma_f32 v69, v166, v114, -v69
	s_delay_alu instid0(VALU_DEP_4) | instskip(NEXT) | instid1(VALU_DEP_4)
	v_add_f32_e32 v64, v64, v188
	v_add_f32_e32 v66, v66, v67
	v_mul_f32_e32 v67, v175, v171
	v_fma_f32 v68, v168, v116, -v68
	s_delay_alu instid0(VALU_DEP_4) | instskip(NEXT) | instid1(VALU_DEP_4)
	v_add_f32_e32 v64, v64, v189
	v_add_f32_e32 v66, v66, v69
	s_delay_alu instid0(VALU_DEP_4) | instskip(NEXT) | instid1(VALU_DEP_3)
	v_fma_f32 v67, v174, v170, -v67
	v_add_f32_e32 v64, v64, v190
	s_delay_alu instid0(VALU_DEP_3) | instskip(NEXT) | instid1(VALU_DEP_2)
	v_add_f32_e32 v66, v66, v68
	v_add_f32_e32 v64, v64, v191
	s_delay_alu instid0(VALU_DEP_2) | instskip(NEXT) | instid1(VALU_DEP_2)
	v_add_f32_e32 v66, v66, v67
	v_add_f32_e32 v64, v64, v192
	s_wait_loadcnt 0x0
	s_delay_alu instid0(VALU_DEP_2) | instskip(NEXT) | instid1(VALU_DEP_2)
	v_sub_f32_e32 v66, v172, v66
	v_add_f32_e32 v64, v64, v193
	s_delay_alu instid0(VALU_DEP_1) | instskip(NEXT) | instid1(VALU_DEP_1)
	v_add_f32_e32 v64, v64, v194
	v_add_f32_e32 v64, v64, v195
	s_delay_alu instid0(VALU_DEP_1) | instskip(NEXT) | instid1(VALU_DEP_1)
	v_add_f32_e32 v64, v64, v196
	;; [unrolled: 3-line block ×4, first 2 shown]
	v_add_f32_e32 v64, v64, v201
	s_delay_alu instid0(VALU_DEP_1)
	v_sub_f32_e32 v67, v173, v64
	scratch_store_b64 off, v[66:67], off offset:24
	v_cmpx_lt_u32_e32 2, v0
	s_cbranch_execz .LBB94_195
; %bb.194:
	scratch_load_b64 v[66:67], off, off offset:16
	v_mov_b32_e32 v64, v63
	scratch_store_b64 off, v[63:64], off offset:16
	s_wait_loadcnt 0x0
	ds_store_b64 v65, v[66:67]
.LBB94_195:
	s_wait_alu 0xfffe
	s_or_b32 exec_lo, exec_lo, s0
	s_wait_storecnt_dscnt 0x0
	s_barrier_signal -1
	s_barrier_wait -1
	global_inv scope:SCOPE_SE
	s_clause 0xe
	scratch_load_b128 v[66:69], off, off offset:24
	scratch_load_b128 v[70:73], off, off offset:40
	;; [unrolled: 1-line block ×14, first 2 shown]
	scratch_load_b64 v[178:179], off, off offset:16
	ds_load_2addr_b64 v[122:125], v63 offset0:35 offset1:36
	ds_load_2addr_b64 v[126:129], v63 offset0:37 offset1:38
	;; [unrolled: 1-line block ×14, first 2 shown]
	s_mov_b32 s0, exec_lo
	s_wait_loadcnt_dscnt 0xe0d
	v_dual_mul_f32 v63, v122, v67 :: v_dual_mul_f32 v64, v124, v69
	v_mul_f32_e32 v67, v123, v67
	s_wait_loadcnt_dscnt 0xd0c
	v_dual_mul_f32 v69, v125, v69 :: v_dual_mul_f32 v180, v126, v71
	s_delay_alu instid0(VALU_DEP_3) | instskip(NEXT) | instid1(VALU_DEP_3)
	v_dual_mul_f32 v181, v128, v73 :: v_dual_fmac_f32 v64, v125, v68
	v_fma_f32 v67, v122, v66, -v67
	v_fmac_f32_e32 v63, v123, v66
	v_mul_f32_e32 v66, v127, v71
	v_fma_f32 v68, v124, v68, -v69
	v_mul_f32_e32 v69, v129, v73
	v_dual_add_f32 v67, 0, v67 :: v_dual_fmac_f32 v180, v127, v70
	s_delay_alu instid0(VALU_DEP_4) | instskip(SKIP_2) | instid1(VALU_DEP_3)
	v_fma_f32 v66, v126, v70, -v66
	s_wait_loadcnt_dscnt 0xc0b
	v_dual_mul_f32 v182, v130, v75 :: v_dual_mul_f32 v183, v132, v77
	v_add_f32_e32 v67, v67, v68
	v_fmac_f32_e32 v181, v129, v72
	v_fma_f32 v68, v128, v72, -v69
	s_wait_loadcnt_dscnt 0xb0a
	v_dual_mul_f32 v184, v134, v79 :: v_dual_mul_f32 v185, v136, v81
	v_dual_add_f32 v66, v67, v66 :: v_dual_mul_f32 v67, v133, v77
	v_fmac_f32_e32 v182, v131, v74
	s_wait_loadcnt_dscnt 0xa09
	v_dual_mul_f32 v186, v138, v83 :: v_dual_mul_f32 v187, v140, v85
	s_delay_alu instid0(VALU_DEP_3) | instskip(SKIP_3) | instid1(VALU_DEP_4)
	v_dual_add_f32 v66, v66, v68 :: v_dual_add_f32 v63, 0, v63
	v_mul_f32_e32 v68, v135, v79
	v_fma_f32 v67, v132, v76, -v67
	v_dual_fmac_f32 v183, v133, v76 :: v_dual_fmac_f32 v184, v135, v78
	v_add_f32_e32 v63, v63, v64
	v_mul_f32_e32 v64, v131, v75
	v_fma_f32 v68, v134, v78, -v68
	v_dual_fmac_f32 v185, v137, v80 :: v_dual_fmac_f32 v186, v139, v82
	s_wait_loadcnt_dscnt 0x908
	v_dual_mul_f32 v188, v142, v87 :: v_dual_mul_f32 v189, v144, v89
	v_fma_f32 v64, v130, v74, -v64
	s_wait_loadcnt_dscnt 0x807
	v_dual_mul_f32 v190, v146, v91 :: v_dual_mul_f32 v191, v148, v93
	s_wait_loadcnt_dscnt 0x706
	v_dual_mul_f32 v192, v150, v95 :: v_dual_mul_f32 v193, v152, v97
	v_add_f32_e32 v64, v66, v64
	v_mul_f32_e32 v66, v137, v81
	v_dual_fmac_f32 v190, v147, v90 :: v_dual_fmac_f32 v191, v149, v92
	s_delay_alu instid0(VALU_DEP_4) | instskip(NEXT) | instid1(VALU_DEP_4)
	v_dual_fmac_f32 v192, v151, v94 :: v_dual_fmac_f32 v193, v153, v96
	v_dual_add_f32 v64, v64, v67 :: v_dual_add_f32 v63, v63, v180
	v_mul_f32_e32 v67, v139, v83
	v_fma_f32 v66, v136, v80, -v66
	v_fmac_f32_e32 v187, v141, v84
	s_delay_alu instid0(VALU_DEP_4)
	v_add_f32_e32 v64, v64, v68
	v_mul_f32_e32 v68, v141, v85
	v_add_f32_e32 v63, v63, v181
	v_fma_f32 v67, v138, v82, -v67
	v_fmac_f32_e32 v188, v143, v86
	v_add_f32_e32 v64, v64, v66
	v_mul_f32_e32 v66, v143, v87
	v_add_f32_e32 v63, v63, v182
	v_fma_f32 v68, v140, v84, -v68
	s_delay_alu instid0(VALU_DEP_4) | instskip(SKIP_1) | instid1(VALU_DEP_4)
	v_dual_fmac_f32 v189, v145, v88 :: v_dual_add_f32 v64, v64, v67
	v_mul_f32_e32 v67, v145, v89
	v_add_f32_e32 v63, v63, v183
	v_fma_f32 v66, v142, v86, -v66
	s_wait_loadcnt_dscnt 0x605
	v_dual_mul_f32 v194, v154, v99 :: v_dual_mul_f32 v195, v156, v101
	v_add_f32_e32 v64, v64, v68
	v_add_f32_e32 v63, v63, v184
	v_fma_f32 v67, v144, v88, -v67
	v_mul_f32_e32 v68, v147, v91
	s_wait_loadcnt_dscnt 0x504
	v_dual_mul_f32 v196, v158, v103 :: v_dual_mul_f32 v197, v160, v105
	v_dual_add_f32 v64, v64, v66 :: v_dual_add_f32 v63, v63, v185
	v_mul_f32_e32 v66, v149, v93
	v_fma_f32 v68, v146, v90, -v68
	v_dual_fmac_f32 v194, v155, v98 :: v_dual_fmac_f32 v195, v157, v100
	s_delay_alu instid0(VALU_DEP_4)
	v_dual_add_f32 v64, v64, v67 :: v_dual_add_f32 v63, v63, v186
	v_mul_f32_e32 v67, v151, v95
	v_fma_f32 v66, v148, v92, -v66
	s_wait_loadcnt_dscnt 0x403
	v_dual_mul_f32 v198, v162, v107 :: v_dual_mul_f32 v199, v164, v109
	v_dual_add_f32 v63, v63, v187 :: v_dual_add_f32 v64, v64, v68
	v_mul_f32_e32 v68, v153, v97
	v_fma_f32 v67, v150, v94, -v67
	s_delay_alu instid0(VALU_DEP_4) | instskip(NEXT) | instid1(VALU_DEP_4)
	v_dual_fmac_f32 v196, v159, v102 :: v_dual_fmac_f32 v199, v165, v108
	v_dual_add_f32 v63, v63, v188 :: v_dual_add_f32 v64, v64, v66
	v_mul_f32_e32 v66, v155, v99
	v_fma_f32 v68, v152, v96, -v68
	v_fmac_f32_e32 v197, v161, v104
	s_delay_alu instid0(VALU_DEP_4)
	v_dual_add_f32 v63, v63, v189 :: v_dual_add_f32 v64, v64, v67
	v_mul_f32_e32 v67, v157, v101
	v_fma_f32 v66, v154, v98, -v66
	s_wait_loadcnt_dscnt 0x302
	v_dual_mul_f32 v200, v166, v111 :: v_dual_mul_f32 v201, v168, v113
	v_dual_add_f32 v63, v63, v190 :: v_dual_add_f32 v64, v64, v68
	v_mul_f32_e32 v68, v159, v103
	v_fma_f32 v67, v156, v100, -v67
	v_fmac_f32_e32 v198, v163, v106
	s_delay_alu instid0(VALU_DEP_4)
	v_dual_add_f32 v63, v63, v191 :: v_dual_add_f32 v64, v64, v66
	v_mul_f32_e32 v66, v161, v105
	v_fma_f32 v68, v158, v102, -v68
	s_wait_loadcnt_dscnt 0x201
	v_dual_mul_f32 v202, v170, v115 :: v_dual_mul_f32 v203, v172, v117
	;; [unrolled: 10-line block ×3, first 2 shown]
	v_add_f32_e32 v63, v63, v194
	v_add_f32_e32 v64, v64, v66
	v_mul_f32_e32 v66, v167, v111
	v_fma_f32 v68, v164, v108, -v68
	v_dual_fmac_f32 v200, v167, v110 :: v_dual_fmac_f32 v203, v173, v116
	v_add_f32_e32 v63, v63, v195
	v_dual_add_f32 v64, v64, v67 :: v_dual_mul_f32 v67, v169, v113
	v_fma_f32 v66, v166, v110, -v66
	v_fmac_f32_e32 v205, v177, v120
	s_delay_alu instid0(VALU_DEP_4) | instskip(NEXT) | instid1(VALU_DEP_4)
	v_add_f32_e32 v63, v63, v196
	v_add_f32_e32 v64, v64, v68
	v_mul_f32_e32 v68, v171, v115
	v_fma_f32 v67, v168, v112, -v67
	v_fmac_f32_e32 v204, v175, v118
	s_delay_alu instid0(VALU_DEP_4) | instskip(SKIP_2) | instid1(VALU_DEP_3)
	v_dual_add_f32 v63, v63, v197 :: v_dual_add_f32 v64, v64, v66
	v_mul_f32_e32 v66, v173, v117
	v_fma_f32 v68, v170, v114, -v68
	v_add_f32_e32 v63, v63, v198
	s_delay_alu instid0(VALU_DEP_3) | instskip(NEXT) | instid1(VALU_DEP_2)
	v_fma_f32 v66, v172, v116, -v66
	v_add_f32_e32 v63, v63, v199
	s_delay_alu instid0(VALU_DEP_1) | instskip(NEXT) | instid1(VALU_DEP_1)
	v_dual_add_f32 v63, v63, v200 :: v_dual_add_f32 v64, v64, v67
	v_add_f32_e32 v63, v63, v201
	s_delay_alu instid0(VALU_DEP_2) | instskip(SKIP_1) | instid1(VALU_DEP_2)
	v_dual_mul_f32 v67, v175, v119 :: v_dual_add_f32 v64, v64, v68
	v_mul_f32_e32 v68, v177, v121
	v_fma_f32 v67, v174, v118, -v67
	s_delay_alu instid0(VALU_DEP_3) | instskip(NEXT) | instid1(VALU_DEP_3)
	v_add_f32_e32 v64, v64, v66
	v_fma_f32 v66, v176, v120, -v68
	s_delay_alu instid0(VALU_DEP_2) | instskip(NEXT) | instid1(VALU_DEP_1)
	v_add_f32_e32 v64, v64, v67
	v_add_f32_e32 v64, v64, v66
	v_fmac_f32_e32 v202, v171, v114
	s_delay_alu instid0(VALU_DEP_1) | instskip(NEXT) | instid1(VALU_DEP_1)
	v_add_f32_e32 v63, v63, v202
	v_add_f32_e32 v63, v63, v203
	s_delay_alu instid0(VALU_DEP_1) | instskip(SKIP_1) | instid1(VALU_DEP_1)
	v_add_f32_e32 v63, v63, v204
	s_wait_loadcnt 0x0
	v_dual_add_f32 v66, v63, v205 :: v_dual_sub_f32 v63, v178, v64
	s_delay_alu instid0(VALU_DEP_1)
	v_sub_f32_e32 v64, v179, v66
	scratch_store_b64 off, v[63:64], off offset:16
	v_cmpx_lt_u32_e32 1, v0
	s_cbranch_execz .LBB94_197
; %bb.196:
	scratch_load_b64 v[63:64], off, off offset:8
	v_mov_b32_e32 v66, 0
	s_delay_alu instid0(VALU_DEP_1)
	v_mov_b32_e32 v67, v66
	scratch_store_b64 off, v[66:67], off offset:8
	s_wait_loadcnt 0x0
	ds_store_b64 v65, v[63:64]
.LBB94_197:
	s_wait_alu 0xfffe
	s_or_b32 exec_lo, exec_lo, s0
	s_wait_storecnt_dscnt 0x0
	s_barrier_signal -1
	s_barrier_wait -1
	global_inv scope:SCOPE_SE
	s_clause 0xf
	scratch_load_b128 v[66:69], off, off offset:16
	scratch_load_b128 v[70:73], off, off offset:32
	;; [unrolled: 1-line block ×14, first 2 shown]
	scratch_load_b64 v[178:179], off, off offset:240
	scratch_load_b64 v[180:181], off, off offset:8
	v_mov_b32_e32 v63, 0
	ds_load_b128 v[122:125], v63 offset:272
	ds_load_b128 v[126:129], v63 offset:288
	;; [unrolled: 1-line block ×14, first 2 shown]
	ds_load_b64 v[182:183], v63 offset:496
	s_mov_b32 s0, exec_lo
	s_wait_loadcnt_dscnt 0xf0e
	v_mul_f32_e32 v64, v122, v67
	s_wait_loadcnt_dscnt 0xe0d
	v_dual_mul_f32 v184, v124, v69 :: v_dual_mul_f32 v185, v126, v71
	v_mul_f32_e32 v69, v125, v69
	s_wait_loadcnt_dscnt 0xd0c
	v_dual_mul_f32 v186, v128, v73 :: v_dual_mul_f32 v187, v130, v75
	s_wait_loadcnt_dscnt 0xb0a
	v_dual_mul_f32 v190, v136, v81 :: v_dual_mul_f32 v191, v138, v83
	v_dual_mul_f32 v67, v123, v67 :: v_dual_mul_f32 v192, v140, v85
	s_wait_loadcnt_dscnt 0xa09
	v_dual_mul_f32 v193, v142, v87 :: v_dual_fmac_f32 v64, v123, v66
	s_wait_loadcnt_dscnt 0x302
	v_mul_f32_e32 v208, v172, v117
	v_fma_f32 v67, v122, v66, -v67
	s_wait_loadcnt_dscnt 0x100
	v_mul_f32_e32 v211, v182, v179
	v_mul_f32_e32 v66, v127, v71
	v_fmac_f32_e32 v184, v125, v68
	v_fma_f32 v68, v124, v68, -v69
	v_dual_add_f32 v67, 0, v67 :: v_dual_add_f32 v64, 0, v64
	v_mul_f32_e32 v69, v129, v73
	v_fmac_f32_e32 v185, v127, v70
	v_fma_f32 v66, v126, v70, -v66
	v_dual_mul_f32 v194, v144, v89 :: v_dual_mul_f32 v195, v146, v91
	v_add_f32_e32 v64, v64, v184
	v_add_f32_e32 v67, v67, v68
	v_mul_f32_e32 v68, v131, v75
	v_fma_f32 v69, v128, v72, -v69
	v_dual_fmac_f32 v186, v129, v72 :: v_dual_fmac_f32 v187, v131, v74
	v_add_f32_e32 v64, v64, v185
	v_dual_add_f32 v66, v67, v66 :: v_dual_mul_f32 v67, v133, v77
	v_fma_f32 v68, v130, v74, -v68
	v_dual_mul_f32 v196, v148, v93 :: v_dual_mul_f32 v197, v150, v95
	s_delay_alu instid0(VALU_DEP_3) | instskip(NEXT) | instid1(VALU_DEP_4)
	v_dual_add_f32 v66, v66, v69 :: v_dual_mul_f32 v69, v135, v79
	v_fma_f32 v67, v132, v76, -v67
	v_fmac_f32_e32 v191, v139, v82
	v_add_f32_e32 v64, v64, v186
	s_delay_alu instid0(VALU_DEP_4) | instskip(SKIP_2) | instid1(VALU_DEP_3)
	v_add_f32_e32 v66, v66, v68
	v_dual_mul_f32 v68, v137, v81 :: v_dual_fmac_f32 v193, v143, v86
	v_fma_f32 v69, v134, v78, -v69
	v_dual_fmac_f32 v195, v147, v90 :: v_dual_add_f32 v66, v66, v67
	v_mul_f32_e32 v67, v139, v83
	s_delay_alu instid0(VALU_DEP_4)
	v_fma_f32 v68, v136, v80, -v68
	v_dual_fmac_f32 v197, v151, v94 :: v_dual_mul_f32 v188, v132, v77
	v_mul_f32_e32 v189, v134, v79
	v_add_f32_e32 v66, v66, v69
	v_mul_f32_e32 v69, v141, v85
	v_fma_f32 v67, v138, v82, -v67
	v_dual_mul_f32 v200, v156, v101 :: v_dual_mul_f32 v201, v158, v103
	s_delay_alu instid0(VALU_DEP_4) | instskip(SKIP_3) | instid1(VALU_DEP_4)
	v_add_f32_e32 v66, v66, v68
	v_mul_f32_e32 v68, v143, v87
	v_fma_f32 v69, v140, v84, -v69
	v_dual_fmac_f32 v188, v133, v76 :: v_dual_fmac_f32 v189, v135, v78
	v_dual_add_f32 v66, v66, v67 :: v_dual_fmac_f32 v201, v159, v102
	v_dual_add_f32 v64, v64, v187 :: v_dual_mul_f32 v67, v145, v89
	v_fma_f32 v68, v142, v86, -v68
	s_delay_alu instid0(VALU_DEP_3) | instskip(NEXT) | instid1(VALU_DEP_3)
	v_dual_add_f32 v66, v66, v69 :: v_dual_mul_f32 v69, v147, v91
	v_add_f32_e32 v64, v64, v188
	s_delay_alu instid0(VALU_DEP_4) | instskip(SKIP_1) | instid1(VALU_DEP_4)
	v_fma_f32 v67, v144, v88, -v67
	v_fmac_f32_e32 v190, v137, v80
	v_add_f32_e32 v66, v66, v68
	v_mul_f32_e32 v68, v149, v93
	v_fma_f32 v69, v146, v90, -v69
	v_dual_mul_f32 v198, v152, v97 :: v_dual_mul_f32 v199, v154, v99
	s_delay_alu instid0(VALU_DEP_4) | instskip(SKIP_3) | instid1(VALU_DEP_4)
	v_add_f32_e32 v66, v66, v67
	v_mul_f32_e32 v67, v151, v95
	v_fma_f32 v68, v148, v92, -v68
	v_dual_fmac_f32 v211, v183, v178 :: v_dual_add_f32 v64, v64, v189
	v_dual_fmac_f32 v199, v155, v98 :: v_dual_add_f32 v66, v66, v69
	v_mul_f32_e32 v69, v153, v97
	v_fma_f32 v67, v150, v94, -v67
	s_delay_alu instid0(VALU_DEP_4)
	v_add_f32_e32 v64, v64, v190
	v_fmac_f32_e32 v192, v141, v84
	v_add_f32_e32 v66, v66, v68
	v_mul_f32_e32 v68, v155, v99
	v_fma_f32 v69, v152, v96, -v69
	v_dual_mul_f32 v202, v160, v105 :: v_dual_mul_f32 v203, v162, v107
	s_delay_alu instid0(VALU_DEP_4) | instskip(NEXT) | instid1(VALU_DEP_4)
	v_dual_add_f32 v66, v66, v67 :: v_dual_mul_f32 v67, v157, v101
	v_fma_f32 v68, v154, v98, -v68
	s_delay_alu instid0(VALU_DEP_3) | instskip(NEXT) | instid1(VALU_DEP_3)
	v_dual_add_f32 v64, v64, v191 :: v_dual_fmac_f32 v203, v163, v106
	v_dual_add_f32 v66, v66, v69 :: v_dual_mul_f32 v69, v159, v103
	s_delay_alu instid0(VALU_DEP_4) | instskip(NEXT) | instid1(VALU_DEP_3)
	v_fma_f32 v67, v156, v100, -v67
	v_add_f32_e32 v64, v64, v192
	v_dual_mul_f32 v204, v164, v109 :: v_dual_mul_f32 v205, v166, v111
	s_delay_alu instid0(VALU_DEP_4) | instskip(SKIP_3) | instid1(VALU_DEP_4)
	v_add_f32_e32 v66, v66, v68
	v_mul_f32_e32 v68, v161, v105
	v_fma_f32 v69, v158, v102, -v69
	v_dual_mul_f32 v206, v168, v113 :: v_dual_mul_f32 v207, v170, v115
	v_add_f32_e32 v66, v66, v67
	v_mul_f32_e32 v67, v163, v107
	v_fma_f32 v68, v160, v104, -v68
	v_dual_fmac_f32 v194, v145, v88 :: v_dual_fmac_f32 v205, v167, v110
	s_delay_alu instid0(VALU_DEP_4) | instskip(NEXT) | instid1(VALU_DEP_4)
	v_add_f32_e32 v66, v66, v69
	v_fma_f32 v67, v162, v106, -v67
	v_dual_mul_f32 v209, v174, v119 :: v_dual_mul_f32 v210, v176, v121
	s_delay_alu instid0(VALU_DEP_3) | instskip(NEXT) | instid1(VALU_DEP_2)
	v_dual_fmac_f32 v207, v171, v114 :: v_dual_add_f32 v66, v66, v68
	v_dual_fmac_f32 v196, v149, v92 :: v_dual_fmac_f32 v209, v175, v118
	v_fmac_f32_e32 v198, v153, v96
	v_fmac_f32_e32 v200, v157, v100
	s_delay_alu instid0(VALU_DEP_4) | instskip(SKIP_4) | instid1(VALU_DEP_4)
	v_dual_add_f32 v66, v66, v67 :: v_dual_mul_f32 v67, v169, v113
	v_add_f32_e32 v64, v64, v193
	v_fmac_f32_e32 v202, v161, v104
	v_dual_mul_f32 v69, v165, v109 :: v_dual_mul_f32 v68, v167, v111
	v_fmac_f32_e32 v204, v165, v108
	v_add_f32_e32 v64, v64, v194
	v_fmac_f32_e32 v206, v169, v112
	s_delay_alu instid0(VALU_DEP_4)
	v_fma_f32 v69, v164, v108, -v69
	v_fma_f32 v68, v166, v110, -v68
	v_fma_f32 v67, v168, v112, -v67
	v_add_f32_e32 v64, v64, v195
	v_fmac_f32_e32 v208, v173, v116
	v_dual_add_f32 v66, v66, v69 :: v_dual_mul_f32 v69, v171, v115
	v_fmac_f32_e32 v210, v177, v120
	s_delay_alu instid0(VALU_DEP_4) | instskip(NEXT) | instid1(VALU_DEP_3)
	v_add_f32_e32 v64, v64, v196
	v_add_f32_e32 v66, v66, v68
	v_mul_f32_e32 v68, v173, v117
	v_fma_f32 v69, v170, v114, -v69
	s_delay_alu instid0(VALU_DEP_4) | instskip(NEXT) | instid1(VALU_DEP_4)
	v_add_f32_e32 v64, v64, v197
	v_add_f32_e32 v66, v66, v67
	v_mul_f32_e32 v67, v175, v119
	v_fma_f32 v68, v172, v116, -v68
	s_delay_alu instid0(VALU_DEP_4) | instskip(NEXT) | instid1(VALU_DEP_4)
	;; [unrolled: 5-line block ×4, first 2 shown]
	v_add_f32_e32 v64, v64, v200
	v_add_f32_e32 v66, v66, v67
	s_delay_alu instid0(VALU_DEP_4) | instskip(NEXT) | instid1(VALU_DEP_3)
	v_fma_f32 v67, v182, v178, -v68
	v_add_f32_e32 v64, v64, v201
	s_delay_alu instid0(VALU_DEP_3) | instskip(NEXT) | instid1(VALU_DEP_2)
	v_add_f32_e32 v66, v66, v69
	v_add_f32_e32 v64, v64, v202
	s_delay_alu instid0(VALU_DEP_2) | instskip(NEXT) | instid1(VALU_DEP_2)
	v_add_f32_e32 v66, v66, v67
	v_add_f32_e32 v64, v64, v203
	s_wait_loadcnt 0x0
	s_delay_alu instid0(VALU_DEP_2) | instskip(NEXT) | instid1(VALU_DEP_2)
	v_sub_f32_e32 v66, v180, v66
	v_add_f32_e32 v64, v64, v204
	s_delay_alu instid0(VALU_DEP_1) | instskip(NEXT) | instid1(VALU_DEP_1)
	v_add_f32_e32 v64, v64, v205
	v_add_f32_e32 v64, v64, v206
	s_delay_alu instid0(VALU_DEP_1) | instskip(NEXT) | instid1(VALU_DEP_1)
	v_add_f32_e32 v64, v64, v207
	;; [unrolled: 3-line block ×4, first 2 shown]
	v_sub_f32_e32 v67, v181, v64
	scratch_store_b64 off, v[66:67], off offset:8
	v_cmpx_ne_u32_e32 0, v0
	s_cbranch_execz .LBB94_199
; %bb.198:
	scratch_load_b64 v[66:67], off, off
	v_mov_b32_e32 v64, v63
	scratch_store_b64 off, v[63:64], off
	s_wait_loadcnt 0x0
	ds_store_b64 v65, v[66:67]
.LBB94_199:
	s_wait_alu 0xfffe
	s_or_b32 exec_lo, exec_lo, s0
	s_wait_storecnt_dscnt 0x0
	s_barrier_signal -1
	s_barrier_wait -1
	global_inv scope:SCOPE_SE
	s_clause 0xf
	scratch_load_b128 v[64:67], off, off offset:8
	scratch_load_b128 v[68:71], off, off offset:24
	;; [unrolled: 1-line block ×15, first 2 shown]
	scratch_load_b64 v[184:185], off, off
	ds_load_2addr_b64 v[124:127], v63 offset0:33 offset1:34
	ds_load_2addr_b64 v[128:131], v63 offset0:35 offset1:36
	ds_load_2addr_b64 v[132:135], v63 offset0:37 offset1:38
	ds_load_2addr_b64 v[136:139], v63 offset0:39 offset1:40
	ds_load_2addr_b64 v[140:143], v63 offset0:41 offset1:42
	ds_load_2addr_b64 v[144:147], v63 offset0:43 offset1:44
	ds_load_2addr_b64 v[148:151], v63 offset0:45 offset1:46
	ds_load_2addr_b64 v[152:155], v63 offset0:47 offset1:48
	ds_load_2addr_b64 v[156:159], v63 offset0:49 offset1:50
	ds_load_2addr_b64 v[160:163], v63 offset0:51 offset1:52
	ds_load_2addr_b64 v[164:167], v63 offset0:53 offset1:54
	ds_load_2addr_b64 v[168:171], v63 offset0:55 offset1:56
	ds_load_2addr_b64 v[172:175], v63 offset0:57 offset1:58
	ds_load_2addr_b64 v[176:179], v63 offset0:59 offset1:60
	ds_load_2addr_b64 v[180:183], v63 offset0:61 offset1:62
	s_and_b32 vcc_lo, exec_lo, s12
	s_wait_loadcnt_dscnt 0xf0e
	v_dual_mul_f32 v0, v124, v65 :: v_dual_mul_f32 v63, v126, v67
	s_wait_loadcnt_dscnt 0xe0d
	v_dual_mul_f32 v67, v127, v67 :: v_dual_mul_f32 v186, v128, v69
	s_delay_alu instid0(VALU_DEP_2) | instskip(SKIP_2) | instid1(VALU_DEP_4)
	v_dual_mul_f32 v187, v130, v71 :: v_dual_fmac_f32 v0, v125, v64
	v_mul_f32_e32 v65, v125, v65
	v_fmac_f32_e32 v63, v127, v66
	v_fma_f32 v66, v126, v66, -v67
	s_wait_loadcnt_dscnt 0xd0c
	v_dual_mul_f32 v188, v132, v73 :: v_dual_mul_f32 v189, v134, v75
	v_add_f32_e32 v0, 0, v0
	v_fma_f32 v65, v124, v64, -v65
	v_mul_f32_e32 v64, v129, v69
	v_dual_fmac_f32 v186, v129, v68 :: v_dual_fmac_f32 v187, v131, v70
	s_delay_alu instid0(VALU_DEP_3) | instskip(NEXT) | instid1(VALU_DEP_3)
	v_dual_fmac_f32 v188, v133, v72 :: v_dual_add_f32 v65, 0, v65
	v_fma_f32 v64, v128, v68, -v64
	v_dual_add_f32 v0, v0, v63 :: v_dual_mul_f32 v63, v133, v73
	s_wait_loadcnt_dscnt 0xc0b
	v_dual_mul_f32 v190, v136, v77 :: v_dual_mul_f32 v191, v138, v79
	v_add_f32_e32 v65, v65, v66
	s_delay_alu instid0(VALU_DEP_3) | instskip(SKIP_1) | instid1(VALU_DEP_3)
	v_dual_mul_f32 v67, v131, v71 :: v_dual_add_f32 v0, v0, v186
	v_fma_f32 v63, v132, v72, -v63
	v_dual_fmac_f32 v189, v135, v74 :: v_dual_add_f32 v64, v65, v64
	s_delay_alu instid0(VALU_DEP_3) | instskip(SKIP_3) | instid1(VALU_DEP_4)
	v_fma_f32 v66, v130, v70, -v67
	v_mul_f32_e32 v65, v135, v75
	v_add_f32_e32 v0, v0, v187
	v_dual_fmac_f32 v190, v137, v76 :: v_dual_fmac_f32 v191, v139, v78
	v_add_f32_e32 v64, v64, v66
	v_mul_f32_e32 v66, v137, v77
	v_fma_f32 v65, v134, v74, -v65
	s_wait_loadcnt_dscnt 0xb0a
	v_dual_mul_f32 v192, v140, v81 :: v_dual_mul_f32 v193, v142, v83
	v_add_f32_e32 v63, v64, v63
	v_add_f32_e32 v0, v0, v188
	v_mul_f32_e32 v64, v139, v79
	v_fma_f32 v66, v136, v76, -v66
	v_dual_fmac_f32 v192, v141, v80 :: v_dual_fmac_f32 v193, v143, v82
	v_add_f32_e32 v63, v63, v65
	v_add_f32_e32 v0, v0, v189
	v_mul_f32_e32 v65, v141, v81
	v_fma_f32 v64, v138, v78, -v64
	s_wait_loadcnt_dscnt 0xa09
	v_dual_mul_f32 v194, v144, v85 :: v_dual_mul_f32 v195, v146, v87
	v_add_f32_e32 v63, v63, v66
	v_add_f32_e32 v0, v0, v190
	v_mul_f32_e32 v66, v143, v83
	v_fma_f32 v65, v140, v80, -v65
	s_wait_loadcnt_dscnt 0x908
	v_dual_mul_f32 v196, v148, v89 :: v_dual_mul_f32 v197, v150, v91
	v_dual_add_f32 v63, v63, v64 :: v_dual_add_f32 v0, v0, v191
	v_mul_f32_e32 v64, v145, v85
	v_fma_f32 v66, v142, v82, -v66
	v_dual_fmac_f32 v194, v145, v84 :: v_dual_fmac_f32 v195, v147, v86
	s_delay_alu instid0(VALU_DEP_4) | instskip(SKIP_3) | instid1(VALU_DEP_4)
	v_dual_add_f32 v63, v63, v65 :: v_dual_add_f32 v0, v0, v192
	v_mul_f32_e32 v65, v147, v87
	v_fma_f32 v64, v144, v84, -v64
	v_fmac_f32_e32 v197, v151, v90
	v_dual_add_f32 v63, v63, v66 :: v_dual_add_f32 v0, v0, v193
	v_mul_f32_e32 v66, v149, v89
	v_fma_f32 v65, v146, v86, -v65
	s_wait_loadcnt_dscnt 0x807
	v_dual_mul_f32 v198, v152, v93 :: v_dual_mul_f32 v199, v154, v95
	v_dual_add_f32 v63, v63, v64 :: v_dual_add_f32 v0, v0, v194
	v_mul_f32_e32 v64, v151, v91
	v_fma_f32 v66, v148, v88, -v66
	s_delay_alu instid0(VALU_DEP_4) | instskip(NEXT) | instid1(VALU_DEP_4)
	v_fmac_f32_e32 v199, v155, v94
	v_dual_add_f32 v63, v63, v65 :: v_dual_fmac_f32 v196, v149, v88
	v_mul_f32_e32 v65, v153, v93
	v_fma_f32 v64, v150, v90, -v64
	s_wait_loadcnt_dscnt 0x706
	v_dual_mul_f32 v200, v156, v97 :: v_dual_mul_f32 v201, v158, v99
	v_dual_add_f32 v63, v63, v66 :: v_dual_add_f32 v0, v0, v195
	v_mul_f32_e32 v66, v155, v95
	v_fma_f32 v65, v152, v92, -v65
	s_wait_loadcnt_dscnt 0x605
	v_dual_mul_f32 v202, v160, v101 :: v_dual_mul_f32 v203, v162, v103
	v_add_f32_e32 v63, v63, v64
	v_add_f32_e32 v0, v0, v196
	v_fmac_f32_e32 v198, v153, v92
	v_fma_f32 v66, v154, v94, -v66
	v_dual_fmac_f32 v200, v157, v96 :: v_dual_fmac_f32 v201, v159, v98
	v_add_f32_e32 v63, v63, v65
	v_mul_f32_e32 v64, v157, v97
	v_dual_add_f32 v0, v0, v197 :: v_dual_mul_f32 v65, v159, v99
	v_fmac_f32_e32 v203, v163, v102
	s_delay_alu instid0(VALU_DEP_4) | instskip(NEXT) | instid1(VALU_DEP_4)
	v_add_f32_e32 v63, v63, v66
	v_fma_f32 v64, v156, v96, -v64
	s_delay_alu instid0(VALU_DEP_4)
	v_add_f32_e32 v0, v0, v198
	v_mul_f32_e32 v66, v161, v101
	v_fma_f32 v65, v158, v98, -v65
	s_wait_loadcnt_dscnt 0x504
	v_dual_mul_f32 v204, v164, v105 :: v_dual_mul_f32 v205, v166, v107
	v_dual_add_f32 v63, v63, v64 :: v_dual_add_f32 v0, v0, v199
	v_mul_f32_e32 v64, v163, v103
	v_fma_f32 v66, v160, v100, -v66
	s_delay_alu instid0(VALU_DEP_4) | instskip(NEXT) | instid1(VALU_DEP_4)
	v_dual_fmac_f32 v202, v161, v100 :: v_dual_fmac_f32 v205, v167, v106
	v_dual_add_f32 v63, v63, v65 :: v_dual_add_f32 v0, v0, v200
	v_mul_f32_e32 v65, v165, v105
	v_fma_f32 v64, v162, v102, -v64
	s_wait_loadcnt_dscnt 0x403
	v_dual_mul_f32 v206, v168, v109 :: v_dual_mul_f32 v207, v170, v111
	v_dual_add_f32 v63, v63, v66 :: v_dual_add_f32 v0, v0, v201
	v_mul_f32_e32 v66, v167, v107
	v_fma_f32 v65, v164, v104, -v65
	v_fmac_f32_e32 v204, v165, v104
	s_delay_alu instid0(VALU_DEP_4) | instskip(SKIP_2) | instid1(VALU_DEP_3)
	v_dual_add_f32 v63, v63, v64 :: v_dual_add_f32 v0, v0, v202
	v_dual_mul_f32 v64, v169, v109 :: v_dual_fmac_f32 v207, v171, v110
	v_fma_f32 v66, v166, v106, -v66
	v_dual_add_f32 v63, v63, v65 :: v_dual_add_f32 v0, v0, v203
	v_mul_f32_e32 v65, v171, v111
	s_delay_alu instid0(VALU_DEP_4) | instskip(SKIP_4) | instid1(VALU_DEP_3)
	v_fma_f32 v64, v168, v108, -v64
	s_wait_loadcnt_dscnt 0x302
	v_dual_mul_f32 v208, v172, v113 :: v_dual_mul_f32 v209, v174, v115
	v_dual_add_f32 v63, v63, v66 :: v_dual_mul_f32 v66, v173, v113
	v_fma_f32 v65, v170, v110, -v65
	v_dual_fmac_f32 v206, v169, v108 :: v_dual_fmac_f32 v209, v175, v114
	s_delay_alu instid0(VALU_DEP_3)
	v_add_f32_e32 v63, v63, v64
	v_add_f32_e32 v0, v0, v204
	v_mul_f32_e32 v64, v175, v115
	v_fma_f32 v66, v172, v112, -v66
	s_wait_loadcnt_dscnt 0x201
	v_dual_mul_f32 v210, v176, v117 :: v_dual_mul_f32 v211, v178, v119
	v_add_f32_e32 v63, v63, v65
	v_add_f32_e32 v0, v0, v205
	v_mul_f32_e32 v65, v177, v117
	v_fma_f32 v64, v174, v114, -v64
	v_dual_fmac_f32 v208, v173, v112 :: v_dual_fmac_f32 v211, v179, v118
	v_add_f32_e32 v63, v63, v66
	v_add_f32_e32 v0, v0, v206
	v_fma_f32 v65, v176, v116, -v65
	v_mul_f32_e32 v66, v179, v119
	s_wait_loadcnt_dscnt 0x100
	v_dual_mul_f32 v212, v180, v121 :: v_dual_mul_f32 v213, v182, v123
	v_dual_add_f32 v63, v63, v64 :: v_dual_add_f32 v0, v0, v207
	v_mul_f32_e32 v64, v181, v121
	v_fma_f32 v66, v178, v118, -v66
	s_delay_alu instid0(VALU_DEP_4) | instskip(NEXT) | instid1(VALU_DEP_4)
	v_fmac_f32_e32 v213, v183, v122
	v_dual_add_f32 v63, v63, v65 :: v_dual_add_f32 v0, v0, v208
	v_dual_mul_f32 v65, v183, v123 :: v_dual_fmac_f32 v210, v177, v116
	v_fma_f32 v64, v180, v120, -v64
	s_delay_alu instid0(VALU_DEP_3) | instskip(NEXT) | instid1(VALU_DEP_3)
	v_dual_add_f32 v63, v63, v66 :: v_dual_add_f32 v0, v0, v209
	v_fma_f32 v65, v182, v122, -v65
	s_delay_alu instid0(VALU_DEP_2) | instskip(NEXT) | instid1(VALU_DEP_1)
	v_dual_add_f32 v63, v63, v64 :: v_dual_add_f32 v0, v0, v210
	v_dual_fmac_f32 v212, v181, v120 :: v_dual_add_f32 v63, v63, v65
	s_delay_alu instid0(VALU_DEP_2) | instskip(SKIP_1) | instid1(VALU_DEP_2)
	v_add_f32_e32 v0, v0, v211
	s_wait_loadcnt 0x0
	v_sub_f32_e32 v63, v184, v63
	s_delay_alu instid0(VALU_DEP_2) | instskip(NEXT) | instid1(VALU_DEP_1)
	v_add_f32_e32 v0, v0, v212
	v_add_f32_e32 v0, v0, v213
	s_delay_alu instid0(VALU_DEP_1)
	v_sub_f32_e32 v64, v185, v0
	scratch_store_b64 off, v[63:64], off
	s_wait_alu 0xfffe
	s_cbranch_vccz .LBB94_260
; %bb.200:
	v_mov_b32_e32 v0, 0
	global_load_b32 v63, v0, s[2:3] offset:116
	s_wait_loadcnt 0x0
	v_cmp_ne_u32_e32 vcc_lo, 30, v63
	s_cbranch_vccz .LBB94_202
; %bb.201:
	v_lshlrev_b32_e32 v63, 3, v63
	s_delay_alu instid0(VALU_DEP_1)
	v_mov_b32_e32 v67, v63
	scratch_load_b64 v[63:64], v67, off offset:-8
	scratch_load_b64 v[65:66], off, off offset:232
	s_wait_loadcnt 0x1
	scratch_store_b64 off, v[63:64], off offset:232
	s_wait_loadcnt 0x0
	scratch_store_b64 v67, v[65:66], off offset:-8
.LBB94_202:
	global_load_b32 v0, v0, s[2:3] offset:112
	s_wait_loadcnt 0x0
	v_cmp_eq_u32_e32 vcc_lo, 29, v0
	s_cbranch_vccnz .LBB94_204
; %bb.203:
	v_lshlrev_b32_e32 v0, 3, v0
	scratch_load_b64 v[63:64], v0, off offset:-8
	scratch_load_b64 v[65:66], off, off offset:224
	s_wait_loadcnt 0x1
	scratch_store_b64 off, v[63:64], off offset:224
	s_wait_loadcnt 0x0
	scratch_store_b64 v0, v[65:66], off offset:-8
.LBB94_204:
	v_mov_b32_e32 v0, 0
	global_load_b32 v63, v0, s[2:3] offset:108
	s_wait_loadcnt 0x0
	v_cmp_eq_u32_e32 vcc_lo, 28, v63
	s_cbranch_vccnz .LBB94_206
; %bb.205:
	v_lshlrev_b32_e32 v63, 3, v63
	s_delay_alu instid0(VALU_DEP_1)
	v_mov_b32_e32 v67, v63
	scratch_load_b64 v[63:64], v67, off offset:-8
	scratch_load_b64 v[65:66], off, off offset:216
	s_wait_loadcnt 0x1
	scratch_store_b64 off, v[63:64], off offset:216
	s_wait_loadcnt 0x0
	scratch_store_b64 v67, v[65:66], off offset:-8
.LBB94_206:
	global_load_b32 v0, v0, s[2:3] offset:104
	s_wait_loadcnt 0x0
	v_cmp_eq_u32_e32 vcc_lo, 27, v0
	s_cbranch_vccnz .LBB94_208
; %bb.207:
	v_lshlrev_b32_e32 v0, 3, v0
	scratch_load_b64 v[63:64], v0, off offset:-8
	scratch_load_b64 v[65:66], off, off offset:208
	s_wait_loadcnt 0x1
	scratch_store_b64 off, v[63:64], off offset:208
	s_wait_loadcnt 0x0
	scratch_store_b64 v0, v[65:66], off offset:-8
.LBB94_208:
	v_mov_b32_e32 v0, 0
	global_load_b32 v63, v0, s[2:3] offset:100
	s_wait_loadcnt 0x0
	v_cmp_eq_u32_e32 vcc_lo, 26, v63
	s_cbranch_vccnz .LBB94_210
; %bb.209:
	v_lshlrev_b32_e32 v63, 3, v63
	s_delay_alu instid0(VALU_DEP_1)
	v_mov_b32_e32 v67, v63
	scratch_load_b64 v[63:64], v67, off offset:-8
	scratch_load_b64 v[65:66], off, off offset:200
	s_wait_loadcnt 0x1
	scratch_store_b64 off, v[63:64], off offset:200
	s_wait_loadcnt 0x0
	scratch_store_b64 v67, v[65:66], off offset:-8
.LBB94_210:
	;; [unrolled: 29-line block ×14, first 2 shown]
	global_load_b32 v0, v0, s[2:3]
	s_wait_loadcnt 0x0
	v_cmp_eq_u32_e32 vcc_lo, 1, v0
	s_cbranch_vccnz .LBB94_260
; %bb.259:
	v_lshlrev_b32_e32 v0, 3, v0
	scratch_load_b64 v[63:64], v0, off offset:-8
	scratch_load_b64 v[65:66], off, off
	s_wait_loadcnt 0x1
	scratch_store_b64 off, v[63:64], off
	s_wait_loadcnt 0x0
	scratch_store_b64 v0, v[65:66], off offset:-8
.LBB94_260:
	scratch_load_b64 v[63:64], off, off
	s_wait_loadcnt 0x0
	flat_store_b64 v[1:2], v[63:64]
	scratch_load_b64 v[0:1], off, off offset:8
	s_wait_loadcnt 0x0
	flat_store_b64 v[3:4], v[0:1]
	scratch_load_b64 v[0:1], off, off offset:16
	;; [unrolled: 3-line block ×30, first 2 shown]
	s_wait_loadcnt 0x0
	flat_store_b64 v[61:62], v[0:1]
	s_nop 0
	s_sendmsg sendmsg(MSG_DEALLOC_VGPRS)
	s_endpgm
	.section	.rodata,"a",@progbits
	.p2align	6, 0x0
	.amdhsa_kernel _ZN9rocsolver6v33100L18getri_kernel_smallILi31E19rocblas_complex_numIfEPKPS3_EEvT1_iilPiilS8_bb
		.amdhsa_group_segment_fixed_size 504
		.amdhsa_private_segment_fixed_size 256
		.amdhsa_kernarg_size 60
		.amdhsa_user_sgpr_count 2
		.amdhsa_user_sgpr_dispatch_ptr 0
		.amdhsa_user_sgpr_queue_ptr 0
		.amdhsa_user_sgpr_kernarg_segment_ptr 1
		.amdhsa_user_sgpr_dispatch_id 0
		.amdhsa_user_sgpr_private_segment_size 0
		.amdhsa_wavefront_size32 1
		.amdhsa_uses_dynamic_stack 0
		.amdhsa_enable_private_segment 1
		.amdhsa_system_sgpr_workgroup_id_x 1
		.amdhsa_system_sgpr_workgroup_id_y 0
		.amdhsa_system_sgpr_workgroup_id_z 0
		.amdhsa_system_sgpr_workgroup_info 0
		.amdhsa_system_vgpr_workitem_id 0
		.amdhsa_next_free_vgpr 214
		.amdhsa_next_free_sgpr 19
		.amdhsa_reserve_vcc 1
		.amdhsa_float_round_mode_32 0
		.amdhsa_float_round_mode_16_64 0
		.amdhsa_float_denorm_mode_32 3
		.amdhsa_float_denorm_mode_16_64 3
		.amdhsa_fp16_overflow 0
		.amdhsa_workgroup_processor_mode 1
		.amdhsa_memory_ordered 1
		.amdhsa_forward_progress 1
		.amdhsa_inst_pref_size 255
		.amdhsa_round_robin_scheduling 0
		.amdhsa_exception_fp_ieee_invalid_op 0
		.amdhsa_exception_fp_denorm_src 0
		.amdhsa_exception_fp_ieee_div_zero 0
		.amdhsa_exception_fp_ieee_overflow 0
		.amdhsa_exception_fp_ieee_underflow 0
		.amdhsa_exception_fp_ieee_inexact 0
		.amdhsa_exception_int_div_zero 0
	.end_amdhsa_kernel
	.section	.text._ZN9rocsolver6v33100L18getri_kernel_smallILi31E19rocblas_complex_numIfEPKPS3_EEvT1_iilPiilS8_bb,"axG",@progbits,_ZN9rocsolver6v33100L18getri_kernel_smallILi31E19rocblas_complex_numIfEPKPS3_EEvT1_iilPiilS8_bb,comdat
.Lfunc_end94:
	.size	_ZN9rocsolver6v33100L18getri_kernel_smallILi31E19rocblas_complex_numIfEPKPS3_EEvT1_iilPiilS8_bb, .Lfunc_end94-_ZN9rocsolver6v33100L18getri_kernel_smallILi31E19rocblas_complex_numIfEPKPS3_EEvT1_iilPiilS8_bb
                                        ; -- End function
	.set _ZN9rocsolver6v33100L18getri_kernel_smallILi31E19rocblas_complex_numIfEPKPS3_EEvT1_iilPiilS8_bb.num_vgpr, 214
	.set _ZN9rocsolver6v33100L18getri_kernel_smallILi31E19rocblas_complex_numIfEPKPS3_EEvT1_iilPiilS8_bb.num_agpr, 0
	.set _ZN9rocsolver6v33100L18getri_kernel_smallILi31E19rocblas_complex_numIfEPKPS3_EEvT1_iilPiilS8_bb.numbered_sgpr, 19
	.set _ZN9rocsolver6v33100L18getri_kernel_smallILi31E19rocblas_complex_numIfEPKPS3_EEvT1_iilPiilS8_bb.num_named_barrier, 0
	.set _ZN9rocsolver6v33100L18getri_kernel_smallILi31E19rocblas_complex_numIfEPKPS3_EEvT1_iilPiilS8_bb.private_seg_size, 256
	.set _ZN9rocsolver6v33100L18getri_kernel_smallILi31E19rocblas_complex_numIfEPKPS3_EEvT1_iilPiilS8_bb.uses_vcc, 1
	.set _ZN9rocsolver6v33100L18getri_kernel_smallILi31E19rocblas_complex_numIfEPKPS3_EEvT1_iilPiilS8_bb.uses_flat_scratch, 1
	.set _ZN9rocsolver6v33100L18getri_kernel_smallILi31E19rocblas_complex_numIfEPKPS3_EEvT1_iilPiilS8_bb.has_dyn_sized_stack, 0
	.set _ZN9rocsolver6v33100L18getri_kernel_smallILi31E19rocblas_complex_numIfEPKPS3_EEvT1_iilPiilS8_bb.has_recursion, 0
	.set _ZN9rocsolver6v33100L18getri_kernel_smallILi31E19rocblas_complex_numIfEPKPS3_EEvT1_iilPiilS8_bb.has_indirect_call, 0
	.section	.AMDGPU.csdata,"",@progbits
; Kernel info:
; codeLenInByte = 39300
; TotalNumSgprs: 21
; NumVgprs: 214
; ScratchSize: 256
; MemoryBound: 0
; FloatMode: 240
; IeeeMode: 1
; LDSByteSize: 504 bytes/workgroup (compile time only)
; SGPRBlocks: 0
; VGPRBlocks: 26
; NumSGPRsForWavesPerEU: 21
; NumVGPRsForWavesPerEU: 214
; Occupancy: 7
; WaveLimiterHint : 1
; COMPUTE_PGM_RSRC2:SCRATCH_EN: 1
; COMPUTE_PGM_RSRC2:USER_SGPR: 2
; COMPUTE_PGM_RSRC2:TRAP_HANDLER: 0
; COMPUTE_PGM_RSRC2:TGID_X_EN: 1
; COMPUTE_PGM_RSRC2:TGID_Y_EN: 0
; COMPUTE_PGM_RSRC2:TGID_Z_EN: 0
; COMPUTE_PGM_RSRC2:TIDIG_COMP_CNT: 0
	.section	.text._ZN9rocsolver6v33100L18getri_kernel_smallILi32E19rocblas_complex_numIfEPKPS3_EEvT1_iilPiilS8_bb,"axG",@progbits,_ZN9rocsolver6v33100L18getri_kernel_smallILi32E19rocblas_complex_numIfEPKPS3_EEvT1_iilPiilS8_bb,comdat
	.globl	_ZN9rocsolver6v33100L18getri_kernel_smallILi32E19rocblas_complex_numIfEPKPS3_EEvT1_iilPiilS8_bb ; -- Begin function _ZN9rocsolver6v33100L18getri_kernel_smallILi32E19rocblas_complex_numIfEPKPS3_EEvT1_iilPiilS8_bb
	.p2align	8
	.type	_ZN9rocsolver6v33100L18getri_kernel_smallILi32E19rocblas_complex_numIfEPKPS3_EEvT1_iilPiilS8_bb,@function
_ZN9rocsolver6v33100L18getri_kernel_smallILi32E19rocblas_complex_numIfEPKPS3_EEvT1_iilPiilS8_bb: ; @_ZN9rocsolver6v33100L18getri_kernel_smallILi32E19rocblas_complex_numIfEPKPS3_EEvT1_iilPiilS8_bb
; %bb.0:
	s_mov_b32 s2, exec_lo
	v_cmpx_gt_u32_e32 32, v0
	s_cbranch_execz .LBB95_142
; %bb.1:
	s_clause 0x1
	s_load_b32 s13, s[0:1], 0x38
	s_load_b64 s[2:3], s[0:1], 0x0
	s_mov_b32 s8, ttmp9
	s_load_b128 s[4:7], s[0:1], 0x28
	s_wait_kmcnt 0x0
	s_bitcmp1_b32 s13, 8
	s_cselect_b32 s12, -1, 0
	s_ashr_i32 s9, ttmp9, 31
	s_delay_alu instid0(SALU_CYCLE_1) | instskip(NEXT) | instid1(SALU_CYCLE_1)
	s_lshl_b64 s[10:11], s[8:9], 3
	s_add_nc_u64 s[2:3], s[2:3], s[10:11]
	s_load_b64 s[10:11], s[2:3], 0x0
	s_bfe_u32 s2, s13, 0x10008
	s_delay_alu instid0(SALU_CYCLE_1)
	s_cmp_eq_u32 s2, 0
                                        ; implicit-def: $sgpr2_sgpr3
	s_cbranch_scc1 .LBB95_3
; %bb.2:
	s_load_b96 s[16:18], s[0:1], 0x18
	s_mul_u64 s[2:3], s[4:5], s[8:9]
	s_delay_alu instid0(SALU_CYCLE_1)
	s_lshl_b64 s[2:3], s[2:3], 2
	s_wait_kmcnt 0x0
	s_ashr_i32 s5, s18, 31
	s_mov_b32 s4, s18
	s_add_nc_u64 s[2:3], s[16:17], s[2:3]
	s_lshl_b64 s[4:5], s[4:5], 2
	s_delay_alu instid0(SALU_CYCLE_1)
	s_add_nc_u64 s[2:3], s[2:3], s[4:5]
.LBB95_3:
	s_clause 0x1
	s_load_b64 s[4:5], s[0:1], 0x8
	s_load_b32 s13, s[0:1], 0x38
	v_lshlrev_b32_e32 v71, 3, v0
	s_wait_kmcnt 0x0
	s_ashr_i32 s1, s4, 31
	s_mov_b32 s0, s4
	v_add3_u32 v9, s5, s5, v0
	s_lshl_b64 s[0:1], s[0:1], 3
	s_delay_alu instid0(SALU_CYCLE_1)
	s_add_nc_u64 s[0:1], s[10:11], s[0:1]
	s_ashr_i32 s11, s5, 31
	v_add_co_u32 v1, s4, s0, v71
	s_wait_alu 0xf1ff
	v_add_co_ci_u32_e64 v2, null, s1, 0, s4
	s_mov_b32 s10, s5
	v_ashrrev_i32_e32 v10, 31, v9
	s_lshl_b64 s[10:11], s[10:11], 3
	flat_load_b64 v[5:6], v[1:2]
	v_add_co_u32 v3, vcc_lo, v1, s10
	s_delay_alu instid0(VALU_DEP_1) | instskip(SKIP_2) | instid1(VALU_DEP_1)
	v_add_co_ci_u32_e64 v4, null, s11, v2, vcc_lo
	v_add_nc_u32_e32 v12, s5, v9
	s_bitcmp0_b32 s13, 0
	v_ashrrev_i32_e32 v13, 31, v12
	s_wait_loadcnt_dscnt 0x0
	scratch_store_b64 off, v[5:6], off
	flat_load_b64 v[7:8], v[3:4]
	v_lshlrev_b64_e32 v[5:6], 3, v[9:10]
	s_delay_alu instid0(VALU_DEP_1) | instskip(SKIP_1) | instid1(VALU_DEP_2)
	v_add_co_u32 v5, vcc_lo, s0, v5
	s_wait_alu 0xfffd
	v_add_co_ci_u32_e64 v6, null, s1, v6, vcc_lo
	s_wait_loadcnt_dscnt 0x0
	scratch_store_b64 off, v[7:8], off offset:8
	flat_load_b64 v[10:11], v[5:6]
	v_lshlrev_b64_e32 v[7:8], 3, v[12:13]
	s_delay_alu instid0(VALU_DEP_1) | instskip(SKIP_1) | instid1(VALU_DEP_2)
	v_add_co_u32 v7, vcc_lo, s0, v7
	s_wait_alu 0xfffd
	v_add_co_ci_u32_e64 v8, null, s1, v8, vcc_lo
	s_wait_loadcnt_dscnt 0x0
	scratch_store_b64 off, v[10:11], off offset:16
	flat_load_b64 v[13:14], v[7:8]
	v_add_nc_u32_e32 v11, s5, v12
	s_delay_alu instid0(VALU_DEP_1) | instskip(SKIP_1) | instid1(VALU_DEP_2)
	v_ashrrev_i32_e32 v12, 31, v11
	v_add_nc_u32_e32 v15, s5, v11
	v_lshlrev_b64_e32 v[9:10], 3, v[11:12]
	s_delay_alu instid0(VALU_DEP_2) | instskip(SKIP_1) | instid1(VALU_DEP_3)
	v_ashrrev_i32_e32 v16, 31, v15
	v_add_nc_u32_e32 v18, s5, v15
	v_add_co_u32 v9, vcc_lo, s0, v9
	s_wait_alu 0xfffd
	s_delay_alu instid0(VALU_DEP_4) | instskip(SKIP_2) | instid1(VALU_DEP_2)
	v_add_co_ci_u32_e64 v10, null, s1, v10, vcc_lo
	v_lshlrev_b64_e32 v[11:12], 3, v[15:16]
	v_ashrrev_i32_e32 v19, 31, v18
	v_add_co_u32 v11, vcc_lo, s0, v11
	s_wait_alu 0xfffd
	s_delay_alu instid0(VALU_DEP_3)
	v_add_co_ci_u32_e64 v12, null, s1, v12, vcc_lo
	s_wait_loadcnt_dscnt 0x0
	scratch_store_b64 off, v[13:14], off offset:24
	flat_load_b64 v[13:14], v[9:10]
	s_wait_loadcnt_dscnt 0x0
	scratch_store_b64 off, v[13:14], off offset:32
	flat_load_b64 v[16:17], v[11:12]
	v_lshlrev_b64_e32 v[13:14], 3, v[18:19]
	s_delay_alu instid0(VALU_DEP_1) | instskip(SKIP_1) | instid1(VALU_DEP_2)
	v_add_co_u32 v13, vcc_lo, s0, v13
	s_wait_alu 0xfffd
	v_add_co_ci_u32_e64 v14, null, s1, v14, vcc_lo
	s_wait_loadcnt_dscnt 0x0
	scratch_store_b64 off, v[16:17], off offset:40
	flat_load_b64 v[19:20], v[13:14]
	v_add_nc_u32_e32 v17, s5, v18
	s_delay_alu instid0(VALU_DEP_1) | instskip(SKIP_1) | instid1(VALU_DEP_2)
	v_ashrrev_i32_e32 v18, 31, v17
	v_add_nc_u32_e32 v21, s5, v17
	v_lshlrev_b64_e32 v[15:16], 3, v[17:18]
	s_delay_alu instid0(VALU_DEP_2) | instskip(SKIP_1) | instid1(VALU_DEP_3)
	v_ashrrev_i32_e32 v22, 31, v21
	v_add_nc_u32_e32 v24, s5, v21
	v_add_co_u32 v15, vcc_lo, s0, v15
	s_wait_alu 0xfffd
	s_delay_alu instid0(VALU_DEP_4) | instskip(SKIP_2) | instid1(VALU_DEP_2)
	v_add_co_ci_u32_e64 v16, null, s1, v16, vcc_lo
	v_lshlrev_b64_e32 v[17:18], 3, v[21:22]
	v_ashrrev_i32_e32 v25, 31, v24
	v_add_co_u32 v17, vcc_lo, s0, v17
	s_wait_alu 0xfffd
	s_delay_alu instid0(VALU_DEP_3)
	v_add_co_ci_u32_e64 v18, null, s1, v18, vcc_lo
	s_wait_loadcnt_dscnt 0x0
	scratch_store_b64 off, v[19:20], off offset:48
	flat_load_b64 v[19:20], v[15:16]
	;; [unrolled: 32-line block ×8, first 2 shown]
	s_wait_loadcnt_dscnt 0x0
	scratch_store_b64 off, v[55:56], off offset:200
	flat_load_b64 v[58:59], v[53:54]
	v_lshlrev_b64_e32 v[55:56], 3, v[60:61]
	s_delay_alu instid0(VALU_DEP_1) | instskip(SKIP_1) | instid1(VALU_DEP_2)
	v_add_co_u32 v55, vcc_lo, s0, v55
	s_wait_alu 0xfffd
	v_add_co_ci_u32_e64 v56, null, s1, v56, vcc_lo
	s_wait_loadcnt_dscnt 0x0
	scratch_store_b64 off, v[58:59], off offset:208
	flat_load_b64 v[61:62], v[55:56]
	v_add_nc_u32_e32 v59, s5, v60
	s_delay_alu instid0(VALU_DEP_1) | instskip(SKIP_1) | instid1(VALU_DEP_2)
	v_ashrrev_i32_e32 v60, 31, v59
	v_add_nc_u32_e32 v63, s5, v59
	v_lshlrev_b64_e32 v[57:58], 3, v[59:60]
	s_delay_alu instid0(VALU_DEP_2) | instskip(SKIP_1) | instid1(VALU_DEP_3)
	v_ashrrev_i32_e32 v64, 31, v63
	v_add_nc_u32_e32 v66, s5, v63
	v_add_co_u32 v57, vcc_lo, s0, v57
	s_wait_alu 0xfffd
	s_delay_alu instid0(VALU_DEP_4) | instskip(SKIP_3) | instid1(VALU_DEP_3)
	v_add_co_ci_u32_e64 v58, null, s1, v58, vcc_lo
	v_lshlrev_b64_e32 v[59:60], 3, v[63:64]
	v_ashrrev_i32_e32 v67, 31, v66
	v_add_nc_u32_e32 v63, s5, v66
	v_add_co_u32 v59, vcc_lo, s0, v59
	s_wait_alu 0xfffd
	s_delay_alu instid0(VALU_DEP_4)
	v_add_co_ci_u32_e64 v60, null, s1, v60, vcc_lo
	s_wait_loadcnt_dscnt 0x0
	scratch_store_b64 off, v[61:62], off offset:216
	flat_load_b64 v[61:62], v[57:58]
	s_wait_loadcnt_dscnt 0x0
	scratch_store_b64 off, v[61:62], off offset:224
	flat_load_b64 v[64:65], v[59:60]
	v_lshlrev_b64_e32 v[61:62], 3, v[66:67]
	s_delay_alu instid0(VALU_DEP_1) | instskip(SKIP_1) | instid1(VALU_DEP_2)
	v_add_co_u32 v61, vcc_lo, s0, v61
	s_wait_alu 0xfffd
	v_add_co_ci_u32_e64 v62, null, s1, v62, vcc_lo
	s_wait_loadcnt_dscnt 0x0
	scratch_store_b64 off, v[64:65], off offset:232
	flat_load_b64 v[67:68], v[61:62]
	v_ashrrev_i32_e32 v64, 31, v63
	s_delay_alu instid0(VALU_DEP_1) | instskip(NEXT) | instid1(VALU_DEP_1)
	v_lshlrev_b64_e32 v[63:64], 3, v[63:64]
	v_add_co_u32 v63, vcc_lo, s0, v63
	s_wait_alu 0xfffd
	s_delay_alu instid0(VALU_DEP_2)
	v_add_co_ci_u32_e64 v64, null, s1, v64, vcc_lo
	s_mov_b32 s1, -1
	s_wait_loadcnt_dscnt 0x0
	scratch_store_b64 off, v[67:68], off offset:240
	flat_load_b64 v[65:66], v[63:64]
	s_wait_loadcnt_dscnt 0x0
	scratch_store_b64 off, v[65:66], off offset:248
	s_cbranch_scc1 .LBB95_140
; %bb.4:
	v_cmp_eq_u32_e64 s0, 0, v0
	s_and_saveexec_b32 s1, s0
; %bb.5:
	v_mov_b32_e32 v65, 0
	ds_store_b32 v65, v65 offset:512
; %bb.6:
	s_wait_alu 0xfffe
	s_or_b32 exec_lo, exec_lo, s1
	s_wait_storecnt_dscnt 0x0
	s_barrier_signal -1
	s_barrier_wait -1
	global_inv scope:SCOPE_SE
	scratch_load_b64 v[65:66], v71, off
	s_wait_loadcnt 0x0
	v_cmp_eq_f32_e32 vcc_lo, 0, v65
	v_cmp_eq_f32_e64 s1, 0, v66
	s_and_b32 s1, vcc_lo, s1
	s_wait_alu 0xfffe
	s_and_saveexec_b32 s4, s1
	s_cbranch_execz .LBB95_10
; %bb.7:
	v_mov_b32_e32 v65, 0
	s_mov_b32 s5, 0
	ds_load_b32 v66, v65 offset:512
	s_wait_dscnt 0x0
	v_readfirstlane_b32 s1, v66
	v_add_nc_u32_e32 v66, 1, v0
	s_cmp_eq_u32 s1, 0
	s_delay_alu instid0(VALU_DEP_1)
	v_cmp_gt_i32_e32 vcc_lo, s1, v66
	s_cselect_b32 s10, -1, 0
	s_wait_alu 0xfffe
	s_or_b32 s10, s10, vcc_lo
	s_wait_alu 0xfffe
	s_and_b32 exec_lo, exec_lo, s10
	s_cbranch_execz .LBB95_10
; %bb.8:
	v_mov_b32_e32 v67, s1
.LBB95_9:                               ; =>This Inner Loop Header: Depth=1
	ds_cmpstore_rtn_b32 v67, v65, v66, v67 offset:512
	s_wait_dscnt 0x0
	v_cmp_ne_u32_e32 vcc_lo, 0, v67
	v_cmp_le_i32_e64 s1, v67, v66
	s_and_b32 s1, vcc_lo, s1
	s_wait_alu 0xfffe
	s_and_b32 s1, exec_lo, s1
	s_wait_alu 0xfffe
	s_or_b32 s5, s1, s5
	s_wait_alu 0xfffe
	s_and_not1_b32 exec_lo, exec_lo, s5
	s_cbranch_execnz .LBB95_9
.LBB95_10:
	s_wait_alu 0xfffe
	s_or_b32 exec_lo, exec_lo, s4
	v_mov_b32_e32 v65, 0
	s_barrier_signal -1
	s_barrier_wait -1
	global_inv scope:SCOPE_SE
	ds_load_b32 v66, v65 offset:512
	s_and_saveexec_b32 s1, s0
	s_cbranch_execz .LBB95_12
; %bb.11:
	s_lshl_b64 s[4:5], s[8:9], 2
	s_wait_alu 0xfffe
	s_add_nc_u64 s[4:5], s[6:7], s[4:5]
	s_wait_dscnt 0x0
	global_store_b32 v65, v66, s[4:5]
.LBB95_12:
	s_wait_alu 0xfffe
	s_or_b32 exec_lo, exec_lo, s1
	s_wait_dscnt 0x0
	v_cmp_ne_u32_e32 vcc_lo, 0, v66
	s_mov_b32 s1, 0
	s_cbranch_vccnz .LBB95_140
; %bb.13:
	v_mov_b32_e32 v72, v71
                                        ; implicit-def: $vgpr67
                                        ; implicit-def: $vgpr69
	scratch_load_b64 v[65:66], v72, off
	s_wait_loadcnt 0x0
	v_cmp_ngt_f32_e64 s1, |v65|, |v66|
	s_wait_alu 0xfffe
	s_and_saveexec_b32 s4, s1
	s_wait_alu 0xfffe
	s_xor_b32 s1, exec_lo, s4
	s_cbranch_execz .LBB95_15
; %bb.14:
	v_div_scale_f32 v67, null, v66, v66, v65
	v_div_scale_f32 v70, vcc_lo, v65, v66, v65
	s_delay_alu instid0(VALU_DEP_2) | instskip(NEXT) | instid1(TRANS32_DEP_1)
	v_rcp_f32_e32 v68, v67
	v_fma_f32 v69, -v67, v68, 1.0
	s_delay_alu instid0(VALU_DEP_1) | instskip(NEXT) | instid1(VALU_DEP_1)
	v_fmac_f32_e32 v68, v69, v68
	v_mul_f32_e32 v69, v70, v68
	s_delay_alu instid0(VALU_DEP_1) | instskip(NEXT) | instid1(VALU_DEP_1)
	v_fma_f32 v73, -v67, v69, v70
	v_fmac_f32_e32 v69, v73, v68
	s_delay_alu instid0(VALU_DEP_1) | instskip(SKIP_1) | instid1(VALU_DEP_1)
	v_fma_f32 v67, -v67, v69, v70
	s_wait_alu 0xfffd
	v_div_fmas_f32 v67, v67, v68, v69
	s_delay_alu instid0(VALU_DEP_1) | instskip(NEXT) | instid1(VALU_DEP_1)
	v_div_fixup_f32 v67, v67, v66, v65
	v_fmac_f32_e32 v66, v65, v67
	s_delay_alu instid0(VALU_DEP_1) | instskip(NEXT) | instid1(VALU_DEP_1)
	v_div_scale_f32 v65, null, v66, v66, 1.0
	v_rcp_f32_e32 v68, v65
	s_delay_alu instid0(TRANS32_DEP_1) | instskip(NEXT) | instid1(VALU_DEP_1)
	v_fma_f32 v69, -v65, v68, 1.0
	v_fmac_f32_e32 v68, v69, v68
	v_div_scale_f32 v69, vcc_lo, 1.0, v66, 1.0
	s_delay_alu instid0(VALU_DEP_1) | instskip(NEXT) | instid1(VALU_DEP_1)
	v_mul_f32_e32 v70, v69, v68
	v_fma_f32 v73, -v65, v70, v69
	s_delay_alu instid0(VALU_DEP_1) | instskip(NEXT) | instid1(VALU_DEP_1)
	v_fmac_f32_e32 v70, v73, v68
	v_fma_f32 v65, -v65, v70, v69
	s_wait_alu 0xfffd
	s_delay_alu instid0(VALU_DEP_1) | instskip(NEXT) | instid1(VALU_DEP_1)
	v_div_fmas_f32 v65, v65, v68, v70
	v_div_fixup_f32 v65, v65, v66, 1.0
	s_delay_alu instid0(VALU_DEP_1) | instskip(SKIP_1) | instid1(VALU_DEP_2)
	v_mul_f32_e32 v67, v67, v65
	v_xor_b32_e32 v68, 0x80000000, v65
                                        ; implicit-def: $vgpr65_vgpr66
	v_xor_b32_e32 v69, 0x80000000, v67
.LBB95_15:
	s_wait_alu 0xfffe
	s_and_not1_saveexec_b32 s1, s1
	s_cbranch_execz .LBB95_17
; %bb.16:
	v_div_scale_f32 v67, null, v65, v65, v66
	v_div_scale_f32 v70, vcc_lo, v66, v65, v66
	s_delay_alu instid0(VALU_DEP_2) | instskip(NEXT) | instid1(TRANS32_DEP_1)
	v_rcp_f32_e32 v68, v67
	v_fma_f32 v69, -v67, v68, 1.0
	s_delay_alu instid0(VALU_DEP_1) | instskip(NEXT) | instid1(VALU_DEP_1)
	v_fmac_f32_e32 v68, v69, v68
	v_mul_f32_e32 v69, v70, v68
	s_delay_alu instid0(VALU_DEP_1) | instskip(NEXT) | instid1(VALU_DEP_1)
	v_fma_f32 v73, -v67, v69, v70
	v_fmac_f32_e32 v69, v73, v68
	s_delay_alu instid0(VALU_DEP_1) | instskip(SKIP_1) | instid1(VALU_DEP_1)
	v_fma_f32 v67, -v67, v69, v70
	s_wait_alu 0xfffd
	v_div_fmas_f32 v67, v67, v68, v69
	s_delay_alu instid0(VALU_DEP_1) | instskip(NEXT) | instid1(VALU_DEP_1)
	v_div_fixup_f32 v68, v67, v65, v66
	v_fmac_f32_e32 v65, v66, v68
	s_delay_alu instid0(VALU_DEP_1) | instskip(SKIP_1) | instid1(VALU_DEP_2)
	v_div_scale_f32 v66, null, v65, v65, 1.0
	v_div_scale_f32 v70, vcc_lo, 1.0, v65, 1.0
	v_rcp_f32_e32 v67, v66
	s_delay_alu instid0(TRANS32_DEP_1) | instskip(NEXT) | instid1(VALU_DEP_1)
	v_fma_f32 v69, -v66, v67, 1.0
	v_fmac_f32_e32 v67, v69, v67
	s_delay_alu instid0(VALU_DEP_1) | instskip(NEXT) | instid1(VALU_DEP_1)
	v_mul_f32_e32 v69, v70, v67
	v_fma_f32 v73, -v66, v69, v70
	s_delay_alu instid0(VALU_DEP_1) | instskip(NEXT) | instid1(VALU_DEP_1)
	v_fmac_f32_e32 v69, v73, v67
	v_fma_f32 v66, -v66, v69, v70
	s_wait_alu 0xfffd
	s_delay_alu instid0(VALU_DEP_1) | instskip(NEXT) | instid1(VALU_DEP_1)
	v_div_fmas_f32 v66, v66, v67, v69
	v_div_fixup_f32 v67, v66, v65, 1.0
	s_delay_alu instid0(VALU_DEP_1)
	v_xor_b32_e32 v69, 0x80000000, v67
	v_mul_f32_e64 v68, v68, -v67
.LBB95_17:
	s_wait_alu 0xfffe
	s_or_b32 exec_lo, exec_lo, s1
	scratch_store_b64 v72, v[67:68], off
	scratch_load_b64 v[66:67], off, off offset:8
	v_xor_b32_e32 v70, 0x80000000, v68
	v_add_nc_u32_e32 v65, 0x100, v71
	s_wait_loadcnt 0x0
	ds_store_2addr_b64 v71, v[69:70], v[66:67] offset1:32
	s_wait_storecnt_dscnt 0x0
	s_barrier_signal -1
	s_barrier_wait -1
	global_inv scope:SCOPE_SE
	s_and_saveexec_b32 s1, s0
	s_cbranch_execz .LBB95_19
; %bb.18:
	scratch_load_b64 v[66:67], v72, off
	ds_load_b64 v[68:69], v65
	v_mov_b32_e32 v70, 0
	ds_load_b64 v[73:74], v70 offset:8
	s_wait_loadcnt_dscnt 0x1
	v_mul_f32_e32 v70, v68, v67
	v_mul_f32_e32 v67, v69, v67
	s_delay_alu instid0(VALU_DEP_2) | instskip(NEXT) | instid1(VALU_DEP_2)
	v_fmac_f32_e32 v70, v69, v66
	v_fma_f32 v66, v68, v66, -v67
	s_delay_alu instid0(VALU_DEP_2) | instskip(NEXT) | instid1(VALU_DEP_2)
	v_add_f32_e32 v68, 0, v70
	v_add_f32_e32 v66, 0, v66
	s_wait_dscnt 0x0
	s_delay_alu instid0(VALU_DEP_2) | instskip(NEXT) | instid1(VALU_DEP_2)
	v_mul_f32_e32 v69, v68, v74
	v_mul_f32_e32 v67, v66, v74
	s_delay_alu instid0(VALU_DEP_2) | instskip(NEXT) | instid1(VALU_DEP_2)
	v_fma_f32 v66, v66, v73, -v69
	v_fmac_f32_e32 v67, v68, v73
	scratch_store_b64 off, v[66:67], off offset:8
.LBB95_19:
	s_wait_alu 0xfffe
	s_or_b32 exec_lo, exec_lo, s1
	s_wait_loadcnt 0x0
	s_wait_storecnt 0x0
	s_barrier_signal -1
	s_barrier_wait -1
	global_inv scope:SCOPE_SE
	scratch_load_b64 v[66:67], off, off offset:16
	s_mov_b32 s1, exec_lo
	s_wait_loadcnt 0x0
	ds_store_b64 v65, v[66:67]
	s_wait_dscnt 0x0
	s_barrier_signal -1
	s_barrier_wait -1
	global_inv scope:SCOPE_SE
	v_cmpx_gt_u32_e32 2, v0
	s_cbranch_execz .LBB95_23
; %bb.20:
	scratch_load_b64 v[66:67], v72, off
	ds_load_b64 v[68:69], v65
	s_wait_loadcnt_dscnt 0x0
	v_mul_f32_e32 v70, v69, v67
	v_mul_f32_e32 v73, v68, v67
	s_delay_alu instid0(VALU_DEP_2) | instskip(NEXT) | instid1(VALU_DEP_2)
	v_fma_f32 v67, v68, v66, -v70
	v_fmac_f32_e32 v73, v69, v66
	s_delay_alu instid0(VALU_DEP_1)
	v_dual_add_f32 v67, 0, v67 :: v_dual_add_f32 v66, 0, v73
	s_and_saveexec_b32 s4, s0
	s_cbranch_execz .LBB95_22
; %bb.21:
	scratch_load_b64 v[68:69], off, off offset:8
	v_mov_b32_e32 v70, 0
	ds_load_b64 v[73:74], v70 offset:264
	s_wait_loadcnt_dscnt 0x0
	v_mul_f32_e32 v70, v73, v69
	v_mul_f32_e32 v69, v74, v69
	s_delay_alu instid0(VALU_DEP_2) | instskip(NEXT) | instid1(VALU_DEP_2)
	v_fmac_f32_e32 v70, v74, v68
	v_fma_f32 v68, v73, v68, -v69
	s_delay_alu instid0(VALU_DEP_1)
	v_dual_add_f32 v66, v66, v70 :: v_dual_add_f32 v67, v67, v68
.LBB95_22:
	s_wait_alu 0xfffe
	s_or_b32 exec_lo, exec_lo, s4
	v_mov_b32_e32 v68, 0
	ds_load_b64 v[68:69], v68 offset:16
	s_wait_dscnt 0x0
	v_mul_f32_e32 v73, v66, v69
	v_mul_f32_e32 v70, v67, v69
	s_delay_alu instid0(VALU_DEP_2) | instskip(NEXT) | instid1(VALU_DEP_2)
	v_fma_f32 v69, v67, v68, -v73
	v_fmac_f32_e32 v70, v66, v68
	scratch_store_b64 off, v[69:70], off offset:16
.LBB95_23:
	s_wait_alu 0xfffe
	s_or_b32 exec_lo, exec_lo, s1
	s_wait_loadcnt 0x0
	s_wait_storecnt 0x0
	s_barrier_signal -1
	s_barrier_wait -1
	global_inv scope:SCOPE_SE
	scratch_load_b64 v[67:68], off, off offset:24
	v_add_nc_u32_e32 v66, -1, v0
	s_mov_b32 s0, exec_lo
	s_wait_loadcnt 0x0
	ds_store_b64 v65, v[67:68]
	s_wait_dscnt 0x0
	s_barrier_signal -1
	s_barrier_wait -1
	global_inv scope:SCOPE_SE
	v_cmpx_gt_u32_e32 3, v0
	s_cbranch_execz .LBB95_27
; %bb.24:
	v_dual_mov_b32 v67, 0 :: v_dual_add_nc_u32 v68, -1, v0
	v_dual_mov_b32 v70, v71 :: v_dual_add_nc_u32 v69, 0x100, v71
	v_mov_b32_e32 v73, 0
	s_mov_b32 s1, 0
.LBB95_25:                              ; =>This Inner Loop Header: Depth=1
	scratch_load_b64 v[74:75], v70, off
	ds_load_b64 v[76:77], v69
	v_add_nc_u32_e32 v68, 1, v68
	v_add_nc_u32_e32 v69, 8, v69
	s_delay_alu instid0(VALU_DEP_2)
	v_cmp_lt_u32_e32 vcc_lo, 1, v68
	s_wait_alu 0xfffe
	s_or_b32 s1, vcc_lo, s1
	s_wait_loadcnt_dscnt 0x0
	v_mul_f32_e32 v78, v77, v75
	v_mul_f32_e32 v75, v76, v75
	s_delay_alu instid0(VALU_DEP_2) | instskip(NEXT) | instid1(VALU_DEP_2)
	v_fma_f32 v76, v76, v74, -v78
	v_fmac_f32_e32 v75, v77, v74
	s_delay_alu instid0(VALU_DEP_2) | instskip(NEXT) | instid1(VALU_DEP_2)
	v_dual_add_f32 v73, v73, v76 :: v_dual_add_nc_u32 v70, 8, v70
	v_add_f32_e32 v67, v67, v75
	s_wait_alu 0xfffe
	s_and_not1_b32 exec_lo, exec_lo, s1
	s_cbranch_execnz .LBB95_25
; %bb.26:
	s_or_b32 exec_lo, exec_lo, s1
	v_mov_b32_e32 v68, 0
	ds_load_b64 v[68:69], v68 offset:24
	s_wait_dscnt 0x0
	v_mul_f32_e32 v74, v67, v69
	v_mul_f32_e32 v70, v73, v69
	s_delay_alu instid0(VALU_DEP_2) | instskip(NEXT) | instid1(VALU_DEP_2)
	v_fma_f32 v69, v73, v68, -v74
	v_fmac_f32_e32 v70, v67, v68
	scratch_store_b64 off, v[69:70], off offset:24
.LBB95_27:
	s_wait_alu 0xfffe
	s_or_b32 exec_lo, exec_lo, s0
	s_wait_loadcnt 0x0
	s_wait_storecnt 0x0
	s_barrier_signal -1
	s_barrier_wait -1
	global_inv scope:SCOPE_SE
	scratch_load_b64 v[67:68], off, off offset:32
	s_mov_b32 s0, exec_lo
	s_wait_loadcnt 0x0
	ds_store_b64 v65, v[67:68]
	s_wait_dscnt 0x0
	s_barrier_signal -1
	s_barrier_wait -1
	global_inv scope:SCOPE_SE
	v_cmpx_gt_u32_e32 4, v0
	s_cbranch_execz .LBB95_31
; %bb.28:
	v_dual_mov_b32 v67, 0 :: v_dual_add_nc_u32 v68, -1, v0
	v_dual_mov_b32 v70, v71 :: v_dual_add_nc_u32 v69, 0x100, v71
	v_mov_b32_e32 v73, 0
	s_mov_b32 s1, 0
.LBB95_29:                              ; =>This Inner Loop Header: Depth=1
	scratch_load_b64 v[74:75], v70, off
	ds_load_b64 v[76:77], v69
	v_add_nc_u32_e32 v68, 1, v68
	v_add_nc_u32_e32 v69, 8, v69
	s_delay_alu instid0(VALU_DEP_2)
	v_cmp_lt_u32_e32 vcc_lo, 2, v68
	s_wait_alu 0xfffe
	s_or_b32 s1, vcc_lo, s1
	s_wait_loadcnt_dscnt 0x0
	v_mul_f32_e32 v78, v77, v75
	v_mul_f32_e32 v75, v76, v75
	s_delay_alu instid0(VALU_DEP_2) | instskip(NEXT) | instid1(VALU_DEP_2)
	v_fma_f32 v76, v76, v74, -v78
	v_fmac_f32_e32 v75, v77, v74
	s_delay_alu instid0(VALU_DEP_2) | instskip(NEXT) | instid1(VALU_DEP_2)
	v_dual_add_f32 v73, v73, v76 :: v_dual_add_nc_u32 v70, 8, v70
	v_add_f32_e32 v67, v67, v75
	s_wait_alu 0xfffe
	s_and_not1_b32 exec_lo, exec_lo, s1
	s_cbranch_execnz .LBB95_29
; %bb.30:
	s_or_b32 exec_lo, exec_lo, s1
	v_mov_b32_e32 v68, 0
	ds_load_b64 v[68:69], v68 offset:32
	s_wait_dscnt 0x0
	v_mul_f32_e32 v74, v67, v69
	v_mul_f32_e32 v70, v73, v69
	s_delay_alu instid0(VALU_DEP_2) | instskip(NEXT) | instid1(VALU_DEP_2)
	v_fma_f32 v69, v73, v68, -v74
	v_fmac_f32_e32 v70, v67, v68
	scratch_store_b64 off, v[69:70], off offset:32
.LBB95_31:
	s_wait_alu 0xfffe
	s_or_b32 exec_lo, exec_lo, s0
	s_wait_loadcnt 0x0
	s_wait_storecnt 0x0
	s_barrier_signal -1
	s_barrier_wait -1
	global_inv scope:SCOPE_SE
	scratch_load_b64 v[67:68], off, off offset:40
	;; [unrolled: 55-line block ×19, first 2 shown]
	s_mov_b32 s0, exec_lo
	s_wait_loadcnt 0x0
	ds_store_b64 v65, v[67:68]
	s_wait_dscnt 0x0
	s_barrier_signal -1
	s_barrier_wait -1
	global_inv scope:SCOPE_SE
	v_cmpx_gt_u32_e32 22, v0
	s_cbranch_execz .LBB95_103
; %bb.100:
	v_dual_mov_b32 v67, 0 :: v_dual_add_nc_u32 v68, -1, v0
	v_dual_mov_b32 v70, v71 :: v_dual_add_nc_u32 v69, 0x100, v71
	v_mov_b32_e32 v73, 0
	s_mov_b32 s1, 0
.LBB95_101:                             ; =>This Inner Loop Header: Depth=1
	scratch_load_b64 v[74:75], v70, off
	ds_load_b64 v[76:77], v69
	v_add_nc_u32_e32 v68, 1, v68
	v_add_nc_u32_e32 v69, 8, v69
	s_delay_alu instid0(VALU_DEP_2)
	v_cmp_lt_u32_e32 vcc_lo, 20, v68
	s_wait_alu 0xfffe
	s_or_b32 s1, vcc_lo, s1
	s_wait_loadcnt_dscnt 0x0
	v_mul_f32_e32 v78, v77, v75
	v_mul_f32_e32 v75, v76, v75
	s_delay_alu instid0(VALU_DEP_2) | instskip(NEXT) | instid1(VALU_DEP_2)
	v_fma_f32 v76, v76, v74, -v78
	v_fmac_f32_e32 v75, v77, v74
	s_delay_alu instid0(VALU_DEP_2) | instskip(NEXT) | instid1(VALU_DEP_2)
	v_dual_add_f32 v73, v73, v76 :: v_dual_add_nc_u32 v70, 8, v70
	v_add_f32_e32 v67, v67, v75
	s_wait_alu 0xfffe
	s_and_not1_b32 exec_lo, exec_lo, s1
	s_cbranch_execnz .LBB95_101
; %bb.102:
	s_or_b32 exec_lo, exec_lo, s1
	v_mov_b32_e32 v68, 0
	ds_load_b64 v[68:69], v68 offset:176
	s_wait_dscnt 0x0
	v_mul_f32_e32 v74, v67, v69
	v_mul_f32_e32 v70, v73, v69
	s_delay_alu instid0(VALU_DEP_2) | instskip(NEXT) | instid1(VALU_DEP_2)
	v_fma_f32 v69, v73, v68, -v74
	v_fmac_f32_e32 v70, v67, v68
	scratch_store_b64 off, v[69:70], off offset:176
.LBB95_103:
	s_wait_alu 0xfffe
	s_or_b32 exec_lo, exec_lo, s0
	s_wait_loadcnt 0x0
	s_wait_storecnt 0x0
	s_barrier_signal -1
	s_barrier_wait -1
	global_inv scope:SCOPE_SE
	scratch_load_b64 v[67:68], off, off offset:184
	s_mov_b32 s0, exec_lo
	s_wait_loadcnt 0x0
	ds_store_b64 v65, v[67:68]
	s_wait_dscnt 0x0
	s_barrier_signal -1
	s_barrier_wait -1
	global_inv scope:SCOPE_SE
	v_cmpx_gt_u32_e32 23, v0
	s_cbranch_execz .LBB95_107
; %bb.104:
	v_dual_mov_b32 v67, 0 :: v_dual_add_nc_u32 v68, -1, v0
	v_dual_mov_b32 v70, v71 :: v_dual_add_nc_u32 v69, 0x100, v71
	v_mov_b32_e32 v73, 0
	s_mov_b32 s1, 0
.LBB95_105:                             ; =>This Inner Loop Header: Depth=1
	scratch_load_b64 v[74:75], v70, off
	ds_load_b64 v[76:77], v69
	v_add_nc_u32_e32 v68, 1, v68
	v_add_nc_u32_e32 v69, 8, v69
	s_delay_alu instid0(VALU_DEP_2)
	v_cmp_lt_u32_e32 vcc_lo, 21, v68
	s_wait_alu 0xfffe
	s_or_b32 s1, vcc_lo, s1
	s_wait_loadcnt_dscnt 0x0
	v_mul_f32_e32 v78, v77, v75
	v_mul_f32_e32 v75, v76, v75
	s_delay_alu instid0(VALU_DEP_2) | instskip(NEXT) | instid1(VALU_DEP_2)
	v_fma_f32 v76, v76, v74, -v78
	v_fmac_f32_e32 v75, v77, v74
	s_delay_alu instid0(VALU_DEP_2) | instskip(NEXT) | instid1(VALU_DEP_2)
	v_dual_add_f32 v73, v73, v76 :: v_dual_add_nc_u32 v70, 8, v70
	v_add_f32_e32 v67, v67, v75
	s_wait_alu 0xfffe
	s_and_not1_b32 exec_lo, exec_lo, s1
	s_cbranch_execnz .LBB95_105
; %bb.106:
	s_or_b32 exec_lo, exec_lo, s1
	v_mov_b32_e32 v68, 0
	ds_load_b64 v[68:69], v68 offset:184
	s_wait_dscnt 0x0
	v_mul_f32_e32 v74, v67, v69
	v_mul_f32_e32 v70, v73, v69
	s_delay_alu instid0(VALU_DEP_2) | instskip(NEXT) | instid1(VALU_DEP_2)
	v_fma_f32 v69, v73, v68, -v74
	v_fmac_f32_e32 v70, v67, v68
	scratch_store_b64 off, v[69:70], off offset:184
.LBB95_107:
	s_wait_alu 0xfffe
	s_or_b32 exec_lo, exec_lo, s0
	s_wait_loadcnt 0x0
	s_wait_storecnt 0x0
	s_barrier_signal -1
	s_barrier_wait -1
	global_inv scope:SCOPE_SE
	scratch_load_b64 v[67:68], off, off offset:192
	;; [unrolled: 55-line block ×8, first 2 shown]
	s_mov_b32 s0, exec_lo
	s_wait_loadcnt 0x0
	ds_store_b64 v65, v[67:68]
	s_wait_dscnt 0x0
	s_barrier_signal -1
	s_barrier_wait -1
	global_inv scope:SCOPE_SE
	v_cmpx_gt_u32_e32 30, v0
	s_cbranch_execz .LBB95_135
; %bb.132:
	v_dual_mov_b32 v67, 0 :: v_dual_add_nc_u32 v68, -1, v0
	v_dual_mov_b32 v70, v71 :: v_dual_add_nc_u32 v69, 0x100, v71
	v_mov_b32_e32 v71, 0
	s_mov_b32 s1, 0
.LBB95_133:                             ; =>This Inner Loop Header: Depth=1
	scratch_load_b64 v[73:74], v70, off
	ds_load_b64 v[75:76], v69
	v_add_nc_u32_e32 v70, 8, v70
	v_add_nc_u32_e32 v68, 1, v68
	;; [unrolled: 1-line block ×3, first 2 shown]
	s_delay_alu instid0(VALU_DEP_2)
	v_cmp_lt_u32_e32 vcc_lo, 28, v68
	s_wait_alu 0xfffe
	s_or_b32 s1, vcc_lo, s1
	s_wait_loadcnt_dscnt 0x0
	v_mul_f32_e32 v77, v76, v74
	v_mul_f32_e32 v74, v75, v74
	s_delay_alu instid0(VALU_DEP_2) | instskip(NEXT) | instid1(VALU_DEP_1)
	v_fma_f32 v75, v75, v73, -v77
	v_dual_fmac_f32 v74, v76, v73 :: v_dual_add_f32 v71, v71, v75
	s_delay_alu instid0(VALU_DEP_1)
	v_add_f32_e32 v67, v67, v74
	s_wait_alu 0xfffe
	s_and_not1_b32 exec_lo, exec_lo, s1
	s_cbranch_execnz .LBB95_133
; %bb.134:
	s_or_b32 exec_lo, exec_lo, s1
	v_mov_b32_e32 v68, 0
	ds_load_b64 v[68:69], v68 offset:240
	s_wait_dscnt 0x0
	v_mul_f32_e32 v73, v67, v69
	v_mul_f32_e32 v70, v71, v69
	s_delay_alu instid0(VALU_DEP_2) | instskip(NEXT) | instid1(VALU_DEP_2)
	v_fma_f32 v69, v71, v68, -v73
	v_fmac_f32_e32 v70, v67, v68
	scratch_store_b64 off, v[69:70], off offset:240
.LBB95_135:
	s_wait_alu 0xfffe
	s_or_b32 exec_lo, exec_lo, s0
	s_wait_loadcnt 0x0
	s_wait_storecnt 0x0
	s_barrier_signal -1
	s_barrier_wait -1
	global_inv scope:SCOPE_SE
	scratch_load_b64 v[67:68], off, off offset:248
	s_mov_b32 s0, exec_lo
	s_wait_loadcnt 0x0
	ds_store_b64 v65, v[67:68]
	s_wait_dscnt 0x0
	s_barrier_signal -1
	s_barrier_wait -1
	global_inv scope:SCOPE_SE
	v_cmpx_ne_u32_e32 31, v0
	s_cbranch_execz .LBB95_139
; %bb.136:
	v_dual_mov_b32 v67, 0 :: v_dual_mov_b32 v68, 0
	s_mov_b32 s1, 0
.LBB95_137:                             ; =>This Inner Loop Header: Depth=1
	scratch_load_b64 v[69:70], v72, off
	ds_load_b64 v[73:74], v65
	v_add_nc_u32_e32 v66, 1, v66
	v_add_nc_u32_e32 v65, 8, v65
	;; [unrolled: 1-line block ×3, first 2 shown]
	s_delay_alu instid0(VALU_DEP_3)
	v_cmp_lt_u32_e32 vcc_lo, 29, v66
	s_wait_alu 0xfffe
	s_or_b32 s1, vcc_lo, s1
	s_wait_loadcnt_dscnt 0x0
	v_mul_f32_e32 v71, v74, v70
	v_mul_f32_e32 v70, v73, v70
	s_delay_alu instid0(VALU_DEP_2) | instskip(NEXT) | instid1(VALU_DEP_2)
	v_fma_f32 v71, v73, v69, -v71
	v_fmac_f32_e32 v70, v74, v69
	s_delay_alu instid0(VALU_DEP_1)
	v_dual_add_f32 v68, v68, v71 :: v_dual_add_f32 v67, v67, v70
	s_wait_alu 0xfffe
	s_and_not1_b32 exec_lo, exec_lo, s1
	s_cbranch_execnz .LBB95_137
; %bb.138:
	s_or_b32 exec_lo, exec_lo, s1
	v_mov_b32_e32 v65, 0
	ds_load_b64 v[65:66], v65 offset:248
	s_wait_dscnt 0x0
	v_mul_f32_e32 v70, v67, v66
	v_mul_f32_e32 v69, v68, v66
	s_delay_alu instid0(VALU_DEP_2) | instskip(NEXT) | instid1(VALU_DEP_2)
	v_fma_f32 v68, v68, v65, -v70
	v_fmac_f32_e32 v69, v67, v65
	scratch_store_b64 off, v[68:69], off offset:248
.LBB95_139:
	s_wait_alu 0xfffe
	s_or_b32 exec_lo, exec_lo, s0
	s_mov_b32 s1, -1
	s_wait_loadcnt 0x0
	s_wait_storecnt 0x0
	s_barrier_signal -1
	s_barrier_wait -1
	global_inv scope:SCOPE_SE
.LBB95_140:
	s_wait_alu 0xfffe
	s_and_b32 vcc_lo, exec_lo, s1
	s_wait_alu 0xfffe
	s_cbranch_vccz .LBB95_142
; %bb.141:
	v_mov_b32_e32 v65, 0
	s_lshl_b64 s[0:1], s[8:9], 2
	s_wait_alu 0xfffe
	s_add_nc_u64 s[0:1], s[6:7], s[0:1]
	global_load_b32 v65, v65, s[0:1]
	s_wait_loadcnt 0x0
	v_cmp_ne_u32_e32 vcc_lo, 0, v65
	s_cbranch_vccz .LBB95_143
.LBB95_142:
	s_nop 0
	s_sendmsg sendmsg(MSG_DEALLOC_VGPRS)
	s_endpgm
.LBB95_143:
	v_lshl_add_u32 v67, v0, 3, 0x100
	s_mov_b32 s0, exec_lo
	v_cmpx_eq_u32_e32 31, v0
	s_cbranch_execz .LBB95_145
; %bb.144:
	scratch_load_b64 v[65:66], off, off offset:240
	v_mov_b32_e32 v68, 0
	s_delay_alu instid0(VALU_DEP_1)
	v_mov_b32_e32 v69, v68
	scratch_store_b64 off, v[68:69], off offset:240
	s_wait_loadcnt 0x0
	ds_store_b64 v67, v[65:66]
.LBB95_145:
	s_wait_alu 0xfffe
	s_or_b32 exec_lo, exec_lo, s0
	s_wait_storecnt_dscnt 0x0
	s_barrier_signal -1
	s_barrier_wait -1
	global_inv scope:SCOPE_SE
	s_clause 0x1
	scratch_load_b64 v[68:69], off, off offset:248
	scratch_load_b64 v[70:71], off, off offset:240
	v_mov_b32_e32 v65, 0
	s_mov_b32 s0, exec_lo
	ds_load_b64 v[72:73], v65 offset:504
	s_wait_loadcnt_dscnt 0x100
	v_mul_f32_e32 v66, v73, v69
	s_delay_alu instid0(VALU_DEP_1) | instskip(NEXT) | instid1(VALU_DEP_1)
	v_fma_f32 v66, v72, v68, -v66
	v_dual_mul_f32 v69, v72, v69 :: v_dual_add_f32 v66, 0, v66
	s_wait_loadcnt 0x0
	s_delay_alu instid0(VALU_DEP_1) | instskip(NEXT) | instid1(VALU_DEP_1)
	v_dual_fmac_f32 v69, v73, v68 :: v_dual_sub_f32 v68, v70, v66
	v_add_f32_e32 v69, 0, v69
	s_delay_alu instid0(VALU_DEP_1)
	v_sub_f32_e32 v69, v71, v69
	scratch_store_b64 off, v[68:69], off offset:240
	v_cmpx_lt_u32_e32 29, v0
	s_cbranch_execz .LBB95_147
; %bb.146:
	scratch_load_b64 v[68:69], off, off offset:232
	v_mov_b32_e32 v66, v65
	scratch_store_b64 off, v[65:66], off offset:232
	s_wait_loadcnt 0x0
	ds_store_b64 v67, v[68:69]
.LBB95_147:
	s_wait_alu 0xfffe
	s_or_b32 exec_lo, exec_lo, s0
	s_wait_storecnt_dscnt 0x0
	s_barrier_signal -1
	s_barrier_wait -1
	global_inv scope:SCOPE_SE
	s_clause 0x1
	scratch_load_b128 v[68:71], off, off offset:240
	scratch_load_b64 v[76:77], off, off offset:232
	ds_load_b128 v[72:75], v65 offset:496
	s_mov_b32 s0, exec_lo
	s_wait_loadcnt_dscnt 0x100
	v_mul_f32_e32 v66, v72, v69
	s_delay_alu instid0(VALU_DEP_1) | instskip(SKIP_2) | instid1(VALU_DEP_1)
	v_fmac_f32_e32 v66, v73, v68
	v_mul_f32_e32 v65, v73, v69
	v_mul_f32_e32 v69, v74, v71
	v_fmac_f32_e32 v69, v75, v70
	s_delay_alu instid0(VALU_DEP_4) | instskip(NEXT) | instid1(VALU_DEP_4)
	v_dual_add_f32 v66, 0, v66 :: v_dual_mul_f32 v71, v75, v71
	v_fma_f32 v65, v72, v68, -v65
	s_delay_alu instid0(VALU_DEP_2) | instskip(NEXT) | instid1(VALU_DEP_3)
	v_add_f32_e32 v66, v66, v69
	v_fma_f32 v68, v74, v70, -v71
	s_wait_loadcnt 0x0
	s_delay_alu instid0(VALU_DEP_2) | instskip(NEXT) | instid1(VALU_DEP_1)
	v_dual_add_f32 v65, 0, v65 :: v_dual_sub_f32 v66, v77, v66
	v_add_f32_e32 v65, v65, v68
	s_delay_alu instid0(VALU_DEP_1)
	v_sub_f32_e32 v65, v76, v65
	scratch_store_b64 off, v[65:66], off offset:232
	v_cmpx_lt_u32_e32 28, v0
	s_cbranch_execz .LBB95_149
; %bb.148:
	scratch_load_b64 v[65:66], off, off offset:224
	v_mov_b32_e32 v68, 0
	s_delay_alu instid0(VALU_DEP_1)
	v_mov_b32_e32 v69, v68
	scratch_store_b64 off, v[68:69], off offset:224
	s_wait_loadcnt 0x0
	ds_store_b64 v67, v[65:66]
.LBB95_149:
	s_wait_alu 0xfffe
	s_or_b32 exec_lo, exec_lo, s0
	s_wait_storecnt_dscnt 0x0
	s_barrier_signal -1
	s_barrier_wait -1
	global_inv scope:SCOPE_SE
	s_clause 0x2
	scratch_load_b128 v[68:71], off, off offset:232
	scratch_load_b64 v[76:77], off, off offset:248
	scratch_load_b64 v[78:79], off, off offset:224
	v_mov_b32_e32 v65, 0
	ds_load_2addr_b64 v[72:75], v65 offset0:61 offset1:62
	ds_load_b64 v[80:81], v65 offset:504
	s_mov_b32 s0, exec_lo
	s_wait_loadcnt_dscnt 0x201
	v_mul_f32_e32 v66, v73, v69
	v_dual_mul_f32 v69, v72, v69 :: v_dual_mul_f32 v82, v74, v71
	v_mul_f32_e32 v71, v75, v71
	s_wait_loadcnt_dscnt 0x100
	v_mul_f32_e32 v83, v80, v77
	v_fma_f32 v66, v72, v68, -v66
	v_fmac_f32_e32 v69, v73, v68
	v_mul_f32_e32 v68, v81, v77
	v_fmac_f32_e32 v82, v75, v70
	v_fma_f32 v70, v74, v70, -v71
	s_delay_alu instid0(VALU_DEP_4) | instskip(NEXT) | instid1(VALU_DEP_4)
	v_dual_add_f32 v66, 0, v66 :: v_dual_add_f32 v69, 0, v69
	v_fma_f32 v68, v80, v76, -v68
	s_delay_alu instid0(VALU_DEP_2) | instskip(NEXT) | instid1(VALU_DEP_1)
	v_add_f32_e32 v66, v66, v70
	v_dual_add_f32 v69, v69, v82 :: v_dual_add_f32 v66, v66, v68
	s_wait_loadcnt 0x0
	s_delay_alu instid0(VALU_DEP_1) | instskip(NEXT) | instid1(VALU_DEP_1)
	v_dual_fmac_f32 v83, v81, v76 :: v_dual_sub_f32 v68, v78, v66
	v_add_f32_e32 v69, v69, v83
	s_delay_alu instid0(VALU_DEP_1)
	v_sub_f32_e32 v69, v79, v69
	scratch_store_b64 off, v[68:69], off offset:224
	v_cmpx_lt_u32_e32 27, v0
	s_cbranch_execz .LBB95_151
; %bb.150:
	scratch_load_b64 v[68:69], off, off offset:216
	v_mov_b32_e32 v66, v65
	scratch_store_b64 off, v[65:66], off offset:216
	s_wait_loadcnt 0x0
	ds_store_b64 v67, v[68:69]
.LBB95_151:
	s_wait_alu 0xfffe
	s_or_b32 exec_lo, exec_lo, s0
	s_wait_storecnt_dscnt 0x0
	s_barrier_signal -1
	s_barrier_wait -1
	global_inv scope:SCOPE_SE
	s_clause 0x2
	scratch_load_b128 v[68:71], off, off offset:224
	scratch_load_b128 v[72:75], off, off offset:240
	scratch_load_b64 v[84:85], off, off offset:216
	ds_load_b128 v[76:79], v65 offset:480
	ds_load_b128 v[80:83], v65 offset:496
	s_mov_b32 s0, exec_lo
	s_wait_loadcnt_dscnt 0x201
	v_mul_f32_e32 v66, v77, v69
	s_wait_loadcnt_dscnt 0x100
	v_dual_mul_f32 v86, v80, v73 :: v_dual_mul_f32 v87, v82, v75
	s_delay_alu instid0(VALU_DEP_2) | instskip(SKIP_2) | instid1(VALU_DEP_4)
	v_fma_f32 v66, v76, v68, -v66
	v_mul_f32_e32 v65, v76, v69
	v_mul_f32_e32 v69, v78, v71
	v_dual_mul_f32 v71, v79, v71 :: v_dual_fmac_f32 v86, v81, v72
	s_delay_alu instid0(VALU_DEP_3) | instskip(NEXT) | instid1(VALU_DEP_3)
	v_dual_add_f32 v66, 0, v66 :: v_dual_fmac_f32 v65, v77, v68
	v_dual_mul_f32 v68, v81, v73 :: v_dual_fmac_f32 v69, v79, v70
	s_delay_alu instid0(VALU_DEP_3) | instskip(SKIP_1) | instid1(VALU_DEP_3)
	v_fma_f32 v70, v78, v70, -v71
	v_fmac_f32_e32 v87, v83, v74
	v_fma_f32 v68, v80, v72, -v68
	s_delay_alu instid0(VALU_DEP_3) | instskip(NEXT) | instid1(VALU_DEP_1)
	v_dual_add_f32 v66, v66, v70 :: v_dual_add_f32 v65, 0, v65
	v_dual_add_f32 v66, v66, v68 :: v_dual_mul_f32 v71, v83, v75
	s_delay_alu instid0(VALU_DEP_2) | instskip(NEXT) | instid1(VALU_DEP_2)
	v_add_f32_e32 v65, v65, v69
	v_fma_f32 v69, v82, v74, -v71
	s_delay_alu instid0(VALU_DEP_1) | instskip(SKIP_1) | instid1(VALU_DEP_1)
	v_dual_add_f32 v65, v65, v86 :: v_dual_add_f32 v66, v66, v69
	s_wait_loadcnt 0x0
	v_dual_add_f32 v68, v65, v87 :: v_dual_sub_f32 v65, v84, v66
	s_delay_alu instid0(VALU_DEP_1)
	v_sub_f32_e32 v66, v85, v68
	scratch_store_b64 off, v[65:66], off offset:216
	v_cmpx_lt_u32_e32 26, v0
	s_cbranch_execz .LBB95_153
; %bb.152:
	scratch_load_b64 v[65:66], off, off offset:208
	v_mov_b32_e32 v68, 0
	s_delay_alu instid0(VALU_DEP_1)
	v_mov_b32_e32 v69, v68
	scratch_store_b64 off, v[68:69], off offset:208
	s_wait_loadcnt 0x0
	ds_store_b64 v67, v[65:66]
.LBB95_153:
	s_wait_alu 0xfffe
	s_or_b32 exec_lo, exec_lo, s0
	s_wait_storecnt_dscnt 0x0
	s_barrier_signal -1
	s_barrier_wait -1
	global_inv scope:SCOPE_SE
	s_clause 0x3
	scratch_load_b128 v[68:71], off, off offset:216
	scratch_load_b128 v[72:75], off, off offset:232
	scratch_load_b64 v[84:85], off, off offset:248
	scratch_load_b64 v[86:87], off, off offset:208
	v_mov_b32_e32 v65, 0
	ds_load_2addr_b64 v[76:79], v65 offset0:59 offset1:60
	ds_load_2addr_b64 v[80:83], v65 offset0:61 offset1:62
	ds_load_b64 v[88:89], v65 offset:504
	s_mov_b32 s0, exec_lo
	s_wait_loadcnt_dscnt 0x302
	v_mul_f32_e32 v66, v76, v69
	v_dual_mul_f32 v90, v78, v71 :: v_dual_mul_f32 v69, v77, v69
	s_wait_loadcnt_dscnt 0x100
	v_mul_f32_e32 v93, v88, v85
	v_dual_mul_f32 v91, v80, v73 :: v_dual_mul_f32 v92, v82, v75
	v_dual_fmac_f32 v66, v77, v68 :: v_dual_mul_f32 v71, v79, v71
	v_fma_f32 v69, v76, v68, -v69
	v_fmac_f32_e32 v90, v79, v70
	v_mul_f32_e32 v68, v81, v73
	s_delay_alu instid0(VALU_DEP_4) | instskip(SKIP_3) | instid1(VALU_DEP_4)
	v_add_f32_e32 v66, 0, v66
	v_fma_f32 v70, v78, v70, -v71
	v_add_f32_e32 v69, 0, v69
	v_mul_f32_e32 v71, v83, v75
	v_dual_fmac_f32 v91, v81, v72 :: v_dual_add_f32 v66, v66, v90
	v_dual_fmac_f32 v92, v83, v74 :: v_dual_fmac_f32 v93, v89, v84
	s_delay_alu instid0(VALU_DEP_4) | instskip(SKIP_1) | instid1(VALU_DEP_4)
	v_add_f32_e32 v69, v69, v70
	v_fma_f32 v68, v80, v72, -v68
	v_add_f32_e32 v66, v66, v91
	v_fma_f32 v71, v82, v74, -v71
	s_delay_alu instid0(VALU_DEP_3) | instskip(NEXT) | instid1(VALU_DEP_3)
	v_add_f32_e32 v68, v69, v68
	v_add_f32_e32 v66, v66, v92
	s_delay_alu instid0(VALU_DEP_2) | instskip(NEXT) | instid1(VALU_DEP_2)
	v_add_f32_e32 v68, v68, v71
	v_add_f32_e32 v66, v66, v93
	v_mul_f32_e32 v70, v89, v85
	s_delay_alu instid0(VALU_DEP_1) | instskip(SKIP_1) | instid1(VALU_DEP_1)
	v_fma_f32 v69, v88, v84, -v70
	s_wait_loadcnt 0x0
	v_dual_add_f32 v68, v68, v69 :: v_dual_sub_f32 v69, v87, v66
	s_delay_alu instid0(VALU_DEP_1)
	v_sub_f32_e32 v68, v86, v68
	scratch_store_b64 off, v[68:69], off offset:208
	v_cmpx_lt_u32_e32 25, v0
	s_cbranch_execz .LBB95_155
; %bb.154:
	scratch_load_b64 v[68:69], off, off offset:200
	v_mov_b32_e32 v66, v65
	scratch_store_b64 off, v[65:66], off offset:200
	s_wait_loadcnt 0x0
	ds_store_b64 v67, v[68:69]
.LBB95_155:
	s_wait_alu 0xfffe
	s_or_b32 exec_lo, exec_lo, s0
	s_wait_storecnt_dscnt 0x0
	s_barrier_signal -1
	s_barrier_wait -1
	global_inv scope:SCOPE_SE
	s_clause 0x3
	scratch_load_b128 v[68:71], off, off offset:208
	scratch_load_b128 v[72:75], off, off offset:224
	;; [unrolled: 1-line block ×3, first 2 shown]
	scratch_load_b64 v[92:93], off, off offset:200
	ds_load_b128 v[80:83], v65 offset:464
	ds_load_b128 v[84:87], v65 offset:480
	;; [unrolled: 1-line block ×3, first 2 shown]
	s_mov_b32 s0, exec_lo
	s_wait_loadcnt_dscnt 0x302
	v_dual_mul_f32 v65, v80, v69 :: v_dual_mul_f32 v66, v82, v71
	v_mul_f32_e32 v69, v81, v69
	s_wait_loadcnt_dscnt 0x201
	v_dual_mul_f32 v71, v83, v71 :: v_dual_mul_f32 v94, v84, v73
	s_delay_alu instid0(VALU_DEP_3) | instskip(NEXT) | instid1(VALU_DEP_3)
	v_dual_mul_f32 v95, v86, v75 :: v_dual_fmac_f32 v66, v83, v70
	v_fma_f32 v69, v80, v68, -v69
	v_fmac_f32_e32 v65, v81, v68
	v_mul_f32_e32 v68, v85, v73
	v_fma_f32 v70, v82, v70, -v71
	v_mul_f32_e32 v71, v87, v75
	v_dual_add_f32 v69, 0, v69 :: v_dual_fmac_f32 v94, v85, v72
	s_delay_alu instid0(VALU_DEP_4) | instskip(SKIP_2) | instid1(VALU_DEP_3)
	v_fma_f32 v68, v84, v72, -v68
	s_wait_loadcnt_dscnt 0x100
	v_dual_mul_f32 v96, v88, v77 :: v_dual_mul_f32 v97, v90, v79
	v_add_f32_e32 v69, v69, v70
	v_fmac_f32_e32 v95, v87, v74
	v_fma_f32 v70, v86, v74, -v71
	s_delay_alu instid0(VALU_DEP_4) | instskip(NEXT) | instid1(VALU_DEP_4)
	v_dual_fmac_f32 v96, v89, v76 :: v_dual_fmac_f32 v97, v91, v78
	v_add_f32_e32 v68, v69, v68
	s_delay_alu instid0(VALU_DEP_1) | instskip(SKIP_1) | instid1(VALU_DEP_1)
	v_dual_add_f32 v68, v68, v70 :: v_dual_add_f32 v65, 0, v65
	v_mul_f32_e32 v69, v91, v79
	v_fma_f32 v69, v90, v78, -v69
	s_delay_alu instid0(VALU_DEP_3) | instskip(SKIP_1) | instid1(VALU_DEP_1)
	v_add_f32_e32 v65, v65, v66
	v_mul_f32_e32 v66, v89, v77
	v_fma_f32 v66, v88, v76, -v66
	s_delay_alu instid0(VALU_DEP_1) | instskip(NEXT) | instid1(VALU_DEP_1)
	v_add_f32_e32 v66, v68, v66
	v_dual_add_f32 v66, v66, v69 :: v_dual_add_f32 v65, v65, v94
	s_delay_alu instid0(VALU_DEP_1) | instskip(NEXT) | instid1(VALU_DEP_1)
	v_add_f32_e32 v65, v65, v95
	v_add_f32_e32 v65, v65, v96
	s_wait_loadcnt 0x0
	s_delay_alu instid0(VALU_DEP_1) | instskip(NEXT) | instid1(VALU_DEP_1)
	v_dual_add_f32 v68, v65, v97 :: v_dual_sub_f32 v65, v92, v66
	v_sub_f32_e32 v66, v93, v68
	scratch_store_b64 off, v[65:66], off offset:200
	v_cmpx_lt_u32_e32 24, v0
	s_cbranch_execz .LBB95_157
; %bb.156:
	scratch_load_b64 v[65:66], off, off offset:192
	v_mov_b32_e32 v68, 0
	s_delay_alu instid0(VALU_DEP_1)
	v_mov_b32_e32 v69, v68
	scratch_store_b64 off, v[68:69], off offset:192
	s_wait_loadcnt 0x0
	ds_store_b64 v67, v[65:66]
.LBB95_157:
	s_wait_alu 0xfffe
	s_or_b32 exec_lo, exec_lo, s0
	s_wait_storecnt_dscnt 0x0
	s_barrier_signal -1
	s_barrier_wait -1
	global_inv scope:SCOPE_SE
	s_clause 0x4
	scratch_load_b128 v[68:71], off, off offset:200
	scratch_load_b128 v[72:75], off, off offset:216
	;; [unrolled: 1-line block ×3, first 2 shown]
	scratch_load_b64 v[92:93], off, off offset:248
	scratch_load_b64 v[94:95], off, off offset:192
	v_mov_b32_e32 v65, 0
	ds_load_2addr_b64 v[80:83], v65 offset0:57 offset1:58
	ds_load_2addr_b64 v[84:87], v65 offset0:59 offset1:60
	;; [unrolled: 1-line block ×3, first 2 shown]
	ds_load_b64 v[96:97], v65 offset:504
	s_mov_b32 s0, exec_lo
	s_wait_loadcnt_dscnt 0x403
	v_mul_f32_e32 v66, v80, v69
	s_wait_loadcnt_dscnt 0x302
	v_dual_mul_f32 v98, v82, v71 :: v_dual_mul_f32 v99, v84, v73
	v_dual_mul_f32 v100, v86, v75 :: v_dual_mul_f32 v69, v81, v69
	s_wait_loadcnt_dscnt 0x100
	v_dual_mul_f32 v103, v96, v93 :: v_dual_fmac_f32 v66, v81, v68
	v_mul_f32_e32 v71, v83, v71
	v_dual_mul_f32 v101, v88, v77 :: v_dual_mul_f32 v102, v90, v79
	v_fma_f32 v69, v80, v68, -v69
	v_fmac_f32_e32 v98, v83, v70
	v_add_f32_e32 v66, 0, v66
	v_mul_f32_e32 v68, v85, v73
	v_fma_f32 v70, v82, v70, -v71
	v_add_f32_e32 v69, 0, v69
	v_mul_f32_e32 v71, v87, v75
	v_dual_fmac_f32 v99, v85, v72 :: v_dual_add_f32 v66, v66, v98
	v_dual_fmac_f32 v100, v87, v74 :: v_dual_fmac_f32 v101, v89, v76
	s_delay_alu instid0(VALU_DEP_4) | instskip(SKIP_1) | instid1(VALU_DEP_4)
	v_add_f32_e32 v69, v69, v70
	v_dual_fmac_f32 v102, v91, v78 :: v_dual_fmac_f32 v103, v97, v92
	v_add_f32_e32 v66, v66, v99
	v_fma_f32 v68, v84, v72, -v68
	v_mul_f32_e32 v70, v89, v77
	v_fma_f32 v71, v86, v74, -v71
	s_delay_alu instid0(VALU_DEP_4) | instskip(NEXT) | instid1(VALU_DEP_1)
	v_add_f32_e32 v66, v66, v100
	v_add_f32_e32 v66, v66, v101
	s_delay_alu instid0(VALU_DEP_1) | instskip(NEXT) | instid1(VALU_DEP_1)
	v_add_f32_e32 v66, v66, v102
	v_add_f32_e32 v66, v66, v103
	v_dual_add_f32 v68, v69, v68 :: v_dual_mul_f32 v69, v91, v79
	v_fma_f32 v70, v88, v76, -v70
	s_delay_alu instid0(VALU_DEP_2) | instskip(NEXT) | instid1(VALU_DEP_3)
	v_dual_add_f32 v68, v68, v71 :: v_dual_mul_f32 v71, v97, v93
	v_fma_f32 v69, v90, v78, -v69
	s_delay_alu instid0(VALU_DEP_2) | instskip(NEXT) | instid1(VALU_DEP_3)
	v_add_f32_e32 v68, v68, v70
	v_fma_f32 v70, v96, v92, -v71
	s_wait_loadcnt 0x0
	s_delay_alu instid0(VALU_DEP_2) | instskip(NEXT) | instid1(VALU_DEP_1)
	v_dual_add_f32 v68, v68, v69 :: v_dual_sub_f32 v69, v95, v66
	v_add_f32_e32 v68, v68, v70
	s_delay_alu instid0(VALU_DEP_1)
	v_sub_f32_e32 v68, v94, v68
	scratch_store_b64 off, v[68:69], off offset:192
	v_cmpx_lt_u32_e32 23, v0
	s_cbranch_execz .LBB95_159
; %bb.158:
	scratch_load_b64 v[68:69], off, off offset:184
	v_mov_b32_e32 v66, v65
	scratch_store_b64 off, v[65:66], off offset:184
	s_wait_loadcnt 0x0
	ds_store_b64 v67, v[68:69]
.LBB95_159:
	s_wait_alu 0xfffe
	s_or_b32 exec_lo, exec_lo, s0
	s_wait_storecnt_dscnt 0x0
	s_barrier_signal -1
	s_barrier_wait -1
	global_inv scope:SCOPE_SE
	s_clause 0x4
	scratch_load_b128 v[68:71], off, off offset:192
	scratch_load_b128 v[72:75], off, off offset:208
	;; [unrolled: 1-line block ×4, first 2 shown]
	scratch_load_b64 v[100:101], off, off offset:184
	ds_load_b128 v[84:87], v65 offset:448
	ds_load_b128 v[88:91], v65 offset:464
	;; [unrolled: 1-line block ×4, first 2 shown]
	s_mov_b32 s0, exec_lo
	s_wait_loadcnt_dscnt 0x403
	v_dual_mul_f32 v65, v84, v69 :: v_dual_mul_f32 v66, v86, v71
	v_mul_f32_e32 v69, v85, v69
	s_wait_loadcnt_dscnt 0x302
	v_dual_mul_f32 v71, v87, v71 :: v_dual_mul_f32 v102, v88, v73
	s_delay_alu instid0(VALU_DEP_3) | instskip(NEXT) | instid1(VALU_DEP_3)
	v_dual_mul_f32 v103, v90, v75 :: v_dual_fmac_f32 v66, v87, v70
	v_fma_f32 v69, v84, v68, -v69
	v_fmac_f32_e32 v65, v85, v68
	v_mul_f32_e32 v68, v89, v73
	v_fma_f32 v70, v86, v70, -v71
	v_mul_f32_e32 v71, v91, v75
	v_dual_add_f32 v69, 0, v69 :: v_dual_fmac_f32 v102, v89, v72
	s_delay_alu instid0(VALU_DEP_4) | instskip(SKIP_2) | instid1(VALU_DEP_3)
	v_fma_f32 v68, v88, v72, -v68
	s_wait_loadcnt_dscnt 0x201
	v_dual_mul_f32 v104, v92, v77 :: v_dual_mul_f32 v105, v94, v79
	v_add_f32_e32 v69, v69, v70
	v_fmac_f32_e32 v103, v91, v74
	v_fma_f32 v70, v90, v74, -v71
	s_wait_loadcnt_dscnt 0x100
	v_dual_mul_f32 v106, v96, v81 :: v_dual_mul_f32 v107, v98, v83
	v_dual_add_f32 v68, v69, v68 :: v_dual_mul_f32 v69, v95, v79
	v_dual_fmac_f32 v104, v93, v76 :: v_dual_fmac_f32 v105, v95, v78
	s_delay_alu instid0(VALU_DEP_3) | instskip(NEXT) | instid1(VALU_DEP_3)
	v_fmac_f32_e32 v106, v97, v80
	v_dual_add_f32 v68, v68, v70 :: v_dual_add_f32 v65, 0, v65
	v_mul_f32_e32 v70, v97, v81
	v_fma_f32 v69, v94, v78, -v69
	v_fmac_f32_e32 v107, v99, v82
	s_delay_alu instid0(VALU_DEP_4) | instskip(SKIP_2) | instid1(VALU_DEP_2)
	v_add_f32_e32 v65, v65, v66
	v_mul_f32_e32 v66, v93, v77
	v_fma_f32 v70, v96, v80, -v70
	v_fma_f32 v66, v92, v76, -v66
	s_delay_alu instid0(VALU_DEP_1) | instskip(SKIP_1) | instid1(VALU_DEP_2)
	v_add_f32_e32 v66, v68, v66
	v_mul_f32_e32 v68, v99, v83
	v_add_f32_e32 v66, v66, v69
	s_delay_alu instid0(VALU_DEP_2) | instskip(NEXT) | instid1(VALU_DEP_2)
	v_fma_f32 v68, v98, v82, -v68
	v_add_f32_e32 v66, v66, v70
	s_delay_alu instid0(VALU_DEP_1) | instskip(NEXT) | instid1(VALU_DEP_1)
	v_dual_add_f32 v65, v65, v102 :: v_dual_add_f32 v66, v66, v68
	v_add_f32_e32 v65, v65, v103
	s_delay_alu instid0(VALU_DEP_1) | instskip(NEXT) | instid1(VALU_DEP_1)
	v_add_f32_e32 v65, v65, v104
	v_add_f32_e32 v65, v65, v105
	s_delay_alu instid0(VALU_DEP_1) | instskip(SKIP_1) | instid1(VALU_DEP_1)
	v_add_f32_e32 v65, v65, v106
	s_wait_loadcnt 0x0
	v_dual_add_f32 v68, v65, v107 :: v_dual_sub_f32 v65, v100, v66
	s_delay_alu instid0(VALU_DEP_1)
	v_sub_f32_e32 v66, v101, v68
	scratch_store_b64 off, v[65:66], off offset:184
	v_cmpx_lt_u32_e32 22, v0
	s_cbranch_execz .LBB95_161
; %bb.160:
	scratch_load_b64 v[65:66], off, off offset:176
	v_mov_b32_e32 v68, 0
	s_delay_alu instid0(VALU_DEP_1)
	v_mov_b32_e32 v69, v68
	scratch_store_b64 off, v[68:69], off offset:176
	s_wait_loadcnt 0x0
	ds_store_b64 v67, v[65:66]
.LBB95_161:
	s_wait_alu 0xfffe
	s_or_b32 exec_lo, exec_lo, s0
	s_wait_storecnt_dscnt 0x0
	s_barrier_signal -1
	s_barrier_wait -1
	global_inv scope:SCOPE_SE
	s_clause 0x5
	scratch_load_b128 v[68:71], off, off offset:184
	scratch_load_b128 v[72:75], off, off offset:200
	;; [unrolled: 1-line block ×4, first 2 shown]
	scratch_load_b64 v[100:101], off, off offset:248
	scratch_load_b64 v[102:103], off, off offset:176
	v_mov_b32_e32 v65, 0
	ds_load_2addr_b64 v[84:87], v65 offset0:55 offset1:56
	ds_load_2addr_b64 v[88:91], v65 offset0:57 offset1:58
	;; [unrolled: 1-line block ×4, first 2 shown]
	ds_load_b64 v[104:105], v65 offset:504
	s_mov_b32 s0, exec_lo
	s_wait_loadcnt_dscnt 0x504
	v_mul_f32_e32 v66, v84, v69
	s_wait_loadcnt_dscnt 0x403
	v_dual_mul_f32 v106, v86, v71 :: v_dual_mul_f32 v107, v88, v73
	s_wait_loadcnt_dscnt 0x302
	v_dual_mul_f32 v110, v94, v79 :: v_dual_mul_f32 v69, v85, v69
	s_wait_loadcnt_dscnt 0x100
	v_dual_mul_f32 v113, v104, v101 :: v_dual_fmac_f32 v66, v85, v68
	v_mul_f32_e32 v71, v87, v71
	v_dual_mul_f32 v108, v90, v75 :: v_dual_mul_f32 v109, v92, v77
	v_fma_f32 v69, v84, v68, -v69
	v_fmac_f32_e32 v106, v87, v70
	v_add_f32_e32 v66, 0, v66
	v_mul_f32_e32 v68, v89, v73
	v_fma_f32 v70, v86, v70, -v71
	v_add_f32_e32 v69, 0, v69
	v_mul_f32_e32 v71, v91, v75
	v_dual_fmac_f32 v107, v89, v72 :: v_dual_add_f32 v66, v66, v106
	v_dual_fmac_f32 v108, v91, v74 :: v_dual_fmac_f32 v109, v93, v76
	s_delay_alu instid0(VALU_DEP_4) | instskip(SKIP_1) | instid1(VALU_DEP_4)
	v_add_f32_e32 v69, v69, v70
	v_dual_mul_f32 v111, v96, v81 :: v_dual_mul_f32 v112, v98, v83
	v_add_f32_e32 v66, v66, v107
	v_dual_fmac_f32 v110, v95, v78 :: v_dual_fmac_f32 v113, v105, v100
	s_delay_alu instid0(VALU_DEP_3) | instskip(NEXT) | instid1(VALU_DEP_3)
	v_dual_fmac_f32 v111, v97, v80 :: v_dual_fmac_f32 v112, v99, v82
	v_add_f32_e32 v66, v66, v108
	v_fma_f32 v68, v88, v72, -v68
	v_mul_f32_e32 v70, v93, v77
	v_fma_f32 v71, v90, v74, -v71
	s_delay_alu instid0(VALU_DEP_4) | instskip(NEXT) | instid1(VALU_DEP_1)
	v_add_f32_e32 v66, v66, v109
	v_add_f32_e32 v66, v66, v110
	s_delay_alu instid0(VALU_DEP_1) | instskip(NEXT) | instid1(VALU_DEP_1)
	v_add_f32_e32 v66, v66, v111
	v_add_f32_e32 v66, v66, v112
	s_delay_alu instid0(VALU_DEP_1) | instskip(SKIP_2) | instid1(VALU_DEP_2)
	v_add_f32_e32 v66, v66, v113
	v_dual_add_f32 v68, v69, v68 :: v_dual_mul_f32 v69, v95, v79
	v_fma_f32 v70, v92, v76, -v70
	v_dual_add_f32 v68, v68, v71 :: v_dual_mul_f32 v71, v97, v81
	s_delay_alu instid0(VALU_DEP_3) | instskip(NEXT) | instid1(VALU_DEP_2)
	v_fma_f32 v69, v94, v78, -v69
	v_add_f32_e32 v68, v68, v70
	v_mul_f32_e32 v70, v99, v83
	s_delay_alu instid0(VALU_DEP_4) | instskip(NEXT) | instid1(VALU_DEP_3)
	v_fma_f32 v71, v96, v80, -v71
	v_add_f32_e32 v68, v68, v69
	v_mul_f32_e32 v69, v105, v101
	s_delay_alu instid0(VALU_DEP_4) | instskip(NEXT) | instid1(VALU_DEP_3)
	v_fma_f32 v70, v98, v82, -v70
	v_add_f32_e32 v68, v68, v71
	s_delay_alu instid0(VALU_DEP_3) | instskip(NEXT) | instid1(VALU_DEP_2)
	v_fma_f32 v69, v104, v100, -v69
	v_add_f32_e32 v68, v68, v70
	s_wait_loadcnt 0x0
	s_delay_alu instid0(VALU_DEP_1) | instskip(NEXT) | instid1(VALU_DEP_1)
	v_dual_add_f32 v68, v68, v69 :: v_dual_sub_f32 v69, v103, v66
	v_sub_f32_e32 v68, v102, v68
	scratch_store_b64 off, v[68:69], off offset:176
	v_cmpx_lt_u32_e32 21, v0
	s_cbranch_execz .LBB95_163
; %bb.162:
	scratch_load_b64 v[68:69], off, off offset:168
	v_mov_b32_e32 v66, v65
	scratch_store_b64 off, v[65:66], off offset:168
	s_wait_loadcnt 0x0
	ds_store_b64 v67, v[68:69]
.LBB95_163:
	s_wait_alu 0xfffe
	s_or_b32 exec_lo, exec_lo, s0
	s_wait_storecnt_dscnt 0x0
	s_barrier_signal -1
	s_barrier_wait -1
	global_inv scope:SCOPE_SE
	s_clause 0x5
	scratch_load_b128 v[68:71], off, off offset:176
	scratch_load_b128 v[72:75], off, off offset:192
	;; [unrolled: 1-line block ×5, first 2 shown]
	scratch_load_b64 v[108:109], off, off offset:168
	ds_load_b128 v[88:91], v65 offset:432
	ds_load_b128 v[92:95], v65 offset:448
	;; [unrolled: 1-line block ×5, first 2 shown]
	s_mov_b32 s0, exec_lo
	s_wait_loadcnt_dscnt 0x504
	v_dual_mul_f32 v65, v88, v69 :: v_dual_mul_f32 v66, v90, v71
	v_mul_f32_e32 v69, v89, v69
	s_wait_loadcnt_dscnt 0x403
	v_dual_mul_f32 v71, v91, v71 :: v_dual_mul_f32 v110, v92, v73
	s_delay_alu instid0(VALU_DEP_3) | instskip(NEXT) | instid1(VALU_DEP_3)
	v_dual_mul_f32 v111, v94, v75 :: v_dual_fmac_f32 v66, v91, v70
	v_fma_f32 v69, v88, v68, -v69
	v_fmac_f32_e32 v65, v89, v68
	v_mul_f32_e32 v68, v93, v73
	v_fma_f32 v70, v90, v70, -v71
	v_mul_f32_e32 v71, v95, v75
	v_dual_add_f32 v69, 0, v69 :: v_dual_fmac_f32 v110, v93, v72
	s_delay_alu instid0(VALU_DEP_4) | instskip(SKIP_2) | instid1(VALU_DEP_3)
	v_fma_f32 v68, v92, v72, -v68
	s_wait_loadcnt_dscnt 0x302
	v_dual_mul_f32 v112, v96, v77 :: v_dual_mul_f32 v113, v98, v79
	v_add_f32_e32 v69, v69, v70
	v_fmac_f32_e32 v111, v95, v74
	v_fma_f32 v70, v94, v74, -v71
	s_wait_loadcnt_dscnt 0x201
	v_dual_mul_f32 v114, v100, v81 :: v_dual_mul_f32 v115, v102, v83
	v_dual_add_f32 v68, v69, v68 :: v_dual_mul_f32 v69, v99, v79
	v_fmac_f32_e32 v112, v97, v76
	s_wait_loadcnt_dscnt 0x100
	v_dual_mul_f32 v116, v104, v85 :: v_dual_mul_f32 v117, v106, v87
	s_delay_alu instid0(VALU_DEP_3) | instskip(SKIP_3) | instid1(VALU_DEP_4)
	v_dual_add_f32 v68, v68, v70 :: v_dual_add_f32 v65, 0, v65
	v_mul_f32_e32 v70, v101, v81
	v_fma_f32 v69, v98, v78, -v69
	v_dual_fmac_f32 v113, v99, v78 :: v_dual_fmac_f32 v114, v101, v80
	v_add_f32_e32 v65, v65, v66
	v_mul_f32_e32 v66, v97, v77
	v_fma_f32 v70, v100, v80, -v70
	v_dual_fmac_f32 v115, v103, v82 :: v_dual_fmac_f32 v116, v105, v84
	s_delay_alu instid0(VALU_DEP_3) | instskip(NEXT) | instid1(VALU_DEP_1)
	v_fma_f32 v66, v96, v76, -v66
	v_add_f32_e32 v66, v68, v66
	v_mul_f32_e32 v68, v103, v83
	s_delay_alu instid0(VALU_DEP_2) | instskip(SKIP_1) | instid1(VALU_DEP_3)
	v_dual_add_f32 v66, v66, v69 :: v_dual_add_f32 v65, v65, v110
	v_mul_f32_e32 v69, v105, v85
	v_fma_f32 v68, v102, v82, -v68
	s_delay_alu instid0(VALU_DEP_3) | instskip(SKIP_3) | instid1(VALU_DEP_4)
	v_add_f32_e32 v66, v66, v70
	v_mul_f32_e32 v70, v107, v87
	v_add_f32_e32 v65, v65, v111
	v_fma_f32 v69, v104, v84, -v69
	v_dual_add_f32 v66, v66, v68 :: v_dual_fmac_f32 v117, v107, v86
	s_delay_alu instid0(VALU_DEP_3) | instskip(SKIP_1) | instid1(VALU_DEP_3)
	v_add_f32_e32 v65, v65, v112
	v_fma_f32 v68, v106, v86, -v70
	v_add_f32_e32 v66, v66, v69
	s_delay_alu instid0(VALU_DEP_1) | instskip(NEXT) | instid1(VALU_DEP_1)
	v_dual_add_f32 v65, v65, v113 :: v_dual_add_f32 v66, v66, v68
	v_add_f32_e32 v65, v65, v114
	s_delay_alu instid0(VALU_DEP_1) | instskip(NEXT) | instid1(VALU_DEP_1)
	v_add_f32_e32 v65, v65, v115
	v_add_f32_e32 v65, v65, v116
	s_wait_loadcnt 0x0
	s_delay_alu instid0(VALU_DEP_1) | instskip(NEXT) | instid1(VALU_DEP_1)
	v_dual_add_f32 v68, v65, v117 :: v_dual_sub_f32 v65, v108, v66
	v_sub_f32_e32 v66, v109, v68
	scratch_store_b64 off, v[65:66], off offset:168
	v_cmpx_lt_u32_e32 20, v0
	s_cbranch_execz .LBB95_165
; %bb.164:
	scratch_load_b64 v[65:66], off, off offset:160
	v_mov_b32_e32 v68, 0
	s_delay_alu instid0(VALU_DEP_1)
	v_mov_b32_e32 v69, v68
	scratch_store_b64 off, v[68:69], off offset:160
	s_wait_loadcnt 0x0
	ds_store_b64 v67, v[65:66]
.LBB95_165:
	s_wait_alu 0xfffe
	s_or_b32 exec_lo, exec_lo, s0
	s_wait_storecnt_dscnt 0x0
	s_barrier_signal -1
	s_barrier_wait -1
	global_inv scope:SCOPE_SE
	s_clause 0x6
	scratch_load_b128 v[68:71], off, off offset:168
	scratch_load_b128 v[72:75], off, off offset:184
	scratch_load_b128 v[76:79], off, off offset:200
	scratch_load_b128 v[80:83], off, off offset:216
	scratch_load_b128 v[84:87], off, off offset:232
	scratch_load_b64 v[108:109], off, off offset:248
	scratch_load_b64 v[110:111], off, off offset:160
	v_mov_b32_e32 v65, 0
	ds_load_2addr_b64 v[88:91], v65 offset0:53 offset1:54
	ds_load_2addr_b64 v[92:95], v65 offset0:55 offset1:56
	;; [unrolled: 1-line block ×5, first 2 shown]
	ds_load_b64 v[112:113], v65 offset:504
	s_mov_b32 s0, exec_lo
	s_wait_loadcnt_dscnt 0x605
	v_mul_f32_e32 v66, v88, v69
	v_dual_mul_f32 v69, v89, v69 :: v_dual_mul_f32 v114, v90, v71
	s_wait_loadcnt_dscnt 0x302
	v_dual_mul_f32 v115, v92, v73 :: v_dual_mul_f32 v120, v102, v83
	s_wait_loadcnt_dscnt 0x100
	v_dual_mul_f32 v123, v112, v109 :: v_dual_fmac_f32 v66, v89, v68
	v_mul_f32_e32 v71, v91, v71
	v_fma_f32 v69, v88, v68, -v69
	v_mul_f32_e32 v68, v93, v73
	v_fmac_f32_e32 v114, v91, v70
	v_add_f32_e32 v66, 0, v66
	v_fma_f32 v70, v90, v70, -v71
	v_add_f32_e32 v69, 0, v69
	v_mul_f32_e32 v71, v95, v75
	s_delay_alu instid0(VALU_DEP_4) | instskip(SKIP_1) | instid1(VALU_DEP_4)
	v_dual_fmac_f32 v115, v93, v72 :: v_dual_add_f32 v66, v66, v114
	v_fma_f32 v68, v92, v72, -v68
	v_dual_add_f32 v69, v69, v70 :: v_dual_mul_f32 v116, v94, v75
	v_mul_f32_e32 v117, v96, v77
	v_mul_f32_e32 v70, v97, v77
	v_fma_f32 v71, v94, v74, -v71
	v_add_f32_e32 v66, v66, v115
	v_add_f32_e32 v68, v69, v68
	v_dual_fmac_f32 v116, v95, v74 :: v_dual_fmac_f32 v117, v97, v76
	v_mul_f32_e32 v69, v99, v79
	v_fma_f32 v70, v96, v76, -v70
	s_delay_alu instid0(VALU_DEP_4) | instskip(SKIP_4) | instid1(VALU_DEP_3)
	v_dual_add_f32 v68, v68, v71 :: v_dual_mul_f32 v71, v101, v81
	v_dual_mul_f32 v118, v98, v79 :: v_dual_mul_f32 v119, v100, v81
	v_dual_mul_f32 v121, v104, v85 :: v_dual_mul_f32 v122, v106, v87
	v_add_f32_e32 v66, v66, v116
	v_fma_f32 v69, v98, v78, -v69
	v_dual_add_f32 v68, v68, v70 :: v_dual_fmac_f32 v121, v105, v84
	v_dual_fmac_f32 v118, v99, v78 :: v_dual_fmac_f32 v119, v101, v80
	v_mul_f32_e32 v70, v103, v83
	s_delay_alu instid0(VALU_DEP_3)
	v_add_f32_e32 v68, v68, v69
	v_mul_f32_e32 v69, v105, v85
	v_dual_add_f32 v66, v66, v117 :: v_dual_fmac_f32 v123, v113, v108
	v_fma_f32 v71, v100, v80, -v71
	v_fmac_f32_e32 v120, v103, v82
	v_fma_f32 v70, v102, v82, -v70
	s_delay_alu instid0(VALU_DEP_4)
	v_add_f32_e32 v66, v66, v118
	v_fma_f32 v69, v104, v84, -v69
	v_add_f32_e32 v68, v68, v71
	v_mul_f32_e32 v71, v107, v87
	v_fmac_f32_e32 v122, v107, v86
	v_add_f32_e32 v66, v66, v119
	s_delay_alu instid0(VALU_DEP_4) | instskip(SKIP_2) | instid1(VALU_DEP_4)
	v_add_f32_e32 v68, v68, v70
	v_mul_f32_e32 v70, v113, v109
	v_fma_f32 v71, v106, v86, -v71
	v_add_f32_e32 v66, v66, v120
	s_delay_alu instid0(VALU_DEP_4) | instskip(NEXT) | instid1(VALU_DEP_4)
	v_add_f32_e32 v68, v68, v69
	v_fma_f32 v69, v112, v108, -v70
	s_delay_alu instid0(VALU_DEP_3) | instskip(NEXT) | instid1(VALU_DEP_3)
	v_add_f32_e32 v66, v66, v121
	v_add_f32_e32 v68, v68, v71
	s_delay_alu instid0(VALU_DEP_2) | instskip(NEXT) | instid1(VALU_DEP_2)
	v_add_f32_e32 v66, v66, v122
	v_add_f32_e32 v68, v68, v69
	s_delay_alu instid0(VALU_DEP_2) | instskip(SKIP_1) | instid1(VALU_DEP_1)
	v_add_f32_e32 v66, v66, v123
	s_wait_loadcnt 0x0
	v_dual_sub_f32 v68, v110, v68 :: v_dual_sub_f32 v69, v111, v66
	scratch_store_b64 off, v[68:69], off offset:160
	v_cmpx_lt_u32_e32 19, v0
	s_cbranch_execz .LBB95_167
; %bb.166:
	scratch_load_b64 v[68:69], off, off offset:152
	v_mov_b32_e32 v66, v65
	scratch_store_b64 off, v[65:66], off offset:152
	s_wait_loadcnt 0x0
	ds_store_b64 v67, v[68:69]
.LBB95_167:
	s_wait_alu 0xfffe
	s_or_b32 exec_lo, exec_lo, s0
	s_wait_storecnt_dscnt 0x0
	s_barrier_signal -1
	s_barrier_wait -1
	global_inv scope:SCOPE_SE
	s_clause 0x6
	scratch_load_b128 v[68:71], off, off offset:160
	scratch_load_b128 v[72:75], off, off offset:176
	;; [unrolled: 1-line block ×6, first 2 shown]
	scratch_load_b64 v[116:117], off, off offset:152
	ds_load_b128 v[92:95], v65 offset:416
	ds_load_b128 v[96:99], v65 offset:432
	;; [unrolled: 1-line block ×6, first 2 shown]
	s_mov_b32 s0, exec_lo
	s_wait_loadcnt_dscnt 0x605
	v_dual_mul_f32 v65, v92, v69 :: v_dual_mul_f32 v66, v94, v71
	v_mul_f32_e32 v69, v93, v69
	s_wait_loadcnt_dscnt 0x504
	v_dual_mul_f32 v71, v95, v71 :: v_dual_mul_f32 v118, v96, v73
	s_delay_alu instid0(VALU_DEP_3) | instskip(NEXT) | instid1(VALU_DEP_3)
	v_dual_mul_f32 v119, v98, v75 :: v_dual_fmac_f32 v66, v95, v70
	v_fma_f32 v69, v92, v68, -v69
	v_fmac_f32_e32 v65, v93, v68
	v_mul_f32_e32 v68, v97, v73
	v_fma_f32 v70, v94, v70, -v71
	v_mul_f32_e32 v71, v99, v75
	v_dual_add_f32 v69, 0, v69 :: v_dual_fmac_f32 v118, v97, v72
	s_delay_alu instid0(VALU_DEP_4) | instskip(SKIP_2) | instid1(VALU_DEP_3)
	v_fma_f32 v68, v96, v72, -v68
	s_wait_loadcnt_dscnt 0x403
	v_dual_mul_f32 v120, v100, v77 :: v_dual_mul_f32 v121, v102, v79
	v_add_f32_e32 v69, v69, v70
	v_fmac_f32_e32 v119, v99, v74
	v_fma_f32 v70, v98, v74, -v71
	s_wait_loadcnt_dscnt 0x302
	v_dual_mul_f32 v122, v104, v81 :: v_dual_mul_f32 v123, v106, v83
	v_dual_add_f32 v68, v69, v68 :: v_dual_mul_f32 v69, v103, v79
	v_fmac_f32_e32 v120, v101, v76
	s_wait_loadcnt_dscnt 0x201
	v_dual_mul_f32 v124, v108, v85 :: v_dual_mul_f32 v125, v110, v87
	s_delay_alu instid0(VALU_DEP_3) | instskip(SKIP_3) | instid1(VALU_DEP_4)
	v_dual_add_f32 v68, v68, v70 :: v_dual_add_f32 v65, 0, v65
	v_mul_f32_e32 v70, v105, v81
	v_fma_f32 v69, v102, v78, -v69
	v_dual_fmac_f32 v121, v103, v78 :: v_dual_fmac_f32 v122, v105, v80
	v_add_f32_e32 v65, v65, v66
	v_mul_f32_e32 v66, v101, v77
	v_fma_f32 v70, v104, v80, -v70
	v_dual_fmac_f32 v123, v107, v82 :: v_dual_fmac_f32 v124, v109, v84
	s_wait_loadcnt_dscnt 0x100
	v_dual_mul_f32 v126, v112, v89 :: v_dual_mul_f32 v127, v114, v91
	v_fma_f32 v66, v100, v76, -v66
	s_delay_alu instid0(VALU_DEP_2) | instskip(NEXT) | instid1(VALU_DEP_3)
	v_dual_fmac_f32 v125, v111, v86 :: v_dual_fmac_f32 v126, v113, v88
	v_fmac_f32_e32 v127, v115, v90
	s_delay_alu instid0(VALU_DEP_3) | instskip(SKIP_1) | instid1(VALU_DEP_2)
	v_add_f32_e32 v66, v68, v66
	v_mul_f32_e32 v68, v107, v83
	v_dual_add_f32 v66, v66, v69 :: v_dual_add_f32 v65, v65, v118
	v_mul_f32_e32 v69, v109, v85
	s_delay_alu instid0(VALU_DEP_3) | instskip(NEXT) | instid1(VALU_DEP_3)
	v_fma_f32 v68, v106, v82, -v68
	v_add_f32_e32 v66, v66, v70
	v_mul_f32_e32 v70, v111, v87
	v_add_f32_e32 v65, v65, v119
	v_fma_f32 v69, v108, v84, -v69
	s_delay_alu instid0(VALU_DEP_4) | instskip(SKIP_1) | instid1(VALU_DEP_4)
	v_add_f32_e32 v66, v66, v68
	v_mul_f32_e32 v68, v113, v89
	v_add_f32_e32 v65, v65, v120
	v_fma_f32 v70, v110, v86, -v70
	s_delay_alu instid0(VALU_DEP_4) | instskip(NEXT) | instid1(VALU_DEP_3)
	v_dual_add_f32 v66, v66, v69 :: v_dual_mul_f32 v69, v115, v91
	v_add_f32_e32 v65, v65, v121
	v_fma_f32 v68, v112, v88, -v68
	s_delay_alu instid0(VALU_DEP_3) | instskip(NEXT) | instid1(VALU_DEP_4)
	v_add_f32_e32 v66, v66, v70
	v_fma_f32 v69, v114, v90, -v69
	s_delay_alu instid0(VALU_DEP_2) | instskip(NEXT) | instid1(VALU_DEP_1)
	v_dual_add_f32 v65, v65, v122 :: v_dual_add_f32 v66, v66, v68
	v_dual_add_f32 v65, v65, v123 :: v_dual_add_f32 v66, v66, v69
	s_delay_alu instid0(VALU_DEP_1) | instskip(NEXT) | instid1(VALU_DEP_1)
	v_add_f32_e32 v65, v65, v124
	v_add_f32_e32 v65, v65, v125
	s_delay_alu instid0(VALU_DEP_1) | instskip(SKIP_1) | instid1(VALU_DEP_1)
	v_add_f32_e32 v65, v65, v126
	s_wait_loadcnt 0x0
	v_dual_add_f32 v68, v65, v127 :: v_dual_sub_f32 v65, v116, v66
	s_delay_alu instid0(VALU_DEP_1)
	v_sub_f32_e32 v66, v117, v68
	scratch_store_b64 off, v[65:66], off offset:152
	v_cmpx_lt_u32_e32 18, v0
	s_cbranch_execz .LBB95_169
; %bb.168:
	scratch_load_b64 v[65:66], off, off offset:144
	v_mov_b32_e32 v68, 0
	s_delay_alu instid0(VALU_DEP_1)
	v_mov_b32_e32 v69, v68
	scratch_store_b64 off, v[68:69], off offset:144
	s_wait_loadcnt 0x0
	ds_store_b64 v67, v[65:66]
.LBB95_169:
	s_wait_alu 0xfffe
	s_or_b32 exec_lo, exec_lo, s0
	s_wait_storecnt_dscnt 0x0
	s_barrier_signal -1
	s_barrier_wait -1
	global_inv scope:SCOPE_SE
	s_clause 0x7
	scratch_load_b128 v[68:71], off, off offset:152
	scratch_load_b128 v[72:75], off, off offset:168
	;; [unrolled: 1-line block ×6, first 2 shown]
	scratch_load_b64 v[116:117], off, off offset:248
	scratch_load_b64 v[118:119], off, off offset:144
	v_mov_b32_e32 v65, 0
	ds_load_2addr_b64 v[92:95], v65 offset0:51 offset1:52
	ds_load_2addr_b64 v[96:99], v65 offset0:53 offset1:54
	;; [unrolled: 1-line block ×6, first 2 shown]
	ds_load_b64 v[120:121], v65 offset:504
	s_mov_b32 s0, exec_lo
	s_wait_loadcnt_dscnt 0x706
	v_mul_f32_e32 v66, v92, v69
	v_dual_mul_f32 v69, v93, v69 :: v_dual_mul_f32 v122, v94, v71
	s_wait_loadcnt_dscnt 0x302
	v_dual_mul_f32 v123, v96, v73 :: v_dual_mul_f32 v130, v110, v87
	v_mul_f32_e32 v71, v95, v71
	s_wait_loadcnt_dscnt 0x100
	v_dual_mul_f32 v133, v120, v117 :: v_dual_fmac_f32 v66, v93, v68
	v_fma_f32 v69, v92, v68, -v69
	v_mul_f32_e32 v68, v97, v73
	v_fmac_f32_e32 v122, v95, v70
	v_fma_f32 v70, v94, v70, -v71
	v_dual_add_f32 v66, 0, v66 :: v_dual_mul_f32 v71, v99, v75
	v_add_f32_e32 v69, 0, v69
	v_fmac_f32_e32 v123, v97, v72
	v_fma_f32 v68, v96, v72, -v68
	s_delay_alu instid0(VALU_DEP_4)
	v_add_f32_e32 v66, v66, v122
	v_fma_f32 v71, v98, v74, -v71
	v_add_f32_e32 v69, v69, v70
	v_mul_f32_e32 v70, v101, v77
	v_dual_mul_f32 v124, v98, v75 :: v_dual_mul_f32 v125, v100, v77
	v_add_f32_e32 v66, v66, v123
	s_delay_alu instid0(VALU_DEP_4) | instskip(NEXT) | instid1(VALU_DEP_4)
	v_dual_add_f32 v68, v69, v68 :: v_dual_mul_f32 v69, v103, v79
	v_fma_f32 v70, v100, v76, -v70
	v_dual_mul_f32 v128, v106, v83 :: v_dual_mul_f32 v129, v108, v85
	s_delay_alu instid0(VALU_DEP_3) | instskip(NEXT) | instid1(VALU_DEP_4)
	v_dual_add_f32 v68, v68, v71 :: v_dual_mul_f32 v71, v105, v81
	v_fma_f32 v69, v102, v78, -v69
	v_dual_mul_f32 v131, v112, v89 :: v_dual_mul_f32 v132, v114, v91
	s_delay_alu instid0(VALU_DEP_3) | instskip(SKIP_1) | instid1(VALU_DEP_3)
	v_dual_add_f32 v68, v68, v70 :: v_dual_fmac_f32 v129, v109, v84
	v_dual_fmac_f32 v124, v99, v74 :: v_dual_fmac_f32 v125, v101, v76
	v_dual_mul_f32 v70, v107, v83 :: v_dual_fmac_f32 v131, v113, v88
	v_fma_f32 v71, v104, v80, -v71
	s_delay_alu instid0(VALU_DEP_4) | instskip(SKIP_3) | instid1(VALU_DEP_4)
	v_dual_add_f32 v68, v68, v69 :: v_dual_fmac_f32 v133, v121, v116
	v_dual_mul_f32 v126, v102, v79 :: v_dual_mul_f32 v127, v104, v81
	v_dual_add_f32 v66, v66, v124 :: v_dual_mul_f32 v69, v109, v85
	v_fma_f32 v70, v106, v82, -v70
	v_add_f32_e32 v68, v68, v71
	s_delay_alu instid0(VALU_DEP_4) | instskip(NEXT) | instid1(VALU_DEP_4)
	v_dual_fmac_f32 v126, v103, v78 :: v_dual_fmac_f32 v127, v105, v80
	v_dual_add_f32 v66, v66, v125 :: v_dual_mul_f32 v71, v111, v87
	v_fma_f32 v69, v108, v84, -v69
	s_delay_alu instid0(VALU_DEP_4)
	v_add_f32_e32 v68, v68, v70
	v_fmac_f32_e32 v128, v107, v82
	v_mul_f32_e32 v70, v113, v89
	v_fma_f32 v71, v110, v86, -v71
	v_fmac_f32_e32 v130, v111, v86
	v_dual_add_f32 v68, v68, v69 :: v_dual_mul_f32 v69, v115, v91
	v_add_f32_e32 v66, v66, v126
	v_fma_f32 v70, v112, v88, -v70
	v_fmac_f32_e32 v132, v115, v90
	s_delay_alu instid0(VALU_DEP_4) | instskip(NEXT) | instid1(VALU_DEP_4)
	v_dual_add_f32 v68, v68, v71 :: v_dual_mul_f32 v71, v121, v117
	v_add_f32_e32 v66, v66, v127
	v_fma_f32 v69, v114, v90, -v69
	s_delay_alu instid0(VALU_DEP_3) | instskip(NEXT) | instid1(VALU_DEP_4)
	v_add_f32_e32 v68, v68, v70
	v_fma_f32 v70, v120, v116, -v71
	s_delay_alu instid0(VALU_DEP_4) | instskip(NEXT) | instid1(VALU_DEP_3)
	v_add_f32_e32 v66, v66, v128
	v_add_f32_e32 v68, v68, v69
	s_delay_alu instid0(VALU_DEP_2) | instskip(NEXT) | instid1(VALU_DEP_2)
	v_add_f32_e32 v66, v66, v129
	v_add_f32_e32 v68, v68, v70
	s_delay_alu instid0(VALU_DEP_2) | instskip(SKIP_1) | instid1(VALU_DEP_2)
	v_add_f32_e32 v66, v66, v130
	s_wait_loadcnt 0x0
	v_sub_f32_e32 v68, v118, v68
	s_delay_alu instid0(VALU_DEP_2) | instskip(NEXT) | instid1(VALU_DEP_1)
	v_add_f32_e32 v66, v66, v131
	v_add_f32_e32 v66, v66, v132
	s_delay_alu instid0(VALU_DEP_1) | instskip(NEXT) | instid1(VALU_DEP_1)
	v_add_f32_e32 v66, v66, v133
	v_sub_f32_e32 v69, v119, v66
	scratch_store_b64 off, v[68:69], off offset:144
	v_cmpx_lt_u32_e32 17, v0
	s_cbranch_execz .LBB95_171
; %bb.170:
	scratch_load_b64 v[68:69], off, off offset:136
	v_mov_b32_e32 v66, v65
	scratch_store_b64 off, v[65:66], off offset:136
	s_wait_loadcnt 0x0
	ds_store_b64 v67, v[68:69]
.LBB95_171:
	s_wait_alu 0xfffe
	s_or_b32 exec_lo, exec_lo, s0
	s_wait_storecnt_dscnt 0x0
	s_barrier_signal -1
	s_barrier_wait -1
	global_inv scope:SCOPE_SE
	s_clause 0x7
	scratch_load_b128 v[68:71], off, off offset:144
	scratch_load_b128 v[72:75], off, off offset:160
	;; [unrolled: 1-line block ×7, first 2 shown]
	scratch_load_b64 v[124:125], off, off offset:136
	ds_load_b128 v[96:99], v65 offset:400
	ds_load_b128 v[100:103], v65 offset:416
	;; [unrolled: 1-line block ×7, first 2 shown]
	s_mov_b32 s0, exec_lo
	s_wait_loadcnt_dscnt 0x706
	v_dual_mul_f32 v65, v96, v69 :: v_dual_mul_f32 v66, v98, v71
	v_mul_f32_e32 v69, v97, v69
	s_wait_loadcnt_dscnt 0x605
	v_dual_mul_f32 v71, v99, v71 :: v_dual_mul_f32 v126, v100, v73
	s_delay_alu instid0(VALU_DEP_3) | instskip(NEXT) | instid1(VALU_DEP_3)
	v_dual_mul_f32 v127, v102, v75 :: v_dual_fmac_f32 v66, v99, v70
	v_fma_f32 v69, v96, v68, -v69
	v_fmac_f32_e32 v65, v97, v68
	v_mul_f32_e32 v68, v101, v73
	v_fma_f32 v70, v98, v70, -v71
	v_mul_f32_e32 v71, v103, v75
	v_dual_add_f32 v69, 0, v69 :: v_dual_fmac_f32 v126, v101, v72
	s_delay_alu instid0(VALU_DEP_4) | instskip(SKIP_2) | instid1(VALU_DEP_3)
	v_fma_f32 v68, v100, v72, -v68
	s_wait_loadcnt_dscnt 0x504
	v_dual_mul_f32 v128, v104, v77 :: v_dual_mul_f32 v129, v106, v79
	v_add_f32_e32 v69, v69, v70
	v_fmac_f32_e32 v127, v103, v74
	v_fma_f32 v70, v102, v74, -v71
	s_wait_loadcnt_dscnt 0x403
	v_dual_mul_f32 v130, v108, v81 :: v_dual_mul_f32 v131, v110, v83
	v_dual_add_f32 v68, v69, v68 :: v_dual_mul_f32 v69, v107, v79
	v_fmac_f32_e32 v128, v105, v76
	s_wait_loadcnt_dscnt 0x302
	v_dual_mul_f32 v132, v112, v85 :: v_dual_mul_f32 v133, v114, v87
	s_delay_alu instid0(VALU_DEP_3) | instskip(SKIP_3) | instid1(VALU_DEP_4)
	v_dual_add_f32 v68, v68, v70 :: v_dual_add_f32 v65, 0, v65
	v_mul_f32_e32 v70, v109, v81
	v_fma_f32 v69, v106, v78, -v69
	v_dual_fmac_f32 v129, v107, v78 :: v_dual_fmac_f32 v130, v109, v80
	v_add_f32_e32 v65, v65, v66
	v_mul_f32_e32 v66, v105, v77
	v_fma_f32 v70, v108, v80, -v70
	v_dual_fmac_f32 v131, v111, v82 :: v_dual_fmac_f32 v132, v113, v84
	s_wait_loadcnt_dscnt 0x201
	v_dual_mul_f32 v134, v116, v89 :: v_dual_mul_f32 v135, v118, v91
	v_fma_f32 v66, v104, v76, -v66
	s_wait_loadcnt_dscnt 0x100
	v_dual_mul_f32 v136, v120, v93 :: v_dual_mul_f32 v137, v122, v95
	s_delay_alu instid0(VALU_DEP_3) | instskip(NEXT) | instid1(VALU_DEP_3)
	v_dual_fmac_f32 v133, v115, v86 :: v_dual_fmac_f32 v134, v117, v88
	v_add_f32_e32 v66, v68, v66
	v_mul_f32_e32 v68, v111, v83
	s_delay_alu instid0(VALU_DEP_4) | instskip(NEXT) | instid1(VALU_DEP_3)
	v_dual_fmac_f32 v136, v121, v92 :: v_dual_fmac_f32 v137, v123, v94
	v_dual_fmac_f32 v135, v119, v90 :: v_dual_add_f32 v66, v66, v69
	v_add_f32_e32 v65, v65, v126
	v_mul_f32_e32 v69, v113, v85
	v_fma_f32 v68, v110, v82, -v68
	s_delay_alu instid0(VALU_DEP_4) | instskip(SKIP_3) | instid1(VALU_DEP_4)
	v_add_f32_e32 v66, v66, v70
	v_mul_f32_e32 v70, v115, v87
	v_add_f32_e32 v65, v65, v127
	v_fma_f32 v69, v112, v84, -v69
	v_add_f32_e32 v66, v66, v68
	v_mul_f32_e32 v68, v117, v89
	s_delay_alu instid0(VALU_DEP_4) | instskip(SKIP_1) | instid1(VALU_DEP_4)
	v_add_f32_e32 v65, v65, v128
	v_fma_f32 v70, v114, v86, -v70
	v_dual_add_f32 v66, v66, v69 :: v_dual_mul_f32 v69, v119, v91
	s_delay_alu instid0(VALU_DEP_3) | instskip(SKIP_1) | instid1(VALU_DEP_3)
	v_add_f32_e32 v65, v65, v129
	v_fma_f32 v68, v116, v88, -v68
	v_add_f32_e32 v66, v66, v70
	s_delay_alu instid0(VALU_DEP_4) | instskip(NEXT) | instid1(VALU_DEP_4)
	v_fma_f32 v69, v118, v90, -v69
	v_add_f32_e32 v65, v65, v130
	v_mul_f32_e32 v70, v121, v93
	s_delay_alu instid0(VALU_DEP_4) | instskip(SKIP_1) | instid1(VALU_DEP_4)
	v_add_f32_e32 v66, v66, v68
	v_mul_f32_e32 v68, v123, v95
	v_add_f32_e32 v65, v65, v131
	s_delay_alu instid0(VALU_DEP_4) | instskip(NEXT) | instid1(VALU_DEP_4)
	v_fma_f32 v70, v120, v92, -v70
	v_add_f32_e32 v66, v66, v69
	s_delay_alu instid0(VALU_DEP_4) | instskip(NEXT) | instid1(VALU_DEP_2)
	v_fma_f32 v68, v122, v94, -v68
	v_dual_add_f32 v65, v65, v132 :: v_dual_add_f32 v66, v66, v70
	s_delay_alu instid0(VALU_DEP_1) | instskip(NEXT) | instid1(VALU_DEP_1)
	v_dual_add_f32 v65, v65, v133 :: v_dual_add_f32 v66, v66, v68
	v_add_f32_e32 v65, v65, v134
	s_delay_alu instid0(VALU_DEP_1) | instskip(NEXT) | instid1(VALU_DEP_1)
	v_add_f32_e32 v65, v65, v135
	v_add_f32_e32 v65, v65, v136
	s_wait_loadcnt 0x0
	s_delay_alu instid0(VALU_DEP_1) | instskip(NEXT) | instid1(VALU_DEP_1)
	v_dual_add_f32 v68, v65, v137 :: v_dual_sub_f32 v65, v124, v66
	v_sub_f32_e32 v66, v125, v68
	scratch_store_b64 off, v[65:66], off offset:136
	v_cmpx_lt_u32_e32 16, v0
	s_cbranch_execz .LBB95_173
; %bb.172:
	scratch_load_b64 v[65:66], off, off offset:128
	v_mov_b32_e32 v68, 0
	s_delay_alu instid0(VALU_DEP_1)
	v_mov_b32_e32 v69, v68
	scratch_store_b64 off, v[68:69], off offset:128
	s_wait_loadcnt 0x0
	ds_store_b64 v67, v[65:66]
.LBB95_173:
	s_wait_alu 0xfffe
	s_or_b32 exec_lo, exec_lo, s0
	s_wait_storecnt_dscnt 0x0
	s_barrier_signal -1
	s_barrier_wait -1
	global_inv scope:SCOPE_SE
	s_clause 0x8
	scratch_load_b128 v[68:71], off, off offset:136
	scratch_load_b128 v[72:75], off, off offset:152
	;; [unrolled: 1-line block ×7, first 2 shown]
	scratch_load_b64 v[124:125], off, off offset:248
	scratch_load_b64 v[126:127], off, off offset:128
	v_mov_b32_e32 v65, 0
	ds_load_2addr_b64 v[96:99], v65 offset0:49 offset1:50
	ds_load_2addr_b64 v[100:103], v65 offset0:51 offset1:52
	;; [unrolled: 1-line block ×7, first 2 shown]
	ds_load_b64 v[128:129], v65 offset:504
	s_mov_b32 s0, exec_lo
	s_wait_loadcnt_dscnt 0x807
	v_mul_f32_e32 v66, v96, v69
	v_dual_mul_f32 v69, v97, v69 :: v_dual_mul_f32 v130, v98, v71
	s_wait_loadcnt_dscnt 0x706
	v_mul_f32_e32 v131, v100, v73
	v_mul_f32_e32 v71, v99, v71
	s_wait_loadcnt_dscnt 0x302
	v_mul_f32_e32 v140, v118, v91
	v_fma_f32 v69, v96, v68, -v69
	s_wait_loadcnt_dscnt 0x100
	v_dual_mul_f32 v143, v128, v125 :: v_dual_fmac_f32 v66, v97, v68
	v_mul_f32_e32 v68, v101, v73
	s_delay_alu instid0(VALU_DEP_3) | instskip(SKIP_1) | instid1(VALU_DEP_4)
	v_dual_fmac_f32 v130, v99, v70 :: v_dual_add_f32 v69, 0, v69
	v_fma_f32 v70, v98, v70, -v71
	v_dual_add_f32 v66, 0, v66 :: v_dual_mul_f32 v71, v103, v75
	v_fmac_f32_e32 v131, v101, v72
	v_fma_f32 v68, v100, v72, -v68
	v_dual_mul_f32 v132, v102, v75 :: v_dual_mul_f32 v133, v104, v77
	s_delay_alu instid0(VALU_DEP_4)
	v_add_f32_e32 v66, v66, v130
	v_add_f32_e32 v69, v69, v70
	v_mul_f32_e32 v70, v105, v77
	v_fma_f32 v71, v102, v74, -v71
	v_dual_mul_f32 v136, v110, v83 :: v_dual_mul_f32 v137, v112, v85
	v_add_f32_e32 v66, v66, v131
	v_dual_add_f32 v68, v69, v68 :: v_dual_mul_f32 v69, v107, v79
	v_fma_f32 v70, v104, v76, -v70
	v_dual_mul_f32 v138, v114, v87 :: v_dual_mul_f32 v139, v116, v89
	s_delay_alu instid0(VALU_DEP_3) | instskip(NEXT) | instid1(VALU_DEP_4)
	v_dual_add_f32 v68, v68, v71 :: v_dual_mul_f32 v71, v109, v81
	v_fma_f32 v69, v106, v78, -v69
	v_dual_mul_f32 v141, v120, v93 :: v_dual_mul_f32 v142, v122, v95
	s_delay_alu instid0(VALU_DEP_3) | instskip(SKIP_3) | instid1(VALU_DEP_4)
	v_dual_add_f32 v68, v68, v70 :: v_dual_fmac_f32 v137, v113, v84
	v_dual_fmac_f32 v132, v103, v74 :: v_dual_fmac_f32 v133, v105, v76
	v_dual_mul_f32 v70, v111, v83 :: v_dual_fmac_f32 v139, v117, v88
	v_fma_f32 v71, v108, v80, -v71
	v_dual_add_f32 v68, v68, v69 :: v_dual_fmac_f32 v141, v121, v92
	s_delay_alu instid0(VALU_DEP_4) | instskip(NEXT) | instid1(VALU_DEP_4)
	v_dual_add_f32 v66, v66, v132 :: v_dual_mul_f32 v69, v113, v85
	v_fma_f32 v70, v110, v82, -v70
	s_delay_alu instid0(VALU_DEP_3) | instskip(SKIP_3) | instid1(VALU_DEP_4)
	v_dual_add_f32 v68, v68, v71 :: v_dual_fmac_f32 v143, v129, v124
	v_dual_mul_f32 v134, v106, v79 :: v_dual_mul_f32 v135, v108, v81
	v_mul_f32_e32 v71, v115, v87
	v_fma_f32 v69, v112, v84, -v69
	v_add_f32_e32 v68, v68, v70
	s_delay_alu instid0(VALU_DEP_4) | instskip(SKIP_4) | instid1(VALU_DEP_4)
	v_dual_fmac_f32 v134, v107, v78 :: v_dual_fmac_f32 v135, v109, v80
	v_add_f32_e32 v66, v66, v133
	v_mul_f32_e32 v70, v117, v89
	v_fma_f32 v71, v114, v86, -v71
	v_dual_add_f32 v68, v68, v69 :: v_dual_mul_f32 v69, v119, v91
	v_add_f32_e32 v66, v66, v134
	s_delay_alu instid0(VALU_DEP_4) | instskip(SKIP_1) | instid1(VALU_DEP_4)
	v_fma_f32 v70, v116, v88, -v70
	v_fmac_f32_e32 v136, v111, v82
	v_dual_add_f32 v68, v68, v71 :: v_dual_mul_f32 v71, v121, v93
	s_delay_alu instid0(VALU_DEP_4) | instskip(SKIP_2) | instid1(VALU_DEP_4)
	v_add_f32_e32 v66, v66, v135
	v_fma_f32 v69, v118, v90, -v69
	v_fmac_f32_e32 v138, v115, v86
	v_add_f32_e32 v68, v68, v70
	v_fmac_f32_e32 v140, v119, v90
	v_mul_f32_e32 v70, v123, v95
	v_fma_f32 v71, v120, v92, -v71
	v_fmac_f32_e32 v142, v123, v94
	v_add_f32_e32 v68, v68, v69
	v_dual_mul_f32 v69, v129, v125 :: v_dual_add_f32 v66, v66, v136
	v_fma_f32 v70, v122, v94, -v70
	s_delay_alu instid0(VALU_DEP_3) | instskip(NEXT) | instid1(VALU_DEP_3)
	v_add_f32_e32 v68, v68, v71
	v_fma_f32 v69, v128, v124, -v69
	s_delay_alu instid0(VALU_DEP_4) | instskip(NEXT) | instid1(VALU_DEP_3)
	v_add_f32_e32 v66, v66, v137
	v_add_f32_e32 v68, v68, v70
	s_delay_alu instid0(VALU_DEP_2) | instskip(NEXT) | instid1(VALU_DEP_2)
	v_add_f32_e32 v66, v66, v138
	v_add_f32_e32 v68, v68, v69
	s_delay_alu instid0(VALU_DEP_2) | instskip(SKIP_1) | instid1(VALU_DEP_2)
	v_add_f32_e32 v66, v66, v139
	s_wait_loadcnt 0x0
	v_sub_f32_e32 v68, v126, v68
	s_delay_alu instid0(VALU_DEP_2) | instskip(NEXT) | instid1(VALU_DEP_1)
	v_add_f32_e32 v66, v66, v140
	v_add_f32_e32 v66, v66, v141
	s_delay_alu instid0(VALU_DEP_1) | instskip(NEXT) | instid1(VALU_DEP_1)
	v_add_f32_e32 v66, v66, v142
	v_add_f32_e32 v66, v66, v143
	s_delay_alu instid0(VALU_DEP_1)
	v_sub_f32_e32 v69, v127, v66
	scratch_store_b64 off, v[68:69], off offset:128
	v_cmpx_lt_u32_e32 15, v0
	s_cbranch_execz .LBB95_175
; %bb.174:
	scratch_load_b64 v[68:69], off, off offset:120
	v_mov_b32_e32 v66, v65
	scratch_store_b64 off, v[65:66], off offset:120
	s_wait_loadcnt 0x0
	ds_store_b64 v67, v[68:69]
.LBB95_175:
	s_wait_alu 0xfffe
	s_or_b32 exec_lo, exec_lo, s0
	s_wait_storecnt_dscnt 0x0
	s_barrier_signal -1
	s_barrier_wait -1
	global_inv scope:SCOPE_SE
	s_clause 0x8
	scratch_load_b128 v[68:71], off, off offset:128
	scratch_load_b128 v[72:75], off, off offset:144
	;; [unrolled: 1-line block ×8, first 2 shown]
	scratch_load_b64 v[132:133], off, off offset:120
	ds_load_b128 v[100:103], v65 offset:384
	ds_load_b128 v[104:107], v65 offset:400
	;; [unrolled: 1-line block ×8, first 2 shown]
	s_mov_b32 s0, exec_lo
	s_wait_loadcnt_dscnt 0x807
	v_dual_mul_f32 v65, v100, v69 :: v_dual_mul_f32 v66, v102, v71
	v_mul_f32_e32 v69, v101, v69
	s_wait_loadcnt_dscnt 0x706
	v_dual_mul_f32 v71, v103, v71 :: v_dual_mul_f32 v134, v104, v73
	s_delay_alu instid0(VALU_DEP_3) | instskip(NEXT) | instid1(VALU_DEP_3)
	v_dual_mul_f32 v135, v106, v75 :: v_dual_fmac_f32 v66, v103, v70
	v_fma_f32 v69, v100, v68, -v69
	v_fmac_f32_e32 v65, v101, v68
	v_mul_f32_e32 v68, v105, v73
	v_fma_f32 v70, v102, v70, -v71
	v_mul_f32_e32 v71, v107, v75
	v_dual_add_f32 v69, 0, v69 :: v_dual_fmac_f32 v134, v105, v72
	s_delay_alu instid0(VALU_DEP_4) | instskip(SKIP_2) | instid1(VALU_DEP_3)
	v_fma_f32 v68, v104, v72, -v68
	s_wait_loadcnt_dscnt 0x605
	v_dual_mul_f32 v136, v108, v77 :: v_dual_mul_f32 v137, v110, v79
	v_add_f32_e32 v69, v69, v70
	v_fmac_f32_e32 v135, v107, v74
	v_fma_f32 v70, v106, v74, -v71
	s_wait_loadcnt_dscnt 0x504
	v_dual_mul_f32 v138, v112, v81 :: v_dual_mul_f32 v139, v114, v83
	v_dual_add_f32 v68, v69, v68 :: v_dual_mul_f32 v69, v111, v79
	v_fmac_f32_e32 v136, v109, v76
	s_wait_loadcnt_dscnt 0x403
	v_dual_mul_f32 v140, v116, v85 :: v_dual_mul_f32 v141, v118, v87
	s_delay_alu instid0(VALU_DEP_3) | instskip(SKIP_3) | instid1(VALU_DEP_4)
	v_dual_add_f32 v68, v68, v70 :: v_dual_add_f32 v65, 0, v65
	v_mul_f32_e32 v70, v113, v81
	v_fma_f32 v69, v110, v78, -v69
	v_dual_fmac_f32 v137, v111, v78 :: v_dual_fmac_f32 v138, v113, v80
	v_add_f32_e32 v65, v65, v66
	v_mul_f32_e32 v66, v109, v77
	v_fma_f32 v70, v112, v80, -v70
	v_dual_fmac_f32 v139, v115, v82 :: v_dual_fmac_f32 v140, v117, v84
	s_wait_loadcnt_dscnt 0x302
	v_dual_mul_f32 v142, v120, v89 :: v_dual_mul_f32 v143, v122, v91
	v_fma_f32 v66, v108, v76, -v66
	s_wait_loadcnt_dscnt 0x201
	v_dual_mul_f32 v144, v124, v93 :: v_dual_mul_f32 v145, v126, v95
	s_wait_loadcnt_dscnt 0x100
	v_dual_mul_f32 v146, v128, v97 :: v_dual_mul_f32 v147, v130, v99
	v_add_f32_e32 v66, v68, v66
	v_mul_f32_e32 v68, v115, v83
	v_dual_fmac_f32 v144, v125, v92 :: v_dual_fmac_f32 v145, v127, v94
	s_delay_alu instid0(VALU_DEP_4) | instskip(NEXT) | instid1(VALU_DEP_4)
	v_dual_fmac_f32 v146, v129, v96 :: v_dual_fmac_f32 v147, v131, v98
	v_dual_add_f32 v66, v66, v69 :: v_dual_add_f32 v65, v65, v134
	v_mul_f32_e32 v69, v117, v85
	v_fma_f32 v68, v114, v82, -v68
	v_fmac_f32_e32 v141, v119, v86
	s_delay_alu instid0(VALU_DEP_4)
	v_add_f32_e32 v66, v66, v70
	v_mul_f32_e32 v70, v119, v87
	v_add_f32_e32 v65, v65, v135
	v_fma_f32 v69, v116, v84, -v69
	v_fmac_f32_e32 v142, v121, v88
	v_add_f32_e32 v66, v66, v68
	v_mul_f32_e32 v68, v121, v89
	v_add_f32_e32 v65, v65, v136
	v_fma_f32 v70, v118, v86, -v70
	s_delay_alu instid0(VALU_DEP_4) | instskip(SKIP_1) | instid1(VALU_DEP_4)
	v_dual_fmac_f32 v143, v123, v90 :: v_dual_add_f32 v66, v66, v69
	v_mul_f32_e32 v69, v123, v91
	v_add_f32_e32 v65, v65, v137
	v_fma_f32 v68, v120, v88, -v68
	s_delay_alu instid0(VALU_DEP_4) | instskip(NEXT) | instid1(VALU_DEP_4)
	v_add_f32_e32 v66, v66, v70
	v_fma_f32 v69, v122, v90, -v69
	s_delay_alu instid0(VALU_DEP_4) | instskip(SKIP_1) | instid1(VALU_DEP_4)
	v_add_f32_e32 v65, v65, v138
	v_mul_f32_e32 v70, v125, v93
	v_add_f32_e32 v66, v66, v68
	v_mul_f32_e32 v68, v127, v95
	s_delay_alu instid0(VALU_DEP_4) | instskip(NEXT) | instid1(VALU_DEP_4)
	v_add_f32_e32 v65, v65, v139
	v_fma_f32 v70, v124, v92, -v70
	s_delay_alu instid0(VALU_DEP_4) | instskip(SKIP_1) | instid1(VALU_DEP_4)
	v_add_f32_e32 v66, v66, v69
	v_mul_f32_e32 v69, v129, v97
	v_add_f32_e32 v65, v65, v140
	v_fma_f32 v68, v126, v94, -v68
	s_delay_alu instid0(VALU_DEP_4) | instskip(NEXT) | instid1(VALU_DEP_3)
	v_add_f32_e32 v66, v66, v70
	v_dual_mul_f32 v70, v131, v99 :: v_dual_add_f32 v65, v65, v141
	v_fma_f32 v69, v128, v96, -v69
	s_delay_alu instid0(VALU_DEP_3) | instskip(NEXT) | instid1(VALU_DEP_3)
	v_add_f32_e32 v66, v66, v68
	v_fma_f32 v68, v130, v98, -v70
	s_delay_alu instid0(VALU_DEP_2) | instskip(NEXT) | instid1(VALU_DEP_1)
	v_dual_add_f32 v65, v65, v142 :: v_dual_add_f32 v66, v66, v69
	v_dual_add_f32 v65, v65, v143 :: v_dual_add_f32 v66, v66, v68
	s_delay_alu instid0(VALU_DEP_1) | instskip(NEXT) | instid1(VALU_DEP_1)
	v_add_f32_e32 v65, v65, v144
	v_add_f32_e32 v65, v65, v145
	s_delay_alu instid0(VALU_DEP_1) | instskip(SKIP_1) | instid1(VALU_DEP_1)
	v_add_f32_e32 v65, v65, v146
	s_wait_loadcnt 0x0
	v_dual_add_f32 v68, v65, v147 :: v_dual_sub_f32 v65, v132, v66
	s_delay_alu instid0(VALU_DEP_1)
	v_sub_f32_e32 v66, v133, v68
	scratch_store_b64 off, v[65:66], off offset:120
	v_cmpx_lt_u32_e32 14, v0
	s_cbranch_execz .LBB95_177
; %bb.176:
	scratch_load_b64 v[65:66], off, off offset:112
	v_mov_b32_e32 v68, 0
	s_delay_alu instid0(VALU_DEP_1)
	v_mov_b32_e32 v69, v68
	scratch_store_b64 off, v[68:69], off offset:112
	s_wait_loadcnt 0x0
	ds_store_b64 v67, v[65:66]
.LBB95_177:
	s_wait_alu 0xfffe
	s_or_b32 exec_lo, exec_lo, s0
	s_wait_storecnt_dscnt 0x0
	s_barrier_signal -1
	s_barrier_wait -1
	global_inv scope:SCOPE_SE
	s_clause 0x9
	scratch_load_b128 v[68:71], off, off offset:120
	scratch_load_b128 v[72:75], off, off offset:136
	scratch_load_b128 v[76:79], off, off offset:152
	scratch_load_b128 v[80:83], off, off offset:168
	scratch_load_b128 v[84:87], off, off offset:184
	scratch_load_b128 v[88:91], off, off offset:200
	scratch_load_b128 v[92:95], off, off offset:216
	scratch_load_b128 v[96:99], off, off offset:232
	scratch_load_b64 v[132:133], off, off offset:248
	scratch_load_b64 v[134:135], off, off offset:112
	v_mov_b32_e32 v65, 0
	ds_load_2addr_b64 v[100:103], v65 offset0:47 offset1:48
	ds_load_2addr_b64 v[104:107], v65 offset0:49 offset1:50
	;; [unrolled: 1-line block ×8, first 2 shown]
	ds_load_b64 v[136:137], v65 offset:504
	s_mov_b32 s0, exec_lo
	s_wait_loadcnt_dscnt 0x908
	v_mul_f32_e32 v66, v100, v69
	s_wait_loadcnt_dscnt 0x807
	v_dual_mul_f32 v138, v102, v71 :: v_dual_mul_f32 v139, v104, v73
	v_mul_f32_e32 v69, v101, v69
	s_delay_alu instid0(VALU_DEP_3)
	v_dual_mul_f32 v71, v103, v71 :: v_dual_fmac_f32 v66, v101, v68
	s_wait_loadcnt_dscnt 0x302
	v_mul_f32_e32 v150, v126, v95
	v_dual_mul_f32 v140, v106, v75 :: v_dual_mul_f32 v141, v108, v77
	s_wait_loadcnt_dscnt 0x100
	v_mul_f32_e32 v153, v136, v133
	v_fma_f32 v69, v100, v68, -v69
	v_mul_f32_e32 v68, v105, v73
	v_fmac_f32_e32 v138, v103, v70
	v_fma_f32 v70, v102, v70, -v71
	v_dual_add_f32 v66, 0, v66 :: v_dual_mul_f32 v71, v107, v75
	v_add_f32_e32 v69, 0, v69
	v_fmac_f32_e32 v139, v105, v72
	v_fma_f32 v68, v104, v72, -v68
	s_delay_alu instid0(VALU_DEP_4)
	v_add_f32_e32 v66, v66, v138
	v_fma_f32 v71, v106, v74, -v71
	v_add_f32_e32 v69, v69, v70
	v_mul_f32_e32 v70, v109, v77
	v_dual_mul_f32 v144, v114, v83 :: v_dual_mul_f32 v145, v116, v85
	v_add_f32_e32 v66, v66, v139
	s_delay_alu instid0(VALU_DEP_4) | instskip(NEXT) | instid1(VALU_DEP_4)
	v_dual_add_f32 v68, v69, v68 :: v_dual_mul_f32 v69, v111, v79
	v_fma_f32 v70, v108, v76, -v70
	v_dual_mul_f32 v146, v118, v87 :: v_dual_mul_f32 v147, v120, v89
	s_delay_alu instid0(VALU_DEP_3) | instskip(NEXT) | instid1(VALU_DEP_4)
	v_dual_add_f32 v68, v68, v71 :: v_dual_mul_f32 v71, v113, v81
	v_fma_f32 v69, v110, v78, -v69
	v_dual_mul_f32 v148, v122, v91 :: v_dual_mul_f32 v149, v124, v93
	s_delay_alu instid0(VALU_DEP_3) | instskip(SKIP_3) | instid1(VALU_DEP_4)
	v_dual_add_f32 v68, v68, v70 :: v_dual_fmac_f32 v145, v117, v84
	v_dual_fmac_f32 v140, v107, v74 :: v_dual_fmac_f32 v141, v109, v76
	v_dual_mul_f32 v70, v115, v83 :: v_dual_fmac_f32 v147, v121, v88
	v_fma_f32 v71, v112, v80, -v71
	v_dual_add_f32 v68, v68, v69 :: v_dual_fmac_f32 v149, v125, v92
	v_dual_mul_f32 v151, v128, v97 :: v_dual_mul_f32 v152, v130, v99
	v_dual_add_f32 v66, v66, v140 :: v_dual_mul_f32 v69, v117, v85
	v_fma_f32 v70, v114, v82, -v70
	s_delay_alu instid0(VALU_DEP_3) | instskip(SKIP_3) | instid1(VALU_DEP_4)
	v_dual_add_f32 v68, v68, v71 :: v_dual_fmac_f32 v151, v129, v96
	v_dual_mul_f32 v142, v110, v79 :: v_dual_mul_f32 v143, v112, v81
	v_mul_f32_e32 v71, v119, v87
	v_fma_f32 v69, v116, v84, -v69
	v_add_f32_e32 v68, v68, v70
	s_delay_alu instid0(VALU_DEP_4) | instskip(SKIP_4) | instid1(VALU_DEP_4)
	v_dual_fmac_f32 v142, v111, v78 :: v_dual_fmac_f32 v143, v113, v80
	v_add_f32_e32 v66, v66, v141
	v_mul_f32_e32 v70, v121, v89
	v_fma_f32 v71, v118, v86, -v71
	v_dual_add_f32 v68, v68, v69 :: v_dual_mul_f32 v69, v123, v91
	v_add_f32_e32 v66, v66, v142
	s_delay_alu instid0(VALU_DEP_4) | instskip(SKIP_1) | instid1(VALU_DEP_4)
	v_fma_f32 v70, v120, v88, -v70
	v_fmac_f32_e32 v144, v115, v82
	v_dual_add_f32 v68, v68, v71 :: v_dual_mul_f32 v71, v125, v93
	s_delay_alu instid0(VALU_DEP_4) | instskip(SKIP_1) | instid1(VALU_DEP_3)
	v_dual_add_f32 v66, v66, v143 :: v_dual_fmac_f32 v153, v137, v132
	v_fma_f32 v69, v122, v90, -v69
	v_add_f32_e32 v68, v68, v70
	v_fmac_f32_e32 v146, v119, v86
	v_fmac_f32_e32 v148, v123, v90
	v_mul_f32_e32 v70, v127, v95
	v_fma_f32 v71, v124, v92, -v71
	v_add_f32_e32 v68, v68, v69
	v_dual_mul_f32 v69, v129, v97 :: v_dual_add_f32 v66, v66, v144
	v_fmac_f32_e32 v150, v127, v94
	v_fma_f32 v70, v126, v94, -v70
	s_delay_alu instid0(VALU_DEP_4) | instskip(NEXT) | instid1(VALU_DEP_4)
	v_add_f32_e32 v68, v68, v71
	v_dual_mul_f32 v71, v131, v99 :: v_dual_add_f32 v66, v66, v145
	v_fma_f32 v69, v128, v96, -v69
	v_fmac_f32_e32 v152, v131, v98
	s_delay_alu instid0(VALU_DEP_4) | instskip(SKIP_3) | instid1(VALU_DEP_4)
	v_add_f32_e32 v68, v68, v70
	v_mul_f32_e32 v70, v137, v133
	v_add_f32_e32 v66, v66, v146
	v_fma_f32 v71, v130, v98, -v71
	v_add_f32_e32 v68, v68, v69
	s_delay_alu instid0(VALU_DEP_4) | instskip(NEXT) | instid1(VALU_DEP_4)
	v_fma_f32 v69, v136, v132, -v70
	v_add_f32_e32 v66, v66, v147
	s_delay_alu instid0(VALU_DEP_3) | instskip(NEXT) | instid1(VALU_DEP_2)
	v_add_f32_e32 v68, v68, v71
	v_add_f32_e32 v66, v66, v148
	s_delay_alu instid0(VALU_DEP_2) | instskip(NEXT) | instid1(VALU_DEP_2)
	v_add_f32_e32 v68, v68, v69
	v_add_f32_e32 v66, v66, v149
	s_wait_loadcnt 0x0
	s_delay_alu instid0(VALU_DEP_2) | instskip(NEXT) | instid1(VALU_DEP_2)
	v_sub_f32_e32 v68, v134, v68
	v_add_f32_e32 v66, v66, v150
	s_delay_alu instid0(VALU_DEP_1) | instskip(NEXT) | instid1(VALU_DEP_1)
	v_add_f32_e32 v66, v66, v151
	v_add_f32_e32 v66, v66, v152
	s_delay_alu instid0(VALU_DEP_1) | instskip(NEXT) | instid1(VALU_DEP_1)
	v_add_f32_e32 v66, v66, v153
	v_sub_f32_e32 v69, v135, v66
	scratch_store_b64 off, v[68:69], off offset:112
	v_cmpx_lt_u32_e32 13, v0
	s_cbranch_execz .LBB95_179
; %bb.178:
	scratch_load_b64 v[68:69], off, off offset:104
	v_mov_b32_e32 v66, v65
	scratch_store_b64 off, v[65:66], off offset:104
	s_wait_loadcnt 0x0
	ds_store_b64 v67, v[68:69]
.LBB95_179:
	s_wait_alu 0xfffe
	s_or_b32 exec_lo, exec_lo, s0
	s_wait_storecnt_dscnt 0x0
	s_barrier_signal -1
	s_barrier_wait -1
	global_inv scope:SCOPE_SE
	s_clause 0x9
	scratch_load_b128 v[68:71], off, off offset:112
	scratch_load_b128 v[72:75], off, off offset:128
	;; [unrolled: 1-line block ×9, first 2 shown]
	scratch_load_b64 v[140:141], off, off offset:104
	ds_load_b128 v[104:107], v65 offset:368
	ds_load_b128 v[108:111], v65 offset:384
	;; [unrolled: 1-line block ×9, first 2 shown]
	s_mov_b32 s0, exec_lo
	s_wait_loadcnt_dscnt 0x908
	v_dual_mul_f32 v65, v104, v69 :: v_dual_mul_f32 v66, v106, v71
	v_mul_f32_e32 v69, v105, v69
	s_wait_loadcnt_dscnt 0x807
	v_dual_mul_f32 v71, v107, v71 :: v_dual_mul_f32 v142, v108, v73
	s_delay_alu instid0(VALU_DEP_3) | instskip(NEXT) | instid1(VALU_DEP_3)
	v_dual_mul_f32 v143, v110, v75 :: v_dual_fmac_f32 v66, v107, v70
	v_fma_f32 v69, v104, v68, -v69
	v_fmac_f32_e32 v65, v105, v68
	v_mul_f32_e32 v68, v109, v73
	v_fma_f32 v70, v106, v70, -v71
	v_mul_f32_e32 v71, v111, v75
	v_dual_add_f32 v69, 0, v69 :: v_dual_fmac_f32 v142, v109, v72
	s_delay_alu instid0(VALU_DEP_4) | instskip(SKIP_2) | instid1(VALU_DEP_3)
	v_fma_f32 v68, v108, v72, -v68
	s_wait_loadcnt_dscnt 0x706
	v_dual_mul_f32 v144, v112, v77 :: v_dual_mul_f32 v145, v114, v79
	v_add_f32_e32 v69, v69, v70
	v_fmac_f32_e32 v143, v111, v74
	v_fma_f32 v70, v110, v74, -v71
	s_wait_loadcnt_dscnt 0x605
	v_dual_mul_f32 v146, v116, v81 :: v_dual_mul_f32 v147, v118, v83
	v_dual_add_f32 v68, v69, v68 :: v_dual_mul_f32 v69, v115, v79
	v_fmac_f32_e32 v144, v113, v76
	s_wait_loadcnt_dscnt 0x504
	v_dual_mul_f32 v148, v120, v85 :: v_dual_mul_f32 v149, v122, v87
	s_delay_alu instid0(VALU_DEP_3) | instskip(SKIP_3) | instid1(VALU_DEP_4)
	v_dual_add_f32 v68, v68, v70 :: v_dual_add_f32 v65, 0, v65
	v_mul_f32_e32 v70, v117, v81
	v_fma_f32 v69, v114, v78, -v69
	v_dual_fmac_f32 v145, v115, v78 :: v_dual_fmac_f32 v146, v117, v80
	v_add_f32_e32 v65, v65, v66
	v_mul_f32_e32 v66, v113, v77
	v_fma_f32 v70, v116, v80, -v70
	v_dual_fmac_f32 v147, v119, v82 :: v_dual_fmac_f32 v148, v121, v84
	s_wait_loadcnt_dscnt 0x403
	v_dual_mul_f32 v150, v124, v89 :: v_dual_mul_f32 v151, v126, v91
	v_fma_f32 v66, v112, v76, -v66
	s_wait_loadcnt_dscnt 0x302
	v_dual_mul_f32 v152, v128, v93 :: v_dual_mul_f32 v153, v130, v95
	s_wait_loadcnt_dscnt 0x201
	v_dual_mul_f32 v154, v132, v97 :: v_dual_mul_f32 v155, v134, v99
	v_add_f32_e32 v66, v68, v66
	v_mul_f32_e32 v68, v119, v83
	v_dual_fmac_f32 v152, v129, v92 :: v_dual_fmac_f32 v153, v131, v94
	s_delay_alu instid0(VALU_DEP_4) | instskip(NEXT) | instid1(VALU_DEP_4)
	v_dual_fmac_f32 v154, v133, v96 :: v_dual_fmac_f32 v155, v135, v98
	v_dual_add_f32 v66, v66, v69 :: v_dual_add_f32 v65, v65, v142
	v_mul_f32_e32 v69, v121, v85
	v_fma_f32 v68, v118, v82, -v68
	v_fmac_f32_e32 v149, v123, v86
	s_delay_alu instid0(VALU_DEP_4)
	v_add_f32_e32 v66, v66, v70
	v_mul_f32_e32 v70, v123, v87
	v_add_f32_e32 v65, v65, v143
	v_fma_f32 v69, v120, v84, -v69
	v_fmac_f32_e32 v150, v125, v88
	v_add_f32_e32 v66, v66, v68
	v_mul_f32_e32 v68, v125, v89
	v_add_f32_e32 v65, v65, v144
	v_fma_f32 v70, v122, v86, -v70
	s_delay_alu instid0(VALU_DEP_4) | instskip(SKIP_1) | instid1(VALU_DEP_4)
	v_dual_fmac_f32 v151, v127, v90 :: v_dual_add_f32 v66, v66, v69
	v_mul_f32_e32 v69, v127, v91
	v_add_f32_e32 v65, v65, v145
	v_fma_f32 v68, v124, v88, -v68
	s_wait_loadcnt_dscnt 0x100
	v_dual_mul_f32 v156, v136, v101 :: v_dual_mul_f32 v157, v138, v103
	v_add_f32_e32 v66, v66, v70
	v_add_f32_e32 v65, v65, v146
	v_fma_f32 v69, v126, v90, -v69
	v_mul_f32_e32 v70, v129, v93
	v_dual_fmac_f32 v156, v137, v100 :: v_dual_fmac_f32 v157, v139, v102
	s_delay_alu instid0(VALU_DEP_4) | instskip(SKIP_1) | instid1(VALU_DEP_4)
	v_dual_add_f32 v66, v66, v68 :: v_dual_add_f32 v65, v65, v147
	v_mul_f32_e32 v68, v131, v95
	v_fma_f32 v70, v128, v92, -v70
	s_delay_alu instid0(VALU_DEP_3) | instskip(SKIP_1) | instid1(VALU_DEP_4)
	v_dual_add_f32 v66, v66, v69 :: v_dual_add_f32 v65, v65, v148
	v_mul_f32_e32 v69, v133, v97
	v_fma_f32 v68, v130, v94, -v68
	s_delay_alu instid0(VALU_DEP_3) | instskip(SKIP_1) | instid1(VALU_DEP_4)
	;; [unrolled: 4-line block ×4, first 2 shown]
	v_dual_add_f32 v66, v66, v69 :: v_dual_add_f32 v65, v65, v151
	v_mul_f32_e32 v69, v139, v103
	v_fma_f32 v68, v136, v100, -v68
	s_delay_alu instid0(VALU_DEP_3) | instskip(NEXT) | instid1(VALU_DEP_3)
	v_dual_add_f32 v66, v66, v70 :: v_dual_add_f32 v65, v65, v152
	v_fma_f32 v69, v138, v102, -v69
	s_delay_alu instid0(VALU_DEP_2) | instskip(NEXT) | instid1(VALU_DEP_1)
	v_dual_add_f32 v66, v66, v68 :: v_dual_add_f32 v65, v65, v153
	v_dual_add_f32 v66, v66, v69 :: v_dual_add_f32 v65, v65, v154
	s_delay_alu instid0(VALU_DEP_1) | instskip(NEXT) | instid1(VALU_DEP_1)
	v_add_f32_e32 v65, v65, v155
	v_add_f32_e32 v65, v65, v156
	s_wait_loadcnt 0x0
	s_delay_alu instid0(VALU_DEP_1) | instskip(NEXT) | instid1(VALU_DEP_1)
	v_dual_add_f32 v68, v65, v157 :: v_dual_sub_f32 v65, v140, v66
	v_sub_f32_e32 v66, v141, v68
	scratch_store_b64 off, v[65:66], off offset:104
	v_cmpx_lt_u32_e32 12, v0
	s_cbranch_execz .LBB95_181
; %bb.180:
	scratch_load_b64 v[65:66], off, off offset:96
	v_mov_b32_e32 v68, 0
	s_delay_alu instid0(VALU_DEP_1)
	v_mov_b32_e32 v69, v68
	scratch_store_b64 off, v[68:69], off offset:96
	s_wait_loadcnt 0x0
	ds_store_b64 v67, v[65:66]
.LBB95_181:
	s_wait_alu 0xfffe
	s_or_b32 exec_lo, exec_lo, s0
	s_wait_storecnt_dscnt 0x0
	s_barrier_signal -1
	s_barrier_wait -1
	global_inv scope:SCOPE_SE
	s_clause 0xa
	scratch_load_b128 v[68:71], off, off offset:104
	scratch_load_b128 v[72:75], off, off offset:120
	;; [unrolled: 1-line block ×9, first 2 shown]
	scratch_load_b64 v[140:141], off, off offset:248
	scratch_load_b64 v[142:143], off, off offset:96
	v_mov_b32_e32 v65, 0
	ds_load_2addr_b64 v[104:107], v65 offset0:45 offset1:46
	ds_load_2addr_b64 v[108:111], v65 offset0:47 offset1:48
	;; [unrolled: 1-line block ×9, first 2 shown]
	ds_load_b64 v[144:145], v65 offset:504
	s_mov_b32 s0, exec_lo
	s_wait_loadcnt_dscnt 0xa09
	v_mul_f32_e32 v66, v104, v69
	s_wait_loadcnt_dscnt 0x908
	v_dual_mul_f32 v146, v106, v71 :: v_dual_mul_f32 v147, v108, v73
	v_mul_f32_e32 v69, v105, v69
	s_delay_alu instid0(VALU_DEP_3)
	v_dual_mul_f32 v71, v107, v71 :: v_dual_fmac_f32 v66, v105, v68
	s_wait_loadcnt_dscnt 0x807
	v_dual_mul_f32 v148, v110, v75 :: v_dual_mul_f32 v149, v112, v77
	s_wait_loadcnt_dscnt 0x100
	v_dual_mul_f32 v160, v134, v99 :: v_dual_mul_f32 v163, v144, v141
	v_fma_f32 v69, v104, v68, -v69
	v_mul_f32_e32 v68, v109, v73
	v_fmac_f32_e32 v146, v107, v70
	v_fma_f32 v70, v106, v70, -v71
	v_dual_add_f32 v66, 0, v66 :: v_dual_mul_f32 v71, v111, v75
	v_add_f32_e32 v69, 0, v69
	v_fmac_f32_e32 v147, v109, v72
	v_fma_f32 v68, v108, v72, -v68
	s_delay_alu instid0(VALU_DEP_4)
	v_add_f32_e32 v66, v66, v146
	v_fma_f32 v71, v110, v74, -v71
	v_add_f32_e32 v69, v69, v70
	v_mul_f32_e32 v70, v113, v77
	v_dual_mul_f32 v152, v118, v83 :: v_dual_mul_f32 v153, v120, v85
	v_add_f32_e32 v66, v66, v147
	s_delay_alu instid0(VALU_DEP_4) | instskip(NEXT) | instid1(VALU_DEP_4)
	v_dual_add_f32 v68, v69, v68 :: v_dual_mul_f32 v69, v115, v79
	v_fma_f32 v70, v112, v76, -v70
	v_dual_mul_f32 v154, v122, v87 :: v_dual_mul_f32 v155, v124, v89
	s_delay_alu instid0(VALU_DEP_3) | instskip(NEXT) | instid1(VALU_DEP_4)
	v_dual_add_f32 v68, v68, v71 :: v_dual_mul_f32 v71, v117, v81
	v_fma_f32 v69, v114, v78, -v69
	v_dual_mul_f32 v156, v126, v91 :: v_dual_mul_f32 v157, v128, v93
	s_delay_alu instid0(VALU_DEP_3) | instskip(SKIP_3) | instid1(VALU_DEP_4)
	v_dual_add_f32 v68, v68, v70 :: v_dual_fmac_f32 v153, v121, v84
	v_dual_fmac_f32 v148, v111, v74 :: v_dual_fmac_f32 v149, v113, v76
	v_dual_mul_f32 v70, v119, v83 :: v_dual_fmac_f32 v155, v125, v88
	v_fma_f32 v71, v116, v80, -v71
	v_dual_add_f32 v68, v68, v69 :: v_dual_fmac_f32 v157, v129, v92
	v_dual_mul_f32 v158, v130, v95 :: v_dual_mul_f32 v159, v132, v97
	v_dual_add_f32 v66, v66, v148 :: v_dual_mul_f32 v69, v121, v85
	v_fma_f32 v70, v118, v82, -v70
	s_delay_alu instid0(VALU_DEP_3) | instskip(SKIP_1) | instid1(VALU_DEP_4)
	v_dual_add_f32 v68, v68, v71 :: v_dual_fmac_f32 v159, v133, v96
	v_mul_f32_e32 v71, v123, v87
	v_fma_f32 v69, v120, v84, -v69
	v_dual_mul_f32 v150, v114, v79 :: v_dual_mul_f32 v151, v116, v81
	s_delay_alu instid0(VALU_DEP_4) | instskip(SKIP_2) | instid1(VALU_DEP_4)
	v_add_f32_e32 v68, v68, v70
	v_mul_f32_e32 v70, v125, v89
	v_fma_f32 v71, v122, v86, -v71
	v_dual_fmac_f32 v150, v115, v78 :: v_dual_fmac_f32 v151, v117, v80
	s_delay_alu instid0(VALU_DEP_4) | instskip(SKIP_2) | instid1(VALU_DEP_3)
	v_dual_add_f32 v68, v68, v69 :: v_dual_fmac_f32 v163, v145, v140
	v_dual_add_f32 v66, v66, v149 :: v_dual_mul_f32 v69, v127, v91
	v_fma_f32 v70, v124, v88, -v70
	v_dual_add_f32 v68, v68, v71 :: v_dual_mul_f32 v71, v129, v93
	s_delay_alu instid0(VALU_DEP_3) | instskip(NEXT) | instid1(VALU_DEP_4)
	v_add_f32_e32 v66, v66, v150
	v_fma_f32 v69, v126, v90, -v69
	v_dual_mul_f32 v161, v136, v101 :: v_dual_mul_f32 v162, v138, v103
	s_delay_alu instid0(VALU_DEP_4)
	v_add_f32_e32 v68, v68, v70
	v_mul_f32_e32 v70, v131, v95
	v_fma_f32 v71, v128, v92, -v71
	v_fmac_f32_e32 v152, v119, v82
	v_dual_add_f32 v66, v66, v151 :: v_dual_fmac_f32 v161, v137, v100
	v_add_f32_e32 v68, v68, v69
	v_mul_f32_e32 v69, v133, v97
	v_fma_f32 v70, v130, v94, -v70
	s_delay_alu instid0(VALU_DEP_4)
	v_add_f32_e32 v66, v66, v152
	v_fmac_f32_e32 v154, v123, v86
	v_add_f32_e32 v68, v68, v71
	v_mul_f32_e32 v71, v135, v99
	v_fma_f32 v69, v132, v96, -v69
	v_fmac_f32_e32 v156, v127, v90
	v_fmac_f32_e32 v158, v131, v94
	v_add_f32_e32 v68, v68, v70
	v_fma_f32 v71, v134, v98, -v71
	v_mul_f32_e32 v70, v137, v101
	v_fmac_f32_e32 v160, v135, v98
	v_fmac_f32_e32 v162, v139, v102
	v_dual_add_f32 v68, v68, v69 :: v_dual_mul_f32 v69, v139, v103
	v_add_f32_e32 v66, v66, v153
	v_fma_f32 v70, v136, v100, -v70
	s_delay_alu instid0(VALU_DEP_3) | instskip(NEXT) | instid1(VALU_DEP_3)
	v_dual_add_f32 v68, v68, v71 :: v_dual_mul_f32 v71, v145, v141
	v_add_f32_e32 v66, v66, v154
	v_fma_f32 v69, v138, v102, -v69
	s_delay_alu instid0(VALU_DEP_3) | instskip(NEXT) | instid1(VALU_DEP_4)
	v_add_f32_e32 v68, v68, v70
	v_fma_f32 v70, v144, v140, -v71
	s_delay_alu instid0(VALU_DEP_4) | instskip(NEXT) | instid1(VALU_DEP_3)
	v_add_f32_e32 v66, v66, v155
	v_add_f32_e32 v68, v68, v69
	s_delay_alu instid0(VALU_DEP_2) | instskip(NEXT) | instid1(VALU_DEP_2)
	v_add_f32_e32 v66, v66, v156
	v_add_f32_e32 v68, v68, v70
	s_delay_alu instid0(VALU_DEP_2) | instskip(SKIP_1) | instid1(VALU_DEP_2)
	v_add_f32_e32 v66, v66, v157
	s_wait_loadcnt 0x0
	v_sub_f32_e32 v68, v142, v68
	s_delay_alu instid0(VALU_DEP_2) | instskip(NEXT) | instid1(VALU_DEP_1)
	v_add_f32_e32 v66, v66, v158
	v_add_f32_e32 v66, v66, v159
	s_delay_alu instid0(VALU_DEP_1) | instskip(NEXT) | instid1(VALU_DEP_1)
	v_add_f32_e32 v66, v66, v160
	v_add_f32_e32 v66, v66, v161
	s_delay_alu instid0(VALU_DEP_1) | instskip(NEXT) | instid1(VALU_DEP_1)
	v_add_f32_e32 v66, v66, v162
	v_add_f32_e32 v66, v66, v163
	s_delay_alu instid0(VALU_DEP_1)
	v_sub_f32_e32 v69, v143, v66
	scratch_store_b64 off, v[68:69], off offset:96
	v_cmpx_lt_u32_e32 11, v0
	s_cbranch_execz .LBB95_183
; %bb.182:
	scratch_load_b64 v[68:69], off, off offset:88
	v_mov_b32_e32 v66, v65
	scratch_store_b64 off, v[65:66], off offset:88
	s_wait_loadcnt 0x0
	ds_store_b64 v67, v[68:69]
.LBB95_183:
	s_wait_alu 0xfffe
	s_or_b32 exec_lo, exec_lo, s0
	s_wait_storecnt_dscnt 0x0
	s_barrier_signal -1
	s_barrier_wait -1
	global_inv scope:SCOPE_SE
	s_clause 0xa
	scratch_load_b128 v[68:71], off, off offset:96
	scratch_load_b128 v[72:75], off, off offset:112
	;; [unrolled: 1-line block ×10, first 2 shown]
	scratch_load_b64 v[148:149], off, off offset:88
	ds_load_b128 v[108:111], v65 offset:352
	ds_load_b128 v[112:115], v65 offset:368
	;; [unrolled: 1-line block ×10, first 2 shown]
	s_mov_b32 s0, exec_lo
	s_wait_loadcnt_dscnt 0xa09
	v_dual_mul_f32 v65, v108, v69 :: v_dual_mul_f32 v66, v110, v71
	v_mul_f32_e32 v69, v109, v69
	s_wait_loadcnt_dscnt 0x908
	v_dual_mul_f32 v71, v111, v71 :: v_dual_mul_f32 v150, v112, v73
	s_delay_alu instid0(VALU_DEP_3) | instskip(NEXT) | instid1(VALU_DEP_3)
	v_dual_mul_f32 v151, v114, v75 :: v_dual_fmac_f32 v66, v111, v70
	v_fma_f32 v69, v108, v68, -v69
	v_fmac_f32_e32 v65, v109, v68
	v_mul_f32_e32 v68, v113, v73
	v_fma_f32 v70, v110, v70, -v71
	v_mul_f32_e32 v71, v115, v75
	v_dual_add_f32 v69, 0, v69 :: v_dual_fmac_f32 v150, v113, v72
	s_delay_alu instid0(VALU_DEP_4) | instskip(SKIP_2) | instid1(VALU_DEP_3)
	v_fma_f32 v68, v112, v72, -v68
	s_wait_loadcnt_dscnt 0x807
	v_dual_mul_f32 v152, v116, v77 :: v_dual_mul_f32 v153, v118, v79
	v_add_f32_e32 v69, v69, v70
	v_fmac_f32_e32 v151, v115, v74
	v_fma_f32 v70, v114, v74, -v71
	s_wait_loadcnt_dscnt 0x706
	v_dual_mul_f32 v154, v120, v81 :: v_dual_mul_f32 v155, v122, v83
	v_dual_add_f32 v68, v69, v68 :: v_dual_mul_f32 v69, v119, v79
	v_fmac_f32_e32 v152, v117, v76
	s_wait_loadcnt_dscnt 0x605
	v_dual_mul_f32 v156, v124, v85 :: v_dual_mul_f32 v157, v126, v87
	s_delay_alu instid0(VALU_DEP_3) | instskip(SKIP_3) | instid1(VALU_DEP_4)
	v_dual_add_f32 v68, v68, v70 :: v_dual_add_f32 v65, 0, v65
	v_mul_f32_e32 v70, v121, v81
	v_fma_f32 v69, v118, v78, -v69
	v_dual_fmac_f32 v153, v119, v78 :: v_dual_fmac_f32 v154, v121, v80
	v_add_f32_e32 v65, v65, v66
	v_mul_f32_e32 v66, v117, v77
	v_fma_f32 v70, v120, v80, -v70
	v_dual_fmac_f32 v155, v123, v82 :: v_dual_fmac_f32 v156, v125, v84
	s_wait_loadcnt_dscnt 0x504
	v_dual_mul_f32 v158, v128, v89 :: v_dual_mul_f32 v159, v130, v91
	v_fma_f32 v66, v116, v76, -v66
	s_wait_loadcnt_dscnt 0x403
	v_dual_mul_f32 v160, v132, v93 :: v_dual_mul_f32 v161, v134, v95
	s_wait_loadcnt_dscnt 0x302
	v_dual_mul_f32 v162, v136, v97 :: v_dual_mul_f32 v163, v138, v99
	v_add_f32_e32 v66, v68, v66
	v_mul_f32_e32 v68, v123, v83
	v_dual_fmac_f32 v160, v133, v92 :: v_dual_fmac_f32 v161, v135, v94
	s_delay_alu instid0(VALU_DEP_4) | instskip(NEXT) | instid1(VALU_DEP_4)
	v_dual_fmac_f32 v162, v137, v96 :: v_dual_fmac_f32 v163, v139, v98
	v_dual_add_f32 v66, v66, v69 :: v_dual_add_f32 v65, v65, v150
	v_mul_f32_e32 v69, v125, v85
	v_fma_f32 v68, v122, v82, -v68
	v_fmac_f32_e32 v157, v127, v86
	s_delay_alu instid0(VALU_DEP_4)
	v_add_f32_e32 v66, v66, v70
	v_mul_f32_e32 v70, v127, v87
	v_add_f32_e32 v65, v65, v151
	v_fma_f32 v69, v124, v84, -v69
	v_fmac_f32_e32 v158, v129, v88
	v_add_f32_e32 v66, v66, v68
	v_mul_f32_e32 v68, v129, v89
	v_add_f32_e32 v65, v65, v152
	v_fma_f32 v70, v126, v86, -v70
	s_delay_alu instid0(VALU_DEP_4) | instskip(SKIP_1) | instid1(VALU_DEP_4)
	v_dual_fmac_f32 v159, v131, v90 :: v_dual_add_f32 v66, v66, v69
	v_mul_f32_e32 v69, v131, v91
	v_add_f32_e32 v65, v65, v153
	v_fma_f32 v68, v128, v88, -v68
	s_wait_loadcnt_dscnt 0x201
	v_dual_mul_f32 v164, v140, v101 :: v_dual_mul_f32 v165, v142, v103
	v_add_f32_e32 v66, v66, v70
	v_add_f32_e32 v65, v65, v154
	v_fma_f32 v69, v130, v90, -v69
	v_mul_f32_e32 v70, v133, v93
	s_wait_loadcnt_dscnt 0x100
	v_dual_mul_f32 v166, v144, v105 :: v_dual_mul_f32 v167, v146, v107
	v_dual_add_f32 v66, v66, v68 :: v_dual_add_f32 v65, v65, v155
	v_mul_f32_e32 v68, v135, v95
	v_fma_f32 v70, v132, v92, -v70
	v_dual_fmac_f32 v164, v141, v100 :: v_dual_fmac_f32 v165, v143, v102
	s_delay_alu instid0(VALU_DEP_4) | instskip(SKIP_3) | instid1(VALU_DEP_4)
	v_dual_add_f32 v66, v66, v69 :: v_dual_add_f32 v65, v65, v156
	v_mul_f32_e32 v69, v137, v97
	v_fma_f32 v68, v134, v94, -v68
	v_fmac_f32_e32 v167, v147, v106
	v_dual_add_f32 v66, v66, v70 :: v_dual_add_f32 v65, v65, v157
	v_mul_f32_e32 v70, v139, v99
	v_fma_f32 v69, v136, v96, -v69
	s_delay_alu instid0(VALU_DEP_3) | instskip(SKIP_1) | instid1(VALU_DEP_4)
	v_dual_add_f32 v66, v66, v68 :: v_dual_add_f32 v65, v65, v158
	v_mul_f32_e32 v68, v141, v101
	v_fma_f32 v70, v138, v98, -v70
	s_delay_alu instid0(VALU_DEP_3) | instskip(SKIP_1) | instid1(VALU_DEP_4)
	;; [unrolled: 4-line block ×4, first 2 shown]
	v_dual_add_f32 v66, v66, v68 :: v_dual_add_f32 v65, v65, v161
	v_mul_f32_e32 v68, v147, v107
	v_fma_f32 v70, v144, v104, -v70
	s_delay_alu instid0(VALU_DEP_3) | instskip(NEXT) | instid1(VALU_DEP_3)
	v_dual_add_f32 v66, v66, v69 :: v_dual_add_f32 v65, v65, v162
	v_fma_f32 v68, v146, v106, -v68
	s_delay_alu instid0(VALU_DEP_2) | instskip(NEXT) | instid1(VALU_DEP_1)
	v_dual_add_f32 v66, v66, v70 :: v_dual_add_f32 v65, v65, v163
	v_add_f32_e32 v66, v66, v68
	s_delay_alu instid0(VALU_DEP_2) | instskip(SKIP_1) | instid1(VALU_DEP_2)
	v_add_f32_e32 v65, v65, v164
	v_fmac_f32_e32 v166, v145, v104
	v_add_f32_e32 v65, v65, v165
	s_delay_alu instid0(VALU_DEP_1) | instskip(SKIP_1) | instid1(VALU_DEP_1)
	v_add_f32_e32 v65, v65, v166
	s_wait_loadcnt 0x0
	v_dual_add_f32 v68, v65, v167 :: v_dual_sub_f32 v65, v148, v66
	s_delay_alu instid0(VALU_DEP_1)
	v_sub_f32_e32 v66, v149, v68
	scratch_store_b64 off, v[65:66], off offset:88
	v_cmpx_lt_u32_e32 10, v0
	s_cbranch_execz .LBB95_185
; %bb.184:
	scratch_load_b64 v[65:66], off, off offset:80
	v_mov_b32_e32 v68, 0
	s_delay_alu instid0(VALU_DEP_1)
	v_mov_b32_e32 v69, v68
	scratch_store_b64 off, v[68:69], off offset:80
	s_wait_loadcnt 0x0
	ds_store_b64 v67, v[65:66]
.LBB95_185:
	s_wait_alu 0xfffe
	s_or_b32 exec_lo, exec_lo, s0
	s_wait_storecnt_dscnt 0x0
	s_barrier_signal -1
	s_barrier_wait -1
	global_inv scope:SCOPE_SE
	s_clause 0xb
	scratch_load_b128 v[68:71], off, off offset:88
	scratch_load_b128 v[72:75], off, off offset:104
	scratch_load_b128 v[76:79], off, off offset:120
	scratch_load_b128 v[80:83], off, off offset:136
	scratch_load_b128 v[84:87], off, off offset:152
	scratch_load_b128 v[88:91], off, off offset:168
	scratch_load_b128 v[92:95], off, off offset:184
	scratch_load_b128 v[96:99], off, off offset:200
	scratch_load_b128 v[100:103], off, off offset:216
	scratch_load_b128 v[104:107], off, off offset:232
	scratch_load_b64 v[148:149], off, off offset:248
	scratch_load_b64 v[150:151], off, off offset:80
	v_mov_b32_e32 v65, 0
	ds_load_2addr_b64 v[108:111], v65 offset0:43 offset1:44
	ds_load_2addr_b64 v[112:115], v65 offset0:45 offset1:46
	;; [unrolled: 1-line block ×10, first 2 shown]
	ds_load_b64 v[152:153], v65 offset:504
	s_mov_b32 s0, exec_lo
	s_wait_loadcnt_dscnt 0xb0a
	v_mul_f32_e32 v66, v108, v69
	s_wait_loadcnt_dscnt 0xa09
	v_dual_mul_f32 v154, v110, v71 :: v_dual_mul_f32 v155, v112, v73
	v_mul_f32_e32 v71, v111, v71
	v_dual_mul_f32 v69, v109, v69 :: v_dual_mul_f32 v156, v114, v75
	s_wait_loadcnt_dscnt 0x908
	v_dual_mul_f32 v157, v116, v77 :: v_dual_fmac_f32 v66, v109, v68
	s_wait_loadcnt_dscnt 0x302
	v_mul_f32_e32 v170, v142, v103
	v_fma_f32 v69, v108, v68, -v69
	s_wait_loadcnt_dscnt 0x100
	v_mul_f32_e32 v173, v152, v149
	v_mul_f32_e32 v68, v113, v73
	v_fmac_f32_e32 v154, v111, v70
	v_fma_f32 v70, v110, v70, -v71
	v_dual_add_f32 v69, 0, v69 :: v_dual_add_f32 v66, 0, v66
	v_mul_f32_e32 v71, v115, v75
	v_fmac_f32_e32 v155, v113, v72
	v_fma_f32 v68, v112, v72, -v68
	v_dual_mul_f32 v160, v122, v83 :: v_dual_mul_f32 v161, v124, v85
	v_add_f32_e32 v66, v66, v154
	v_add_f32_e32 v69, v69, v70
	v_mul_f32_e32 v70, v117, v77
	v_fma_f32 v71, v114, v74, -v71
	v_dual_mul_f32 v162, v126, v87 :: v_dual_mul_f32 v163, v128, v89
	v_add_f32_e32 v66, v66, v155
	v_dual_add_f32 v68, v69, v68 :: v_dual_mul_f32 v69, v119, v79
	v_fma_f32 v70, v116, v76, -v70
	v_dual_mul_f32 v164, v130, v91 :: v_dual_mul_f32 v165, v132, v93
	s_delay_alu instid0(VALU_DEP_3) | instskip(NEXT) | instid1(VALU_DEP_4)
	v_dual_add_f32 v68, v68, v71 :: v_dual_mul_f32 v71, v121, v81
	v_fma_f32 v69, v118, v78, -v69
	v_dual_fmac_f32 v156, v115, v74 :: v_dual_fmac_f32 v157, v117, v76
	s_delay_alu instid0(VALU_DEP_3) | instskip(SKIP_2) | instid1(VALU_DEP_3)
	v_dual_add_f32 v68, v68, v70 :: v_dual_fmac_f32 v161, v125, v84
	v_dual_mul_f32 v70, v123, v83 :: v_dual_fmac_f32 v163, v129, v88
	v_fma_f32 v71, v120, v80, -v71
	v_dual_add_f32 v68, v68, v69 :: v_dual_fmac_f32 v165, v133, v92
	v_dual_mul_f32 v166, v134, v95 :: v_dual_mul_f32 v167, v136, v97
	v_dual_add_f32 v66, v66, v156 :: v_dual_mul_f32 v69, v125, v85
	v_fma_f32 v70, v122, v82, -v70
	s_delay_alu instid0(VALU_DEP_3) | instskip(SKIP_1) | instid1(VALU_DEP_4)
	v_dual_add_f32 v68, v68, v71 :: v_dual_fmac_f32 v167, v137, v96
	v_mul_f32_e32 v71, v127, v87
	v_fma_f32 v69, v124, v84, -v69
	v_dual_mul_f32 v158, v118, v79 :: v_dual_mul_f32 v159, v120, v81
	s_delay_alu instid0(VALU_DEP_4) | instskip(SKIP_3) | instid1(VALU_DEP_3)
	v_add_f32_e32 v68, v68, v70
	v_dual_mul_f32 v171, v144, v105 :: v_dual_mul_f32 v172, v146, v107
	v_mul_f32_e32 v70, v129, v89
	v_fma_f32 v71, v126, v86, -v71
	v_dual_add_f32 v68, v68, v69 :: v_dual_fmac_f32 v171, v145, v104
	v_dual_fmac_f32 v158, v119, v78 :: v_dual_fmac_f32 v159, v121, v80
	v_dual_add_f32 v66, v66, v157 :: v_dual_mul_f32 v69, v131, v91
	v_fma_f32 v70, v128, v88, -v70
	s_delay_alu instid0(VALU_DEP_4) | instskip(NEXT) | instid1(VALU_DEP_3)
	v_dual_add_f32 v68, v68, v71 :: v_dual_mul_f32 v71, v133, v93
	v_add_f32_e32 v66, v66, v158
	s_delay_alu instid0(VALU_DEP_4) | instskip(SKIP_1) | instid1(VALU_DEP_4)
	v_fma_f32 v69, v130, v90, -v69
	v_dual_mul_f32 v168, v138, v99 :: v_dual_mul_f32 v169, v140, v101
	v_add_f32_e32 v68, v68, v70
	v_mul_f32_e32 v70, v135, v95
	v_fma_f32 v71, v132, v92, -v71
	v_fmac_f32_e32 v160, v123, v82
	v_dual_add_f32 v66, v66, v159 :: v_dual_fmac_f32 v169, v141, v100
	v_add_f32_e32 v68, v68, v69
	v_mul_f32_e32 v69, v137, v97
	v_fma_f32 v70, v134, v94, -v70
	s_delay_alu instid0(VALU_DEP_4)
	v_add_f32_e32 v66, v66, v160
	v_fmac_f32_e32 v162, v127, v86
	v_add_f32_e32 v68, v68, v71
	v_mul_f32_e32 v71, v139, v99
	v_fma_f32 v69, v136, v96, -v69
	v_dual_fmac_f32 v173, v153, v148 :: v_dual_fmac_f32 v164, v131, v90
	s_delay_alu instid0(VALU_DEP_4) | instskip(NEXT) | instid1(VALU_DEP_4)
	v_add_f32_e32 v68, v68, v70
	v_fma_f32 v71, v138, v98, -v71
	v_fmac_f32_e32 v166, v135, v94
	v_mul_f32_e32 v70, v141, v101
	v_fmac_f32_e32 v168, v139, v98
	v_dual_add_f32 v68, v68, v69 :: v_dual_mul_f32 v69, v143, v103
	v_add_f32_e32 v66, v66, v161
	s_delay_alu instid0(VALU_DEP_4) | instskip(SKIP_1) | instid1(VALU_DEP_4)
	v_fma_f32 v70, v140, v100, -v70
	v_fmac_f32_e32 v170, v143, v102
	v_dual_add_f32 v68, v68, v71 :: v_dual_mul_f32 v71, v145, v105
	s_delay_alu instid0(VALU_DEP_4) | instskip(SKIP_2) | instid1(VALU_DEP_4)
	v_add_f32_e32 v66, v66, v162
	v_fma_f32 v69, v142, v102, -v69
	v_fmac_f32_e32 v172, v147, v106
	v_add_f32_e32 v68, v68, v70
	v_mul_f32_e32 v70, v147, v107
	v_add_f32_e32 v66, v66, v163
	v_fma_f32 v71, v144, v104, -v71
	s_delay_alu instid0(VALU_DEP_4) | instskip(NEXT) | instid1(VALU_DEP_3)
	v_add_f32_e32 v68, v68, v69
	v_dual_mul_f32 v69, v153, v149 :: v_dual_add_f32 v66, v66, v164
	v_fma_f32 v70, v146, v106, -v70
	s_delay_alu instid0(VALU_DEP_3) | instskip(NEXT) | instid1(VALU_DEP_3)
	v_add_f32_e32 v68, v68, v71
	v_fma_f32 v69, v152, v148, -v69
	s_delay_alu instid0(VALU_DEP_4) | instskip(NEXT) | instid1(VALU_DEP_3)
	v_add_f32_e32 v66, v66, v165
	v_add_f32_e32 v68, v68, v70
	s_delay_alu instid0(VALU_DEP_2) | instskip(NEXT) | instid1(VALU_DEP_2)
	v_add_f32_e32 v66, v66, v166
	v_add_f32_e32 v68, v68, v69
	s_delay_alu instid0(VALU_DEP_2) | instskip(SKIP_1) | instid1(VALU_DEP_2)
	v_add_f32_e32 v66, v66, v167
	s_wait_loadcnt 0x0
	v_sub_f32_e32 v68, v150, v68
	s_delay_alu instid0(VALU_DEP_2) | instskip(NEXT) | instid1(VALU_DEP_1)
	v_add_f32_e32 v66, v66, v168
	v_add_f32_e32 v66, v66, v169
	s_delay_alu instid0(VALU_DEP_1) | instskip(NEXT) | instid1(VALU_DEP_1)
	v_add_f32_e32 v66, v66, v170
	v_add_f32_e32 v66, v66, v171
	s_delay_alu instid0(VALU_DEP_1) | instskip(NEXT) | instid1(VALU_DEP_1)
	v_add_f32_e32 v66, v66, v172
	v_add_f32_e32 v66, v66, v173
	s_delay_alu instid0(VALU_DEP_1)
	v_sub_f32_e32 v69, v151, v66
	scratch_store_b64 off, v[68:69], off offset:80
	v_cmpx_lt_u32_e32 9, v0
	s_cbranch_execz .LBB95_187
; %bb.186:
	scratch_load_b64 v[68:69], off, off offset:72
	v_mov_b32_e32 v66, v65
	scratch_store_b64 off, v[65:66], off offset:72
	s_wait_loadcnt 0x0
	ds_store_b64 v67, v[68:69]
.LBB95_187:
	s_wait_alu 0xfffe
	s_or_b32 exec_lo, exec_lo, s0
	s_wait_storecnt_dscnt 0x0
	s_barrier_signal -1
	s_barrier_wait -1
	global_inv scope:SCOPE_SE
	s_clause 0xb
	scratch_load_b128 v[68:71], off, off offset:80
	scratch_load_b128 v[72:75], off, off offset:96
	;; [unrolled: 1-line block ×11, first 2 shown]
	scratch_load_b64 v[156:157], off, off offset:72
	ds_load_b128 v[112:115], v65 offset:336
	ds_load_b128 v[116:119], v65 offset:352
	;; [unrolled: 1-line block ×11, first 2 shown]
	s_mov_b32 s0, exec_lo
	s_wait_loadcnt_dscnt 0xb0a
	v_dual_mul_f32 v65, v112, v69 :: v_dual_mul_f32 v66, v114, v71
	v_mul_f32_e32 v69, v113, v69
	s_wait_loadcnt_dscnt 0xa09
	v_dual_mul_f32 v71, v115, v71 :: v_dual_mul_f32 v158, v116, v73
	s_delay_alu instid0(VALU_DEP_3) | instskip(NEXT) | instid1(VALU_DEP_3)
	v_dual_mul_f32 v159, v118, v75 :: v_dual_fmac_f32 v66, v115, v70
	v_fma_f32 v69, v112, v68, -v69
	v_fmac_f32_e32 v65, v113, v68
	v_mul_f32_e32 v68, v117, v73
	v_fma_f32 v70, v114, v70, -v71
	v_mul_f32_e32 v71, v119, v75
	v_dual_add_f32 v69, 0, v69 :: v_dual_fmac_f32 v158, v117, v72
	s_delay_alu instid0(VALU_DEP_4) | instskip(SKIP_2) | instid1(VALU_DEP_3)
	v_fma_f32 v68, v116, v72, -v68
	s_wait_loadcnt_dscnt 0x908
	v_dual_mul_f32 v160, v120, v77 :: v_dual_mul_f32 v161, v122, v79
	v_add_f32_e32 v69, v69, v70
	v_fmac_f32_e32 v159, v119, v74
	v_fma_f32 v70, v118, v74, -v71
	s_wait_loadcnt_dscnt 0x807
	v_dual_mul_f32 v162, v124, v81 :: v_dual_mul_f32 v163, v126, v83
	v_dual_add_f32 v68, v69, v68 :: v_dual_mul_f32 v69, v123, v79
	v_fmac_f32_e32 v160, v121, v76
	s_wait_loadcnt_dscnt 0x706
	v_dual_mul_f32 v164, v128, v85 :: v_dual_mul_f32 v165, v130, v87
	s_delay_alu instid0(VALU_DEP_3) | instskip(SKIP_3) | instid1(VALU_DEP_4)
	v_dual_add_f32 v68, v68, v70 :: v_dual_add_f32 v65, 0, v65
	v_mul_f32_e32 v70, v125, v81
	v_fma_f32 v69, v122, v78, -v69
	v_dual_fmac_f32 v161, v123, v78 :: v_dual_fmac_f32 v162, v125, v80
	v_add_f32_e32 v65, v65, v66
	v_mul_f32_e32 v66, v121, v77
	v_fma_f32 v70, v124, v80, -v70
	v_dual_fmac_f32 v163, v127, v82 :: v_dual_fmac_f32 v164, v129, v84
	s_wait_loadcnt_dscnt 0x605
	v_dual_mul_f32 v166, v132, v89 :: v_dual_mul_f32 v167, v134, v91
	v_fma_f32 v66, v120, v76, -v66
	s_wait_loadcnt_dscnt 0x504
	v_dual_mul_f32 v168, v136, v93 :: v_dual_mul_f32 v169, v138, v95
	s_wait_loadcnt_dscnt 0x403
	v_dual_mul_f32 v170, v140, v97 :: v_dual_mul_f32 v171, v142, v99
	v_add_f32_e32 v66, v68, v66
	v_mul_f32_e32 v68, v127, v83
	v_dual_fmac_f32 v168, v137, v92 :: v_dual_fmac_f32 v169, v139, v94
	s_delay_alu instid0(VALU_DEP_4) | instskip(NEXT) | instid1(VALU_DEP_4)
	v_dual_fmac_f32 v170, v141, v96 :: v_dual_fmac_f32 v171, v143, v98
	v_dual_add_f32 v66, v66, v69 :: v_dual_add_f32 v65, v65, v158
	v_mul_f32_e32 v69, v129, v85
	v_fma_f32 v68, v126, v82, -v68
	v_fmac_f32_e32 v165, v131, v86
	s_delay_alu instid0(VALU_DEP_4)
	v_add_f32_e32 v66, v66, v70
	v_mul_f32_e32 v70, v131, v87
	v_add_f32_e32 v65, v65, v159
	v_fma_f32 v69, v128, v84, -v69
	v_fmac_f32_e32 v166, v133, v88
	v_add_f32_e32 v66, v66, v68
	v_mul_f32_e32 v68, v133, v89
	v_add_f32_e32 v65, v65, v160
	v_fma_f32 v70, v130, v86, -v70
	s_delay_alu instid0(VALU_DEP_4) | instskip(SKIP_1) | instid1(VALU_DEP_4)
	v_dual_fmac_f32 v167, v135, v90 :: v_dual_add_f32 v66, v66, v69
	v_mul_f32_e32 v69, v135, v91
	v_add_f32_e32 v65, v65, v161
	v_fma_f32 v68, v132, v88, -v68
	s_wait_loadcnt_dscnt 0x302
	v_dual_mul_f32 v172, v144, v101 :: v_dual_mul_f32 v173, v146, v103
	v_add_f32_e32 v66, v66, v70
	v_add_f32_e32 v65, v65, v162
	v_fma_f32 v69, v134, v90, -v69
	v_mul_f32_e32 v70, v137, v93
	s_wait_loadcnt_dscnt 0x201
	v_dual_mul_f32 v174, v148, v105 :: v_dual_mul_f32 v175, v150, v107
	v_dual_add_f32 v66, v66, v68 :: v_dual_add_f32 v65, v65, v163
	v_mul_f32_e32 v68, v139, v95
	v_fma_f32 v70, v136, v92, -v70
	v_dual_fmac_f32 v172, v145, v100 :: v_dual_fmac_f32 v173, v147, v102
	s_delay_alu instid0(VALU_DEP_4)
	v_dual_add_f32 v66, v66, v69 :: v_dual_add_f32 v65, v65, v164
	v_mul_f32_e32 v69, v141, v97
	v_fma_f32 v68, v138, v94, -v68
	s_wait_loadcnt_dscnt 0x100
	v_dual_mul_f32 v176, v152, v109 :: v_dual_mul_f32 v177, v154, v111
	v_dual_add_f32 v65, v65, v165 :: v_dual_add_f32 v66, v66, v70
	v_mul_f32_e32 v70, v143, v99
	v_fma_f32 v69, v140, v96, -v69
	s_delay_alu instid0(VALU_DEP_4) | instskip(NEXT) | instid1(VALU_DEP_4)
	v_dual_fmac_f32 v174, v149, v104 :: v_dual_fmac_f32 v177, v155, v110
	v_dual_add_f32 v65, v65, v166 :: v_dual_add_f32 v66, v66, v68
	v_mul_f32_e32 v68, v145, v101
	v_fma_f32 v70, v142, v98, -v70
	v_fmac_f32_e32 v175, v151, v106
	s_delay_alu instid0(VALU_DEP_4) | instskip(SKIP_2) | instid1(VALU_DEP_3)
	v_dual_add_f32 v65, v65, v167 :: v_dual_add_f32 v66, v66, v69
	v_mul_f32_e32 v69, v147, v103
	v_fma_f32 v68, v144, v100, -v68
	v_dual_add_f32 v65, v65, v168 :: v_dual_add_f32 v66, v66, v70
	v_mul_f32_e32 v70, v149, v105
	s_delay_alu instid0(VALU_DEP_4) | instskip(NEXT) | instid1(VALU_DEP_3)
	v_fma_f32 v69, v146, v102, -v69
	v_dual_add_f32 v65, v65, v169 :: v_dual_add_f32 v66, v66, v68
	v_mul_f32_e32 v68, v151, v107
	s_delay_alu instid0(VALU_DEP_4) | instskip(NEXT) | instid1(VALU_DEP_3)
	;; [unrolled: 4-line block ×4, first 2 shown]
	v_fma_f32 v69, v152, v108, -v69
	v_add_f32_e32 v65, v65, v172
	s_delay_alu instid0(VALU_DEP_4) | instskip(NEXT) | instid1(VALU_DEP_4)
	v_add_f32_e32 v66, v66, v68
	v_fma_f32 v68, v154, v110, -v70
	s_delay_alu instid0(VALU_DEP_3) | instskip(NEXT) | instid1(VALU_DEP_1)
	v_add_f32_e32 v65, v65, v173
	v_dual_add_f32 v66, v66, v69 :: v_dual_add_f32 v65, v65, v174
	s_delay_alu instid0(VALU_DEP_1) | instskip(SKIP_1) | instid1(VALU_DEP_3)
	v_add_f32_e32 v66, v66, v68
	v_fmac_f32_e32 v176, v153, v108
	v_add_f32_e32 v65, v65, v175
	s_delay_alu instid0(VALU_DEP_1) | instskip(SKIP_1) | instid1(VALU_DEP_1)
	v_add_f32_e32 v65, v65, v176
	s_wait_loadcnt 0x0
	v_dual_add_f32 v68, v65, v177 :: v_dual_sub_f32 v65, v156, v66
	s_delay_alu instid0(VALU_DEP_1)
	v_sub_f32_e32 v66, v157, v68
	scratch_store_b64 off, v[65:66], off offset:72
	v_cmpx_lt_u32_e32 8, v0
	s_cbranch_execz .LBB95_189
; %bb.188:
	scratch_load_b64 v[65:66], off, off offset:64
	v_mov_b32_e32 v68, 0
	s_delay_alu instid0(VALU_DEP_1)
	v_mov_b32_e32 v69, v68
	scratch_store_b64 off, v[68:69], off offset:64
	s_wait_loadcnt 0x0
	ds_store_b64 v67, v[65:66]
.LBB95_189:
	s_wait_alu 0xfffe
	s_or_b32 exec_lo, exec_lo, s0
	s_wait_storecnt_dscnt 0x0
	s_barrier_signal -1
	s_barrier_wait -1
	global_inv scope:SCOPE_SE
	s_clause 0xc
	scratch_load_b128 v[68:71], off, off offset:72
	scratch_load_b128 v[72:75], off, off offset:88
	scratch_load_b128 v[76:79], off, off offset:104
	scratch_load_b128 v[80:83], off, off offset:120
	scratch_load_b128 v[84:87], off, off offset:136
	scratch_load_b128 v[88:91], off, off offset:152
	scratch_load_b128 v[92:95], off, off offset:168
	scratch_load_b128 v[96:99], off, off offset:184
	scratch_load_b128 v[100:103], off, off offset:200
	scratch_load_b128 v[104:107], off, off offset:216
	scratch_load_b128 v[108:111], off, off offset:232
	scratch_load_b64 v[156:157], off, off offset:248
	scratch_load_b64 v[158:159], off, off offset:64
	v_mov_b32_e32 v65, 0
	ds_load_2addr_b64 v[112:115], v65 offset0:41 offset1:42
	ds_load_2addr_b64 v[116:119], v65 offset0:43 offset1:44
	;; [unrolled: 1-line block ×11, first 2 shown]
	ds_load_b64 v[160:161], v65 offset:504
	s_mov_b32 s0, exec_lo
	s_wait_loadcnt_dscnt 0xc0b
	v_mul_f32_e32 v66, v112, v69
	s_wait_loadcnt_dscnt 0xb0a
	v_dual_mul_f32 v162, v114, v71 :: v_dual_mul_f32 v163, v116, v73
	v_mul_f32_e32 v71, v115, v71
	s_wait_loadcnt_dscnt 0xa09
	v_dual_mul_f32 v164, v118, v75 :: v_dual_mul_f32 v165, v120, v77
	v_mul_f32_e32 v69, v113, v69
	v_fmac_f32_e32 v66, v113, v68
	s_wait_loadcnt_dscnt 0x807
	v_dual_mul_f32 v168, v126, v83 :: v_dual_mul_f32 v169, v128, v85
	s_wait_loadcnt_dscnt 0x100
	v_dual_mul_f32 v180, v150, v107 :: v_dual_mul_f32 v183, v160, v157
	v_fma_f32 v69, v112, v68, -v69
	v_mul_f32_e32 v68, v117, v73
	v_fmac_f32_e32 v162, v115, v70
	v_fma_f32 v70, v114, v70, -v71
	v_dual_add_f32 v66, 0, v66 :: v_dual_mul_f32 v71, v119, v75
	v_add_f32_e32 v69, 0, v69
	v_fmac_f32_e32 v163, v117, v72
	v_fma_f32 v68, v116, v72, -v68
	s_delay_alu instid0(VALU_DEP_4)
	v_add_f32_e32 v66, v66, v162
	v_fma_f32 v71, v118, v74, -v71
	v_add_f32_e32 v69, v69, v70
	v_mul_f32_e32 v70, v121, v77
	v_dual_mul_f32 v170, v130, v87 :: v_dual_mul_f32 v171, v132, v89
	v_add_f32_e32 v66, v66, v163
	s_delay_alu instid0(VALU_DEP_4) | instskip(NEXT) | instid1(VALU_DEP_4)
	v_dual_add_f32 v68, v69, v68 :: v_dual_mul_f32 v69, v123, v79
	v_fma_f32 v70, v120, v76, -v70
	v_dual_mul_f32 v172, v134, v91 :: v_dual_mul_f32 v173, v136, v93
	s_delay_alu instid0(VALU_DEP_3) | instskip(NEXT) | instid1(VALU_DEP_4)
	v_dual_add_f32 v68, v68, v71 :: v_dual_mul_f32 v71, v125, v81
	v_fma_f32 v69, v122, v78, -v69
	v_dual_fmac_f32 v164, v119, v74 :: v_dual_fmac_f32 v165, v121, v76
	s_delay_alu instid0(VALU_DEP_3) | instskip(SKIP_2) | instid1(VALU_DEP_3)
	v_dual_add_f32 v68, v68, v70 :: v_dual_fmac_f32 v169, v129, v84
	v_dual_mul_f32 v70, v127, v83 :: v_dual_fmac_f32 v171, v133, v88
	v_fma_f32 v71, v124, v80, -v71
	v_dual_add_f32 v68, v68, v69 :: v_dual_fmac_f32 v173, v137, v92
	v_dual_mul_f32 v174, v138, v95 :: v_dual_mul_f32 v175, v140, v97
	v_dual_add_f32 v66, v66, v164 :: v_dual_mul_f32 v69, v129, v85
	v_fma_f32 v70, v126, v82, -v70
	s_delay_alu instid0(VALU_DEP_3) | instskip(SKIP_1) | instid1(VALU_DEP_4)
	v_dual_add_f32 v68, v68, v71 :: v_dual_fmac_f32 v175, v141, v96
	v_mul_f32_e32 v71, v131, v87
	v_fma_f32 v69, v128, v84, -v69
	v_dual_mul_f32 v166, v122, v79 :: v_dual_mul_f32 v167, v124, v81
	s_delay_alu instid0(VALU_DEP_4) | instskip(SKIP_3) | instid1(VALU_DEP_4)
	v_add_f32_e32 v68, v68, v70
	v_dual_mul_f32 v178, v146, v103 :: v_dual_mul_f32 v179, v148, v105
	v_mul_f32_e32 v70, v133, v89
	v_fma_f32 v71, v130, v86, -v71
	v_add_f32_e32 v68, v68, v69
	v_dual_fmac_f32 v166, v123, v78 :: v_dual_fmac_f32 v167, v125, v80
	v_dual_add_f32 v66, v66, v165 :: v_dual_mul_f32 v69, v135, v91
	v_fma_f32 v70, v132, v88, -v70
	s_delay_alu instid0(VALU_DEP_4) | instskip(NEXT) | instid1(VALU_DEP_3)
	v_dual_fmac_f32 v179, v149, v104 :: v_dual_add_f32 v68, v68, v71
	v_dual_add_f32 v66, v66, v166 :: v_dual_mul_f32 v71, v137, v93
	s_delay_alu instid0(VALU_DEP_4) | instskip(SKIP_1) | instid1(VALU_DEP_4)
	v_fma_f32 v69, v134, v90, -v69
	v_dual_mul_f32 v176, v142, v99 :: v_dual_mul_f32 v177, v144, v101
	v_add_f32_e32 v68, v68, v70
	v_mul_f32_e32 v70, v139, v95
	v_fma_f32 v71, v136, v92, -v71
	v_fmac_f32_e32 v168, v127, v82
	v_dual_add_f32 v66, v66, v167 :: v_dual_fmac_f32 v177, v145, v100
	v_add_f32_e32 v68, v68, v69
	v_mul_f32_e32 v69, v141, v97
	v_fma_f32 v70, v138, v94, -v70
	s_delay_alu instid0(VALU_DEP_4)
	v_dual_add_f32 v66, v66, v168 :: v_dual_mul_f32 v181, v152, v109
	v_mul_f32_e32 v182, v154, v111
	v_add_f32_e32 v68, v68, v71
	v_mul_f32_e32 v71, v143, v99
	v_fma_f32 v69, v140, v96, -v69
	v_dual_fmac_f32 v170, v131, v86 :: v_dual_fmac_f32 v181, v153, v108
	s_delay_alu instid0(VALU_DEP_4) | instskip(NEXT) | instid1(VALU_DEP_4)
	v_add_f32_e32 v68, v68, v70
	v_fma_f32 v71, v142, v98, -v71
	v_dual_fmac_f32 v172, v135, v90 :: v_dual_fmac_f32 v183, v161, v156
	v_fmac_f32_e32 v174, v139, v94
	s_delay_alu instid0(VALU_DEP_4) | instskip(SKIP_3) | instid1(VALU_DEP_4)
	v_dual_add_f32 v68, v68, v69 :: v_dual_mul_f32 v69, v147, v103
	v_add_f32_e32 v66, v66, v169
	v_mul_f32_e32 v70, v145, v101
	v_fmac_f32_e32 v176, v143, v98
	v_dual_add_f32 v68, v68, v71 :: v_dual_mul_f32 v71, v149, v105
	s_delay_alu instid0(VALU_DEP_4) | instskip(NEXT) | instid1(VALU_DEP_4)
	v_add_f32_e32 v66, v66, v170
	v_fma_f32 v70, v144, v100, -v70
	v_fmac_f32_e32 v178, v147, v102
	v_fma_f32 v69, v146, v102, -v69
	v_fma_f32 v71, v148, v104, -v71
	v_add_f32_e32 v66, v66, v171
	v_add_f32_e32 v68, v68, v70
	v_mul_f32_e32 v70, v151, v107
	v_fmac_f32_e32 v180, v151, v106
	v_fmac_f32_e32 v182, v155, v110
	v_add_f32_e32 v66, v66, v172
	v_add_f32_e32 v68, v68, v69
	v_mul_f32_e32 v69, v153, v109
	v_fma_f32 v70, v150, v106, -v70
	s_delay_alu instid0(VALU_DEP_4) | instskip(NEXT) | instid1(VALU_DEP_4)
	v_add_f32_e32 v66, v66, v173
	v_add_f32_e32 v68, v68, v71
	v_mul_f32_e32 v71, v155, v111
	v_fma_f32 v69, v152, v108, -v69
	s_delay_alu instid0(VALU_DEP_4) | instskip(NEXT) | instid1(VALU_DEP_4)
	;; [unrolled: 5-line block ×3, first 2 shown]
	v_add_f32_e32 v66, v66, v175
	v_add_f32_e32 v68, v68, v69
	s_delay_alu instid0(VALU_DEP_4) | instskip(NEXT) | instid1(VALU_DEP_3)
	v_fma_f32 v69, v160, v156, -v70
	v_add_f32_e32 v66, v66, v176
	s_delay_alu instid0(VALU_DEP_3) | instskip(NEXT) | instid1(VALU_DEP_2)
	v_add_f32_e32 v68, v68, v71
	v_add_f32_e32 v66, v66, v177
	s_delay_alu instid0(VALU_DEP_2) | instskip(NEXT) | instid1(VALU_DEP_2)
	v_add_f32_e32 v68, v68, v69
	v_add_f32_e32 v66, v66, v178
	s_wait_loadcnt 0x0
	s_delay_alu instid0(VALU_DEP_2) | instskip(NEXT) | instid1(VALU_DEP_2)
	v_sub_f32_e32 v68, v158, v68
	v_add_f32_e32 v66, v66, v179
	s_delay_alu instid0(VALU_DEP_1) | instskip(NEXT) | instid1(VALU_DEP_1)
	v_add_f32_e32 v66, v66, v180
	v_add_f32_e32 v66, v66, v181
	s_delay_alu instid0(VALU_DEP_1) | instskip(NEXT) | instid1(VALU_DEP_1)
	v_add_f32_e32 v66, v66, v182
	v_add_f32_e32 v66, v66, v183
	s_delay_alu instid0(VALU_DEP_1)
	v_sub_f32_e32 v69, v159, v66
	scratch_store_b64 off, v[68:69], off offset:64
	v_cmpx_lt_u32_e32 7, v0
	s_cbranch_execz .LBB95_191
; %bb.190:
	scratch_load_b64 v[68:69], off, off offset:56
	v_mov_b32_e32 v66, v65
	scratch_store_b64 off, v[65:66], off offset:56
	s_wait_loadcnt 0x0
	ds_store_b64 v67, v[68:69]
.LBB95_191:
	s_wait_alu 0xfffe
	s_or_b32 exec_lo, exec_lo, s0
	s_wait_storecnt_dscnt 0x0
	s_barrier_signal -1
	s_barrier_wait -1
	global_inv scope:SCOPE_SE
	s_clause 0xc
	scratch_load_b128 v[68:71], off, off offset:64
	scratch_load_b128 v[72:75], off, off offset:80
	scratch_load_b128 v[76:79], off, off offset:96
	scratch_load_b128 v[80:83], off, off offset:112
	scratch_load_b128 v[84:87], off, off offset:128
	scratch_load_b128 v[88:91], off, off offset:144
	scratch_load_b128 v[92:95], off, off offset:160
	scratch_load_b128 v[96:99], off, off offset:176
	scratch_load_b128 v[100:103], off, off offset:192
	scratch_load_b128 v[104:107], off, off offset:208
	scratch_load_b128 v[108:111], off, off offset:224
	scratch_load_b128 v[112:115], off, off offset:240
	scratch_load_b64 v[164:165], off, off offset:56
	ds_load_b128 v[116:119], v65 offset:320
	ds_load_b128 v[120:123], v65 offset:336
	;; [unrolled: 1-line block ×12, first 2 shown]
	s_mov_b32 s0, exec_lo
	s_wait_loadcnt_dscnt 0xc0b
	v_dual_mul_f32 v65, v116, v69 :: v_dual_mul_f32 v66, v118, v71
	v_mul_f32_e32 v69, v117, v69
	s_wait_loadcnt_dscnt 0xb0a
	v_dual_mul_f32 v71, v119, v71 :: v_dual_mul_f32 v166, v120, v73
	s_delay_alu instid0(VALU_DEP_3) | instskip(NEXT) | instid1(VALU_DEP_3)
	v_dual_mul_f32 v167, v122, v75 :: v_dual_fmac_f32 v66, v119, v70
	v_fma_f32 v69, v116, v68, -v69
	v_fmac_f32_e32 v65, v117, v68
	v_mul_f32_e32 v68, v121, v73
	v_fma_f32 v70, v118, v70, -v71
	v_mul_f32_e32 v71, v123, v75
	v_dual_add_f32 v69, 0, v69 :: v_dual_fmac_f32 v166, v121, v72
	s_delay_alu instid0(VALU_DEP_4) | instskip(SKIP_2) | instid1(VALU_DEP_3)
	v_fma_f32 v68, v120, v72, -v68
	s_wait_loadcnt_dscnt 0xa09
	v_dual_mul_f32 v168, v124, v77 :: v_dual_mul_f32 v169, v126, v79
	v_add_f32_e32 v69, v69, v70
	v_fmac_f32_e32 v167, v123, v74
	v_fma_f32 v70, v122, v74, -v71
	s_wait_loadcnt_dscnt 0x908
	v_dual_mul_f32 v170, v128, v81 :: v_dual_mul_f32 v171, v130, v83
	v_dual_add_f32 v68, v69, v68 :: v_dual_mul_f32 v69, v127, v79
	v_fmac_f32_e32 v168, v125, v76
	s_wait_loadcnt_dscnt 0x807
	v_dual_mul_f32 v172, v132, v85 :: v_dual_mul_f32 v173, v134, v87
	s_delay_alu instid0(VALU_DEP_3) | instskip(SKIP_3) | instid1(VALU_DEP_4)
	v_dual_add_f32 v68, v68, v70 :: v_dual_add_f32 v65, 0, v65
	v_mul_f32_e32 v70, v129, v81
	v_fma_f32 v69, v126, v78, -v69
	v_dual_fmac_f32 v169, v127, v78 :: v_dual_fmac_f32 v170, v129, v80
	v_add_f32_e32 v65, v65, v66
	v_mul_f32_e32 v66, v125, v77
	v_fma_f32 v70, v128, v80, -v70
	v_dual_fmac_f32 v171, v131, v82 :: v_dual_fmac_f32 v172, v133, v84
	s_wait_loadcnt_dscnt 0x706
	v_dual_mul_f32 v174, v136, v89 :: v_dual_mul_f32 v175, v138, v91
	v_fma_f32 v66, v124, v76, -v66
	s_wait_loadcnt_dscnt 0x605
	v_dual_mul_f32 v176, v140, v93 :: v_dual_mul_f32 v177, v142, v95
	s_wait_loadcnt_dscnt 0x504
	v_dual_mul_f32 v178, v144, v97 :: v_dual_mul_f32 v179, v146, v99
	v_add_f32_e32 v66, v68, v66
	v_mul_f32_e32 v68, v131, v83
	v_dual_fmac_f32 v176, v141, v92 :: v_dual_fmac_f32 v177, v143, v94
	s_delay_alu instid0(VALU_DEP_4) | instskip(NEXT) | instid1(VALU_DEP_4)
	v_dual_fmac_f32 v178, v145, v96 :: v_dual_fmac_f32 v179, v147, v98
	v_dual_add_f32 v66, v66, v69 :: v_dual_add_f32 v65, v65, v166
	v_mul_f32_e32 v69, v133, v85
	v_fma_f32 v68, v130, v82, -v68
	v_fmac_f32_e32 v173, v135, v86
	s_delay_alu instid0(VALU_DEP_4)
	v_add_f32_e32 v66, v66, v70
	v_mul_f32_e32 v70, v135, v87
	v_add_f32_e32 v65, v65, v167
	v_fma_f32 v69, v132, v84, -v69
	v_fmac_f32_e32 v174, v137, v88
	v_add_f32_e32 v66, v66, v68
	v_mul_f32_e32 v68, v137, v89
	v_add_f32_e32 v65, v65, v168
	v_fma_f32 v70, v134, v86, -v70
	s_delay_alu instid0(VALU_DEP_4) | instskip(SKIP_1) | instid1(VALU_DEP_4)
	v_dual_fmac_f32 v175, v139, v90 :: v_dual_add_f32 v66, v66, v69
	v_mul_f32_e32 v69, v139, v91
	v_add_f32_e32 v65, v65, v169
	v_fma_f32 v68, v136, v88, -v68
	s_wait_loadcnt_dscnt 0x403
	v_dual_mul_f32 v180, v148, v101 :: v_dual_mul_f32 v181, v150, v103
	v_add_f32_e32 v66, v66, v70
	v_add_f32_e32 v65, v65, v170
	v_fma_f32 v69, v138, v90, -v69
	v_mul_f32_e32 v70, v141, v93
	s_wait_loadcnt_dscnt 0x302
	v_dual_mul_f32 v182, v152, v105 :: v_dual_mul_f32 v183, v154, v107
	v_dual_add_f32 v66, v66, v68 :: v_dual_add_f32 v65, v65, v171
	v_mul_f32_e32 v68, v143, v95
	v_fma_f32 v70, v140, v92, -v70
	v_dual_fmac_f32 v180, v149, v100 :: v_dual_fmac_f32 v181, v151, v102
	s_delay_alu instid0(VALU_DEP_4)
	v_dual_add_f32 v66, v66, v69 :: v_dual_add_f32 v65, v65, v172
	v_mul_f32_e32 v69, v145, v97
	v_fma_f32 v68, v142, v94, -v68
	s_wait_loadcnt_dscnt 0x201
	v_dual_mul_f32 v184, v156, v109 :: v_dual_mul_f32 v185, v158, v111
	v_dual_add_f32 v65, v65, v173 :: v_dual_add_f32 v66, v66, v70
	v_mul_f32_e32 v70, v147, v99
	v_fma_f32 v69, v144, v96, -v69
	s_delay_alu instid0(VALU_DEP_4) | instskip(NEXT) | instid1(VALU_DEP_4)
	v_dual_fmac_f32 v182, v153, v104 :: v_dual_fmac_f32 v185, v159, v110
	v_dual_add_f32 v65, v65, v174 :: v_dual_add_f32 v66, v66, v68
	v_mul_f32_e32 v68, v149, v101
	v_fma_f32 v70, v146, v98, -v70
	v_fmac_f32_e32 v183, v155, v106
	s_delay_alu instid0(VALU_DEP_4)
	v_dual_add_f32 v65, v65, v175 :: v_dual_add_f32 v66, v66, v69
	v_mul_f32_e32 v69, v151, v103
	v_fma_f32 v68, v148, v100, -v68
	s_wait_loadcnt_dscnt 0x100
	v_dual_mul_f32 v186, v160, v113 :: v_dual_mul_f32 v187, v162, v115
	v_dual_add_f32 v65, v65, v176 :: v_dual_add_f32 v66, v66, v70
	v_mul_f32_e32 v70, v153, v105
	v_fma_f32 v69, v150, v102, -v69
	v_fmac_f32_e32 v184, v157, v108
	s_delay_alu instid0(VALU_DEP_4) | instskip(SKIP_3) | instid1(VALU_DEP_4)
	v_dual_add_f32 v65, v65, v177 :: v_dual_add_f32 v66, v66, v68
	v_mul_f32_e32 v68, v155, v107
	v_fma_f32 v70, v152, v104, -v70
	v_fmac_f32_e32 v187, v163, v114
	v_dual_add_f32 v65, v65, v178 :: v_dual_add_f32 v66, v66, v69
	v_mul_f32_e32 v69, v157, v109
	v_fma_f32 v68, v154, v106, -v68
	s_delay_alu instid0(VALU_DEP_3) | instskip(SKIP_1) | instid1(VALU_DEP_4)
	v_dual_add_f32 v65, v65, v179 :: v_dual_add_f32 v66, v66, v70
	v_mul_f32_e32 v70, v159, v111
	v_fma_f32 v69, v156, v108, -v69
	s_delay_alu instid0(VALU_DEP_3) | instskip(NEXT) | instid1(VALU_DEP_4)
	v_add_f32_e32 v65, v65, v180
	v_add_f32_e32 v66, v66, v68
	v_mul_f32_e32 v68, v161, v113
	v_fma_f32 v70, v158, v110, -v70
	s_delay_alu instid0(VALU_DEP_4) | instskip(NEXT) | instid1(VALU_DEP_4)
	v_add_f32_e32 v65, v65, v181
	v_dual_add_f32 v66, v66, v69 :: v_dual_mul_f32 v69, v163, v115
	s_delay_alu instid0(VALU_DEP_4) | instskip(NEXT) | instid1(VALU_DEP_3)
	v_fma_f32 v68, v160, v112, -v68
	v_add_f32_e32 v65, v65, v182
	s_delay_alu instid0(VALU_DEP_3) | instskip(NEXT) | instid1(VALU_DEP_4)
	v_add_f32_e32 v66, v66, v70
	v_fma_f32 v69, v162, v114, -v69
	s_delay_alu instid0(VALU_DEP_2) | instskip(NEXT) | instid1(VALU_DEP_1)
	v_dual_add_f32 v65, v65, v183 :: v_dual_add_f32 v66, v66, v68
	v_dual_add_f32 v65, v65, v184 :: v_dual_add_f32 v66, v66, v69
	v_fmac_f32_e32 v186, v161, v112
	s_delay_alu instid0(VALU_DEP_2) | instskip(NEXT) | instid1(VALU_DEP_1)
	v_add_f32_e32 v65, v65, v185
	v_add_f32_e32 v65, v65, v186
	s_wait_loadcnt 0x0
	s_delay_alu instid0(VALU_DEP_1) | instskip(NEXT) | instid1(VALU_DEP_1)
	v_dual_add_f32 v68, v65, v187 :: v_dual_sub_f32 v65, v164, v66
	v_sub_f32_e32 v66, v165, v68
	scratch_store_b64 off, v[65:66], off offset:56
	v_cmpx_lt_u32_e32 6, v0
	s_cbranch_execz .LBB95_193
; %bb.192:
	scratch_load_b64 v[65:66], off, off offset:48
	v_mov_b32_e32 v68, 0
	s_delay_alu instid0(VALU_DEP_1)
	v_mov_b32_e32 v69, v68
	scratch_store_b64 off, v[68:69], off offset:48
	s_wait_loadcnt 0x0
	ds_store_b64 v67, v[65:66]
.LBB95_193:
	s_wait_alu 0xfffe
	s_or_b32 exec_lo, exec_lo, s0
	s_wait_storecnt_dscnt 0x0
	s_barrier_signal -1
	s_barrier_wait -1
	global_inv scope:SCOPE_SE
	s_clause 0xd
	scratch_load_b128 v[68:71], off, off offset:56
	scratch_load_b128 v[72:75], off, off offset:72
	;; [unrolled: 1-line block ×12, first 2 shown]
	scratch_load_b64 v[164:165], off, off offset:248
	scratch_load_b64 v[166:167], off, off offset:48
	v_mov_b32_e32 v65, 0
	ds_load_2addr_b64 v[116:119], v65 offset0:39 offset1:40
	ds_load_2addr_b64 v[120:123], v65 offset0:41 offset1:42
	;; [unrolled: 1-line block ×12, first 2 shown]
	ds_load_b64 v[168:169], v65 offset:504
	s_mov_b32 s0, exec_lo
	s_wait_loadcnt_dscnt 0xd0c
	v_mul_f32_e32 v66, v116, v69
	s_wait_loadcnt_dscnt 0xc0b
	v_dual_mul_f32 v170, v118, v71 :: v_dual_mul_f32 v171, v120, v73
	v_mul_f32_e32 v71, v119, v71
	s_wait_loadcnt_dscnt 0xb0a
	v_dual_mul_f32 v172, v122, v75 :: v_dual_mul_f32 v173, v124, v77
	s_wait_loadcnt_dscnt 0xa09
	v_dual_mul_f32 v69, v117, v69 :: v_dual_mul_f32 v176, v130, v83
	s_wait_loadcnt_dscnt 0x908
	v_dual_mul_f32 v177, v132, v85 :: v_dual_fmac_f32 v66, v117, v68
	s_wait_loadcnt_dscnt 0x302
	v_mul_f32_e32 v190, v158, v111
	v_fma_f32 v69, v116, v68, -v69
	s_wait_loadcnt_dscnt 0x100
	v_mul_f32_e32 v193, v168, v165
	v_mul_f32_e32 v68, v121, v73
	v_fmac_f32_e32 v170, v119, v70
	v_fma_f32 v70, v118, v70, -v71
	v_dual_add_f32 v69, 0, v69 :: v_dual_add_f32 v66, 0, v66
	v_mul_f32_e32 v71, v123, v75
	v_fmac_f32_e32 v171, v121, v72
	v_fma_f32 v68, v120, v72, -v68
	v_dual_mul_f32 v178, v134, v87 :: v_dual_mul_f32 v179, v136, v89
	v_add_f32_e32 v66, v66, v170
	v_add_f32_e32 v69, v69, v70
	v_mul_f32_e32 v70, v125, v77
	v_fma_f32 v71, v122, v74, -v71
	v_dual_mul_f32 v180, v138, v91 :: v_dual_mul_f32 v181, v140, v93
	v_add_f32_e32 v66, v66, v171
	v_dual_add_f32 v68, v69, v68 :: v_dual_mul_f32 v69, v127, v79
	v_fma_f32 v70, v124, v76, -v70
	v_dual_fmac_f32 v172, v123, v74 :: v_dual_fmac_f32 v173, v125, v76
	s_delay_alu instid0(VALU_DEP_3) | instskip(NEXT) | instid1(VALU_DEP_4)
	v_dual_add_f32 v68, v68, v71 :: v_dual_mul_f32 v71, v129, v81
	v_fma_f32 v69, v126, v78, -v69
	v_dual_fmac_f32 v177, v133, v84 :: v_dual_mul_f32 v182, v142, v95
	v_mul_f32_e32 v183, v144, v97
	s_delay_alu instid0(VALU_DEP_4) | instskip(SKIP_3) | instid1(VALU_DEP_4)
	v_add_f32_e32 v68, v68, v70
	v_dual_mul_f32 v70, v131, v83 :: v_dual_fmac_f32 v179, v137, v88
	v_fma_f32 v71, v128, v80, -v71
	v_add_f32_e32 v66, v66, v172
	v_dual_add_f32 v68, v68, v69 :: v_dual_fmac_f32 v181, v141, v92
	v_mul_f32_e32 v69, v133, v85
	v_fma_f32 v70, v130, v82, -v70
	s_delay_alu instid0(VALU_DEP_3) | instskip(SKIP_1) | instid1(VALU_DEP_4)
	v_dual_fmac_f32 v183, v145, v96 :: v_dual_add_f32 v68, v68, v71
	v_mul_f32_e32 v71, v135, v87
	v_fma_f32 v69, v132, v84, -v69
	v_dual_mul_f32 v174, v126, v79 :: v_dual_mul_f32 v175, v128, v81
	s_delay_alu instid0(VALU_DEP_4) | instskip(SKIP_3) | instid1(VALU_DEP_4)
	v_add_f32_e32 v68, v68, v70
	v_dual_mul_f32 v186, v150, v103 :: v_dual_mul_f32 v187, v152, v105
	v_mul_f32_e32 v70, v137, v89
	v_fma_f32 v71, v134, v86, -v71
	v_add_f32_e32 v68, v68, v69
	v_dual_fmac_f32 v174, v127, v78 :: v_dual_fmac_f32 v175, v129, v80
	v_dual_add_f32 v66, v66, v173 :: v_dual_mul_f32 v69, v139, v91
	v_fma_f32 v70, v136, v88, -v70
	s_delay_alu instid0(VALU_DEP_4) | instskip(NEXT) | instid1(VALU_DEP_3)
	v_dual_fmac_f32 v187, v153, v104 :: v_dual_add_f32 v68, v68, v71
	v_dual_add_f32 v66, v66, v174 :: v_dual_mul_f32 v71, v141, v93
	s_delay_alu instid0(VALU_DEP_4) | instskip(SKIP_1) | instid1(VALU_DEP_4)
	v_fma_f32 v69, v138, v90, -v69
	v_fmac_f32_e32 v176, v131, v82
	v_add_f32_e32 v68, v68, v70
	v_mul_f32_e32 v70, v143, v95
	v_fma_f32 v71, v140, v92, -v71
	v_dual_mul_f32 v184, v146, v99 :: v_dual_mul_f32 v185, v148, v101
	s_delay_alu instid0(VALU_DEP_4) | instskip(SKIP_2) | instid1(VALU_DEP_4)
	v_add_f32_e32 v68, v68, v69
	v_mul_f32_e32 v69, v145, v97
	v_fma_f32 v70, v142, v94, -v70
	v_dual_add_f32 v66, v66, v175 :: v_dual_fmac_f32 v185, v149, v100
	s_delay_alu instid0(VALU_DEP_4) | instskip(SKIP_2) | instid1(VALU_DEP_4)
	v_add_f32_e32 v68, v68, v71
	v_mul_f32_e32 v71, v147, v99
	v_fma_f32 v69, v144, v96, -v69
	v_add_f32_e32 v66, v66, v176
	v_fmac_f32_e32 v178, v135, v86
	v_add_f32_e32 v68, v68, v70
	v_mul_f32_e32 v70, v149, v101
	v_fma_f32 v71, v146, v98, -v71
	v_dual_mul_f32 v188, v154, v107 :: v_dual_mul_f32 v189, v156, v109
	s_delay_alu instid0(VALU_DEP_4) | instskip(NEXT) | instid1(VALU_DEP_4)
	v_dual_add_f32 v68, v68, v69 :: v_dual_mul_f32 v69, v151, v103
	v_fma_f32 v70, v148, v100, -v70
	s_delay_alu instid0(VALU_DEP_3) | instskip(NEXT) | instid1(VALU_DEP_3)
	v_dual_add_f32 v66, v66, v177 :: v_dual_fmac_f32 v189, v157, v108
	v_dual_add_f32 v68, v68, v71 :: v_dual_mul_f32 v71, v153, v105
	s_delay_alu instid0(VALU_DEP_4) | instskip(NEXT) | instid1(VALU_DEP_3)
	v_fma_f32 v69, v150, v102, -v69
	v_dual_add_f32 v66, v66, v178 :: v_dual_mul_f32 v191, v160, v113
	v_mul_f32_e32 v192, v162, v115
	s_delay_alu instid0(VALU_DEP_4) | instskip(SKIP_3) | instid1(VALU_DEP_4)
	v_add_f32_e32 v68, v68, v70
	v_mul_f32_e32 v70, v155, v107
	v_fma_f32 v71, v152, v104, -v71
	v_dual_fmac_f32 v180, v139, v90 :: v_dual_fmac_f32 v191, v161, v112
	v_add_f32_e32 v68, v68, v69
	v_mul_f32_e32 v69, v157, v109
	v_fma_f32 v70, v154, v106, -v70
	v_fmac_f32_e32 v182, v143, v94
	v_fmac_f32_e32 v184, v147, v98
	v_add_f32_e32 v68, v68, v71
	v_fma_f32 v69, v156, v108, -v69
	v_dual_fmac_f32 v193, v169, v164 :: v_dual_fmac_f32 v186, v151, v102
	v_fmac_f32_e32 v188, v155, v106
	s_delay_alu instid0(VALU_DEP_4) | instskip(SKIP_3) | instid1(VALU_DEP_4)
	v_dual_add_f32 v68, v68, v70 :: v_dual_mul_f32 v71, v159, v111
	v_mul_f32_e32 v70, v161, v113
	v_fmac_f32_e32 v190, v159, v110
	v_fmac_f32_e32 v192, v163, v114
	v_dual_add_f32 v68, v68, v69 :: v_dual_mul_f32 v69, v163, v115
	v_add_f32_e32 v66, v66, v179
	v_fma_f32 v71, v158, v110, -v71
	v_fma_f32 v70, v160, v112, -v70
	s_delay_alu instid0(VALU_DEP_4) | instskip(NEXT) | instid1(VALU_DEP_4)
	v_fma_f32 v69, v162, v114, -v69
	v_add_f32_e32 v66, v66, v180
	s_delay_alu instid0(VALU_DEP_4) | instskip(NEXT) | instid1(VALU_DEP_2)
	v_dual_add_f32 v68, v68, v71 :: v_dual_mul_f32 v71, v169, v165
	v_add_f32_e32 v66, v66, v181
	s_delay_alu instid0(VALU_DEP_2) | instskip(NEXT) | instid1(VALU_DEP_3)
	v_add_f32_e32 v68, v68, v70
	v_fma_f32 v70, v168, v164, -v71
	s_delay_alu instid0(VALU_DEP_3) | instskip(NEXT) | instid1(VALU_DEP_3)
	v_add_f32_e32 v66, v66, v182
	v_add_f32_e32 v68, v68, v69
	s_delay_alu instid0(VALU_DEP_2) | instskip(NEXT) | instid1(VALU_DEP_2)
	v_add_f32_e32 v66, v66, v183
	v_add_f32_e32 v68, v68, v70
	s_delay_alu instid0(VALU_DEP_2) | instskip(SKIP_1) | instid1(VALU_DEP_2)
	v_add_f32_e32 v66, v66, v184
	s_wait_loadcnt 0x0
	v_sub_f32_e32 v68, v166, v68
	s_delay_alu instid0(VALU_DEP_2) | instskip(NEXT) | instid1(VALU_DEP_1)
	v_add_f32_e32 v66, v66, v185
	v_add_f32_e32 v66, v66, v186
	s_delay_alu instid0(VALU_DEP_1) | instskip(NEXT) | instid1(VALU_DEP_1)
	v_add_f32_e32 v66, v66, v187
	v_add_f32_e32 v66, v66, v188
	s_delay_alu instid0(VALU_DEP_1) | instskip(NEXT) | instid1(VALU_DEP_1)
	;; [unrolled: 3-line block ×4, first 2 shown]
	v_add_f32_e32 v66, v66, v193
	v_sub_f32_e32 v69, v167, v66
	scratch_store_b64 off, v[68:69], off offset:48
	v_cmpx_lt_u32_e32 5, v0
	s_cbranch_execz .LBB95_195
; %bb.194:
	scratch_load_b64 v[68:69], off, off offset:40
	v_mov_b32_e32 v66, v65
	scratch_store_b64 off, v[65:66], off offset:40
	s_wait_loadcnt 0x0
	ds_store_b64 v67, v[68:69]
.LBB95_195:
	s_wait_alu 0xfffe
	s_or_b32 exec_lo, exec_lo, s0
	s_wait_storecnt_dscnt 0x0
	s_barrier_signal -1
	s_barrier_wait -1
	global_inv scope:SCOPE_SE
	s_clause 0xd
	scratch_load_b128 v[68:71], off, off offset:48
	scratch_load_b128 v[72:75], off, off offset:64
	;; [unrolled: 1-line block ×13, first 2 shown]
	scratch_load_b64 v[172:173], off, off offset:40
	ds_load_b128 v[120:123], v65 offset:304
	ds_load_b128 v[124:127], v65 offset:320
	;; [unrolled: 1-line block ×13, first 2 shown]
	s_mov_b32 s0, exec_lo
	s_wait_loadcnt_dscnt 0xd0c
	v_dual_mul_f32 v65, v120, v69 :: v_dual_mul_f32 v66, v122, v71
	v_mul_f32_e32 v69, v121, v69
	s_wait_loadcnt_dscnt 0xc0b
	v_dual_mul_f32 v71, v123, v71 :: v_dual_mul_f32 v174, v124, v73
	s_delay_alu instid0(VALU_DEP_3) | instskip(NEXT) | instid1(VALU_DEP_3)
	v_dual_mul_f32 v175, v126, v75 :: v_dual_fmac_f32 v66, v123, v70
	v_fma_f32 v69, v120, v68, -v69
	v_fmac_f32_e32 v65, v121, v68
	v_mul_f32_e32 v68, v125, v73
	v_fma_f32 v70, v122, v70, -v71
	v_mul_f32_e32 v71, v127, v75
	v_dual_add_f32 v69, 0, v69 :: v_dual_fmac_f32 v174, v125, v72
	s_delay_alu instid0(VALU_DEP_4) | instskip(SKIP_2) | instid1(VALU_DEP_3)
	v_fma_f32 v68, v124, v72, -v68
	s_wait_loadcnt_dscnt 0xb0a
	v_dual_mul_f32 v176, v128, v77 :: v_dual_mul_f32 v177, v130, v79
	v_add_f32_e32 v69, v69, v70
	v_fmac_f32_e32 v175, v127, v74
	v_fma_f32 v70, v126, v74, -v71
	s_wait_loadcnt_dscnt 0xa09
	v_dual_mul_f32 v178, v132, v81 :: v_dual_mul_f32 v179, v134, v83
	v_dual_add_f32 v68, v69, v68 :: v_dual_mul_f32 v69, v131, v79
	v_fmac_f32_e32 v176, v129, v76
	s_wait_loadcnt_dscnt 0x908
	v_dual_mul_f32 v180, v136, v85 :: v_dual_mul_f32 v181, v138, v87
	s_delay_alu instid0(VALU_DEP_3) | instskip(SKIP_3) | instid1(VALU_DEP_4)
	v_dual_add_f32 v68, v68, v70 :: v_dual_add_f32 v65, 0, v65
	v_mul_f32_e32 v70, v133, v81
	v_fma_f32 v69, v130, v78, -v69
	v_dual_fmac_f32 v177, v131, v78 :: v_dual_fmac_f32 v178, v133, v80
	v_add_f32_e32 v65, v65, v66
	v_mul_f32_e32 v66, v129, v77
	v_fma_f32 v70, v132, v80, -v70
	v_dual_fmac_f32 v179, v135, v82 :: v_dual_fmac_f32 v180, v137, v84
	s_wait_loadcnt_dscnt 0x807
	v_dual_mul_f32 v182, v140, v89 :: v_dual_mul_f32 v183, v142, v91
	v_fma_f32 v66, v128, v76, -v66
	s_wait_loadcnt_dscnt 0x706
	v_dual_mul_f32 v184, v144, v93 :: v_dual_mul_f32 v185, v146, v95
	s_wait_loadcnt_dscnt 0x605
	v_dual_mul_f32 v186, v148, v97 :: v_dual_mul_f32 v187, v150, v99
	v_add_f32_e32 v66, v68, v66
	v_mul_f32_e32 v68, v135, v83
	v_dual_fmac_f32 v184, v145, v92 :: v_dual_fmac_f32 v185, v147, v94
	s_delay_alu instid0(VALU_DEP_4) | instskip(NEXT) | instid1(VALU_DEP_4)
	v_dual_fmac_f32 v186, v149, v96 :: v_dual_fmac_f32 v187, v151, v98
	v_dual_add_f32 v66, v66, v69 :: v_dual_add_f32 v65, v65, v174
	v_mul_f32_e32 v69, v137, v85
	v_fma_f32 v68, v134, v82, -v68
	v_fmac_f32_e32 v181, v139, v86
	s_delay_alu instid0(VALU_DEP_4)
	v_add_f32_e32 v66, v66, v70
	v_mul_f32_e32 v70, v139, v87
	v_add_f32_e32 v65, v65, v175
	v_fma_f32 v69, v136, v84, -v69
	v_fmac_f32_e32 v182, v141, v88
	v_add_f32_e32 v66, v66, v68
	v_mul_f32_e32 v68, v141, v89
	v_add_f32_e32 v65, v65, v176
	v_fma_f32 v70, v138, v86, -v70
	s_delay_alu instid0(VALU_DEP_4) | instskip(SKIP_1) | instid1(VALU_DEP_4)
	v_dual_fmac_f32 v183, v143, v90 :: v_dual_add_f32 v66, v66, v69
	v_mul_f32_e32 v69, v143, v91
	v_add_f32_e32 v65, v65, v177
	v_fma_f32 v68, v140, v88, -v68
	s_wait_loadcnt_dscnt 0x504
	v_dual_mul_f32 v188, v152, v101 :: v_dual_mul_f32 v189, v154, v103
	v_add_f32_e32 v66, v66, v70
	v_add_f32_e32 v65, v65, v178
	v_fma_f32 v69, v142, v90, -v69
	v_mul_f32_e32 v70, v145, v93
	v_dual_fmac_f32 v188, v153, v100 :: v_dual_fmac_f32 v189, v155, v102
	s_delay_alu instid0(VALU_DEP_4) | instskip(SKIP_1) | instid1(VALU_DEP_4)
	v_dual_add_f32 v66, v66, v68 :: v_dual_add_f32 v65, v65, v179
	v_mul_f32_e32 v68, v147, v95
	v_fma_f32 v70, v144, v92, -v70
	s_wait_loadcnt_dscnt 0x403
	v_dual_mul_f32 v190, v156, v105 :: v_dual_mul_f32 v191, v158, v107
	v_dual_add_f32 v66, v66, v69 :: v_dual_add_f32 v65, v65, v180
	v_mul_f32_e32 v69, v149, v97
	v_fma_f32 v68, v146, v94, -v68
	s_wait_loadcnt_dscnt 0x302
	v_dual_mul_f32 v192, v160, v109 :: v_dual_mul_f32 v193, v162, v111
	v_dual_add_f32 v65, v65, v181 :: v_dual_add_f32 v66, v66, v70
	v_mul_f32_e32 v70, v151, v99
	v_fma_f32 v69, v148, v96, -v69
	s_delay_alu instid0(VALU_DEP_4) | instskip(NEXT) | instid1(VALU_DEP_4)
	v_dual_fmac_f32 v190, v157, v104 :: v_dual_fmac_f32 v193, v163, v110
	v_dual_add_f32 v65, v65, v182 :: v_dual_add_f32 v66, v66, v68
	v_mul_f32_e32 v68, v153, v101
	v_fma_f32 v70, v150, v98, -v70
	v_fmac_f32_e32 v191, v159, v106
	s_delay_alu instid0(VALU_DEP_4) | instskip(SKIP_3) | instid1(VALU_DEP_4)
	v_dual_add_f32 v65, v65, v183 :: v_dual_add_f32 v66, v66, v69
	v_mul_f32_e32 v69, v155, v103
	v_fma_f32 v68, v152, v100, -v68
	v_fmac_f32_e32 v192, v161, v108
	v_dual_add_f32 v65, v65, v184 :: v_dual_add_f32 v66, v66, v70
	s_delay_alu instid0(VALU_DEP_4)
	v_fma_f32 v69, v154, v102, -v69
	v_mul_f32_e32 v70, v157, v105
	s_wait_loadcnt_dscnt 0x201
	v_dual_mul_f32 v194, v164, v113 :: v_dual_mul_f32 v195, v166, v115
	v_dual_add_f32 v65, v65, v185 :: v_dual_add_f32 v66, v66, v68
	v_mul_f32_e32 v68, v159, v107
	v_fma_f32 v70, v156, v104, -v70
	s_wait_loadcnt_dscnt 0x100
	v_dual_mul_f32 v196, v168, v117 :: v_dual_mul_f32 v197, v170, v119
	v_dual_add_f32 v65, v65, v186 :: v_dual_add_f32 v66, v66, v69
	v_mul_f32_e32 v69, v161, v109
	v_fma_f32 v68, v158, v106, -v68
	s_delay_alu instid0(VALU_DEP_4) | instskip(NEXT) | instid1(VALU_DEP_4)
	v_dual_fmac_f32 v194, v165, v112 :: v_dual_fmac_f32 v197, v171, v118
	v_dual_add_f32 v65, v65, v187 :: v_dual_add_f32 v66, v66, v70
	v_mul_f32_e32 v70, v163, v111
	v_fma_f32 v69, v160, v108, -v69
	v_fmac_f32_e32 v195, v167, v114
	s_delay_alu instid0(VALU_DEP_4)
	v_add_f32_e32 v65, v65, v188
	v_add_f32_e32 v66, v66, v68
	v_mul_f32_e32 v68, v165, v113
	v_fma_f32 v70, v162, v110, -v70
	v_fmac_f32_e32 v196, v169, v116
	v_add_f32_e32 v65, v65, v189
	v_dual_add_f32 v66, v66, v69 :: v_dual_mul_f32 v69, v167, v115
	v_fma_f32 v68, v164, v112, -v68
	s_delay_alu instid0(VALU_DEP_3) | instskip(NEXT) | instid1(VALU_DEP_3)
	v_add_f32_e32 v65, v65, v190
	v_add_f32_e32 v66, v66, v70
	v_mul_f32_e32 v70, v169, v117
	v_fma_f32 v69, v166, v114, -v69
	s_delay_alu instid0(VALU_DEP_3) | instskip(SKIP_1) | instid1(VALU_DEP_4)
	v_dual_add_f32 v65, v65, v191 :: v_dual_add_f32 v66, v66, v68
	v_mul_f32_e32 v68, v171, v119
	v_fma_f32 v70, v168, v116, -v70
	s_delay_alu instid0(VALU_DEP_3) | instskip(NEXT) | instid1(VALU_DEP_3)
	v_add_f32_e32 v65, v65, v192
	v_fma_f32 v68, v170, v118, -v68
	s_delay_alu instid0(VALU_DEP_2) | instskip(NEXT) | instid1(VALU_DEP_1)
	v_add_f32_e32 v65, v65, v193
	v_dual_add_f32 v65, v65, v194 :: v_dual_add_f32 v66, v66, v69
	s_delay_alu instid0(VALU_DEP_1) | instskip(NEXT) | instid1(VALU_DEP_1)
	v_dual_add_f32 v65, v65, v195 :: v_dual_add_f32 v66, v66, v70
	v_add_f32_e32 v65, v65, v196
	s_delay_alu instid0(VALU_DEP_2) | instskip(SKIP_1) | instid1(VALU_DEP_1)
	v_add_f32_e32 v66, v66, v68
	s_wait_loadcnt 0x0
	v_dual_add_f32 v68, v65, v197 :: v_dual_sub_f32 v65, v172, v66
	s_delay_alu instid0(VALU_DEP_1)
	v_sub_f32_e32 v66, v173, v68
	scratch_store_b64 off, v[65:66], off offset:40
	v_cmpx_lt_u32_e32 4, v0
	s_cbranch_execz .LBB95_197
; %bb.196:
	scratch_load_b64 v[65:66], off, off offset:32
	v_mov_b32_e32 v68, 0
	s_delay_alu instid0(VALU_DEP_1)
	v_mov_b32_e32 v69, v68
	scratch_store_b64 off, v[68:69], off offset:32
	s_wait_loadcnt 0x0
	ds_store_b64 v67, v[65:66]
.LBB95_197:
	s_wait_alu 0xfffe
	s_or_b32 exec_lo, exec_lo, s0
	s_wait_storecnt_dscnt 0x0
	s_barrier_signal -1
	s_barrier_wait -1
	global_inv scope:SCOPE_SE
	s_clause 0xe
	scratch_load_b128 v[68:71], off, off offset:40
	scratch_load_b128 v[72:75], off, off offset:56
	;; [unrolled: 1-line block ×13, first 2 shown]
	scratch_load_b64 v[172:173], off, off offset:248
	scratch_load_b64 v[174:175], off, off offset:32
	v_mov_b32_e32 v65, 0
	ds_load_2addr_b64 v[120:123], v65 offset0:37 offset1:38
	ds_load_2addr_b64 v[124:127], v65 offset0:39 offset1:40
	;; [unrolled: 1-line block ×13, first 2 shown]
	ds_load_b64 v[176:177], v65 offset:504
	s_mov_b32 s0, exec_lo
	s_wait_loadcnt_dscnt 0xe0d
	v_mul_f32_e32 v66, v120, v69
	s_wait_loadcnt_dscnt 0xd0c
	v_dual_mul_f32 v178, v122, v71 :: v_dual_mul_f32 v179, v124, v73
	v_mul_f32_e32 v71, v123, v71
	s_wait_loadcnt_dscnt 0xc0b
	v_dual_mul_f32 v180, v126, v75 :: v_dual_mul_f32 v181, v128, v77
	s_wait_loadcnt_dscnt 0xa09
	v_dual_mul_f32 v184, v134, v83 :: v_dual_mul_f32 v185, v136, v85
	v_mul_f32_e32 v69, v121, v69
	v_fmac_f32_e32 v66, v121, v68
	s_wait_loadcnt_dscnt 0x908
	v_dual_mul_f32 v186, v138, v87 :: v_dual_mul_f32 v187, v140, v89
	s_wait_loadcnt_dscnt 0x100
	v_dual_mul_f32 v200, v166, v115 :: v_dual_mul_f32 v203, v176, v173
	v_fma_f32 v69, v120, v68, -v69
	v_mul_f32_e32 v68, v125, v73
	v_fmac_f32_e32 v178, v123, v70
	v_fma_f32 v70, v122, v70, -v71
	v_dual_add_f32 v66, 0, v66 :: v_dual_mul_f32 v71, v127, v75
	v_add_f32_e32 v69, 0, v69
	v_fmac_f32_e32 v179, v125, v72
	v_fma_f32 v68, v124, v72, -v68
	s_delay_alu instid0(VALU_DEP_4)
	v_add_f32_e32 v66, v66, v178
	v_fma_f32 v71, v126, v74, -v71
	v_add_f32_e32 v69, v69, v70
	v_mul_f32_e32 v70, v129, v77
	v_dual_mul_f32 v188, v142, v91 :: v_dual_mul_f32 v189, v144, v93
	v_add_f32_e32 v66, v66, v179
	s_delay_alu instid0(VALU_DEP_4) | instskip(NEXT) | instid1(VALU_DEP_4)
	v_dual_add_f32 v68, v69, v68 :: v_dual_mul_f32 v69, v131, v79
	v_fma_f32 v70, v128, v76, -v70
	v_dual_fmac_f32 v180, v127, v74 :: v_dual_fmac_f32 v181, v129, v76
	s_delay_alu instid0(VALU_DEP_3) | instskip(NEXT) | instid1(VALU_DEP_4)
	v_dual_add_f32 v68, v68, v71 :: v_dual_mul_f32 v71, v133, v81
	v_fma_f32 v69, v130, v78, -v69
	v_dual_fmac_f32 v185, v137, v84 :: v_dual_mul_f32 v190, v146, v95
	v_mul_f32_e32 v191, v148, v97
	s_delay_alu instid0(VALU_DEP_4) | instskip(SKIP_3) | instid1(VALU_DEP_4)
	v_add_f32_e32 v68, v68, v70
	v_dual_mul_f32 v70, v135, v83 :: v_dual_fmac_f32 v187, v141, v88
	v_fma_f32 v71, v132, v80, -v71
	v_add_f32_e32 v66, v66, v180
	v_dual_add_f32 v68, v68, v69 :: v_dual_fmac_f32 v189, v145, v92
	v_mul_f32_e32 v69, v137, v85
	v_fma_f32 v70, v134, v82, -v70
	s_delay_alu instid0(VALU_DEP_3) | instskip(SKIP_1) | instid1(VALU_DEP_4)
	v_dual_fmac_f32 v191, v149, v96 :: v_dual_add_f32 v68, v68, v71
	v_mul_f32_e32 v71, v139, v87
	v_fma_f32 v69, v136, v84, -v69
	v_dual_mul_f32 v182, v130, v79 :: v_dual_mul_f32 v183, v132, v81
	s_delay_alu instid0(VALU_DEP_4) | instskip(SKIP_3) | instid1(VALU_DEP_4)
	v_add_f32_e32 v68, v68, v70
	v_dual_mul_f32 v194, v154, v103 :: v_dual_mul_f32 v195, v156, v105
	v_mul_f32_e32 v70, v141, v89
	v_fma_f32 v71, v138, v86, -v71
	v_add_f32_e32 v68, v68, v69
	v_dual_fmac_f32 v182, v131, v78 :: v_dual_fmac_f32 v183, v133, v80
	v_dual_add_f32 v66, v66, v181 :: v_dual_mul_f32 v69, v143, v91
	v_fma_f32 v70, v140, v88, -v70
	s_delay_alu instid0(VALU_DEP_4) | instskip(NEXT) | instid1(VALU_DEP_3)
	v_dual_fmac_f32 v195, v157, v104 :: v_dual_add_f32 v68, v68, v71
	v_dual_add_f32 v66, v66, v182 :: v_dual_mul_f32 v71, v145, v93
	s_delay_alu instid0(VALU_DEP_4) | instskip(SKIP_1) | instid1(VALU_DEP_4)
	v_fma_f32 v69, v142, v90, -v69
	v_fmac_f32_e32 v184, v135, v82
	v_add_f32_e32 v68, v68, v70
	v_mul_f32_e32 v70, v147, v95
	v_fma_f32 v71, v144, v92, -v71
	v_dual_fmac_f32 v203, v177, v172 :: v_dual_mul_f32 v192, v150, v99
	v_mul_f32_e32 v193, v152, v101
	v_add_f32_e32 v68, v68, v69
	v_mul_f32_e32 v69, v149, v97
	v_fma_f32 v70, v146, v94, -v70
	s_delay_alu instid0(VALU_DEP_4) | instskip(NEXT) | instid1(VALU_DEP_4)
	v_dual_add_f32 v66, v66, v183 :: v_dual_fmac_f32 v193, v153, v100
	v_add_f32_e32 v68, v68, v71
	v_mul_f32_e32 v71, v151, v99
	v_fma_f32 v69, v148, v96, -v69
	s_delay_alu instid0(VALU_DEP_4)
	v_add_f32_e32 v66, v66, v184
	v_fmac_f32_e32 v186, v139, v86
	v_add_f32_e32 v68, v68, v70
	v_mul_f32_e32 v70, v153, v101
	v_fma_f32 v71, v150, v98, -v71
	v_dual_mul_f32 v196, v158, v107 :: v_dual_mul_f32 v197, v160, v109
	s_delay_alu instid0(VALU_DEP_4) | instskip(NEXT) | instid1(VALU_DEP_4)
	v_dual_add_f32 v68, v68, v69 :: v_dual_mul_f32 v69, v155, v103
	v_fma_f32 v70, v152, v100, -v70
	s_delay_alu instid0(VALU_DEP_3) | instskip(NEXT) | instid1(VALU_DEP_3)
	v_dual_add_f32 v66, v66, v185 :: v_dual_fmac_f32 v197, v161, v108
	v_dual_add_f32 v68, v68, v71 :: v_dual_mul_f32 v71, v157, v105
	s_delay_alu instid0(VALU_DEP_4) | instskip(NEXT) | instid1(VALU_DEP_3)
	v_fma_f32 v69, v154, v102, -v69
	v_add_f32_e32 v66, v66, v186
	v_dual_mul_f32 v198, v162, v111 :: v_dual_mul_f32 v199, v164, v113
	s_delay_alu instid0(VALU_DEP_4) | instskip(SKIP_3) | instid1(VALU_DEP_4)
	v_add_f32_e32 v68, v68, v70
	v_mul_f32_e32 v70, v159, v107
	v_fma_f32 v71, v156, v104, -v71
	v_dual_mul_f32 v201, v168, v117 :: v_dual_mul_f32 v202, v170, v119
	v_add_f32_e32 v68, v68, v69
	v_mul_f32_e32 v69, v161, v109
	v_fma_f32 v70, v158, v106, -v70
	v_dual_fmac_f32 v188, v143, v90 :: v_dual_fmac_f32 v199, v165, v112
	s_delay_alu instid0(VALU_DEP_4) | instskip(NEXT) | instid1(VALU_DEP_4)
	v_add_f32_e32 v68, v68, v71
	v_fma_f32 v69, v160, v108, -v69
	v_dual_fmac_f32 v201, v169, v116 :: v_dual_fmac_f32 v190, v147, v94
	v_fmac_f32_e32 v192, v151, v98
	s_delay_alu instid0(VALU_DEP_4) | instskip(SKIP_3) | instid1(VALU_DEP_4)
	v_add_f32_e32 v68, v68, v70
	v_fmac_f32_e32 v194, v155, v102
	v_fmac_f32_e32 v196, v159, v106
	v_dual_mul_f32 v71, v163, v111 :: v_dual_mul_f32 v70, v165, v113
	v_dual_add_f32 v68, v68, v69 :: v_dual_mul_f32 v69, v167, v115
	v_add_f32_e32 v66, v66, v187
	v_fmac_f32_e32 v198, v163, v110
	s_delay_alu instid0(VALU_DEP_4)
	v_fma_f32 v71, v162, v110, -v71
	v_fma_f32 v70, v164, v112, -v70
	v_fmac_f32_e32 v200, v167, v114
	v_add_f32_e32 v66, v66, v188
	v_fma_f32 v69, v166, v114, -v69
	v_dual_add_f32 v68, v68, v71 :: v_dual_mul_f32 v71, v169, v117
	v_fmac_f32_e32 v202, v171, v118
	s_delay_alu instid0(VALU_DEP_4) | instskip(NEXT) | instid1(VALU_DEP_3)
	v_add_f32_e32 v66, v66, v189
	v_add_f32_e32 v68, v68, v70
	v_mul_f32_e32 v70, v171, v119
	v_fma_f32 v71, v168, v116, -v71
	s_delay_alu instid0(VALU_DEP_4) | instskip(NEXT) | instid1(VALU_DEP_4)
	v_add_f32_e32 v66, v66, v190
	v_add_f32_e32 v68, v68, v69
	v_mul_f32_e32 v69, v177, v173
	v_fma_f32 v70, v170, v118, -v70
	s_delay_alu instid0(VALU_DEP_4) | instskip(NEXT) | instid1(VALU_DEP_4)
	v_add_f32_e32 v66, v66, v191
	v_add_f32_e32 v68, v68, v71
	s_delay_alu instid0(VALU_DEP_4) | instskip(NEXT) | instid1(VALU_DEP_3)
	v_fma_f32 v69, v176, v172, -v69
	v_add_f32_e32 v66, v66, v192
	s_delay_alu instid0(VALU_DEP_3) | instskip(NEXT) | instid1(VALU_DEP_2)
	v_add_f32_e32 v68, v68, v70
	v_add_f32_e32 v66, v66, v193
	s_delay_alu instid0(VALU_DEP_2) | instskip(NEXT) | instid1(VALU_DEP_2)
	v_add_f32_e32 v68, v68, v69
	v_add_f32_e32 v66, v66, v194
	s_wait_loadcnt 0x0
	s_delay_alu instid0(VALU_DEP_2) | instskip(NEXT) | instid1(VALU_DEP_2)
	v_sub_f32_e32 v68, v174, v68
	v_add_f32_e32 v66, v66, v195
	s_delay_alu instid0(VALU_DEP_1) | instskip(NEXT) | instid1(VALU_DEP_1)
	v_add_f32_e32 v66, v66, v196
	v_add_f32_e32 v66, v66, v197
	s_delay_alu instid0(VALU_DEP_1) | instskip(NEXT) | instid1(VALU_DEP_1)
	v_add_f32_e32 v66, v66, v198
	;; [unrolled: 3-line block ×4, first 2 shown]
	v_add_f32_e32 v66, v66, v203
	s_delay_alu instid0(VALU_DEP_1)
	v_sub_f32_e32 v69, v175, v66
	scratch_store_b64 off, v[68:69], off offset:32
	v_cmpx_lt_u32_e32 3, v0
	s_cbranch_execz .LBB95_199
; %bb.198:
	scratch_load_b64 v[68:69], off, off offset:24
	v_mov_b32_e32 v66, v65
	scratch_store_b64 off, v[65:66], off offset:24
	s_wait_loadcnt 0x0
	ds_store_b64 v67, v[68:69]
.LBB95_199:
	s_wait_alu 0xfffe
	s_or_b32 exec_lo, exec_lo, s0
	s_wait_storecnt_dscnt 0x0
	s_barrier_signal -1
	s_barrier_wait -1
	global_inv scope:SCOPE_SE
	s_clause 0xe
	scratch_load_b128 v[68:71], off, off offset:32
	scratch_load_b128 v[72:75], off, off offset:48
	;; [unrolled: 1-line block ×14, first 2 shown]
	scratch_load_b64 v[180:181], off, off offset:24
	ds_load_b128 v[124:127], v65 offset:288
	ds_load_b128 v[128:131], v65 offset:304
	;; [unrolled: 1-line block ×14, first 2 shown]
	s_mov_b32 s0, exec_lo
	s_wait_loadcnt_dscnt 0xe0d
	v_dual_mul_f32 v65, v124, v69 :: v_dual_mul_f32 v66, v126, v71
	v_mul_f32_e32 v69, v125, v69
	s_wait_loadcnt_dscnt 0xd0c
	v_dual_mul_f32 v71, v127, v71 :: v_dual_mul_f32 v182, v128, v73
	s_delay_alu instid0(VALU_DEP_3) | instskip(NEXT) | instid1(VALU_DEP_3)
	v_dual_mul_f32 v183, v130, v75 :: v_dual_fmac_f32 v66, v127, v70
	v_fma_f32 v69, v124, v68, -v69
	v_fmac_f32_e32 v65, v125, v68
	v_mul_f32_e32 v68, v129, v73
	v_fma_f32 v70, v126, v70, -v71
	v_mul_f32_e32 v71, v131, v75
	v_dual_add_f32 v69, 0, v69 :: v_dual_fmac_f32 v182, v129, v72
	s_delay_alu instid0(VALU_DEP_4) | instskip(SKIP_2) | instid1(VALU_DEP_3)
	v_fma_f32 v68, v128, v72, -v68
	s_wait_loadcnt_dscnt 0xc0b
	v_dual_mul_f32 v184, v132, v77 :: v_dual_mul_f32 v185, v134, v79
	v_add_f32_e32 v69, v69, v70
	v_fmac_f32_e32 v183, v131, v74
	v_fma_f32 v70, v130, v74, -v71
	s_wait_loadcnt_dscnt 0xb0a
	v_dual_mul_f32 v186, v136, v81 :: v_dual_mul_f32 v187, v138, v83
	v_dual_add_f32 v68, v69, v68 :: v_dual_mul_f32 v69, v135, v79
	v_fmac_f32_e32 v184, v133, v76
	s_wait_loadcnt_dscnt 0xa09
	v_dual_mul_f32 v188, v140, v85 :: v_dual_mul_f32 v189, v142, v87
	s_delay_alu instid0(VALU_DEP_3) | instskip(SKIP_3) | instid1(VALU_DEP_4)
	v_dual_add_f32 v68, v68, v70 :: v_dual_add_f32 v65, 0, v65
	v_mul_f32_e32 v70, v137, v81
	v_fma_f32 v69, v134, v78, -v69
	v_dual_fmac_f32 v185, v135, v78 :: v_dual_fmac_f32 v186, v137, v80
	v_add_f32_e32 v65, v65, v66
	v_mul_f32_e32 v66, v133, v77
	v_fma_f32 v70, v136, v80, -v70
	v_dual_fmac_f32 v187, v139, v82 :: v_dual_fmac_f32 v188, v141, v84
	s_wait_loadcnt_dscnt 0x908
	v_dual_mul_f32 v190, v144, v89 :: v_dual_mul_f32 v191, v146, v91
	v_fma_f32 v66, v132, v76, -v66
	s_wait_loadcnt_dscnt 0x807
	v_dual_mul_f32 v192, v148, v93 :: v_dual_mul_f32 v193, v150, v95
	s_wait_loadcnt_dscnt 0x706
	v_dual_mul_f32 v194, v152, v97 :: v_dual_mul_f32 v195, v154, v99
	v_add_f32_e32 v66, v68, v66
	v_mul_f32_e32 v68, v139, v83
	v_dual_fmac_f32 v192, v149, v92 :: v_dual_fmac_f32 v193, v151, v94
	s_delay_alu instid0(VALU_DEP_4) | instskip(NEXT) | instid1(VALU_DEP_4)
	v_dual_fmac_f32 v194, v153, v96 :: v_dual_fmac_f32 v195, v155, v98
	v_dual_add_f32 v66, v66, v69 :: v_dual_add_f32 v65, v65, v182
	v_mul_f32_e32 v69, v141, v85
	v_fma_f32 v68, v138, v82, -v68
	v_fmac_f32_e32 v189, v143, v86
	s_delay_alu instid0(VALU_DEP_4)
	v_add_f32_e32 v66, v66, v70
	v_mul_f32_e32 v70, v143, v87
	v_add_f32_e32 v65, v65, v183
	v_fma_f32 v69, v140, v84, -v69
	v_fmac_f32_e32 v190, v145, v88
	v_add_f32_e32 v66, v66, v68
	v_mul_f32_e32 v68, v145, v89
	v_add_f32_e32 v65, v65, v184
	v_fma_f32 v70, v142, v86, -v70
	s_delay_alu instid0(VALU_DEP_4) | instskip(SKIP_1) | instid1(VALU_DEP_4)
	v_dual_fmac_f32 v191, v147, v90 :: v_dual_add_f32 v66, v66, v69
	v_mul_f32_e32 v69, v147, v91
	v_add_f32_e32 v65, v65, v185
	v_fma_f32 v68, v144, v88, -v68
	s_wait_loadcnt_dscnt 0x605
	v_dual_mul_f32 v196, v156, v101 :: v_dual_mul_f32 v197, v158, v103
	v_add_f32_e32 v66, v66, v70
	v_add_f32_e32 v65, v65, v186
	v_fma_f32 v69, v146, v90, -v69
	v_mul_f32_e32 v70, v149, v93
	s_wait_loadcnt_dscnt 0x504
	v_dual_mul_f32 v198, v160, v105 :: v_dual_mul_f32 v199, v162, v107
	v_dual_add_f32 v66, v66, v68 :: v_dual_add_f32 v65, v65, v187
	v_mul_f32_e32 v68, v151, v95
	v_fma_f32 v70, v148, v92, -v70
	v_dual_fmac_f32 v196, v157, v100 :: v_dual_fmac_f32 v197, v159, v102
	s_delay_alu instid0(VALU_DEP_4)
	v_dual_add_f32 v66, v66, v69 :: v_dual_add_f32 v65, v65, v188
	v_mul_f32_e32 v69, v153, v97
	v_fma_f32 v68, v150, v94, -v68
	s_wait_loadcnt_dscnt 0x403
	v_dual_mul_f32 v200, v164, v109 :: v_dual_mul_f32 v201, v166, v111
	v_dual_add_f32 v65, v65, v189 :: v_dual_add_f32 v66, v66, v70
	v_mul_f32_e32 v70, v155, v99
	v_fma_f32 v69, v152, v96, -v69
	s_delay_alu instid0(VALU_DEP_4) | instskip(NEXT) | instid1(VALU_DEP_4)
	v_dual_fmac_f32 v198, v161, v104 :: v_dual_fmac_f32 v201, v167, v110
	v_dual_add_f32 v65, v65, v190 :: v_dual_add_f32 v66, v66, v68
	v_mul_f32_e32 v68, v157, v101
	v_fma_f32 v70, v154, v98, -v70
	v_fmac_f32_e32 v199, v163, v106
	s_delay_alu instid0(VALU_DEP_4)
	v_dual_add_f32 v65, v65, v191 :: v_dual_add_f32 v66, v66, v69
	v_mul_f32_e32 v69, v159, v103
	v_fma_f32 v68, v156, v100, -v68
	s_wait_loadcnt_dscnt 0x302
	v_dual_mul_f32 v202, v168, v113 :: v_dual_mul_f32 v203, v170, v115
	v_dual_add_f32 v65, v65, v192 :: v_dual_add_f32 v66, v66, v70
	v_mul_f32_e32 v70, v161, v105
	v_fma_f32 v69, v158, v102, -v69
	v_fmac_f32_e32 v200, v165, v108
	s_delay_alu instid0(VALU_DEP_4)
	v_dual_add_f32 v65, v65, v193 :: v_dual_add_f32 v66, v66, v68
	v_mul_f32_e32 v68, v163, v107
	v_fma_f32 v70, v160, v104, -v70
	s_wait_loadcnt_dscnt 0x201
	v_dual_mul_f32 v204, v172, v117 :: v_dual_mul_f32 v205, v174, v119
	;; [unrolled: 10-line block ×3, first 2 shown]
	v_add_f32_e32 v65, v65, v196
	v_add_f32_e32 v66, v66, v68
	v_mul_f32_e32 v68, v169, v113
	v_fma_f32 v70, v166, v110, -v70
	v_dual_fmac_f32 v202, v169, v112 :: v_dual_fmac_f32 v205, v175, v118
	v_add_f32_e32 v65, v65, v197
	v_dual_add_f32 v66, v66, v69 :: v_dual_mul_f32 v69, v171, v115
	v_fma_f32 v68, v168, v112, -v68
	v_fmac_f32_e32 v207, v179, v122
	s_delay_alu instid0(VALU_DEP_4) | instskip(NEXT) | instid1(VALU_DEP_4)
	v_add_f32_e32 v65, v65, v198
	v_add_f32_e32 v66, v66, v70
	v_mul_f32_e32 v70, v173, v117
	v_fma_f32 v69, v170, v114, -v69
	v_fmac_f32_e32 v206, v177, v120
	s_delay_alu instid0(VALU_DEP_4) | instskip(SKIP_2) | instid1(VALU_DEP_3)
	v_dual_add_f32 v65, v65, v199 :: v_dual_add_f32 v66, v66, v68
	v_mul_f32_e32 v68, v175, v119
	v_fma_f32 v70, v172, v116, -v70
	v_add_f32_e32 v65, v65, v200
	s_delay_alu instid0(VALU_DEP_3) | instskip(NEXT) | instid1(VALU_DEP_2)
	v_fma_f32 v68, v174, v118, -v68
	v_add_f32_e32 v65, v65, v201
	s_delay_alu instid0(VALU_DEP_1) | instskip(NEXT) | instid1(VALU_DEP_1)
	v_dual_add_f32 v65, v65, v202 :: v_dual_add_f32 v66, v66, v69
	v_add_f32_e32 v65, v65, v203
	s_delay_alu instid0(VALU_DEP_2) | instskip(SKIP_1) | instid1(VALU_DEP_2)
	v_dual_mul_f32 v69, v177, v121 :: v_dual_add_f32 v66, v66, v70
	v_mul_f32_e32 v70, v179, v123
	v_fma_f32 v69, v176, v120, -v69
	s_delay_alu instid0(VALU_DEP_3) | instskip(NEXT) | instid1(VALU_DEP_3)
	v_add_f32_e32 v66, v66, v68
	v_fma_f32 v68, v178, v122, -v70
	s_delay_alu instid0(VALU_DEP_2) | instskip(NEXT) | instid1(VALU_DEP_1)
	v_add_f32_e32 v66, v66, v69
	v_add_f32_e32 v66, v66, v68
	v_fmac_f32_e32 v204, v173, v116
	s_delay_alu instid0(VALU_DEP_1) | instskip(NEXT) | instid1(VALU_DEP_1)
	v_add_f32_e32 v65, v65, v204
	v_add_f32_e32 v65, v65, v205
	s_delay_alu instid0(VALU_DEP_1) | instskip(SKIP_1) | instid1(VALU_DEP_1)
	v_add_f32_e32 v65, v65, v206
	s_wait_loadcnt 0x0
	v_dual_add_f32 v68, v65, v207 :: v_dual_sub_f32 v65, v180, v66
	s_delay_alu instid0(VALU_DEP_1)
	v_sub_f32_e32 v66, v181, v68
	scratch_store_b64 off, v[65:66], off offset:24
	v_cmpx_lt_u32_e32 2, v0
	s_cbranch_execz .LBB95_201
; %bb.200:
	scratch_load_b64 v[65:66], off, off offset:16
	v_mov_b32_e32 v68, 0
	s_delay_alu instid0(VALU_DEP_1)
	v_mov_b32_e32 v69, v68
	scratch_store_b64 off, v[68:69], off offset:16
	s_wait_loadcnt 0x0
	ds_store_b64 v67, v[65:66]
.LBB95_201:
	s_wait_alu 0xfffe
	s_or_b32 exec_lo, exec_lo, s0
	s_wait_storecnt_dscnt 0x0
	s_barrier_signal -1
	s_barrier_wait -1
	global_inv scope:SCOPE_SE
	s_clause 0xf
	scratch_load_b128 v[68:71], off, off offset:24
	scratch_load_b128 v[72:75], off, off offset:40
	;; [unrolled: 1-line block ×14, first 2 shown]
	scratch_load_b64 v[180:181], off, off offset:248
	scratch_load_b64 v[182:183], off, off offset:16
	v_mov_b32_e32 v65, 0
	ds_load_2addr_b64 v[124:127], v65 offset0:35 offset1:36
	ds_load_2addr_b64 v[128:131], v65 offset0:37 offset1:38
	;; [unrolled: 1-line block ×14, first 2 shown]
	ds_load_b64 v[184:185], v65 offset:504
	s_mov_b32 s0, exec_lo
	s_wait_loadcnt_dscnt 0xf0e
	v_mul_f32_e32 v66, v124, v69
	s_wait_loadcnt_dscnt 0xe0d
	v_dual_mul_f32 v186, v126, v71 :: v_dual_mul_f32 v187, v128, v73
	v_mul_f32_e32 v71, v127, v71
	s_wait_loadcnt_dscnt 0xd0c
	v_dual_mul_f32 v188, v130, v75 :: v_dual_mul_f32 v189, v132, v77
	s_wait_loadcnt_dscnt 0xb0a
	v_dual_mul_f32 v192, v138, v83 :: v_dual_mul_f32 v193, v140, v85
	v_dual_mul_f32 v69, v125, v69 :: v_dual_mul_f32 v194, v142, v87
	s_wait_loadcnt_dscnt 0xa09
	v_dual_mul_f32 v195, v144, v89 :: v_dual_fmac_f32 v66, v125, v68
	s_wait_loadcnt_dscnt 0x302
	v_mul_f32_e32 v210, v174, v119
	v_fma_f32 v69, v124, v68, -v69
	s_wait_loadcnt_dscnt 0x100
	v_mul_f32_e32 v213, v184, v181
	v_mul_f32_e32 v68, v129, v73
	v_fmac_f32_e32 v186, v127, v70
	v_fma_f32 v70, v126, v70, -v71
	v_dual_add_f32 v69, 0, v69 :: v_dual_add_f32 v66, 0, v66
	v_mul_f32_e32 v71, v131, v75
	v_fmac_f32_e32 v187, v129, v72
	v_fma_f32 v68, v128, v72, -v68
	v_dual_mul_f32 v196, v146, v91 :: v_dual_mul_f32 v197, v148, v93
	v_add_f32_e32 v66, v66, v186
	v_add_f32_e32 v69, v69, v70
	v_mul_f32_e32 v70, v133, v77
	v_fma_f32 v71, v130, v74, -v71
	v_dual_fmac_f32 v188, v131, v74 :: v_dual_fmac_f32 v189, v133, v76
	v_add_f32_e32 v66, v66, v187
	v_dual_add_f32 v68, v69, v68 :: v_dual_mul_f32 v69, v135, v79
	v_fma_f32 v70, v132, v76, -v70
	v_dual_mul_f32 v198, v150, v95 :: v_dual_mul_f32 v199, v152, v97
	s_delay_alu instid0(VALU_DEP_3) | instskip(NEXT) | instid1(VALU_DEP_4)
	v_dual_add_f32 v68, v68, v71 :: v_dual_mul_f32 v71, v137, v81
	v_fma_f32 v69, v134, v78, -v69
	v_fmac_f32_e32 v193, v141, v84
	v_add_f32_e32 v66, v66, v188
	s_delay_alu instid0(VALU_DEP_4) | instskip(SKIP_2) | instid1(VALU_DEP_3)
	v_add_f32_e32 v68, v68, v70
	v_dual_mul_f32 v70, v139, v83 :: v_dual_fmac_f32 v195, v145, v88
	v_fma_f32 v71, v136, v80, -v71
	v_dual_fmac_f32 v197, v149, v92 :: v_dual_add_f32 v68, v68, v69
	v_mul_f32_e32 v69, v141, v85
	s_delay_alu instid0(VALU_DEP_4)
	v_fma_f32 v70, v138, v82, -v70
	v_dual_fmac_f32 v199, v153, v96 :: v_dual_mul_f32 v190, v134, v79
	v_mul_f32_e32 v191, v136, v81
	v_add_f32_e32 v68, v68, v71
	v_mul_f32_e32 v71, v143, v87
	v_fma_f32 v69, v140, v84, -v69
	v_dual_mul_f32 v202, v158, v103 :: v_dual_mul_f32 v203, v160, v105
	s_delay_alu instid0(VALU_DEP_4) | instskip(SKIP_3) | instid1(VALU_DEP_4)
	v_add_f32_e32 v68, v68, v70
	v_mul_f32_e32 v70, v145, v89
	v_fma_f32 v71, v142, v86, -v71
	v_dual_fmac_f32 v190, v135, v78 :: v_dual_fmac_f32 v191, v137, v80
	v_dual_add_f32 v68, v68, v69 :: v_dual_fmac_f32 v203, v161, v104
	v_dual_add_f32 v66, v66, v189 :: v_dual_mul_f32 v69, v147, v91
	v_fma_f32 v70, v144, v88, -v70
	s_delay_alu instid0(VALU_DEP_3) | instskip(NEXT) | instid1(VALU_DEP_3)
	v_dual_add_f32 v68, v68, v71 :: v_dual_mul_f32 v71, v149, v93
	v_add_f32_e32 v66, v66, v190
	s_delay_alu instid0(VALU_DEP_4) | instskip(SKIP_1) | instid1(VALU_DEP_4)
	v_fma_f32 v69, v146, v90, -v69
	v_fmac_f32_e32 v192, v139, v82
	v_add_f32_e32 v68, v68, v70
	v_mul_f32_e32 v70, v151, v95
	v_fma_f32 v71, v148, v92, -v71
	v_dual_mul_f32 v200, v154, v99 :: v_dual_mul_f32 v201, v156, v101
	s_delay_alu instid0(VALU_DEP_4) | instskip(SKIP_3) | instid1(VALU_DEP_4)
	v_add_f32_e32 v68, v68, v69
	v_mul_f32_e32 v69, v153, v97
	v_fma_f32 v70, v150, v94, -v70
	v_dual_fmac_f32 v213, v185, v180 :: v_dual_add_f32 v66, v66, v191
	v_dual_fmac_f32 v201, v157, v100 :: v_dual_add_f32 v68, v68, v71
	v_mul_f32_e32 v71, v155, v99
	v_fma_f32 v69, v152, v96, -v69
	s_delay_alu instid0(VALU_DEP_4)
	v_add_f32_e32 v66, v66, v192
	v_fmac_f32_e32 v194, v143, v86
	v_add_f32_e32 v68, v68, v70
	v_mul_f32_e32 v70, v157, v101
	v_fma_f32 v71, v154, v98, -v71
	v_dual_mul_f32 v204, v162, v107 :: v_dual_mul_f32 v205, v164, v109
	s_delay_alu instid0(VALU_DEP_4) | instskip(NEXT) | instid1(VALU_DEP_4)
	v_dual_add_f32 v68, v68, v69 :: v_dual_mul_f32 v69, v159, v103
	v_fma_f32 v70, v156, v100, -v70
	s_delay_alu instid0(VALU_DEP_3) | instskip(NEXT) | instid1(VALU_DEP_3)
	v_dual_add_f32 v66, v66, v193 :: v_dual_fmac_f32 v205, v165, v108
	v_dual_add_f32 v68, v68, v71 :: v_dual_mul_f32 v71, v161, v105
	s_delay_alu instid0(VALU_DEP_4) | instskip(NEXT) | instid1(VALU_DEP_3)
	v_fma_f32 v69, v158, v102, -v69
	v_add_f32_e32 v66, v66, v194
	v_dual_mul_f32 v206, v166, v111 :: v_dual_mul_f32 v207, v168, v113
	s_delay_alu instid0(VALU_DEP_4) | instskip(SKIP_3) | instid1(VALU_DEP_4)
	v_add_f32_e32 v68, v68, v70
	v_mul_f32_e32 v70, v163, v107
	v_fma_f32 v71, v160, v104, -v71
	v_dual_mul_f32 v208, v170, v115 :: v_dual_mul_f32 v209, v172, v117
	v_add_f32_e32 v68, v68, v69
	v_mul_f32_e32 v69, v165, v109
	v_fma_f32 v70, v162, v106, -v70
	v_dual_fmac_f32 v196, v147, v90 :: v_dual_fmac_f32 v207, v169, v112
	s_delay_alu instid0(VALU_DEP_4) | instskip(NEXT) | instid1(VALU_DEP_4)
	v_add_f32_e32 v68, v68, v71
	v_fma_f32 v69, v164, v108, -v69
	v_dual_mul_f32 v211, v176, v121 :: v_dual_mul_f32 v212, v178, v123
	s_delay_alu instid0(VALU_DEP_3) | instskip(NEXT) | instid1(VALU_DEP_2)
	v_dual_fmac_f32 v209, v173, v116 :: v_dual_add_f32 v68, v68, v70
	v_dual_fmac_f32 v198, v151, v94 :: v_dual_fmac_f32 v211, v177, v120
	v_fmac_f32_e32 v200, v155, v98
	v_fmac_f32_e32 v202, v159, v102
	s_delay_alu instid0(VALU_DEP_4) | instskip(SKIP_4) | instid1(VALU_DEP_4)
	v_dual_add_f32 v68, v68, v69 :: v_dual_mul_f32 v69, v171, v115
	v_add_f32_e32 v66, v66, v195
	v_fmac_f32_e32 v204, v163, v106
	v_dual_mul_f32 v71, v167, v111 :: v_dual_mul_f32 v70, v169, v113
	v_fmac_f32_e32 v206, v167, v110
	v_add_f32_e32 v66, v66, v196
	v_fmac_f32_e32 v208, v171, v114
	s_delay_alu instid0(VALU_DEP_4)
	v_fma_f32 v71, v166, v110, -v71
	v_fma_f32 v70, v168, v112, -v70
	;; [unrolled: 1-line block ×3, first 2 shown]
	v_add_f32_e32 v66, v66, v197
	v_fmac_f32_e32 v210, v175, v118
	v_dual_add_f32 v68, v68, v71 :: v_dual_mul_f32 v71, v173, v117
	v_fmac_f32_e32 v212, v179, v122
	s_delay_alu instid0(VALU_DEP_4) | instskip(NEXT) | instid1(VALU_DEP_3)
	v_add_f32_e32 v66, v66, v198
	v_add_f32_e32 v68, v68, v70
	v_mul_f32_e32 v70, v175, v119
	v_fma_f32 v71, v172, v116, -v71
	s_delay_alu instid0(VALU_DEP_4) | instskip(NEXT) | instid1(VALU_DEP_4)
	v_add_f32_e32 v66, v66, v199
	v_add_f32_e32 v68, v68, v69
	v_mul_f32_e32 v69, v177, v121
	v_fma_f32 v70, v174, v118, -v70
	s_delay_alu instid0(VALU_DEP_4) | instskip(NEXT) | instid1(VALU_DEP_4)
	v_add_f32_e32 v66, v66, v200
	v_add_f32_e32 v68, v68, v71
	v_mul_f32_e32 v71, v179, v123
	v_fma_f32 v69, v176, v120, -v69
	s_delay_alu instid0(VALU_DEP_4) | instskip(NEXT) | instid1(VALU_DEP_4)
	v_add_f32_e32 v66, v66, v201
	v_add_f32_e32 v68, v68, v70
	v_mul_f32_e32 v70, v185, v181
	v_fma_f32 v71, v178, v122, -v71
	s_delay_alu instid0(VALU_DEP_4) | instskip(NEXT) | instid1(VALU_DEP_4)
	v_add_f32_e32 v66, v66, v202
	v_add_f32_e32 v68, v68, v69
	s_delay_alu instid0(VALU_DEP_4) | instskip(NEXT) | instid1(VALU_DEP_3)
	v_fma_f32 v69, v184, v180, -v70
	v_add_f32_e32 v66, v66, v203
	s_delay_alu instid0(VALU_DEP_3) | instskip(NEXT) | instid1(VALU_DEP_2)
	v_add_f32_e32 v68, v68, v71
	v_add_f32_e32 v66, v66, v204
	s_delay_alu instid0(VALU_DEP_2) | instskip(NEXT) | instid1(VALU_DEP_2)
	v_add_f32_e32 v68, v68, v69
	v_add_f32_e32 v66, v66, v205
	s_wait_loadcnt 0x0
	s_delay_alu instid0(VALU_DEP_2) | instskip(NEXT) | instid1(VALU_DEP_2)
	v_sub_f32_e32 v68, v182, v68
	v_add_f32_e32 v66, v66, v206
	s_delay_alu instid0(VALU_DEP_1) | instskip(NEXT) | instid1(VALU_DEP_1)
	v_add_f32_e32 v66, v66, v207
	v_add_f32_e32 v66, v66, v208
	s_delay_alu instid0(VALU_DEP_1) | instskip(NEXT) | instid1(VALU_DEP_1)
	v_add_f32_e32 v66, v66, v209
	;; [unrolled: 3-line block ×4, first 2 shown]
	v_sub_f32_e32 v69, v183, v66
	scratch_store_b64 off, v[68:69], off offset:16
	v_cmpx_lt_u32_e32 1, v0
	s_cbranch_execz .LBB95_203
; %bb.202:
	scratch_load_b64 v[68:69], off, off offset:8
	v_mov_b32_e32 v66, v65
	scratch_store_b64 off, v[65:66], off offset:8
	s_wait_loadcnt 0x0
	ds_store_b64 v67, v[68:69]
.LBB95_203:
	s_wait_alu 0xfffe
	s_or_b32 exec_lo, exec_lo, s0
	s_wait_storecnt_dscnt 0x0
	s_barrier_signal -1
	s_barrier_wait -1
	global_inv scope:SCOPE_SE
	s_clause 0xf
	scratch_load_b128 v[68:71], off, off offset:16
	scratch_load_b128 v[72:75], off, off offset:32
	;; [unrolled: 1-line block ×15, first 2 shown]
	scratch_load_b64 v[188:189], off, off offset:8
	ds_load_b128 v[128:131], v65 offset:272
	ds_load_b128 v[132:135], v65 offset:288
	;; [unrolled: 1-line block ×15, first 2 shown]
	s_mov_b32 s0, exec_lo
	s_wait_loadcnt_dscnt 0xf0e
	v_dual_mul_f32 v65, v128, v69 :: v_dual_mul_f32 v66, v130, v71
	v_mul_f32_e32 v69, v129, v69
	s_wait_loadcnt_dscnt 0xe0d
	v_dual_mul_f32 v71, v131, v71 :: v_dual_mul_f32 v190, v132, v73
	s_delay_alu instid0(VALU_DEP_3) | instskip(NEXT) | instid1(VALU_DEP_3)
	v_dual_mul_f32 v191, v134, v75 :: v_dual_fmac_f32 v66, v131, v70
	v_fma_f32 v69, v128, v68, -v69
	v_fmac_f32_e32 v65, v129, v68
	v_mul_f32_e32 v68, v133, v73
	v_fma_f32 v70, v130, v70, -v71
	v_mul_f32_e32 v71, v135, v75
	v_dual_add_f32 v69, 0, v69 :: v_dual_fmac_f32 v190, v133, v72
	s_delay_alu instid0(VALU_DEP_4) | instskip(SKIP_2) | instid1(VALU_DEP_3)
	v_fma_f32 v68, v132, v72, -v68
	s_wait_loadcnt_dscnt 0xd0c
	v_dual_mul_f32 v192, v136, v77 :: v_dual_mul_f32 v193, v138, v79
	v_add_f32_e32 v69, v69, v70
	v_fmac_f32_e32 v191, v135, v74
	v_fma_f32 v70, v134, v74, -v71
	s_wait_loadcnt_dscnt 0xc0b
	v_dual_mul_f32 v194, v140, v81 :: v_dual_mul_f32 v195, v142, v83
	v_dual_add_f32 v68, v69, v68 :: v_dual_mul_f32 v69, v139, v79
	v_fmac_f32_e32 v192, v137, v76
	s_wait_loadcnt_dscnt 0xb0a
	v_dual_mul_f32 v196, v144, v85 :: v_dual_mul_f32 v197, v146, v87
	s_delay_alu instid0(VALU_DEP_3) | instskip(SKIP_3) | instid1(VALU_DEP_4)
	v_dual_add_f32 v68, v68, v70 :: v_dual_add_f32 v65, 0, v65
	v_mul_f32_e32 v70, v141, v81
	v_fma_f32 v69, v138, v78, -v69
	v_dual_fmac_f32 v193, v139, v78 :: v_dual_fmac_f32 v194, v141, v80
	v_add_f32_e32 v65, v65, v66
	v_mul_f32_e32 v66, v137, v77
	v_fma_f32 v70, v140, v80, -v70
	v_dual_fmac_f32 v195, v143, v82 :: v_dual_fmac_f32 v196, v145, v84
	s_wait_loadcnt_dscnt 0xa09
	v_dual_mul_f32 v198, v148, v89 :: v_dual_mul_f32 v199, v150, v91
	v_fma_f32 v66, v136, v76, -v66
	s_wait_loadcnt_dscnt 0x908
	v_dual_mul_f32 v200, v152, v93 :: v_dual_mul_f32 v201, v154, v95
	s_wait_loadcnt_dscnt 0x807
	v_dual_mul_f32 v202, v156, v97 :: v_dual_mul_f32 v203, v158, v99
	v_add_f32_e32 v66, v68, v66
	v_mul_f32_e32 v68, v143, v83
	v_dual_fmac_f32 v200, v153, v92 :: v_dual_fmac_f32 v201, v155, v94
	s_delay_alu instid0(VALU_DEP_4) | instskip(NEXT) | instid1(VALU_DEP_4)
	v_dual_fmac_f32 v202, v157, v96 :: v_dual_fmac_f32 v203, v159, v98
	v_dual_add_f32 v66, v66, v69 :: v_dual_add_f32 v65, v65, v190
	v_mul_f32_e32 v69, v145, v85
	v_fma_f32 v68, v142, v82, -v68
	v_fmac_f32_e32 v197, v147, v86
	s_delay_alu instid0(VALU_DEP_4)
	v_add_f32_e32 v66, v66, v70
	v_mul_f32_e32 v70, v147, v87
	v_add_f32_e32 v65, v65, v191
	v_fma_f32 v69, v144, v84, -v69
	v_fmac_f32_e32 v198, v149, v88
	v_add_f32_e32 v66, v66, v68
	v_mul_f32_e32 v68, v149, v89
	v_add_f32_e32 v65, v65, v192
	v_fma_f32 v70, v146, v86, -v70
	s_delay_alu instid0(VALU_DEP_4) | instskip(SKIP_1) | instid1(VALU_DEP_4)
	v_dual_fmac_f32 v199, v151, v90 :: v_dual_add_f32 v66, v66, v69
	v_mul_f32_e32 v69, v151, v91
	v_add_f32_e32 v65, v65, v193
	v_fma_f32 v68, v148, v88, -v68
	s_wait_loadcnt_dscnt 0x706
	v_dual_mul_f32 v204, v160, v101 :: v_dual_mul_f32 v205, v162, v103
	v_add_f32_e32 v66, v66, v70
	v_add_f32_e32 v65, v65, v194
	v_fma_f32 v69, v150, v90, -v69
	v_mul_f32_e32 v70, v153, v93
	s_wait_loadcnt_dscnt 0x605
	v_dual_mul_f32 v206, v164, v105 :: v_dual_mul_f32 v207, v166, v107
	v_dual_add_f32 v66, v66, v68 :: v_dual_add_f32 v65, v65, v195
	v_mul_f32_e32 v68, v155, v95
	v_fma_f32 v70, v152, v92, -v70
	v_dual_fmac_f32 v204, v161, v100 :: v_dual_fmac_f32 v205, v163, v102
	s_delay_alu instid0(VALU_DEP_4)
	v_dual_add_f32 v66, v66, v69 :: v_dual_add_f32 v65, v65, v196
	v_mul_f32_e32 v69, v157, v97
	v_fma_f32 v68, v154, v94, -v68
	s_wait_loadcnt_dscnt 0x504
	v_dual_mul_f32 v208, v168, v109 :: v_dual_mul_f32 v209, v170, v111
	v_dual_add_f32 v65, v65, v197 :: v_dual_add_f32 v66, v66, v70
	v_mul_f32_e32 v70, v159, v99
	v_fma_f32 v69, v156, v96, -v69
	s_delay_alu instid0(VALU_DEP_4) | instskip(NEXT) | instid1(VALU_DEP_4)
	v_dual_fmac_f32 v206, v165, v104 :: v_dual_fmac_f32 v209, v171, v110
	v_dual_add_f32 v65, v65, v198 :: v_dual_add_f32 v66, v66, v68
	v_mul_f32_e32 v68, v161, v101
	v_fma_f32 v70, v158, v98, -v70
	v_fmac_f32_e32 v207, v167, v106
	s_delay_alu instid0(VALU_DEP_4)
	v_dual_add_f32 v65, v65, v199 :: v_dual_add_f32 v66, v66, v69
	v_mul_f32_e32 v69, v163, v103
	v_fma_f32 v68, v160, v100, -v68
	s_wait_loadcnt_dscnt 0x403
	v_dual_mul_f32 v210, v172, v113 :: v_dual_mul_f32 v211, v174, v115
	v_dual_add_f32 v65, v65, v200 :: v_dual_add_f32 v66, v66, v70
	v_mul_f32_e32 v70, v165, v105
	v_fma_f32 v69, v162, v102, -v69
	v_fmac_f32_e32 v208, v169, v108
	s_delay_alu instid0(VALU_DEP_4)
	v_dual_add_f32 v65, v65, v201 :: v_dual_add_f32 v66, v66, v68
	v_mul_f32_e32 v68, v167, v107
	v_fma_f32 v70, v164, v104, -v70
	s_wait_loadcnt_dscnt 0x302
	v_dual_mul_f32 v212, v176, v117 :: v_dual_mul_f32 v213, v178, v119
	;; [unrolled: 10-line block ×3, first 2 shown]
	v_add_f32_e32 v65, v65, v204
	v_add_f32_e32 v66, v66, v68
	v_mul_f32_e32 v68, v173, v113
	v_fma_f32 v70, v170, v110, -v70
	v_dual_fmac_f32 v210, v173, v112 :: v_dual_fmac_f32 v213, v179, v118
	v_add_f32_e32 v65, v65, v205
	v_dual_add_f32 v66, v66, v69 :: v_dual_mul_f32 v69, v175, v115
	v_fma_f32 v68, v172, v112, -v68
	v_fmac_f32_e32 v215, v183, v122
	s_delay_alu instid0(VALU_DEP_4) | instskip(NEXT) | instid1(VALU_DEP_4)
	v_add_f32_e32 v65, v65, v206
	v_add_f32_e32 v66, v66, v70
	v_mul_f32_e32 v70, v177, v117
	v_fma_f32 v69, v174, v114, -v69
	s_wait_loadcnt_dscnt 0x100
	v_dual_mul_f32 v216, v184, v125 :: v_dual_mul_f32 v217, v186, v127
	v_dual_add_f32 v65, v65, v207 :: v_dual_add_f32 v66, v66, v68
	v_mul_f32_e32 v68, v179, v119
	v_fma_f32 v70, v176, v116, -v70
	v_fmac_f32_e32 v212, v177, v116
	s_delay_alu instid0(VALU_DEP_4) | instskip(SKIP_3) | instid1(VALU_DEP_4)
	v_add_f32_e32 v65, v65, v208
	v_dual_fmac_f32 v214, v181, v120 :: v_dual_fmac_f32 v217, v187, v126
	v_fma_f32 v68, v178, v118, -v68
	v_fmac_f32_e32 v216, v185, v124
	v_add_f32_e32 v65, v65, v209
	s_delay_alu instid0(VALU_DEP_1) | instskip(NEXT) | instid1(VALU_DEP_1)
	v_dual_add_f32 v65, v65, v210 :: v_dual_add_f32 v66, v66, v69
	v_add_f32_e32 v65, v65, v211
	s_delay_alu instid0(VALU_DEP_2) | instskip(SKIP_1) | instid1(VALU_DEP_2)
	v_dual_mul_f32 v69, v181, v121 :: v_dual_add_f32 v66, v66, v70
	v_mul_f32_e32 v70, v183, v123
	v_fma_f32 v69, v180, v120, -v69
	s_delay_alu instid0(VALU_DEP_3) | instskip(SKIP_1) | instid1(VALU_DEP_4)
	v_add_f32_e32 v66, v66, v68
	v_mul_f32_e32 v68, v185, v125
	v_fma_f32 v70, v182, v122, -v70
	s_delay_alu instid0(VALU_DEP_3) | instskip(SKIP_1) | instid1(VALU_DEP_4)
	v_dual_add_f32 v66, v66, v69 :: v_dual_mul_f32 v69, v187, v127
	v_add_f32_e32 v65, v65, v212
	v_fma_f32 v68, v184, v124, -v68
	s_delay_alu instid0(VALU_DEP_3) | instskip(NEXT) | instid1(VALU_DEP_3)
	v_fma_f32 v69, v186, v126, -v69
	v_add_f32_e32 v65, v65, v213
	s_delay_alu instid0(VALU_DEP_1) | instskip(NEXT) | instid1(VALU_DEP_1)
	v_add_f32_e32 v65, v65, v214
	v_dual_add_f32 v66, v66, v70 :: v_dual_add_f32 v65, v65, v215
	s_delay_alu instid0(VALU_DEP_1) | instskip(NEXT) | instid1(VALU_DEP_1)
	v_add_f32_e32 v66, v66, v68
	v_dual_add_f32 v65, v65, v216 :: v_dual_add_f32 v66, v66, v69
	s_wait_loadcnt 0x0
	s_delay_alu instid0(VALU_DEP_1) | instskip(NEXT) | instid1(VALU_DEP_1)
	v_dual_add_f32 v68, v65, v217 :: v_dual_sub_f32 v65, v188, v66
	v_sub_f32_e32 v66, v189, v68
	scratch_store_b64 off, v[65:66], off offset:8
	v_cmpx_ne_u32_e32 0, v0
	s_cbranch_execz .LBB95_205
; %bb.204:
	scratch_load_b64 v[65:66], off, off
	v_mov_b32_e32 v68, 0
	s_delay_alu instid0(VALU_DEP_1)
	v_mov_b32_e32 v69, v68
	scratch_store_b64 off, v[68:69], off
	s_wait_loadcnt 0x0
	ds_store_b64 v67, v[65:66]
.LBB95_205:
	s_wait_alu 0xfffe
	s_or_b32 exec_lo, exec_lo, s0
	s_wait_storecnt_dscnt 0x0
	s_barrier_signal -1
	s_barrier_wait -1
	global_inv scope:SCOPE_SE
	s_clause 0x10
	scratch_load_b128 v[65:68], off, off offset:8
	scratch_load_b128 v[69:72], off, off offset:24
	;; [unrolled: 1-line block ×15, first 2 shown]
	scratch_load_b64 v[185:186], off, off offset:248
	scratch_load_b64 v[187:188], off, off
	v_mov_b32_e32 v0, 0
	ds_load_2addr_b64 v[125:128], v0 offset0:33 offset1:34
	ds_load_2addr_b64 v[129:132], v0 offset0:35 offset1:36
	ds_load_2addr_b64 v[133:136], v0 offset0:37 offset1:38
	ds_load_2addr_b64 v[137:140], v0 offset0:39 offset1:40
	ds_load_2addr_b64 v[141:144], v0 offset0:41 offset1:42
	ds_load_2addr_b64 v[145:148], v0 offset0:43 offset1:44
	ds_load_2addr_b64 v[149:152], v0 offset0:45 offset1:46
	ds_load_2addr_b64 v[153:156], v0 offset0:47 offset1:48
	ds_load_2addr_b64 v[157:160], v0 offset0:49 offset1:50
	ds_load_2addr_b64 v[161:164], v0 offset0:51 offset1:52
	ds_load_2addr_b64 v[165:168], v0 offset0:53 offset1:54
	ds_load_2addr_b64 v[169:172], v0 offset0:55 offset1:56
	ds_load_2addr_b64 v[173:176], v0 offset0:57 offset1:58
	ds_load_2addr_b64 v[177:180], v0 offset0:59 offset1:60
	ds_load_2addr_b64 v[181:184], v0 offset0:61 offset1:62
	ds_load_b64 v[189:190], v0 offset:504
	s_and_b32 vcc_lo, exec_lo, s12
	s_wait_loadcnt_dscnt 0x100f
	v_dual_mul_f32 v191, v125, v66 :: v_dual_mul_f32 v192, v127, v68
	s_wait_loadcnt_dscnt 0xf0e
	v_dual_mul_f32 v193, v129, v70 :: v_dual_mul_f32 v68, v128, v68
	;; [unrolled: 2-line block ×3, first 2 shown]
	v_dual_fmac_f32 v191, v126, v65 :: v_dual_fmac_f32 v192, v128, v67
	s_delay_alu instid0(VALU_DEP_3) | instskip(SKIP_1) | instid1(VALU_DEP_4)
	v_fmac_f32_e32 v193, v130, v69
	v_fma_f32 v67, v127, v67, -v68
	v_dual_fmac_f32 v194, v132, v71 :: v_dual_fmac_f32 v195, v134, v73
	s_delay_alu instid0(VALU_DEP_4)
	v_add_f32_e32 v68, 0, v191
	v_mul_f32_e32 v66, v126, v66
	s_wait_loadcnt_dscnt 0xd0c
	v_dual_mul_f32 v196, v135, v76 :: v_dual_mul_f32 v197, v137, v78
	s_wait_loadcnt_dscnt 0xc0b
	v_dual_mul_f32 v198, v139, v80 :: v_dual_mul_f32 v199, v141, v82
	v_fma_f32 v66, v125, v65, -v66
	v_dual_mul_f32 v65, v130, v70 :: v_dual_mul_f32 v70, v132, v72
	v_dual_fmac_f32 v196, v136, v75 :: v_dual_fmac_f32 v197, v138, v77
	s_delay_alu instid0(VALU_DEP_3) | instskip(NEXT) | instid1(VALU_DEP_3)
	v_add_f32_e32 v66, 0, v66
	v_fma_f32 v65, v129, v69, -v65
	s_delay_alu instid0(VALU_DEP_4) | instskip(SKIP_1) | instid1(VALU_DEP_4)
	v_fma_f32 v69, v131, v71, -v70
	v_dual_fmac_f32 v198, v140, v79 :: v_dual_fmac_f32 v199, v142, v81
	v_add_f32_e32 v66, v66, v67
	s_wait_loadcnt_dscnt 0xb0a
	v_dual_mul_f32 v200, v143, v84 :: v_dual_mul_f32 v201, v145, v86
	s_wait_loadcnt_dscnt 0xa09
	v_dual_mul_f32 v202, v147, v88 :: v_dual_mul_f32 v203, v149, v90
	v_add_f32_e32 v65, v66, v65
	v_add_f32_e32 v67, v68, v192
	v_dual_fmac_f32 v200, v144, v83 :: v_dual_fmac_f32 v201, v146, v85
	s_wait_loadcnt_dscnt 0x908
	v_dual_mul_f32 v204, v151, v92 :: v_dual_mul_f32 v205, v153, v94
	s_delay_alu instid0(VALU_DEP_3)
	v_dual_add_f32 v66, v67, v193 :: v_dual_mul_f32 v67, v136, v76
	v_add_f32_e32 v65, v65, v69
	v_dual_mul_f32 v69, v138, v78 :: v_dual_mul_f32 v206, v155, v96
	s_wait_loadcnt_dscnt 0x807
	v_mul_f32_e32 v207, v157, v98
	v_fma_f32 v67, v135, v75, -v67
	v_mul_f32_e32 v68, v134, v74
	v_fma_f32 v69, v137, v77, -v69
	v_dual_fmac_f32 v205, v154, v93 :: v_dual_fmac_f32 v206, v156, v95
	s_wait_loadcnt_dscnt 0x706
	v_dual_mul_f32 v208, v159, v100 :: v_dual_mul_f32 v209, v161, v102
	v_fma_f32 v68, v133, v73, -v68
	v_add_f32_e32 v66, v66, v194
	s_delay_alu instid0(VALU_DEP_3) | instskip(SKIP_4) | instid1(VALU_DEP_3)
	v_dual_fmac_f32 v207, v158, v97 :: v_dual_fmac_f32 v208, v160, v99
	s_wait_loadcnt_dscnt 0x605
	v_dual_mul_f32 v210, v163, v104 :: v_dual_mul_f32 v211, v165, v106
	v_add_f32_e32 v65, v65, v68
	v_dual_mul_f32 v68, v140, v80 :: v_dual_fmac_f32 v209, v162, v101
	v_fmac_f32_e32 v210, v164, v103
	s_wait_loadcnt_dscnt 0x504
	v_dual_mul_f32 v212, v167, v108 :: v_dual_mul_f32 v213, v169, v110
	v_add_f32_e32 v65, v65, v67
	v_add_f32_e32 v66, v66, v195
	v_mul_f32_e32 v67, v142, v82
	v_fma_f32 v68, v139, v79, -v68
	s_wait_loadcnt_dscnt 0x403
	v_dual_mul_f32 v214, v171, v112 :: v_dual_mul_f32 v215, v173, v114
	v_add_f32_e32 v65, v65, v69
	v_fma_f32 v67, v141, v81, -v67
	v_mul_f32_e32 v69, v144, v84
	s_delay_alu instid0(VALU_DEP_4) | instskip(NEXT) | instid1(VALU_DEP_4)
	v_dual_fmac_f32 v211, v166, v105 :: v_dual_fmac_f32 v214, v172, v111
	v_add_f32_e32 v65, v65, v68
	v_add_f32_e32 v66, v66, v196
	v_mul_f32_e32 v68, v146, v86
	v_fma_f32 v69, v143, v83, -v69
	v_fmac_f32_e32 v202, v148, v87
	s_delay_alu instid0(VALU_DEP_4) | instskip(SKIP_3) | instid1(VALU_DEP_4)
	v_dual_add_f32 v65, v65, v67 :: v_dual_add_f32 v66, v66, v197
	v_mul_f32_e32 v67, v148, v88
	v_fma_f32 v68, v145, v85, -v68
	v_fmac_f32_e32 v203, v150, v89
	v_dual_add_f32 v65, v65, v69 :: v_dual_add_f32 v66, v66, v198
	s_delay_alu instid0(VALU_DEP_4) | instskip(SKIP_1) | instid1(VALU_DEP_3)
	v_fma_f32 v67, v147, v87, -v67
	v_dual_mul_f32 v69, v150, v90 :: v_dual_fmac_f32 v204, v152, v91
	v_dual_add_f32 v65, v65, v68 :: v_dual_add_f32 v66, v66, v199
	v_mul_f32_e32 v68, v152, v92
	s_delay_alu instid0(VALU_DEP_3) | instskip(SKIP_1) | instid1(VALU_DEP_4)
	v_fma_f32 v69, v149, v89, -v69
	v_fmac_f32_e32 v213, v170, v109
	v_dual_add_f32 v65, v65, v67 :: v_dual_add_f32 v66, v66, v200
	v_mul_f32_e32 v67, v154, v94
	v_fma_f32 v68, v151, v91, -v68
	s_wait_loadcnt_dscnt 0x302
	v_dual_mul_f32 v216, v175, v116 :: v_dual_mul_f32 v217, v177, v118
	v_add_f32_e32 v66, v66, v201
	v_add_f32_e32 v65, v65, v69
	v_mul_f32_e32 v69, v156, v96
	v_fma_f32 v67, v153, v93, -v67
	s_wait_loadcnt_dscnt 0x201
	v_dual_mul_f32 v218, v179, v120 :: v_dual_mul_f32 v219, v181, v122
	v_dual_add_f32 v66, v66, v202 :: v_dual_add_f32 v65, v65, v68
	v_mul_f32_e32 v68, v158, v98
	v_fma_f32 v69, v155, v95, -v69
	s_delay_alu instid0(VALU_DEP_4) | instskip(NEXT) | instid1(VALU_DEP_4)
	v_dual_fmac_f32 v215, v174, v113 :: v_dual_fmac_f32 v218, v180, v119
	v_add_f32_e32 v66, v66, v203
	v_add_f32_e32 v65, v65, v67
	v_mul_f32_e32 v67, v160, v100
	v_fma_f32 v68, v157, v97, -v68
	v_fmac_f32_e32 v212, v168, v107
	v_add_f32_e32 v66, v66, v204
	s_wait_loadcnt_dscnt 0x100
	v_dual_mul_f32 v220, v183, v124 :: v_dual_mul_f32 v221, v189, v186
	v_fma_f32 v67, v159, v99, -v67
	v_fmac_f32_e32 v217, v178, v117
	v_add_f32_e32 v66, v66, v205
	v_add_f32_e32 v65, v65, v69
	v_mul_f32_e32 v69, v162, v102
	v_fmac_f32_e32 v219, v182, v121
	v_fmac_f32_e32 v221, v190, v185
	s_delay_alu instid0(VALU_DEP_4) | instskip(SKIP_3) | instid1(VALU_DEP_4)
	v_dual_add_f32 v66, v66, v206 :: v_dual_add_f32 v65, v65, v68
	v_mul_f32_e32 v68, v164, v104
	v_fma_f32 v69, v161, v101, -v69
	v_fmac_f32_e32 v216, v176, v115
	v_add_f32_e32 v66, v66, v207
	v_add_f32_e32 v65, v65, v67
	v_mul_f32_e32 v67, v166, v106
	v_fma_f32 v68, v163, v103, -v68
	v_fmac_f32_e32 v220, v184, v123
	v_add_f32_e32 v66, v66, v208
	s_delay_alu instid0(VALU_DEP_4) | instskip(NEXT) | instid1(VALU_DEP_2)
	v_fma_f32 v67, v165, v105, -v67
	v_add_f32_e32 v66, v66, v209
	v_add_f32_e32 v65, v65, v69
	s_delay_alu instid0(VALU_DEP_2) | instskip(NEXT) | instid1(VALU_DEP_2)
	v_dual_mul_f32 v69, v168, v108 :: v_dual_add_f32 v66, v66, v210
	v_dual_add_f32 v65, v65, v68 :: v_dual_mul_f32 v68, v170, v110
	s_delay_alu instid0(VALU_DEP_2) | instskip(NEXT) | instid1(VALU_DEP_3)
	v_fma_f32 v69, v167, v107, -v69
	v_add_f32_e32 v66, v66, v211
	s_delay_alu instid0(VALU_DEP_3) | instskip(SKIP_2) | instid1(VALU_DEP_3)
	v_add_f32_e32 v65, v65, v67
	v_mul_f32_e32 v67, v172, v112
	v_fma_f32 v68, v169, v109, -v68
	v_dual_add_f32 v66, v66, v212 :: v_dual_add_f32 v65, v65, v69
	v_mul_f32_e32 v69, v174, v114
	s_delay_alu instid0(VALU_DEP_4) | instskip(NEXT) | instid1(VALU_DEP_3)
	v_fma_f32 v67, v171, v111, -v67
	v_add_f32_e32 v65, v65, v68
	v_mul_f32_e32 v68, v176, v116
	v_add_f32_e32 v66, v66, v213
	v_fma_f32 v69, v173, v113, -v69
	s_delay_alu instid0(VALU_DEP_3) | instskip(NEXT) | instid1(VALU_DEP_3)
	v_fma_f32 v68, v175, v115, -v68
	v_add_f32_e32 v66, v66, v214
	s_delay_alu instid0(VALU_DEP_1) | instskip(SKIP_2) | instid1(VALU_DEP_2)
	v_add_f32_e32 v66, v66, v215
	v_add_f32_e32 v65, v65, v67
	v_mul_f32_e32 v67, v178, v118
	v_dual_add_f32 v66, v66, v216 :: v_dual_add_f32 v65, v65, v69
	v_mul_f32_e32 v69, v180, v120
	s_delay_alu instid0(VALU_DEP_3) | instskip(NEXT) | instid1(VALU_DEP_3)
	v_fma_f32 v67, v177, v117, -v67
	v_dual_add_f32 v66, v66, v217 :: v_dual_add_f32 v65, v65, v68
	v_mul_f32_e32 v68, v182, v122
	s_delay_alu instid0(VALU_DEP_4) | instskip(NEXT) | instid1(VALU_DEP_3)
	v_fma_f32 v69, v179, v119, -v69
	v_dual_add_f32 v66, v66, v218 :: v_dual_add_f32 v65, v65, v67
	v_mul_f32_e32 v67, v184, v124
	s_delay_alu instid0(VALU_DEP_4) | instskip(NEXT) | instid1(VALU_DEP_3)
	;; [unrolled: 4-line block ×3, first 2 shown]
	v_fma_f32 v67, v183, v123, -v67
	v_add_f32_e32 v66, v66, v220
	s_delay_alu instid0(VALU_DEP_4) | instskip(NEXT) | instid1(VALU_DEP_4)
	v_add_f32_e32 v65, v65, v68
	v_fma_f32 v68, v189, v185, -v69
	s_delay_alu instid0(VALU_DEP_2) | instskip(SKIP_1) | instid1(VALU_DEP_1)
	v_dual_add_f32 v66, v66, v221 :: v_dual_add_f32 v65, v65, v67
	s_wait_loadcnt 0x0
	v_dual_sub_f32 v66, v188, v66 :: v_dual_add_f32 v65, v65, v68
	s_delay_alu instid0(VALU_DEP_1)
	v_sub_f32_e32 v65, v187, v65
	scratch_store_b64 off, v[65:66], off
	s_wait_alu 0xfffe
	s_cbranch_vccz .LBB95_268
; %bb.206:
	global_load_b32 v0, v0, s[2:3] offset:120
	s_wait_loadcnt 0x0
	v_cmp_ne_u32_e32 vcc_lo, 31, v0
	s_cbranch_vccz .LBB95_208
; %bb.207:
	v_lshlrev_b32_e32 v0, 3, v0
	scratch_load_b64 v[65:66], v0, off offset:-8
	scratch_load_b64 v[67:68], off, off offset:240
	s_wait_loadcnt 0x1
	scratch_store_b64 off, v[65:66], off offset:240
	s_wait_loadcnt 0x0
	scratch_store_b64 v0, v[67:68], off offset:-8
.LBB95_208:
	v_mov_b32_e32 v0, 0
	global_load_b32 v65, v0, s[2:3] offset:116
	s_wait_loadcnt 0x0
	v_cmp_eq_u32_e32 vcc_lo, 30, v65
	s_cbranch_vccnz .LBB95_210
; %bb.209:
	v_lshlrev_b32_e32 v65, 3, v65
	s_delay_alu instid0(VALU_DEP_1)
	v_mov_b32_e32 v69, v65
	scratch_load_b64 v[65:66], v69, off offset:-8
	scratch_load_b64 v[67:68], off, off offset:232
	s_wait_loadcnt 0x1
	scratch_store_b64 off, v[65:66], off offset:232
	s_wait_loadcnt 0x0
	scratch_store_b64 v69, v[67:68], off offset:-8
.LBB95_210:
	global_load_b32 v0, v0, s[2:3] offset:112
	s_wait_loadcnt 0x0
	v_cmp_eq_u32_e32 vcc_lo, 29, v0
	s_cbranch_vccnz .LBB95_212
; %bb.211:
	v_lshlrev_b32_e32 v0, 3, v0
	scratch_load_b64 v[65:66], v0, off offset:-8
	scratch_load_b64 v[67:68], off, off offset:224
	s_wait_loadcnt 0x1
	scratch_store_b64 off, v[65:66], off offset:224
	s_wait_loadcnt 0x0
	scratch_store_b64 v0, v[67:68], off offset:-8
.LBB95_212:
	v_mov_b32_e32 v0, 0
	global_load_b32 v65, v0, s[2:3] offset:108
	s_wait_loadcnt 0x0
	v_cmp_eq_u32_e32 vcc_lo, 28, v65
	s_cbranch_vccnz .LBB95_214
; %bb.213:
	v_lshlrev_b32_e32 v65, 3, v65
	s_delay_alu instid0(VALU_DEP_1)
	v_mov_b32_e32 v69, v65
	scratch_load_b64 v[65:66], v69, off offset:-8
	scratch_load_b64 v[67:68], off, off offset:216
	s_wait_loadcnt 0x1
	scratch_store_b64 off, v[65:66], off offset:216
	s_wait_loadcnt 0x0
	scratch_store_b64 v69, v[67:68], off offset:-8
.LBB95_214:
	global_load_b32 v0, v0, s[2:3] offset:104
	s_wait_loadcnt 0x0
	v_cmp_eq_u32_e32 vcc_lo, 27, v0
	s_cbranch_vccnz .LBB95_216
; %bb.215:
	v_lshlrev_b32_e32 v0, 3, v0
	scratch_load_b64 v[65:66], v0, off offset:-8
	scratch_load_b64 v[67:68], off, off offset:208
	s_wait_loadcnt 0x1
	scratch_store_b64 off, v[65:66], off offset:208
	s_wait_loadcnt 0x0
	scratch_store_b64 v0, v[67:68], off offset:-8
.LBB95_216:
	;; [unrolled: 29-line block ×14, first 2 shown]
	v_mov_b32_e32 v0, 0
	global_load_b32 v65, v0, s[2:3] offset:4
	s_wait_loadcnt 0x0
	v_cmp_eq_u32_e32 vcc_lo, 2, v65
	s_cbranch_vccnz .LBB95_266
; %bb.265:
	v_lshlrev_b32_e32 v65, 3, v65
	s_delay_alu instid0(VALU_DEP_1)
	v_mov_b32_e32 v69, v65
	scratch_load_b64 v[65:66], v69, off offset:-8
	scratch_load_b64 v[67:68], off, off offset:8
	s_wait_loadcnt 0x1
	scratch_store_b64 off, v[65:66], off offset:8
	s_wait_loadcnt 0x0
	scratch_store_b64 v69, v[67:68], off offset:-8
.LBB95_266:
	global_load_b32 v0, v0, s[2:3]
	s_wait_loadcnt 0x0
	v_cmp_eq_u32_e32 vcc_lo, 1, v0
	s_cbranch_vccnz .LBB95_268
; %bb.267:
	v_lshlrev_b32_e32 v0, 3, v0
	scratch_load_b64 v[65:66], v0, off offset:-8
	scratch_load_b64 v[67:68], off, off
	s_wait_loadcnt 0x1
	scratch_store_b64 off, v[65:66], off
	s_wait_loadcnt 0x0
	scratch_store_b64 v0, v[67:68], off offset:-8
.LBB95_268:
	scratch_load_b64 v[65:66], off, off
	s_wait_loadcnt 0x0
	flat_store_b64 v[1:2], v[65:66]
	scratch_load_b64 v[0:1], off, off offset:8
	s_wait_loadcnt 0x0
	flat_store_b64 v[3:4], v[0:1]
	scratch_load_b64 v[0:1], off, off offset:16
	;; [unrolled: 3-line block ×31, first 2 shown]
	s_wait_loadcnt 0x0
	flat_store_b64 v[63:64], v[0:1]
	s_nop 0
	s_sendmsg sendmsg(MSG_DEALLOC_VGPRS)
	s_endpgm
	.section	.rodata,"a",@progbits
	.p2align	6, 0x0
	.amdhsa_kernel _ZN9rocsolver6v33100L18getri_kernel_smallILi32E19rocblas_complex_numIfEPKPS3_EEvT1_iilPiilS8_bb
		.amdhsa_group_segment_fixed_size 516
		.amdhsa_private_segment_fixed_size 272
		.amdhsa_kernarg_size 60
		.amdhsa_user_sgpr_count 2
		.amdhsa_user_sgpr_dispatch_ptr 0
		.amdhsa_user_sgpr_queue_ptr 0
		.amdhsa_user_sgpr_kernarg_segment_ptr 1
		.amdhsa_user_sgpr_dispatch_id 0
		.amdhsa_user_sgpr_private_segment_size 0
		.amdhsa_wavefront_size32 1
		.amdhsa_uses_dynamic_stack 0
		.amdhsa_enable_private_segment 1
		.amdhsa_system_sgpr_workgroup_id_x 1
		.amdhsa_system_sgpr_workgroup_id_y 0
		.amdhsa_system_sgpr_workgroup_id_z 0
		.amdhsa_system_sgpr_workgroup_info 0
		.amdhsa_system_vgpr_workitem_id 0
		.amdhsa_next_free_vgpr 222
		.amdhsa_next_free_sgpr 19
		.amdhsa_reserve_vcc 1
		.amdhsa_float_round_mode_32 0
		.amdhsa_float_round_mode_16_64 0
		.amdhsa_float_denorm_mode_32 3
		.amdhsa_float_denorm_mode_16_64 3
		.amdhsa_fp16_overflow 0
		.amdhsa_workgroup_processor_mode 1
		.amdhsa_memory_ordered 1
		.amdhsa_forward_progress 1
		.amdhsa_inst_pref_size 255
		.amdhsa_round_robin_scheduling 0
		.amdhsa_exception_fp_ieee_invalid_op 0
		.amdhsa_exception_fp_denorm_src 0
		.amdhsa_exception_fp_ieee_div_zero 0
		.amdhsa_exception_fp_ieee_overflow 0
		.amdhsa_exception_fp_ieee_underflow 0
		.amdhsa_exception_fp_ieee_inexact 0
		.amdhsa_exception_int_div_zero 0
	.end_amdhsa_kernel
	.section	.text._ZN9rocsolver6v33100L18getri_kernel_smallILi32E19rocblas_complex_numIfEPKPS3_EEvT1_iilPiilS8_bb,"axG",@progbits,_ZN9rocsolver6v33100L18getri_kernel_smallILi32E19rocblas_complex_numIfEPKPS3_EEvT1_iilPiilS8_bb,comdat
.Lfunc_end95:
	.size	_ZN9rocsolver6v33100L18getri_kernel_smallILi32E19rocblas_complex_numIfEPKPS3_EEvT1_iilPiilS8_bb, .Lfunc_end95-_ZN9rocsolver6v33100L18getri_kernel_smallILi32E19rocblas_complex_numIfEPKPS3_EEvT1_iilPiilS8_bb
                                        ; -- End function
	.set _ZN9rocsolver6v33100L18getri_kernel_smallILi32E19rocblas_complex_numIfEPKPS3_EEvT1_iilPiilS8_bb.num_vgpr, 222
	.set _ZN9rocsolver6v33100L18getri_kernel_smallILi32E19rocblas_complex_numIfEPKPS3_EEvT1_iilPiilS8_bb.num_agpr, 0
	.set _ZN9rocsolver6v33100L18getri_kernel_smallILi32E19rocblas_complex_numIfEPKPS3_EEvT1_iilPiilS8_bb.numbered_sgpr, 19
	.set _ZN9rocsolver6v33100L18getri_kernel_smallILi32E19rocblas_complex_numIfEPKPS3_EEvT1_iilPiilS8_bb.num_named_barrier, 0
	.set _ZN9rocsolver6v33100L18getri_kernel_smallILi32E19rocblas_complex_numIfEPKPS3_EEvT1_iilPiilS8_bb.private_seg_size, 272
	.set _ZN9rocsolver6v33100L18getri_kernel_smallILi32E19rocblas_complex_numIfEPKPS3_EEvT1_iilPiilS8_bb.uses_vcc, 1
	.set _ZN9rocsolver6v33100L18getri_kernel_smallILi32E19rocblas_complex_numIfEPKPS3_EEvT1_iilPiilS8_bb.uses_flat_scratch, 1
	.set _ZN9rocsolver6v33100L18getri_kernel_smallILi32E19rocblas_complex_numIfEPKPS3_EEvT1_iilPiilS8_bb.has_dyn_sized_stack, 0
	.set _ZN9rocsolver6v33100L18getri_kernel_smallILi32E19rocblas_complex_numIfEPKPS3_EEvT1_iilPiilS8_bb.has_recursion, 0
	.set _ZN9rocsolver6v33100L18getri_kernel_smallILi32E19rocblas_complex_numIfEPKPS3_EEvT1_iilPiilS8_bb.has_indirect_call, 0
	.section	.AMDGPU.csdata,"",@progbits
; Kernel info:
; codeLenInByte = 41260
; TotalNumSgprs: 21
; NumVgprs: 222
; ScratchSize: 272
; MemoryBound: 0
; FloatMode: 240
; IeeeMode: 1
; LDSByteSize: 516 bytes/workgroup (compile time only)
; SGPRBlocks: 0
; VGPRBlocks: 27
; NumSGPRsForWavesPerEU: 21
; NumVGPRsForWavesPerEU: 222
; Occupancy: 6
; WaveLimiterHint : 1
; COMPUTE_PGM_RSRC2:SCRATCH_EN: 1
; COMPUTE_PGM_RSRC2:USER_SGPR: 2
; COMPUTE_PGM_RSRC2:TRAP_HANDLER: 0
; COMPUTE_PGM_RSRC2:TGID_X_EN: 1
; COMPUTE_PGM_RSRC2:TGID_Y_EN: 0
; COMPUTE_PGM_RSRC2:TGID_Z_EN: 0
; COMPUTE_PGM_RSRC2:TIDIG_COMP_CNT: 0
	.section	.text._ZN9rocsolver6v33100L18getri_kernel_smallILi33E19rocblas_complex_numIfEPKPS3_EEvT1_iilPiilS8_bb,"axG",@progbits,_ZN9rocsolver6v33100L18getri_kernel_smallILi33E19rocblas_complex_numIfEPKPS3_EEvT1_iilPiilS8_bb,comdat
	.globl	_ZN9rocsolver6v33100L18getri_kernel_smallILi33E19rocblas_complex_numIfEPKPS3_EEvT1_iilPiilS8_bb ; -- Begin function _ZN9rocsolver6v33100L18getri_kernel_smallILi33E19rocblas_complex_numIfEPKPS3_EEvT1_iilPiilS8_bb
	.p2align	8
	.type	_ZN9rocsolver6v33100L18getri_kernel_smallILi33E19rocblas_complex_numIfEPKPS3_EEvT1_iilPiilS8_bb,@function
_ZN9rocsolver6v33100L18getri_kernel_smallILi33E19rocblas_complex_numIfEPKPS3_EEvT1_iilPiilS8_bb: ; @_ZN9rocsolver6v33100L18getri_kernel_smallILi33E19rocblas_complex_numIfEPKPS3_EEvT1_iilPiilS8_bb
; %bb.0:
	s_mov_b32 s2, exec_lo
	v_cmpx_gt_u32_e32 33, v0
	s_cbranch_execz .LBB96_146
; %bb.1:
	s_clause 0x1
	s_load_b32 s13, s[0:1], 0x38
	s_load_b64 s[2:3], s[0:1], 0x0
	s_mov_b32 s8, ttmp9
	s_load_b128 s[4:7], s[0:1], 0x28
	s_wait_kmcnt 0x0
	s_bitcmp1_b32 s13, 8
	s_cselect_b32 s12, -1, 0
	s_ashr_i32 s9, ttmp9, 31
	s_delay_alu instid0(SALU_CYCLE_1) | instskip(NEXT) | instid1(SALU_CYCLE_1)
	s_lshl_b64 s[10:11], s[8:9], 3
	s_add_nc_u64 s[2:3], s[2:3], s[10:11]
	s_load_b64 s[10:11], s[2:3], 0x0
	s_bfe_u32 s2, s13, 0x10008
	s_delay_alu instid0(SALU_CYCLE_1)
	s_cmp_eq_u32 s2, 0
                                        ; implicit-def: $sgpr2_sgpr3
	s_cbranch_scc1 .LBB96_3
; %bb.2:
	s_load_b96 s[16:18], s[0:1], 0x18
	s_mul_u64 s[2:3], s[4:5], s[8:9]
	s_delay_alu instid0(SALU_CYCLE_1)
	s_lshl_b64 s[2:3], s[2:3], 2
	s_wait_kmcnt 0x0
	s_ashr_i32 s5, s18, 31
	s_mov_b32 s4, s18
	s_add_nc_u64 s[2:3], s[16:17], s[2:3]
	s_lshl_b64 s[4:5], s[4:5], 2
	s_delay_alu instid0(SALU_CYCLE_1)
	s_add_nc_u64 s[2:3], s[2:3], s[4:5]
.LBB96_3:
	s_clause 0x1
	s_load_b64 s[4:5], s[0:1], 0x8
	s_load_b32 s13, s[0:1], 0x38
	v_lshlrev_b32_e32 v73, 3, v0
	s_wait_kmcnt 0x0
	s_ashr_i32 s1, s4, 31
	s_mov_b32 s0, s4
	v_add3_u32 v9, s5, s5, v0
	s_lshl_b64 s[0:1], s[0:1], 3
	s_delay_alu instid0(SALU_CYCLE_1)
	s_add_nc_u64 s[0:1], s[10:11], s[0:1]
	s_ashr_i32 s11, s5, 31
	v_add_co_u32 v1, s4, s0, v73
	s_wait_alu 0xf1ff
	v_add_co_ci_u32_e64 v2, null, s1, 0, s4
	s_mov_b32 s10, s5
	v_ashrrev_i32_e32 v10, 31, v9
	s_lshl_b64 s[10:11], s[10:11], 3
	flat_load_b64 v[5:6], v[1:2]
	v_add_co_u32 v3, vcc_lo, v1, s10
	s_delay_alu instid0(VALU_DEP_1) | instskip(SKIP_2) | instid1(VALU_DEP_1)
	v_add_co_ci_u32_e64 v4, null, s11, v2, vcc_lo
	v_add_nc_u32_e32 v12, s5, v9
	s_bitcmp0_b32 s13, 0
	v_ashrrev_i32_e32 v13, 31, v12
	s_wait_loadcnt_dscnt 0x0
	scratch_store_b64 off, v[5:6], off
	flat_load_b64 v[7:8], v[3:4]
	v_lshlrev_b64_e32 v[5:6], 3, v[9:10]
	s_delay_alu instid0(VALU_DEP_1) | instskip(SKIP_1) | instid1(VALU_DEP_2)
	v_add_co_u32 v5, vcc_lo, s0, v5
	s_wait_alu 0xfffd
	v_add_co_ci_u32_e64 v6, null, s1, v6, vcc_lo
	s_wait_loadcnt_dscnt 0x0
	scratch_store_b64 off, v[7:8], off offset:8
	flat_load_b64 v[10:11], v[5:6]
	v_lshlrev_b64_e32 v[7:8], 3, v[12:13]
	s_delay_alu instid0(VALU_DEP_1) | instskip(SKIP_1) | instid1(VALU_DEP_2)
	v_add_co_u32 v7, vcc_lo, s0, v7
	s_wait_alu 0xfffd
	v_add_co_ci_u32_e64 v8, null, s1, v8, vcc_lo
	s_wait_loadcnt_dscnt 0x0
	scratch_store_b64 off, v[10:11], off offset:16
	flat_load_b64 v[13:14], v[7:8]
	v_add_nc_u32_e32 v11, s5, v12
	s_delay_alu instid0(VALU_DEP_1) | instskip(SKIP_1) | instid1(VALU_DEP_2)
	v_ashrrev_i32_e32 v12, 31, v11
	v_add_nc_u32_e32 v15, s5, v11
	v_lshlrev_b64_e32 v[9:10], 3, v[11:12]
	s_delay_alu instid0(VALU_DEP_2) | instskip(SKIP_1) | instid1(VALU_DEP_3)
	v_ashrrev_i32_e32 v16, 31, v15
	v_add_nc_u32_e32 v18, s5, v15
	v_add_co_u32 v9, vcc_lo, s0, v9
	s_wait_alu 0xfffd
	s_delay_alu instid0(VALU_DEP_4) | instskip(SKIP_2) | instid1(VALU_DEP_2)
	v_add_co_ci_u32_e64 v10, null, s1, v10, vcc_lo
	v_lshlrev_b64_e32 v[11:12], 3, v[15:16]
	v_ashrrev_i32_e32 v19, 31, v18
	v_add_co_u32 v11, vcc_lo, s0, v11
	s_wait_alu 0xfffd
	s_delay_alu instid0(VALU_DEP_3)
	v_add_co_ci_u32_e64 v12, null, s1, v12, vcc_lo
	s_wait_loadcnt_dscnt 0x0
	scratch_store_b64 off, v[13:14], off offset:24
	flat_load_b64 v[13:14], v[9:10]
	s_wait_loadcnt_dscnt 0x0
	scratch_store_b64 off, v[13:14], off offset:32
	flat_load_b64 v[16:17], v[11:12]
	v_lshlrev_b64_e32 v[13:14], 3, v[18:19]
	s_delay_alu instid0(VALU_DEP_1) | instskip(SKIP_1) | instid1(VALU_DEP_2)
	v_add_co_u32 v13, vcc_lo, s0, v13
	s_wait_alu 0xfffd
	v_add_co_ci_u32_e64 v14, null, s1, v14, vcc_lo
	s_wait_loadcnt_dscnt 0x0
	scratch_store_b64 off, v[16:17], off offset:40
	flat_load_b64 v[19:20], v[13:14]
	v_add_nc_u32_e32 v17, s5, v18
	s_delay_alu instid0(VALU_DEP_1) | instskip(SKIP_1) | instid1(VALU_DEP_2)
	v_ashrrev_i32_e32 v18, 31, v17
	v_add_nc_u32_e32 v21, s5, v17
	v_lshlrev_b64_e32 v[15:16], 3, v[17:18]
	s_delay_alu instid0(VALU_DEP_2) | instskip(SKIP_1) | instid1(VALU_DEP_3)
	v_ashrrev_i32_e32 v22, 31, v21
	v_add_nc_u32_e32 v24, s5, v21
	v_add_co_u32 v15, vcc_lo, s0, v15
	s_wait_alu 0xfffd
	s_delay_alu instid0(VALU_DEP_4) | instskip(SKIP_2) | instid1(VALU_DEP_2)
	v_add_co_ci_u32_e64 v16, null, s1, v16, vcc_lo
	v_lshlrev_b64_e32 v[17:18], 3, v[21:22]
	v_ashrrev_i32_e32 v25, 31, v24
	v_add_co_u32 v17, vcc_lo, s0, v17
	s_wait_alu 0xfffd
	s_delay_alu instid0(VALU_DEP_3)
	v_add_co_ci_u32_e64 v18, null, s1, v18, vcc_lo
	s_wait_loadcnt_dscnt 0x0
	scratch_store_b64 off, v[19:20], off offset:48
	flat_load_b64 v[19:20], v[15:16]
	s_wait_loadcnt_dscnt 0x0
	scratch_store_b64 off, v[19:20], off offset:56
	flat_load_b64 v[22:23], v[17:18]
	v_lshlrev_b64_e32 v[19:20], 3, v[24:25]
	s_delay_alu instid0(VALU_DEP_1) | instskip(SKIP_1) | instid1(VALU_DEP_2)
	v_add_co_u32 v19, vcc_lo, s0, v19
	s_wait_alu 0xfffd
	v_add_co_ci_u32_e64 v20, null, s1, v20, vcc_lo
	s_wait_loadcnt_dscnt 0x0
	scratch_store_b64 off, v[22:23], off offset:64
	flat_load_b64 v[25:26], v[19:20]
	v_add_nc_u32_e32 v23, s5, v24
	s_delay_alu instid0(VALU_DEP_1) | instskip(SKIP_1) | instid1(VALU_DEP_2)
	v_ashrrev_i32_e32 v24, 31, v23
	v_add_nc_u32_e32 v27, s5, v23
	v_lshlrev_b64_e32 v[21:22], 3, v[23:24]
	s_delay_alu instid0(VALU_DEP_2) | instskip(SKIP_1) | instid1(VALU_DEP_3)
	v_ashrrev_i32_e32 v28, 31, v27
	v_add_nc_u32_e32 v30, s5, v27
	v_add_co_u32 v21, vcc_lo, s0, v21
	s_wait_alu 0xfffd
	s_delay_alu instid0(VALU_DEP_4) | instskip(SKIP_2) | instid1(VALU_DEP_2)
	v_add_co_ci_u32_e64 v22, null, s1, v22, vcc_lo
	v_lshlrev_b64_e32 v[23:24], 3, v[27:28]
	v_ashrrev_i32_e32 v31, 31, v30
	v_add_co_u32 v23, vcc_lo, s0, v23
	s_wait_alu 0xfffd
	s_delay_alu instid0(VALU_DEP_3)
	v_add_co_ci_u32_e64 v24, null, s1, v24, vcc_lo
	s_wait_loadcnt_dscnt 0x0
	scratch_store_b64 off, v[25:26], off offset:72
	flat_load_b64 v[25:26], v[21:22]
	s_wait_loadcnt_dscnt 0x0
	scratch_store_b64 off, v[25:26], off offset:80
	flat_load_b64 v[28:29], v[23:24]
	v_lshlrev_b64_e32 v[25:26], 3, v[30:31]
	s_delay_alu instid0(VALU_DEP_1) | instskip(SKIP_1) | instid1(VALU_DEP_2)
	v_add_co_u32 v25, vcc_lo, s0, v25
	s_wait_alu 0xfffd
	v_add_co_ci_u32_e64 v26, null, s1, v26, vcc_lo
	s_wait_loadcnt_dscnt 0x0
	scratch_store_b64 off, v[28:29], off offset:88
	flat_load_b64 v[31:32], v[25:26]
	v_add_nc_u32_e32 v29, s5, v30
	s_delay_alu instid0(VALU_DEP_1) | instskip(SKIP_1) | instid1(VALU_DEP_2)
	v_ashrrev_i32_e32 v30, 31, v29
	v_add_nc_u32_e32 v33, s5, v29
	v_lshlrev_b64_e32 v[27:28], 3, v[29:30]
	s_delay_alu instid0(VALU_DEP_2) | instskip(SKIP_1) | instid1(VALU_DEP_3)
	v_ashrrev_i32_e32 v34, 31, v33
	v_add_nc_u32_e32 v36, s5, v33
	v_add_co_u32 v27, vcc_lo, s0, v27
	s_wait_alu 0xfffd
	s_delay_alu instid0(VALU_DEP_4) | instskip(SKIP_2) | instid1(VALU_DEP_2)
	v_add_co_ci_u32_e64 v28, null, s1, v28, vcc_lo
	v_lshlrev_b64_e32 v[29:30], 3, v[33:34]
	v_ashrrev_i32_e32 v37, 31, v36
	v_add_co_u32 v29, vcc_lo, s0, v29
	s_wait_alu 0xfffd
	s_delay_alu instid0(VALU_DEP_3)
	v_add_co_ci_u32_e64 v30, null, s1, v30, vcc_lo
	s_wait_loadcnt_dscnt 0x0
	scratch_store_b64 off, v[31:32], off offset:96
	flat_load_b64 v[31:32], v[27:28]
	s_wait_loadcnt_dscnt 0x0
	scratch_store_b64 off, v[31:32], off offset:104
	flat_load_b64 v[34:35], v[29:30]
	v_lshlrev_b64_e32 v[31:32], 3, v[36:37]
	s_delay_alu instid0(VALU_DEP_1) | instskip(SKIP_1) | instid1(VALU_DEP_2)
	v_add_co_u32 v31, vcc_lo, s0, v31
	s_wait_alu 0xfffd
	v_add_co_ci_u32_e64 v32, null, s1, v32, vcc_lo
	s_wait_loadcnt_dscnt 0x0
	scratch_store_b64 off, v[34:35], off offset:112
	flat_load_b64 v[37:38], v[31:32]
	v_add_nc_u32_e32 v35, s5, v36
	s_delay_alu instid0(VALU_DEP_1) | instskip(SKIP_1) | instid1(VALU_DEP_2)
	v_ashrrev_i32_e32 v36, 31, v35
	v_add_nc_u32_e32 v39, s5, v35
	v_lshlrev_b64_e32 v[33:34], 3, v[35:36]
	s_delay_alu instid0(VALU_DEP_2) | instskip(SKIP_1) | instid1(VALU_DEP_3)
	v_ashrrev_i32_e32 v40, 31, v39
	v_add_nc_u32_e32 v42, s5, v39
	v_add_co_u32 v33, vcc_lo, s0, v33
	s_wait_alu 0xfffd
	s_delay_alu instid0(VALU_DEP_4) | instskip(SKIP_2) | instid1(VALU_DEP_2)
	v_add_co_ci_u32_e64 v34, null, s1, v34, vcc_lo
	v_lshlrev_b64_e32 v[35:36], 3, v[39:40]
	v_ashrrev_i32_e32 v43, 31, v42
	v_add_co_u32 v35, vcc_lo, s0, v35
	s_wait_alu 0xfffd
	s_delay_alu instid0(VALU_DEP_3)
	v_add_co_ci_u32_e64 v36, null, s1, v36, vcc_lo
	s_wait_loadcnt_dscnt 0x0
	scratch_store_b64 off, v[37:38], off offset:120
	flat_load_b64 v[37:38], v[33:34]
	s_wait_loadcnt_dscnt 0x0
	scratch_store_b64 off, v[37:38], off offset:128
	flat_load_b64 v[40:41], v[35:36]
	v_lshlrev_b64_e32 v[37:38], 3, v[42:43]
	s_delay_alu instid0(VALU_DEP_1) | instskip(SKIP_1) | instid1(VALU_DEP_2)
	v_add_co_u32 v37, vcc_lo, s0, v37
	s_wait_alu 0xfffd
	v_add_co_ci_u32_e64 v38, null, s1, v38, vcc_lo
	s_wait_loadcnt_dscnt 0x0
	scratch_store_b64 off, v[40:41], off offset:136
	flat_load_b64 v[43:44], v[37:38]
	v_add_nc_u32_e32 v41, s5, v42
	s_delay_alu instid0(VALU_DEP_1) | instskip(SKIP_1) | instid1(VALU_DEP_2)
	v_ashrrev_i32_e32 v42, 31, v41
	v_add_nc_u32_e32 v45, s5, v41
	v_lshlrev_b64_e32 v[39:40], 3, v[41:42]
	s_delay_alu instid0(VALU_DEP_2) | instskip(SKIP_1) | instid1(VALU_DEP_3)
	v_ashrrev_i32_e32 v46, 31, v45
	v_add_nc_u32_e32 v48, s5, v45
	v_add_co_u32 v39, vcc_lo, s0, v39
	s_wait_alu 0xfffd
	s_delay_alu instid0(VALU_DEP_4) | instskip(SKIP_2) | instid1(VALU_DEP_2)
	v_add_co_ci_u32_e64 v40, null, s1, v40, vcc_lo
	v_lshlrev_b64_e32 v[41:42], 3, v[45:46]
	v_ashrrev_i32_e32 v49, 31, v48
	v_add_co_u32 v41, vcc_lo, s0, v41
	s_wait_alu 0xfffd
	s_delay_alu instid0(VALU_DEP_3)
	v_add_co_ci_u32_e64 v42, null, s1, v42, vcc_lo
	s_wait_loadcnt_dscnt 0x0
	scratch_store_b64 off, v[43:44], off offset:144
	flat_load_b64 v[43:44], v[39:40]
	s_wait_loadcnt_dscnt 0x0
	scratch_store_b64 off, v[43:44], off offset:152
	flat_load_b64 v[46:47], v[41:42]
	v_lshlrev_b64_e32 v[43:44], 3, v[48:49]
	s_delay_alu instid0(VALU_DEP_1) | instskip(SKIP_1) | instid1(VALU_DEP_2)
	v_add_co_u32 v43, vcc_lo, s0, v43
	s_wait_alu 0xfffd
	v_add_co_ci_u32_e64 v44, null, s1, v44, vcc_lo
	s_wait_loadcnt_dscnt 0x0
	scratch_store_b64 off, v[46:47], off offset:160
	flat_load_b64 v[49:50], v[43:44]
	v_add_nc_u32_e32 v47, s5, v48
	s_delay_alu instid0(VALU_DEP_1) | instskip(SKIP_1) | instid1(VALU_DEP_2)
	v_ashrrev_i32_e32 v48, 31, v47
	v_add_nc_u32_e32 v51, s5, v47
	v_lshlrev_b64_e32 v[45:46], 3, v[47:48]
	s_delay_alu instid0(VALU_DEP_2) | instskip(SKIP_1) | instid1(VALU_DEP_3)
	v_ashrrev_i32_e32 v52, 31, v51
	v_add_nc_u32_e32 v54, s5, v51
	v_add_co_u32 v45, vcc_lo, s0, v45
	s_wait_alu 0xfffd
	s_delay_alu instid0(VALU_DEP_4) | instskip(SKIP_2) | instid1(VALU_DEP_2)
	v_add_co_ci_u32_e64 v46, null, s1, v46, vcc_lo
	v_lshlrev_b64_e32 v[47:48], 3, v[51:52]
	v_ashrrev_i32_e32 v55, 31, v54
	v_add_co_u32 v47, vcc_lo, s0, v47
	s_wait_alu 0xfffd
	s_delay_alu instid0(VALU_DEP_3)
	v_add_co_ci_u32_e64 v48, null, s1, v48, vcc_lo
	s_wait_loadcnt_dscnt 0x0
	scratch_store_b64 off, v[49:50], off offset:168
	flat_load_b64 v[49:50], v[45:46]
	s_wait_loadcnt_dscnt 0x0
	scratch_store_b64 off, v[49:50], off offset:176
	flat_load_b64 v[52:53], v[47:48]
	v_lshlrev_b64_e32 v[49:50], 3, v[54:55]
	s_delay_alu instid0(VALU_DEP_1) | instskip(SKIP_1) | instid1(VALU_DEP_2)
	v_add_co_u32 v49, vcc_lo, s0, v49
	s_wait_alu 0xfffd
	v_add_co_ci_u32_e64 v50, null, s1, v50, vcc_lo
	s_wait_loadcnt_dscnt 0x0
	scratch_store_b64 off, v[52:53], off offset:184
	flat_load_b64 v[55:56], v[49:50]
	v_add_nc_u32_e32 v53, s5, v54
	s_delay_alu instid0(VALU_DEP_1) | instskip(SKIP_1) | instid1(VALU_DEP_2)
	v_ashrrev_i32_e32 v54, 31, v53
	v_add_nc_u32_e32 v57, s5, v53
	v_lshlrev_b64_e32 v[51:52], 3, v[53:54]
	s_delay_alu instid0(VALU_DEP_2) | instskip(SKIP_1) | instid1(VALU_DEP_3)
	v_ashrrev_i32_e32 v58, 31, v57
	v_add_nc_u32_e32 v60, s5, v57
	v_add_co_u32 v51, vcc_lo, s0, v51
	s_wait_alu 0xfffd
	s_delay_alu instid0(VALU_DEP_4) | instskip(SKIP_2) | instid1(VALU_DEP_2)
	v_add_co_ci_u32_e64 v52, null, s1, v52, vcc_lo
	v_lshlrev_b64_e32 v[53:54], 3, v[57:58]
	v_ashrrev_i32_e32 v61, 31, v60
	v_add_co_u32 v53, vcc_lo, s0, v53
	s_wait_alu 0xfffd
	s_delay_alu instid0(VALU_DEP_3)
	v_add_co_ci_u32_e64 v54, null, s1, v54, vcc_lo
	s_wait_loadcnt_dscnt 0x0
	scratch_store_b64 off, v[55:56], off offset:192
	flat_load_b64 v[55:56], v[51:52]
	s_wait_loadcnt_dscnt 0x0
	scratch_store_b64 off, v[55:56], off offset:200
	flat_load_b64 v[58:59], v[53:54]
	v_lshlrev_b64_e32 v[55:56], 3, v[60:61]
	s_delay_alu instid0(VALU_DEP_1) | instskip(SKIP_1) | instid1(VALU_DEP_2)
	v_add_co_u32 v55, vcc_lo, s0, v55
	s_wait_alu 0xfffd
	v_add_co_ci_u32_e64 v56, null, s1, v56, vcc_lo
	s_wait_loadcnt_dscnt 0x0
	scratch_store_b64 off, v[58:59], off offset:208
	flat_load_b64 v[61:62], v[55:56]
	v_add_nc_u32_e32 v59, s5, v60
	s_delay_alu instid0(VALU_DEP_1) | instskip(SKIP_1) | instid1(VALU_DEP_2)
	v_ashrrev_i32_e32 v60, 31, v59
	v_add_nc_u32_e32 v63, s5, v59
	v_lshlrev_b64_e32 v[57:58], 3, v[59:60]
	s_delay_alu instid0(VALU_DEP_2) | instskip(SKIP_1) | instid1(VALU_DEP_3)
	v_ashrrev_i32_e32 v64, 31, v63
	v_add_nc_u32_e32 v66, s5, v63
	v_add_co_u32 v57, vcc_lo, s0, v57
	s_wait_alu 0xfffd
	s_delay_alu instid0(VALU_DEP_4) | instskip(SKIP_2) | instid1(VALU_DEP_2)
	v_add_co_ci_u32_e64 v58, null, s1, v58, vcc_lo
	v_lshlrev_b64_e32 v[59:60], 3, v[63:64]
	v_ashrrev_i32_e32 v67, 31, v66
	v_add_co_u32 v59, vcc_lo, s0, v59
	s_wait_alu 0xfffd
	s_delay_alu instid0(VALU_DEP_3)
	v_add_co_ci_u32_e64 v60, null, s1, v60, vcc_lo
	s_wait_loadcnt_dscnt 0x0
	scratch_store_b64 off, v[61:62], off offset:216
	flat_load_b64 v[61:62], v[57:58]
	s_wait_loadcnt_dscnt 0x0
	scratch_store_b64 off, v[61:62], off offset:224
	flat_load_b64 v[64:65], v[59:60]
	v_lshlrev_b64_e32 v[61:62], 3, v[66:67]
	s_delay_alu instid0(VALU_DEP_1) | instskip(SKIP_1) | instid1(VALU_DEP_2)
	v_add_co_u32 v61, vcc_lo, s0, v61
	s_wait_alu 0xfffd
	v_add_co_ci_u32_e64 v62, null, s1, v62, vcc_lo
	s_wait_loadcnt_dscnt 0x0
	scratch_store_b64 off, v[64:65], off offset:232
	flat_load_b64 v[67:68], v[61:62]
	v_add_nc_u32_e32 v65, s5, v66
	s_delay_alu instid0(VALU_DEP_1) | instskip(NEXT) | instid1(VALU_DEP_1)
	v_ashrrev_i32_e32 v66, 31, v65
	v_lshlrev_b64_e32 v[63:64], 3, v[65:66]
	v_add_nc_u32_e32 v65, s5, v65
	s_delay_alu instid0(VALU_DEP_1) | instskip(NEXT) | instid1(VALU_DEP_3)
	v_ashrrev_i32_e32 v66, 31, v65
	v_add_co_u32 v63, vcc_lo, s0, v63
	s_wait_alu 0xfffd
	s_delay_alu instid0(VALU_DEP_4) | instskip(NEXT) | instid1(VALU_DEP_3)
	v_add_co_ci_u32_e64 v64, null, s1, v64, vcc_lo
	v_lshlrev_b64_e32 v[65:66], 3, v[65:66]
	s_delay_alu instid0(VALU_DEP_1) | instskip(SKIP_1) | instid1(VALU_DEP_2)
	v_add_co_u32 v65, vcc_lo, s0, v65
	s_wait_alu 0xfffd
	v_add_co_ci_u32_e64 v66, null, s1, v66, vcc_lo
	s_mov_b32 s1, -1
	s_wait_loadcnt_dscnt 0x0
	scratch_store_b64 off, v[67:68], off offset:240
	flat_load_b64 v[67:68], v[63:64]
	s_wait_loadcnt_dscnt 0x0
	scratch_store_b64 off, v[67:68], off offset:248
	flat_load_b64 v[67:68], v[65:66]
	s_wait_loadcnt_dscnt 0x0
	scratch_store_b64 off, v[67:68], off offset:256
	s_cbranch_scc1 .LBB96_144
; %bb.4:
	v_cmp_eq_u32_e64 s0, 0, v0
	s_and_saveexec_b32 s1, s0
; %bb.5:
	v_mov_b32_e32 v67, 0
	ds_store_b32 v67, v67 offset:264
; %bb.6:
	s_wait_alu 0xfffe
	s_or_b32 exec_lo, exec_lo, s1
	s_wait_storecnt_dscnt 0x0
	s_barrier_signal -1
	s_barrier_wait -1
	global_inv scope:SCOPE_SE
	scratch_load_b64 v[67:68], v73, off
	s_wait_loadcnt 0x0
	v_cmp_eq_f32_e32 vcc_lo, 0, v67
	v_cmp_eq_f32_e64 s1, 0, v68
	s_and_b32 s1, vcc_lo, s1
	s_wait_alu 0xfffe
	s_and_saveexec_b32 s4, s1
	s_cbranch_execz .LBB96_10
; %bb.7:
	v_mov_b32_e32 v67, 0
	s_mov_b32 s5, 0
	ds_load_b32 v68, v67 offset:264
	s_wait_dscnt 0x0
	v_readfirstlane_b32 s1, v68
	v_add_nc_u32_e32 v68, 1, v0
	s_cmp_eq_u32 s1, 0
	s_delay_alu instid0(VALU_DEP_1)
	v_cmp_gt_i32_e32 vcc_lo, s1, v68
	s_cselect_b32 s10, -1, 0
	s_wait_alu 0xfffe
	s_or_b32 s10, s10, vcc_lo
	s_wait_alu 0xfffe
	s_and_b32 exec_lo, exec_lo, s10
	s_cbranch_execz .LBB96_10
; %bb.8:
	v_mov_b32_e32 v69, s1
.LBB96_9:                               ; =>This Inner Loop Header: Depth=1
	ds_cmpstore_rtn_b32 v69, v67, v68, v69 offset:264
	s_wait_dscnt 0x0
	v_cmp_ne_u32_e32 vcc_lo, 0, v69
	v_cmp_le_i32_e64 s1, v69, v68
	s_and_b32 s1, vcc_lo, s1
	s_wait_alu 0xfffe
	s_and_b32 s1, exec_lo, s1
	s_wait_alu 0xfffe
	s_or_b32 s5, s1, s5
	s_wait_alu 0xfffe
	s_and_not1_b32 exec_lo, exec_lo, s5
	s_cbranch_execnz .LBB96_9
.LBB96_10:
	s_wait_alu 0xfffe
	s_or_b32 exec_lo, exec_lo, s4
	v_mov_b32_e32 v67, 0
	s_barrier_signal -1
	s_barrier_wait -1
	global_inv scope:SCOPE_SE
	ds_load_b32 v68, v67 offset:264
	s_and_saveexec_b32 s1, s0
	s_cbranch_execz .LBB96_12
; %bb.11:
	s_lshl_b64 s[4:5], s[8:9], 2
	s_wait_alu 0xfffe
	s_add_nc_u64 s[4:5], s[6:7], s[4:5]
	s_wait_dscnt 0x0
	global_store_b32 v67, v68, s[4:5]
.LBB96_12:
	s_wait_alu 0xfffe
	s_or_b32 exec_lo, exec_lo, s1
	s_wait_dscnt 0x0
	v_cmp_ne_u32_e32 vcc_lo, 0, v68
	s_mov_b32 s1, 0
	s_cbranch_vccnz .LBB96_144
; %bb.13:
	v_mov_b32_e32 v74, v73
                                        ; implicit-def: $vgpr69
                                        ; implicit-def: $vgpr71
	scratch_load_b64 v[67:68], v74, off
	s_wait_loadcnt 0x0
	v_cmp_ngt_f32_e64 s1, |v67|, |v68|
	s_wait_alu 0xfffe
	s_and_saveexec_b32 s4, s1
	s_wait_alu 0xfffe
	s_xor_b32 s1, exec_lo, s4
	s_cbranch_execz .LBB96_15
; %bb.14:
	v_div_scale_f32 v69, null, v68, v68, v67
	v_div_scale_f32 v72, vcc_lo, v67, v68, v67
	s_delay_alu instid0(VALU_DEP_2) | instskip(NEXT) | instid1(TRANS32_DEP_1)
	v_rcp_f32_e32 v70, v69
	v_fma_f32 v71, -v69, v70, 1.0
	s_delay_alu instid0(VALU_DEP_1) | instskip(NEXT) | instid1(VALU_DEP_1)
	v_fmac_f32_e32 v70, v71, v70
	v_mul_f32_e32 v71, v72, v70
	s_delay_alu instid0(VALU_DEP_1) | instskip(NEXT) | instid1(VALU_DEP_1)
	v_fma_f32 v75, -v69, v71, v72
	v_fmac_f32_e32 v71, v75, v70
	s_delay_alu instid0(VALU_DEP_1) | instskip(SKIP_1) | instid1(VALU_DEP_1)
	v_fma_f32 v69, -v69, v71, v72
	s_wait_alu 0xfffd
	v_div_fmas_f32 v69, v69, v70, v71
	s_delay_alu instid0(VALU_DEP_1) | instskip(NEXT) | instid1(VALU_DEP_1)
	v_div_fixup_f32 v69, v69, v68, v67
	v_fmac_f32_e32 v68, v67, v69
	s_delay_alu instid0(VALU_DEP_1) | instskip(NEXT) | instid1(VALU_DEP_1)
	v_div_scale_f32 v67, null, v68, v68, 1.0
	v_rcp_f32_e32 v70, v67
	s_delay_alu instid0(TRANS32_DEP_1) | instskip(NEXT) | instid1(VALU_DEP_1)
	v_fma_f32 v71, -v67, v70, 1.0
	v_fmac_f32_e32 v70, v71, v70
	v_div_scale_f32 v71, vcc_lo, 1.0, v68, 1.0
	s_delay_alu instid0(VALU_DEP_1) | instskip(NEXT) | instid1(VALU_DEP_1)
	v_mul_f32_e32 v72, v71, v70
	v_fma_f32 v75, -v67, v72, v71
	s_delay_alu instid0(VALU_DEP_1) | instskip(NEXT) | instid1(VALU_DEP_1)
	v_fmac_f32_e32 v72, v75, v70
	v_fma_f32 v67, -v67, v72, v71
	s_wait_alu 0xfffd
	s_delay_alu instid0(VALU_DEP_1) | instskip(NEXT) | instid1(VALU_DEP_1)
	v_div_fmas_f32 v67, v67, v70, v72
	v_div_fixup_f32 v67, v67, v68, 1.0
	s_delay_alu instid0(VALU_DEP_1) | instskip(SKIP_1) | instid1(VALU_DEP_2)
	v_mul_f32_e32 v69, v69, v67
	v_xor_b32_e32 v70, 0x80000000, v67
                                        ; implicit-def: $vgpr67_vgpr68
	v_xor_b32_e32 v71, 0x80000000, v69
.LBB96_15:
	s_wait_alu 0xfffe
	s_and_not1_saveexec_b32 s1, s1
	s_cbranch_execz .LBB96_17
; %bb.16:
	v_div_scale_f32 v69, null, v67, v67, v68
	v_div_scale_f32 v72, vcc_lo, v68, v67, v68
	s_delay_alu instid0(VALU_DEP_2) | instskip(NEXT) | instid1(TRANS32_DEP_1)
	v_rcp_f32_e32 v70, v69
	v_fma_f32 v71, -v69, v70, 1.0
	s_delay_alu instid0(VALU_DEP_1) | instskip(NEXT) | instid1(VALU_DEP_1)
	v_fmac_f32_e32 v70, v71, v70
	v_mul_f32_e32 v71, v72, v70
	s_delay_alu instid0(VALU_DEP_1) | instskip(NEXT) | instid1(VALU_DEP_1)
	v_fma_f32 v75, -v69, v71, v72
	v_fmac_f32_e32 v71, v75, v70
	s_delay_alu instid0(VALU_DEP_1) | instskip(SKIP_1) | instid1(VALU_DEP_1)
	v_fma_f32 v69, -v69, v71, v72
	s_wait_alu 0xfffd
	v_div_fmas_f32 v69, v69, v70, v71
	s_delay_alu instid0(VALU_DEP_1) | instskip(NEXT) | instid1(VALU_DEP_1)
	v_div_fixup_f32 v70, v69, v67, v68
	v_fmac_f32_e32 v67, v68, v70
	s_delay_alu instid0(VALU_DEP_1) | instskip(SKIP_1) | instid1(VALU_DEP_2)
	v_div_scale_f32 v68, null, v67, v67, 1.0
	v_div_scale_f32 v72, vcc_lo, 1.0, v67, 1.0
	v_rcp_f32_e32 v69, v68
	s_delay_alu instid0(TRANS32_DEP_1) | instskip(NEXT) | instid1(VALU_DEP_1)
	v_fma_f32 v71, -v68, v69, 1.0
	v_fmac_f32_e32 v69, v71, v69
	s_delay_alu instid0(VALU_DEP_1) | instskip(NEXT) | instid1(VALU_DEP_1)
	v_mul_f32_e32 v71, v72, v69
	v_fma_f32 v75, -v68, v71, v72
	s_delay_alu instid0(VALU_DEP_1) | instskip(NEXT) | instid1(VALU_DEP_1)
	v_fmac_f32_e32 v71, v75, v69
	v_fma_f32 v68, -v68, v71, v72
	s_wait_alu 0xfffd
	s_delay_alu instid0(VALU_DEP_1) | instskip(NEXT) | instid1(VALU_DEP_1)
	v_div_fmas_f32 v68, v68, v69, v71
	v_div_fixup_f32 v69, v68, v67, 1.0
	s_delay_alu instid0(VALU_DEP_1)
	v_xor_b32_e32 v71, 0x80000000, v69
	v_mul_f32_e64 v70, v70, -v69
.LBB96_17:
	s_wait_alu 0xfffe
	s_or_b32 exec_lo, exec_lo, s1
	scratch_store_b64 v74, v[69:70], off
	scratch_load_b64 v[68:69], off, off offset:8
	v_xor_b32_e32 v72, 0x80000000, v70
	v_add_nc_u32_e32 v67, 0x110, v73
	s_wait_loadcnt 0x0
	ds_store_2addr_b64 v73, v[71:72], v[68:69] offset1:34
	s_wait_storecnt_dscnt 0x0
	s_barrier_signal -1
	s_barrier_wait -1
	global_inv scope:SCOPE_SE
	s_and_saveexec_b32 s1, s0
	s_cbranch_execz .LBB96_19
; %bb.18:
	scratch_load_b64 v[68:69], v74, off
	ds_load_b64 v[70:71], v67
	v_mov_b32_e32 v72, 0
	ds_load_b64 v[75:76], v72 offset:8
	s_wait_loadcnt_dscnt 0x1
	v_mul_f32_e32 v72, v70, v69
	v_mul_f32_e32 v69, v71, v69
	s_delay_alu instid0(VALU_DEP_2) | instskip(NEXT) | instid1(VALU_DEP_2)
	v_fmac_f32_e32 v72, v71, v68
	v_fma_f32 v68, v70, v68, -v69
	s_delay_alu instid0(VALU_DEP_2) | instskip(NEXT) | instid1(VALU_DEP_2)
	v_add_f32_e32 v70, 0, v72
	v_add_f32_e32 v68, 0, v68
	s_wait_dscnt 0x0
	s_delay_alu instid0(VALU_DEP_2) | instskip(NEXT) | instid1(VALU_DEP_2)
	v_mul_f32_e32 v71, v70, v76
	v_mul_f32_e32 v69, v68, v76
	s_delay_alu instid0(VALU_DEP_2) | instskip(NEXT) | instid1(VALU_DEP_2)
	v_fma_f32 v68, v68, v75, -v71
	v_fmac_f32_e32 v69, v70, v75
	scratch_store_b64 off, v[68:69], off offset:8
.LBB96_19:
	s_wait_alu 0xfffe
	s_or_b32 exec_lo, exec_lo, s1
	s_wait_loadcnt 0x0
	s_wait_storecnt 0x0
	s_barrier_signal -1
	s_barrier_wait -1
	global_inv scope:SCOPE_SE
	scratch_load_b64 v[68:69], off, off offset:16
	s_mov_b32 s1, exec_lo
	s_wait_loadcnt 0x0
	ds_store_b64 v67, v[68:69]
	s_wait_dscnt 0x0
	s_barrier_signal -1
	s_barrier_wait -1
	global_inv scope:SCOPE_SE
	v_cmpx_gt_u32_e32 2, v0
	s_cbranch_execz .LBB96_23
; %bb.20:
	scratch_load_b64 v[68:69], v74, off
	ds_load_b64 v[70:71], v67
	s_wait_loadcnt_dscnt 0x0
	v_mul_f32_e32 v72, v71, v69
	v_mul_f32_e32 v75, v70, v69
	s_delay_alu instid0(VALU_DEP_2) | instskip(NEXT) | instid1(VALU_DEP_2)
	v_fma_f32 v69, v70, v68, -v72
	v_fmac_f32_e32 v75, v71, v68
	s_delay_alu instid0(VALU_DEP_1)
	v_dual_add_f32 v69, 0, v69 :: v_dual_add_f32 v68, 0, v75
	s_and_saveexec_b32 s4, s0
	s_cbranch_execz .LBB96_22
; %bb.21:
	scratch_load_b64 v[70:71], off, off offset:8
	v_mov_b32_e32 v72, 0
	ds_load_b64 v[75:76], v72 offset:280
	s_wait_loadcnt_dscnt 0x0
	v_mul_f32_e32 v72, v75, v71
	v_mul_f32_e32 v71, v76, v71
	s_delay_alu instid0(VALU_DEP_2) | instskip(NEXT) | instid1(VALU_DEP_2)
	v_fmac_f32_e32 v72, v76, v70
	v_fma_f32 v70, v75, v70, -v71
	s_delay_alu instid0(VALU_DEP_1)
	v_dual_add_f32 v68, v68, v72 :: v_dual_add_f32 v69, v69, v70
.LBB96_22:
	s_wait_alu 0xfffe
	s_or_b32 exec_lo, exec_lo, s4
	v_mov_b32_e32 v70, 0
	ds_load_b64 v[70:71], v70 offset:16
	s_wait_dscnt 0x0
	v_mul_f32_e32 v75, v68, v71
	v_mul_f32_e32 v72, v69, v71
	s_delay_alu instid0(VALU_DEP_2) | instskip(NEXT) | instid1(VALU_DEP_2)
	v_fma_f32 v71, v69, v70, -v75
	v_fmac_f32_e32 v72, v68, v70
	scratch_store_b64 off, v[71:72], off offset:16
.LBB96_23:
	s_wait_alu 0xfffe
	s_or_b32 exec_lo, exec_lo, s1
	s_wait_loadcnt 0x0
	s_wait_storecnt 0x0
	s_barrier_signal -1
	s_barrier_wait -1
	global_inv scope:SCOPE_SE
	scratch_load_b64 v[69:70], off, off offset:24
	v_add_nc_u32_e32 v68, -1, v0
	s_mov_b32 s0, exec_lo
	s_wait_loadcnt 0x0
	ds_store_b64 v67, v[69:70]
	s_wait_dscnt 0x0
	s_barrier_signal -1
	s_barrier_wait -1
	global_inv scope:SCOPE_SE
	v_cmpx_gt_u32_e32 3, v0
	s_cbranch_execz .LBB96_27
; %bb.24:
	v_dual_mov_b32 v69, 0 :: v_dual_add_nc_u32 v70, -1, v0
	v_dual_mov_b32 v72, v73 :: v_dual_add_nc_u32 v71, 0x110, v73
	v_mov_b32_e32 v75, 0
	s_mov_b32 s1, 0
.LBB96_25:                              ; =>This Inner Loop Header: Depth=1
	scratch_load_b64 v[76:77], v72, off
	ds_load_b64 v[78:79], v71
	v_add_nc_u32_e32 v70, 1, v70
	v_add_nc_u32_e32 v71, 8, v71
	s_delay_alu instid0(VALU_DEP_2)
	v_cmp_lt_u32_e32 vcc_lo, 1, v70
	s_wait_alu 0xfffe
	s_or_b32 s1, vcc_lo, s1
	s_wait_loadcnt_dscnt 0x0
	v_mul_f32_e32 v80, v79, v77
	v_mul_f32_e32 v77, v78, v77
	s_delay_alu instid0(VALU_DEP_2) | instskip(NEXT) | instid1(VALU_DEP_2)
	v_fma_f32 v78, v78, v76, -v80
	v_fmac_f32_e32 v77, v79, v76
	s_delay_alu instid0(VALU_DEP_2) | instskip(NEXT) | instid1(VALU_DEP_2)
	v_dual_add_f32 v75, v75, v78 :: v_dual_add_nc_u32 v72, 8, v72
	v_add_f32_e32 v69, v69, v77
	s_wait_alu 0xfffe
	s_and_not1_b32 exec_lo, exec_lo, s1
	s_cbranch_execnz .LBB96_25
; %bb.26:
	s_or_b32 exec_lo, exec_lo, s1
	v_mov_b32_e32 v70, 0
	ds_load_b64 v[70:71], v70 offset:24
	s_wait_dscnt 0x0
	v_mul_f32_e32 v76, v69, v71
	v_mul_f32_e32 v72, v75, v71
	s_delay_alu instid0(VALU_DEP_2) | instskip(NEXT) | instid1(VALU_DEP_2)
	v_fma_f32 v71, v75, v70, -v76
	v_fmac_f32_e32 v72, v69, v70
	scratch_store_b64 off, v[71:72], off offset:24
.LBB96_27:
	s_wait_alu 0xfffe
	s_or_b32 exec_lo, exec_lo, s0
	s_wait_loadcnt 0x0
	s_wait_storecnt 0x0
	s_barrier_signal -1
	s_barrier_wait -1
	global_inv scope:SCOPE_SE
	scratch_load_b64 v[69:70], off, off offset:32
	s_mov_b32 s0, exec_lo
	s_wait_loadcnt 0x0
	ds_store_b64 v67, v[69:70]
	s_wait_dscnt 0x0
	s_barrier_signal -1
	s_barrier_wait -1
	global_inv scope:SCOPE_SE
	v_cmpx_gt_u32_e32 4, v0
	s_cbranch_execz .LBB96_31
; %bb.28:
	v_dual_mov_b32 v69, 0 :: v_dual_add_nc_u32 v70, -1, v0
	v_dual_mov_b32 v72, v73 :: v_dual_add_nc_u32 v71, 0x110, v73
	v_mov_b32_e32 v75, 0
	s_mov_b32 s1, 0
.LBB96_29:                              ; =>This Inner Loop Header: Depth=1
	scratch_load_b64 v[76:77], v72, off
	ds_load_b64 v[78:79], v71
	v_add_nc_u32_e32 v70, 1, v70
	v_add_nc_u32_e32 v71, 8, v71
	s_delay_alu instid0(VALU_DEP_2)
	v_cmp_lt_u32_e32 vcc_lo, 2, v70
	s_wait_alu 0xfffe
	s_or_b32 s1, vcc_lo, s1
	s_wait_loadcnt_dscnt 0x0
	v_mul_f32_e32 v80, v79, v77
	v_mul_f32_e32 v77, v78, v77
	s_delay_alu instid0(VALU_DEP_2) | instskip(NEXT) | instid1(VALU_DEP_2)
	v_fma_f32 v78, v78, v76, -v80
	v_fmac_f32_e32 v77, v79, v76
	s_delay_alu instid0(VALU_DEP_2) | instskip(NEXT) | instid1(VALU_DEP_2)
	v_dual_add_f32 v75, v75, v78 :: v_dual_add_nc_u32 v72, 8, v72
	v_add_f32_e32 v69, v69, v77
	s_wait_alu 0xfffe
	s_and_not1_b32 exec_lo, exec_lo, s1
	s_cbranch_execnz .LBB96_29
; %bb.30:
	s_or_b32 exec_lo, exec_lo, s1
	v_mov_b32_e32 v70, 0
	ds_load_b64 v[70:71], v70 offset:32
	s_wait_dscnt 0x0
	v_mul_f32_e32 v76, v69, v71
	v_mul_f32_e32 v72, v75, v71
	s_delay_alu instid0(VALU_DEP_2) | instskip(NEXT) | instid1(VALU_DEP_2)
	v_fma_f32 v71, v75, v70, -v76
	v_fmac_f32_e32 v72, v69, v70
	scratch_store_b64 off, v[71:72], off offset:32
.LBB96_31:
	s_wait_alu 0xfffe
	s_or_b32 exec_lo, exec_lo, s0
	s_wait_loadcnt 0x0
	s_wait_storecnt 0x0
	s_barrier_signal -1
	s_barrier_wait -1
	global_inv scope:SCOPE_SE
	scratch_load_b64 v[69:70], off, off offset:40
	;; [unrolled: 55-line block ×19, first 2 shown]
	s_mov_b32 s0, exec_lo
	s_wait_loadcnt 0x0
	ds_store_b64 v67, v[69:70]
	s_wait_dscnt 0x0
	s_barrier_signal -1
	s_barrier_wait -1
	global_inv scope:SCOPE_SE
	v_cmpx_gt_u32_e32 22, v0
	s_cbranch_execz .LBB96_103
; %bb.100:
	v_dual_mov_b32 v69, 0 :: v_dual_add_nc_u32 v70, -1, v0
	v_dual_mov_b32 v72, v73 :: v_dual_add_nc_u32 v71, 0x110, v73
	v_mov_b32_e32 v75, 0
	s_mov_b32 s1, 0
.LBB96_101:                             ; =>This Inner Loop Header: Depth=1
	scratch_load_b64 v[76:77], v72, off
	ds_load_b64 v[78:79], v71
	v_add_nc_u32_e32 v70, 1, v70
	v_add_nc_u32_e32 v71, 8, v71
	s_delay_alu instid0(VALU_DEP_2)
	v_cmp_lt_u32_e32 vcc_lo, 20, v70
	s_wait_alu 0xfffe
	s_or_b32 s1, vcc_lo, s1
	s_wait_loadcnt_dscnt 0x0
	v_mul_f32_e32 v80, v79, v77
	v_mul_f32_e32 v77, v78, v77
	s_delay_alu instid0(VALU_DEP_2) | instskip(NEXT) | instid1(VALU_DEP_2)
	v_fma_f32 v78, v78, v76, -v80
	v_fmac_f32_e32 v77, v79, v76
	s_delay_alu instid0(VALU_DEP_2) | instskip(NEXT) | instid1(VALU_DEP_2)
	v_dual_add_f32 v75, v75, v78 :: v_dual_add_nc_u32 v72, 8, v72
	v_add_f32_e32 v69, v69, v77
	s_wait_alu 0xfffe
	s_and_not1_b32 exec_lo, exec_lo, s1
	s_cbranch_execnz .LBB96_101
; %bb.102:
	s_or_b32 exec_lo, exec_lo, s1
	v_mov_b32_e32 v70, 0
	ds_load_b64 v[70:71], v70 offset:176
	s_wait_dscnt 0x0
	v_mul_f32_e32 v76, v69, v71
	v_mul_f32_e32 v72, v75, v71
	s_delay_alu instid0(VALU_DEP_2) | instskip(NEXT) | instid1(VALU_DEP_2)
	v_fma_f32 v71, v75, v70, -v76
	v_fmac_f32_e32 v72, v69, v70
	scratch_store_b64 off, v[71:72], off offset:176
.LBB96_103:
	s_wait_alu 0xfffe
	s_or_b32 exec_lo, exec_lo, s0
	s_wait_loadcnt 0x0
	s_wait_storecnt 0x0
	s_barrier_signal -1
	s_barrier_wait -1
	global_inv scope:SCOPE_SE
	scratch_load_b64 v[69:70], off, off offset:184
	s_mov_b32 s0, exec_lo
	s_wait_loadcnt 0x0
	ds_store_b64 v67, v[69:70]
	s_wait_dscnt 0x0
	s_barrier_signal -1
	s_barrier_wait -1
	global_inv scope:SCOPE_SE
	v_cmpx_gt_u32_e32 23, v0
	s_cbranch_execz .LBB96_107
; %bb.104:
	v_dual_mov_b32 v69, 0 :: v_dual_add_nc_u32 v70, -1, v0
	v_dual_mov_b32 v72, v73 :: v_dual_add_nc_u32 v71, 0x110, v73
	v_mov_b32_e32 v75, 0
	s_mov_b32 s1, 0
.LBB96_105:                             ; =>This Inner Loop Header: Depth=1
	scratch_load_b64 v[76:77], v72, off
	ds_load_b64 v[78:79], v71
	v_add_nc_u32_e32 v70, 1, v70
	v_add_nc_u32_e32 v71, 8, v71
	s_delay_alu instid0(VALU_DEP_2)
	v_cmp_lt_u32_e32 vcc_lo, 21, v70
	s_wait_alu 0xfffe
	s_or_b32 s1, vcc_lo, s1
	s_wait_loadcnt_dscnt 0x0
	v_mul_f32_e32 v80, v79, v77
	v_mul_f32_e32 v77, v78, v77
	s_delay_alu instid0(VALU_DEP_2) | instskip(NEXT) | instid1(VALU_DEP_2)
	v_fma_f32 v78, v78, v76, -v80
	v_fmac_f32_e32 v77, v79, v76
	s_delay_alu instid0(VALU_DEP_2) | instskip(NEXT) | instid1(VALU_DEP_2)
	v_dual_add_f32 v75, v75, v78 :: v_dual_add_nc_u32 v72, 8, v72
	v_add_f32_e32 v69, v69, v77
	s_wait_alu 0xfffe
	s_and_not1_b32 exec_lo, exec_lo, s1
	s_cbranch_execnz .LBB96_105
; %bb.106:
	s_or_b32 exec_lo, exec_lo, s1
	v_mov_b32_e32 v70, 0
	ds_load_b64 v[70:71], v70 offset:184
	s_wait_dscnt 0x0
	v_mul_f32_e32 v76, v69, v71
	v_mul_f32_e32 v72, v75, v71
	s_delay_alu instid0(VALU_DEP_2) | instskip(NEXT) | instid1(VALU_DEP_2)
	v_fma_f32 v71, v75, v70, -v76
	v_fmac_f32_e32 v72, v69, v70
	scratch_store_b64 off, v[71:72], off offset:184
.LBB96_107:
	s_wait_alu 0xfffe
	s_or_b32 exec_lo, exec_lo, s0
	s_wait_loadcnt 0x0
	s_wait_storecnt 0x0
	s_barrier_signal -1
	s_barrier_wait -1
	global_inv scope:SCOPE_SE
	scratch_load_b64 v[69:70], off, off offset:192
	;; [unrolled: 55-line block ×9, first 2 shown]
	s_mov_b32 s0, exec_lo
	s_wait_loadcnt 0x0
	ds_store_b64 v67, v[69:70]
	s_wait_dscnt 0x0
	s_barrier_signal -1
	s_barrier_wait -1
	global_inv scope:SCOPE_SE
	v_cmpx_gt_u32_e32 31, v0
	s_cbranch_execz .LBB96_139
; %bb.136:
	v_dual_mov_b32 v69, 0 :: v_dual_add_nc_u32 v70, -1, v0
	v_dual_mov_b32 v72, v73 :: v_dual_add_nc_u32 v71, 0x110, v73
	v_mov_b32_e32 v73, 0
	s_mov_b32 s1, 0
.LBB96_137:                             ; =>This Inner Loop Header: Depth=1
	scratch_load_b64 v[75:76], v72, off
	ds_load_b64 v[77:78], v71
	v_add_nc_u32_e32 v72, 8, v72
	v_add_nc_u32_e32 v70, 1, v70
	;; [unrolled: 1-line block ×3, first 2 shown]
	s_delay_alu instid0(VALU_DEP_2)
	v_cmp_lt_u32_e32 vcc_lo, 29, v70
	s_wait_alu 0xfffe
	s_or_b32 s1, vcc_lo, s1
	s_wait_loadcnt_dscnt 0x0
	v_mul_f32_e32 v79, v78, v76
	v_mul_f32_e32 v76, v77, v76
	s_delay_alu instid0(VALU_DEP_2) | instskip(NEXT) | instid1(VALU_DEP_1)
	v_fma_f32 v77, v77, v75, -v79
	v_dual_fmac_f32 v76, v78, v75 :: v_dual_add_f32 v73, v73, v77
	s_delay_alu instid0(VALU_DEP_1)
	v_add_f32_e32 v69, v69, v76
	s_wait_alu 0xfffe
	s_and_not1_b32 exec_lo, exec_lo, s1
	s_cbranch_execnz .LBB96_137
; %bb.138:
	s_or_b32 exec_lo, exec_lo, s1
	v_mov_b32_e32 v70, 0
	ds_load_b64 v[70:71], v70 offset:248
	s_wait_dscnt 0x0
	v_mul_f32_e32 v75, v69, v71
	v_mul_f32_e32 v72, v73, v71
	s_delay_alu instid0(VALU_DEP_2) | instskip(NEXT) | instid1(VALU_DEP_2)
	v_fma_f32 v71, v73, v70, -v75
	v_fmac_f32_e32 v72, v69, v70
	scratch_store_b64 off, v[71:72], off offset:248
.LBB96_139:
	s_wait_alu 0xfffe
	s_or_b32 exec_lo, exec_lo, s0
	s_wait_loadcnt 0x0
	s_wait_storecnt 0x0
	s_barrier_signal -1
	s_barrier_wait -1
	global_inv scope:SCOPE_SE
	scratch_load_b64 v[69:70], off, off offset:256
	s_mov_b32 s0, exec_lo
	s_wait_loadcnt 0x0
	ds_store_b64 v67, v[69:70]
	s_wait_dscnt 0x0
	s_barrier_signal -1
	s_barrier_wait -1
	global_inv scope:SCOPE_SE
	v_cmpx_ne_u32_e32 32, v0
	s_cbranch_execz .LBB96_143
; %bb.140:
	v_dual_mov_b32 v69, 0 :: v_dual_mov_b32 v70, 0
	s_mov_b32 s1, 0
.LBB96_141:                             ; =>This Inner Loop Header: Depth=1
	scratch_load_b64 v[71:72], v74, off
	ds_load_b64 v[75:76], v67
	v_add_nc_u32_e32 v68, 1, v68
	v_add_nc_u32_e32 v67, 8, v67
	;; [unrolled: 1-line block ×3, first 2 shown]
	s_delay_alu instid0(VALU_DEP_3)
	v_cmp_lt_u32_e32 vcc_lo, 30, v68
	s_wait_alu 0xfffe
	s_or_b32 s1, vcc_lo, s1
	s_wait_loadcnt_dscnt 0x0
	v_mul_f32_e32 v73, v76, v72
	v_mul_f32_e32 v72, v75, v72
	s_delay_alu instid0(VALU_DEP_2) | instskip(NEXT) | instid1(VALU_DEP_2)
	v_fma_f32 v73, v75, v71, -v73
	v_fmac_f32_e32 v72, v76, v71
	s_delay_alu instid0(VALU_DEP_1)
	v_dual_add_f32 v70, v70, v73 :: v_dual_add_f32 v69, v69, v72
	s_wait_alu 0xfffe
	s_and_not1_b32 exec_lo, exec_lo, s1
	s_cbranch_execnz .LBB96_141
; %bb.142:
	s_or_b32 exec_lo, exec_lo, s1
	v_mov_b32_e32 v67, 0
	ds_load_b64 v[67:68], v67 offset:256
	s_wait_dscnt 0x0
	v_mul_f32_e32 v72, v69, v68
	v_mul_f32_e32 v71, v70, v68
	s_delay_alu instid0(VALU_DEP_2) | instskip(NEXT) | instid1(VALU_DEP_2)
	v_fma_f32 v70, v70, v67, -v72
	v_fmac_f32_e32 v71, v69, v67
	scratch_store_b64 off, v[70:71], off offset:256
.LBB96_143:
	s_wait_alu 0xfffe
	s_or_b32 exec_lo, exec_lo, s0
	s_mov_b32 s1, -1
	s_wait_loadcnt 0x0
	s_wait_storecnt 0x0
	s_barrier_signal -1
	s_barrier_wait -1
	global_inv scope:SCOPE_SE
.LBB96_144:
	s_wait_alu 0xfffe
	s_and_b32 vcc_lo, exec_lo, s1
	s_wait_alu 0xfffe
	s_cbranch_vccz .LBB96_146
; %bb.145:
	v_mov_b32_e32 v67, 0
	s_lshl_b64 s[0:1], s[8:9], 2
	s_wait_alu 0xfffe
	s_add_nc_u64 s[0:1], s[6:7], s[0:1]
	global_load_b32 v67, v67, s[0:1]
	s_wait_loadcnt 0x0
	v_cmp_ne_u32_e32 vcc_lo, 0, v67
	s_cbranch_vccz .LBB96_147
.LBB96_146:
	s_nop 0
	s_sendmsg sendmsg(MSG_DEALLOC_VGPRS)
	s_endpgm
.LBB96_147:
	v_lshl_add_u32 v69, v0, 3, 0x110
	s_mov_b32 s0, exec_lo
	v_cmpx_eq_u32_e32 32, v0
	s_cbranch_execz .LBB96_149
; %bb.148:
	scratch_load_b64 v[67:68], off, off offset:248
	v_mov_b32_e32 v70, 0
	s_delay_alu instid0(VALU_DEP_1)
	v_mov_b32_e32 v71, v70
	scratch_store_b64 off, v[70:71], off offset:248
	s_wait_loadcnt 0x0
	ds_store_b64 v69, v[67:68]
.LBB96_149:
	s_wait_alu 0xfffe
	s_or_b32 exec_lo, exec_lo, s0
	s_wait_storecnt_dscnt 0x0
	s_barrier_signal -1
	s_barrier_wait -1
	global_inv scope:SCOPE_SE
	s_clause 0x1
	scratch_load_b64 v[70:71], off, off offset:256
	scratch_load_b64 v[72:73], off, off offset:248
	v_mov_b32_e32 v67, 0
	s_mov_b32 s0, exec_lo
	ds_load_b64 v[74:75], v67 offset:528
	s_wait_loadcnt_dscnt 0x100
	v_mul_f32_e32 v68, v75, v71
	s_delay_alu instid0(VALU_DEP_1) | instskip(NEXT) | instid1(VALU_DEP_1)
	v_fma_f32 v68, v74, v70, -v68
	v_dual_mul_f32 v71, v74, v71 :: v_dual_add_f32 v68, 0, v68
	s_wait_loadcnt 0x0
	s_delay_alu instid0(VALU_DEP_1) | instskip(NEXT) | instid1(VALU_DEP_1)
	v_dual_fmac_f32 v71, v75, v70 :: v_dual_sub_f32 v70, v72, v68
	v_add_f32_e32 v71, 0, v71
	s_delay_alu instid0(VALU_DEP_1)
	v_sub_f32_e32 v71, v73, v71
	scratch_store_b64 off, v[70:71], off offset:248
	v_cmpx_lt_u32_e32 30, v0
	s_cbranch_execz .LBB96_151
; %bb.150:
	scratch_load_b64 v[70:71], off, off offset:240
	v_mov_b32_e32 v68, v67
	scratch_store_b64 off, v[67:68], off offset:240
	s_wait_loadcnt 0x0
	ds_store_b64 v69, v[70:71]
.LBB96_151:
	s_wait_alu 0xfffe
	s_or_b32 exec_lo, exec_lo, s0
	s_wait_storecnt_dscnt 0x0
	s_barrier_signal -1
	s_barrier_wait -1
	global_inv scope:SCOPE_SE
	s_clause 0x1
	scratch_load_b128 v[70:73], off, off offset:248
	scratch_load_b64 v[78:79], off, off offset:240
	ds_load_2addr_b64 v[74:77], v67 offset0:65 offset1:66
	s_mov_b32 s0, exec_lo
	s_wait_loadcnt_dscnt 0x100
	v_mul_f32_e32 v68, v74, v71
	s_delay_alu instid0(VALU_DEP_1) | instskip(SKIP_2) | instid1(VALU_DEP_1)
	v_fmac_f32_e32 v68, v75, v70
	v_mul_f32_e32 v67, v75, v71
	v_mul_f32_e32 v71, v76, v73
	v_fmac_f32_e32 v71, v77, v72
	s_delay_alu instid0(VALU_DEP_4) | instskip(NEXT) | instid1(VALU_DEP_4)
	v_dual_add_f32 v68, 0, v68 :: v_dual_mul_f32 v73, v77, v73
	v_fma_f32 v67, v74, v70, -v67
	s_delay_alu instid0(VALU_DEP_2) | instskip(NEXT) | instid1(VALU_DEP_3)
	v_add_f32_e32 v68, v68, v71
	v_fma_f32 v70, v76, v72, -v73
	s_wait_loadcnt 0x0
	s_delay_alu instid0(VALU_DEP_2) | instskip(NEXT) | instid1(VALU_DEP_1)
	v_dual_add_f32 v67, 0, v67 :: v_dual_sub_f32 v68, v79, v68
	v_add_f32_e32 v67, v67, v70
	s_delay_alu instid0(VALU_DEP_1)
	v_sub_f32_e32 v67, v78, v67
	scratch_store_b64 off, v[67:68], off offset:240
	v_cmpx_lt_u32_e32 29, v0
	s_cbranch_execz .LBB96_153
; %bb.152:
	scratch_load_b64 v[67:68], off, off offset:232
	v_mov_b32_e32 v70, 0
	s_delay_alu instid0(VALU_DEP_1)
	v_mov_b32_e32 v71, v70
	scratch_store_b64 off, v[70:71], off offset:232
	s_wait_loadcnt 0x0
	ds_store_b64 v69, v[67:68]
.LBB96_153:
	s_wait_alu 0xfffe
	s_or_b32 exec_lo, exec_lo, s0
	s_wait_storecnt_dscnt 0x0
	s_barrier_signal -1
	s_barrier_wait -1
	global_inv scope:SCOPE_SE
	s_clause 0x2
	scratch_load_b128 v[70:73], off, off offset:240
	scratch_load_b64 v[78:79], off, off offset:256
	scratch_load_b64 v[80:81], off, off offset:232
	v_mov_b32_e32 v67, 0
	ds_load_b128 v[74:77], v67 offset:512
	ds_load_b64 v[82:83], v67 offset:528
	s_mov_b32 s0, exec_lo
	s_wait_loadcnt_dscnt 0x201
	v_mul_f32_e32 v68, v75, v71
	v_dual_mul_f32 v71, v74, v71 :: v_dual_mul_f32 v84, v76, v73
	v_mul_f32_e32 v73, v77, v73
	s_wait_loadcnt_dscnt 0x100
	v_mul_f32_e32 v85, v82, v79
	v_fma_f32 v68, v74, v70, -v68
	v_fmac_f32_e32 v71, v75, v70
	v_mul_f32_e32 v70, v83, v79
	v_fmac_f32_e32 v84, v77, v72
	v_fma_f32 v72, v76, v72, -v73
	s_delay_alu instid0(VALU_DEP_4) | instskip(NEXT) | instid1(VALU_DEP_4)
	v_dual_add_f32 v68, 0, v68 :: v_dual_add_f32 v71, 0, v71
	v_fma_f32 v70, v82, v78, -v70
	s_delay_alu instid0(VALU_DEP_2) | instskip(NEXT) | instid1(VALU_DEP_1)
	v_add_f32_e32 v68, v68, v72
	v_dual_add_f32 v71, v71, v84 :: v_dual_add_f32 v68, v68, v70
	s_wait_loadcnt 0x0
	s_delay_alu instid0(VALU_DEP_1) | instskip(NEXT) | instid1(VALU_DEP_1)
	v_dual_fmac_f32 v85, v83, v78 :: v_dual_sub_f32 v70, v80, v68
	v_add_f32_e32 v71, v71, v85
	s_delay_alu instid0(VALU_DEP_1)
	v_sub_f32_e32 v71, v81, v71
	scratch_store_b64 off, v[70:71], off offset:232
	v_cmpx_lt_u32_e32 28, v0
	s_cbranch_execz .LBB96_155
; %bb.154:
	scratch_load_b64 v[70:71], off, off offset:224
	v_mov_b32_e32 v68, v67
	scratch_store_b64 off, v[67:68], off offset:224
	s_wait_loadcnt 0x0
	ds_store_b64 v69, v[70:71]
.LBB96_155:
	s_wait_alu 0xfffe
	s_or_b32 exec_lo, exec_lo, s0
	s_wait_storecnt_dscnt 0x0
	s_barrier_signal -1
	s_barrier_wait -1
	global_inv scope:SCOPE_SE
	s_clause 0x2
	scratch_load_b128 v[70:73], off, off offset:232
	scratch_load_b128 v[74:77], off, off offset:248
	scratch_load_b64 v[86:87], off, off offset:224
	ds_load_2addr_b64 v[78:81], v67 offset0:63 offset1:64
	ds_load_2addr_b64 v[82:85], v67 offset0:65 offset1:66
	s_mov_b32 s0, exec_lo
	s_wait_loadcnt_dscnt 0x201
	v_mul_f32_e32 v68, v79, v71
	s_wait_loadcnt_dscnt 0x100
	v_dual_mul_f32 v88, v82, v75 :: v_dual_mul_f32 v89, v84, v77
	s_delay_alu instid0(VALU_DEP_2) | instskip(SKIP_2) | instid1(VALU_DEP_4)
	v_fma_f32 v68, v78, v70, -v68
	v_mul_f32_e32 v67, v78, v71
	v_mul_f32_e32 v71, v80, v73
	v_dual_mul_f32 v73, v81, v73 :: v_dual_fmac_f32 v88, v83, v74
	s_delay_alu instid0(VALU_DEP_3) | instskip(NEXT) | instid1(VALU_DEP_3)
	v_dual_add_f32 v68, 0, v68 :: v_dual_fmac_f32 v67, v79, v70
	v_dual_mul_f32 v70, v83, v75 :: v_dual_fmac_f32 v71, v81, v72
	s_delay_alu instid0(VALU_DEP_3) | instskip(SKIP_1) | instid1(VALU_DEP_3)
	v_fma_f32 v72, v80, v72, -v73
	v_fmac_f32_e32 v89, v85, v76
	v_fma_f32 v70, v82, v74, -v70
	s_delay_alu instid0(VALU_DEP_3) | instskip(NEXT) | instid1(VALU_DEP_1)
	v_dual_add_f32 v68, v68, v72 :: v_dual_add_f32 v67, 0, v67
	v_dual_add_f32 v68, v68, v70 :: v_dual_mul_f32 v73, v85, v77
	s_delay_alu instid0(VALU_DEP_2) | instskip(NEXT) | instid1(VALU_DEP_2)
	v_add_f32_e32 v67, v67, v71
	v_fma_f32 v71, v84, v76, -v73
	s_delay_alu instid0(VALU_DEP_1) | instskip(SKIP_1) | instid1(VALU_DEP_1)
	v_dual_add_f32 v67, v67, v88 :: v_dual_add_f32 v68, v68, v71
	s_wait_loadcnt 0x0
	v_dual_add_f32 v70, v67, v89 :: v_dual_sub_f32 v67, v86, v68
	s_delay_alu instid0(VALU_DEP_1)
	v_sub_f32_e32 v68, v87, v70
	scratch_store_b64 off, v[67:68], off offset:224
	v_cmpx_lt_u32_e32 27, v0
	s_cbranch_execz .LBB96_157
; %bb.156:
	scratch_load_b64 v[67:68], off, off offset:216
	v_mov_b32_e32 v70, 0
	s_delay_alu instid0(VALU_DEP_1)
	v_mov_b32_e32 v71, v70
	scratch_store_b64 off, v[70:71], off offset:216
	s_wait_loadcnt 0x0
	ds_store_b64 v69, v[67:68]
.LBB96_157:
	s_wait_alu 0xfffe
	s_or_b32 exec_lo, exec_lo, s0
	s_wait_storecnt_dscnt 0x0
	s_barrier_signal -1
	s_barrier_wait -1
	global_inv scope:SCOPE_SE
	s_clause 0x3
	scratch_load_b128 v[70:73], off, off offset:224
	scratch_load_b128 v[74:77], off, off offset:240
	scratch_load_b64 v[86:87], off, off offset:256
	scratch_load_b64 v[88:89], off, off offset:216
	v_mov_b32_e32 v67, 0
	ds_load_b128 v[78:81], v67 offset:496
	ds_load_b128 v[82:85], v67 offset:512
	ds_load_b64 v[90:91], v67 offset:528
	s_mov_b32 s0, exec_lo
	s_wait_loadcnt_dscnt 0x302
	v_mul_f32_e32 v68, v78, v71
	v_dual_mul_f32 v92, v80, v73 :: v_dual_mul_f32 v71, v79, v71
	s_wait_loadcnt_dscnt 0x100
	v_mul_f32_e32 v95, v90, v87
	v_dual_mul_f32 v93, v82, v75 :: v_dual_mul_f32 v94, v84, v77
	v_dual_fmac_f32 v68, v79, v70 :: v_dual_mul_f32 v73, v81, v73
	v_fma_f32 v71, v78, v70, -v71
	v_fmac_f32_e32 v92, v81, v72
	v_mul_f32_e32 v70, v83, v75
	s_delay_alu instid0(VALU_DEP_4) | instskip(SKIP_3) | instid1(VALU_DEP_4)
	v_add_f32_e32 v68, 0, v68
	v_fma_f32 v72, v80, v72, -v73
	v_add_f32_e32 v71, 0, v71
	v_mul_f32_e32 v73, v85, v77
	v_dual_fmac_f32 v93, v83, v74 :: v_dual_add_f32 v68, v68, v92
	v_dual_fmac_f32 v94, v85, v76 :: v_dual_fmac_f32 v95, v91, v86
	s_delay_alu instid0(VALU_DEP_4) | instskip(SKIP_1) | instid1(VALU_DEP_4)
	v_add_f32_e32 v71, v71, v72
	v_fma_f32 v70, v82, v74, -v70
	v_add_f32_e32 v68, v68, v93
	v_fma_f32 v73, v84, v76, -v73
	s_delay_alu instid0(VALU_DEP_3) | instskip(NEXT) | instid1(VALU_DEP_3)
	v_add_f32_e32 v70, v71, v70
	v_add_f32_e32 v68, v68, v94
	s_delay_alu instid0(VALU_DEP_2) | instskip(NEXT) | instid1(VALU_DEP_2)
	v_add_f32_e32 v70, v70, v73
	v_add_f32_e32 v68, v68, v95
	v_mul_f32_e32 v72, v91, v87
	s_delay_alu instid0(VALU_DEP_1) | instskip(SKIP_1) | instid1(VALU_DEP_1)
	v_fma_f32 v71, v90, v86, -v72
	s_wait_loadcnt 0x0
	v_dual_add_f32 v70, v70, v71 :: v_dual_sub_f32 v71, v89, v68
	s_delay_alu instid0(VALU_DEP_1)
	v_sub_f32_e32 v70, v88, v70
	scratch_store_b64 off, v[70:71], off offset:216
	v_cmpx_lt_u32_e32 26, v0
	s_cbranch_execz .LBB96_159
; %bb.158:
	scratch_load_b64 v[70:71], off, off offset:208
	v_mov_b32_e32 v68, v67
	scratch_store_b64 off, v[67:68], off offset:208
	s_wait_loadcnt 0x0
	ds_store_b64 v69, v[70:71]
.LBB96_159:
	s_wait_alu 0xfffe
	s_or_b32 exec_lo, exec_lo, s0
	s_wait_storecnt_dscnt 0x0
	s_barrier_signal -1
	s_barrier_wait -1
	global_inv scope:SCOPE_SE
	s_clause 0x3
	scratch_load_b128 v[70:73], off, off offset:216
	scratch_load_b128 v[74:77], off, off offset:232
	scratch_load_b128 v[78:81], off, off offset:248
	scratch_load_b64 v[94:95], off, off offset:208
	ds_load_2addr_b64 v[82:85], v67 offset0:61 offset1:62
	ds_load_2addr_b64 v[86:89], v67 offset0:63 offset1:64
	;; [unrolled: 1-line block ×3, first 2 shown]
	s_mov_b32 s0, exec_lo
	s_wait_loadcnt_dscnt 0x302
	v_dual_mul_f32 v67, v82, v71 :: v_dual_mul_f32 v68, v84, v73
	v_mul_f32_e32 v71, v83, v71
	s_wait_loadcnt_dscnt 0x201
	v_dual_mul_f32 v73, v85, v73 :: v_dual_mul_f32 v96, v86, v75
	s_delay_alu instid0(VALU_DEP_3) | instskip(NEXT) | instid1(VALU_DEP_3)
	v_dual_mul_f32 v97, v88, v77 :: v_dual_fmac_f32 v68, v85, v72
	v_fma_f32 v71, v82, v70, -v71
	v_fmac_f32_e32 v67, v83, v70
	v_mul_f32_e32 v70, v87, v75
	v_fma_f32 v72, v84, v72, -v73
	v_mul_f32_e32 v73, v89, v77
	v_dual_add_f32 v71, 0, v71 :: v_dual_fmac_f32 v96, v87, v74
	s_delay_alu instid0(VALU_DEP_4) | instskip(SKIP_2) | instid1(VALU_DEP_3)
	v_fma_f32 v70, v86, v74, -v70
	s_wait_loadcnt_dscnt 0x100
	v_dual_mul_f32 v98, v90, v79 :: v_dual_mul_f32 v99, v92, v81
	v_add_f32_e32 v71, v71, v72
	v_fmac_f32_e32 v97, v89, v76
	v_fma_f32 v72, v88, v76, -v73
	s_delay_alu instid0(VALU_DEP_4) | instskip(NEXT) | instid1(VALU_DEP_4)
	v_dual_fmac_f32 v98, v91, v78 :: v_dual_fmac_f32 v99, v93, v80
	v_add_f32_e32 v70, v71, v70
	s_delay_alu instid0(VALU_DEP_1) | instskip(SKIP_1) | instid1(VALU_DEP_1)
	v_dual_add_f32 v70, v70, v72 :: v_dual_add_f32 v67, 0, v67
	v_mul_f32_e32 v71, v93, v81
	v_fma_f32 v71, v92, v80, -v71
	s_delay_alu instid0(VALU_DEP_3) | instskip(SKIP_1) | instid1(VALU_DEP_1)
	v_add_f32_e32 v67, v67, v68
	v_mul_f32_e32 v68, v91, v79
	v_fma_f32 v68, v90, v78, -v68
	s_delay_alu instid0(VALU_DEP_1) | instskip(NEXT) | instid1(VALU_DEP_1)
	v_add_f32_e32 v68, v70, v68
	v_dual_add_f32 v68, v68, v71 :: v_dual_add_f32 v67, v67, v96
	s_delay_alu instid0(VALU_DEP_1) | instskip(NEXT) | instid1(VALU_DEP_1)
	v_add_f32_e32 v67, v67, v97
	v_add_f32_e32 v67, v67, v98
	s_wait_loadcnt 0x0
	s_delay_alu instid0(VALU_DEP_1) | instskip(NEXT) | instid1(VALU_DEP_1)
	v_dual_add_f32 v70, v67, v99 :: v_dual_sub_f32 v67, v94, v68
	v_sub_f32_e32 v68, v95, v70
	scratch_store_b64 off, v[67:68], off offset:208
	v_cmpx_lt_u32_e32 25, v0
	s_cbranch_execz .LBB96_161
; %bb.160:
	scratch_load_b64 v[67:68], off, off offset:200
	v_mov_b32_e32 v70, 0
	s_delay_alu instid0(VALU_DEP_1)
	v_mov_b32_e32 v71, v70
	scratch_store_b64 off, v[70:71], off offset:200
	s_wait_loadcnt 0x0
	ds_store_b64 v69, v[67:68]
.LBB96_161:
	s_wait_alu 0xfffe
	s_or_b32 exec_lo, exec_lo, s0
	s_wait_storecnt_dscnt 0x0
	s_barrier_signal -1
	s_barrier_wait -1
	global_inv scope:SCOPE_SE
	s_clause 0x4
	scratch_load_b128 v[70:73], off, off offset:208
	scratch_load_b128 v[74:77], off, off offset:224
	;; [unrolled: 1-line block ×3, first 2 shown]
	scratch_load_b64 v[94:95], off, off offset:256
	scratch_load_b64 v[96:97], off, off offset:200
	v_mov_b32_e32 v67, 0
	ds_load_b128 v[82:85], v67 offset:480
	ds_load_b128 v[86:89], v67 offset:496
	;; [unrolled: 1-line block ×3, first 2 shown]
	ds_load_b64 v[98:99], v67 offset:528
	s_mov_b32 s0, exec_lo
	s_wait_loadcnt_dscnt 0x403
	v_mul_f32_e32 v68, v82, v71
	s_wait_loadcnt_dscnt 0x302
	v_dual_mul_f32 v100, v84, v73 :: v_dual_mul_f32 v101, v86, v75
	v_dual_mul_f32 v102, v88, v77 :: v_dual_mul_f32 v71, v83, v71
	s_wait_loadcnt_dscnt 0x100
	v_dual_mul_f32 v105, v98, v95 :: v_dual_fmac_f32 v68, v83, v70
	v_mul_f32_e32 v73, v85, v73
	v_dual_mul_f32 v103, v90, v79 :: v_dual_mul_f32 v104, v92, v81
	v_fma_f32 v71, v82, v70, -v71
	v_fmac_f32_e32 v100, v85, v72
	v_add_f32_e32 v68, 0, v68
	v_mul_f32_e32 v70, v87, v75
	v_fma_f32 v72, v84, v72, -v73
	v_add_f32_e32 v71, 0, v71
	v_mul_f32_e32 v73, v89, v77
	v_dual_fmac_f32 v101, v87, v74 :: v_dual_add_f32 v68, v68, v100
	v_dual_fmac_f32 v102, v89, v76 :: v_dual_fmac_f32 v103, v91, v78
	s_delay_alu instid0(VALU_DEP_4) | instskip(SKIP_1) | instid1(VALU_DEP_4)
	v_add_f32_e32 v71, v71, v72
	v_dual_fmac_f32 v104, v93, v80 :: v_dual_fmac_f32 v105, v99, v94
	v_add_f32_e32 v68, v68, v101
	v_fma_f32 v70, v86, v74, -v70
	v_mul_f32_e32 v72, v91, v79
	v_fma_f32 v73, v88, v76, -v73
	s_delay_alu instid0(VALU_DEP_4) | instskip(NEXT) | instid1(VALU_DEP_1)
	v_add_f32_e32 v68, v68, v102
	v_add_f32_e32 v68, v68, v103
	s_delay_alu instid0(VALU_DEP_1) | instskip(NEXT) | instid1(VALU_DEP_1)
	v_add_f32_e32 v68, v68, v104
	v_add_f32_e32 v68, v68, v105
	v_dual_add_f32 v70, v71, v70 :: v_dual_mul_f32 v71, v93, v81
	v_fma_f32 v72, v90, v78, -v72
	s_delay_alu instid0(VALU_DEP_2) | instskip(NEXT) | instid1(VALU_DEP_3)
	v_dual_add_f32 v70, v70, v73 :: v_dual_mul_f32 v73, v99, v95
	v_fma_f32 v71, v92, v80, -v71
	s_delay_alu instid0(VALU_DEP_2) | instskip(NEXT) | instid1(VALU_DEP_3)
	v_add_f32_e32 v70, v70, v72
	v_fma_f32 v72, v98, v94, -v73
	s_wait_loadcnt 0x0
	s_delay_alu instid0(VALU_DEP_2) | instskip(NEXT) | instid1(VALU_DEP_1)
	v_dual_add_f32 v70, v70, v71 :: v_dual_sub_f32 v71, v97, v68
	v_add_f32_e32 v70, v70, v72
	s_delay_alu instid0(VALU_DEP_1)
	v_sub_f32_e32 v70, v96, v70
	scratch_store_b64 off, v[70:71], off offset:200
	v_cmpx_lt_u32_e32 24, v0
	s_cbranch_execz .LBB96_163
; %bb.162:
	scratch_load_b64 v[70:71], off, off offset:192
	v_mov_b32_e32 v68, v67
	scratch_store_b64 off, v[67:68], off offset:192
	s_wait_loadcnt 0x0
	ds_store_b64 v69, v[70:71]
.LBB96_163:
	s_wait_alu 0xfffe
	s_or_b32 exec_lo, exec_lo, s0
	s_wait_storecnt_dscnt 0x0
	s_barrier_signal -1
	s_barrier_wait -1
	global_inv scope:SCOPE_SE
	s_clause 0x4
	scratch_load_b128 v[70:73], off, off offset:200
	scratch_load_b128 v[74:77], off, off offset:216
	;; [unrolled: 1-line block ×4, first 2 shown]
	scratch_load_b64 v[102:103], off, off offset:192
	ds_load_2addr_b64 v[86:89], v67 offset0:59 offset1:60
	ds_load_2addr_b64 v[90:93], v67 offset0:61 offset1:62
	;; [unrolled: 1-line block ×4, first 2 shown]
	s_mov_b32 s0, exec_lo
	s_wait_loadcnt_dscnt 0x403
	v_dual_mul_f32 v67, v86, v71 :: v_dual_mul_f32 v68, v88, v73
	v_mul_f32_e32 v71, v87, v71
	s_wait_loadcnt_dscnt 0x302
	v_dual_mul_f32 v73, v89, v73 :: v_dual_mul_f32 v104, v90, v75
	s_delay_alu instid0(VALU_DEP_3) | instskip(NEXT) | instid1(VALU_DEP_3)
	v_dual_mul_f32 v105, v92, v77 :: v_dual_fmac_f32 v68, v89, v72
	v_fma_f32 v71, v86, v70, -v71
	v_fmac_f32_e32 v67, v87, v70
	v_mul_f32_e32 v70, v91, v75
	v_fma_f32 v72, v88, v72, -v73
	v_mul_f32_e32 v73, v93, v77
	v_dual_add_f32 v71, 0, v71 :: v_dual_fmac_f32 v104, v91, v74
	s_delay_alu instid0(VALU_DEP_4) | instskip(SKIP_2) | instid1(VALU_DEP_3)
	v_fma_f32 v70, v90, v74, -v70
	s_wait_loadcnt_dscnt 0x201
	v_dual_mul_f32 v106, v94, v79 :: v_dual_mul_f32 v107, v96, v81
	v_add_f32_e32 v71, v71, v72
	v_fmac_f32_e32 v105, v93, v76
	v_fma_f32 v72, v92, v76, -v73
	s_wait_loadcnt_dscnt 0x100
	v_dual_mul_f32 v108, v98, v83 :: v_dual_mul_f32 v109, v100, v85
	v_dual_add_f32 v70, v71, v70 :: v_dual_mul_f32 v71, v97, v81
	v_dual_fmac_f32 v106, v95, v78 :: v_dual_fmac_f32 v107, v97, v80
	s_delay_alu instid0(VALU_DEP_3) | instskip(NEXT) | instid1(VALU_DEP_3)
	v_fmac_f32_e32 v108, v99, v82
	v_dual_add_f32 v70, v70, v72 :: v_dual_add_f32 v67, 0, v67
	v_mul_f32_e32 v72, v99, v83
	v_fma_f32 v71, v96, v80, -v71
	v_fmac_f32_e32 v109, v101, v84
	s_delay_alu instid0(VALU_DEP_4) | instskip(SKIP_2) | instid1(VALU_DEP_2)
	v_add_f32_e32 v67, v67, v68
	v_mul_f32_e32 v68, v95, v79
	v_fma_f32 v72, v98, v82, -v72
	v_fma_f32 v68, v94, v78, -v68
	s_delay_alu instid0(VALU_DEP_1) | instskip(SKIP_1) | instid1(VALU_DEP_2)
	v_add_f32_e32 v68, v70, v68
	v_mul_f32_e32 v70, v101, v85
	v_add_f32_e32 v68, v68, v71
	s_delay_alu instid0(VALU_DEP_2) | instskip(NEXT) | instid1(VALU_DEP_2)
	v_fma_f32 v70, v100, v84, -v70
	v_add_f32_e32 v68, v68, v72
	s_delay_alu instid0(VALU_DEP_1) | instskip(NEXT) | instid1(VALU_DEP_1)
	v_dual_add_f32 v67, v67, v104 :: v_dual_add_f32 v68, v68, v70
	v_add_f32_e32 v67, v67, v105
	s_delay_alu instid0(VALU_DEP_1) | instskip(NEXT) | instid1(VALU_DEP_1)
	v_add_f32_e32 v67, v67, v106
	v_add_f32_e32 v67, v67, v107
	s_delay_alu instid0(VALU_DEP_1) | instskip(SKIP_1) | instid1(VALU_DEP_1)
	v_add_f32_e32 v67, v67, v108
	s_wait_loadcnt 0x0
	v_dual_add_f32 v70, v67, v109 :: v_dual_sub_f32 v67, v102, v68
	s_delay_alu instid0(VALU_DEP_1)
	v_sub_f32_e32 v68, v103, v70
	scratch_store_b64 off, v[67:68], off offset:192
	v_cmpx_lt_u32_e32 23, v0
	s_cbranch_execz .LBB96_165
; %bb.164:
	scratch_load_b64 v[67:68], off, off offset:184
	v_mov_b32_e32 v70, 0
	s_delay_alu instid0(VALU_DEP_1)
	v_mov_b32_e32 v71, v70
	scratch_store_b64 off, v[70:71], off offset:184
	s_wait_loadcnt 0x0
	ds_store_b64 v69, v[67:68]
.LBB96_165:
	s_wait_alu 0xfffe
	s_or_b32 exec_lo, exec_lo, s0
	s_wait_storecnt_dscnt 0x0
	s_barrier_signal -1
	s_barrier_wait -1
	global_inv scope:SCOPE_SE
	s_clause 0x5
	scratch_load_b128 v[70:73], off, off offset:192
	scratch_load_b128 v[74:77], off, off offset:208
	;; [unrolled: 1-line block ×4, first 2 shown]
	scratch_load_b64 v[102:103], off, off offset:256
	scratch_load_b64 v[104:105], off, off offset:184
	v_mov_b32_e32 v67, 0
	ds_load_b128 v[86:89], v67 offset:464
	ds_load_b128 v[90:93], v67 offset:480
	;; [unrolled: 1-line block ×4, first 2 shown]
	ds_load_b64 v[106:107], v67 offset:528
	s_mov_b32 s0, exec_lo
	s_wait_loadcnt_dscnt 0x504
	v_mul_f32_e32 v68, v86, v71
	s_wait_loadcnt_dscnt 0x403
	v_dual_mul_f32 v108, v88, v73 :: v_dual_mul_f32 v109, v90, v75
	s_wait_loadcnt_dscnt 0x302
	v_dual_mul_f32 v112, v96, v81 :: v_dual_mul_f32 v71, v87, v71
	s_wait_loadcnt_dscnt 0x100
	v_dual_mul_f32 v115, v106, v103 :: v_dual_fmac_f32 v68, v87, v70
	v_mul_f32_e32 v73, v89, v73
	v_dual_mul_f32 v110, v92, v77 :: v_dual_mul_f32 v111, v94, v79
	v_fma_f32 v71, v86, v70, -v71
	v_fmac_f32_e32 v108, v89, v72
	v_add_f32_e32 v68, 0, v68
	v_mul_f32_e32 v70, v91, v75
	v_fma_f32 v72, v88, v72, -v73
	v_add_f32_e32 v71, 0, v71
	v_mul_f32_e32 v73, v93, v77
	v_dual_fmac_f32 v109, v91, v74 :: v_dual_add_f32 v68, v68, v108
	v_dual_fmac_f32 v110, v93, v76 :: v_dual_fmac_f32 v111, v95, v78
	s_delay_alu instid0(VALU_DEP_4) | instskip(SKIP_1) | instid1(VALU_DEP_4)
	v_add_f32_e32 v71, v71, v72
	v_dual_mul_f32 v113, v98, v83 :: v_dual_mul_f32 v114, v100, v85
	v_add_f32_e32 v68, v68, v109
	v_dual_fmac_f32 v112, v97, v80 :: v_dual_fmac_f32 v115, v107, v102
	s_delay_alu instid0(VALU_DEP_3) | instskip(NEXT) | instid1(VALU_DEP_3)
	v_dual_fmac_f32 v113, v99, v82 :: v_dual_fmac_f32 v114, v101, v84
	v_add_f32_e32 v68, v68, v110
	v_fma_f32 v70, v90, v74, -v70
	v_mul_f32_e32 v72, v95, v79
	v_fma_f32 v73, v92, v76, -v73
	s_delay_alu instid0(VALU_DEP_4) | instskip(NEXT) | instid1(VALU_DEP_1)
	v_add_f32_e32 v68, v68, v111
	v_add_f32_e32 v68, v68, v112
	s_delay_alu instid0(VALU_DEP_1) | instskip(NEXT) | instid1(VALU_DEP_1)
	v_add_f32_e32 v68, v68, v113
	v_add_f32_e32 v68, v68, v114
	s_delay_alu instid0(VALU_DEP_1) | instskip(SKIP_2) | instid1(VALU_DEP_2)
	v_add_f32_e32 v68, v68, v115
	v_dual_add_f32 v70, v71, v70 :: v_dual_mul_f32 v71, v97, v81
	v_fma_f32 v72, v94, v78, -v72
	v_dual_add_f32 v70, v70, v73 :: v_dual_mul_f32 v73, v99, v83
	s_delay_alu instid0(VALU_DEP_3) | instskip(NEXT) | instid1(VALU_DEP_2)
	v_fma_f32 v71, v96, v80, -v71
	v_add_f32_e32 v70, v70, v72
	v_mul_f32_e32 v72, v101, v85
	s_delay_alu instid0(VALU_DEP_4) | instskip(NEXT) | instid1(VALU_DEP_3)
	v_fma_f32 v73, v98, v82, -v73
	v_add_f32_e32 v70, v70, v71
	v_mul_f32_e32 v71, v107, v103
	s_delay_alu instid0(VALU_DEP_4) | instskip(NEXT) | instid1(VALU_DEP_3)
	v_fma_f32 v72, v100, v84, -v72
	v_add_f32_e32 v70, v70, v73
	s_delay_alu instid0(VALU_DEP_3) | instskip(NEXT) | instid1(VALU_DEP_2)
	v_fma_f32 v71, v106, v102, -v71
	v_add_f32_e32 v70, v70, v72
	s_wait_loadcnt 0x0
	s_delay_alu instid0(VALU_DEP_1) | instskip(NEXT) | instid1(VALU_DEP_1)
	v_dual_add_f32 v70, v70, v71 :: v_dual_sub_f32 v71, v105, v68
	v_sub_f32_e32 v70, v104, v70
	scratch_store_b64 off, v[70:71], off offset:184
	v_cmpx_lt_u32_e32 22, v0
	s_cbranch_execz .LBB96_167
; %bb.166:
	scratch_load_b64 v[70:71], off, off offset:176
	v_mov_b32_e32 v68, v67
	scratch_store_b64 off, v[67:68], off offset:176
	s_wait_loadcnt 0x0
	ds_store_b64 v69, v[70:71]
.LBB96_167:
	s_wait_alu 0xfffe
	s_or_b32 exec_lo, exec_lo, s0
	s_wait_storecnt_dscnt 0x0
	s_barrier_signal -1
	s_barrier_wait -1
	global_inv scope:SCOPE_SE
	s_clause 0x5
	scratch_load_b128 v[70:73], off, off offset:184
	scratch_load_b128 v[74:77], off, off offset:200
	;; [unrolled: 1-line block ×5, first 2 shown]
	scratch_load_b64 v[110:111], off, off offset:176
	ds_load_2addr_b64 v[90:93], v67 offset0:57 offset1:58
	ds_load_2addr_b64 v[94:97], v67 offset0:59 offset1:60
	;; [unrolled: 1-line block ×5, first 2 shown]
	s_mov_b32 s0, exec_lo
	s_wait_loadcnt_dscnt 0x504
	v_dual_mul_f32 v67, v90, v71 :: v_dual_mul_f32 v68, v92, v73
	v_mul_f32_e32 v71, v91, v71
	s_wait_loadcnt_dscnt 0x403
	v_dual_mul_f32 v73, v93, v73 :: v_dual_mul_f32 v112, v94, v75
	s_delay_alu instid0(VALU_DEP_3) | instskip(NEXT) | instid1(VALU_DEP_3)
	v_dual_mul_f32 v113, v96, v77 :: v_dual_fmac_f32 v68, v93, v72
	v_fma_f32 v71, v90, v70, -v71
	v_fmac_f32_e32 v67, v91, v70
	v_mul_f32_e32 v70, v95, v75
	v_fma_f32 v72, v92, v72, -v73
	v_mul_f32_e32 v73, v97, v77
	v_dual_add_f32 v71, 0, v71 :: v_dual_fmac_f32 v112, v95, v74
	s_delay_alu instid0(VALU_DEP_4) | instskip(SKIP_2) | instid1(VALU_DEP_3)
	v_fma_f32 v70, v94, v74, -v70
	s_wait_loadcnt_dscnt 0x302
	v_dual_mul_f32 v114, v98, v79 :: v_dual_mul_f32 v115, v100, v81
	v_add_f32_e32 v71, v71, v72
	v_fmac_f32_e32 v113, v97, v76
	v_fma_f32 v72, v96, v76, -v73
	s_wait_loadcnt_dscnt 0x201
	v_dual_mul_f32 v116, v102, v83 :: v_dual_mul_f32 v117, v104, v85
	v_dual_add_f32 v70, v71, v70 :: v_dual_mul_f32 v71, v101, v81
	v_fmac_f32_e32 v114, v99, v78
	s_wait_loadcnt_dscnt 0x100
	v_dual_mul_f32 v118, v106, v87 :: v_dual_mul_f32 v119, v108, v89
	s_delay_alu instid0(VALU_DEP_3) | instskip(SKIP_3) | instid1(VALU_DEP_4)
	v_dual_add_f32 v70, v70, v72 :: v_dual_add_f32 v67, 0, v67
	v_mul_f32_e32 v72, v103, v83
	v_fma_f32 v71, v100, v80, -v71
	v_dual_fmac_f32 v115, v101, v80 :: v_dual_fmac_f32 v116, v103, v82
	v_add_f32_e32 v67, v67, v68
	v_mul_f32_e32 v68, v99, v79
	v_fma_f32 v72, v102, v82, -v72
	v_dual_fmac_f32 v117, v105, v84 :: v_dual_fmac_f32 v118, v107, v86
	s_delay_alu instid0(VALU_DEP_3) | instskip(NEXT) | instid1(VALU_DEP_1)
	v_fma_f32 v68, v98, v78, -v68
	v_add_f32_e32 v68, v70, v68
	v_mul_f32_e32 v70, v105, v85
	s_delay_alu instid0(VALU_DEP_2) | instskip(SKIP_1) | instid1(VALU_DEP_3)
	v_dual_add_f32 v68, v68, v71 :: v_dual_add_f32 v67, v67, v112
	v_mul_f32_e32 v71, v107, v87
	v_fma_f32 v70, v104, v84, -v70
	s_delay_alu instid0(VALU_DEP_3) | instskip(SKIP_3) | instid1(VALU_DEP_4)
	v_add_f32_e32 v68, v68, v72
	v_mul_f32_e32 v72, v109, v89
	v_add_f32_e32 v67, v67, v113
	v_fma_f32 v71, v106, v86, -v71
	v_dual_add_f32 v68, v68, v70 :: v_dual_fmac_f32 v119, v109, v88
	s_delay_alu instid0(VALU_DEP_3) | instskip(SKIP_1) | instid1(VALU_DEP_3)
	v_add_f32_e32 v67, v67, v114
	v_fma_f32 v70, v108, v88, -v72
	v_add_f32_e32 v68, v68, v71
	s_delay_alu instid0(VALU_DEP_1) | instskip(NEXT) | instid1(VALU_DEP_1)
	v_dual_add_f32 v67, v67, v115 :: v_dual_add_f32 v68, v68, v70
	v_add_f32_e32 v67, v67, v116
	s_delay_alu instid0(VALU_DEP_1) | instskip(NEXT) | instid1(VALU_DEP_1)
	v_add_f32_e32 v67, v67, v117
	v_add_f32_e32 v67, v67, v118
	s_wait_loadcnt 0x0
	s_delay_alu instid0(VALU_DEP_1) | instskip(NEXT) | instid1(VALU_DEP_1)
	v_dual_add_f32 v70, v67, v119 :: v_dual_sub_f32 v67, v110, v68
	v_sub_f32_e32 v68, v111, v70
	scratch_store_b64 off, v[67:68], off offset:176
	v_cmpx_lt_u32_e32 21, v0
	s_cbranch_execz .LBB96_169
; %bb.168:
	scratch_load_b64 v[67:68], off, off offset:168
	v_mov_b32_e32 v70, 0
	s_delay_alu instid0(VALU_DEP_1)
	v_mov_b32_e32 v71, v70
	scratch_store_b64 off, v[70:71], off offset:168
	s_wait_loadcnt 0x0
	ds_store_b64 v69, v[67:68]
.LBB96_169:
	s_wait_alu 0xfffe
	s_or_b32 exec_lo, exec_lo, s0
	s_wait_storecnt_dscnt 0x0
	s_barrier_signal -1
	s_barrier_wait -1
	global_inv scope:SCOPE_SE
	s_clause 0x6
	scratch_load_b128 v[70:73], off, off offset:176
	scratch_load_b128 v[74:77], off, off offset:192
	;; [unrolled: 1-line block ×5, first 2 shown]
	scratch_load_b64 v[110:111], off, off offset:256
	scratch_load_b64 v[112:113], off, off offset:168
	v_mov_b32_e32 v67, 0
	ds_load_b128 v[90:93], v67 offset:448
	ds_load_b128 v[94:97], v67 offset:464
	;; [unrolled: 1-line block ×5, first 2 shown]
	ds_load_b64 v[114:115], v67 offset:528
	s_mov_b32 s0, exec_lo
	s_wait_loadcnt_dscnt 0x605
	v_mul_f32_e32 v68, v90, v71
	v_dual_mul_f32 v71, v91, v71 :: v_dual_mul_f32 v116, v92, v73
	s_wait_loadcnt_dscnt 0x302
	v_dual_mul_f32 v117, v94, v75 :: v_dual_mul_f32 v122, v104, v85
	s_wait_loadcnt_dscnt 0x100
	v_dual_mul_f32 v125, v114, v111 :: v_dual_fmac_f32 v68, v91, v70
	v_mul_f32_e32 v73, v93, v73
	v_fma_f32 v71, v90, v70, -v71
	v_mul_f32_e32 v70, v95, v75
	v_fmac_f32_e32 v116, v93, v72
	v_add_f32_e32 v68, 0, v68
	v_fma_f32 v72, v92, v72, -v73
	v_add_f32_e32 v71, 0, v71
	v_mul_f32_e32 v73, v97, v77
	s_delay_alu instid0(VALU_DEP_4) | instskip(SKIP_1) | instid1(VALU_DEP_4)
	v_dual_fmac_f32 v117, v95, v74 :: v_dual_add_f32 v68, v68, v116
	v_fma_f32 v70, v94, v74, -v70
	v_dual_add_f32 v71, v71, v72 :: v_dual_mul_f32 v118, v96, v77
	v_mul_f32_e32 v119, v98, v79
	v_mul_f32_e32 v72, v99, v79
	v_fma_f32 v73, v96, v76, -v73
	v_add_f32_e32 v68, v68, v117
	v_add_f32_e32 v70, v71, v70
	v_dual_fmac_f32 v118, v97, v76 :: v_dual_fmac_f32 v119, v99, v78
	v_mul_f32_e32 v71, v101, v81
	v_fma_f32 v72, v98, v78, -v72
	s_delay_alu instid0(VALU_DEP_4) | instskip(SKIP_4) | instid1(VALU_DEP_3)
	v_dual_add_f32 v70, v70, v73 :: v_dual_mul_f32 v73, v103, v83
	v_dual_mul_f32 v120, v100, v81 :: v_dual_mul_f32 v121, v102, v83
	v_dual_mul_f32 v123, v106, v87 :: v_dual_mul_f32 v124, v108, v89
	v_add_f32_e32 v68, v68, v118
	v_fma_f32 v71, v100, v80, -v71
	v_dual_add_f32 v70, v70, v72 :: v_dual_fmac_f32 v123, v107, v86
	v_dual_fmac_f32 v120, v101, v80 :: v_dual_fmac_f32 v121, v103, v82
	v_mul_f32_e32 v72, v105, v85
	s_delay_alu instid0(VALU_DEP_3)
	v_add_f32_e32 v70, v70, v71
	v_mul_f32_e32 v71, v107, v87
	v_dual_add_f32 v68, v68, v119 :: v_dual_fmac_f32 v125, v115, v110
	v_fma_f32 v73, v102, v82, -v73
	v_fmac_f32_e32 v122, v105, v84
	v_fma_f32 v72, v104, v84, -v72
	s_delay_alu instid0(VALU_DEP_4)
	v_add_f32_e32 v68, v68, v120
	v_fma_f32 v71, v106, v86, -v71
	v_add_f32_e32 v70, v70, v73
	v_mul_f32_e32 v73, v109, v89
	v_fmac_f32_e32 v124, v109, v88
	v_add_f32_e32 v68, v68, v121
	s_delay_alu instid0(VALU_DEP_4) | instskip(SKIP_2) | instid1(VALU_DEP_4)
	v_add_f32_e32 v70, v70, v72
	v_mul_f32_e32 v72, v115, v111
	v_fma_f32 v73, v108, v88, -v73
	v_add_f32_e32 v68, v68, v122
	s_delay_alu instid0(VALU_DEP_4) | instskip(NEXT) | instid1(VALU_DEP_4)
	v_add_f32_e32 v70, v70, v71
	v_fma_f32 v71, v114, v110, -v72
	s_delay_alu instid0(VALU_DEP_3) | instskip(NEXT) | instid1(VALU_DEP_3)
	v_add_f32_e32 v68, v68, v123
	v_add_f32_e32 v70, v70, v73
	s_delay_alu instid0(VALU_DEP_2) | instskip(NEXT) | instid1(VALU_DEP_2)
	v_add_f32_e32 v68, v68, v124
	v_add_f32_e32 v70, v70, v71
	s_delay_alu instid0(VALU_DEP_2) | instskip(SKIP_1) | instid1(VALU_DEP_1)
	v_add_f32_e32 v68, v68, v125
	s_wait_loadcnt 0x0
	v_dual_sub_f32 v70, v112, v70 :: v_dual_sub_f32 v71, v113, v68
	scratch_store_b64 off, v[70:71], off offset:168
	v_cmpx_lt_u32_e32 20, v0
	s_cbranch_execz .LBB96_171
; %bb.170:
	scratch_load_b64 v[70:71], off, off offset:160
	v_mov_b32_e32 v68, v67
	scratch_store_b64 off, v[67:68], off offset:160
	s_wait_loadcnt 0x0
	ds_store_b64 v69, v[70:71]
.LBB96_171:
	s_wait_alu 0xfffe
	s_or_b32 exec_lo, exec_lo, s0
	s_wait_storecnt_dscnt 0x0
	s_barrier_signal -1
	s_barrier_wait -1
	global_inv scope:SCOPE_SE
	s_clause 0x6
	scratch_load_b128 v[70:73], off, off offset:168
	scratch_load_b128 v[74:77], off, off offset:184
	;; [unrolled: 1-line block ×6, first 2 shown]
	scratch_load_b64 v[118:119], off, off offset:160
	ds_load_2addr_b64 v[94:97], v67 offset0:55 offset1:56
	ds_load_2addr_b64 v[98:101], v67 offset0:57 offset1:58
	;; [unrolled: 1-line block ×6, first 2 shown]
	s_mov_b32 s0, exec_lo
	s_wait_loadcnt_dscnt 0x605
	v_dual_mul_f32 v67, v94, v71 :: v_dual_mul_f32 v68, v96, v73
	v_mul_f32_e32 v71, v95, v71
	s_wait_loadcnt_dscnt 0x504
	v_dual_mul_f32 v73, v97, v73 :: v_dual_mul_f32 v120, v98, v75
	s_delay_alu instid0(VALU_DEP_3) | instskip(NEXT) | instid1(VALU_DEP_3)
	v_dual_mul_f32 v121, v100, v77 :: v_dual_fmac_f32 v68, v97, v72
	v_fma_f32 v71, v94, v70, -v71
	v_fmac_f32_e32 v67, v95, v70
	v_mul_f32_e32 v70, v99, v75
	v_fma_f32 v72, v96, v72, -v73
	v_mul_f32_e32 v73, v101, v77
	v_dual_add_f32 v71, 0, v71 :: v_dual_fmac_f32 v120, v99, v74
	s_delay_alu instid0(VALU_DEP_4) | instskip(SKIP_2) | instid1(VALU_DEP_3)
	v_fma_f32 v70, v98, v74, -v70
	s_wait_loadcnt_dscnt 0x403
	v_dual_mul_f32 v122, v102, v79 :: v_dual_mul_f32 v123, v104, v81
	v_add_f32_e32 v71, v71, v72
	v_fmac_f32_e32 v121, v101, v76
	v_fma_f32 v72, v100, v76, -v73
	s_wait_loadcnt_dscnt 0x302
	v_dual_mul_f32 v124, v106, v83 :: v_dual_mul_f32 v125, v108, v85
	v_dual_add_f32 v70, v71, v70 :: v_dual_mul_f32 v71, v105, v81
	v_fmac_f32_e32 v122, v103, v78
	s_wait_loadcnt_dscnt 0x201
	v_dual_mul_f32 v126, v110, v87 :: v_dual_mul_f32 v127, v112, v89
	s_delay_alu instid0(VALU_DEP_3) | instskip(SKIP_3) | instid1(VALU_DEP_4)
	v_dual_add_f32 v70, v70, v72 :: v_dual_add_f32 v67, 0, v67
	v_mul_f32_e32 v72, v107, v83
	v_fma_f32 v71, v104, v80, -v71
	v_dual_fmac_f32 v123, v105, v80 :: v_dual_fmac_f32 v124, v107, v82
	v_add_f32_e32 v67, v67, v68
	v_mul_f32_e32 v68, v103, v79
	v_fma_f32 v72, v106, v82, -v72
	v_dual_fmac_f32 v125, v109, v84 :: v_dual_fmac_f32 v126, v111, v86
	s_wait_loadcnt_dscnt 0x100
	v_dual_mul_f32 v128, v114, v91 :: v_dual_mul_f32 v129, v116, v93
	v_fma_f32 v68, v102, v78, -v68
	s_delay_alu instid0(VALU_DEP_2) | instskip(NEXT) | instid1(VALU_DEP_3)
	v_dual_fmac_f32 v127, v113, v88 :: v_dual_fmac_f32 v128, v115, v90
	v_fmac_f32_e32 v129, v117, v92
	s_delay_alu instid0(VALU_DEP_3) | instskip(SKIP_1) | instid1(VALU_DEP_2)
	v_add_f32_e32 v68, v70, v68
	v_mul_f32_e32 v70, v109, v85
	v_dual_add_f32 v68, v68, v71 :: v_dual_add_f32 v67, v67, v120
	v_mul_f32_e32 v71, v111, v87
	s_delay_alu instid0(VALU_DEP_3) | instskip(NEXT) | instid1(VALU_DEP_3)
	v_fma_f32 v70, v108, v84, -v70
	v_add_f32_e32 v68, v68, v72
	v_mul_f32_e32 v72, v113, v89
	v_add_f32_e32 v67, v67, v121
	v_fma_f32 v71, v110, v86, -v71
	s_delay_alu instid0(VALU_DEP_4) | instskip(SKIP_1) | instid1(VALU_DEP_4)
	v_add_f32_e32 v68, v68, v70
	v_mul_f32_e32 v70, v115, v91
	v_add_f32_e32 v67, v67, v122
	v_fma_f32 v72, v112, v88, -v72
	s_delay_alu instid0(VALU_DEP_4) | instskip(NEXT) | instid1(VALU_DEP_3)
	v_dual_add_f32 v68, v68, v71 :: v_dual_mul_f32 v71, v117, v93
	v_add_f32_e32 v67, v67, v123
	v_fma_f32 v70, v114, v90, -v70
	s_delay_alu instid0(VALU_DEP_3) | instskip(NEXT) | instid1(VALU_DEP_4)
	v_add_f32_e32 v68, v68, v72
	v_fma_f32 v71, v116, v92, -v71
	s_delay_alu instid0(VALU_DEP_2) | instskip(NEXT) | instid1(VALU_DEP_1)
	v_dual_add_f32 v67, v67, v124 :: v_dual_add_f32 v68, v68, v70
	v_dual_add_f32 v67, v67, v125 :: v_dual_add_f32 v68, v68, v71
	s_delay_alu instid0(VALU_DEP_1) | instskip(NEXT) | instid1(VALU_DEP_1)
	v_add_f32_e32 v67, v67, v126
	v_add_f32_e32 v67, v67, v127
	s_delay_alu instid0(VALU_DEP_1) | instskip(SKIP_1) | instid1(VALU_DEP_1)
	v_add_f32_e32 v67, v67, v128
	s_wait_loadcnt 0x0
	v_dual_add_f32 v70, v67, v129 :: v_dual_sub_f32 v67, v118, v68
	s_delay_alu instid0(VALU_DEP_1)
	v_sub_f32_e32 v68, v119, v70
	scratch_store_b64 off, v[67:68], off offset:160
	v_cmpx_lt_u32_e32 19, v0
	s_cbranch_execz .LBB96_173
; %bb.172:
	scratch_load_b64 v[67:68], off, off offset:152
	v_mov_b32_e32 v70, 0
	s_delay_alu instid0(VALU_DEP_1)
	v_mov_b32_e32 v71, v70
	scratch_store_b64 off, v[70:71], off offset:152
	s_wait_loadcnt 0x0
	ds_store_b64 v69, v[67:68]
.LBB96_173:
	s_wait_alu 0xfffe
	s_or_b32 exec_lo, exec_lo, s0
	s_wait_storecnt_dscnt 0x0
	s_barrier_signal -1
	s_barrier_wait -1
	global_inv scope:SCOPE_SE
	s_clause 0x7
	scratch_load_b128 v[70:73], off, off offset:160
	scratch_load_b128 v[74:77], off, off offset:176
	;; [unrolled: 1-line block ×6, first 2 shown]
	scratch_load_b64 v[118:119], off, off offset:256
	scratch_load_b64 v[120:121], off, off offset:152
	v_mov_b32_e32 v67, 0
	ds_load_b128 v[94:97], v67 offset:432
	ds_load_b128 v[98:101], v67 offset:448
	;; [unrolled: 1-line block ×6, first 2 shown]
	ds_load_b64 v[122:123], v67 offset:528
	s_mov_b32 s0, exec_lo
	s_wait_loadcnt_dscnt 0x706
	v_mul_f32_e32 v68, v94, v71
	v_dual_mul_f32 v71, v95, v71 :: v_dual_mul_f32 v124, v96, v73
	s_wait_loadcnt_dscnt 0x302
	v_dual_mul_f32 v125, v98, v75 :: v_dual_mul_f32 v132, v112, v89
	v_mul_f32_e32 v73, v97, v73
	s_wait_loadcnt_dscnt 0x100
	v_dual_mul_f32 v135, v122, v119 :: v_dual_fmac_f32 v68, v95, v70
	v_fma_f32 v71, v94, v70, -v71
	v_mul_f32_e32 v70, v99, v75
	v_fmac_f32_e32 v124, v97, v72
	v_fma_f32 v72, v96, v72, -v73
	v_dual_add_f32 v68, 0, v68 :: v_dual_mul_f32 v73, v101, v77
	v_add_f32_e32 v71, 0, v71
	v_fmac_f32_e32 v125, v99, v74
	v_fma_f32 v70, v98, v74, -v70
	s_delay_alu instid0(VALU_DEP_4)
	v_add_f32_e32 v68, v68, v124
	v_fma_f32 v73, v100, v76, -v73
	v_add_f32_e32 v71, v71, v72
	v_mul_f32_e32 v72, v103, v79
	v_dual_mul_f32 v126, v100, v77 :: v_dual_mul_f32 v127, v102, v79
	v_add_f32_e32 v68, v68, v125
	s_delay_alu instid0(VALU_DEP_4) | instskip(NEXT) | instid1(VALU_DEP_4)
	v_dual_add_f32 v70, v71, v70 :: v_dual_mul_f32 v71, v105, v81
	v_fma_f32 v72, v102, v78, -v72
	v_dual_mul_f32 v130, v108, v85 :: v_dual_mul_f32 v131, v110, v87
	s_delay_alu instid0(VALU_DEP_3) | instskip(NEXT) | instid1(VALU_DEP_4)
	v_dual_add_f32 v70, v70, v73 :: v_dual_mul_f32 v73, v107, v83
	v_fma_f32 v71, v104, v80, -v71
	v_dual_mul_f32 v133, v114, v91 :: v_dual_mul_f32 v134, v116, v93
	s_delay_alu instid0(VALU_DEP_3) | instskip(SKIP_1) | instid1(VALU_DEP_3)
	v_dual_add_f32 v70, v70, v72 :: v_dual_fmac_f32 v131, v111, v86
	v_dual_fmac_f32 v126, v101, v76 :: v_dual_fmac_f32 v127, v103, v78
	v_dual_mul_f32 v72, v109, v85 :: v_dual_fmac_f32 v133, v115, v90
	v_fma_f32 v73, v106, v82, -v73
	s_delay_alu instid0(VALU_DEP_4) | instskip(SKIP_3) | instid1(VALU_DEP_4)
	v_dual_add_f32 v70, v70, v71 :: v_dual_fmac_f32 v135, v123, v118
	v_dual_mul_f32 v128, v104, v81 :: v_dual_mul_f32 v129, v106, v83
	v_dual_add_f32 v68, v68, v126 :: v_dual_mul_f32 v71, v111, v87
	v_fma_f32 v72, v108, v84, -v72
	v_add_f32_e32 v70, v70, v73
	s_delay_alu instid0(VALU_DEP_4) | instskip(NEXT) | instid1(VALU_DEP_4)
	v_dual_fmac_f32 v128, v105, v80 :: v_dual_fmac_f32 v129, v107, v82
	v_dual_add_f32 v68, v68, v127 :: v_dual_mul_f32 v73, v113, v89
	v_fma_f32 v71, v110, v86, -v71
	s_delay_alu instid0(VALU_DEP_4)
	v_add_f32_e32 v70, v70, v72
	v_fmac_f32_e32 v130, v109, v84
	v_mul_f32_e32 v72, v115, v91
	v_fma_f32 v73, v112, v88, -v73
	v_fmac_f32_e32 v132, v113, v88
	v_dual_add_f32 v70, v70, v71 :: v_dual_mul_f32 v71, v117, v93
	v_add_f32_e32 v68, v68, v128
	v_fma_f32 v72, v114, v90, -v72
	v_fmac_f32_e32 v134, v117, v92
	s_delay_alu instid0(VALU_DEP_4) | instskip(NEXT) | instid1(VALU_DEP_4)
	v_dual_add_f32 v70, v70, v73 :: v_dual_mul_f32 v73, v123, v119
	v_add_f32_e32 v68, v68, v129
	v_fma_f32 v71, v116, v92, -v71
	s_delay_alu instid0(VALU_DEP_3) | instskip(NEXT) | instid1(VALU_DEP_4)
	v_add_f32_e32 v70, v70, v72
	v_fma_f32 v72, v122, v118, -v73
	s_delay_alu instid0(VALU_DEP_4) | instskip(NEXT) | instid1(VALU_DEP_3)
	v_add_f32_e32 v68, v68, v130
	v_add_f32_e32 v70, v70, v71
	s_delay_alu instid0(VALU_DEP_2) | instskip(NEXT) | instid1(VALU_DEP_2)
	v_add_f32_e32 v68, v68, v131
	v_add_f32_e32 v70, v70, v72
	s_delay_alu instid0(VALU_DEP_2) | instskip(SKIP_1) | instid1(VALU_DEP_2)
	v_add_f32_e32 v68, v68, v132
	s_wait_loadcnt 0x0
	v_sub_f32_e32 v70, v120, v70
	s_delay_alu instid0(VALU_DEP_2) | instskip(NEXT) | instid1(VALU_DEP_1)
	v_add_f32_e32 v68, v68, v133
	v_add_f32_e32 v68, v68, v134
	s_delay_alu instid0(VALU_DEP_1) | instskip(NEXT) | instid1(VALU_DEP_1)
	v_add_f32_e32 v68, v68, v135
	v_sub_f32_e32 v71, v121, v68
	scratch_store_b64 off, v[70:71], off offset:152
	v_cmpx_lt_u32_e32 18, v0
	s_cbranch_execz .LBB96_175
; %bb.174:
	scratch_load_b64 v[70:71], off, off offset:144
	v_mov_b32_e32 v68, v67
	scratch_store_b64 off, v[67:68], off offset:144
	s_wait_loadcnt 0x0
	ds_store_b64 v69, v[70:71]
.LBB96_175:
	s_wait_alu 0xfffe
	s_or_b32 exec_lo, exec_lo, s0
	s_wait_storecnt_dscnt 0x0
	s_barrier_signal -1
	s_barrier_wait -1
	global_inv scope:SCOPE_SE
	s_clause 0x7
	scratch_load_b128 v[70:73], off, off offset:152
	scratch_load_b128 v[74:77], off, off offset:168
	scratch_load_b128 v[78:81], off, off offset:184
	scratch_load_b128 v[82:85], off, off offset:200
	scratch_load_b128 v[86:89], off, off offset:216
	scratch_load_b128 v[90:93], off, off offset:232
	scratch_load_b128 v[94:97], off, off offset:248
	scratch_load_b64 v[126:127], off, off offset:144
	ds_load_2addr_b64 v[98:101], v67 offset0:53 offset1:54
	ds_load_2addr_b64 v[102:105], v67 offset0:55 offset1:56
	;; [unrolled: 1-line block ×7, first 2 shown]
	s_mov_b32 s0, exec_lo
	s_wait_loadcnt_dscnt 0x706
	v_dual_mul_f32 v67, v98, v71 :: v_dual_mul_f32 v68, v100, v73
	v_mul_f32_e32 v71, v99, v71
	s_wait_loadcnt_dscnt 0x605
	v_dual_mul_f32 v73, v101, v73 :: v_dual_mul_f32 v128, v102, v75
	s_delay_alu instid0(VALU_DEP_3) | instskip(NEXT) | instid1(VALU_DEP_3)
	v_dual_mul_f32 v129, v104, v77 :: v_dual_fmac_f32 v68, v101, v72
	v_fma_f32 v71, v98, v70, -v71
	v_fmac_f32_e32 v67, v99, v70
	v_mul_f32_e32 v70, v103, v75
	v_fma_f32 v72, v100, v72, -v73
	v_mul_f32_e32 v73, v105, v77
	v_dual_add_f32 v71, 0, v71 :: v_dual_fmac_f32 v128, v103, v74
	s_delay_alu instid0(VALU_DEP_4) | instskip(SKIP_2) | instid1(VALU_DEP_3)
	v_fma_f32 v70, v102, v74, -v70
	s_wait_loadcnt_dscnt 0x504
	v_dual_mul_f32 v130, v106, v79 :: v_dual_mul_f32 v131, v108, v81
	v_add_f32_e32 v71, v71, v72
	v_fmac_f32_e32 v129, v105, v76
	v_fma_f32 v72, v104, v76, -v73
	s_wait_loadcnt_dscnt 0x403
	v_dual_mul_f32 v132, v110, v83 :: v_dual_mul_f32 v133, v112, v85
	v_dual_add_f32 v70, v71, v70 :: v_dual_mul_f32 v71, v109, v81
	v_fmac_f32_e32 v130, v107, v78
	s_wait_loadcnt_dscnt 0x302
	v_dual_mul_f32 v134, v114, v87 :: v_dual_mul_f32 v135, v116, v89
	s_delay_alu instid0(VALU_DEP_3) | instskip(SKIP_3) | instid1(VALU_DEP_4)
	v_dual_add_f32 v70, v70, v72 :: v_dual_add_f32 v67, 0, v67
	v_mul_f32_e32 v72, v111, v83
	v_fma_f32 v71, v108, v80, -v71
	v_dual_fmac_f32 v131, v109, v80 :: v_dual_fmac_f32 v132, v111, v82
	v_add_f32_e32 v67, v67, v68
	v_mul_f32_e32 v68, v107, v79
	v_fma_f32 v72, v110, v82, -v72
	v_dual_fmac_f32 v133, v113, v84 :: v_dual_fmac_f32 v134, v115, v86
	s_wait_loadcnt_dscnt 0x201
	v_dual_mul_f32 v136, v118, v91 :: v_dual_mul_f32 v137, v120, v93
	v_fma_f32 v68, v106, v78, -v68
	s_wait_loadcnt_dscnt 0x100
	v_dual_mul_f32 v138, v122, v95 :: v_dual_mul_f32 v139, v124, v97
	s_delay_alu instid0(VALU_DEP_3) | instskip(NEXT) | instid1(VALU_DEP_3)
	v_dual_fmac_f32 v135, v117, v88 :: v_dual_fmac_f32 v136, v119, v90
	v_add_f32_e32 v68, v70, v68
	v_mul_f32_e32 v70, v113, v85
	s_delay_alu instid0(VALU_DEP_4) | instskip(NEXT) | instid1(VALU_DEP_3)
	v_dual_fmac_f32 v138, v123, v94 :: v_dual_fmac_f32 v139, v125, v96
	v_dual_fmac_f32 v137, v121, v92 :: v_dual_add_f32 v68, v68, v71
	v_add_f32_e32 v67, v67, v128
	v_mul_f32_e32 v71, v115, v87
	v_fma_f32 v70, v112, v84, -v70
	s_delay_alu instid0(VALU_DEP_4) | instskip(SKIP_3) | instid1(VALU_DEP_4)
	v_add_f32_e32 v68, v68, v72
	v_mul_f32_e32 v72, v117, v89
	v_add_f32_e32 v67, v67, v129
	v_fma_f32 v71, v114, v86, -v71
	v_add_f32_e32 v68, v68, v70
	v_mul_f32_e32 v70, v119, v91
	s_delay_alu instid0(VALU_DEP_4) | instskip(SKIP_1) | instid1(VALU_DEP_4)
	v_add_f32_e32 v67, v67, v130
	v_fma_f32 v72, v116, v88, -v72
	v_dual_add_f32 v68, v68, v71 :: v_dual_mul_f32 v71, v121, v93
	s_delay_alu instid0(VALU_DEP_3) | instskip(SKIP_1) | instid1(VALU_DEP_3)
	v_add_f32_e32 v67, v67, v131
	v_fma_f32 v70, v118, v90, -v70
	v_add_f32_e32 v68, v68, v72
	s_delay_alu instid0(VALU_DEP_4) | instskip(NEXT) | instid1(VALU_DEP_4)
	v_fma_f32 v71, v120, v92, -v71
	v_add_f32_e32 v67, v67, v132
	v_mul_f32_e32 v72, v123, v95
	s_delay_alu instid0(VALU_DEP_4) | instskip(SKIP_1) | instid1(VALU_DEP_4)
	v_add_f32_e32 v68, v68, v70
	v_mul_f32_e32 v70, v125, v97
	v_add_f32_e32 v67, v67, v133
	s_delay_alu instid0(VALU_DEP_4) | instskip(NEXT) | instid1(VALU_DEP_4)
	v_fma_f32 v72, v122, v94, -v72
	v_add_f32_e32 v68, v68, v71
	s_delay_alu instid0(VALU_DEP_4) | instskip(NEXT) | instid1(VALU_DEP_2)
	v_fma_f32 v70, v124, v96, -v70
	v_dual_add_f32 v67, v67, v134 :: v_dual_add_f32 v68, v68, v72
	s_delay_alu instid0(VALU_DEP_1) | instskip(NEXT) | instid1(VALU_DEP_1)
	v_dual_add_f32 v67, v67, v135 :: v_dual_add_f32 v68, v68, v70
	v_add_f32_e32 v67, v67, v136
	s_delay_alu instid0(VALU_DEP_1) | instskip(NEXT) | instid1(VALU_DEP_1)
	v_add_f32_e32 v67, v67, v137
	v_add_f32_e32 v67, v67, v138
	s_wait_loadcnt 0x0
	s_delay_alu instid0(VALU_DEP_1) | instskip(NEXT) | instid1(VALU_DEP_1)
	v_dual_add_f32 v70, v67, v139 :: v_dual_sub_f32 v67, v126, v68
	v_sub_f32_e32 v68, v127, v70
	scratch_store_b64 off, v[67:68], off offset:144
	v_cmpx_lt_u32_e32 17, v0
	s_cbranch_execz .LBB96_177
; %bb.176:
	scratch_load_b64 v[67:68], off, off offset:136
	v_mov_b32_e32 v70, 0
	s_delay_alu instid0(VALU_DEP_1)
	v_mov_b32_e32 v71, v70
	scratch_store_b64 off, v[70:71], off offset:136
	s_wait_loadcnt 0x0
	ds_store_b64 v69, v[67:68]
.LBB96_177:
	s_wait_alu 0xfffe
	s_or_b32 exec_lo, exec_lo, s0
	s_wait_storecnt_dscnt 0x0
	s_barrier_signal -1
	s_barrier_wait -1
	global_inv scope:SCOPE_SE
	s_clause 0x8
	scratch_load_b128 v[70:73], off, off offset:144
	scratch_load_b128 v[74:77], off, off offset:160
	;; [unrolled: 1-line block ×7, first 2 shown]
	scratch_load_b64 v[126:127], off, off offset:256
	scratch_load_b64 v[128:129], off, off offset:136
	v_mov_b32_e32 v67, 0
	ds_load_b128 v[98:101], v67 offset:416
	ds_load_b128 v[102:105], v67 offset:432
	;; [unrolled: 1-line block ×7, first 2 shown]
	ds_load_b64 v[130:131], v67 offset:528
	s_mov_b32 s0, exec_lo
	s_wait_loadcnt_dscnt 0x807
	v_mul_f32_e32 v68, v98, v71
	v_dual_mul_f32 v71, v99, v71 :: v_dual_mul_f32 v132, v100, v73
	s_wait_loadcnt_dscnt 0x706
	v_mul_f32_e32 v133, v102, v75
	v_mul_f32_e32 v73, v101, v73
	s_wait_loadcnt_dscnt 0x302
	v_mul_f32_e32 v142, v120, v93
	v_fma_f32 v71, v98, v70, -v71
	s_wait_loadcnt_dscnt 0x100
	v_dual_mul_f32 v145, v130, v127 :: v_dual_fmac_f32 v68, v99, v70
	v_mul_f32_e32 v70, v103, v75
	s_delay_alu instid0(VALU_DEP_3) | instskip(SKIP_1) | instid1(VALU_DEP_4)
	v_dual_fmac_f32 v132, v101, v72 :: v_dual_add_f32 v71, 0, v71
	v_fma_f32 v72, v100, v72, -v73
	v_dual_add_f32 v68, 0, v68 :: v_dual_mul_f32 v73, v105, v77
	v_fmac_f32_e32 v133, v103, v74
	v_fma_f32 v70, v102, v74, -v70
	v_dual_mul_f32 v134, v104, v77 :: v_dual_mul_f32 v135, v106, v79
	s_delay_alu instid0(VALU_DEP_4)
	v_add_f32_e32 v68, v68, v132
	v_add_f32_e32 v71, v71, v72
	v_mul_f32_e32 v72, v107, v79
	v_fma_f32 v73, v104, v76, -v73
	v_dual_mul_f32 v138, v112, v85 :: v_dual_mul_f32 v139, v114, v87
	v_add_f32_e32 v68, v68, v133
	v_dual_add_f32 v70, v71, v70 :: v_dual_mul_f32 v71, v109, v81
	v_fma_f32 v72, v106, v78, -v72
	v_dual_mul_f32 v140, v116, v89 :: v_dual_mul_f32 v141, v118, v91
	s_delay_alu instid0(VALU_DEP_3) | instskip(NEXT) | instid1(VALU_DEP_4)
	v_dual_add_f32 v70, v70, v73 :: v_dual_mul_f32 v73, v111, v83
	v_fma_f32 v71, v108, v80, -v71
	v_dual_mul_f32 v143, v122, v95 :: v_dual_mul_f32 v144, v124, v97
	s_delay_alu instid0(VALU_DEP_3) | instskip(SKIP_3) | instid1(VALU_DEP_4)
	v_dual_add_f32 v70, v70, v72 :: v_dual_fmac_f32 v139, v115, v86
	v_dual_fmac_f32 v134, v105, v76 :: v_dual_fmac_f32 v135, v107, v78
	v_dual_mul_f32 v72, v113, v85 :: v_dual_fmac_f32 v141, v119, v90
	v_fma_f32 v73, v110, v82, -v73
	v_dual_add_f32 v70, v70, v71 :: v_dual_fmac_f32 v143, v123, v94
	s_delay_alu instid0(VALU_DEP_4) | instskip(NEXT) | instid1(VALU_DEP_4)
	v_dual_add_f32 v68, v68, v134 :: v_dual_mul_f32 v71, v115, v87
	v_fma_f32 v72, v112, v84, -v72
	s_delay_alu instid0(VALU_DEP_3) | instskip(SKIP_3) | instid1(VALU_DEP_4)
	v_dual_add_f32 v70, v70, v73 :: v_dual_fmac_f32 v145, v131, v126
	v_dual_mul_f32 v136, v108, v81 :: v_dual_mul_f32 v137, v110, v83
	v_mul_f32_e32 v73, v117, v89
	v_fma_f32 v71, v114, v86, -v71
	v_add_f32_e32 v70, v70, v72
	s_delay_alu instid0(VALU_DEP_4) | instskip(SKIP_4) | instid1(VALU_DEP_4)
	v_dual_fmac_f32 v136, v109, v80 :: v_dual_fmac_f32 v137, v111, v82
	v_add_f32_e32 v68, v68, v135
	v_mul_f32_e32 v72, v119, v91
	v_fma_f32 v73, v116, v88, -v73
	v_dual_add_f32 v70, v70, v71 :: v_dual_mul_f32 v71, v121, v93
	v_add_f32_e32 v68, v68, v136
	s_delay_alu instid0(VALU_DEP_4) | instskip(SKIP_1) | instid1(VALU_DEP_4)
	v_fma_f32 v72, v118, v90, -v72
	v_fmac_f32_e32 v138, v113, v84
	v_dual_add_f32 v70, v70, v73 :: v_dual_mul_f32 v73, v123, v95
	s_delay_alu instid0(VALU_DEP_4) | instskip(SKIP_2) | instid1(VALU_DEP_4)
	v_add_f32_e32 v68, v68, v137
	v_fma_f32 v71, v120, v92, -v71
	v_fmac_f32_e32 v140, v117, v88
	v_add_f32_e32 v70, v70, v72
	v_fmac_f32_e32 v142, v121, v92
	v_mul_f32_e32 v72, v125, v97
	v_fma_f32 v73, v122, v94, -v73
	v_fmac_f32_e32 v144, v125, v96
	v_add_f32_e32 v70, v70, v71
	v_dual_mul_f32 v71, v131, v127 :: v_dual_add_f32 v68, v68, v138
	v_fma_f32 v72, v124, v96, -v72
	s_delay_alu instid0(VALU_DEP_3) | instskip(NEXT) | instid1(VALU_DEP_3)
	v_add_f32_e32 v70, v70, v73
	v_fma_f32 v71, v130, v126, -v71
	s_delay_alu instid0(VALU_DEP_4) | instskip(NEXT) | instid1(VALU_DEP_3)
	v_add_f32_e32 v68, v68, v139
	v_add_f32_e32 v70, v70, v72
	s_delay_alu instid0(VALU_DEP_2) | instskip(NEXT) | instid1(VALU_DEP_2)
	v_add_f32_e32 v68, v68, v140
	v_add_f32_e32 v70, v70, v71
	s_delay_alu instid0(VALU_DEP_2) | instskip(SKIP_1) | instid1(VALU_DEP_2)
	v_add_f32_e32 v68, v68, v141
	s_wait_loadcnt 0x0
	v_sub_f32_e32 v70, v128, v70
	s_delay_alu instid0(VALU_DEP_2) | instskip(NEXT) | instid1(VALU_DEP_1)
	v_add_f32_e32 v68, v68, v142
	v_add_f32_e32 v68, v68, v143
	s_delay_alu instid0(VALU_DEP_1) | instskip(NEXT) | instid1(VALU_DEP_1)
	v_add_f32_e32 v68, v68, v144
	v_add_f32_e32 v68, v68, v145
	s_delay_alu instid0(VALU_DEP_1)
	v_sub_f32_e32 v71, v129, v68
	scratch_store_b64 off, v[70:71], off offset:136
	v_cmpx_lt_u32_e32 16, v0
	s_cbranch_execz .LBB96_179
; %bb.178:
	scratch_load_b64 v[70:71], off, off offset:128
	v_mov_b32_e32 v68, v67
	scratch_store_b64 off, v[67:68], off offset:128
	s_wait_loadcnt 0x0
	ds_store_b64 v69, v[70:71]
.LBB96_179:
	s_wait_alu 0xfffe
	s_or_b32 exec_lo, exec_lo, s0
	s_wait_storecnt_dscnt 0x0
	s_barrier_signal -1
	s_barrier_wait -1
	global_inv scope:SCOPE_SE
	s_clause 0x8
	scratch_load_b128 v[70:73], off, off offset:136
	scratch_load_b128 v[74:77], off, off offset:152
	;; [unrolled: 1-line block ×8, first 2 shown]
	scratch_load_b64 v[134:135], off, off offset:128
	ds_load_2addr_b64 v[102:105], v67 offset0:51 offset1:52
	ds_load_2addr_b64 v[106:109], v67 offset0:53 offset1:54
	;; [unrolled: 1-line block ×8, first 2 shown]
	s_mov_b32 s0, exec_lo
	s_wait_loadcnt_dscnt 0x807
	v_dual_mul_f32 v67, v102, v71 :: v_dual_mul_f32 v68, v104, v73
	v_mul_f32_e32 v71, v103, v71
	s_wait_loadcnt_dscnt 0x706
	v_dual_mul_f32 v73, v105, v73 :: v_dual_mul_f32 v136, v106, v75
	s_delay_alu instid0(VALU_DEP_3) | instskip(NEXT) | instid1(VALU_DEP_3)
	v_dual_mul_f32 v137, v108, v77 :: v_dual_fmac_f32 v68, v105, v72
	v_fma_f32 v71, v102, v70, -v71
	v_fmac_f32_e32 v67, v103, v70
	v_mul_f32_e32 v70, v107, v75
	v_fma_f32 v72, v104, v72, -v73
	v_mul_f32_e32 v73, v109, v77
	v_dual_add_f32 v71, 0, v71 :: v_dual_fmac_f32 v136, v107, v74
	s_delay_alu instid0(VALU_DEP_4) | instskip(SKIP_2) | instid1(VALU_DEP_3)
	v_fma_f32 v70, v106, v74, -v70
	s_wait_loadcnt_dscnt 0x605
	v_dual_mul_f32 v138, v110, v79 :: v_dual_mul_f32 v139, v112, v81
	v_add_f32_e32 v71, v71, v72
	v_fmac_f32_e32 v137, v109, v76
	v_fma_f32 v72, v108, v76, -v73
	s_wait_loadcnt_dscnt 0x504
	v_dual_mul_f32 v140, v114, v83 :: v_dual_mul_f32 v141, v116, v85
	v_dual_add_f32 v70, v71, v70 :: v_dual_mul_f32 v71, v113, v81
	v_fmac_f32_e32 v138, v111, v78
	s_wait_loadcnt_dscnt 0x403
	v_dual_mul_f32 v142, v118, v87 :: v_dual_mul_f32 v143, v120, v89
	s_delay_alu instid0(VALU_DEP_3) | instskip(SKIP_3) | instid1(VALU_DEP_4)
	v_dual_add_f32 v70, v70, v72 :: v_dual_add_f32 v67, 0, v67
	v_mul_f32_e32 v72, v115, v83
	v_fma_f32 v71, v112, v80, -v71
	v_dual_fmac_f32 v139, v113, v80 :: v_dual_fmac_f32 v140, v115, v82
	v_add_f32_e32 v67, v67, v68
	v_mul_f32_e32 v68, v111, v79
	v_fma_f32 v72, v114, v82, -v72
	v_dual_fmac_f32 v141, v117, v84 :: v_dual_fmac_f32 v142, v119, v86
	s_wait_loadcnt_dscnt 0x302
	v_dual_mul_f32 v144, v122, v91 :: v_dual_mul_f32 v145, v124, v93
	v_fma_f32 v68, v110, v78, -v68
	s_wait_loadcnt_dscnt 0x201
	v_dual_mul_f32 v146, v126, v95 :: v_dual_mul_f32 v147, v128, v97
	s_wait_loadcnt_dscnt 0x100
	v_dual_mul_f32 v148, v130, v99 :: v_dual_mul_f32 v149, v132, v101
	v_add_f32_e32 v68, v70, v68
	v_mul_f32_e32 v70, v117, v85
	v_dual_fmac_f32 v146, v127, v94 :: v_dual_fmac_f32 v147, v129, v96
	s_delay_alu instid0(VALU_DEP_4) | instskip(NEXT) | instid1(VALU_DEP_4)
	v_dual_fmac_f32 v148, v131, v98 :: v_dual_fmac_f32 v149, v133, v100
	v_dual_add_f32 v68, v68, v71 :: v_dual_add_f32 v67, v67, v136
	v_mul_f32_e32 v71, v119, v87
	v_fma_f32 v70, v116, v84, -v70
	v_fmac_f32_e32 v143, v121, v88
	s_delay_alu instid0(VALU_DEP_4)
	v_add_f32_e32 v68, v68, v72
	v_mul_f32_e32 v72, v121, v89
	v_add_f32_e32 v67, v67, v137
	v_fma_f32 v71, v118, v86, -v71
	v_fmac_f32_e32 v144, v123, v90
	v_add_f32_e32 v68, v68, v70
	v_mul_f32_e32 v70, v123, v91
	v_add_f32_e32 v67, v67, v138
	v_fma_f32 v72, v120, v88, -v72
	s_delay_alu instid0(VALU_DEP_4) | instskip(SKIP_1) | instid1(VALU_DEP_4)
	v_dual_fmac_f32 v145, v125, v92 :: v_dual_add_f32 v68, v68, v71
	v_mul_f32_e32 v71, v125, v93
	v_add_f32_e32 v67, v67, v139
	v_fma_f32 v70, v122, v90, -v70
	s_delay_alu instid0(VALU_DEP_4) | instskip(NEXT) | instid1(VALU_DEP_4)
	v_add_f32_e32 v68, v68, v72
	v_fma_f32 v71, v124, v92, -v71
	s_delay_alu instid0(VALU_DEP_4) | instskip(SKIP_1) | instid1(VALU_DEP_4)
	v_add_f32_e32 v67, v67, v140
	v_mul_f32_e32 v72, v127, v95
	v_add_f32_e32 v68, v68, v70
	v_mul_f32_e32 v70, v129, v97
	s_delay_alu instid0(VALU_DEP_4) | instskip(NEXT) | instid1(VALU_DEP_4)
	v_add_f32_e32 v67, v67, v141
	v_fma_f32 v72, v126, v94, -v72
	s_delay_alu instid0(VALU_DEP_4) | instskip(SKIP_1) | instid1(VALU_DEP_4)
	v_add_f32_e32 v68, v68, v71
	v_mul_f32_e32 v71, v131, v99
	v_add_f32_e32 v67, v67, v142
	v_fma_f32 v70, v128, v96, -v70
	s_delay_alu instid0(VALU_DEP_4) | instskip(NEXT) | instid1(VALU_DEP_3)
	v_add_f32_e32 v68, v68, v72
	v_dual_mul_f32 v72, v133, v101 :: v_dual_add_f32 v67, v67, v143
	v_fma_f32 v71, v130, v98, -v71
	s_delay_alu instid0(VALU_DEP_3) | instskip(NEXT) | instid1(VALU_DEP_3)
	v_add_f32_e32 v68, v68, v70
	v_fma_f32 v70, v132, v100, -v72
	s_delay_alu instid0(VALU_DEP_2) | instskip(NEXT) | instid1(VALU_DEP_1)
	v_dual_add_f32 v67, v67, v144 :: v_dual_add_f32 v68, v68, v71
	v_dual_add_f32 v67, v67, v145 :: v_dual_add_f32 v68, v68, v70
	s_delay_alu instid0(VALU_DEP_1) | instskip(NEXT) | instid1(VALU_DEP_1)
	v_add_f32_e32 v67, v67, v146
	v_add_f32_e32 v67, v67, v147
	s_delay_alu instid0(VALU_DEP_1) | instskip(SKIP_1) | instid1(VALU_DEP_1)
	v_add_f32_e32 v67, v67, v148
	s_wait_loadcnt 0x0
	v_dual_add_f32 v70, v67, v149 :: v_dual_sub_f32 v67, v134, v68
	s_delay_alu instid0(VALU_DEP_1)
	v_sub_f32_e32 v68, v135, v70
	scratch_store_b64 off, v[67:68], off offset:128
	v_cmpx_lt_u32_e32 15, v0
	s_cbranch_execz .LBB96_181
; %bb.180:
	scratch_load_b64 v[67:68], off, off offset:120
	v_mov_b32_e32 v70, 0
	s_delay_alu instid0(VALU_DEP_1)
	v_mov_b32_e32 v71, v70
	scratch_store_b64 off, v[70:71], off offset:120
	s_wait_loadcnt 0x0
	ds_store_b64 v69, v[67:68]
.LBB96_181:
	s_wait_alu 0xfffe
	s_or_b32 exec_lo, exec_lo, s0
	s_wait_storecnt_dscnt 0x0
	s_barrier_signal -1
	s_barrier_wait -1
	global_inv scope:SCOPE_SE
	s_clause 0x9
	scratch_load_b128 v[70:73], off, off offset:128
	scratch_load_b128 v[74:77], off, off offset:144
	;; [unrolled: 1-line block ×8, first 2 shown]
	scratch_load_b64 v[134:135], off, off offset:256
	scratch_load_b64 v[136:137], off, off offset:120
	v_mov_b32_e32 v67, 0
	ds_load_b128 v[102:105], v67 offset:400
	ds_load_b128 v[106:109], v67 offset:416
	;; [unrolled: 1-line block ×8, first 2 shown]
	ds_load_b64 v[138:139], v67 offset:528
	s_mov_b32 s0, exec_lo
	s_wait_loadcnt_dscnt 0x908
	v_mul_f32_e32 v68, v102, v71
	s_wait_loadcnt_dscnt 0x807
	v_dual_mul_f32 v140, v104, v73 :: v_dual_mul_f32 v141, v106, v75
	v_mul_f32_e32 v71, v103, v71
	s_delay_alu instid0(VALU_DEP_3)
	v_dual_mul_f32 v73, v105, v73 :: v_dual_fmac_f32 v68, v103, v70
	s_wait_loadcnt_dscnt 0x302
	v_mul_f32_e32 v152, v128, v97
	v_dual_mul_f32 v142, v108, v77 :: v_dual_mul_f32 v143, v110, v79
	s_wait_loadcnt_dscnt 0x100
	v_mul_f32_e32 v155, v138, v135
	v_fma_f32 v71, v102, v70, -v71
	v_mul_f32_e32 v70, v107, v75
	v_fmac_f32_e32 v140, v105, v72
	v_fma_f32 v72, v104, v72, -v73
	v_dual_add_f32 v68, 0, v68 :: v_dual_mul_f32 v73, v109, v77
	v_add_f32_e32 v71, 0, v71
	v_fmac_f32_e32 v141, v107, v74
	v_fma_f32 v70, v106, v74, -v70
	s_delay_alu instid0(VALU_DEP_4)
	v_add_f32_e32 v68, v68, v140
	v_fma_f32 v73, v108, v76, -v73
	v_add_f32_e32 v71, v71, v72
	v_mul_f32_e32 v72, v111, v79
	v_dual_mul_f32 v146, v116, v85 :: v_dual_mul_f32 v147, v118, v87
	v_add_f32_e32 v68, v68, v141
	s_delay_alu instid0(VALU_DEP_4) | instskip(NEXT) | instid1(VALU_DEP_4)
	v_dual_add_f32 v70, v71, v70 :: v_dual_mul_f32 v71, v113, v81
	v_fma_f32 v72, v110, v78, -v72
	v_dual_mul_f32 v148, v120, v89 :: v_dual_mul_f32 v149, v122, v91
	s_delay_alu instid0(VALU_DEP_3) | instskip(NEXT) | instid1(VALU_DEP_4)
	v_dual_add_f32 v70, v70, v73 :: v_dual_mul_f32 v73, v115, v83
	v_fma_f32 v71, v112, v80, -v71
	v_dual_mul_f32 v150, v124, v93 :: v_dual_mul_f32 v151, v126, v95
	s_delay_alu instid0(VALU_DEP_3) | instskip(SKIP_3) | instid1(VALU_DEP_4)
	v_dual_add_f32 v70, v70, v72 :: v_dual_fmac_f32 v147, v119, v86
	v_dual_fmac_f32 v142, v109, v76 :: v_dual_fmac_f32 v143, v111, v78
	v_dual_mul_f32 v72, v117, v85 :: v_dual_fmac_f32 v149, v123, v90
	v_fma_f32 v73, v114, v82, -v73
	v_dual_add_f32 v70, v70, v71 :: v_dual_fmac_f32 v151, v127, v94
	v_dual_mul_f32 v153, v130, v99 :: v_dual_mul_f32 v154, v132, v101
	v_dual_add_f32 v68, v68, v142 :: v_dual_mul_f32 v71, v119, v87
	v_fma_f32 v72, v116, v84, -v72
	s_delay_alu instid0(VALU_DEP_3) | instskip(SKIP_3) | instid1(VALU_DEP_4)
	v_dual_add_f32 v70, v70, v73 :: v_dual_fmac_f32 v153, v131, v98
	v_dual_mul_f32 v144, v112, v81 :: v_dual_mul_f32 v145, v114, v83
	v_mul_f32_e32 v73, v121, v89
	v_fma_f32 v71, v118, v86, -v71
	v_add_f32_e32 v70, v70, v72
	s_delay_alu instid0(VALU_DEP_4) | instskip(SKIP_4) | instid1(VALU_DEP_4)
	v_dual_fmac_f32 v144, v113, v80 :: v_dual_fmac_f32 v145, v115, v82
	v_add_f32_e32 v68, v68, v143
	v_mul_f32_e32 v72, v123, v91
	v_fma_f32 v73, v120, v88, -v73
	v_dual_add_f32 v70, v70, v71 :: v_dual_mul_f32 v71, v125, v93
	v_add_f32_e32 v68, v68, v144
	s_delay_alu instid0(VALU_DEP_4) | instskip(SKIP_1) | instid1(VALU_DEP_4)
	v_fma_f32 v72, v122, v90, -v72
	v_fmac_f32_e32 v146, v117, v84
	v_dual_add_f32 v70, v70, v73 :: v_dual_mul_f32 v73, v127, v95
	s_delay_alu instid0(VALU_DEP_4) | instskip(SKIP_1) | instid1(VALU_DEP_3)
	v_dual_add_f32 v68, v68, v145 :: v_dual_fmac_f32 v155, v139, v134
	v_fma_f32 v71, v124, v92, -v71
	v_add_f32_e32 v70, v70, v72
	v_fmac_f32_e32 v148, v121, v88
	v_fmac_f32_e32 v150, v125, v92
	v_mul_f32_e32 v72, v129, v97
	v_fma_f32 v73, v126, v94, -v73
	v_add_f32_e32 v70, v70, v71
	v_dual_mul_f32 v71, v131, v99 :: v_dual_add_f32 v68, v68, v146
	v_fmac_f32_e32 v152, v129, v96
	v_fma_f32 v72, v128, v96, -v72
	s_delay_alu instid0(VALU_DEP_4) | instskip(NEXT) | instid1(VALU_DEP_4)
	v_add_f32_e32 v70, v70, v73
	v_dual_mul_f32 v73, v133, v101 :: v_dual_add_f32 v68, v68, v147
	v_fma_f32 v71, v130, v98, -v71
	v_fmac_f32_e32 v154, v133, v100
	s_delay_alu instid0(VALU_DEP_4) | instskip(SKIP_3) | instid1(VALU_DEP_4)
	v_add_f32_e32 v70, v70, v72
	v_mul_f32_e32 v72, v139, v135
	v_add_f32_e32 v68, v68, v148
	v_fma_f32 v73, v132, v100, -v73
	v_add_f32_e32 v70, v70, v71
	s_delay_alu instid0(VALU_DEP_4) | instskip(NEXT) | instid1(VALU_DEP_4)
	v_fma_f32 v71, v138, v134, -v72
	v_add_f32_e32 v68, v68, v149
	s_delay_alu instid0(VALU_DEP_3) | instskip(NEXT) | instid1(VALU_DEP_2)
	v_add_f32_e32 v70, v70, v73
	v_add_f32_e32 v68, v68, v150
	s_delay_alu instid0(VALU_DEP_2) | instskip(NEXT) | instid1(VALU_DEP_2)
	v_add_f32_e32 v70, v70, v71
	v_add_f32_e32 v68, v68, v151
	s_wait_loadcnt 0x0
	s_delay_alu instid0(VALU_DEP_2) | instskip(NEXT) | instid1(VALU_DEP_2)
	v_sub_f32_e32 v70, v136, v70
	v_add_f32_e32 v68, v68, v152
	s_delay_alu instid0(VALU_DEP_1) | instskip(NEXT) | instid1(VALU_DEP_1)
	v_add_f32_e32 v68, v68, v153
	v_add_f32_e32 v68, v68, v154
	s_delay_alu instid0(VALU_DEP_1) | instskip(NEXT) | instid1(VALU_DEP_1)
	v_add_f32_e32 v68, v68, v155
	v_sub_f32_e32 v71, v137, v68
	scratch_store_b64 off, v[70:71], off offset:120
	v_cmpx_lt_u32_e32 14, v0
	s_cbranch_execz .LBB96_183
; %bb.182:
	scratch_load_b64 v[70:71], off, off offset:112
	v_mov_b32_e32 v68, v67
	scratch_store_b64 off, v[67:68], off offset:112
	s_wait_loadcnt 0x0
	ds_store_b64 v69, v[70:71]
.LBB96_183:
	s_wait_alu 0xfffe
	s_or_b32 exec_lo, exec_lo, s0
	s_wait_storecnt_dscnt 0x0
	s_barrier_signal -1
	s_barrier_wait -1
	global_inv scope:SCOPE_SE
	s_clause 0x9
	scratch_load_b128 v[70:73], off, off offset:120
	scratch_load_b128 v[74:77], off, off offset:136
	;; [unrolled: 1-line block ×9, first 2 shown]
	scratch_load_b64 v[142:143], off, off offset:112
	ds_load_2addr_b64 v[106:109], v67 offset0:49 offset1:50
	ds_load_2addr_b64 v[110:113], v67 offset0:51 offset1:52
	;; [unrolled: 1-line block ×9, first 2 shown]
	s_mov_b32 s0, exec_lo
	s_wait_loadcnt_dscnt 0x908
	v_dual_mul_f32 v67, v106, v71 :: v_dual_mul_f32 v68, v108, v73
	v_mul_f32_e32 v71, v107, v71
	s_wait_loadcnt_dscnt 0x807
	v_dual_mul_f32 v73, v109, v73 :: v_dual_mul_f32 v144, v110, v75
	s_delay_alu instid0(VALU_DEP_3) | instskip(NEXT) | instid1(VALU_DEP_3)
	v_dual_mul_f32 v145, v112, v77 :: v_dual_fmac_f32 v68, v109, v72
	v_fma_f32 v71, v106, v70, -v71
	v_fmac_f32_e32 v67, v107, v70
	v_mul_f32_e32 v70, v111, v75
	v_fma_f32 v72, v108, v72, -v73
	v_mul_f32_e32 v73, v113, v77
	v_dual_add_f32 v71, 0, v71 :: v_dual_fmac_f32 v144, v111, v74
	s_delay_alu instid0(VALU_DEP_4) | instskip(SKIP_2) | instid1(VALU_DEP_3)
	v_fma_f32 v70, v110, v74, -v70
	s_wait_loadcnt_dscnt 0x706
	v_dual_mul_f32 v146, v114, v79 :: v_dual_mul_f32 v147, v116, v81
	v_add_f32_e32 v71, v71, v72
	v_fmac_f32_e32 v145, v113, v76
	v_fma_f32 v72, v112, v76, -v73
	s_wait_loadcnt_dscnt 0x605
	v_dual_mul_f32 v148, v118, v83 :: v_dual_mul_f32 v149, v120, v85
	v_dual_add_f32 v70, v71, v70 :: v_dual_mul_f32 v71, v117, v81
	v_fmac_f32_e32 v146, v115, v78
	s_wait_loadcnt_dscnt 0x504
	v_dual_mul_f32 v150, v122, v87 :: v_dual_mul_f32 v151, v124, v89
	s_delay_alu instid0(VALU_DEP_3) | instskip(SKIP_3) | instid1(VALU_DEP_4)
	v_dual_add_f32 v70, v70, v72 :: v_dual_add_f32 v67, 0, v67
	v_mul_f32_e32 v72, v119, v83
	v_fma_f32 v71, v116, v80, -v71
	v_dual_fmac_f32 v147, v117, v80 :: v_dual_fmac_f32 v148, v119, v82
	v_add_f32_e32 v67, v67, v68
	v_mul_f32_e32 v68, v115, v79
	v_fma_f32 v72, v118, v82, -v72
	v_dual_fmac_f32 v149, v121, v84 :: v_dual_fmac_f32 v150, v123, v86
	s_wait_loadcnt_dscnt 0x403
	v_dual_mul_f32 v152, v126, v91 :: v_dual_mul_f32 v153, v128, v93
	v_fma_f32 v68, v114, v78, -v68
	s_wait_loadcnt_dscnt 0x302
	v_dual_mul_f32 v154, v130, v95 :: v_dual_mul_f32 v155, v132, v97
	s_wait_loadcnt_dscnt 0x201
	v_dual_mul_f32 v156, v134, v99 :: v_dual_mul_f32 v157, v136, v101
	v_add_f32_e32 v68, v70, v68
	v_mul_f32_e32 v70, v121, v85
	v_dual_fmac_f32 v154, v131, v94 :: v_dual_fmac_f32 v155, v133, v96
	s_delay_alu instid0(VALU_DEP_4) | instskip(NEXT) | instid1(VALU_DEP_4)
	v_dual_fmac_f32 v156, v135, v98 :: v_dual_fmac_f32 v157, v137, v100
	v_dual_add_f32 v68, v68, v71 :: v_dual_add_f32 v67, v67, v144
	v_mul_f32_e32 v71, v123, v87
	v_fma_f32 v70, v120, v84, -v70
	v_fmac_f32_e32 v151, v125, v88
	s_delay_alu instid0(VALU_DEP_4)
	v_add_f32_e32 v68, v68, v72
	v_mul_f32_e32 v72, v125, v89
	v_add_f32_e32 v67, v67, v145
	v_fma_f32 v71, v122, v86, -v71
	v_fmac_f32_e32 v152, v127, v90
	v_add_f32_e32 v68, v68, v70
	v_mul_f32_e32 v70, v127, v91
	v_add_f32_e32 v67, v67, v146
	v_fma_f32 v72, v124, v88, -v72
	s_delay_alu instid0(VALU_DEP_4) | instskip(SKIP_1) | instid1(VALU_DEP_4)
	v_dual_fmac_f32 v153, v129, v92 :: v_dual_add_f32 v68, v68, v71
	v_mul_f32_e32 v71, v129, v93
	v_add_f32_e32 v67, v67, v147
	v_fma_f32 v70, v126, v90, -v70
	s_wait_loadcnt_dscnt 0x100
	v_dual_mul_f32 v158, v138, v103 :: v_dual_mul_f32 v159, v140, v105
	v_add_f32_e32 v68, v68, v72
	v_add_f32_e32 v67, v67, v148
	v_fma_f32 v71, v128, v92, -v71
	v_mul_f32_e32 v72, v131, v95
	v_dual_fmac_f32 v158, v139, v102 :: v_dual_fmac_f32 v159, v141, v104
	s_delay_alu instid0(VALU_DEP_4) | instskip(SKIP_1) | instid1(VALU_DEP_4)
	v_dual_add_f32 v68, v68, v70 :: v_dual_add_f32 v67, v67, v149
	v_mul_f32_e32 v70, v133, v97
	v_fma_f32 v72, v130, v94, -v72
	s_delay_alu instid0(VALU_DEP_3) | instskip(SKIP_1) | instid1(VALU_DEP_4)
	v_dual_add_f32 v68, v68, v71 :: v_dual_add_f32 v67, v67, v150
	v_mul_f32_e32 v71, v135, v99
	v_fma_f32 v70, v132, v96, -v70
	s_delay_alu instid0(VALU_DEP_3) | instskip(SKIP_1) | instid1(VALU_DEP_4)
	;; [unrolled: 4-line block ×4, first 2 shown]
	v_dual_add_f32 v68, v68, v71 :: v_dual_add_f32 v67, v67, v153
	v_mul_f32_e32 v71, v141, v105
	v_fma_f32 v70, v138, v102, -v70
	s_delay_alu instid0(VALU_DEP_3) | instskip(NEXT) | instid1(VALU_DEP_3)
	v_dual_add_f32 v68, v68, v72 :: v_dual_add_f32 v67, v67, v154
	v_fma_f32 v71, v140, v104, -v71
	s_delay_alu instid0(VALU_DEP_2) | instskip(NEXT) | instid1(VALU_DEP_1)
	v_dual_add_f32 v68, v68, v70 :: v_dual_add_f32 v67, v67, v155
	v_dual_add_f32 v68, v68, v71 :: v_dual_add_f32 v67, v67, v156
	s_delay_alu instid0(VALU_DEP_1) | instskip(NEXT) | instid1(VALU_DEP_1)
	v_add_f32_e32 v67, v67, v157
	v_add_f32_e32 v67, v67, v158
	s_wait_loadcnt 0x0
	s_delay_alu instid0(VALU_DEP_1) | instskip(NEXT) | instid1(VALU_DEP_1)
	v_dual_add_f32 v70, v67, v159 :: v_dual_sub_f32 v67, v142, v68
	v_sub_f32_e32 v68, v143, v70
	scratch_store_b64 off, v[67:68], off offset:112
	v_cmpx_lt_u32_e32 13, v0
	s_cbranch_execz .LBB96_185
; %bb.184:
	scratch_load_b64 v[67:68], off, off offset:104
	v_mov_b32_e32 v70, 0
	s_delay_alu instid0(VALU_DEP_1)
	v_mov_b32_e32 v71, v70
	scratch_store_b64 off, v[70:71], off offset:104
	s_wait_loadcnt 0x0
	ds_store_b64 v69, v[67:68]
.LBB96_185:
	s_wait_alu 0xfffe
	s_or_b32 exec_lo, exec_lo, s0
	s_wait_storecnt_dscnt 0x0
	s_barrier_signal -1
	s_barrier_wait -1
	global_inv scope:SCOPE_SE
	s_clause 0xa
	scratch_load_b128 v[70:73], off, off offset:112
	scratch_load_b128 v[74:77], off, off offset:128
	;; [unrolled: 1-line block ×9, first 2 shown]
	scratch_load_b64 v[142:143], off, off offset:256
	scratch_load_b64 v[144:145], off, off offset:104
	v_mov_b32_e32 v67, 0
	ds_load_b128 v[106:109], v67 offset:384
	ds_load_b128 v[110:113], v67 offset:400
	;; [unrolled: 1-line block ×9, first 2 shown]
	ds_load_b64 v[146:147], v67 offset:528
	s_mov_b32 s0, exec_lo
	s_wait_loadcnt_dscnt 0xa09
	v_mul_f32_e32 v68, v106, v71
	s_wait_loadcnt_dscnt 0x908
	v_dual_mul_f32 v148, v108, v73 :: v_dual_mul_f32 v149, v110, v75
	v_mul_f32_e32 v71, v107, v71
	s_delay_alu instid0(VALU_DEP_3)
	v_dual_mul_f32 v73, v109, v73 :: v_dual_fmac_f32 v68, v107, v70
	s_wait_loadcnt_dscnt 0x807
	v_dual_mul_f32 v150, v112, v77 :: v_dual_mul_f32 v151, v114, v79
	s_wait_loadcnt_dscnt 0x100
	v_dual_mul_f32 v162, v136, v101 :: v_dual_mul_f32 v165, v146, v143
	v_fma_f32 v71, v106, v70, -v71
	v_mul_f32_e32 v70, v111, v75
	v_fmac_f32_e32 v148, v109, v72
	v_fma_f32 v72, v108, v72, -v73
	v_dual_add_f32 v68, 0, v68 :: v_dual_mul_f32 v73, v113, v77
	v_add_f32_e32 v71, 0, v71
	v_fmac_f32_e32 v149, v111, v74
	v_fma_f32 v70, v110, v74, -v70
	s_delay_alu instid0(VALU_DEP_4)
	v_add_f32_e32 v68, v68, v148
	v_fma_f32 v73, v112, v76, -v73
	v_add_f32_e32 v71, v71, v72
	v_mul_f32_e32 v72, v115, v79
	v_dual_mul_f32 v154, v120, v85 :: v_dual_mul_f32 v155, v122, v87
	v_add_f32_e32 v68, v68, v149
	s_delay_alu instid0(VALU_DEP_4) | instskip(NEXT) | instid1(VALU_DEP_4)
	v_dual_add_f32 v70, v71, v70 :: v_dual_mul_f32 v71, v117, v81
	v_fma_f32 v72, v114, v78, -v72
	v_dual_mul_f32 v156, v124, v89 :: v_dual_mul_f32 v157, v126, v91
	s_delay_alu instid0(VALU_DEP_3) | instskip(NEXT) | instid1(VALU_DEP_4)
	v_dual_add_f32 v70, v70, v73 :: v_dual_mul_f32 v73, v119, v83
	v_fma_f32 v71, v116, v80, -v71
	v_dual_mul_f32 v158, v128, v93 :: v_dual_mul_f32 v159, v130, v95
	s_delay_alu instid0(VALU_DEP_3) | instskip(SKIP_3) | instid1(VALU_DEP_4)
	v_dual_add_f32 v70, v70, v72 :: v_dual_fmac_f32 v155, v123, v86
	v_dual_fmac_f32 v150, v113, v76 :: v_dual_fmac_f32 v151, v115, v78
	v_dual_mul_f32 v72, v121, v85 :: v_dual_fmac_f32 v157, v127, v90
	v_fma_f32 v73, v118, v82, -v73
	v_dual_add_f32 v70, v70, v71 :: v_dual_fmac_f32 v159, v131, v94
	v_dual_mul_f32 v160, v132, v97 :: v_dual_mul_f32 v161, v134, v99
	v_dual_add_f32 v68, v68, v150 :: v_dual_mul_f32 v71, v123, v87
	v_fma_f32 v72, v120, v84, -v72
	s_delay_alu instid0(VALU_DEP_3) | instskip(SKIP_1) | instid1(VALU_DEP_4)
	v_dual_add_f32 v70, v70, v73 :: v_dual_fmac_f32 v161, v135, v98
	v_mul_f32_e32 v73, v125, v89
	v_fma_f32 v71, v122, v86, -v71
	v_dual_mul_f32 v152, v116, v81 :: v_dual_mul_f32 v153, v118, v83
	s_delay_alu instid0(VALU_DEP_4) | instskip(SKIP_2) | instid1(VALU_DEP_4)
	v_add_f32_e32 v70, v70, v72
	v_mul_f32_e32 v72, v127, v91
	v_fma_f32 v73, v124, v88, -v73
	v_dual_fmac_f32 v152, v117, v80 :: v_dual_fmac_f32 v153, v119, v82
	s_delay_alu instid0(VALU_DEP_4) | instskip(SKIP_2) | instid1(VALU_DEP_3)
	v_dual_add_f32 v70, v70, v71 :: v_dual_fmac_f32 v165, v147, v142
	v_dual_add_f32 v68, v68, v151 :: v_dual_mul_f32 v71, v129, v93
	v_fma_f32 v72, v126, v90, -v72
	v_dual_add_f32 v70, v70, v73 :: v_dual_mul_f32 v73, v131, v95
	s_delay_alu instid0(VALU_DEP_3) | instskip(NEXT) | instid1(VALU_DEP_4)
	v_add_f32_e32 v68, v68, v152
	v_fma_f32 v71, v128, v92, -v71
	v_dual_mul_f32 v163, v138, v103 :: v_dual_mul_f32 v164, v140, v105
	s_delay_alu instid0(VALU_DEP_4)
	v_add_f32_e32 v70, v70, v72
	v_mul_f32_e32 v72, v133, v97
	v_fma_f32 v73, v130, v94, -v73
	v_fmac_f32_e32 v154, v121, v84
	v_dual_add_f32 v68, v68, v153 :: v_dual_fmac_f32 v163, v139, v102
	v_add_f32_e32 v70, v70, v71
	v_mul_f32_e32 v71, v135, v99
	v_fma_f32 v72, v132, v96, -v72
	s_delay_alu instid0(VALU_DEP_4)
	v_add_f32_e32 v68, v68, v154
	v_fmac_f32_e32 v156, v125, v88
	v_add_f32_e32 v70, v70, v73
	v_mul_f32_e32 v73, v137, v101
	v_fma_f32 v71, v134, v98, -v71
	v_fmac_f32_e32 v158, v129, v92
	v_fmac_f32_e32 v160, v133, v96
	v_add_f32_e32 v70, v70, v72
	v_fma_f32 v73, v136, v100, -v73
	v_mul_f32_e32 v72, v139, v103
	v_fmac_f32_e32 v162, v137, v100
	v_fmac_f32_e32 v164, v141, v104
	v_dual_add_f32 v70, v70, v71 :: v_dual_mul_f32 v71, v141, v105
	v_add_f32_e32 v68, v68, v155
	v_fma_f32 v72, v138, v102, -v72
	s_delay_alu instid0(VALU_DEP_3) | instskip(NEXT) | instid1(VALU_DEP_3)
	v_dual_add_f32 v70, v70, v73 :: v_dual_mul_f32 v73, v147, v143
	v_add_f32_e32 v68, v68, v156
	v_fma_f32 v71, v140, v104, -v71
	s_delay_alu instid0(VALU_DEP_3) | instskip(NEXT) | instid1(VALU_DEP_4)
	v_add_f32_e32 v70, v70, v72
	v_fma_f32 v72, v146, v142, -v73
	s_delay_alu instid0(VALU_DEP_4) | instskip(NEXT) | instid1(VALU_DEP_3)
	v_add_f32_e32 v68, v68, v157
	v_add_f32_e32 v70, v70, v71
	s_delay_alu instid0(VALU_DEP_2) | instskip(NEXT) | instid1(VALU_DEP_2)
	v_add_f32_e32 v68, v68, v158
	v_add_f32_e32 v70, v70, v72
	s_delay_alu instid0(VALU_DEP_2) | instskip(SKIP_1) | instid1(VALU_DEP_2)
	v_add_f32_e32 v68, v68, v159
	s_wait_loadcnt 0x0
	v_sub_f32_e32 v70, v144, v70
	s_delay_alu instid0(VALU_DEP_2) | instskip(NEXT) | instid1(VALU_DEP_1)
	v_add_f32_e32 v68, v68, v160
	v_add_f32_e32 v68, v68, v161
	s_delay_alu instid0(VALU_DEP_1) | instskip(NEXT) | instid1(VALU_DEP_1)
	v_add_f32_e32 v68, v68, v162
	v_add_f32_e32 v68, v68, v163
	s_delay_alu instid0(VALU_DEP_1) | instskip(NEXT) | instid1(VALU_DEP_1)
	v_add_f32_e32 v68, v68, v164
	v_add_f32_e32 v68, v68, v165
	s_delay_alu instid0(VALU_DEP_1)
	v_sub_f32_e32 v71, v145, v68
	scratch_store_b64 off, v[70:71], off offset:104
	v_cmpx_lt_u32_e32 12, v0
	s_cbranch_execz .LBB96_187
; %bb.186:
	scratch_load_b64 v[70:71], off, off offset:96
	v_mov_b32_e32 v68, v67
	scratch_store_b64 off, v[67:68], off offset:96
	s_wait_loadcnt 0x0
	ds_store_b64 v69, v[70:71]
.LBB96_187:
	s_wait_alu 0xfffe
	s_or_b32 exec_lo, exec_lo, s0
	s_wait_storecnt_dscnt 0x0
	s_barrier_signal -1
	s_barrier_wait -1
	global_inv scope:SCOPE_SE
	s_clause 0xa
	scratch_load_b128 v[70:73], off, off offset:104
	scratch_load_b128 v[74:77], off, off offset:120
	;; [unrolled: 1-line block ×10, first 2 shown]
	scratch_load_b64 v[150:151], off, off offset:96
	ds_load_2addr_b64 v[110:113], v67 offset0:47 offset1:48
	ds_load_2addr_b64 v[114:117], v67 offset0:49 offset1:50
	ds_load_2addr_b64 v[118:121], v67 offset0:51 offset1:52
	ds_load_2addr_b64 v[122:125], v67 offset0:53 offset1:54
	ds_load_2addr_b64 v[126:129], v67 offset0:55 offset1:56
	ds_load_2addr_b64 v[130:133], v67 offset0:57 offset1:58
	ds_load_2addr_b64 v[134:137], v67 offset0:59 offset1:60
	ds_load_2addr_b64 v[138:141], v67 offset0:61 offset1:62
	ds_load_2addr_b64 v[142:145], v67 offset0:63 offset1:64
	ds_load_2addr_b64 v[146:149], v67 offset0:65 offset1:66
	s_mov_b32 s0, exec_lo
	s_wait_loadcnt_dscnt 0xa09
	v_dual_mul_f32 v67, v110, v71 :: v_dual_mul_f32 v68, v112, v73
	v_mul_f32_e32 v71, v111, v71
	s_wait_loadcnt_dscnt 0x908
	v_dual_mul_f32 v73, v113, v73 :: v_dual_mul_f32 v152, v114, v75
	s_delay_alu instid0(VALU_DEP_3) | instskip(NEXT) | instid1(VALU_DEP_3)
	v_dual_mul_f32 v153, v116, v77 :: v_dual_fmac_f32 v68, v113, v72
	v_fma_f32 v71, v110, v70, -v71
	v_fmac_f32_e32 v67, v111, v70
	v_mul_f32_e32 v70, v115, v75
	v_fma_f32 v72, v112, v72, -v73
	v_mul_f32_e32 v73, v117, v77
	v_dual_add_f32 v71, 0, v71 :: v_dual_fmac_f32 v152, v115, v74
	s_delay_alu instid0(VALU_DEP_4) | instskip(SKIP_2) | instid1(VALU_DEP_3)
	v_fma_f32 v70, v114, v74, -v70
	s_wait_loadcnt_dscnt 0x807
	v_dual_mul_f32 v154, v118, v79 :: v_dual_mul_f32 v155, v120, v81
	v_add_f32_e32 v71, v71, v72
	v_fmac_f32_e32 v153, v117, v76
	v_fma_f32 v72, v116, v76, -v73
	s_wait_loadcnt_dscnt 0x706
	v_dual_mul_f32 v156, v122, v83 :: v_dual_mul_f32 v157, v124, v85
	v_dual_add_f32 v70, v71, v70 :: v_dual_mul_f32 v71, v121, v81
	v_fmac_f32_e32 v154, v119, v78
	s_wait_loadcnt_dscnt 0x605
	v_dual_mul_f32 v158, v126, v87 :: v_dual_mul_f32 v159, v128, v89
	s_delay_alu instid0(VALU_DEP_3) | instskip(SKIP_3) | instid1(VALU_DEP_4)
	v_dual_add_f32 v70, v70, v72 :: v_dual_add_f32 v67, 0, v67
	v_mul_f32_e32 v72, v123, v83
	v_fma_f32 v71, v120, v80, -v71
	v_dual_fmac_f32 v155, v121, v80 :: v_dual_fmac_f32 v156, v123, v82
	v_add_f32_e32 v67, v67, v68
	v_mul_f32_e32 v68, v119, v79
	v_fma_f32 v72, v122, v82, -v72
	v_dual_fmac_f32 v157, v125, v84 :: v_dual_fmac_f32 v158, v127, v86
	s_wait_loadcnt_dscnt 0x504
	v_dual_mul_f32 v160, v130, v91 :: v_dual_mul_f32 v161, v132, v93
	v_fma_f32 v68, v118, v78, -v68
	s_wait_loadcnt_dscnt 0x403
	v_dual_mul_f32 v162, v134, v95 :: v_dual_mul_f32 v163, v136, v97
	s_wait_loadcnt_dscnt 0x302
	v_dual_mul_f32 v164, v138, v99 :: v_dual_mul_f32 v165, v140, v101
	v_add_f32_e32 v68, v70, v68
	v_mul_f32_e32 v70, v125, v85
	v_dual_fmac_f32 v162, v135, v94 :: v_dual_fmac_f32 v163, v137, v96
	s_delay_alu instid0(VALU_DEP_4) | instskip(NEXT) | instid1(VALU_DEP_4)
	v_dual_fmac_f32 v164, v139, v98 :: v_dual_fmac_f32 v165, v141, v100
	v_dual_add_f32 v68, v68, v71 :: v_dual_add_f32 v67, v67, v152
	v_mul_f32_e32 v71, v127, v87
	v_fma_f32 v70, v124, v84, -v70
	v_fmac_f32_e32 v159, v129, v88
	s_delay_alu instid0(VALU_DEP_4)
	v_add_f32_e32 v68, v68, v72
	v_mul_f32_e32 v72, v129, v89
	v_add_f32_e32 v67, v67, v153
	v_fma_f32 v71, v126, v86, -v71
	v_fmac_f32_e32 v160, v131, v90
	v_add_f32_e32 v68, v68, v70
	v_mul_f32_e32 v70, v131, v91
	v_add_f32_e32 v67, v67, v154
	v_fma_f32 v72, v128, v88, -v72
	s_delay_alu instid0(VALU_DEP_4) | instskip(SKIP_1) | instid1(VALU_DEP_4)
	v_dual_fmac_f32 v161, v133, v92 :: v_dual_add_f32 v68, v68, v71
	v_mul_f32_e32 v71, v133, v93
	v_add_f32_e32 v67, v67, v155
	v_fma_f32 v70, v130, v90, -v70
	s_wait_loadcnt_dscnt 0x201
	v_dual_mul_f32 v166, v142, v103 :: v_dual_mul_f32 v167, v144, v105
	v_add_f32_e32 v68, v68, v72
	v_add_f32_e32 v67, v67, v156
	v_fma_f32 v71, v132, v92, -v71
	v_mul_f32_e32 v72, v135, v95
	s_wait_loadcnt_dscnt 0x100
	v_dual_mul_f32 v168, v146, v107 :: v_dual_mul_f32 v169, v148, v109
	v_dual_add_f32 v68, v68, v70 :: v_dual_add_f32 v67, v67, v157
	v_mul_f32_e32 v70, v137, v97
	v_fma_f32 v72, v134, v94, -v72
	v_dual_fmac_f32 v166, v143, v102 :: v_dual_fmac_f32 v167, v145, v104
	s_delay_alu instid0(VALU_DEP_4) | instskip(SKIP_3) | instid1(VALU_DEP_4)
	v_dual_add_f32 v68, v68, v71 :: v_dual_add_f32 v67, v67, v158
	v_mul_f32_e32 v71, v139, v99
	v_fma_f32 v70, v136, v96, -v70
	v_fmac_f32_e32 v169, v149, v108
	v_dual_add_f32 v68, v68, v72 :: v_dual_add_f32 v67, v67, v159
	v_mul_f32_e32 v72, v141, v101
	v_fma_f32 v71, v138, v98, -v71
	s_delay_alu instid0(VALU_DEP_3) | instskip(SKIP_1) | instid1(VALU_DEP_4)
	v_dual_add_f32 v68, v68, v70 :: v_dual_add_f32 v67, v67, v160
	v_mul_f32_e32 v70, v143, v103
	v_fma_f32 v72, v140, v100, -v72
	s_delay_alu instid0(VALU_DEP_3) | instskip(SKIP_1) | instid1(VALU_DEP_4)
	;; [unrolled: 4-line block ×4, first 2 shown]
	v_dual_add_f32 v68, v68, v70 :: v_dual_add_f32 v67, v67, v163
	v_mul_f32_e32 v70, v149, v109
	v_fma_f32 v72, v146, v106, -v72
	s_delay_alu instid0(VALU_DEP_3) | instskip(NEXT) | instid1(VALU_DEP_3)
	v_dual_add_f32 v68, v68, v71 :: v_dual_add_f32 v67, v67, v164
	v_fma_f32 v70, v148, v108, -v70
	s_delay_alu instid0(VALU_DEP_2) | instskip(NEXT) | instid1(VALU_DEP_1)
	v_dual_add_f32 v68, v68, v72 :: v_dual_add_f32 v67, v67, v165
	v_add_f32_e32 v68, v68, v70
	s_delay_alu instid0(VALU_DEP_2) | instskip(SKIP_1) | instid1(VALU_DEP_2)
	v_add_f32_e32 v67, v67, v166
	v_fmac_f32_e32 v168, v147, v106
	v_add_f32_e32 v67, v67, v167
	s_delay_alu instid0(VALU_DEP_1) | instskip(SKIP_1) | instid1(VALU_DEP_1)
	v_add_f32_e32 v67, v67, v168
	s_wait_loadcnt 0x0
	v_dual_add_f32 v70, v67, v169 :: v_dual_sub_f32 v67, v150, v68
	s_delay_alu instid0(VALU_DEP_1)
	v_sub_f32_e32 v68, v151, v70
	scratch_store_b64 off, v[67:68], off offset:96
	v_cmpx_lt_u32_e32 11, v0
	s_cbranch_execz .LBB96_189
; %bb.188:
	scratch_load_b64 v[67:68], off, off offset:88
	v_mov_b32_e32 v70, 0
	s_delay_alu instid0(VALU_DEP_1)
	v_mov_b32_e32 v71, v70
	scratch_store_b64 off, v[70:71], off offset:88
	s_wait_loadcnt 0x0
	ds_store_b64 v69, v[67:68]
.LBB96_189:
	s_wait_alu 0xfffe
	s_or_b32 exec_lo, exec_lo, s0
	s_wait_storecnt_dscnt 0x0
	s_barrier_signal -1
	s_barrier_wait -1
	global_inv scope:SCOPE_SE
	s_clause 0xb
	scratch_load_b128 v[70:73], off, off offset:96
	scratch_load_b128 v[74:77], off, off offset:112
	scratch_load_b128 v[78:81], off, off offset:128
	scratch_load_b128 v[82:85], off, off offset:144
	scratch_load_b128 v[86:89], off, off offset:160
	scratch_load_b128 v[90:93], off, off offset:176
	scratch_load_b128 v[94:97], off, off offset:192
	scratch_load_b128 v[98:101], off, off offset:208
	scratch_load_b128 v[102:105], off, off offset:224
	scratch_load_b128 v[106:109], off, off offset:240
	scratch_load_b64 v[150:151], off, off offset:256
	scratch_load_b64 v[152:153], off, off offset:88
	v_mov_b32_e32 v67, 0
	ds_load_b128 v[110:113], v67 offset:368
	ds_load_b128 v[114:117], v67 offset:384
	;; [unrolled: 1-line block ×10, first 2 shown]
	ds_load_b64 v[154:155], v67 offset:528
	s_mov_b32 s0, exec_lo
	s_wait_loadcnt_dscnt 0xb0a
	v_mul_f32_e32 v68, v110, v71
	s_wait_loadcnt_dscnt 0xa09
	v_dual_mul_f32 v156, v112, v73 :: v_dual_mul_f32 v157, v114, v75
	v_mul_f32_e32 v73, v113, v73
	v_dual_mul_f32 v71, v111, v71 :: v_dual_mul_f32 v158, v116, v77
	s_wait_loadcnt_dscnt 0x908
	v_dual_mul_f32 v159, v118, v79 :: v_dual_fmac_f32 v68, v111, v70
	s_wait_loadcnt_dscnt 0x302
	v_mul_f32_e32 v172, v144, v105
	v_fma_f32 v71, v110, v70, -v71
	s_wait_loadcnt_dscnt 0x100
	v_mul_f32_e32 v175, v154, v151
	v_mul_f32_e32 v70, v115, v75
	v_fmac_f32_e32 v156, v113, v72
	v_fma_f32 v72, v112, v72, -v73
	v_dual_add_f32 v71, 0, v71 :: v_dual_add_f32 v68, 0, v68
	v_mul_f32_e32 v73, v117, v77
	v_fmac_f32_e32 v157, v115, v74
	v_fma_f32 v70, v114, v74, -v70
	v_dual_mul_f32 v162, v124, v85 :: v_dual_mul_f32 v163, v126, v87
	v_add_f32_e32 v68, v68, v156
	v_add_f32_e32 v71, v71, v72
	v_mul_f32_e32 v72, v119, v79
	v_fma_f32 v73, v116, v76, -v73
	v_dual_mul_f32 v164, v128, v89 :: v_dual_mul_f32 v165, v130, v91
	v_add_f32_e32 v68, v68, v157
	v_dual_add_f32 v70, v71, v70 :: v_dual_mul_f32 v71, v121, v81
	v_fma_f32 v72, v118, v78, -v72
	v_dual_mul_f32 v166, v132, v93 :: v_dual_mul_f32 v167, v134, v95
	s_delay_alu instid0(VALU_DEP_3) | instskip(NEXT) | instid1(VALU_DEP_4)
	v_dual_add_f32 v70, v70, v73 :: v_dual_mul_f32 v73, v123, v83
	v_fma_f32 v71, v120, v80, -v71
	v_dual_fmac_f32 v158, v117, v76 :: v_dual_fmac_f32 v159, v119, v78
	s_delay_alu instid0(VALU_DEP_3) | instskip(SKIP_2) | instid1(VALU_DEP_3)
	v_dual_add_f32 v70, v70, v72 :: v_dual_fmac_f32 v163, v127, v86
	v_dual_mul_f32 v72, v125, v85 :: v_dual_fmac_f32 v165, v131, v90
	v_fma_f32 v73, v122, v82, -v73
	v_dual_add_f32 v70, v70, v71 :: v_dual_fmac_f32 v167, v135, v94
	v_dual_mul_f32 v168, v136, v97 :: v_dual_mul_f32 v169, v138, v99
	v_dual_add_f32 v68, v68, v158 :: v_dual_mul_f32 v71, v127, v87
	v_fma_f32 v72, v124, v84, -v72
	s_delay_alu instid0(VALU_DEP_3) | instskip(SKIP_1) | instid1(VALU_DEP_4)
	v_dual_add_f32 v70, v70, v73 :: v_dual_fmac_f32 v169, v139, v98
	v_mul_f32_e32 v73, v129, v89
	v_fma_f32 v71, v126, v86, -v71
	v_dual_mul_f32 v160, v120, v81 :: v_dual_mul_f32 v161, v122, v83
	s_delay_alu instid0(VALU_DEP_4) | instskip(SKIP_3) | instid1(VALU_DEP_3)
	v_add_f32_e32 v70, v70, v72
	v_dual_mul_f32 v173, v146, v107 :: v_dual_mul_f32 v174, v148, v109
	v_mul_f32_e32 v72, v131, v91
	v_fma_f32 v73, v128, v88, -v73
	v_dual_add_f32 v70, v70, v71 :: v_dual_fmac_f32 v173, v147, v106
	v_dual_fmac_f32 v160, v121, v80 :: v_dual_fmac_f32 v161, v123, v82
	v_dual_add_f32 v68, v68, v159 :: v_dual_mul_f32 v71, v133, v93
	v_fma_f32 v72, v130, v90, -v72
	s_delay_alu instid0(VALU_DEP_4) | instskip(NEXT) | instid1(VALU_DEP_3)
	v_dual_add_f32 v70, v70, v73 :: v_dual_mul_f32 v73, v135, v95
	v_add_f32_e32 v68, v68, v160
	s_delay_alu instid0(VALU_DEP_4) | instskip(SKIP_1) | instid1(VALU_DEP_4)
	v_fma_f32 v71, v132, v92, -v71
	v_dual_mul_f32 v170, v140, v101 :: v_dual_mul_f32 v171, v142, v103
	v_add_f32_e32 v70, v70, v72
	v_mul_f32_e32 v72, v137, v97
	v_fma_f32 v73, v134, v94, -v73
	v_fmac_f32_e32 v162, v125, v84
	v_dual_add_f32 v68, v68, v161 :: v_dual_fmac_f32 v171, v143, v102
	v_add_f32_e32 v70, v70, v71
	v_mul_f32_e32 v71, v139, v99
	v_fma_f32 v72, v136, v96, -v72
	s_delay_alu instid0(VALU_DEP_4)
	v_add_f32_e32 v68, v68, v162
	v_fmac_f32_e32 v164, v129, v88
	v_add_f32_e32 v70, v70, v73
	v_mul_f32_e32 v73, v141, v101
	v_fma_f32 v71, v138, v98, -v71
	v_dual_fmac_f32 v175, v155, v150 :: v_dual_fmac_f32 v166, v133, v92
	s_delay_alu instid0(VALU_DEP_4) | instskip(NEXT) | instid1(VALU_DEP_4)
	v_add_f32_e32 v70, v70, v72
	v_fma_f32 v73, v140, v100, -v73
	v_fmac_f32_e32 v168, v137, v96
	v_mul_f32_e32 v72, v143, v103
	v_fmac_f32_e32 v170, v141, v100
	v_dual_add_f32 v70, v70, v71 :: v_dual_mul_f32 v71, v145, v105
	v_add_f32_e32 v68, v68, v163
	s_delay_alu instid0(VALU_DEP_4) | instskip(SKIP_1) | instid1(VALU_DEP_4)
	v_fma_f32 v72, v142, v102, -v72
	v_fmac_f32_e32 v172, v145, v104
	v_dual_add_f32 v70, v70, v73 :: v_dual_mul_f32 v73, v147, v107
	s_delay_alu instid0(VALU_DEP_4) | instskip(SKIP_2) | instid1(VALU_DEP_4)
	v_add_f32_e32 v68, v68, v164
	v_fma_f32 v71, v144, v104, -v71
	v_fmac_f32_e32 v174, v149, v108
	v_add_f32_e32 v70, v70, v72
	v_mul_f32_e32 v72, v149, v109
	v_add_f32_e32 v68, v68, v165
	v_fma_f32 v73, v146, v106, -v73
	s_delay_alu instid0(VALU_DEP_4) | instskip(NEXT) | instid1(VALU_DEP_3)
	v_add_f32_e32 v70, v70, v71
	v_dual_mul_f32 v71, v155, v151 :: v_dual_add_f32 v68, v68, v166
	v_fma_f32 v72, v148, v108, -v72
	s_delay_alu instid0(VALU_DEP_3) | instskip(NEXT) | instid1(VALU_DEP_3)
	v_add_f32_e32 v70, v70, v73
	v_fma_f32 v71, v154, v150, -v71
	s_delay_alu instid0(VALU_DEP_4) | instskip(NEXT) | instid1(VALU_DEP_3)
	v_add_f32_e32 v68, v68, v167
	v_add_f32_e32 v70, v70, v72
	s_delay_alu instid0(VALU_DEP_2) | instskip(NEXT) | instid1(VALU_DEP_2)
	v_add_f32_e32 v68, v68, v168
	v_add_f32_e32 v70, v70, v71
	s_delay_alu instid0(VALU_DEP_2) | instskip(SKIP_1) | instid1(VALU_DEP_2)
	v_add_f32_e32 v68, v68, v169
	s_wait_loadcnt 0x0
	v_sub_f32_e32 v70, v152, v70
	s_delay_alu instid0(VALU_DEP_2) | instskip(NEXT) | instid1(VALU_DEP_1)
	v_add_f32_e32 v68, v68, v170
	v_add_f32_e32 v68, v68, v171
	s_delay_alu instid0(VALU_DEP_1) | instskip(NEXT) | instid1(VALU_DEP_1)
	v_add_f32_e32 v68, v68, v172
	v_add_f32_e32 v68, v68, v173
	s_delay_alu instid0(VALU_DEP_1) | instskip(NEXT) | instid1(VALU_DEP_1)
	v_add_f32_e32 v68, v68, v174
	v_add_f32_e32 v68, v68, v175
	s_delay_alu instid0(VALU_DEP_1)
	v_sub_f32_e32 v71, v153, v68
	scratch_store_b64 off, v[70:71], off offset:88
	v_cmpx_lt_u32_e32 10, v0
	s_cbranch_execz .LBB96_191
; %bb.190:
	scratch_load_b64 v[70:71], off, off offset:80
	v_mov_b32_e32 v68, v67
	scratch_store_b64 off, v[67:68], off offset:80
	s_wait_loadcnt 0x0
	ds_store_b64 v69, v[70:71]
.LBB96_191:
	s_wait_alu 0xfffe
	s_or_b32 exec_lo, exec_lo, s0
	s_wait_storecnt_dscnt 0x0
	s_barrier_signal -1
	s_barrier_wait -1
	global_inv scope:SCOPE_SE
	s_clause 0xb
	scratch_load_b128 v[70:73], off, off offset:88
	scratch_load_b128 v[74:77], off, off offset:104
	;; [unrolled: 1-line block ×11, first 2 shown]
	scratch_load_b64 v[158:159], off, off offset:80
	ds_load_2addr_b64 v[114:117], v67 offset0:45 offset1:46
	ds_load_2addr_b64 v[118:121], v67 offset0:47 offset1:48
	;; [unrolled: 1-line block ×11, first 2 shown]
	s_mov_b32 s0, exec_lo
	s_wait_loadcnt_dscnt 0xb0a
	v_dual_mul_f32 v67, v114, v71 :: v_dual_mul_f32 v68, v116, v73
	v_mul_f32_e32 v71, v115, v71
	s_wait_loadcnt_dscnt 0xa09
	v_dual_mul_f32 v73, v117, v73 :: v_dual_mul_f32 v160, v118, v75
	s_delay_alu instid0(VALU_DEP_3) | instskip(NEXT) | instid1(VALU_DEP_3)
	v_dual_mul_f32 v161, v120, v77 :: v_dual_fmac_f32 v68, v117, v72
	v_fma_f32 v71, v114, v70, -v71
	v_fmac_f32_e32 v67, v115, v70
	v_mul_f32_e32 v70, v119, v75
	v_fma_f32 v72, v116, v72, -v73
	v_mul_f32_e32 v73, v121, v77
	v_dual_add_f32 v71, 0, v71 :: v_dual_fmac_f32 v160, v119, v74
	s_delay_alu instid0(VALU_DEP_4) | instskip(SKIP_2) | instid1(VALU_DEP_3)
	v_fma_f32 v70, v118, v74, -v70
	s_wait_loadcnt_dscnt 0x908
	v_dual_mul_f32 v162, v122, v79 :: v_dual_mul_f32 v163, v124, v81
	v_add_f32_e32 v71, v71, v72
	v_fmac_f32_e32 v161, v121, v76
	v_fma_f32 v72, v120, v76, -v73
	s_wait_loadcnt_dscnt 0x807
	v_dual_mul_f32 v164, v126, v83 :: v_dual_mul_f32 v165, v128, v85
	v_dual_add_f32 v70, v71, v70 :: v_dual_mul_f32 v71, v125, v81
	v_fmac_f32_e32 v162, v123, v78
	s_wait_loadcnt_dscnt 0x706
	v_dual_mul_f32 v166, v130, v87 :: v_dual_mul_f32 v167, v132, v89
	s_delay_alu instid0(VALU_DEP_3) | instskip(SKIP_3) | instid1(VALU_DEP_4)
	v_dual_add_f32 v70, v70, v72 :: v_dual_add_f32 v67, 0, v67
	v_mul_f32_e32 v72, v127, v83
	v_fma_f32 v71, v124, v80, -v71
	v_dual_fmac_f32 v163, v125, v80 :: v_dual_fmac_f32 v164, v127, v82
	v_add_f32_e32 v67, v67, v68
	v_mul_f32_e32 v68, v123, v79
	v_fma_f32 v72, v126, v82, -v72
	v_dual_fmac_f32 v165, v129, v84 :: v_dual_fmac_f32 v166, v131, v86
	s_wait_loadcnt_dscnt 0x605
	v_dual_mul_f32 v168, v134, v91 :: v_dual_mul_f32 v169, v136, v93
	v_fma_f32 v68, v122, v78, -v68
	s_wait_loadcnt_dscnt 0x504
	v_dual_mul_f32 v170, v138, v95 :: v_dual_mul_f32 v171, v140, v97
	s_wait_loadcnt_dscnt 0x403
	v_dual_mul_f32 v172, v142, v99 :: v_dual_mul_f32 v173, v144, v101
	v_add_f32_e32 v68, v70, v68
	v_mul_f32_e32 v70, v129, v85
	v_dual_fmac_f32 v170, v139, v94 :: v_dual_fmac_f32 v171, v141, v96
	s_delay_alu instid0(VALU_DEP_4) | instskip(NEXT) | instid1(VALU_DEP_4)
	v_dual_fmac_f32 v172, v143, v98 :: v_dual_fmac_f32 v173, v145, v100
	v_dual_add_f32 v68, v68, v71 :: v_dual_add_f32 v67, v67, v160
	v_mul_f32_e32 v71, v131, v87
	v_fma_f32 v70, v128, v84, -v70
	v_fmac_f32_e32 v167, v133, v88
	s_delay_alu instid0(VALU_DEP_4)
	v_add_f32_e32 v68, v68, v72
	v_mul_f32_e32 v72, v133, v89
	v_add_f32_e32 v67, v67, v161
	v_fma_f32 v71, v130, v86, -v71
	v_fmac_f32_e32 v168, v135, v90
	v_add_f32_e32 v68, v68, v70
	v_mul_f32_e32 v70, v135, v91
	v_add_f32_e32 v67, v67, v162
	v_fma_f32 v72, v132, v88, -v72
	s_delay_alu instid0(VALU_DEP_4) | instskip(SKIP_1) | instid1(VALU_DEP_4)
	v_dual_fmac_f32 v169, v137, v92 :: v_dual_add_f32 v68, v68, v71
	v_mul_f32_e32 v71, v137, v93
	v_add_f32_e32 v67, v67, v163
	v_fma_f32 v70, v134, v90, -v70
	s_wait_loadcnt_dscnt 0x302
	v_dual_mul_f32 v174, v146, v103 :: v_dual_mul_f32 v175, v148, v105
	v_add_f32_e32 v68, v68, v72
	v_add_f32_e32 v67, v67, v164
	v_fma_f32 v71, v136, v92, -v71
	v_mul_f32_e32 v72, v139, v95
	s_wait_loadcnt_dscnt 0x201
	v_dual_mul_f32 v176, v150, v107 :: v_dual_mul_f32 v177, v152, v109
	v_dual_add_f32 v68, v68, v70 :: v_dual_add_f32 v67, v67, v165
	v_mul_f32_e32 v70, v141, v97
	v_fma_f32 v72, v138, v94, -v72
	v_dual_fmac_f32 v174, v147, v102 :: v_dual_fmac_f32 v175, v149, v104
	s_delay_alu instid0(VALU_DEP_4)
	v_dual_add_f32 v68, v68, v71 :: v_dual_add_f32 v67, v67, v166
	v_mul_f32_e32 v71, v143, v99
	v_fma_f32 v70, v140, v96, -v70
	s_wait_loadcnt_dscnt 0x100
	v_dual_mul_f32 v178, v154, v111 :: v_dual_mul_f32 v179, v156, v113
	v_dual_add_f32 v67, v67, v167 :: v_dual_add_f32 v68, v68, v72
	v_mul_f32_e32 v72, v145, v101
	v_fma_f32 v71, v142, v98, -v71
	s_delay_alu instid0(VALU_DEP_4) | instskip(NEXT) | instid1(VALU_DEP_4)
	v_dual_fmac_f32 v176, v151, v106 :: v_dual_fmac_f32 v179, v157, v112
	v_dual_add_f32 v67, v67, v168 :: v_dual_add_f32 v68, v68, v70
	v_mul_f32_e32 v70, v147, v103
	v_fma_f32 v72, v144, v100, -v72
	v_fmac_f32_e32 v177, v153, v108
	s_delay_alu instid0(VALU_DEP_4) | instskip(SKIP_2) | instid1(VALU_DEP_3)
	v_dual_add_f32 v67, v67, v169 :: v_dual_add_f32 v68, v68, v71
	v_mul_f32_e32 v71, v149, v105
	v_fma_f32 v70, v146, v102, -v70
	v_dual_add_f32 v67, v67, v170 :: v_dual_add_f32 v68, v68, v72
	v_mul_f32_e32 v72, v151, v107
	s_delay_alu instid0(VALU_DEP_4) | instskip(NEXT) | instid1(VALU_DEP_3)
	v_fma_f32 v71, v148, v104, -v71
	v_dual_add_f32 v67, v67, v171 :: v_dual_add_f32 v68, v68, v70
	v_mul_f32_e32 v70, v153, v109
	s_delay_alu instid0(VALU_DEP_4) | instskip(NEXT) | instid1(VALU_DEP_3)
	;; [unrolled: 4-line block ×4, first 2 shown]
	v_fma_f32 v71, v154, v110, -v71
	v_add_f32_e32 v67, v67, v174
	s_delay_alu instid0(VALU_DEP_4) | instskip(NEXT) | instid1(VALU_DEP_4)
	v_add_f32_e32 v68, v68, v70
	v_fma_f32 v70, v156, v112, -v72
	s_delay_alu instid0(VALU_DEP_3) | instskip(NEXT) | instid1(VALU_DEP_1)
	v_add_f32_e32 v67, v67, v175
	v_dual_add_f32 v68, v68, v71 :: v_dual_add_f32 v67, v67, v176
	s_delay_alu instid0(VALU_DEP_1) | instskip(SKIP_1) | instid1(VALU_DEP_3)
	v_add_f32_e32 v68, v68, v70
	v_fmac_f32_e32 v178, v155, v110
	v_add_f32_e32 v67, v67, v177
	s_delay_alu instid0(VALU_DEP_1) | instskip(SKIP_1) | instid1(VALU_DEP_1)
	v_add_f32_e32 v67, v67, v178
	s_wait_loadcnt 0x0
	v_dual_add_f32 v70, v67, v179 :: v_dual_sub_f32 v67, v158, v68
	s_delay_alu instid0(VALU_DEP_1)
	v_sub_f32_e32 v68, v159, v70
	scratch_store_b64 off, v[67:68], off offset:80
	v_cmpx_lt_u32_e32 9, v0
	s_cbranch_execz .LBB96_193
; %bb.192:
	scratch_load_b64 v[67:68], off, off offset:72
	v_mov_b32_e32 v70, 0
	s_delay_alu instid0(VALU_DEP_1)
	v_mov_b32_e32 v71, v70
	scratch_store_b64 off, v[70:71], off offset:72
	s_wait_loadcnt 0x0
	ds_store_b64 v69, v[67:68]
.LBB96_193:
	s_wait_alu 0xfffe
	s_or_b32 exec_lo, exec_lo, s0
	s_wait_storecnt_dscnt 0x0
	s_barrier_signal -1
	s_barrier_wait -1
	global_inv scope:SCOPE_SE
	s_clause 0xc
	scratch_load_b128 v[70:73], off, off offset:80
	scratch_load_b128 v[74:77], off, off offset:96
	;; [unrolled: 1-line block ×11, first 2 shown]
	scratch_load_b64 v[158:159], off, off offset:256
	scratch_load_b64 v[160:161], off, off offset:72
	v_mov_b32_e32 v67, 0
	ds_load_b128 v[114:117], v67 offset:352
	ds_load_b128 v[118:121], v67 offset:368
	;; [unrolled: 1-line block ×11, first 2 shown]
	ds_load_b64 v[162:163], v67 offset:528
	s_mov_b32 s0, exec_lo
	s_wait_loadcnt_dscnt 0xc0b
	v_mul_f32_e32 v68, v114, v71
	s_wait_loadcnt_dscnt 0xb0a
	v_dual_mul_f32 v164, v116, v73 :: v_dual_mul_f32 v165, v118, v75
	v_mul_f32_e32 v73, v117, v73
	s_wait_loadcnt_dscnt 0xa09
	v_dual_mul_f32 v166, v120, v77 :: v_dual_mul_f32 v167, v122, v79
	v_mul_f32_e32 v71, v115, v71
	v_fmac_f32_e32 v68, v115, v70
	s_wait_loadcnt_dscnt 0x807
	v_dual_mul_f32 v170, v128, v85 :: v_dual_mul_f32 v171, v130, v87
	s_wait_loadcnt_dscnt 0x100
	v_dual_mul_f32 v182, v152, v109 :: v_dual_mul_f32 v185, v162, v159
	v_fma_f32 v71, v114, v70, -v71
	v_mul_f32_e32 v70, v119, v75
	v_fmac_f32_e32 v164, v117, v72
	v_fma_f32 v72, v116, v72, -v73
	v_dual_add_f32 v68, 0, v68 :: v_dual_mul_f32 v73, v121, v77
	v_add_f32_e32 v71, 0, v71
	v_fmac_f32_e32 v165, v119, v74
	v_fma_f32 v70, v118, v74, -v70
	s_delay_alu instid0(VALU_DEP_4)
	v_add_f32_e32 v68, v68, v164
	v_fma_f32 v73, v120, v76, -v73
	v_add_f32_e32 v71, v71, v72
	v_mul_f32_e32 v72, v123, v79
	v_dual_mul_f32 v172, v132, v89 :: v_dual_mul_f32 v173, v134, v91
	v_add_f32_e32 v68, v68, v165
	s_delay_alu instid0(VALU_DEP_4) | instskip(NEXT) | instid1(VALU_DEP_4)
	v_dual_add_f32 v70, v71, v70 :: v_dual_mul_f32 v71, v125, v81
	v_fma_f32 v72, v122, v78, -v72
	v_dual_mul_f32 v174, v136, v93 :: v_dual_mul_f32 v175, v138, v95
	s_delay_alu instid0(VALU_DEP_3) | instskip(NEXT) | instid1(VALU_DEP_4)
	v_dual_add_f32 v70, v70, v73 :: v_dual_mul_f32 v73, v127, v83
	v_fma_f32 v71, v124, v80, -v71
	v_dual_fmac_f32 v166, v121, v76 :: v_dual_fmac_f32 v167, v123, v78
	s_delay_alu instid0(VALU_DEP_3) | instskip(SKIP_2) | instid1(VALU_DEP_3)
	v_dual_add_f32 v70, v70, v72 :: v_dual_fmac_f32 v171, v131, v86
	v_dual_mul_f32 v72, v129, v85 :: v_dual_fmac_f32 v173, v135, v90
	v_fma_f32 v73, v126, v82, -v73
	v_dual_add_f32 v70, v70, v71 :: v_dual_fmac_f32 v175, v139, v94
	v_dual_mul_f32 v176, v140, v97 :: v_dual_mul_f32 v177, v142, v99
	v_dual_add_f32 v68, v68, v166 :: v_dual_mul_f32 v71, v131, v87
	v_fma_f32 v72, v128, v84, -v72
	s_delay_alu instid0(VALU_DEP_3) | instskip(SKIP_1) | instid1(VALU_DEP_4)
	v_dual_add_f32 v70, v70, v73 :: v_dual_fmac_f32 v177, v143, v98
	v_mul_f32_e32 v73, v133, v89
	v_fma_f32 v71, v130, v86, -v71
	v_dual_mul_f32 v168, v124, v81 :: v_dual_mul_f32 v169, v126, v83
	s_delay_alu instid0(VALU_DEP_4) | instskip(SKIP_3) | instid1(VALU_DEP_4)
	v_add_f32_e32 v70, v70, v72
	v_dual_mul_f32 v180, v148, v105 :: v_dual_mul_f32 v181, v150, v107
	v_mul_f32_e32 v72, v135, v91
	v_fma_f32 v73, v132, v88, -v73
	v_add_f32_e32 v70, v70, v71
	v_dual_fmac_f32 v168, v125, v80 :: v_dual_fmac_f32 v169, v127, v82
	v_dual_add_f32 v68, v68, v167 :: v_dual_mul_f32 v71, v137, v93
	v_fma_f32 v72, v134, v90, -v72
	s_delay_alu instid0(VALU_DEP_4) | instskip(NEXT) | instid1(VALU_DEP_3)
	v_dual_fmac_f32 v181, v151, v106 :: v_dual_add_f32 v70, v70, v73
	v_dual_add_f32 v68, v68, v168 :: v_dual_mul_f32 v73, v139, v95
	s_delay_alu instid0(VALU_DEP_4) | instskip(SKIP_1) | instid1(VALU_DEP_4)
	v_fma_f32 v71, v136, v92, -v71
	v_dual_mul_f32 v178, v144, v101 :: v_dual_mul_f32 v179, v146, v103
	v_add_f32_e32 v70, v70, v72
	v_mul_f32_e32 v72, v141, v97
	v_fma_f32 v73, v138, v94, -v73
	v_fmac_f32_e32 v170, v129, v84
	v_dual_add_f32 v68, v68, v169 :: v_dual_fmac_f32 v179, v147, v102
	v_add_f32_e32 v70, v70, v71
	v_mul_f32_e32 v71, v143, v99
	v_fma_f32 v72, v140, v96, -v72
	s_delay_alu instid0(VALU_DEP_4)
	v_dual_add_f32 v68, v68, v170 :: v_dual_mul_f32 v183, v154, v111
	v_mul_f32_e32 v184, v156, v113
	v_add_f32_e32 v70, v70, v73
	v_mul_f32_e32 v73, v145, v101
	v_fma_f32 v71, v142, v98, -v71
	v_dual_fmac_f32 v172, v133, v88 :: v_dual_fmac_f32 v183, v155, v110
	s_delay_alu instid0(VALU_DEP_4) | instskip(NEXT) | instid1(VALU_DEP_4)
	v_add_f32_e32 v70, v70, v72
	v_fma_f32 v73, v144, v100, -v73
	v_dual_fmac_f32 v174, v137, v92 :: v_dual_fmac_f32 v185, v163, v158
	v_fmac_f32_e32 v176, v141, v96
	s_delay_alu instid0(VALU_DEP_4) | instskip(SKIP_3) | instid1(VALU_DEP_4)
	v_dual_add_f32 v70, v70, v71 :: v_dual_mul_f32 v71, v149, v105
	v_add_f32_e32 v68, v68, v171
	v_mul_f32_e32 v72, v147, v103
	v_fmac_f32_e32 v178, v145, v100
	v_dual_add_f32 v70, v70, v73 :: v_dual_mul_f32 v73, v151, v107
	s_delay_alu instid0(VALU_DEP_4) | instskip(NEXT) | instid1(VALU_DEP_4)
	v_add_f32_e32 v68, v68, v172
	v_fma_f32 v72, v146, v102, -v72
	v_fmac_f32_e32 v180, v149, v104
	v_fma_f32 v71, v148, v104, -v71
	v_fma_f32 v73, v150, v106, -v73
	v_add_f32_e32 v68, v68, v173
	v_add_f32_e32 v70, v70, v72
	v_mul_f32_e32 v72, v153, v109
	v_fmac_f32_e32 v182, v153, v108
	v_fmac_f32_e32 v184, v157, v112
	v_add_f32_e32 v68, v68, v174
	v_add_f32_e32 v70, v70, v71
	v_mul_f32_e32 v71, v155, v111
	v_fma_f32 v72, v152, v108, -v72
	s_delay_alu instid0(VALU_DEP_4) | instskip(NEXT) | instid1(VALU_DEP_4)
	v_add_f32_e32 v68, v68, v175
	v_add_f32_e32 v70, v70, v73
	v_mul_f32_e32 v73, v157, v113
	v_fma_f32 v71, v154, v110, -v71
	s_delay_alu instid0(VALU_DEP_4) | instskip(NEXT) | instid1(VALU_DEP_4)
	;; [unrolled: 5-line block ×3, first 2 shown]
	v_add_f32_e32 v68, v68, v177
	v_add_f32_e32 v70, v70, v71
	s_delay_alu instid0(VALU_DEP_4) | instskip(NEXT) | instid1(VALU_DEP_3)
	v_fma_f32 v71, v162, v158, -v72
	v_add_f32_e32 v68, v68, v178
	s_delay_alu instid0(VALU_DEP_3) | instskip(NEXT) | instid1(VALU_DEP_2)
	v_add_f32_e32 v70, v70, v73
	v_add_f32_e32 v68, v68, v179
	s_delay_alu instid0(VALU_DEP_2) | instskip(NEXT) | instid1(VALU_DEP_2)
	v_add_f32_e32 v70, v70, v71
	v_add_f32_e32 v68, v68, v180
	s_wait_loadcnt 0x0
	s_delay_alu instid0(VALU_DEP_2) | instskip(NEXT) | instid1(VALU_DEP_2)
	v_sub_f32_e32 v70, v160, v70
	v_add_f32_e32 v68, v68, v181
	s_delay_alu instid0(VALU_DEP_1) | instskip(NEXT) | instid1(VALU_DEP_1)
	v_add_f32_e32 v68, v68, v182
	v_add_f32_e32 v68, v68, v183
	s_delay_alu instid0(VALU_DEP_1) | instskip(NEXT) | instid1(VALU_DEP_1)
	v_add_f32_e32 v68, v68, v184
	v_add_f32_e32 v68, v68, v185
	s_delay_alu instid0(VALU_DEP_1)
	v_sub_f32_e32 v71, v161, v68
	scratch_store_b64 off, v[70:71], off offset:72
	v_cmpx_lt_u32_e32 8, v0
	s_cbranch_execz .LBB96_195
; %bb.194:
	scratch_load_b64 v[70:71], off, off offset:64
	v_mov_b32_e32 v68, v67
	scratch_store_b64 off, v[67:68], off offset:64
	s_wait_loadcnt 0x0
	ds_store_b64 v69, v[70:71]
.LBB96_195:
	s_wait_alu 0xfffe
	s_or_b32 exec_lo, exec_lo, s0
	s_wait_storecnt_dscnt 0x0
	s_barrier_signal -1
	s_barrier_wait -1
	global_inv scope:SCOPE_SE
	s_clause 0xc
	scratch_load_b128 v[70:73], off, off offset:72
	scratch_load_b128 v[74:77], off, off offset:88
	;; [unrolled: 1-line block ×12, first 2 shown]
	scratch_load_b64 v[166:167], off, off offset:64
	ds_load_2addr_b64 v[118:121], v67 offset0:43 offset1:44
	ds_load_2addr_b64 v[122:125], v67 offset0:45 offset1:46
	;; [unrolled: 1-line block ×12, first 2 shown]
	s_mov_b32 s0, exec_lo
	s_wait_loadcnt_dscnt 0xc0b
	v_dual_mul_f32 v67, v118, v71 :: v_dual_mul_f32 v68, v120, v73
	v_mul_f32_e32 v71, v119, v71
	s_wait_loadcnt_dscnt 0xb0a
	v_dual_mul_f32 v73, v121, v73 :: v_dual_mul_f32 v168, v122, v75
	s_delay_alu instid0(VALU_DEP_3) | instskip(NEXT) | instid1(VALU_DEP_3)
	v_dual_mul_f32 v169, v124, v77 :: v_dual_fmac_f32 v68, v121, v72
	v_fma_f32 v71, v118, v70, -v71
	v_fmac_f32_e32 v67, v119, v70
	v_mul_f32_e32 v70, v123, v75
	v_fma_f32 v72, v120, v72, -v73
	v_mul_f32_e32 v73, v125, v77
	v_dual_add_f32 v71, 0, v71 :: v_dual_fmac_f32 v168, v123, v74
	s_delay_alu instid0(VALU_DEP_4) | instskip(SKIP_2) | instid1(VALU_DEP_3)
	v_fma_f32 v70, v122, v74, -v70
	s_wait_loadcnt_dscnt 0xa09
	v_dual_mul_f32 v170, v126, v79 :: v_dual_mul_f32 v171, v128, v81
	v_add_f32_e32 v71, v71, v72
	v_fmac_f32_e32 v169, v125, v76
	v_fma_f32 v72, v124, v76, -v73
	s_wait_loadcnt_dscnt 0x908
	v_dual_mul_f32 v172, v130, v83 :: v_dual_mul_f32 v173, v132, v85
	v_dual_add_f32 v70, v71, v70 :: v_dual_mul_f32 v71, v129, v81
	v_fmac_f32_e32 v170, v127, v78
	s_wait_loadcnt_dscnt 0x807
	v_dual_mul_f32 v174, v134, v87 :: v_dual_mul_f32 v175, v136, v89
	s_delay_alu instid0(VALU_DEP_3) | instskip(SKIP_3) | instid1(VALU_DEP_4)
	v_dual_add_f32 v70, v70, v72 :: v_dual_add_f32 v67, 0, v67
	v_mul_f32_e32 v72, v131, v83
	v_fma_f32 v71, v128, v80, -v71
	v_dual_fmac_f32 v171, v129, v80 :: v_dual_fmac_f32 v172, v131, v82
	v_add_f32_e32 v67, v67, v68
	v_mul_f32_e32 v68, v127, v79
	v_fma_f32 v72, v130, v82, -v72
	v_dual_fmac_f32 v173, v133, v84 :: v_dual_fmac_f32 v174, v135, v86
	s_wait_loadcnt_dscnt 0x706
	v_dual_mul_f32 v176, v138, v91 :: v_dual_mul_f32 v177, v140, v93
	v_fma_f32 v68, v126, v78, -v68
	s_wait_loadcnt_dscnt 0x605
	v_dual_mul_f32 v178, v142, v95 :: v_dual_mul_f32 v179, v144, v97
	s_wait_loadcnt_dscnt 0x504
	v_dual_mul_f32 v180, v146, v99 :: v_dual_mul_f32 v181, v148, v101
	v_add_f32_e32 v68, v70, v68
	v_mul_f32_e32 v70, v133, v85
	v_dual_fmac_f32 v178, v143, v94 :: v_dual_fmac_f32 v179, v145, v96
	s_delay_alu instid0(VALU_DEP_4) | instskip(NEXT) | instid1(VALU_DEP_4)
	v_dual_fmac_f32 v180, v147, v98 :: v_dual_fmac_f32 v181, v149, v100
	v_dual_add_f32 v68, v68, v71 :: v_dual_add_f32 v67, v67, v168
	v_mul_f32_e32 v71, v135, v87
	v_fma_f32 v70, v132, v84, -v70
	v_fmac_f32_e32 v175, v137, v88
	s_delay_alu instid0(VALU_DEP_4)
	v_add_f32_e32 v68, v68, v72
	v_mul_f32_e32 v72, v137, v89
	v_add_f32_e32 v67, v67, v169
	v_fma_f32 v71, v134, v86, -v71
	v_fmac_f32_e32 v176, v139, v90
	v_add_f32_e32 v68, v68, v70
	v_mul_f32_e32 v70, v139, v91
	v_add_f32_e32 v67, v67, v170
	v_fma_f32 v72, v136, v88, -v72
	s_delay_alu instid0(VALU_DEP_4) | instskip(SKIP_1) | instid1(VALU_DEP_4)
	v_dual_fmac_f32 v177, v141, v92 :: v_dual_add_f32 v68, v68, v71
	v_mul_f32_e32 v71, v141, v93
	v_add_f32_e32 v67, v67, v171
	v_fma_f32 v70, v138, v90, -v70
	s_wait_loadcnt_dscnt 0x403
	v_dual_mul_f32 v182, v150, v103 :: v_dual_mul_f32 v183, v152, v105
	v_add_f32_e32 v68, v68, v72
	v_add_f32_e32 v67, v67, v172
	v_fma_f32 v71, v140, v92, -v71
	v_mul_f32_e32 v72, v143, v95
	s_wait_loadcnt_dscnt 0x302
	v_dual_mul_f32 v184, v154, v107 :: v_dual_mul_f32 v185, v156, v109
	v_dual_add_f32 v68, v68, v70 :: v_dual_add_f32 v67, v67, v173
	v_mul_f32_e32 v70, v145, v97
	v_fma_f32 v72, v142, v94, -v72
	v_dual_fmac_f32 v182, v151, v102 :: v_dual_fmac_f32 v183, v153, v104
	s_delay_alu instid0(VALU_DEP_4)
	v_dual_add_f32 v68, v68, v71 :: v_dual_add_f32 v67, v67, v174
	v_mul_f32_e32 v71, v147, v99
	v_fma_f32 v70, v144, v96, -v70
	s_wait_loadcnt_dscnt 0x201
	v_dual_mul_f32 v186, v158, v111 :: v_dual_mul_f32 v187, v160, v113
	v_dual_add_f32 v67, v67, v175 :: v_dual_add_f32 v68, v68, v72
	v_mul_f32_e32 v72, v149, v101
	v_fma_f32 v71, v146, v98, -v71
	s_delay_alu instid0(VALU_DEP_4) | instskip(NEXT) | instid1(VALU_DEP_4)
	v_dual_fmac_f32 v184, v155, v106 :: v_dual_fmac_f32 v187, v161, v112
	v_dual_add_f32 v67, v67, v176 :: v_dual_add_f32 v68, v68, v70
	v_mul_f32_e32 v70, v151, v103
	v_fma_f32 v72, v148, v100, -v72
	v_fmac_f32_e32 v185, v157, v108
	s_delay_alu instid0(VALU_DEP_4)
	v_dual_add_f32 v67, v67, v177 :: v_dual_add_f32 v68, v68, v71
	v_mul_f32_e32 v71, v153, v105
	v_fma_f32 v70, v150, v102, -v70
	s_wait_loadcnt_dscnt 0x100
	v_dual_mul_f32 v188, v162, v115 :: v_dual_mul_f32 v189, v164, v117
	v_dual_add_f32 v67, v67, v178 :: v_dual_add_f32 v68, v68, v72
	v_mul_f32_e32 v72, v155, v107
	v_fma_f32 v71, v152, v104, -v71
	v_fmac_f32_e32 v186, v159, v110
	s_delay_alu instid0(VALU_DEP_4) | instskip(SKIP_3) | instid1(VALU_DEP_4)
	v_dual_add_f32 v67, v67, v179 :: v_dual_add_f32 v68, v68, v70
	v_mul_f32_e32 v70, v157, v109
	v_fma_f32 v72, v154, v106, -v72
	v_fmac_f32_e32 v189, v165, v116
	v_dual_add_f32 v67, v67, v180 :: v_dual_add_f32 v68, v68, v71
	v_mul_f32_e32 v71, v159, v111
	v_fma_f32 v70, v156, v108, -v70
	s_delay_alu instid0(VALU_DEP_3) | instskip(SKIP_1) | instid1(VALU_DEP_4)
	v_dual_add_f32 v67, v67, v181 :: v_dual_add_f32 v68, v68, v72
	v_mul_f32_e32 v72, v161, v113
	v_fma_f32 v71, v158, v110, -v71
	s_delay_alu instid0(VALU_DEP_3) | instskip(NEXT) | instid1(VALU_DEP_4)
	v_add_f32_e32 v67, v67, v182
	v_add_f32_e32 v68, v68, v70
	v_mul_f32_e32 v70, v163, v115
	v_fma_f32 v72, v160, v112, -v72
	s_delay_alu instid0(VALU_DEP_4) | instskip(NEXT) | instid1(VALU_DEP_4)
	v_add_f32_e32 v67, v67, v183
	v_dual_add_f32 v68, v68, v71 :: v_dual_mul_f32 v71, v165, v117
	s_delay_alu instid0(VALU_DEP_4) | instskip(NEXT) | instid1(VALU_DEP_3)
	v_fma_f32 v70, v162, v114, -v70
	v_add_f32_e32 v67, v67, v184
	s_delay_alu instid0(VALU_DEP_3) | instskip(NEXT) | instid1(VALU_DEP_4)
	v_add_f32_e32 v68, v68, v72
	v_fma_f32 v71, v164, v116, -v71
	s_delay_alu instid0(VALU_DEP_2) | instskip(NEXT) | instid1(VALU_DEP_1)
	v_dual_add_f32 v67, v67, v185 :: v_dual_add_f32 v68, v68, v70
	v_dual_add_f32 v67, v67, v186 :: v_dual_add_f32 v68, v68, v71
	v_fmac_f32_e32 v188, v163, v114
	s_delay_alu instid0(VALU_DEP_2) | instskip(NEXT) | instid1(VALU_DEP_1)
	v_add_f32_e32 v67, v67, v187
	v_add_f32_e32 v67, v67, v188
	s_wait_loadcnt 0x0
	s_delay_alu instid0(VALU_DEP_1) | instskip(NEXT) | instid1(VALU_DEP_1)
	v_dual_add_f32 v70, v67, v189 :: v_dual_sub_f32 v67, v166, v68
	v_sub_f32_e32 v68, v167, v70
	scratch_store_b64 off, v[67:68], off offset:64
	v_cmpx_lt_u32_e32 7, v0
	s_cbranch_execz .LBB96_197
; %bb.196:
	scratch_load_b64 v[67:68], off, off offset:56
	v_mov_b32_e32 v70, 0
	s_delay_alu instid0(VALU_DEP_1)
	v_mov_b32_e32 v71, v70
	scratch_store_b64 off, v[70:71], off offset:56
	s_wait_loadcnt 0x0
	ds_store_b64 v69, v[67:68]
.LBB96_197:
	s_wait_alu 0xfffe
	s_or_b32 exec_lo, exec_lo, s0
	s_wait_storecnt_dscnt 0x0
	s_barrier_signal -1
	s_barrier_wait -1
	global_inv scope:SCOPE_SE
	s_clause 0xd
	scratch_load_b128 v[70:73], off, off offset:64
	scratch_load_b128 v[74:77], off, off offset:80
	;; [unrolled: 1-line block ×12, first 2 shown]
	scratch_load_b64 v[166:167], off, off offset:256
	scratch_load_b64 v[168:169], off, off offset:56
	v_mov_b32_e32 v67, 0
	ds_load_b128 v[118:121], v67 offset:336
	ds_load_b128 v[122:125], v67 offset:352
	;; [unrolled: 1-line block ×12, first 2 shown]
	ds_load_b64 v[170:171], v67 offset:528
	s_mov_b32 s0, exec_lo
	s_wait_loadcnt_dscnt 0xd0c
	v_mul_f32_e32 v68, v118, v71
	s_wait_loadcnt_dscnt 0xc0b
	v_dual_mul_f32 v172, v120, v73 :: v_dual_mul_f32 v173, v122, v75
	v_mul_f32_e32 v73, v121, v73
	s_wait_loadcnt_dscnt 0xb0a
	v_dual_mul_f32 v174, v124, v77 :: v_dual_mul_f32 v175, v126, v79
	s_wait_loadcnt_dscnt 0xa09
	v_dual_mul_f32 v71, v119, v71 :: v_dual_mul_f32 v178, v132, v85
	s_wait_loadcnt_dscnt 0x908
	v_dual_mul_f32 v179, v134, v87 :: v_dual_fmac_f32 v68, v119, v70
	s_wait_loadcnt_dscnt 0x302
	v_mul_f32_e32 v192, v160, v113
	v_fma_f32 v71, v118, v70, -v71
	s_wait_loadcnt_dscnt 0x100
	v_mul_f32_e32 v195, v170, v167
	v_mul_f32_e32 v70, v123, v75
	v_fmac_f32_e32 v172, v121, v72
	v_fma_f32 v72, v120, v72, -v73
	v_dual_add_f32 v71, 0, v71 :: v_dual_add_f32 v68, 0, v68
	v_mul_f32_e32 v73, v125, v77
	v_fmac_f32_e32 v173, v123, v74
	v_fma_f32 v70, v122, v74, -v70
	v_dual_mul_f32 v180, v136, v89 :: v_dual_mul_f32 v181, v138, v91
	v_add_f32_e32 v68, v68, v172
	v_add_f32_e32 v71, v71, v72
	v_mul_f32_e32 v72, v127, v79
	v_fma_f32 v73, v124, v76, -v73
	v_dual_mul_f32 v182, v140, v93 :: v_dual_mul_f32 v183, v142, v95
	v_add_f32_e32 v68, v68, v173
	v_dual_add_f32 v70, v71, v70 :: v_dual_mul_f32 v71, v129, v81
	v_fma_f32 v72, v126, v78, -v72
	v_dual_fmac_f32 v174, v125, v76 :: v_dual_fmac_f32 v175, v127, v78
	s_delay_alu instid0(VALU_DEP_3) | instskip(NEXT) | instid1(VALU_DEP_4)
	v_dual_add_f32 v70, v70, v73 :: v_dual_mul_f32 v73, v131, v83
	v_fma_f32 v71, v128, v80, -v71
	v_dual_fmac_f32 v179, v135, v86 :: v_dual_mul_f32 v184, v144, v97
	v_mul_f32_e32 v185, v146, v99
	s_delay_alu instid0(VALU_DEP_4) | instskip(SKIP_3) | instid1(VALU_DEP_4)
	v_add_f32_e32 v70, v70, v72
	v_dual_mul_f32 v72, v133, v85 :: v_dual_fmac_f32 v181, v139, v90
	v_fma_f32 v73, v130, v82, -v73
	v_add_f32_e32 v68, v68, v174
	v_dual_add_f32 v70, v70, v71 :: v_dual_fmac_f32 v183, v143, v94
	v_mul_f32_e32 v71, v135, v87
	v_fma_f32 v72, v132, v84, -v72
	s_delay_alu instid0(VALU_DEP_3) | instskip(SKIP_1) | instid1(VALU_DEP_4)
	v_dual_fmac_f32 v185, v147, v98 :: v_dual_add_f32 v70, v70, v73
	v_mul_f32_e32 v73, v137, v89
	v_fma_f32 v71, v134, v86, -v71
	v_dual_mul_f32 v176, v128, v81 :: v_dual_mul_f32 v177, v130, v83
	s_delay_alu instid0(VALU_DEP_4) | instskip(SKIP_3) | instid1(VALU_DEP_4)
	v_add_f32_e32 v70, v70, v72
	v_dual_mul_f32 v188, v152, v105 :: v_dual_mul_f32 v189, v154, v107
	v_mul_f32_e32 v72, v139, v91
	v_fma_f32 v73, v136, v88, -v73
	v_add_f32_e32 v70, v70, v71
	v_dual_fmac_f32 v176, v129, v80 :: v_dual_fmac_f32 v177, v131, v82
	v_dual_add_f32 v68, v68, v175 :: v_dual_mul_f32 v71, v141, v93
	v_fma_f32 v72, v138, v90, -v72
	s_delay_alu instid0(VALU_DEP_4) | instskip(NEXT) | instid1(VALU_DEP_3)
	v_dual_fmac_f32 v189, v155, v106 :: v_dual_add_f32 v70, v70, v73
	v_dual_add_f32 v68, v68, v176 :: v_dual_mul_f32 v73, v143, v95
	s_delay_alu instid0(VALU_DEP_4) | instskip(SKIP_1) | instid1(VALU_DEP_4)
	v_fma_f32 v71, v140, v92, -v71
	v_fmac_f32_e32 v178, v133, v84
	v_add_f32_e32 v70, v70, v72
	v_mul_f32_e32 v72, v145, v97
	v_fma_f32 v73, v142, v94, -v73
	v_dual_mul_f32 v186, v148, v101 :: v_dual_mul_f32 v187, v150, v103
	s_delay_alu instid0(VALU_DEP_4) | instskip(SKIP_2) | instid1(VALU_DEP_4)
	v_add_f32_e32 v70, v70, v71
	v_mul_f32_e32 v71, v147, v99
	v_fma_f32 v72, v144, v96, -v72
	v_dual_add_f32 v68, v68, v177 :: v_dual_fmac_f32 v187, v151, v102
	s_delay_alu instid0(VALU_DEP_4) | instskip(SKIP_2) | instid1(VALU_DEP_4)
	v_add_f32_e32 v70, v70, v73
	v_mul_f32_e32 v73, v149, v101
	v_fma_f32 v71, v146, v98, -v71
	v_add_f32_e32 v68, v68, v178
	v_fmac_f32_e32 v180, v137, v88
	v_add_f32_e32 v70, v70, v72
	v_mul_f32_e32 v72, v151, v103
	v_fma_f32 v73, v148, v100, -v73
	v_dual_mul_f32 v190, v156, v109 :: v_dual_mul_f32 v191, v158, v111
	s_delay_alu instid0(VALU_DEP_4) | instskip(NEXT) | instid1(VALU_DEP_4)
	v_dual_add_f32 v70, v70, v71 :: v_dual_mul_f32 v71, v153, v105
	v_fma_f32 v72, v150, v102, -v72
	s_delay_alu instid0(VALU_DEP_3) | instskip(NEXT) | instid1(VALU_DEP_3)
	v_dual_add_f32 v68, v68, v179 :: v_dual_fmac_f32 v191, v159, v110
	v_dual_add_f32 v70, v70, v73 :: v_dual_mul_f32 v73, v155, v107
	s_delay_alu instid0(VALU_DEP_4) | instskip(NEXT) | instid1(VALU_DEP_3)
	v_fma_f32 v71, v152, v104, -v71
	v_dual_add_f32 v68, v68, v180 :: v_dual_mul_f32 v193, v162, v115
	v_mul_f32_e32 v194, v164, v117
	s_delay_alu instid0(VALU_DEP_4) | instskip(SKIP_3) | instid1(VALU_DEP_4)
	v_add_f32_e32 v70, v70, v72
	v_mul_f32_e32 v72, v157, v109
	v_fma_f32 v73, v154, v106, -v73
	v_dual_fmac_f32 v182, v141, v92 :: v_dual_fmac_f32 v193, v163, v114
	v_add_f32_e32 v70, v70, v71
	v_mul_f32_e32 v71, v159, v111
	v_fma_f32 v72, v156, v108, -v72
	v_fmac_f32_e32 v184, v145, v96
	v_fmac_f32_e32 v186, v149, v100
	v_add_f32_e32 v70, v70, v73
	v_fma_f32 v71, v158, v110, -v71
	v_dual_fmac_f32 v195, v171, v166 :: v_dual_fmac_f32 v188, v153, v104
	v_fmac_f32_e32 v190, v157, v108
	s_delay_alu instid0(VALU_DEP_4) | instskip(SKIP_3) | instid1(VALU_DEP_4)
	v_dual_add_f32 v70, v70, v72 :: v_dual_mul_f32 v73, v161, v113
	v_mul_f32_e32 v72, v163, v115
	v_fmac_f32_e32 v192, v161, v112
	v_fmac_f32_e32 v194, v165, v116
	v_dual_add_f32 v70, v70, v71 :: v_dual_mul_f32 v71, v165, v117
	v_add_f32_e32 v68, v68, v181
	v_fma_f32 v73, v160, v112, -v73
	v_fma_f32 v72, v162, v114, -v72
	s_delay_alu instid0(VALU_DEP_4) | instskip(NEXT) | instid1(VALU_DEP_4)
	v_fma_f32 v71, v164, v116, -v71
	v_add_f32_e32 v68, v68, v182
	s_delay_alu instid0(VALU_DEP_4) | instskip(NEXT) | instid1(VALU_DEP_2)
	v_dual_add_f32 v70, v70, v73 :: v_dual_mul_f32 v73, v171, v167
	v_add_f32_e32 v68, v68, v183
	s_delay_alu instid0(VALU_DEP_2) | instskip(NEXT) | instid1(VALU_DEP_3)
	v_add_f32_e32 v70, v70, v72
	v_fma_f32 v72, v170, v166, -v73
	s_delay_alu instid0(VALU_DEP_3) | instskip(NEXT) | instid1(VALU_DEP_3)
	v_add_f32_e32 v68, v68, v184
	v_add_f32_e32 v70, v70, v71
	s_delay_alu instid0(VALU_DEP_2) | instskip(NEXT) | instid1(VALU_DEP_2)
	v_add_f32_e32 v68, v68, v185
	v_add_f32_e32 v70, v70, v72
	s_delay_alu instid0(VALU_DEP_2) | instskip(SKIP_1) | instid1(VALU_DEP_2)
	v_add_f32_e32 v68, v68, v186
	s_wait_loadcnt 0x0
	v_sub_f32_e32 v70, v168, v70
	s_delay_alu instid0(VALU_DEP_2) | instskip(NEXT) | instid1(VALU_DEP_1)
	v_add_f32_e32 v68, v68, v187
	v_add_f32_e32 v68, v68, v188
	s_delay_alu instid0(VALU_DEP_1) | instskip(NEXT) | instid1(VALU_DEP_1)
	v_add_f32_e32 v68, v68, v189
	v_add_f32_e32 v68, v68, v190
	s_delay_alu instid0(VALU_DEP_1) | instskip(NEXT) | instid1(VALU_DEP_1)
	;; [unrolled: 3-line block ×4, first 2 shown]
	v_add_f32_e32 v68, v68, v195
	v_sub_f32_e32 v71, v169, v68
	scratch_store_b64 off, v[70:71], off offset:56
	v_cmpx_lt_u32_e32 6, v0
	s_cbranch_execz .LBB96_199
; %bb.198:
	scratch_load_b64 v[70:71], off, off offset:48
	v_mov_b32_e32 v68, v67
	scratch_store_b64 off, v[67:68], off offset:48
	s_wait_loadcnt 0x0
	ds_store_b64 v69, v[70:71]
.LBB96_199:
	s_wait_alu 0xfffe
	s_or_b32 exec_lo, exec_lo, s0
	s_wait_storecnt_dscnt 0x0
	s_barrier_signal -1
	s_barrier_wait -1
	global_inv scope:SCOPE_SE
	s_clause 0xd
	scratch_load_b128 v[70:73], off, off offset:56
	scratch_load_b128 v[74:77], off, off offset:72
	;; [unrolled: 1-line block ×13, first 2 shown]
	scratch_load_b64 v[174:175], off, off offset:48
	ds_load_2addr_b64 v[122:125], v67 offset0:41 offset1:42
	ds_load_2addr_b64 v[126:129], v67 offset0:43 offset1:44
	;; [unrolled: 1-line block ×13, first 2 shown]
	s_mov_b32 s0, exec_lo
	s_wait_loadcnt_dscnt 0xd0c
	v_dual_mul_f32 v67, v122, v71 :: v_dual_mul_f32 v68, v124, v73
	v_mul_f32_e32 v71, v123, v71
	s_wait_loadcnt_dscnt 0xc0b
	v_dual_mul_f32 v73, v125, v73 :: v_dual_mul_f32 v176, v126, v75
	s_delay_alu instid0(VALU_DEP_3) | instskip(NEXT) | instid1(VALU_DEP_3)
	v_dual_mul_f32 v177, v128, v77 :: v_dual_fmac_f32 v68, v125, v72
	v_fma_f32 v71, v122, v70, -v71
	v_fmac_f32_e32 v67, v123, v70
	v_mul_f32_e32 v70, v127, v75
	v_fma_f32 v72, v124, v72, -v73
	v_mul_f32_e32 v73, v129, v77
	v_dual_add_f32 v71, 0, v71 :: v_dual_fmac_f32 v176, v127, v74
	s_delay_alu instid0(VALU_DEP_4) | instskip(SKIP_2) | instid1(VALU_DEP_3)
	v_fma_f32 v70, v126, v74, -v70
	s_wait_loadcnt_dscnt 0xb0a
	v_dual_mul_f32 v178, v130, v79 :: v_dual_mul_f32 v179, v132, v81
	v_add_f32_e32 v71, v71, v72
	v_fmac_f32_e32 v177, v129, v76
	v_fma_f32 v72, v128, v76, -v73
	s_wait_loadcnt_dscnt 0xa09
	v_dual_mul_f32 v180, v134, v83 :: v_dual_mul_f32 v181, v136, v85
	v_dual_add_f32 v70, v71, v70 :: v_dual_mul_f32 v71, v133, v81
	v_fmac_f32_e32 v178, v131, v78
	s_wait_loadcnt_dscnt 0x908
	v_dual_mul_f32 v182, v138, v87 :: v_dual_mul_f32 v183, v140, v89
	s_delay_alu instid0(VALU_DEP_3) | instskip(SKIP_3) | instid1(VALU_DEP_4)
	v_dual_add_f32 v70, v70, v72 :: v_dual_add_f32 v67, 0, v67
	v_mul_f32_e32 v72, v135, v83
	v_fma_f32 v71, v132, v80, -v71
	v_dual_fmac_f32 v179, v133, v80 :: v_dual_fmac_f32 v180, v135, v82
	v_add_f32_e32 v67, v67, v68
	v_mul_f32_e32 v68, v131, v79
	v_fma_f32 v72, v134, v82, -v72
	v_dual_fmac_f32 v181, v137, v84 :: v_dual_fmac_f32 v182, v139, v86
	s_wait_loadcnt_dscnt 0x807
	v_dual_mul_f32 v184, v142, v91 :: v_dual_mul_f32 v185, v144, v93
	v_fma_f32 v68, v130, v78, -v68
	s_wait_loadcnt_dscnt 0x706
	v_dual_mul_f32 v186, v146, v95 :: v_dual_mul_f32 v187, v148, v97
	s_wait_loadcnt_dscnt 0x605
	v_dual_mul_f32 v188, v150, v99 :: v_dual_mul_f32 v189, v152, v101
	v_add_f32_e32 v68, v70, v68
	v_mul_f32_e32 v70, v137, v85
	v_dual_fmac_f32 v186, v147, v94 :: v_dual_fmac_f32 v187, v149, v96
	s_delay_alu instid0(VALU_DEP_4) | instskip(NEXT) | instid1(VALU_DEP_4)
	v_dual_fmac_f32 v188, v151, v98 :: v_dual_fmac_f32 v189, v153, v100
	v_dual_add_f32 v68, v68, v71 :: v_dual_add_f32 v67, v67, v176
	v_mul_f32_e32 v71, v139, v87
	v_fma_f32 v70, v136, v84, -v70
	v_fmac_f32_e32 v183, v141, v88
	s_delay_alu instid0(VALU_DEP_4)
	v_add_f32_e32 v68, v68, v72
	v_mul_f32_e32 v72, v141, v89
	v_add_f32_e32 v67, v67, v177
	v_fma_f32 v71, v138, v86, -v71
	v_fmac_f32_e32 v184, v143, v90
	v_add_f32_e32 v68, v68, v70
	v_mul_f32_e32 v70, v143, v91
	v_add_f32_e32 v67, v67, v178
	v_fma_f32 v72, v140, v88, -v72
	s_delay_alu instid0(VALU_DEP_4) | instskip(SKIP_1) | instid1(VALU_DEP_4)
	v_dual_fmac_f32 v185, v145, v92 :: v_dual_add_f32 v68, v68, v71
	v_mul_f32_e32 v71, v145, v93
	v_add_f32_e32 v67, v67, v179
	v_fma_f32 v70, v142, v90, -v70
	s_wait_loadcnt_dscnt 0x504
	v_dual_mul_f32 v190, v154, v103 :: v_dual_mul_f32 v191, v156, v105
	v_add_f32_e32 v68, v68, v72
	v_add_f32_e32 v67, v67, v180
	v_fma_f32 v71, v144, v92, -v71
	v_mul_f32_e32 v72, v147, v95
	v_dual_fmac_f32 v190, v155, v102 :: v_dual_fmac_f32 v191, v157, v104
	s_delay_alu instid0(VALU_DEP_4) | instskip(SKIP_1) | instid1(VALU_DEP_4)
	v_dual_add_f32 v68, v68, v70 :: v_dual_add_f32 v67, v67, v181
	v_mul_f32_e32 v70, v149, v97
	v_fma_f32 v72, v146, v94, -v72
	s_wait_loadcnt_dscnt 0x403
	v_dual_mul_f32 v192, v158, v107 :: v_dual_mul_f32 v193, v160, v109
	v_dual_add_f32 v68, v68, v71 :: v_dual_add_f32 v67, v67, v182
	v_mul_f32_e32 v71, v151, v99
	v_fma_f32 v70, v148, v96, -v70
	s_wait_loadcnt_dscnt 0x302
	v_dual_mul_f32 v194, v162, v111 :: v_dual_mul_f32 v195, v164, v113
	v_dual_add_f32 v67, v67, v183 :: v_dual_add_f32 v68, v68, v72
	v_mul_f32_e32 v72, v153, v101
	v_fma_f32 v71, v150, v98, -v71
	s_delay_alu instid0(VALU_DEP_4) | instskip(NEXT) | instid1(VALU_DEP_4)
	v_dual_fmac_f32 v192, v159, v106 :: v_dual_fmac_f32 v195, v165, v112
	v_dual_add_f32 v67, v67, v184 :: v_dual_add_f32 v68, v68, v70
	v_mul_f32_e32 v70, v155, v103
	v_fma_f32 v72, v152, v100, -v72
	v_fmac_f32_e32 v193, v161, v108
	s_delay_alu instid0(VALU_DEP_4) | instskip(SKIP_3) | instid1(VALU_DEP_4)
	v_dual_add_f32 v67, v67, v185 :: v_dual_add_f32 v68, v68, v71
	v_mul_f32_e32 v71, v157, v105
	v_fma_f32 v70, v154, v102, -v70
	v_fmac_f32_e32 v194, v163, v110
	v_dual_add_f32 v67, v67, v186 :: v_dual_add_f32 v68, v68, v72
	s_delay_alu instid0(VALU_DEP_4)
	v_fma_f32 v71, v156, v104, -v71
	v_mul_f32_e32 v72, v159, v107
	s_wait_loadcnt_dscnt 0x201
	v_dual_mul_f32 v196, v166, v115 :: v_dual_mul_f32 v197, v168, v117
	v_dual_add_f32 v67, v67, v187 :: v_dual_add_f32 v68, v68, v70
	v_mul_f32_e32 v70, v161, v109
	v_fma_f32 v72, v158, v106, -v72
	s_wait_loadcnt_dscnt 0x100
	v_dual_mul_f32 v198, v170, v119 :: v_dual_mul_f32 v199, v172, v121
	v_dual_add_f32 v67, v67, v188 :: v_dual_add_f32 v68, v68, v71
	v_mul_f32_e32 v71, v163, v111
	v_fma_f32 v70, v160, v108, -v70
	s_delay_alu instid0(VALU_DEP_4) | instskip(NEXT) | instid1(VALU_DEP_4)
	v_dual_fmac_f32 v196, v167, v114 :: v_dual_fmac_f32 v199, v173, v120
	v_dual_add_f32 v67, v67, v189 :: v_dual_add_f32 v68, v68, v72
	v_mul_f32_e32 v72, v165, v113
	v_fma_f32 v71, v162, v110, -v71
	v_fmac_f32_e32 v197, v169, v116
	s_delay_alu instid0(VALU_DEP_4)
	v_add_f32_e32 v67, v67, v190
	v_add_f32_e32 v68, v68, v70
	v_mul_f32_e32 v70, v167, v115
	v_fma_f32 v72, v164, v112, -v72
	v_fmac_f32_e32 v198, v171, v118
	v_add_f32_e32 v67, v67, v191
	v_dual_add_f32 v68, v68, v71 :: v_dual_mul_f32 v71, v169, v117
	v_fma_f32 v70, v166, v114, -v70
	s_delay_alu instid0(VALU_DEP_3) | instskip(NEXT) | instid1(VALU_DEP_3)
	v_add_f32_e32 v67, v67, v192
	v_add_f32_e32 v68, v68, v72
	v_mul_f32_e32 v72, v171, v119
	v_fma_f32 v71, v168, v116, -v71
	s_delay_alu instid0(VALU_DEP_3) | instskip(SKIP_1) | instid1(VALU_DEP_4)
	v_dual_add_f32 v67, v67, v193 :: v_dual_add_f32 v68, v68, v70
	v_mul_f32_e32 v70, v173, v121
	v_fma_f32 v72, v170, v118, -v72
	s_delay_alu instid0(VALU_DEP_3) | instskip(NEXT) | instid1(VALU_DEP_3)
	v_add_f32_e32 v67, v67, v194
	v_fma_f32 v70, v172, v120, -v70
	s_delay_alu instid0(VALU_DEP_2) | instskip(NEXT) | instid1(VALU_DEP_1)
	v_add_f32_e32 v67, v67, v195
	v_dual_add_f32 v67, v67, v196 :: v_dual_add_f32 v68, v68, v71
	s_delay_alu instid0(VALU_DEP_1) | instskip(NEXT) | instid1(VALU_DEP_1)
	v_dual_add_f32 v67, v67, v197 :: v_dual_add_f32 v68, v68, v72
	v_add_f32_e32 v67, v67, v198
	s_delay_alu instid0(VALU_DEP_2) | instskip(SKIP_1) | instid1(VALU_DEP_1)
	v_add_f32_e32 v68, v68, v70
	s_wait_loadcnt 0x0
	v_dual_add_f32 v70, v67, v199 :: v_dual_sub_f32 v67, v174, v68
	s_delay_alu instid0(VALU_DEP_1)
	v_sub_f32_e32 v68, v175, v70
	scratch_store_b64 off, v[67:68], off offset:48
	v_cmpx_lt_u32_e32 5, v0
	s_cbranch_execz .LBB96_201
; %bb.200:
	scratch_load_b64 v[67:68], off, off offset:40
	v_mov_b32_e32 v70, 0
	s_delay_alu instid0(VALU_DEP_1)
	v_mov_b32_e32 v71, v70
	scratch_store_b64 off, v[70:71], off offset:40
	s_wait_loadcnt 0x0
	ds_store_b64 v69, v[67:68]
.LBB96_201:
	s_wait_alu 0xfffe
	s_or_b32 exec_lo, exec_lo, s0
	s_wait_storecnt_dscnt 0x0
	s_barrier_signal -1
	s_barrier_wait -1
	global_inv scope:SCOPE_SE
	s_clause 0xe
	scratch_load_b128 v[70:73], off, off offset:48
	scratch_load_b128 v[74:77], off, off offset:64
	;; [unrolled: 1-line block ×13, first 2 shown]
	scratch_load_b64 v[174:175], off, off offset:256
	scratch_load_b64 v[176:177], off, off offset:40
	v_mov_b32_e32 v67, 0
	ds_load_b128 v[122:125], v67 offset:320
	ds_load_b128 v[126:129], v67 offset:336
	;; [unrolled: 1-line block ×13, first 2 shown]
	ds_load_b64 v[178:179], v67 offset:528
	s_mov_b32 s0, exec_lo
	s_wait_loadcnt_dscnt 0xe0d
	v_mul_f32_e32 v68, v122, v71
	s_wait_loadcnt_dscnt 0xd0c
	v_dual_mul_f32 v180, v124, v73 :: v_dual_mul_f32 v181, v126, v75
	v_mul_f32_e32 v73, v125, v73
	s_wait_loadcnt_dscnt 0xc0b
	v_dual_mul_f32 v182, v128, v77 :: v_dual_mul_f32 v183, v130, v79
	s_wait_loadcnt_dscnt 0xa09
	v_dual_mul_f32 v186, v136, v85 :: v_dual_mul_f32 v187, v138, v87
	v_mul_f32_e32 v71, v123, v71
	v_fmac_f32_e32 v68, v123, v70
	s_wait_loadcnt_dscnt 0x908
	v_dual_mul_f32 v188, v140, v89 :: v_dual_mul_f32 v189, v142, v91
	s_wait_loadcnt_dscnt 0x100
	v_dual_mul_f32 v202, v168, v117 :: v_dual_mul_f32 v205, v178, v175
	v_fma_f32 v71, v122, v70, -v71
	v_mul_f32_e32 v70, v127, v75
	v_fmac_f32_e32 v180, v125, v72
	v_fma_f32 v72, v124, v72, -v73
	v_dual_add_f32 v68, 0, v68 :: v_dual_mul_f32 v73, v129, v77
	v_add_f32_e32 v71, 0, v71
	v_fmac_f32_e32 v181, v127, v74
	v_fma_f32 v70, v126, v74, -v70
	s_delay_alu instid0(VALU_DEP_4)
	v_add_f32_e32 v68, v68, v180
	v_fma_f32 v73, v128, v76, -v73
	v_add_f32_e32 v71, v71, v72
	v_mul_f32_e32 v72, v131, v79
	v_dual_mul_f32 v190, v144, v93 :: v_dual_mul_f32 v191, v146, v95
	v_add_f32_e32 v68, v68, v181
	s_delay_alu instid0(VALU_DEP_4) | instskip(NEXT) | instid1(VALU_DEP_4)
	v_dual_add_f32 v70, v71, v70 :: v_dual_mul_f32 v71, v133, v81
	v_fma_f32 v72, v130, v78, -v72
	v_dual_fmac_f32 v182, v129, v76 :: v_dual_fmac_f32 v183, v131, v78
	s_delay_alu instid0(VALU_DEP_3) | instskip(NEXT) | instid1(VALU_DEP_4)
	v_dual_add_f32 v70, v70, v73 :: v_dual_mul_f32 v73, v135, v83
	v_fma_f32 v71, v132, v80, -v71
	v_dual_fmac_f32 v187, v139, v86 :: v_dual_mul_f32 v192, v148, v97
	v_mul_f32_e32 v193, v150, v99
	s_delay_alu instid0(VALU_DEP_4) | instskip(SKIP_3) | instid1(VALU_DEP_4)
	v_add_f32_e32 v70, v70, v72
	v_dual_mul_f32 v72, v137, v85 :: v_dual_fmac_f32 v189, v143, v90
	v_fma_f32 v73, v134, v82, -v73
	v_add_f32_e32 v68, v68, v182
	v_dual_add_f32 v70, v70, v71 :: v_dual_fmac_f32 v191, v147, v94
	v_mul_f32_e32 v71, v139, v87
	v_fma_f32 v72, v136, v84, -v72
	s_delay_alu instid0(VALU_DEP_3) | instskip(SKIP_1) | instid1(VALU_DEP_4)
	v_dual_fmac_f32 v193, v151, v98 :: v_dual_add_f32 v70, v70, v73
	v_mul_f32_e32 v73, v141, v89
	v_fma_f32 v71, v138, v86, -v71
	v_dual_mul_f32 v184, v132, v81 :: v_dual_mul_f32 v185, v134, v83
	s_delay_alu instid0(VALU_DEP_4) | instskip(SKIP_3) | instid1(VALU_DEP_4)
	v_add_f32_e32 v70, v70, v72
	v_dual_mul_f32 v196, v156, v105 :: v_dual_mul_f32 v197, v158, v107
	v_mul_f32_e32 v72, v143, v91
	v_fma_f32 v73, v140, v88, -v73
	v_add_f32_e32 v70, v70, v71
	v_dual_fmac_f32 v184, v133, v80 :: v_dual_fmac_f32 v185, v135, v82
	v_dual_add_f32 v68, v68, v183 :: v_dual_mul_f32 v71, v145, v93
	v_fma_f32 v72, v142, v90, -v72
	s_delay_alu instid0(VALU_DEP_4) | instskip(NEXT) | instid1(VALU_DEP_3)
	v_dual_fmac_f32 v197, v159, v106 :: v_dual_add_f32 v70, v70, v73
	v_dual_add_f32 v68, v68, v184 :: v_dual_mul_f32 v73, v147, v95
	s_delay_alu instid0(VALU_DEP_4) | instskip(SKIP_1) | instid1(VALU_DEP_4)
	v_fma_f32 v71, v144, v92, -v71
	v_fmac_f32_e32 v186, v137, v84
	v_add_f32_e32 v70, v70, v72
	v_mul_f32_e32 v72, v149, v97
	v_fma_f32 v73, v146, v94, -v73
	v_dual_fmac_f32 v205, v179, v174 :: v_dual_mul_f32 v194, v152, v101
	v_mul_f32_e32 v195, v154, v103
	v_add_f32_e32 v70, v70, v71
	v_mul_f32_e32 v71, v151, v99
	v_fma_f32 v72, v148, v96, -v72
	s_delay_alu instid0(VALU_DEP_4) | instskip(NEXT) | instid1(VALU_DEP_4)
	v_dual_add_f32 v68, v68, v185 :: v_dual_fmac_f32 v195, v155, v102
	v_add_f32_e32 v70, v70, v73
	v_mul_f32_e32 v73, v153, v101
	v_fma_f32 v71, v150, v98, -v71
	s_delay_alu instid0(VALU_DEP_4)
	v_add_f32_e32 v68, v68, v186
	v_fmac_f32_e32 v188, v141, v88
	v_add_f32_e32 v70, v70, v72
	v_mul_f32_e32 v72, v155, v103
	v_fma_f32 v73, v152, v100, -v73
	v_dual_mul_f32 v198, v160, v109 :: v_dual_mul_f32 v199, v162, v111
	s_delay_alu instid0(VALU_DEP_4) | instskip(NEXT) | instid1(VALU_DEP_4)
	v_dual_add_f32 v70, v70, v71 :: v_dual_mul_f32 v71, v157, v105
	v_fma_f32 v72, v154, v102, -v72
	s_delay_alu instid0(VALU_DEP_3) | instskip(NEXT) | instid1(VALU_DEP_3)
	v_dual_add_f32 v68, v68, v187 :: v_dual_fmac_f32 v199, v163, v110
	v_dual_add_f32 v70, v70, v73 :: v_dual_mul_f32 v73, v159, v107
	s_delay_alu instid0(VALU_DEP_4) | instskip(NEXT) | instid1(VALU_DEP_3)
	v_fma_f32 v71, v156, v104, -v71
	v_add_f32_e32 v68, v68, v188
	v_dual_mul_f32 v200, v164, v113 :: v_dual_mul_f32 v201, v166, v115
	s_delay_alu instid0(VALU_DEP_4) | instskip(SKIP_3) | instid1(VALU_DEP_4)
	v_add_f32_e32 v70, v70, v72
	v_mul_f32_e32 v72, v161, v109
	v_fma_f32 v73, v158, v106, -v73
	v_dual_mul_f32 v203, v170, v119 :: v_dual_mul_f32 v204, v172, v121
	v_add_f32_e32 v70, v70, v71
	v_mul_f32_e32 v71, v163, v111
	v_fma_f32 v72, v160, v108, -v72
	v_dual_fmac_f32 v190, v145, v92 :: v_dual_fmac_f32 v201, v167, v114
	s_delay_alu instid0(VALU_DEP_4) | instskip(NEXT) | instid1(VALU_DEP_4)
	v_add_f32_e32 v70, v70, v73
	v_fma_f32 v71, v162, v110, -v71
	v_dual_fmac_f32 v203, v171, v118 :: v_dual_fmac_f32 v192, v149, v96
	v_fmac_f32_e32 v194, v153, v100
	s_delay_alu instid0(VALU_DEP_4) | instskip(SKIP_3) | instid1(VALU_DEP_4)
	v_add_f32_e32 v70, v70, v72
	v_fmac_f32_e32 v196, v157, v104
	v_fmac_f32_e32 v198, v161, v108
	v_dual_mul_f32 v73, v165, v113 :: v_dual_mul_f32 v72, v167, v115
	v_dual_add_f32 v70, v70, v71 :: v_dual_mul_f32 v71, v169, v117
	v_add_f32_e32 v68, v68, v189
	v_fmac_f32_e32 v200, v165, v112
	s_delay_alu instid0(VALU_DEP_4)
	v_fma_f32 v73, v164, v112, -v73
	v_fma_f32 v72, v166, v114, -v72
	v_fmac_f32_e32 v202, v169, v116
	v_add_f32_e32 v68, v68, v190
	v_fma_f32 v71, v168, v116, -v71
	v_dual_add_f32 v70, v70, v73 :: v_dual_mul_f32 v73, v171, v119
	v_fmac_f32_e32 v204, v173, v120
	s_delay_alu instid0(VALU_DEP_4) | instskip(NEXT) | instid1(VALU_DEP_3)
	v_add_f32_e32 v68, v68, v191
	v_add_f32_e32 v70, v70, v72
	v_mul_f32_e32 v72, v173, v121
	v_fma_f32 v73, v170, v118, -v73
	s_delay_alu instid0(VALU_DEP_4) | instskip(NEXT) | instid1(VALU_DEP_4)
	v_add_f32_e32 v68, v68, v192
	v_add_f32_e32 v70, v70, v71
	v_mul_f32_e32 v71, v179, v175
	v_fma_f32 v72, v172, v120, -v72
	s_delay_alu instid0(VALU_DEP_4) | instskip(NEXT) | instid1(VALU_DEP_4)
	v_add_f32_e32 v68, v68, v193
	v_add_f32_e32 v70, v70, v73
	s_delay_alu instid0(VALU_DEP_4) | instskip(NEXT) | instid1(VALU_DEP_3)
	v_fma_f32 v71, v178, v174, -v71
	v_add_f32_e32 v68, v68, v194
	s_delay_alu instid0(VALU_DEP_3) | instskip(NEXT) | instid1(VALU_DEP_2)
	v_add_f32_e32 v70, v70, v72
	v_add_f32_e32 v68, v68, v195
	s_delay_alu instid0(VALU_DEP_2) | instskip(NEXT) | instid1(VALU_DEP_2)
	v_add_f32_e32 v70, v70, v71
	v_add_f32_e32 v68, v68, v196
	s_wait_loadcnt 0x0
	s_delay_alu instid0(VALU_DEP_2) | instskip(NEXT) | instid1(VALU_DEP_2)
	v_sub_f32_e32 v70, v176, v70
	v_add_f32_e32 v68, v68, v197
	s_delay_alu instid0(VALU_DEP_1) | instskip(NEXT) | instid1(VALU_DEP_1)
	v_add_f32_e32 v68, v68, v198
	v_add_f32_e32 v68, v68, v199
	s_delay_alu instid0(VALU_DEP_1) | instskip(NEXT) | instid1(VALU_DEP_1)
	v_add_f32_e32 v68, v68, v200
	;; [unrolled: 3-line block ×4, first 2 shown]
	v_add_f32_e32 v68, v68, v205
	s_delay_alu instid0(VALU_DEP_1)
	v_sub_f32_e32 v71, v177, v68
	scratch_store_b64 off, v[70:71], off offset:40
	v_cmpx_lt_u32_e32 4, v0
	s_cbranch_execz .LBB96_203
; %bb.202:
	scratch_load_b64 v[70:71], off, off offset:32
	v_mov_b32_e32 v68, v67
	scratch_store_b64 off, v[67:68], off offset:32
	s_wait_loadcnt 0x0
	ds_store_b64 v69, v[70:71]
.LBB96_203:
	s_wait_alu 0xfffe
	s_or_b32 exec_lo, exec_lo, s0
	s_wait_storecnt_dscnt 0x0
	s_barrier_signal -1
	s_barrier_wait -1
	global_inv scope:SCOPE_SE
	s_clause 0xe
	scratch_load_b128 v[70:73], off, off offset:40
	scratch_load_b128 v[74:77], off, off offset:56
	;; [unrolled: 1-line block ×14, first 2 shown]
	scratch_load_b64 v[182:183], off, off offset:32
	ds_load_2addr_b64 v[126:129], v67 offset0:39 offset1:40
	ds_load_2addr_b64 v[130:133], v67 offset0:41 offset1:42
	;; [unrolled: 1-line block ×14, first 2 shown]
	s_mov_b32 s0, exec_lo
	s_wait_loadcnt_dscnt 0xe0d
	v_dual_mul_f32 v67, v126, v71 :: v_dual_mul_f32 v68, v128, v73
	v_mul_f32_e32 v71, v127, v71
	s_wait_loadcnt_dscnt 0xd0c
	v_dual_mul_f32 v73, v129, v73 :: v_dual_mul_f32 v184, v130, v75
	s_delay_alu instid0(VALU_DEP_3) | instskip(NEXT) | instid1(VALU_DEP_3)
	v_dual_mul_f32 v185, v132, v77 :: v_dual_fmac_f32 v68, v129, v72
	v_fma_f32 v71, v126, v70, -v71
	v_fmac_f32_e32 v67, v127, v70
	v_mul_f32_e32 v70, v131, v75
	v_fma_f32 v72, v128, v72, -v73
	v_mul_f32_e32 v73, v133, v77
	v_dual_add_f32 v71, 0, v71 :: v_dual_fmac_f32 v184, v131, v74
	s_delay_alu instid0(VALU_DEP_4) | instskip(SKIP_2) | instid1(VALU_DEP_3)
	v_fma_f32 v70, v130, v74, -v70
	s_wait_loadcnt_dscnt 0xc0b
	v_dual_mul_f32 v186, v134, v79 :: v_dual_mul_f32 v187, v136, v81
	v_add_f32_e32 v71, v71, v72
	v_fmac_f32_e32 v185, v133, v76
	v_fma_f32 v72, v132, v76, -v73
	s_wait_loadcnt_dscnt 0xb0a
	v_dual_mul_f32 v188, v138, v83 :: v_dual_mul_f32 v189, v140, v85
	v_dual_add_f32 v70, v71, v70 :: v_dual_mul_f32 v71, v137, v81
	v_fmac_f32_e32 v186, v135, v78
	s_wait_loadcnt_dscnt 0xa09
	v_dual_mul_f32 v190, v142, v87 :: v_dual_mul_f32 v191, v144, v89
	s_delay_alu instid0(VALU_DEP_3) | instskip(SKIP_3) | instid1(VALU_DEP_4)
	v_dual_add_f32 v70, v70, v72 :: v_dual_add_f32 v67, 0, v67
	v_mul_f32_e32 v72, v139, v83
	v_fma_f32 v71, v136, v80, -v71
	v_dual_fmac_f32 v187, v137, v80 :: v_dual_fmac_f32 v188, v139, v82
	v_add_f32_e32 v67, v67, v68
	v_mul_f32_e32 v68, v135, v79
	v_fma_f32 v72, v138, v82, -v72
	v_dual_fmac_f32 v189, v141, v84 :: v_dual_fmac_f32 v190, v143, v86
	s_wait_loadcnt_dscnt 0x908
	v_dual_mul_f32 v192, v146, v91 :: v_dual_mul_f32 v193, v148, v93
	v_fma_f32 v68, v134, v78, -v68
	s_wait_loadcnt_dscnt 0x807
	v_dual_mul_f32 v194, v150, v95 :: v_dual_mul_f32 v195, v152, v97
	s_wait_loadcnt_dscnt 0x706
	v_dual_mul_f32 v196, v154, v99 :: v_dual_mul_f32 v197, v156, v101
	v_add_f32_e32 v68, v70, v68
	v_mul_f32_e32 v70, v141, v85
	v_dual_fmac_f32 v194, v151, v94 :: v_dual_fmac_f32 v195, v153, v96
	s_delay_alu instid0(VALU_DEP_4) | instskip(NEXT) | instid1(VALU_DEP_4)
	v_dual_fmac_f32 v196, v155, v98 :: v_dual_fmac_f32 v197, v157, v100
	v_dual_add_f32 v68, v68, v71 :: v_dual_add_f32 v67, v67, v184
	v_mul_f32_e32 v71, v143, v87
	v_fma_f32 v70, v140, v84, -v70
	v_fmac_f32_e32 v191, v145, v88
	s_delay_alu instid0(VALU_DEP_4)
	v_add_f32_e32 v68, v68, v72
	v_mul_f32_e32 v72, v145, v89
	v_add_f32_e32 v67, v67, v185
	v_fma_f32 v71, v142, v86, -v71
	v_fmac_f32_e32 v192, v147, v90
	v_add_f32_e32 v68, v68, v70
	v_mul_f32_e32 v70, v147, v91
	v_add_f32_e32 v67, v67, v186
	v_fma_f32 v72, v144, v88, -v72
	s_delay_alu instid0(VALU_DEP_4) | instskip(SKIP_1) | instid1(VALU_DEP_4)
	v_dual_fmac_f32 v193, v149, v92 :: v_dual_add_f32 v68, v68, v71
	v_mul_f32_e32 v71, v149, v93
	v_add_f32_e32 v67, v67, v187
	v_fma_f32 v70, v146, v90, -v70
	s_wait_loadcnt_dscnt 0x605
	v_dual_mul_f32 v198, v158, v103 :: v_dual_mul_f32 v199, v160, v105
	v_add_f32_e32 v68, v68, v72
	v_add_f32_e32 v67, v67, v188
	v_fma_f32 v71, v148, v92, -v71
	v_mul_f32_e32 v72, v151, v95
	s_wait_loadcnt_dscnt 0x504
	v_dual_mul_f32 v200, v162, v107 :: v_dual_mul_f32 v201, v164, v109
	v_dual_add_f32 v68, v68, v70 :: v_dual_add_f32 v67, v67, v189
	v_mul_f32_e32 v70, v153, v97
	v_fma_f32 v72, v150, v94, -v72
	v_dual_fmac_f32 v198, v159, v102 :: v_dual_fmac_f32 v199, v161, v104
	s_delay_alu instid0(VALU_DEP_4)
	v_dual_add_f32 v68, v68, v71 :: v_dual_add_f32 v67, v67, v190
	v_mul_f32_e32 v71, v155, v99
	v_fma_f32 v70, v152, v96, -v70
	s_wait_loadcnt_dscnt 0x403
	v_dual_mul_f32 v202, v166, v111 :: v_dual_mul_f32 v203, v168, v113
	v_dual_add_f32 v67, v67, v191 :: v_dual_add_f32 v68, v68, v72
	v_mul_f32_e32 v72, v157, v101
	v_fma_f32 v71, v154, v98, -v71
	s_delay_alu instid0(VALU_DEP_4) | instskip(NEXT) | instid1(VALU_DEP_4)
	v_dual_fmac_f32 v200, v163, v106 :: v_dual_fmac_f32 v203, v169, v112
	v_dual_add_f32 v67, v67, v192 :: v_dual_add_f32 v68, v68, v70
	v_mul_f32_e32 v70, v159, v103
	v_fma_f32 v72, v156, v100, -v72
	v_fmac_f32_e32 v201, v165, v108
	s_delay_alu instid0(VALU_DEP_4)
	v_dual_add_f32 v67, v67, v193 :: v_dual_add_f32 v68, v68, v71
	v_mul_f32_e32 v71, v161, v105
	v_fma_f32 v70, v158, v102, -v70
	s_wait_loadcnt_dscnt 0x302
	v_dual_mul_f32 v204, v170, v115 :: v_dual_mul_f32 v205, v172, v117
	v_dual_add_f32 v67, v67, v194 :: v_dual_add_f32 v68, v68, v72
	v_mul_f32_e32 v72, v163, v107
	v_fma_f32 v71, v160, v104, -v71
	v_fmac_f32_e32 v202, v167, v110
	s_delay_alu instid0(VALU_DEP_4)
	v_dual_add_f32 v67, v67, v195 :: v_dual_add_f32 v68, v68, v70
	v_mul_f32_e32 v70, v165, v109
	v_fma_f32 v72, v162, v106, -v72
	s_wait_loadcnt_dscnt 0x201
	v_dual_mul_f32 v206, v174, v119 :: v_dual_mul_f32 v207, v176, v121
	;; [unrolled: 10-line block ×3, first 2 shown]
	v_add_f32_e32 v67, v67, v198
	v_add_f32_e32 v68, v68, v70
	v_mul_f32_e32 v70, v171, v115
	v_fma_f32 v72, v168, v112, -v72
	v_dual_fmac_f32 v204, v171, v114 :: v_dual_fmac_f32 v207, v177, v120
	v_add_f32_e32 v67, v67, v199
	v_dual_add_f32 v68, v68, v71 :: v_dual_mul_f32 v71, v173, v117
	v_fma_f32 v70, v170, v114, -v70
	v_fmac_f32_e32 v209, v181, v124
	s_delay_alu instid0(VALU_DEP_4) | instskip(NEXT) | instid1(VALU_DEP_4)
	v_add_f32_e32 v67, v67, v200
	v_add_f32_e32 v68, v68, v72
	v_mul_f32_e32 v72, v175, v119
	v_fma_f32 v71, v172, v116, -v71
	v_fmac_f32_e32 v208, v179, v122
	s_delay_alu instid0(VALU_DEP_4) | instskip(SKIP_2) | instid1(VALU_DEP_3)
	v_dual_add_f32 v67, v67, v201 :: v_dual_add_f32 v68, v68, v70
	v_mul_f32_e32 v70, v177, v121
	v_fma_f32 v72, v174, v118, -v72
	v_add_f32_e32 v67, v67, v202
	s_delay_alu instid0(VALU_DEP_3) | instskip(NEXT) | instid1(VALU_DEP_2)
	v_fma_f32 v70, v176, v120, -v70
	v_add_f32_e32 v67, v67, v203
	s_delay_alu instid0(VALU_DEP_1) | instskip(NEXT) | instid1(VALU_DEP_1)
	v_dual_add_f32 v67, v67, v204 :: v_dual_add_f32 v68, v68, v71
	v_add_f32_e32 v67, v67, v205
	s_delay_alu instid0(VALU_DEP_2) | instskip(SKIP_1) | instid1(VALU_DEP_2)
	v_dual_mul_f32 v71, v179, v123 :: v_dual_add_f32 v68, v68, v72
	v_mul_f32_e32 v72, v181, v125
	v_fma_f32 v71, v178, v122, -v71
	s_delay_alu instid0(VALU_DEP_3) | instskip(NEXT) | instid1(VALU_DEP_3)
	v_add_f32_e32 v68, v68, v70
	v_fma_f32 v70, v180, v124, -v72
	s_delay_alu instid0(VALU_DEP_2) | instskip(NEXT) | instid1(VALU_DEP_1)
	v_add_f32_e32 v68, v68, v71
	v_add_f32_e32 v68, v68, v70
	v_fmac_f32_e32 v206, v175, v118
	s_delay_alu instid0(VALU_DEP_1) | instskip(NEXT) | instid1(VALU_DEP_1)
	v_add_f32_e32 v67, v67, v206
	v_add_f32_e32 v67, v67, v207
	s_delay_alu instid0(VALU_DEP_1) | instskip(SKIP_1) | instid1(VALU_DEP_1)
	v_add_f32_e32 v67, v67, v208
	s_wait_loadcnt 0x0
	v_dual_add_f32 v70, v67, v209 :: v_dual_sub_f32 v67, v182, v68
	s_delay_alu instid0(VALU_DEP_1)
	v_sub_f32_e32 v68, v183, v70
	scratch_store_b64 off, v[67:68], off offset:32
	v_cmpx_lt_u32_e32 3, v0
	s_cbranch_execz .LBB96_205
; %bb.204:
	scratch_load_b64 v[67:68], off, off offset:24
	v_mov_b32_e32 v70, 0
	s_delay_alu instid0(VALU_DEP_1)
	v_mov_b32_e32 v71, v70
	scratch_store_b64 off, v[70:71], off offset:24
	s_wait_loadcnt 0x0
	ds_store_b64 v69, v[67:68]
.LBB96_205:
	s_wait_alu 0xfffe
	s_or_b32 exec_lo, exec_lo, s0
	s_wait_storecnt_dscnt 0x0
	s_barrier_signal -1
	s_barrier_wait -1
	global_inv scope:SCOPE_SE
	s_clause 0xf
	scratch_load_b128 v[70:73], off, off offset:32
	scratch_load_b128 v[74:77], off, off offset:48
	scratch_load_b128 v[78:81], off, off offset:64
	scratch_load_b128 v[82:85], off, off offset:80
	scratch_load_b128 v[86:89], off, off offset:96
	scratch_load_b128 v[90:93], off, off offset:112
	scratch_load_b128 v[94:97], off, off offset:128
	scratch_load_b128 v[98:101], off, off offset:144
	scratch_load_b128 v[102:105], off, off offset:160
	scratch_load_b128 v[106:109], off, off offset:176
	scratch_load_b128 v[110:113], off, off offset:192
	scratch_load_b128 v[114:117], off, off offset:208
	scratch_load_b128 v[118:121], off, off offset:224
	scratch_load_b128 v[122:125], off, off offset:240
	scratch_load_b64 v[182:183], off, off offset:256
	scratch_load_b64 v[184:185], off, off offset:24
	v_mov_b32_e32 v67, 0
	ds_load_b128 v[126:129], v67 offset:304
	ds_load_b128 v[130:133], v67 offset:320
	;; [unrolled: 1-line block ×14, first 2 shown]
	ds_load_b64 v[186:187], v67 offset:528
	s_mov_b32 s0, exec_lo
	s_wait_loadcnt_dscnt 0xf0e
	v_mul_f32_e32 v68, v126, v71
	s_wait_loadcnt_dscnt 0xe0d
	v_dual_mul_f32 v188, v128, v73 :: v_dual_mul_f32 v189, v130, v75
	v_mul_f32_e32 v73, v129, v73
	s_wait_loadcnt_dscnt 0xd0c
	v_dual_mul_f32 v190, v132, v77 :: v_dual_mul_f32 v191, v134, v79
	s_wait_loadcnt_dscnt 0xb0a
	v_dual_mul_f32 v194, v140, v85 :: v_dual_mul_f32 v195, v142, v87
	v_dual_mul_f32 v71, v127, v71 :: v_dual_mul_f32 v196, v144, v89
	s_wait_loadcnt_dscnt 0xa09
	v_dual_mul_f32 v197, v146, v91 :: v_dual_fmac_f32 v68, v127, v70
	s_wait_loadcnt_dscnt 0x302
	v_mul_f32_e32 v212, v176, v121
	v_fma_f32 v71, v126, v70, -v71
	s_wait_loadcnt_dscnt 0x100
	v_mul_f32_e32 v215, v186, v183
	v_mul_f32_e32 v70, v131, v75
	v_fmac_f32_e32 v188, v129, v72
	v_fma_f32 v72, v128, v72, -v73
	v_dual_add_f32 v71, 0, v71 :: v_dual_add_f32 v68, 0, v68
	v_mul_f32_e32 v73, v133, v77
	v_fmac_f32_e32 v189, v131, v74
	v_fma_f32 v70, v130, v74, -v70
	v_dual_mul_f32 v198, v148, v93 :: v_dual_mul_f32 v199, v150, v95
	v_add_f32_e32 v68, v68, v188
	v_add_f32_e32 v71, v71, v72
	v_mul_f32_e32 v72, v135, v79
	v_fma_f32 v73, v132, v76, -v73
	v_dual_fmac_f32 v190, v133, v76 :: v_dual_fmac_f32 v191, v135, v78
	v_add_f32_e32 v68, v68, v189
	v_dual_add_f32 v70, v71, v70 :: v_dual_mul_f32 v71, v137, v81
	v_fma_f32 v72, v134, v78, -v72
	v_dual_mul_f32 v200, v152, v97 :: v_dual_mul_f32 v201, v154, v99
	s_delay_alu instid0(VALU_DEP_3) | instskip(NEXT) | instid1(VALU_DEP_4)
	v_dual_add_f32 v70, v70, v73 :: v_dual_mul_f32 v73, v139, v83
	v_fma_f32 v71, v136, v80, -v71
	v_fmac_f32_e32 v195, v143, v86
	v_add_f32_e32 v68, v68, v190
	s_delay_alu instid0(VALU_DEP_4) | instskip(SKIP_2) | instid1(VALU_DEP_3)
	v_add_f32_e32 v70, v70, v72
	v_dual_mul_f32 v72, v141, v85 :: v_dual_fmac_f32 v197, v147, v90
	v_fma_f32 v73, v138, v82, -v73
	v_dual_fmac_f32 v199, v151, v94 :: v_dual_add_f32 v70, v70, v71
	v_mul_f32_e32 v71, v143, v87
	s_delay_alu instid0(VALU_DEP_4)
	v_fma_f32 v72, v140, v84, -v72
	v_dual_fmac_f32 v201, v155, v98 :: v_dual_mul_f32 v192, v136, v81
	v_mul_f32_e32 v193, v138, v83
	v_add_f32_e32 v70, v70, v73
	v_mul_f32_e32 v73, v145, v89
	v_fma_f32 v71, v142, v86, -v71
	v_dual_mul_f32 v204, v160, v105 :: v_dual_mul_f32 v205, v162, v107
	s_delay_alu instid0(VALU_DEP_4) | instskip(SKIP_3) | instid1(VALU_DEP_4)
	v_add_f32_e32 v70, v70, v72
	v_mul_f32_e32 v72, v147, v91
	v_fma_f32 v73, v144, v88, -v73
	v_dual_fmac_f32 v192, v137, v80 :: v_dual_fmac_f32 v193, v139, v82
	v_dual_add_f32 v70, v70, v71 :: v_dual_fmac_f32 v205, v163, v106
	v_dual_add_f32 v68, v68, v191 :: v_dual_mul_f32 v71, v149, v93
	v_fma_f32 v72, v146, v90, -v72
	s_delay_alu instid0(VALU_DEP_3) | instskip(NEXT) | instid1(VALU_DEP_3)
	v_dual_add_f32 v70, v70, v73 :: v_dual_mul_f32 v73, v151, v95
	v_add_f32_e32 v68, v68, v192
	s_delay_alu instid0(VALU_DEP_4) | instskip(SKIP_1) | instid1(VALU_DEP_4)
	v_fma_f32 v71, v148, v92, -v71
	v_fmac_f32_e32 v194, v141, v84
	v_add_f32_e32 v70, v70, v72
	v_mul_f32_e32 v72, v153, v97
	v_fma_f32 v73, v150, v94, -v73
	v_dual_mul_f32 v202, v156, v101 :: v_dual_mul_f32 v203, v158, v103
	s_delay_alu instid0(VALU_DEP_4) | instskip(SKIP_3) | instid1(VALU_DEP_4)
	v_add_f32_e32 v70, v70, v71
	v_mul_f32_e32 v71, v155, v99
	v_fma_f32 v72, v152, v96, -v72
	v_dual_fmac_f32 v215, v187, v182 :: v_dual_add_f32 v68, v68, v193
	v_dual_fmac_f32 v203, v159, v102 :: v_dual_add_f32 v70, v70, v73
	v_mul_f32_e32 v73, v157, v101
	v_fma_f32 v71, v154, v98, -v71
	s_delay_alu instid0(VALU_DEP_4)
	v_add_f32_e32 v68, v68, v194
	v_fmac_f32_e32 v196, v145, v88
	v_add_f32_e32 v70, v70, v72
	v_mul_f32_e32 v72, v159, v103
	v_fma_f32 v73, v156, v100, -v73
	v_dual_mul_f32 v206, v164, v109 :: v_dual_mul_f32 v207, v166, v111
	s_delay_alu instid0(VALU_DEP_4) | instskip(NEXT) | instid1(VALU_DEP_4)
	v_dual_add_f32 v70, v70, v71 :: v_dual_mul_f32 v71, v161, v105
	v_fma_f32 v72, v158, v102, -v72
	s_delay_alu instid0(VALU_DEP_3) | instskip(NEXT) | instid1(VALU_DEP_3)
	v_dual_add_f32 v68, v68, v195 :: v_dual_fmac_f32 v207, v167, v110
	v_dual_add_f32 v70, v70, v73 :: v_dual_mul_f32 v73, v163, v107
	s_delay_alu instid0(VALU_DEP_4) | instskip(NEXT) | instid1(VALU_DEP_3)
	v_fma_f32 v71, v160, v104, -v71
	v_add_f32_e32 v68, v68, v196
	v_dual_mul_f32 v208, v168, v113 :: v_dual_mul_f32 v209, v170, v115
	s_delay_alu instid0(VALU_DEP_4) | instskip(SKIP_3) | instid1(VALU_DEP_4)
	v_add_f32_e32 v70, v70, v72
	v_mul_f32_e32 v72, v165, v109
	v_fma_f32 v73, v162, v106, -v73
	v_dual_mul_f32 v210, v172, v117 :: v_dual_mul_f32 v211, v174, v119
	v_add_f32_e32 v70, v70, v71
	v_mul_f32_e32 v71, v167, v111
	v_fma_f32 v72, v164, v108, -v72
	v_dual_fmac_f32 v198, v149, v92 :: v_dual_fmac_f32 v209, v171, v114
	s_delay_alu instid0(VALU_DEP_4) | instskip(NEXT) | instid1(VALU_DEP_4)
	v_add_f32_e32 v70, v70, v73
	v_fma_f32 v71, v166, v110, -v71
	v_dual_mul_f32 v213, v178, v123 :: v_dual_mul_f32 v214, v180, v125
	s_delay_alu instid0(VALU_DEP_3) | instskip(NEXT) | instid1(VALU_DEP_2)
	v_dual_fmac_f32 v211, v175, v118 :: v_dual_add_f32 v70, v70, v72
	v_dual_fmac_f32 v200, v153, v96 :: v_dual_fmac_f32 v213, v179, v122
	v_fmac_f32_e32 v202, v157, v100
	v_fmac_f32_e32 v204, v161, v104
	s_delay_alu instid0(VALU_DEP_4) | instskip(SKIP_4) | instid1(VALU_DEP_4)
	v_dual_add_f32 v70, v70, v71 :: v_dual_mul_f32 v71, v173, v117
	v_add_f32_e32 v68, v68, v197
	v_fmac_f32_e32 v206, v165, v108
	v_dual_mul_f32 v73, v169, v113 :: v_dual_mul_f32 v72, v171, v115
	v_fmac_f32_e32 v208, v169, v112
	v_add_f32_e32 v68, v68, v198
	v_fmac_f32_e32 v210, v173, v116
	s_delay_alu instid0(VALU_DEP_4)
	v_fma_f32 v73, v168, v112, -v73
	v_fma_f32 v72, v170, v114, -v72
	;; [unrolled: 1-line block ×3, first 2 shown]
	v_add_f32_e32 v68, v68, v199
	v_fmac_f32_e32 v212, v177, v120
	v_dual_add_f32 v70, v70, v73 :: v_dual_mul_f32 v73, v175, v119
	v_fmac_f32_e32 v214, v181, v124
	s_delay_alu instid0(VALU_DEP_4) | instskip(NEXT) | instid1(VALU_DEP_3)
	v_add_f32_e32 v68, v68, v200
	v_add_f32_e32 v70, v70, v72
	v_mul_f32_e32 v72, v177, v121
	v_fma_f32 v73, v174, v118, -v73
	s_delay_alu instid0(VALU_DEP_4) | instskip(NEXT) | instid1(VALU_DEP_4)
	v_add_f32_e32 v68, v68, v201
	v_add_f32_e32 v70, v70, v71
	v_mul_f32_e32 v71, v179, v123
	v_fma_f32 v72, v176, v120, -v72
	s_delay_alu instid0(VALU_DEP_4) | instskip(NEXT) | instid1(VALU_DEP_4)
	;; [unrolled: 5-line block ×4, first 2 shown]
	v_add_f32_e32 v68, v68, v204
	v_add_f32_e32 v70, v70, v71
	s_delay_alu instid0(VALU_DEP_4) | instskip(NEXT) | instid1(VALU_DEP_3)
	v_fma_f32 v71, v186, v182, -v72
	v_add_f32_e32 v68, v68, v205
	s_delay_alu instid0(VALU_DEP_3) | instskip(NEXT) | instid1(VALU_DEP_2)
	v_add_f32_e32 v70, v70, v73
	v_add_f32_e32 v68, v68, v206
	s_delay_alu instid0(VALU_DEP_2) | instskip(NEXT) | instid1(VALU_DEP_2)
	v_add_f32_e32 v70, v70, v71
	v_add_f32_e32 v68, v68, v207
	s_wait_loadcnt 0x0
	s_delay_alu instid0(VALU_DEP_2) | instskip(NEXT) | instid1(VALU_DEP_2)
	v_sub_f32_e32 v70, v184, v70
	v_add_f32_e32 v68, v68, v208
	s_delay_alu instid0(VALU_DEP_1) | instskip(NEXT) | instid1(VALU_DEP_1)
	v_add_f32_e32 v68, v68, v209
	v_add_f32_e32 v68, v68, v210
	s_delay_alu instid0(VALU_DEP_1) | instskip(NEXT) | instid1(VALU_DEP_1)
	v_add_f32_e32 v68, v68, v211
	;; [unrolled: 3-line block ×4, first 2 shown]
	v_sub_f32_e32 v71, v185, v68
	scratch_store_b64 off, v[70:71], off offset:24
	v_cmpx_lt_u32_e32 2, v0
	s_cbranch_execz .LBB96_207
; %bb.206:
	scratch_load_b64 v[70:71], off, off offset:16
	v_mov_b32_e32 v68, v67
	scratch_store_b64 off, v[67:68], off offset:16
	s_wait_loadcnt 0x0
	ds_store_b64 v69, v[70:71]
.LBB96_207:
	s_wait_alu 0xfffe
	s_or_b32 exec_lo, exec_lo, s0
	s_wait_storecnt_dscnt 0x0
	s_barrier_signal -1
	s_barrier_wait -1
	global_inv scope:SCOPE_SE
	s_clause 0xf
	scratch_load_b128 v[70:73], off, off offset:24
	scratch_load_b128 v[74:77], off, off offset:40
	;; [unrolled: 1-line block ×15, first 2 shown]
	scratch_load_b64 v[190:191], off, off offset:16
	ds_load_2addr_b64 v[130:133], v67 offset0:37 offset1:38
	ds_load_2addr_b64 v[134:137], v67 offset0:39 offset1:40
	;; [unrolled: 1-line block ×15, first 2 shown]
	s_mov_b32 s0, exec_lo
	s_wait_loadcnt_dscnt 0xf0e
	v_dual_mul_f32 v67, v130, v71 :: v_dual_mul_f32 v68, v132, v73
	v_mul_f32_e32 v71, v131, v71
	s_wait_loadcnt_dscnt 0xe0d
	v_dual_mul_f32 v73, v133, v73 :: v_dual_mul_f32 v192, v134, v75
	s_delay_alu instid0(VALU_DEP_3) | instskip(NEXT) | instid1(VALU_DEP_3)
	v_dual_mul_f32 v193, v136, v77 :: v_dual_fmac_f32 v68, v133, v72
	v_fma_f32 v71, v130, v70, -v71
	v_fmac_f32_e32 v67, v131, v70
	v_mul_f32_e32 v70, v135, v75
	v_fma_f32 v72, v132, v72, -v73
	v_mul_f32_e32 v73, v137, v77
	v_dual_add_f32 v71, 0, v71 :: v_dual_fmac_f32 v192, v135, v74
	s_delay_alu instid0(VALU_DEP_4) | instskip(SKIP_2) | instid1(VALU_DEP_3)
	v_fma_f32 v70, v134, v74, -v70
	s_wait_loadcnt_dscnt 0xd0c
	v_dual_mul_f32 v194, v138, v79 :: v_dual_mul_f32 v195, v140, v81
	v_add_f32_e32 v71, v71, v72
	v_fmac_f32_e32 v193, v137, v76
	v_fma_f32 v72, v136, v76, -v73
	s_wait_loadcnt_dscnt 0xc0b
	v_dual_mul_f32 v196, v142, v83 :: v_dual_mul_f32 v197, v144, v85
	v_dual_add_f32 v70, v71, v70 :: v_dual_mul_f32 v71, v141, v81
	v_fmac_f32_e32 v194, v139, v78
	s_wait_loadcnt_dscnt 0xb0a
	v_dual_mul_f32 v198, v146, v87 :: v_dual_mul_f32 v199, v148, v89
	s_delay_alu instid0(VALU_DEP_3) | instskip(SKIP_3) | instid1(VALU_DEP_4)
	v_dual_add_f32 v70, v70, v72 :: v_dual_add_f32 v67, 0, v67
	v_mul_f32_e32 v72, v143, v83
	v_fma_f32 v71, v140, v80, -v71
	v_dual_fmac_f32 v195, v141, v80 :: v_dual_fmac_f32 v196, v143, v82
	v_add_f32_e32 v67, v67, v68
	v_mul_f32_e32 v68, v139, v79
	v_fma_f32 v72, v142, v82, -v72
	v_dual_fmac_f32 v197, v145, v84 :: v_dual_fmac_f32 v198, v147, v86
	s_wait_loadcnt_dscnt 0xa09
	v_dual_mul_f32 v200, v150, v91 :: v_dual_mul_f32 v201, v152, v93
	v_fma_f32 v68, v138, v78, -v68
	s_wait_loadcnt_dscnt 0x908
	v_dual_mul_f32 v202, v154, v95 :: v_dual_mul_f32 v203, v156, v97
	s_wait_loadcnt_dscnt 0x807
	v_dual_mul_f32 v204, v158, v99 :: v_dual_mul_f32 v205, v160, v101
	v_add_f32_e32 v68, v70, v68
	v_mul_f32_e32 v70, v145, v85
	v_dual_fmac_f32 v202, v155, v94 :: v_dual_fmac_f32 v203, v157, v96
	s_delay_alu instid0(VALU_DEP_4) | instskip(NEXT) | instid1(VALU_DEP_4)
	v_dual_fmac_f32 v204, v159, v98 :: v_dual_fmac_f32 v205, v161, v100
	v_dual_add_f32 v68, v68, v71 :: v_dual_add_f32 v67, v67, v192
	v_mul_f32_e32 v71, v147, v87
	v_fma_f32 v70, v144, v84, -v70
	v_fmac_f32_e32 v199, v149, v88
	s_delay_alu instid0(VALU_DEP_4)
	v_add_f32_e32 v68, v68, v72
	v_mul_f32_e32 v72, v149, v89
	v_add_f32_e32 v67, v67, v193
	v_fma_f32 v71, v146, v86, -v71
	v_fmac_f32_e32 v200, v151, v90
	v_add_f32_e32 v68, v68, v70
	v_mul_f32_e32 v70, v151, v91
	v_add_f32_e32 v67, v67, v194
	v_fma_f32 v72, v148, v88, -v72
	s_delay_alu instid0(VALU_DEP_4) | instskip(SKIP_1) | instid1(VALU_DEP_4)
	v_dual_fmac_f32 v201, v153, v92 :: v_dual_add_f32 v68, v68, v71
	v_mul_f32_e32 v71, v153, v93
	v_add_f32_e32 v67, v67, v195
	v_fma_f32 v70, v150, v90, -v70
	s_wait_loadcnt_dscnt 0x706
	v_dual_mul_f32 v206, v162, v103 :: v_dual_mul_f32 v207, v164, v105
	v_add_f32_e32 v68, v68, v72
	v_add_f32_e32 v67, v67, v196
	v_fma_f32 v71, v152, v92, -v71
	v_mul_f32_e32 v72, v155, v95
	s_wait_loadcnt_dscnt 0x605
	v_dual_mul_f32 v208, v166, v107 :: v_dual_mul_f32 v209, v168, v109
	v_dual_add_f32 v68, v68, v70 :: v_dual_add_f32 v67, v67, v197
	v_mul_f32_e32 v70, v157, v97
	v_fma_f32 v72, v154, v94, -v72
	v_dual_fmac_f32 v206, v163, v102 :: v_dual_fmac_f32 v207, v165, v104
	s_delay_alu instid0(VALU_DEP_4)
	v_dual_add_f32 v68, v68, v71 :: v_dual_add_f32 v67, v67, v198
	v_mul_f32_e32 v71, v159, v99
	v_fma_f32 v70, v156, v96, -v70
	s_wait_loadcnt_dscnt 0x504
	v_dual_mul_f32 v210, v170, v111 :: v_dual_mul_f32 v211, v172, v113
	v_dual_add_f32 v67, v67, v199 :: v_dual_add_f32 v68, v68, v72
	v_mul_f32_e32 v72, v161, v101
	v_fma_f32 v71, v158, v98, -v71
	s_delay_alu instid0(VALU_DEP_4) | instskip(NEXT) | instid1(VALU_DEP_4)
	v_dual_fmac_f32 v208, v167, v106 :: v_dual_fmac_f32 v211, v173, v112
	v_dual_add_f32 v67, v67, v200 :: v_dual_add_f32 v68, v68, v70
	v_mul_f32_e32 v70, v163, v103
	v_fma_f32 v72, v160, v100, -v72
	v_fmac_f32_e32 v209, v169, v108
	s_delay_alu instid0(VALU_DEP_4)
	v_dual_add_f32 v67, v67, v201 :: v_dual_add_f32 v68, v68, v71
	v_mul_f32_e32 v71, v165, v105
	v_fma_f32 v70, v162, v102, -v70
	s_wait_loadcnt_dscnt 0x403
	v_dual_mul_f32 v212, v174, v115 :: v_dual_mul_f32 v213, v176, v117
	v_dual_add_f32 v67, v67, v202 :: v_dual_add_f32 v68, v68, v72
	v_mul_f32_e32 v72, v167, v107
	v_fma_f32 v71, v164, v104, -v71
	v_fmac_f32_e32 v210, v171, v110
	s_delay_alu instid0(VALU_DEP_4)
	v_dual_add_f32 v67, v67, v203 :: v_dual_add_f32 v68, v68, v70
	v_mul_f32_e32 v70, v169, v109
	v_fma_f32 v72, v166, v106, -v72
	s_wait_loadcnt_dscnt 0x302
	v_dual_mul_f32 v214, v178, v119 :: v_dual_mul_f32 v215, v180, v121
	;; [unrolled: 10-line block ×3, first 2 shown]
	v_add_f32_e32 v67, v67, v206
	v_add_f32_e32 v68, v68, v70
	v_mul_f32_e32 v70, v175, v115
	v_fma_f32 v72, v172, v112, -v72
	v_dual_fmac_f32 v212, v175, v114 :: v_dual_fmac_f32 v215, v181, v120
	v_add_f32_e32 v67, v67, v207
	v_dual_add_f32 v68, v68, v71 :: v_dual_mul_f32 v71, v177, v117
	v_fma_f32 v70, v174, v114, -v70
	v_fmac_f32_e32 v217, v185, v124
	s_delay_alu instid0(VALU_DEP_4) | instskip(NEXT) | instid1(VALU_DEP_4)
	v_add_f32_e32 v67, v67, v208
	v_add_f32_e32 v68, v68, v72
	v_mul_f32_e32 v72, v179, v119
	v_fma_f32 v71, v176, v116, -v71
	s_wait_loadcnt_dscnt 0x100
	v_dual_mul_f32 v218, v186, v127 :: v_dual_mul_f32 v219, v188, v129
	v_dual_add_f32 v67, v67, v209 :: v_dual_add_f32 v68, v68, v70
	v_mul_f32_e32 v70, v181, v121
	v_fma_f32 v72, v178, v118, -v72
	v_fmac_f32_e32 v214, v179, v118
	s_delay_alu instid0(VALU_DEP_4) | instskip(SKIP_3) | instid1(VALU_DEP_4)
	v_add_f32_e32 v67, v67, v210
	v_dual_fmac_f32 v216, v183, v122 :: v_dual_fmac_f32 v219, v189, v128
	v_fma_f32 v70, v180, v120, -v70
	v_fmac_f32_e32 v218, v187, v126
	v_add_f32_e32 v67, v67, v211
	s_delay_alu instid0(VALU_DEP_1) | instskip(NEXT) | instid1(VALU_DEP_1)
	v_dual_add_f32 v67, v67, v212 :: v_dual_add_f32 v68, v68, v71
	v_add_f32_e32 v67, v67, v213
	s_delay_alu instid0(VALU_DEP_2) | instskip(SKIP_1) | instid1(VALU_DEP_2)
	v_dual_mul_f32 v71, v183, v123 :: v_dual_add_f32 v68, v68, v72
	v_mul_f32_e32 v72, v185, v125
	v_fma_f32 v71, v182, v122, -v71
	s_delay_alu instid0(VALU_DEP_3) | instskip(SKIP_1) | instid1(VALU_DEP_4)
	v_add_f32_e32 v68, v68, v70
	v_mul_f32_e32 v70, v187, v127
	v_fma_f32 v72, v184, v124, -v72
	s_delay_alu instid0(VALU_DEP_3) | instskip(SKIP_1) | instid1(VALU_DEP_4)
	v_dual_add_f32 v68, v68, v71 :: v_dual_mul_f32 v71, v189, v129
	v_add_f32_e32 v67, v67, v214
	v_fma_f32 v70, v186, v126, -v70
	s_delay_alu instid0(VALU_DEP_3) | instskip(NEXT) | instid1(VALU_DEP_3)
	v_fma_f32 v71, v188, v128, -v71
	v_add_f32_e32 v67, v67, v215
	s_delay_alu instid0(VALU_DEP_1) | instskip(NEXT) | instid1(VALU_DEP_1)
	v_add_f32_e32 v67, v67, v216
	v_dual_add_f32 v68, v68, v72 :: v_dual_add_f32 v67, v67, v217
	s_delay_alu instid0(VALU_DEP_1) | instskip(NEXT) | instid1(VALU_DEP_1)
	v_add_f32_e32 v68, v68, v70
	v_dual_add_f32 v67, v67, v218 :: v_dual_add_f32 v68, v68, v71
	s_wait_loadcnt 0x0
	s_delay_alu instid0(VALU_DEP_1) | instskip(NEXT) | instid1(VALU_DEP_1)
	v_dual_add_f32 v70, v67, v219 :: v_dual_sub_f32 v67, v190, v68
	v_sub_f32_e32 v68, v191, v70
	scratch_store_b64 off, v[67:68], off offset:16
	v_cmpx_lt_u32_e32 1, v0
	s_cbranch_execz .LBB96_209
; %bb.208:
	scratch_load_b64 v[67:68], off, off offset:8
	v_mov_b32_e32 v70, 0
	s_delay_alu instid0(VALU_DEP_1)
	v_mov_b32_e32 v71, v70
	scratch_store_b64 off, v[70:71], off offset:8
	s_wait_loadcnt 0x0
	ds_store_b64 v69, v[67:68]
.LBB96_209:
	s_wait_alu 0xfffe
	s_or_b32 exec_lo, exec_lo, s0
	s_wait_storecnt_dscnt 0x0
	s_barrier_signal -1
	s_barrier_wait -1
	global_inv scope:SCOPE_SE
	s_clause 0x10
	scratch_load_b128 v[70:73], off, off offset:16
	scratch_load_b128 v[74:77], off, off offset:32
	;; [unrolled: 1-line block ×15, first 2 shown]
	scratch_load_b64 v[190:191], off, off offset:256
	scratch_load_b64 v[192:193], off, off offset:8
	v_mov_b32_e32 v67, 0
	ds_load_b128 v[130:133], v67 offset:288
	ds_load_b128 v[134:137], v67 offset:304
	;; [unrolled: 1-line block ×15, first 2 shown]
	ds_load_b64 v[194:195], v67 offset:528
	s_mov_b32 s0, exec_lo
	s_wait_loadcnt_dscnt 0x100f
	v_mul_f32_e32 v68, v130, v71
	s_wait_loadcnt_dscnt 0xf0e
	v_dual_mul_f32 v196, v132, v73 :: v_dual_mul_f32 v197, v134, v75
	v_mul_f32_e32 v73, v133, v73
	s_wait_loadcnt_dscnt 0xe0d
	v_dual_mul_f32 v198, v136, v77 :: v_dual_mul_f32 v199, v138, v79
	s_wait_loadcnt_dscnt 0xc0b
	v_dual_mul_f32 v202, v144, v85 :: v_dual_mul_f32 v203, v146, v87
	;; [unrolled: 2-line block ×3, first 2 shown]
	v_mul_f32_e32 v71, v131, v71
	v_fmac_f32_e32 v68, v131, v70
	s_wait_loadcnt_dscnt 0xa09
	v_dual_mul_f32 v206, v152, v93 :: v_dual_mul_f32 v207, v154, v95
	s_wait_loadcnt_dscnt 0x100
	v_dual_mul_f32 v222, v184, v125 :: v_dual_mul_f32 v225, v194, v191
	v_fma_f32 v71, v130, v70, -v71
	v_mul_f32_e32 v70, v135, v75
	v_fmac_f32_e32 v196, v133, v72
	v_fma_f32 v72, v132, v72, -v73
	v_dual_add_f32 v68, 0, v68 :: v_dual_mul_f32 v73, v137, v77
	v_add_f32_e32 v71, 0, v71
	v_fmac_f32_e32 v197, v135, v74
	v_fma_f32 v70, v134, v74, -v70
	s_delay_alu instid0(VALU_DEP_4)
	v_add_f32_e32 v68, v68, v196
	v_fma_f32 v73, v136, v76, -v73
	v_add_f32_e32 v71, v71, v72
	v_mul_f32_e32 v72, v139, v79
	v_dual_fmac_f32 v198, v137, v76 :: v_dual_fmac_f32 v199, v139, v78
	v_add_f32_e32 v68, v68, v197
	s_delay_alu instid0(VALU_DEP_4) | instskip(NEXT) | instid1(VALU_DEP_4)
	v_dual_add_f32 v70, v71, v70 :: v_dual_mul_f32 v71, v141, v81
	v_fma_f32 v72, v138, v78, -v72
	v_dual_mul_f32 v208, v156, v97 :: v_dual_mul_f32 v209, v158, v99
	s_delay_alu instid0(VALU_DEP_3) | instskip(NEXT) | instid1(VALU_DEP_4)
	v_dual_add_f32 v70, v70, v73 :: v_dual_mul_f32 v73, v143, v83
	v_fma_f32 v71, v140, v80, -v71
	v_fmac_f32_e32 v203, v147, v86
	v_add_f32_e32 v68, v68, v198
	s_delay_alu instid0(VALU_DEP_4) | instskip(SKIP_2) | instid1(VALU_DEP_3)
	v_add_f32_e32 v70, v70, v72
	v_dual_mul_f32 v72, v145, v85 :: v_dual_fmac_f32 v205, v151, v90
	v_fma_f32 v73, v142, v82, -v73
	v_dual_fmac_f32 v207, v155, v94 :: v_dual_add_f32 v70, v70, v71
	v_mul_f32_e32 v71, v147, v87
	s_delay_alu instid0(VALU_DEP_4)
	v_fma_f32 v72, v144, v84, -v72
	v_dual_fmac_f32 v209, v159, v98 :: v_dual_mul_f32 v200, v140, v81
	v_mul_f32_e32 v201, v142, v83
	v_add_f32_e32 v70, v70, v73
	v_mul_f32_e32 v73, v149, v89
	v_fma_f32 v71, v146, v86, -v71
	v_dual_mul_f32 v212, v164, v105 :: v_dual_mul_f32 v213, v166, v107
	s_delay_alu instid0(VALU_DEP_4) | instskip(SKIP_3) | instid1(VALU_DEP_4)
	v_add_f32_e32 v70, v70, v72
	v_mul_f32_e32 v72, v151, v91
	v_fma_f32 v73, v148, v88, -v73
	v_dual_fmac_f32 v200, v141, v80 :: v_dual_fmac_f32 v201, v143, v82
	v_dual_add_f32 v70, v70, v71 :: v_dual_fmac_f32 v213, v167, v106
	v_dual_add_f32 v68, v68, v199 :: v_dual_mul_f32 v71, v153, v93
	v_fma_f32 v72, v150, v90, -v72
	s_delay_alu instid0(VALU_DEP_3) | instskip(NEXT) | instid1(VALU_DEP_3)
	v_dual_add_f32 v70, v70, v73 :: v_dual_mul_f32 v73, v155, v95
	v_add_f32_e32 v68, v68, v200
	s_delay_alu instid0(VALU_DEP_4) | instskip(SKIP_1) | instid1(VALU_DEP_4)
	v_fma_f32 v71, v152, v92, -v71
	v_dual_mul_f32 v223, v186, v127 :: v_dual_mul_f32 v224, v188, v129
	v_add_f32_e32 v70, v70, v72
	v_mul_f32_e32 v72, v157, v97
	v_fma_f32 v73, v154, v94, -v73
	v_fmac_f32_e32 v202, v145, v84
	v_dual_mul_f32 v210, v160, v101 :: v_dual_mul_f32 v211, v162, v103
	v_add_f32_e32 v70, v70, v71
	v_mul_f32_e32 v71, v159, v99
	v_fma_f32 v72, v156, v96, -v72
	v_dual_fmac_f32 v223, v187, v126 :: v_dual_add_f32 v68, v68, v201
	s_delay_alu instid0(VALU_DEP_4) | instskip(SKIP_2) | instid1(VALU_DEP_4)
	v_dual_fmac_f32 v211, v163, v102 :: v_dual_add_f32 v70, v70, v73
	v_mul_f32_e32 v73, v161, v101
	v_fma_f32 v71, v158, v98, -v71
	v_add_f32_e32 v68, v68, v202
	v_fmac_f32_e32 v204, v149, v88
	v_add_f32_e32 v70, v70, v72
	v_mul_f32_e32 v72, v163, v103
	v_fma_f32 v73, v160, v100, -v73
	v_dual_mul_f32 v214, v168, v109 :: v_dual_mul_f32 v215, v170, v111
	s_delay_alu instid0(VALU_DEP_4) | instskip(NEXT) | instid1(VALU_DEP_4)
	v_dual_add_f32 v70, v70, v71 :: v_dual_mul_f32 v71, v165, v105
	v_fma_f32 v72, v162, v102, -v72
	s_delay_alu instid0(VALU_DEP_3) | instskip(NEXT) | instid1(VALU_DEP_3)
	v_dual_add_f32 v68, v68, v203 :: v_dual_fmac_f32 v215, v171, v110
	v_dual_add_f32 v70, v70, v73 :: v_dual_mul_f32 v73, v167, v107
	s_delay_alu instid0(VALU_DEP_4) | instskip(NEXT) | instid1(VALU_DEP_3)
	v_fma_f32 v71, v164, v104, -v71
	v_add_f32_e32 v68, v68, v204
	v_dual_mul_f32 v216, v172, v113 :: v_dual_mul_f32 v217, v174, v115
	s_delay_alu instid0(VALU_DEP_4) | instskip(SKIP_3) | instid1(VALU_DEP_4)
	v_add_f32_e32 v70, v70, v72
	v_mul_f32_e32 v72, v169, v109
	v_fma_f32 v73, v166, v106, -v73
	v_dual_mul_f32 v218, v176, v117 :: v_dual_mul_f32 v219, v178, v119
	v_add_f32_e32 v70, v70, v71
	v_mul_f32_e32 v71, v171, v111
	v_fma_f32 v72, v168, v108, -v72
	v_dual_fmac_f32 v206, v153, v92 :: v_dual_fmac_f32 v217, v175, v114
	s_delay_alu instid0(VALU_DEP_4)
	v_add_f32_e32 v70, v70, v73
	v_mul_f32_e32 v73, v173, v113
	v_fma_f32 v71, v170, v110, -v71
	v_dual_fmac_f32 v219, v179, v118 :: v_dual_mul_f32 v220, v180, v121
	v_mul_f32_e32 v221, v182, v123
	v_add_f32_e32 v70, v70, v72
	v_mul_f32_e32 v72, v175, v115
	v_fma_f32 v73, v172, v112, -v73
	s_delay_alu instid0(VALU_DEP_4) | instskip(NEXT) | instid1(VALU_DEP_4)
	v_dual_fmac_f32 v208, v157, v96 :: v_dual_fmac_f32 v221, v183, v122
	v_dual_add_f32 v70, v70, v71 :: v_dual_mul_f32 v71, v177, v117
	s_delay_alu instid0(VALU_DEP_4) | instskip(SKIP_2) | instid1(VALU_DEP_4)
	v_fma_f32 v72, v174, v114, -v72
	v_add_f32_e32 v68, v68, v205
	v_fmac_f32_e32 v210, v161, v100
	v_dual_add_f32 v70, v70, v73 :: v_dual_mul_f32 v73, v179, v119
	v_fma_f32 v71, v176, v116, -v71
	s_delay_alu instid0(VALU_DEP_4) | instskip(SKIP_1) | instid1(VALU_DEP_4)
	v_add_f32_e32 v68, v68, v206
	v_fmac_f32_e32 v212, v165, v104
	v_add_f32_e32 v70, v70, v72
	v_mul_f32_e32 v72, v181, v121
	v_fma_f32 v73, v178, v118, -v73
	v_fmac_f32_e32 v214, v169, v108
	v_fmac_f32_e32 v216, v173, v112
	v_add_f32_e32 v70, v70, v71
	v_mul_f32_e32 v71, v183, v123
	v_fma_f32 v72, v180, v120, -v72
	v_fmac_f32_e32 v218, v177, v116
	v_fmac_f32_e32 v220, v181, v120
	v_add_f32_e32 v70, v70, v73
	v_fma_f32 v71, v182, v122, -v71
	v_fmac_f32_e32 v225, v195, v190
	v_mul_f32_e32 v73, v185, v125
	v_fmac_f32_e32 v222, v185, v124
	v_add_f32_e32 v70, v70, v72
	v_mul_f32_e32 v72, v187, v127
	v_fmac_f32_e32 v224, v189, v128
	v_fma_f32 v73, v184, v124, -v73
	s_delay_alu instid0(VALU_DEP_4) | instskip(SKIP_2) | instid1(VALU_DEP_3)
	v_dual_add_f32 v70, v70, v71 :: v_dual_mul_f32 v71, v189, v129
	v_add_f32_e32 v68, v68, v207
	v_fma_f32 v72, v186, v126, -v72
	v_dual_add_f32 v70, v70, v73 :: v_dual_mul_f32 v73, v195, v191
	s_delay_alu instid0(VALU_DEP_3) | instskip(SKIP_1) | instid1(VALU_DEP_3)
	v_add_f32_e32 v68, v68, v208
	v_fma_f32 v71, v188, v128, -v71
	v_add_f32_e32 v70, v70, v72
	s_delay_alu instid0(VALU_DEP_4) | instskip(NEXT) | instid1(VALU_DEP_4)
	v_fma_f32 v72, v194, v190, -v73
	v_add_f32_e32 v68, v68, v209
	s_delay_alu instid0(VALU_DEP_3) | instskip(NEXT) | instid1(VALU_DEP_2)
	v_add_f32_e32 v70, v70, v71
	v_add_f32_e32 v68, v68, v210
	s_delay_alu instid0(VALU_DEP_2) | instskip(NEXT) | instid1(VALU_DEP_2)
	v_add_f32_e32 v70, v70, v72
	v_add_f32_e32 v68, v68, v211
	s_wait_loadcnt 0x0
	s_delay_alu instid0(VALU_DEP_2) | instskip(NEXT) | instid1(VALU_DEP_2)
	v_sub_f32_e32 v70, v192, v70
	v_add_f32_e32 v68, v68, v212
	s_delay_alu instid0(VALU_DEP_1) | instskip(NEXT) | instid1(VALU_DEP_1)
	v_add_f32_e32 v68, v68, v213
	v_add_f32_e32 v68, v68, v214
	s_delay_alu instid0(VALU_DEP_1) | instskip(NEXT) | instid1(VALU_DEP_1)
	v_add_f32_e32 v68, v68, v215
	;; [unrolled: 3-line block ×7, first 2 shown]
	v_sub_f32_e32 v71, v193, v68
	scratch_store_b64 off, v[70:71], off offset:8
	v_cmpx_ne_u32_e32 0, v0
	s_cbranch_execz .LBB96_211
; %bb.210:
	scratch_load_b64 v[70:71], off, off
	v_mov_b32_e32 v68, v67
	scratch_store_b64 off, v[67:68], off
	s_wait_loadcnt 0x0
	ds_store_b64 v69, v[70:71]
.LBB96_211:
	s_wait_alu 0xfffe
	s_or_b32 exec_lo, exec_lo, s0
	s_wait_storecnt_dscnt 0x0
	s_barrier_signal -1
	s_barrier_wait -1
	global_inv scope:SCOPE_SE
	s_clause 0x10
	scratch_load_b128 v[68:71], off, off offset:8
	scratch_load_b128 v[72:75], off, off offset:24
	;; [unrolled: 1-line block ×16, first 2 shown]
	scratch_load_b64 v[196:197], off, off
	ds_load_2addr_b64 v[132:135], v67 offset0:35 offset1:36
	ds_load_2addr_b64 v[136:139], v67 offset0:37 offset1:38
	;; [unrolled: 1-line block ×16, first 2 shown]
	s_and_b32 vcc_lo, exec_lo, s12
	s_wait_loadcnt_dscnt 0x100f
	v_dual_mul_f32 v0, v132, v69 :: v_dual_mul_f32 v67, v134, v71
	s_wait_loadcnt_dscnt 0xf0e
	v_dual_mul_f32 v71, v135, v71 :: v_dual_mul_f32 v198, v136, v73
	s_delay_alu instid0(VALU_DEP_2) | instskip(SKIP_2) | instid1(VALU_DEP_4)
	v_dual_mul_f32 v199, v138, v75 :: v_dual_fmac_f32 v0, v133, v68
	v_mul_f32_e32 v69, v133, v69
	v_fmac_f32_e32 v67, v135, v70
	v_fma_f32 v70, v134, v70, -v71
	s_wait_loadcnt_dscnt 0xe0d
	v_dual_mul_f32 v200, v140, v77 :: v_dual_mul_f32 v201, v142, v79
	v_add_f32_e32 v0, 0, v0
	v_fma_f32 v69, v132, v68, -v69
	v_mul_f32_e32 v68, v137, v73
	v_dual_fmac_f32 v198, v137, v72 :: v_dual_fmac_f32 v199, v139, v74
	s_delay_alu instid0(VALU_DEP_3) | instskip(NEXT) | instid1(VALU_DEP_3)
	v_dual_fmac_f32 v200, v141, v76 :: v_dual_add_f32 v69, 0, v69
	v_fma_f32 v68, v136, v72, -v68
	v_dual_add_f32 v0, v0, v67 :: v_dual_mul_f32 v67, v141, v77
	s_wait_loadcnt_dscnt 0xd0c
	v_dual_mul_f32 v202, v144, v81 :: v_dual_mul_f32 v203, v146, v83
	v_add_f32_e32 v69, v69, v70
	s_delay_alu instid0(VALU_DEP_3) | instskip(SKIP_1) | instid1(VALU_DEP_3)
	v_dual_mul_f32 v71, v139, v75 :: v_dual_add_f32 v0, v0, v198
	v_fma_f32 v67, v140, v76, -v67
	v_dual_fmac_f32 v201, v143, v78 :: v_dual_add_f32 v68, v69, v68
	s_delay_alu instid0(VALU_DEP_3) | instskip(SKIP_3) | instid1(VALU_DEP_4)
	v_fma_f32 v70, v138, v74, -v71
	v_mul_f32_e32 v69, v143, v79
	v_add_f32_e32 v0, v0, v199
	v_dual_fmac_f32 v202, v145, v80 :: v_dual_fmac_f32 v203, v147, v82
	v_add_f32_e32 v68, v68, v70
	v_mul_f32_e32 v70, v145, v81
	v_fma_f32 v69, v142, v78, -v69
	s_wait_loadcnt_dscnt 0xc0b
	v_dual_mul_f32 v204, v148, v85 :: v_dual_mul_f32 v205, v150, v87
	v_add_f32_e32 v67, v68, v67
	v_add_f32_e32 v0, v0, v200
	v_mul_f32_e32 v68, v147, v83
	v_fma_f32 v70, v144, v80, -v70
	v_dual_fmac_f32 v204, v149, v84 :: v_dual_fmac_f32 v205, v151, v86
	v_add_f32_e32 v67, v67, v69
	v_add_f32_e32 v0, v0, v201
	v_mul_f32_e32 v69, v149, v85
	v_fma_f32 v68, v146, v82, -v68
	s_wait_loadcnt_dscnt 0xb0a
	v_dual_mul_f32 v206, v152, v89 :: v_dual_mul_f32 v207, v154, v91
	v_add_f32_e32 v67, v67, v70
	v_add_f32_e32 v0, v0, v202
	v_mul_f32_e32 v70, v151, v87
	v_fma_f32 v69, v148, v84, -v69
	s_wait_loadcnt_dscnt 0xa09
	v_dual_mul_f32 v208, v156, v93 :: v_dual_mul_f32 v209, v158, v95
	v_dual_add_f32 v67, v67, v68 :: v_dual_add_f32 v0, v0, v203
	v_mul_f32_e32 v68, v153, v89
	v_fma_f32 v70, v150, v86, -v70
	v_dual_fmac_f32 v206, v153, v88 :: v_dual_fmac_f32 v207, v155, v90
	s_delay_alu instid0(VALU_DEP_4) | instskip(SKIP_3) | instid1(VALU_DEP_4)
	v_dual_add_f32 v67, v67, v69 :: v_dual_add_f32 v0, v0, v204
	v_mul_f32_e32 v69, v155, v91
	v_fma_f32 v68, v152, v88, -v68
	v_fmac_f32_e32 v209, v159, v94
	v_dual_add_f32 v67, v67, v70 :: v_dual_add_f32 v0, v0, v205
	v_mul_f32_e32 v70, v157, v93
	v_fma_f32 v69, v154, v90, -v69
	s_wait_loadcnt_dscnt 0x908
	v_dual_mul_f32 v210, v160, v97 :: v_dual_mul_f32 v211, v162, v99
	v_dual_add_f32 v67, v67, v68 :: v_dual_add_f32 v0, v0, v206
	v_mul_f32_e32 v68, v159, v95
	v_fma_f32 v70, v156, v92, -v70
	s_delay_alu instid0(VALU_DEP_4) | instskip(NEXT) | instid1(VALU_DEP_4)
	v_fmac_f32_e32 v211, v163, v98
	v_dual_add_f32 v67, v67, v69 :: v_dual_fmac_f32 v208, v157, v92
	v_mul_f32_e32 v69, v161, v97
	v_fma_f32 v68, v158, v94, -v68
	s_wait_loadcnt_dscnt 0x807
	v_dual_mul_f32 v212, v164, v101 :: v_dual_mul_f32 v213, v166, v103
	v_dual_add_f32 v67, v67, v70 :: v_dual_add_f32 v0, v0, v207
	v_mul_f32_e32 v70, v163, v99
	v_fma_f32 v69, v160, v96, -v69
	s_wait_loadcnt_dscnt 0x706
	v_dual_mul_f32 v214, v168, v105 :: v_dual_mul_f32 v215, v170, v107
	v_add_f32_e32 v67, v67, v68
	v_add_f32_e32 v0, v0, v208
	v_fmac_f32_e32 v210, v161, v96
	v_fma_f32 v70, v162, v98, -v70
	v_dual_fmac_f32 v212, v165, v100 :: v_dual_fmac_f32 v213, v167, v102
	v_add_f32_e32 v67, v67, v69
	v_mul_f32_e32 v68, v165, v101
	v_dual_add_f32 v0, v0, v209 :: v_dual_mul_f32 v69, v167, v103
	v_fmac_f32_e32 v215, v171, v106
	s_delay_alu instid0(VALU_DEP_4) | instskip(NEXT) | instid1(VALU_DEP_4)
	v_add_f32_e32 v67, v67, v70
	v_fma_f32 v68, v164, v100, -v68
	s_delay_alu instid0(VALU_DEP_4)
	v_add_f32_e32 v0, v0, v210
	v_mul_f32_e32 v70, v169, v105
	v_fma_f32 v69, v166, v102, -v69
	s_wait_loadcnt_dscnt 0x605
	v_dual_mul_f32 v216, v172, v109 :: v_dual_mul_f32 v217, v174, v111
	v_dual_add_f32 v67, v67, v68 :: v_dual_add_f32 v0, v0, v211
	v_mul_f32_e32 v68, v171, v107
	v_fma_f32 v70, v168, v104, -v70
	s_delay_alu instid0(VALU_DEP_4) | instskip(NEXT) | instid1(VALU_DEP_4)
	v_dual_fmac_f32 v214, v169, v104 :: v_dual_fmac_f32 v217, v175, v110
	v_dual_add_f32 v67, v67, v69 :: v_dual_add_f32 v0, v0, v212
	v_mul_f32_e32 v69, v173, v109
	v_fma_f32 v68, v170, v106, -v68
	s_wait_loadcnt_dscnt 0x504
	v_dual_mul_f32 v218, v176, v113 :: v_dual_mul_f32 v219, v178, v115
	v_dual_add_f32 v67, v67, v70 :: v_dual_add_f32 v0, v0, v213
	v_mul_f32_e32 v70, v175, v111
	v_fma_f32 v69, v172, v108, -v69
	v_fmac_f32_e32 v216, v173, v108
	s_delay_alu instid0(VALU_DEP_4) | instskip(SKIP_2) | instid1(VALU_DEP_3)
	v_dual_add_f32 v67, v67, v68 :: v_dual_add_f32 v0, v0, v214
	v_dual_mul_f32 v68, v177, v113 :: v_dual_fmac_f32 v219, v179, v114
	v_fma_f32 v70, v174, v110, -v70
	v_dual_add_f32 v67, v67, v69 :: v_dual_add_f32 v0, v0, v215
	v_mul_f32_e32 v69, v179, v115
	s_delay_alu instid0(VALU_DEP_4) | instskip(SKIP_4) | instid1(VALU_DEP_3)
	v_fma_f32 v68, v176, v112, -v68
	s_wait_loadcnt_dscnt 0x403
	v_dual_mul_f32 v220, v180, v117 :: v_dual_mul_f32 v221, v182, v119
	v_dual_add_f32 v67, v67, v70 :: v_dual_mul_f32 v70, v181, v117
	v_fma_f32 v69, v178, v114, -v69
	v_dual_fmac_f32 v218, v177, v112 :: v_dual_fmac_f32 v221, v183, v118
	s_delay_alu instid0(VALU_DEP_3)
	v_add_f32_e32 v67, v67, v68
	v_add_f32_e32 v0, v0, v216
	v_mul_f32_e32 v68, v183, v119
	v_fma_f32 v70, v180, v116, -v70
	s_wait_loadcnt_dscnt 0x302
	v_dual_mul_f32 v222, v184, v121 :: v_dual_mul_f32 v223, v186, v123
	v_add_f32_e32 v67, v67, v69
	v_add_f32_e32 v0, v0, v217
	v_mul_f32_e32 v69, v185, v121
	v_fma_f32 v68, v182, v118, -v68
	v_dual_fmac_f32 v220, v181, v116 :: v_dual_fmac_f32 v223, v187, v122
	v_add_f32_e32 v67, v67, v70
	v_add_f32_e32 v0, v0, v218
	v_mul_f32_e32 v70, v187, v123
	v_fma_f32 v69, v184, v120, -v69
	s_wait_loadcnt_dscnt 0x100
	v_dual_mul_f32 v226, v192, v129 :: v_dual_mul_f32 v227, v194, v131
	v_dual_add_f32 v67, v67, v68 :: v_dual_add_f32 v0, v0, v219
	v_mul_f32_e32 v68, v189, v125
	v_fma_f32 v70, v186, v122, -v70
	v_dual_mul_f32 v224, v188, v125 :: v_dual_mul_f32 v225, v190, v127
	s_delay_alu instid0(VALU_DEP_4) | instskip(SKIP_3) | instid1(VALU_DEP_4)
	v_dual_add_f32 v67, v67, v69 :: v_dual_add_f32 v0, v0, v220
	v_dual_mul_f32 v69, v191, v127 :: v_dual_fmac_f32 v222, v185, v120
	v_fmac_f32_e32 v227, v195, v130
	v_fma_f32 v68, v188, v124, -v68
	v_dual_add_f32 v0, v0, v221 :: v_dual_fmac_f32 v225, v191, v126
	v_add_f32_e32 v67, v67, v70
	v_fma_f32 v69, v190, v126, -v69
	s_delay_alu instid0(VALU_DEP_2) | instskip(SKIP_1) | instid1(VALU_DEP_2)
	v_dual_add_f32 v0, v0, v222 :: v_dual_add_f32 v67, v67, v68
	v_mul_f32_e32 v68, v195, v131
	v_dual_fmac_f32 v224, v189, v124 :: v_dual_add_f32 v67, v67, v69
	s_delay_alu instid0(VALU_DEP_2) | instskip(SKIP_1) | instid1(VALU_DEP_1)
	v_fma_f32 v68, v194, v130, -v68
	v_mul_f32_e32 v70, v193, v129
	v_fma_f32 v70, v192, v128, -v70
	s_delay_alu instid0(VALU_DEP_1) | instskip(NEXT) | instid1(VALU_DEP_1)
	v_dual_add_f32 v0, v0, v223 :: v_dual_add_f32 v67, v67, v70
	v_add_f32_e32 v0, v0, v224
	s_delay_alu instid0(VALU_DEP_2) | instskip(SKIP_1) | instid1(VALU_DEP_3)
	v_add_f32_e32 v67, v67, v68
	v_fmac_f32_e32 v226, v193, v128
	v_add_f32_e32 v0, v0, v225
	s_wait_loadcnt 0x0
	s_delay_alu instid0(VALU_DEP_3) | instskip(NEXT) | instid1(VALU_DEP_2)
	v_sub_f32_e32 v67, v196, v67
	v_add_f32_e32 v0, v0, v226
	s_delay_alu instid0(VALU_DEP_1) | instskip(NEXT) | instid1(VALU_DEP_1)
	v_add_f32_e32 v0, v0, v227
	v_sub_f32_e32 v68, v197, v0
	scratch_store_b64 off, v[67:68], off
	s_wait_alu 0xfffe
	s_cbranch_vccz .LBB96_276
; %bb.212:
	v_mov_b32_e32 v0, 0
	global_load_b32 v67, v0, s[2:3] offset:124
	s_wait_loadcnt 0x0
	v_cmp_ne_u32_e32 vcc_lo, 32, v67
	s_cbranch_vccz .LBB96_214
; %bb.213:
	v_lshlrev_b32_e32 v67, 3, v67
	s_delay_alu instid0(VALU_DEP_1)
	v_mov_b32_e32 v71, v67
	scratch_load_b64 v[67:68], v71, off offset:-8
	scratch_load_b64 v[69:70], off, off offset:248
	s_wait_loadcnt 0x1
	scratch_store_b64 off, v[67:68], off offset:248
	s_wait_loadcnt 0x0
	scratch_store_b64 v71, v[69:70], off offset:-8
.LBB96_214:
	global_load_b32 v0, v0, s[2:3] offset:120
	s_wait_loadcnt 0x0
	v_cmp_eq_u32_e32 vcc_lo, 31, v0
	s_cbranch_vccnz .LBB96_216
; %bb.215:
	v_lshlrev_b32_e32 v0, 3, v0
	scratch_load_b64 v[67:68], v0, off offset:-8
	scratch_load_b64 v[69:70], off, off offset:240
	s_wait_loadcnt 0x1
	scratch_store_b64 off, v[67:68], off offset:240
	s_wait_loadcnt 0x0
	scratch_store_b64 v0, v[69:70], off offset:-8
.LBB96_216:
	v_mov_b32_e32 v0, 0
	global_load_b32 v67, v0, s[2:3] offset:116
	s_wait_loadcnt 0x0
	v_cmp_eq_u32_e32 vcc_lo, 30, v67
	s_cbranch_vccnz .LBB96_218
; %bb.217:
	v_lshlrev_b32_e32 v67, 3, v67
	s_delay_alu instid0(VALU_DEP_1)
	v_mov_b32_e32 v71, v67
	scratch_load_b64 v[67:68], v71, off offset:-8
	scratch_load_b64 v[69:70], off, off offset:232
	s_wait_loadcnt 0x1
	scratch_store_b64 off, v[67:68], off offset:232
	s_wait_loadcnt 0x0
	scratch_store_b64 v71, v[69:70], off offset:-8
.LBB96_218:
	global_load_b32 v0, v0, s[2:3] offset:112
	s_wait_loadcnt 0x0
	v_cmp_eq_u32_e32 vcc_lo, 29, v0
	s_cbranch_vccnz .LBB96_220
; %bb.219:
	v_lshlrev_b32_e32 v0, 3, v0
	scratch_load_b64 v[67:68], v0, off offset:-8
	scratch_load_b64 v[69:70], off, off offset:224
	s_wait_loadcnt 0x1
	scratch_store_b64 off, v[67:68], off offset:224
	s_wait_loadcnt 0x0
	scratch_store_b64 v0, v[69:70], off offset:-8
.LBB96_220:
	v_mov_b32_e32 v0, 0
	global_load_b32 v67, v0, s[2:3] offset:108
	s_wait_loadcnt 0x0
	v_cmp_eq_u32_e32 vcc_lo, 28, v67
	s_cbranch_vccnz .LBB96_222
; %bb.221:
	v_lshlrev_b32_e32 v67, 3, v67
	s_delay_alu instid0(VALU_DEP_1)
	v_mov_b32_e32 v71, v67
	scratch_load_b64 v[67:68], v71, off offset:-8
	scratch_load_b64 v[69:70], off, off offset:216
	s_wait_loadcnt 0x1
	scratch_store_b64 off, v[67:68], off offset:216
	s_wait_loadcnt 0x0
	scratch_store_b64 v71, v[69:70], off offset:-8
.LBB96_222:
	;; [unrolled: 29-line block ×15, first 2 shown]
	global_load_b32 v0, v0, s[2:3]
	s_wait_loadcnt 0x0
	v_cmp_eq_u32_e32 vcc_lo, 1, v0
	s_cbranch_vccnz .LBB96_276
; %bb.275:
	v_lshlrev_b32_e32 v0, 3, v0
	scratch_load_b64 v[67:68], v0, off offset:-8
	scratch_load_b64 v[69:70], off, off
	s_wait_loadcnt 0x1
	scratch_store_b64 off, v[67:68], off
	s_wait_loadcnt 0x0
	scratch_store_b64 v0, v[69:70], off offset:-8
.LBB96_276:
	scratch_load_b64 v[67:68], off, off
	s_wait_loadcnt 0x0
	flat_store_b64 v[1:2], v[67:68]
	scratch_load_b64 v[0:1], off, off offset:8
	s_wait_loadcnt 0x0
	flat_store_b64 v[3:4], v[0:1]
	scratch_load_b64 v[0:1], off, off offset:16
	;; [unrolled: 3-line block ×32, first 2 shown]
	s_wait_loadcnt 0x0
	flat_store_b64 v[65:66], v[0:1]
	s_nop 0
	s_sendmsg sendmsg(MSG_DEALLOC_VGPRS)
	s_endpgm
	.section	.rodata,"a",@progbits
	.p2align	6, 0x0
	.amdhsa_kernel _ZN9rocsolver6v33100L18getri_kernel_smallILi33E19rocblas_complex_numIfEPKPS3_EEvT1_iilPiilS8_bb
		.amdhsa_group_segment_fixed_size 536
		.amdhsa_private_segment_fixed_size 272
		.amdhsa_kernarg_size 60
		.amdhsa_user_sgpr_count 2
		.amdhsa_user_sgpr_dispatch_ptr 0
		.amdhsa_user_sgpr_queue_ptr 0
		.amdhsa_user_sgpr_kernarg_segment_ptr 1
		.amdhsa_user_sgpr_dispatch_id 0
		.amdhsa_user_sgpr_private_segment_size 0
		.amdhsa_wavefront_size32 1
		.amdhsa_uses_dynamic_stack 0
		.amdhsa_enable_private_segment 1
		.amdhsa_system_sgpr_workgroup_id_x 1
		.amdhsa_system_sgpr_workgroup_id_y 0
		.amdhsa_system_sgpr_workgroup_id_z 0
		.amdhsa_system_sgpr_workgroup_info 0
		.amdhsa_system_vgpr_workitem_id 0
		.amdhsa_next_free_vgpr 228
		.amdhsa_next_free_sgpr 19
		.amdhsa_reserve_vcc 1
		.amdhsa_float_round_mode_32 0
		.amdhsa_float_round_mode_16_64 0
		.amdhsa_float_denorm_mode_32 3
		.amdhsa_float_denorm_mode_16_64 3
		.amdhsa_fp16_overflow 0
		.amdhsa_workgroup_processor_mode 1
		.amdhsa_memory_ordered 1
		.amdhsa_forward_progress 1
		.amdhsa_inst_pref_size 255
		.amdhsa_round_robin_scheduling 0
		.amdhsa_exception_fp_ieee_invalid_op 0
		.amdhsa_exception_fp_denorm_src 0
		.amdhsa_exception_fp_ieee_div_zero 0
		.amdhsa_exception_fp_ieee_overflow 0
		.amdhsa_exception_fp_ieee_underflow 0
		.amdhsa_exception_fp_ieee_inexact 0
		.amdhsa_exception_int_div_zero 0
	.end_amdhsa_kernel
	.section	.text._ZN9rocsolver6v33100L18getri_kernel_smallILi33E19rocblas_complex_numIfEPKPS3_EEvT1_iilPiilS8_bb,"axG",@progbits,_ZN9rocsolver6v33100L18getri_kernel_smallILi33E19rocblas_complex_numIfEPKPS3_EEvT1_iilPiilS8_bb,comdat
.Lfunc_end96:
	.size	_ZN9rocsolver6v33100L18getri_kernel_smallILi33E19rocblas_complex_numIfEPKPS3_EEvT1_iilPiilS8_bb, .Lfunc_end96-_ZN9rocsolver6v33100L18getri_kernel_smallILi33E19rocblas_complex_numIfEPKPS3_EEvT1_iilPiilS8_bb
                                        ; -- End function
	.set _ZN9rocsolver6v33100L18getri_kernel_smallILi33E19rocblas_complex_numIfEPKPS3_EEvT1_iilPiilS8_bb.num_vgpr, 228
	.set _ZN9rocsolver6v33100L18getri_kernel_smallILi33E19rocblas_complex_numIfEPKPS3_EEvT1_iilPiilS8_bb.num_agpr, 0
	.set _ZN9rocsolver6v33100L18getri_kernel_smallILi33E19rocblas_complex_numIfEPKPS3_EEvT1_iilPiilS8_bb.numbered_sgpr, 19
	.set _ZN9rocsolver6v33100L18getri_kernel_smallILi33E19rocblas_complex_numIfEPKPS3_EEvT1_iilPiilS8_bb.num_named_barrier, 0
	.set _ZN9rocsolver6v33100L18getri_kernel_smallILi33E19rocblas_complex_numIfEPKPS3_EEvT1_iilPiilS8_bb.private_seg_size, 272
	.set _ZN9rocsolver6v33100L18getri_kernel_smallILi33E19rocblas_complex_numIfEPKPS3_EEvT1_iilPiilS8_bb.uses_vcc, 1
	.set _ZN9rocsolver6v33100L18getri_kernel_smallILi33E19rocblas_complex_numIfEPKPS3_EEvT1_iilPiilS8_bb.uses_flat_scratch, 1
	.set _ZN9rocsolver6v33100L18getri_kernel_smallILi33E19rocblas_complex_numIfEPKPS3_EEvT1_iilPiilS8_bb.has_dyn_sized_stack, 0
	.set _ZN9rocsolver6v33100L18getri_kernel_smallILi33E19rocblas_complex_numIfEPKPS3_EEvT1_iilPiilS8_bb.has_recursion, 0
	.set _ZN9rocsolver6v33100L18getri_kernel_smallILi33E19rocblas_complex_numIfEPKPS3_EEvT1_iilPiilS8_bb.has_indirect_call, 0
	.section	.AMDGPU.csdata,"",@progbits
; Kernel info:
; codeLenInByte = 43188
; TotalNumSgprs: 21
; NumVgprs: 228
; ScratchSize: 272
; MemoryBound: 0
; FloatMode: 240
; IeeeMode: 1
; LDSByteSize: 536 bytes/workgroup (compile time only)
; SGPRBlocks: 0
; VGPRBlocks: 28
; NumSGPRsForWavesPerEU: 21
; NumVGPRsForWavesPerEU: 228
; Occupancy: 6
; WaveLimiterHint : 1
; COMPUTE_PGM_RSRC2:SCRATCH_EN: 1
; COMPUTE_PGM_RSRC2:USER_SGPR: 2
; COMPUTE_PGM_RSRC2:TRAP_HANDLER: 0
; COMPUTE_PGM_RSRC2:TGID_X_EN: 1
; COMPUTE_PGM_RSRC2:TGID_Y_EN: 0
; COMPUTE_PGM_RSRC2:TGID_Z_EN: 0
; COMPUTE_PGM_RSRC2:TIDIG_COMP_CNT: 0
	.section	.text._ZN9rocsolver6v33100L18getri_kernel_smallILi34E19rocblas_complex_numIfEPKPS3_EEvT1_iilPiilS8_bb,"axG",@progbits,_ZN9rocsolver6v33100L18getri_kernel_smallILi34E19rocblas_complex_numIfEPKPS3_EEvT1_iilPiilS8_bb,comdat
	.globl	_ZN9rocsolver6v33100L18getri_kernel_smallILi34E19rocblas_complex_numIfEPKPS3_EEvT1_iilPiilS8_bb ; -- Begin function _ZN9rocsolver6v33100L18getri_kernel_smallILi34E19rocblas_complex_numIfEPKPS3_EEvT1_iilPiilS8_bb
	.p2align	8
	.type	_ZN9rocsolver6v33100L18getri_kernel_smallILi34E19rocblas_complex_numIfEPKPS3_EEvT1_iilPiilS8_bb,@function
_ZN9rocsolver6v33100L18getri_kernel_smallILi34E19rocblas_complex_numIfEPKPS3_EEvT1_iilPiilS8_bb: ; @_ZN9rocsolver6v33100L18getri_kernel_smallILi34E19rocblas_complex_numIfEPKPS3_EEvT1_iilPiilS8_bb
; %bb.0:
	s_mov_b32 s2, exec_lo
	v_cmpx_gt_u32_e32 34, v0
	s_cbranch_execz .LBB97_150
; %bb.1:
	s_clause 0x1
	s_load_b32 s13, s[0:1], 0x38
	s_load_b64 s[2:3], s[0:1], 0x0
	s_mov_b32 s8, ttmp9
	s_load_b128 s[4:7], s[0:1], 0x28
	s_wait_kmcnt 0x0
	s_bitcmp1_b32 s13, 8
	s_cselect_b32 s12, -1, 0
	s_ashr_i32 s9, ttmp9, 31
	s_delay_alu instid0(SALU_CYCLE_1) | instskip(NEXT) | instid1(SALU_CYCLE_1)
	s_lshl_b64 s[10:11], s[8:9], 3
	s_add_nc_u64 s[2:3], s[2:3], s[10:11]
	s_load_b64 s[10:11], s[2:3], 0x0
	s_bfe_u32 s2, s13, 0x10008
	s_delay_alu instid0(SALU_CYCLE_1)
	s_cmp_eq_u32 s2, 0
                                        ; implicit-def: $sgpr2_sgpr3
	s_cbranch_scc1 .LBB97_3
; %bb.2:
	s_load_b96 s[16:18], s[0:1], 0x18
	s_mul_u64 s[2:3], s[4:5], s[8:9]
	s_delay_alu instid0(SALU_CYCLE_1)
	s_lshl_b64 s[2:3], s[2:3], 2
	s_wait_kmcnt 0x0
	s_ashr_i32 s5, s18, 31
	s_mov_b32 s4, s18
	s_add_nc_u64 s[2:3], s[16:17], s[2:3]
	s_lshl_b64 s[4:5], s[4:5], 2
	s_delay_alu instid0(SALU_CYCLE_1)
	s_add_nc_u64 s[2:3], s[2:3], s[4:5]
.LBB97_3:
	s_clause 0x1
	s_load_b64 s[4:5], s[0:1], 0x8
	s_load_b32 s13, s[0:1], 0x38
	v_lshlrev_b32_e32 v75, 3, v0
	s_wait_kmcnt 0x0
	s_ashr_i32 s1, s4, 31
	s_mov_b32 s0, s4
	v_add3_u32 v9, s5, s5, v0
	s_lshl_b64 s[0:1], s[0:1], 3
	s_delay_alu instid0(SALU_CYCLE_1)
	s_add_nc_u64 s[0:1], s[10:11], s[0:1]
	s_ashr_i32 s11, s5, 31
	v_add_co_u32 v1, s4, s0, v75
	s_wait_alu 0xf1ff
	v_add_co_ci_u32_e64 v2, null, s1, 0, s4
	s_mov_b32 s10, s5
	v_ashrrev_i32_e32 v10, 31, v9
	s_lshl_b64 s[10:11], s[10:11], 3
	flat_load_b64 v[5:6], v[1:2]
	v_add_co_u32 v3, vcc_lo, v1, s10
	s_delay_alu instid0(VALU_DEP_1) | instskip(SKIP_2) | instid1(VALU_DEP_1)
	v_add_co_ci_u32_e64 v4, null, s11, v2, vcc_lo
	v_add_nc_u32_e32 v12, s5, v9
	s_bitcmp0_b32 s13, 0
	v_ashrrev_i32_e32 v13, 31, v12
	s_wait_loadcnt_dscnt 0x0
	scratch_store_b64 off, v[5:6], off
	flat_load_b64 v[7:8], v[3:4]
	v_lshlrev_b64_e32 v[5:6], 3, v[9:10]
	s_delay_alu instid0(VALU_DEP_1) | instskip(SKIP_1) | instid1(VALU_DEP_2)
	v_add_co_u32 v5, vcc_lo, s0, v5
	s_wait_alu 0xfffd
	v_add_co_ci_u32_e64 v6, null, s1, v6, vcc_lo
	s_wait_loadcnt_dscnt 0x0
	scratch_store_b64 off, v[7:8], off offset:8
	flat_load_b64 v[10:11], v[5:6]
	v_lshlrev_b64_e32 v[7:8], 3, v[12:13]
	s_delay_alu instid0(VALU_DEP_1) | instskip(SKIP_1) | instid1(VALU_DEP_2)
	v_add_co_u32 v7, vcc_lo, s0, v7
	s_wait_alu 0xfffd
	v_add_co_ci_u32_e64 v8, null, s1, v8, vcc_lo
	s_wait_loadcnt_dscnt 0x0
	scratch_store_b64 off, v[10:11], off offset:16
	flat_load_b64 v[13:14], v[7:8]
	v_add_nc_u32_e32 v11, s5, v12
	s_delay_alu instid0(VALU_DEP_1) | instskip(SKIP_1) | instid1(VALU_DEP_2)
	v_ashrrev_i32_e32 v12, 31, v11
	v_add_nc_u32_e32 v15, s5, v11
	v_lshlrev_b64_e32 v[9:10], 3, v[11:12]
	s_delay_alu instid0(VALU_DEP_2) | instskip(SKIP_1) | instid1(VALU_DEP_3)
	v_ashrrev_i32_e32 v16, 31, v15
	v_add_nc_u32_e32 v18, s5, v15
	v_add_co_u32 v9, vcc_lo, s0, v9
	s_wait_alu 0xfffd
	s_delay_alu instid0(VALU_DEP_4) | instskip(SKIP_2) | instid1(VALU_DEP_2)
	v_add_co_ci_u32_e64 v10, null, s1, v10, vcc_lo
	v_lshlrev_b64_e32 v[11:12], 3, v[15:16]
	v_ashrrev_i32_e32 v19, 31, v18
	v_add_co_u32 v11, vcc_lo, s0, v11
	s_wait_alu 0xfffd
	s_delay_alu instid0(VALU_DEP_3)
	v_add_co_ci_u32_e64 v12, null, s1, v12, vcc_lo
	s_wait_loadcnt_dscnt 0x0
	scratch_store_b64 off, v[13:14], off offset:24
	flat_load_b64 v[13:14], v[9:10]
	s_wait_loadcnt_dscnt 0x0
	scratch_store_b64 off, v[13:14], off offset:32
	flat_load_b64 v[16:17], v[11:12]
	v_lshlrev_b64_e32 v[13:14], 3, v[18:19]
	s_delay_alu instid0(VALU_DEP_1) | instskip(SKIP_1) | instid1(VALU_DEP_2)
	v_add_co_u32 v13, vcc_lo, s0, v13
	s_wait_alu 0xfffd
	v_add_co_ci_u32_e64 v14, null, s1, v14, vcc_lo
	s_wait_loadcnt_dscnt 0x0
	scratch_store_b64 off, v[16:17], off offset:40
	flat_load_b64 v[19:20], v[13:14]
	v_add_nc_u32_e32 v17, s5, v18
	s_delay_alu instid0(VALU_DEP_1) | instskip(SKIP_1) | instid1(VALU_DEP_2)
	v_ashrrev_i32_e32 v18, 31, v17
	v_add_nc_u32_e32 v21, s5, v17
	v_lshlrev_b64_e32 v[15:16], 3, v[17:18]
	s_delay_alu instid0(VALU_DEP_2) | instskip(SKIP_1) | instid1(VALU_DEP_3)
	v_ashrrev_i32_e32 v22, 31, v21
	v_add_nc_u32_e32 v24, s5, v21
	v_add_co_u32 v15, vcc_lo, s0, v15
	s_wait_alu 0xfffd
	s_delay_alu instid0(VALU_DEP_4) | instskip(SKIP_2) | instid1(VALU_DEP_2)
	v_add_co_ci_u32_e64 v16, null, s1, v16, vcc_lo
	v_lshlrev_b64_e32 v[17:18], 3, v[21:22]
	v_ashrrev_i32_e32 v25, 31, v24
	v_add_co_u32 v17, vcc_lo, s0, v17
	s_wait_alu 0xfffd
	s_delay_alu instid0(VALU_DEP_3)
	v_add_co_ci_u32_e64 v18, null, s1, v18, vcc_lo
	s_wait_loadcnt_dscnt 0x0
	scratch_store_b64 off, v[19:20], off offset:48
	flat_load_b64 v[19:20], v[15:16]
	s_wait_loadcnt_dscnt 0x0
	scratch_store_b64 off, v[19:20], off offset:56
	flat_load_b64 v[22:23], v[17:18]
	v_lshlrev_b64_e32 v[19:20], 3, v[24:25]
	s_delay_alu instid0(VALU_DEP_1) | instskip(SKIP_1) | instid1(VALU_DEP_2)
	v_add_co_u32 v19, vcc_lo, s0, v19
	s_wait_alu 0xfffd
	v_add_co_ci_u32_e64 v20, null, s1, v20, vcc_lo
	s_wait_loadcnt_dscnt 0x0
	scratch_store_b64 off, v[22:23], off offset:64
	flat_load_b64 v[25:26], v[19:20]
	v_add_nc_u32_e32 v23, s5, v24
	s_delay_alu instid0(VALU_DEP_1) | instskip(SKIP_1) | instid1(VALU_DEP_2)
	v_ashrrev_i32_e32 v24, 31, v23
	v_add_nc_u32_e32 v27, s5, v23
	v_lshlrev_b64_e32 v[21:22], 3, v[23:24]
	s_delay_alu instid0(VALU_DEP_2) | instskip(SKIP_1) | instid1(VALU_DEP_3)
	v_ashrrev_i32_e32 v28, 31, v27
	v_add_nc_u32_e32 v30, s5, v27
	v_add_co_u32 v21, vcc_lo, s0, v21
	s_wait_alu 0xfffd
	s_delay_alu instid0(VALU_DEP_4) | instskip(SKIP_2) | instid1(VALU_DEP_2)
	v_add_co_ci_u32_e64 v22, null, s1, v22, vcc_lo
	v_lshlrev_b64_e32 v[23:24], 3, v[27:28]
	v_ashrrev_i32_e32 v31, 31, v30
	v_add_co_u32 v23, vcc_lo, s0, v23
	s_wait_alu 0xfffd
	s_delay_alu instid0(VALU_DEP_3)
	v_add_co_ci_u32_e64 v24, null, s1, v24, vcc_lo
	s_wait_loadcnt_dscnt 0x0
	scratch_store_b64 off, v[25:26], off offset:72
	flat_load_b64 v[25:26], v[21:22]
	s_wait_loadcnt_dscnt 0x0
	scratch_store_b64 off, v[25:26], off offset:80
	flat_load_b64 v[28:29], v[23:24]
	v_lshlrev_b64_e32 v[25:26], 3, v[30:31]
	s_delay_alu instid0(VALU_DEP_1) | instskip(SKIP_1) | instid1(VALU_DEP_2)
	v_add_co_u32 v25, vcc_lo, s0, v25
	s_wait_alu 0xfffd
	v_add_co_ci_u32_e64 v26, null, s1, v26, vcc_lo
	s_wait_loadcnt_dscnt 0x0
	scratch_store_b64 off, v[28:29], off offset:88
	flat_load_b64 v[31:32], v[25:26]
	v_add_nc_u32_e32 v29, s5, v30
	s_delay_alu instid0(VALU_DEP_1) | instskip(SKIP_1) | instid1(VALU_DEP_2)
	v_ashrrev_i32_e32 v30, 31, v29
	v_add_nc_u32_e32 v33, s5, v29
	v_lshlrev_b64_e32 v[27:28], 3, v[29:30]
	s_delay_alu instid0(VALU_DEP_2) | instskip(SKIP_1) | instid1(VALU_DEP_3)
	v_ashrrev_i32_e32 v34, 31, v33
	v_add_nc_u32_e32 v36, s5, v33
	v_add_co_u32 v27, vcc_lo, s0, v27
	s_wait_alu 0xfffd
	s_delay_alu instid0(VALU_DEP_4) | instskip(SKIP_2) | instid1(VALU_DEP_2)
	v_add_co_ci_u32_e64 v28, null, s1, v28, vcc_lo
	v_lshlrev_b64_e32 v[29:30], 3, v[33:34]
	v_ashrrev_i32_e32 v37, 31, v36
	v_add_co_u32 v29, vcc_lo, s0, v29
	s_wait_alu 0xfffd
	s_delay_alu instid0(VALU_DEP_3)
	v_add_co_ci_u32_e64 v30, null, s1, v30, vcc_lo
	s_wait_loadcnt_dscnt 0x0
	scratch_store_b64 off, v[31:32], off offset:96
	flat_load_b64 v[31:32], v[27:28]
	s_wait_loadcnt_dscnt 0x0
	scratch_store_b64 off, v[31:32], off offset:104
	flat_load_b64 v[34:35], v[29:30]
	v_lshlrev_b64_e32 v[31:32], 3, v[36:37]
	s_delay_alu instid0(VALU_DEP_1) | instskip(SKIP_1) | instid1(VALU_DEP_2)
	v_add_co_u32 v31, vcc_lo, s0, v31
	s_wait_alu 0xfffd
	v_add_co_ci_u32_e64 v32, null, s1, v32, vcc_lo
	s_wait_loadcnt_dscnt 0x0
	scratch_store_b64 off, v[34:35], off offset:112
	flat_load_b64 v[37:38], v[31:32]
	v_add_nc_u32_e32 v35, s5, v36
	s_delay_alu instid0(VALU_DEP_1) | instskip(SKIP_1) | instid1(VALU_DEP_2)
	v_ashrrev_i32_e32 v36, 31, v35
	v_add_nc_u32_e32 v39, s5, v35
	v_lshlrev_b64_e32 v[33:34], 3, v[35:36]
	s_delay_alu instid0(VALU_DEP_2) | instskip(SKIP_1) | instid1(VALU_DEP_3)
	v_ashrrev_i32_e32 v40, 31, v39
	v_add_nc_u32_e32 v42, s5, v39
	v_add_co_u32 v33, vcc_lo, s0, v33
	s_wait_alu 0xfffd
	s_delay_alu instid0(VALU_DEP_4) | instskip(SKIP_2) | instid1(VALU_DEP_2)
	v_add_co_ci_u32_e64 v34, null, s1, v34, vcc_lo
	v_lshlrev_b64_e32 v[35:36], 3, v[39:40]
	v_ashrrev_i32_e32 v43, 31, v42
	v_add_co_u32 v35, vcc_lo, s0, v35
	s_wait_alu 0xfffd
	s_delay_alu instid0(VALU_DEP_3)
	v_add_co_ci_u32_e64 v36, null, s1, v36, vcc_lo
	s_wait_loadcnt_dscnt 0x0
	scratch_store_b64 off, v[37:38], off offset:120
	flat_load_b64 v[37:38], v[33:34]
	s_wait_loadcnt_dscnt 0x0
	scratch_store_b64 off, v[37:38], off offset:128
	flat_load_b64 v[40:41], v[35:36]
	v_lshlrev_b64_e32 v[37:38], 3, v[42:43]
	s_delay_alu instid0(VALU_DEP_1) | instskip(SKIP_1) | instid1(VALU_DEP_2)
	v_add_co_u32 v37, vcc_lo, s0, v37
	s_wait_alu 0xfffd
	v_add_co_ci_u32_e64 v38, null, s1, v38, vcc_lo
	s_wait_loadcnt_dscnt 0x0
	scratch_store_b64 off, v[40:41], off offset:136
	flat_load_b64 v[43:44], v[37:38]
	v_add_nc_u32_e32 v41, s5, v42
	s_delay_alu instid0(VALU_DEP_1) | instskip(SKIP_1) | instid1(VALU_DEP_2)
	v_ashrrev_i32_e32 v42, 31, v41
	v_add_nc_u32_e32 v45, s5, v41
	v_lshlrev_b64_e32 v[39:40], 3, v[41:42]
	s_delay_alu instid0(VALU_DEP_2) | instskip(SKIP_1) | instid1(VALU_DEP_3)
	v_ashrrev_i32_e32 v46, 31, v45
	v_add_nc_u32_e32 v48, s5, v45
	v_add_co_u32 v39, vcc_lo, s0, v39
	s_wait_alu 0xfffd
	s_delay_alu instid0(VALU_DEP_4) | instskip(SKIP_2) | instid1(VALU_DEP_2)
	v_add_co_ci_u32_e64 v40, null, s1, v40, vcc_lo
	v_lshlrev_b64_e32 v[41:42], 3, v[45:46]
	v_ashrrev_i32_e32 v49, 31, v48
	v_add_co_u32 v41, vcc_lo, s0, v41
	s_wait_alu 0xfffd
	s_delay_alu instid0(VALU_DEP_3)
	v_add_co_ci_u32_e64 v42, null, s1, v42, vcc_lo
	s_wait_loadcnt_dscnt 0x0
	scratch_store_b64 off, v[43:44], off offset:144
	flat_load_b64 v[43:44], v[39:40]
	s_wait_loadcnt_dscnt 0x0
	scratch_store_b64 off, v[43:44], off offset:152
	flat_load_b64 v[46:47], v[41:42]
	v_lshlrev_b64_e32 v[43:44], 3, v[48:49]
	s_delay_alu instid0(VALU_DEP_1) | instskip(SKIP_1) | instid1(VALU_DEP_2)
	v_add_co_u32 v43, vcc_lo, s0, v43
	s_wait_alu 0xfffd
	v_add_co_ci_u32_e64 v44, null, s1, v44, vcc_lo
	s_wait_loadcnt_dscnt 0x0
	scratch_store_b64 off, v[46:47], off offset:160
	flat_load_b64 v[49:50], v[43:44]
	v_add_nc_u32_e32 v47, s5, v48
	s_delay_alu instid0(VALU_DEP_1) | instskip(SKIP_1) | instid1(VALU_DEP_2)
	v_ashrrev_i32_e32 v48, 31, v47
	v_add_nc_u32_e32 v51, s5, v47
	v_lshlrev_b64_e32 v[45:46], 3, v[47:48]
	s_delay_alu instid0(VALU_DEP_2) | instskip(SKIP_1) | instid1(VALU_DEP_3)
	v_ashrrev_i32_e32 v52, 31, v51
	v_add_nc_u32_e32 v54, s5, v51
	v_add_co_u32 v45, vcc_lo, s0, v45
	s_wait_alu 0xfffd
	s_delay_alu instid0(VALU_DEP_4) | instskip(SKIP_2) | instid1(VALU_DEP_2)
	v_add_co_ci_u32_e64 v46, null, s1, v46, vcc_lo
	v_lshlrev_b64_e32 v[47:48], 3, v[51:52]
	v_ashrrev_i32_e32 v55, 31, v54
	v_add_co_u32 v47, vcc_lo, s0, v47
	s_wait_alu 0xfffd
	s_delay_alu instid0(VALU_DEP_3)
	v_add_co_ci_u32_e64 v48, null, s1, v48, vcc_lo
	s_wait_loadcnt_dscnt 0x0
	scratch_store_b64 off, v[49:50], off offset:168
	flat_load_b64 v[49:50], v[45:46]
	s_wait_loadcnt_dscnt 0x0
	scratch_store_b64 off, v[49:50], off offset:176
	flat_load_b64 v[52:53], v[47:48]
	v_lshlrev_b64_e32 v[49:50], 3, v[54:55]
	s_delay_alu instid0(VALU_DEP_1) | instskip(SKIP_1) | instid1(VALU_DEP_2)
	v_add_co_u32 v49, vcc_lo, s0, v49
	s_wait_alu 0xfffd
	v_add_co_ci_u32_e64 v50, null, s1, v50, vcc_lo
	s_wait_loadcnt_dscnt 0x0
	scratch_store_b64 off, v[52:53], off offset:184
	flat_load_b64 v[55:56], v[49:50]
	v_add_nc_u32_e32 v53, s5, v54
	s_delay_alu instid0(VALU_DEP_1) | instskip(SKIP_1) | instid1(VALU_DEP_2)
	v_ashrrev_i32_e32 v54, 31, v53
	v_add_nc_u32_e32 v57, s5, v53
	v_lshlrev_b64_e32 v[51:52], 3, v[53:54]
	s_delay_alu instid0(VALU_DEP_2) | instskip(SKIP_1) | instid1(VALU_DEP_3)
	v_ashrrev_i32_e32 v58, 31, v57
	v_add_nc_u32_e32 v60, s5, v57
	v_add_co_u32 v51, vcc_lo, s0, v51
	s_wait_alu 0xfffd
	s_delay_alu instid0(VALU_DEP_4) | instskip(SKIP_2) | instid1(VALU_DEP_2)
	v_add_co_ci_u32_e64 v52, null, s1, v52, vcc_lo
	v_lshlrev_b64_e32 v[53:54], 3, v[57:58]
	v_ashrrev_i32_e32 v61, 31, v60
	v_add_co_u32 v53, vcc_lo, s0, v53
	s_wait_alu 0xfffd
	s_delay_alu instid0(VALU_DEP_3)
	v_add_co_ci_u32_e64 v54, null, s1, v54, vcc_lo
	s_wait_loadcnt_dscnt 0x0
	scratch_store_b64 off, v[55:56], off offset:192
	flat_load_b64 v[55:56], v[51:52]
	s_wait_loadcnt_dscnt 0x0
	scratch_store_b64 off, v[55:56], off offset:200
	flat_load_b64 v[58:59], v[53:54]
	v_lshlrev_b64_e32 v[55:56], 3, v[60:61]
	s_delay_alu instid0(VALU_DEP_1) | instskip(SKIP_1) | instid1(VALU_DEP_2)
	v_add_co_u32 v55, vcc_lo, s0, v55
	s_wait_alu 0xfffd
	v_add_co_ci_u32_e64 v56, null, s1, v56, vcc_lo
	s_wait_loadcnt_dscnt 0x0
	scratch_store_b64 off, v[58:59], off offset:208
	flat_load_b64 v[61:62], v[55:56]
	v_add_nc_u32_e32 v59, s5, v60
	s_delay_alu instid0(VALU_DEP_1) | instskip(SKIP_1) | instid1(VALU_DEP_2)
	v_ashrrev_i32_e32 v60, 31, v59
	v_add_nc_u32_e32 v63, s5, v59
	v_lshlrev_b64_e32 v[57:58], 3, v[59:60]
	s_delay_alu instid0(VALU_DEP_2) | instskip(SKIP_1) | instid1(VALU_DEP_3)
	v_ashrrev_i32_e32 v64, 31, v63
	v_add_nc_u32_e32 v66, s5, v63
	v_add_co_u32 v57, vcc_lo, s0, v57
	s_wait_alu 0xfffd
	s_delay_alu instid0(VALU_DEP_4) | instskip(SKIP_2) | instid1(VALU_DEP_2)
	v_add_co_ci_u32_e64 v58, null, s1, v58, vcc_lo
	v_lshlrev_b64_e32 v[59:60], 3, v[63:64]
	v_ashrrev_i32_e32 v67, 31, v66
	v_add_co_u32 v59, vcc_lo, s0, v59
	s_wait_alu 0xfffd
	s_delay_alu instid0(VALU_DEP_3)
	v_add_co_ci_u32_e64 v60, null, s1, v60, vcc_lo
	s_wait_loadcnt_dscnt 0x0
	scratch_store_b64 off, v[61:62], off offset:216
	flat_load_b64 v[61:62], v[57:58]
	s_wait_loadcnt_dscnt 0x0
	scratch_store_b64 off, v[61:62], off offset:224
	flat_load_b64 v[64:65], v[59:60]
	v_lshlrev_b64_e32 v[61:62], 3, v[66:67]
	s_delay_alu instid0(VALU_DEP_1) | instskip(SKIP_1) | instid1(VALU_DEP_2)
	v_add_co_u32 v61, vcc_lo, s0, v61
	s_wait_alu 0xfffd
	v_add_co_ci_u32_e64 v62, null, s1, v62, vcc_lo
	s_wait_loadcnt_dscnt 0x0
	scratch_store_b64 off, v[64:65], off offset:232
	flat_load_b64 v[67:68], v[61:62]
	v_add_nc_u32_e32 v65, s5, v66
	s_delay_alu instid0(VALU_DEP_1) | instskip(SKIP_1) | instid1(VALU_DEP_2)
	v_ashrrev_i32_e32 v66, 31, v65
	v_add_nc_u32_e32 v69, s5, v65
	v_lshlrev_b64_e32 v[63:64], 3, v[65:66]
	s_delay_alu instid0(VALU_DEP_2) | instskip(NEXT) | instid1(VALU_DEP_1)
	v_ashrrev_i32_e32 v70, 31, v69
	v_lshlrev_b64_e32 v[65:66], 3, v[69:70]
	s_delay_alu instid0(VALU_DEP_3) | instskip(SKIP_1) | instid1(VALU_DEP_4)
	v_add_co_u32 v63, vcc_lo, s0, v63
	s_wait_alu 0xfffd
	v_add_co_ci_u32_e64 v64, null, s1, v64, vcc_lo
	s_delay_alu instid0(VALU_DEP_3)
	v_add_co_u32 v65, vcc_lo, s0, v65
	s_wait_alu 0xfffd
	v_add_co_ci_u32_e64 v66, null, s1, v66, vcc_lo
	s_wait_loadcnt_dscnt 0x0
	scratch_store_b64 off, v[67:68], off offset:240
	flat_load_b64 v[67:68], v[63:64]
	s_wait_loadcnt_dscnt 0x0
	scratch_store_b64 off, v[67:68], off offset:248
	flat_load_b64 v[70:71], v[65:66]
	v_add_nc_u32_e32 v67, s5, v69
	s_delay_alu instid0(VALU_DEP_1) | instskip(NEXT) | instid1(VALU_DEP_1)
	v_ashrrev_i32_e32 v68, 31, v67
	v_lshlrev_b64_e32 v[67:68], 3, v[67:68]
	s_delay_alu instid0(VALU_DEP_1) | instskip(SKIP_1) | instid1(VALU_DEP_2)
	v_add_co_u32 v67, vcc_lo, s0, v67
	s_wait_alu 0xfffd
	v_add_co_ci_u32_e64 v68, null, s1, v68, vcc_lo
	s_mov_b32 s1, -1
	s_wait_loadcnt_dscnt 0x0
	scratch_store_b64 off, v[70:71], off offset:256
	flat_load_b64 v[69:70], v[67:68]
	s_wait_loadcnt_dscnt 0x0
	scratch_store_b64 off, v[69:70], off offset:264
	s_cbranch_scc1 .LBB97_148
; %bb.4:
	v_cmp_eq_u32_e64 s0, 0, v0
	s_and_saveexec_b32 s1, s0
; %bb.5:
	v_mov_b32_e32 v69, 0
	ds_store_b32 v69, v69 offset:544
; %bb.6:
	s_wait_alu 0xfffe
	s_or_b32 exec_lo, exec_lo, s1
	s_wait_storecnt_dscnt 0x0
	s_barrier_signal -1
	s_barrier_wait -1
	global_inv scope:SCOPE_SE
	scratch_load_b64 v[69:70], v75, off
	s_wait_loadcnt 0x0
	v_cmp_eq_f32_e32 vcc_lo, 0, v69
	v_cmp_eq_f32_e64 s1, 0, v70
	s_and_b32 s1, vcc_lo, s1
	s_wait_alu 0xfffe
	s_and_saveexec_b32 s4, s1
	s_cbranch_execz .LBB97_10
; %bb.7:
	v_mov_b32_e32 v69, 0
	s_mov_b32 s5, 0
	ds_load_b32 v70, v69 offset:544
	s_wait_dscnt 0x0
	v_readfirstlane_b32 s1, v70
	v_add_nc_u32_e32 v70, 1, v0
	s_cmp_eq_u32 s1, 0
	s_delay_alu instid0(VALU_DEP_1)
	v_cmp_gt_i32_e32 vcc_lo, s1, v70
	s_cselect_b32 s10, -1, 0
	s_wait_alu 0xfffe
	s_or_b32 s10, s10, vcc_lo
	s_wait_alu 0xfffe
	s_and_b32 exec_lo, exec_lo, s10
	s_cbranch_execz .LBB97_10
; %bb.8:
	v_mov_b32_e32 v71, s1
.LBB97_9:                               ; =>This Inner Loop Header: Depth=1
	ds_cmpstore_rtn_b32 v71, v69, v70, v71 offset:544
	s_wait_dscnt 0x0
	v_cmp_ne_u32_e32 vcc_lo, 0, v71
	v_cmp_le_i32_e64 s1, v71, v70
	s_and_b32 s1, vcc_lo, s1
	s_wait_alu 0xfffe
	s_and_b32 s1, exec_lo, s1
	s_wait_alu 0xfffe
	s_or_b32 s5, s1, s5
	s_wait_alu 0xfffe
	s_and_not1_b32 exec_lo, exec_lo, s5
	s_cbranch_execnz .LBB97_9
.LBB97_10:
	s_wait_alu 0xfffe
	s_or_b32 exec_lo, exec_lo, s4
	v_mov_b32_e32 v69, 0
	s_barrier_signal -1
	s_barrier_wait -1
	global_inv scope:SCOPE_SE
	ds_load_b32 v70, v69 offset:544
	s_and_saveexec_b32 s1, s0
	s_cbranch_execz .LBB97_12
; %bb.11:
	s_lshl_b64 s[4:5], s[8:9], 2
	s_wait_alu 0xfffe
	s_add_nc_u64 s[4:5], s[6:7], s[4:5]
	s_wait_dscnt 0x0
	global_store_b32 v69, v70, s[4:5]
.LBB97_12:
	s_wait_alu 0xfffe
	s_or_b32 exec_lo, exec_lo, s1
	s_wait_dscnt 0x0
	v_cmp_ne_u32_e32 vcc_lo, 0, v70
	s_mov_b32 s1, 0
	s_cbranch_vccnz .LBB97_148
; %bb.13:
	v_mov_b32_e32 v76, v75
                                        ; implicit-def: $vgpr71
                                        ; implicit-def: $vgpr73
	scratch_load_b64 v[69:70], v76, off
	s_wait_loadcnt 0x0
	v_cmp_ngt_f32_e64 s1, |v69|, |v70|
	s_wait_alu 0xfffe
	s_and_saveexec_b32 s4, s1
	s_wait_alu 0xfffe
	s_xor_b32 s1, exec_lo, s4
	s_cbranch_execz .LBB97_15
; %bb.14:
	v_div_scale_f32 v71, null, v70, v70, v69
	v_div_scale_f32 v74, vcc_lo, v69, v70, v69
	s_delay_alu instid0(VALU_DEP_2) | instskip(NEXT) | instid1(TRANS32_DEP_1)
	v_rcp_f32_e32 v72, v71
	v_fma_f32 v73, -v71, v72, 1.0
	s_delay_alu instid0(VALU_DEP_1) | instskip(NEXT) | instid1(VALU_DEP_1)
	v_fmac_f32_e32 v72, v73, v72
	v_mul_f32_e32 v73, v74, v72
	s_delay_alu instid0(VALU_DEP_1) | instskip(NEXT) | instid1(VALU_DEP_1)
	v_fma_f32 v77, -v71, v73, v74
	v_fmac_f32_e32 v73, v77, v72
	s_delay_alu instid0(VALU_DEP_1) | instskip(SKIP_1) | instid1(VALU_DEP_1)
	v_fma_f32 v71, -v71, v73, v74
	s_wait_alu 0xfffd
	v_div_fmas_f32 v71, v71, v72, v73
	s_delay_alu instid0(VALU_DEP_1) | instskip(NEXT) | instid1(VALU_DEP_1)
	v_div_fixup_f32 v71, v71, v70, v69
	v_fmac_f32_e32 v70, v69, v71
	s_delay_alu instid0(VALU_DEP_1) | instskip(NEXT) | instid1(VALU_DEP_1)
	v_div_scale_f32 v69, null, v70, v70, 1.0
	v_rcp_f32_e32 v72, v69
	s_delay_alu instid0(TRANS32_DEP_1) | instskip(NEXT) | instid1(VALU_DEP_1)
	v_fma_f32 v73, -v69, v72, 1.0
	v_fmac_f32_e32 v72, v73, v72
	v_div_scale_f32 v73, vcc_lo, 1.0, v70, 1.0
	s_delay_alu instid0(VALU_DEP_1) | instskip(NEXT) | instid1(VALU_DEP_1)
	v_mul_f32_e32 v74, v73, v72
	v_fma_f32 v77, -v69, v74, v73
	s_delay_alu instid0(VALU_DEP_1) | instskip(NEXT) | instid1(VALU_DEP_1)
	v_fmac_f32_e32 v74, v77, v72
	v_fma_f32 v69, -v69, v74, v73
	s_wait_alu 0xfffd
	s_delay_alu instid0(VALU_DEP_1) | instskip(NEXT) | instid1(VALU_DEP_1)
	v_div_fmas_f32 v69, v69, v72, v74
	v_div_fixup_f32 v69, v69, v70, 1.0
	s_delay_alu instid0(VALU_DEP_1) | instskip(SKIP_1) | instid1(VALU_DEP_2)
	v_mul_f32_e32 v71, v71, v69
	v_xor_b32_e32 v72, 0x80000000, v69
                                        ; implicit-def: $vgpr69_vgpr70
	v_xor_b32_e32 v73, 0x80000000, v71
.LBB97_15:
	s_wait_alu 0xfffe
	s_and_not1_saveexec_b32 s1, s1
	s_cbranch_execz .LBB97_17
; %bb.16:
	v_div_scale_f32 v71, null, v69, v69, v70
	v_div_scale_f32 v74, vcc_lo, v70, v69, v70
	s_delay_alu instid0(VALU_DEP_2) | instskip(NEXT) | instid1(TRANS32_DEP_1)
	v_rcp_f32_e32 v72, v71
	v_fma_f32 v73, -v71, v72, 1.0
	s_delay_alu instid0(VALU_DEP_1) | instskip(NEXT) | instid1(VALU_DEP_1)
	v_fmac_f32_e32 v72, v73, v72
	v_mul_f32_e32 v73, v74, v72
	s_delay_alu instid0(VALU_DEP_1) | instskip(NEXT) | instid1(VALU_DEP_1)
	v_fma_f32 v77, -v71, v73, v74
	v_fmac_f32_e32 v73, v77, v72
	s_delay_alu instid0(VALU_DEP_1) | instskip(SKIP_1) | instid1(VALU_DEP_1)
	v_fma_f32 v71, -v71, v73, v74
	s_wait_alu 0xfffd
	v_div_fmas_f32 v71, v71, v72, v73
	s_delay_alu instid0(VALU_DEP_1) | instskip(NEXT) | instid1(VALU_DEP_1)
	v_div_fixup_f32 v72, v71, v69, v70
	v_fmac_f32_e32 v69, v70, v72
	s_delay_alu instid0(VALU_DEP_1) | instskip(SKIP_1) | instid1(VALU_DEP_2)
	v_div_scale_f32 v70, null, v69, v69, 1.0
	v_div_scale_f32 v74, vcc_lo, 1.0, v69, 1.0
	v_rcp_f32_e32 v71, v70
	s_delay_alu instid0(TRANS32_DEP_1) | instskip(NEXT) | instid1(VALU_DEP_1)
	v_fma_f32 v73, -v70, v71, 1.0
	v_fmac_f32_e32 v71, v73, v71
	s_delay_alu instid0(VALU_DEP_1) | instskip(NEXT) | instid1(VALU_DEP_1)
	v_mul_f32_e32 v73, v74, v71
	v_fma_f32 v77, -v70, v73, v74
	s_delay_alu instid0(VALU_DEP_1) | instskip(NEXT) | instid1(VALU_DEP_1)
	v_fmac_f32_e32 v73, v77, v71
	v_fma_f32 v70, -v70, v73, v74
	s_wait_alu 0xfffd
	s_delay_alu instid0(VALU_DEP_1) | instskip(NEXT) | instid1(VALU_DEP_1)
	v_div_fmas_f32 v70, v70, v71, v73
	v_div_fixup_f32 v71, v70, v69, 1.0
	s_delay_alu instid0(VALU_DEP_1)
	v_xor_b32_e32 v73, 0x80000000, v71
	v_mul_f32_e64 v72, v72, -v71
.LBB97_17:
	s_wait_alu 0xfffe
	s_or_b32 exec_lo, exec_lo, s1
	scratch_store_b64 v76, v[71:72], off
	scratch_load_b64 v[70:71], off, off offset:8
	v_xor_b32_e32 v74, 0x80000000, v72
	v_add_nc_u32_e32 v69, 0x110, v75
	s_wait_loadcnt 0x0
	ds_store_2addr_b64 v75, v[73:74], v[70:71] offset1:34
	s_wait_storecnt_dscnt 0x0
	s_barrier_signal -1
	s_barrier_wait -1
	global_inv scope:SCOPE_SE
	s_and_saveexec_b32 s1, s0
	s_cbranch_execz .LBB97_19
; %bb.18:
	scratch_load_b64 v[70:71], v76, off
	ds_load_b64 v[72:73], v69
	v_mov_b32_e32 v74, 0
	ds_load_b64 v[77:78], v74 offset:8
	s_wait_loadcnt_dscnt 0x1
	v_mul_f32_e32 v74, v72, v71
	v_mul_f32_e32 v71, v73, v71
	s_delay_alu instid0(VALU_DEP_2) | instskip(NEXT) | instid1(VALU_DEP_2)
	v_fmac_f32_e32 v74, v73, v70
	v_fma_f32 v70, v72, v70, -v71
	s_delay_alu instid0(VALU_DEP_2) | instskip(NEXT) | instid1(VALU_DEP_2)
	v_add_f32_e32 v72, 0, v74
	v_add_f32_e32 v70, 0, v70
	s_wait_dscnt 0x0
	s_delay_alu instid0(VALU_DEP_2) | instskip(NEXT) | instid1(VALU_DEP_2)
	v_mul_f32_e32 v73, v72, v78
	v_mul_f32_e32 v71, v70, v78
	s_delay_alu instid0(VALU_DEP_2) | instskip(NEXT) | instid1(VALU_DEP_2)
	v_fma_f32 v70, v70, v77, -v73
	v_fmac_f32_e32 v71, v72, v77
	scratch_store_b64 off, v[70:71], off offset:8
.LBB97_19:
	s_wait_alu 0xfffe
	s_or_b32 exec_lo, exec_lo, s1
	s_wait_loadcnt 0x0
	s_wait_storecnt 0x0
	s_barrier_signal -1
	s_barrier_wait -1
	global_inv scope:SCOPE_SE
	scratch_load_b64 v[70:71], off, off offset:16
	s_mov_b32 s1, exec_lo
	s_wait_loadcnt 0x0
	ds_store_b64 v69, v[70:71]
	s_wait_dscnt 0x0
	s_barrier_signal -1
	s_barrier_wait -1
	global_inv scope:SCOPE_SE
	v_cmpx_gt_u32_e32 2, v0
	s_cbranch_execz .LBB97_23
; %bb.20:
	scratch_load_b64 v[70:71], v76, off
	ds_load_b64 v[72:73], v69
	s_wait_loadcnt_dscnt 0x0
	v_mul_f32_e32 v74, v73, v71
	v_mul_f32_e32 v77, v72, v71
	s_delay_alu instid0(VALU_DEP_2) | instskip(NEXT) | instid1(VALU_DEP_2)
	v_fma_f32 v71, v72, v70, -v74
	v_fmac_f32_e32 v77, v73, v70
	s_delay_alu instid0(VALU_DEP_1)
	v_dual_add_f32 v71, 0, v71 :: v_dual_add_f32 v70, 0, v77
	s_and_saveexec_b32 s4, s0
	s_cbranch_execz .LBB97_22
; %bb.21:
	scratch_load_b64 v[72:73], off, off offset:8
	v_mov_b32_e32 v74, 0
	ds_load_b64 v[77:78], v74 offset:280
	s_wait_loadcnt_dscnt 0x0
	v_mul_f32_e32 v74, v77, v73
	v_mul_f32_e32 v73, v78, v73
	s_delay_alu instid0(VALU_DEP_2) | instskip(NEXT) | instid1(VALU_DEP_2)
	v_fmac_f32_e32 v74, v78, v72
	v_fma_f32 v72, v77, v72, -v73
	s_delay_alu instid0(VALU_DEP_1)
	v_dual_add_f32 v70, v70, v74 :: v_dual_add_f32 v71, v71, v72
.LBB97_22:
	s_wait_alu 0xfffe
	s_or_b32 exec_lo, exec_lo, s4
	v_mov_b32_e32 v72, 0
	ds_load_b64 v[72:73], v72 offset:16
	s_wait_dscnt 0x0
	v_mul_f32_e32 v77, v70, v73
	v_mul_f32_e32 v74, v71, v73
	s_delay_alu instid0(VALU_DEP_2) | instskip(NEXT) | instid1(VALU_DEP_2)
	v_fma_f32 v73, v71, v72, -v77
	v_fmac_f32_e32 v74, v70, v72
	scratch_store_b64 off, v[73:74], off offset:16
.LBB97_23:
	s_wait_alu 0xfffe
	s_or_b32 exec_lo, exec_lo, s1
	s_wait_loadcnt 0x0
	s_wait_storecnt 0x0
	s_barrier_signal -1
	s_barrier_wait -1
	global_inv scope:SCOPE_SE
	scratch_load_b64 v[71:72], off, off offset:24
	v_add_nc_u32_e32 v70, -1, v0
	s_mov_b32 s0, exec_lo
	s_wait_loadcnt 0x0
	ds_store_b64 v69, v[71:72]
	s_wait_dscnt 0x0
	s_barrier_signal -1
	s_barrier_wait -1
	global_inv scope:SCOPE_SE
	v_cmpx_gt_u32_e32 3, v0
	s_cbranch_execz .LBB97_27
; %bb.24:
	v_dual_mov_b32 v71, 0 :: v_dual_add_nc_u32 v72, -1, v0
	v_dual_mov_b32 v74, v75 :: v_dual_add_nc_u32 v73, 0x110, v75
	v_mov_b32_e32 v77, 0
	s_mov_b32 s1, 0
.LBB97_25:                              ; =>This Inner Loop Header: Depth=1
	scratch_load_b64 v[78:79], v74, off
	ds_load_b64 v[80:81], v73
	v_add_nc_u32_e32 v72, 1, v72
	v_add_nc_u32_e32 v73, 8, v73
	s_delay_alu instid0(VALU_DEP_2)
	v_cmp_lt_u32_e32 vcc_lo, 1, v72
	s_wait_alu 0xfffe
	s_or_b32 s1, vcc_lo, s1
	s_wait_loadcnt_dscnt 0x0
	v_mul_f32_e32 v82, v81, v79
	v_mul_f32_e32 v79, v80, v79
	s_delay_alu instid0(VALU_DEP_2) | instskip(NEXT) | instid1(VALU_DEP_2)
	v_fma_f32 v80, v80, v78, -v82
	v_fmac_f32_e32 v79, v81, v78
	s_delay_alu instid0(VALU_DEP_2) | instskip(NEXT) | instid1(VALU_DEP_2)
	v_dual_add_f32 v77, v77, v80 :: v_dual_add_nc_u32 v74, 8, v74
	v_add_f32_e32 v71, v71, v79
	s_wait_alu 0xfffe
	s_and_not1_b32 exec_lo, exec_lo, s1
	s_cbranch_execnz .LBB97_25
; %bb.26:
	s_or_b32 exec_lo, exec_lo, s1
	v_mov_b32_e32 v72, 0
	ds_load_b64 v[72:73], v72 offset:24
	s_wait_dscnt 0x0
	v_mul_f32_e32 v78, v71, v73
	v_mul_f32_e32 v74, v77, v73
	s_delay_alu instid0(VALU_DEP_2) | instskip(NEXT) | instid1(VALU_DEP_2)
	v_fma_f32 v73, v77, v72, -v78
	v_fmac_f32_e32 v74, v71, v72
	scratch_store_b64 off, v[73:74], off offset:24
.LBB97_27:
	s_wait_alu 0xfffe
	s_or_b32 exec_lo, exec_lo, s0
	s_wait_loadcnt 0x0
	s_wait_storecnt 0x0
	s_barrier_signal -1
	s_barrier_wait -1
	global_inv scope:SCOPE_SE
	scratch_load_b64 v[71:72], off, off offset:32
	s_mov_b32 s0, exec_lo
	s_wait_loadcnt 0x0
	ds_store_b64 v69, v[71:72]
	s_wait_dscnt 0x0
	s_barrier_signal -1
	s_barrier_wait -1
	global_inv scope:SCOPE_SE
	v_cmpx_gt_u32_e32 4, v0
	s_cbranch_execz .LBB97_31
; %bb.28:
	v_dual_mov_b32 v71, 0 :: v_dual_add_nc_u32 v72, -1, v0
	v_dual_mov_b32 v74, v75 :: v_dual_add_nc_u32 v73, 0x110, v75
	v_mov_b32_e32 v77, 0
	s_mov_b32 s1, 0
.LBB97_29:                              ; =>This Inner Loop Header: Depth=1
	scratch_load_b64 v[78:79], v74, off
	ds_load_b64 v[80:81], v73
	v_add_nc_u32_e32 v72, 1, v72
	v_add_nc_u32_e32 v73, 8, v73
	s_delay_alu instid0(VALU_DEP_2)
	v_cmp_lt_u32_e32 vcc_lo, 2, v72
	s_wait_alu 0xfffe
	s_or_b32 s1, vcc_lo, s1
	s_wait_loadcnt_dscnt 0x0
	v_mul_f32_e32 v82, v81, v79
	v_mul_f32_e32 v79, v80, v79
	s_delay_alu instid0(VALU_DEP_2) | instskip(NEXT) | instid1(VALU_DEP_2)
	v_fma_f32 v80, v80, v78, -v82
	v_fmac_f32_e32 v79, v81, v78
	s_delay_alu instid0(VALU_DEP_2) | instskip(NEXT) | instid1(VALU_DEP_2)
	v_dual_add_f32 v77, v77, v80 :: v_dual_add_nc_u32 v74, 8, v74
	v_add_f32_e32 v71, v71, v79
	s_wait_alu 0xfffe
	s_and_not1_b32 exec_lo, exec_lo, s1
	s_cbranch_execnz .LBB97_29
; %bb.30:
	s_or_b32 exec_lo, exec_lo, s1
	v_mov_b32_e32 v72, 0
	ds_load_b64 v[72:73], v72 offset:32
	s_wait_dscnt 0x0
	v_mul_f32_e32 v78, v71, v73
	v_mul_f32_e32 v74, v77, v73
	s_delay_alu instid0(VALU_DEP_2) | instskip(NEXT) | instid1(VALU_DEP_2)
	v_fma_f32 v73, v77, v72, -v78
	v_fmac_f32_e32 v74, v71, v72
	scratch_store_b64 off, v[73:74], off offset:32
.LBB97_31:
	s_wait_alu 0xfffe
	s_or_b32 exec_lo, exec_lo, s0
	s_wait_loadcnt 0x0
	s_wait_storecnt 0x0
	s_barrier_signal -1
	s_barrier_wait -1
	global_inv scope:SCOPE_SE
	scratch_load_b64 v[71:72], off, off offset:40
	;; [unrolled: 55-line block ×19, first 2 shown]
	s_mov_b32 s0, exec_lo
	s_wait_loadcnt 0x0
	ds_store_b64 v69, v[71:72]
	s_wait_dscnt 0x0
	s_barrier_signal -1
	s_barrier_wait -1
	global_inv scope:SCOPE_SE
	v_cmpx_gt_u32_e32 22, v0
	s_cbranch_execz .LBB97_103
; %bb.100:
	v_dual_mov_b32 v71, 0 :: v_dual_add_nc_u32 v72, -1, v0
	v_dual_mov_b32 v74, v75 :: v_dual_add_nc_u32 v73, 0x110, v75
	v_mov_b32_e32 v77, 0
	s_mov_b32 s1, 0
.LBB97_101:                             ; =>This Inner Loop Header: Depth=1
	scratch_load_b64 v[78:79], v74, off
	ds_load_b64 v[80:81], v73
	v_add_nc_u32_e32 v72, 1, v72
	v_add_nc_u32_e32 v73, 8, v73
	s_delay_alu instid0(VALU_DEP_2)
	v_cmp_lt_u32_e32 vcc_lo, 20, v72
	s_wait_alu 0xfffe
	s_or_b32 s1, vcc_lo, s1
	s_wait_loadcnt_dscnt 0x0
	v_mul_f32_e32 v82, v81, v79
	v_mul_f32_e32 v79, v80, v79
	s_delay_alu instid0(VALU_DEP_2) | instskip(NEXT) | instid1(VALU_DEP_2)
	v_fma_f32 v80, v80, v78, -v82
	v_fmac_f32_e32 v79, v81, v78
	s_delay_alu instid0(VALU_DEP_2) | instskip(NEXT) | instid1(VALU_DEP_2)
	v_dual_add_f32 v77, v77, v80 :: v_dual_add_nc_u32 v74, 8, v74
	v_add_f32_e32 v71, v71, v79
	s_wait_alu 0xfffe
	s_and_not1_b32 exec_lo, exec_lo, s1
	s_cbranch_execnz .LBB97_101
; %bb.102:
	s_or_b32 exec_lo, exec_lo, s1
	v_mov_b32_e32 v72, 0
	ds_load_b64 v[72:73], v72 offset:176
	s_wait_dscnt 0x0
	v_mul_f32_e32 v78, v71, v73
	v_mul_f32_e32 v74, v77, v73
	s_delay_alu instid0(VALU_DEP_2) | instskip(NEXT) | instid1(VALU_DEP_2)
	v_fma_f32 v73, v77, v72, -v78
	v_fmac_f32_e32 v74, v71, v72
	scratch_store_b64 off, v[73:74], off offset:176
.LBB97_103:
	s_wait_alu 0xfffe
	s_or_b32 exec_lo, exec_lo, s0
	s_wait_loadcnt 0x0
	s_wait_storecnt 0x0
	s_barrier_signal -1
	s_barrier_wait -1
	global_inv scope:SCOPE_SE
	scratch_load_b64 v[71:72], off, off offset:184
	s_mov_b32 s0, exec_lo
	s_wait_loadcnt 0x0
	ds_store_b64 v69, v[71:72]
	s_wait_dscnt 0x0
	s_barrier_signal -1
	s_barrier_wait -1
	global_inv scope:SCOPE_SE
	v_cmpx_gt_u32_e32 23, v0
	s_cbranch_execz .LBB97_107
; %bb.104:
	v_dual_mov_b32 v71, 0 :: v_dual_add_nc_u32 v72, -1, v0
	v_dual_mov_b32 v74, v75 :: v_dual_add_nc_u32 v73, 0x110, v75
	v_mov_b32_e32 v77, 0
	s_mov_b32 s1, 0
.LBB97_105:                             ; =>This Inner Loop Header: Depth=1
	scratch_load_b64 v[78:79], v74, off
	ds_load_b64 v[80:81], v73
	v_add_nc_u32_e32 v72, 1, v72
	v_add_nc_u32_e32 v73, 8, v73
	s_delay_alu instid0(VALU_DEP_2)
	v_cmp_lt_u32_e32 vcc_lo, 21, v72
	s_wait_alu 0xfffe
	s_or_b32 s1, vcc_lo, s1
	s_wait_loadcnt_dscnt 0x0
	v_mul_f32_e32 v82, v81, v79
	v_mul_f32_e32 v79, v80, v79
	s_delay_alu instid0(VALU_DEP_2) | instskip(NEXT) | instid1(VALU_DEP_2)
	v_fma_f32 v80, v80, v78, -v82
	v_fmac_f32_e32 v79, v81, v78
	s_delay_alu instid0(VALU_DEP_2) | instskip(NEXT) | instid1(VALU_DEP_2)
	v_dual_add_f32 v77, v77, v80 :: v_dual_add_nc_u32 v74, 8, v74
	v_add_f32_e32 v71, v71, v79
	s_wait_alu 0xfffe
	s_and_not1_b32 exec_lo, exec_lo, s1
	s_cbranch_execnz .LBB97_105
; %bb.106:
	s_or_b32 exec_lo, exec_lo, s1
	v_mov_b32_e32 v72, 0
	ds_load_b64 v[72:73], v72 offset:184
	s_wait_dscnt 0x0
	v_mul_f32_e32 v78, v71, v73
	v_mul_f32_e32 v74, v77, v73
	s_delay_alu instid0(VALU_DEP_2) | instskip(NEXT) | instid1(VALU_DEP_2)
	v_fma_f32 v73, v77, v72, -v78
	v_fmac_f32_e32 v74, v71, v72
	scratch_store_b64 off, v[73:74], off offset:184
.LBB97_107:
	s_wait_alu 0xfffe
	s_or_b32 exec_lo, exec_lo, s0
	s_wait_loadcnt 0x0
	s_wait_storecnt 0x0
	s_barrier_signal -1
	s_barrier_wait -1
	global_inv scope:SCOPE_SE
	scratch_load_b64 v[71:72], off, off offset:192
	s_mov_b32 s0, exec_lo
	s_wait_loadcnt 0x0
	ds_store_b64 v69, v[71:72]
	s_wait_dscnt 0x0
	s_barrier_signal -1
	s_barrier_wait -1
	global_inv scope:SCOPE_SE
	v_cmpx_gt_u32_e32 24, v0
	s_cbranch_execz .LBB97_111
; %bb.108:
	v_dual_mov_b32 v71, 0 :: v_dual_add_nc_u32 v72, -1, v0
	v_dual_mov_b32 v74, v75 :: v_dual_add_nc_u32 v73, 0x110, v75
	v_mov_b32_e32 v77, 0
	s_mov_b32 s1, 0
.LBB97_109:                             ; =>This Inner Loop Header: Depth=1
	scratch_load_b64 v[78:79], v74, off
	ds_load_b64 v[80:81], v73
	v_add_nc_u32_e32 v72, 1, v72
	v_add_nc_u32_e32 v73, 8, v73
	s_delay_alu instid0(VALU_DEP_2)
	v_cmp_lt_u32_e32 vcc_lo, 22, v72
	s_wait_alu 0xfffe
	s_or_b32 s1, vcc_lo, s1
	s_wait_loadcnt_dscnt 0x0
	v_mul_f32_e32 v82, v81, v79
	v_mul_f32_e32 v79, v80, v79
	s_delay_alu instid0(VALU_DEP_2) | instskip(NEXT) | instid1(VALU_DEP_2)
	v_fma_f32 v80, v80, v78, -v82
	v_fmac_f32_e32 v79, v81, v78
	s_delay_alu instid0(VALU_DEP_2) | instskip(NEXT) | instid1(VALU_DEP_2)
	v_dual_add_f32 v77, v77, v80 :: v_dual_add_nc_u32 v74, 8, v74
	v_add_f32_e32 v71, v71, v79
	s_wait_alu 0xfffe
	s_and_not1_b32 exec_lo, exec_lo, s1
	s_cbranch_execnz .LBB97_109
; %bb.110:
	s_or_b32 exec_lo, exec_lo, s1
	v_mov_b32_e32 v72, 0
	ds_load_b64 v[72:73], v72 offset:192
	s_wait_dscnt 0x0
	v_mul_f32_e32 v78, v71, v73
	v_mul_f32_e32 v74, v77, v73
	s_delay_alu instid0(VALU_DEP_2) | instskip(NEXT) | instid1(VALU_DEP_2)
	v_fma_f32 v73, v77, v72, -v78
	v_fmac_f32_e32 v74, v71, v72
	scratch_store_b64 off, v[73:74], off offset:192
.LBB97_111:
	s_wait_alu 0xfffe
	s_or_b32 exec_lo, exec_lo, s0
	s_wait_loadcnt 0x0
	s_wait_storecnt 0x0
	s_barrier_signal -1
	s_barrier_wait -1
	global_inv scope:SCOPE_SE
	scratch_load_b64 v[71:72], off, off offset:200
	s_mov_b32 s0, exec_lo
	s_wait_loadcnt 0x0
	ds_store_b64 v69, v[71:72]
	s_wait_dscnt 0x0
	s_barrier_signal -1
	s_barrier_wait -1
	global_inv scope:SCOPE_SE
	v_cmpx_gt_u32_e32 25, v0
	s_cbranch_execz .LBB97_115
; %bb.112:
	v_dual_mov_b32 v71, 0 :: v_dual_add_nc_u32 v72, -1, v0
	v_dual_mov_b32 v74, v75 :: v_dual_add_nc_u32 v73, 0x110, v75
	v_mov_b32_e32 v77, 0
	s_mov_b32 s1, 0
.LBB97_113:                             ; =>This Inner Loop Header: Depth=1
	scratch_load_b64 v[78:79], v74, off
	ds_load_b64 v[80:81], v73
	v_add_nc_u32_e32 v72, 1, v72
	v_add_nc_u32_e32 v73, 8, v73
	s_delay_alu instid0(VALU_DEP_2)
	v_cmp_lt_u32_e32 vcc_lo, 23, v72
	s_wait_alu 0xfffe
	s_or_b32 s1, vcc_lo, s1
	s_wait_loadcnt_dscnt 0x0
	v_mul_f32_e32 v82, v81, v79
	v_mul_f32_e32 v79, v80, v79
	s_delay_alu instid0(VALU_DEP_2) | instskip(NEXT) | instid1(VALU_DEP_2)
	v_fma_f32 v80, v80, v78, -v82
	v_fmac_f32_e32 v79, v81, v78
	s_delay_alu instid0(VALU_DEP_2) | instskip(NEXT) | instid1(VALU_DEP_2)
	v_dual_add_f32 v77, v77, v80 :: v_dual_add_nc_u32 v74, 8, v74
	v_add_f32_e32 v71, v71, v79
	s_wait_alu 0xfffe
	s_and_not1_b32 exec_lo, exec_lo, s1
	s_cbranch_execnz .LBB97_113
; %bb.114:
	s_or_b32 exec_lo, exec_lo, s1
	v_mov_b32_e32 v72, 0
	ds_load_b64 v[72:73], v72 offset:200
	s_wait_dscnt 0x0
	v_mul_f32_e32 v78, v71, v73
	v_mul_f32_e32 v74, v77, v73
	s_delay_alu instid0(VALU_DEP_2) | instskip(NEXT) | instid1(VALU_DEP_2)
	v_fma_f32 v73, v77, v72, -v78
	v_fmac_f32_e32 v74, v71, v72
	scratch_store_b64 off, v[73:74], off offset:200
.LBB97_115:
	s_wait_alu 0xfffe
	s_or_b32 exec_lo, exec_lo, s0
	s_wait_loadcnt 0x0
	s_wait_storecnt 0x0
	s_barrier_signal -1
	s_barrier_wait -1
	global_inv scope:SCOPE_SE
	scratch_load_b64 v[71:72], off, off offset:208
	s_mov_b32 s0, exec_lo
	s_wait_loadcnt 0x0
	ds_store_b64 v69, v[71:72]
	s_wait_dscnt 0x0
	s_barrier_signal -1
	s_barrier_wait -1
	global_inv scope:SCOPE_SE
	v_cmpx_gt_u32_e32 26, v0
	s_cbranch_execz .LBB97_119
; %bb.116:
	v_dual_mov_b32 v71, 0 :: v_dual_add_nc_u32 v72, -1, v0
	v_dual_mov_b32 v74, v75 :: v_dual_add_nc_u32 v73, 0x110, v75
	v_mov_b32_e32 v77, 0
	s_mov_b32 s1, 0
.LBB97_117:                             ; =>This Inner Loop Header: Depth=1
	scratch_load_b64 v[78:79], v74, off
	ds_load_b64 v[80:81], v73
	v_add_nc_u32_e32 v72, 1, v72
	v_add_nc_u32_e32 v73, 8, v73
	s_delay_alu instid0(VALU_DEP_2)
	v_cmp_lt_u32_e32 vcc_lo, 24, v72
	s_wait_alu 0xfffe
	s_or_b32 s1, vcc_lo, s1
	s_wait_loadcnt_dscnt 0x0
	v_mul_f32_e32 v82, v81, v79
	v_mul_f32_e32 v79, v80, v79
	s_delay_alu instid0(VALU_DEP_2) | instskip(NEXT) | instid1(VALU_DEP_2)
	v_fma_f32 v80, v80, v78, -v82
	v_fmac_f32_e32 v79, v81, v78
	s_delay_alu instid0(VALU_DEP_2) | instskip(NEXT) | instid1(VALU_DEP_2)
	v_dual_add_f32 v77, v77, v80 :: v_dual_add_nc_u32 v74, 8, v74
	v_add_f32_e32 v71, v71, v79
	s_wait_alu 0xfffe
	s_and_not1_b32 exec_lo, exec_lo, s1
	s_cbranch_execnz .LBB97_117
; %bb.118:
	s_or_b32 exec_lo, exec_lo, s1
	v_mov_b32_e32 v72, 0
	ds_load_b64 v[72:73], v72 offset:208
	s_wait_dscnt 0x0
	v_mul_f32_e32 v78, v71, v73
	v_mul_f32_e32 v74, v77, v73
	s_delay_alu instid0(VALU_DEP_2) | instskip(NEXT) | instid1(VALU_DEP_2)
	v_fma_f32 v73, v77, v72, -v78
	v_fmac_f32_e32 v74, v71, v72
	scratch_store_b64 off, v[73:74], off offset:208
.LBB97_119:
	s_wait_alu 0xfffe
	s_or_b32 exec_lo, exec_lo, s0
	s_wait_loadcnt 0x0
	s_wait_storecnt 0x0
	s_barrier_signal -1
	s_barrier_wait -1
	global_inv scope:SCOPE_SE
	scratch_load_b64 v[71:72], off, off offset:216
	s_mov_b32 s0, exec_lo
	s_wait_loadcnt 0x0
	ds_store_b64 v69, v[71:72]
	s_wait_dscnt 0x0
	s_barrier_signal -1
	s_barrier_wait -1
	global_inv scope:SCOPE_SE
	v_cmpx_gt_u32_e32 27, v0
	s_cbranch_execz .LBB97_123
; %bb.120:
	v_dual_mov_b32 v71, 0 :: v_dual_add_nc_u32 v72, -1, v0
	v_dual_mov_b32 v74, v75 :: v_dual_add_nc_u32 v73, 0x110, v75
	v_mov_b32_e32 v77, 0
	s_mov_b32 s1, 0
.LBB97_121:                             ; =>This Inner Loop Header: Depth=1
	scratch_load_b64 v[78:79], v74, off
	ds_load_b64 v[80:81], v73
	v_add_nc_u32_e32 v72, 1, v72
	v_add_nc_u32_e32 v73, 8, v73
	s_delay_alu instid0(VALU_DEP_2)
	v_cmp_lt_u32_e32 vcc_lo, 25, v72
	s_wait_alu 0xfffe
	s_or_b32 s1, vcc_lo, s1
	s_wait_loadcnt_dscnt 0x0
	v_mul_f32_e32 v82, v81, v79
	v_mul_f32_e32 v79, v80, v79
	s_delay_alu instid0(VALU_DEP_2) | instskip(NEXT) | instid1(VALU_DEP_2)
	v_fma_f32 v80, v80, v78, -v82
	v_fmac_f32_e32 v79, v81, v78
	s_delay_alu instid0(VALU_DEP_2) | instskip(NEXT) | instid1(VALU_DEP_2)
	v_dual_add_f32 v77, v77, v80 :: v_dual_add_nc_u32 v74, 8, v74
	v_add_f32_e32 v71, v71, v79
	s_wait_alu 0xfffe
	s_and_not1_b32 exec_lo, exec_lo, s1
	s_cbranch_execnz .LBB97_121
; %bb.122:
	s_or_b32 exec_lo, exec_lo, s1
	v_mov_b32_e32 v72, 0
	ds_load_b64 v[72:73], v72 offset:216
	s_wait_dscnt 0x0
	v_mul_f32_e32 v78, v71, v73
	v_mul_f32_e32 v74, v77, v73
	s_delay_alu instid0(VALU_DEP_2) | instskip(NEXT) | instid1(VALU_DEP_2)
	v_fma_f32 v73, v77, v72, -v78
	v_fmac_f32_e32 v74, v71, v72
	scratch_store_b64 off, v[73:74], off offset:216
.LBB97_123:
	s_wait_alu 0xfffe
	s_or_b32 exec_lo, exec_lo, s0
	s_wait_loadcnt 0x0
	s_wait_storecnt 0x0
	s_barrier_signal -1
	s_barrier_wait -1
	global_inv scope:SCOPE_SE
	scratch_load_b64 v[71:72], off, off offset:224
	s_mov_b32 s0, exec_lo
	s_wait_loadcnt 0x0
	ds_store_b64 v69, v[71:72]
	s_wait_dscnt 0x0
	s_barrier_signal -1
	s_barrier_wait -1
	global_inv scope:SCOPE_SE
	v_cmpx_gt_u32_e32 28, v0
	s_cbranch_execz .LBB97_127
; %bb.124:
	v_dual_mov_b32 v71, 0 :: v_dual_add_nc_u32 v72, -1, v0
	v_dual_mov_b32 v74, v75 :: v_dual_add_nc_u32 v73, 0x110, v75
	v_mov_b32_e32 v77, 0
	s_mov_b32 s1, 0
.LBB97_125:                             ; =>This Inner Loop Header: Depth=1
	scratch_load_b64 v[78:79], v74, off
	ds_load_b64 v[80:81], v73
	v_add_nc_u32_e32 v72, 1, v72
	v_add_nc_u32_e32 v73, 8, v73
	s_delay_alu instid0(VALU_DEP_2)
	v_cmp_lt_u32_e32 vcc_lo, 26, v72
	s_wait_alu 0xfffe
	s_or_b32 s1, vcc_lo, s1
	s_wait_loadcnt_dscnt 0x0
	v_mul_f32_e32 v82, v81, v79
	v_mul_f32_e32 v79, v80, v79
	s_delay_alu instid0(VALU_DEP_2) | instskip(NEXT) | instid1(VALU_DEP_2)
	v_fma_f32 v80, v80, v78, -v82
	v_fmac_f32_e32 v79, v81, v78
	s_delay_alu instid0(VALU_DEP_2) | instskip(NEXT) | instid1(VALU_DEP_2)
	v_dual_add_f32 v77, v77, v80 :: v_dual_add_nc_u32 v74, 8, v74
	v_add_f32_e32 v71, v71, v79
	s_wait_alu 0xfffe
	s_and_not1_b32 exec_lo, exec_lo, s1
	s_cbranch_execnz .LBB97_125
; %bb.126:
	s_or_b32 exec_lo, exec_lo, s1
	v_mov_b32_e32 v72, 0
	ds_load_b64 v[72:73], v72 offset:224
	s_wait_dscnt 0x0
	v_mul_f32_e32 v78, v71, v73
	v_mul_f32_e32 v74, v77, v73
	s_delay_alu instid0(VALU_DEP_2) | instskip(NEXT) | instid1(VALU_DEP_2)
	v_fma_f32 v73, v77, v72, -v78
	v_fmac_f32_e32 v74, v71, v72
	scratch_store_b64 off, v[73:74], off offset:224
.LBB97_127:
	s_wait_alu 0xfffe
	s_or_b32 exec_lo, exec_lo, s0
	s_wait_loadcnt 0x0
	s_wait_storecnt 0x0
	s_barrier_signal -1
	s_barrier_wait -1
	global_inv scope:SCOPE_SE
	scratch_load_b64 v[71:72], off, off offset:232
	s_mov_b32 s0, exec_lo
	s_wait_loadcnt 0x0
	ds_store_b64 v69, v[71:72]
	s_wait_dscnt 0x0
	s_barrier_signal -1
	s_barrier_wait -1
	global_inv scope:SCOPE_SE
	v_cmpx_gt_u32_e32 29, v0
	s_cbranch_execz .LBB97_131
; %bb.128:
	v_dual_mov_b32 v71, 0 :: v_dual_add_nc_u32 v72, -1, v0
	v_dual_mov_b32 v74, v75 :: v_dual_add_nc_u32 v73, 0x110, v75
	v_mov_b32_e32 v77, 0
	s_mov_b32 s1, 0
.LBB97_129:                             ; =>This Inner Loop Header: Depth=1
	scratch_load_b64 v[78:79], v74, off
	ds_load_b64 v[80:81], v73
	v_add_nc_u32_e32 v72, 1, v72
	v_add_nc_u32_e32 v73, 8, v73
	s_delay_alu instid0(VALU_DEP_2)
	v_cmp_lt_u32_e32 vcc_lo, 27, v72
	s_wait_alu 0xfffe
	s_or_b32 s1, vcc_lo, s1
	s_wait_loadcnt_dscnt 0x0
	v_mul_f32_e32 v82, v81, v79
	v_mul_f32_e32 v79, v80, v79
	s_delay_alu instid0(VALU_DEP_2) | instskip(NEXT) | instid1(VALU_DEP_2)
	v_fma_f32 v80, v80, v78, -v82
	v_fmac_f32_e32 v79, v81, v78
	s_delay_alu instid0(VALU_DEP_2) | instskip(NEXT) | instid1(VALU_DEP_2)
	v_dual_add_f32 v77, v77, v80 :: v_dual_add_nc_u32 v74, 8, v74
	v_add_f32_e32 v71, v71, v79
	s_wait_alu 0xfffe
	s_and_not1_b32 exec_lo, exec_lo, s1
	s_cbranch_execnz .LBB97_129
; %bb.130:
	s_or_b32 exec_lo, exec_lo, s1
	v_mov_b32_e32 v72, 0
	ds_load_b64 v[72:73], v72 offset:232
	s_wait_dscnt 0x0
	v_mul_f32_e32 v78, v71, v73
	v_mul_f32_e32 v74, v77, v73
	s_delay_alu instid0(VALU_DEP_2) | instskip(NEXT) | instid1(VALU_DEP_2)
	v_fma_f32 v73, v77, v72, -v78
	v_fmac_f32_e32 v74, v71, v72
	scratch_store_b64 off, v[73:74], off offset:232
.LBB97_131:
	s_wait_alu 0xfffe
	s_or_b32 exec_lo, exec_lo, s0
	s_wait_loadcnt 0x0
	s_wait_storecnt 0x0
	s_barrier_signal -1
	s_barrier_wait -1
	global_inv scope:SCOPE_SE
	scratch_load_b64 v[71:72], off, off offset:240
	s_mov_b32 s0, exec_lo
	s_wait_loadcnt 0x0
	ds_store_b64 v69, v[71:72]
	s_wait_dscnt 0x0
	s_barrier_signal -1
	s_barrier_wait -1
	global_inv scope:SCOPE_SE
	v_cmpx_gt_u32_e32 30, v0
	s_cbranch_execz .LBB97_135
; %bb.132:
	v_dual_mov_b32 v71, 0 :: v_dual_add_nc_u32 v72, -1, v0
	v_dual_mov_b32 v74, v75 :: v_dual_add_nc_u32 v73, 0x110, v75
	v_mov_b32_e32 v77, 0
	s_mov_b32 s1, 0
.LBB97_133:                             ; =>This Inner Loop Header: Depth=1
	scratch_load_b64 v[78:79], v74, off
	ds_load_b64 v[80:81], v73
	v_add_nc_u32_e32 v72, 1, v72
	v_add_nc_u32_e32 v73, 8, v73
	s_delay_alu instid0(VALU_DEP_2)
	v_cmp_lt_u32_e32 vcc_lo, 28, v72
	s_wait_alu 0xfffe
	s_or_b32 s1, vcc_lo, s1
	s_wait_loadcnt_dscnt 0x0
	v_mul_f32_e32 v82, v81, v79
	v_mul_f32_e32 v79, v80, v79
	s_delay_alu instid0(VALU_DEP_2) | instskip(NEXT) | instid1(VALU_DEP_2)
	v_fma_f32 v80, v80, v78, -v82
	v_fmac_f32_e32 v79, v81, v78
	s_delay_alu instid0(VALU_DEP_2) | instskip(NEXT) | instid1(VALU_DEP_2)
	v_dual_add_f32 v77, v77, v80 :: v_dual_add_nc_u32 v74, 8, v74
	v_add_f32_e32 v71, v71, v79
	s_wait_alu 0xfffe
	s_and_not1_b32 exec_lo, exec_lo, s1
	s_cbranch_execnz .LBB97_133
; %bb.134:
	s_or_b32 exec_lo, exec_lo, s1
	v_mov_b32_e32 v72, 0
	ds_load_b64 v[72:73], v72 offset:240
	s_wait_dscnt 0x0
	v_mul_f32_e32 v78, v71, v73
	v_mul_f32_e32 v74, v77, v73
	s_delay_alu instid0(VALU_DEP_2) | instskip(NEXT) | instid1(VALU_DEP_2)
	v_fma_f32 v73, v77, v72, -v78
	v_fmac_f32_e32 v74, v71, v72
	scratch_store_b64 off, v[73:74], off offset:240
.LBB97_135:
	s_wait_alu 0xfffe
	s_or_b32 exec_lo, exec_lo, s0
	s_wait_loadcnt 0x0
	s_wait_storecnt 0x0
	s_barrier_signal -1
	s_barrier_wait -1
	global_inv scope:SCOPE_SE
	scratch_load_b64 v[71:72], off, off offset:248
	s_mov_b32 s0, exec_lo
	s_wait_loadcnt 0x0
	ds_store_b64 v69, v[71:72]
	s_wait_dscnt 0x0
	s_barrier_signal -1
	s_barrier_wait -1
	global_inv scope:SCOPE_SE
	v_cmpx_gt_u32_e32 31, v0
	s_cbranch_execz .LBB97_139
; %bb.136:
	v_dual_mov_b32 v71, 0 :: v_dual_add_nc_u32 v72, -1, v0
	v_dual_mov_b32 v74, v75 :: v_dual_add_nc_u32 v73, 0x110, v75
	v_mov_b32_e32 v77, 0
	s_mov_b32 s1, 0
.LBB97_137:                             ; =>This Inner Loop Header: Depth=1
	scratch_load_b64 v[78:79], v74, off
	ds_load_b64 v[80:81], v73
	v_add_nc_u32_e32 v72, 1, v72
	v_add_nc_u32_e32 v73, 8, v73
	s_delay_alu instid0(VALU_DEP_2)
	v_cmp_lt_u32_e32 vcc_lo, 29, v72
	s_wait_alu 0xfffe
	s_or_b32 s1, vcc_lo, s1
	s_wait_loadcnt_dscnt 0x0
	v_mul_f32_e32 v82, v81, v79
	v_mul_f32_e32 v79, v80, v79
	s_delay_alu instid0(VALU_DEP_2) | instskip(NEXT) | instid1(VALU_DEP_2)
	v_fma_f32 v80, v80, v78, -v82
	v_fmac_f32_e32 v79, v81, v78
	s_delay_alu instid0(VALU_DEP_2) | instskip(NEXT) | instid1(VALU_DEP_2)
	v_dual_add_f32 v77, v77, v80 :: v_dual_add_nc_u32 v74, 8, v74
	v_add_f32_e32 v71, v71, v79
	s_wait_alu 0xfffe
	s_and_not1_b32 exec_lo, exec_lo, s1
	s_cbranch_execnz .LBB97_137
; %bb.138:
	s_or_b32 exec_lo, exec_lo, s1
	v_mov_b32_e32 v72, 0
	ds_load_b64 v[72:73], v72 offset:248
	s_wait_dscnt 0x0
	v_mul_f32_e32 v78, v71, v73
	v_mul_f32_e32 v74, v77, v73
	s_delay_alu instid0(VALU_DEP_2) | instskip(NEXT) | instid1(VALU_DEP_2)
	v_fma_f32 v73, v77, v72, -v78
	v_fmac_f32_e32 v74, v71, v72
	scratch_store_b64 off, v[73:74], off offset:248
.LBB97_139:
	s_wait_alu 0xfffe
	s_or_b32 exec_lo, exec_lo, s0
	s_wait_loadcnt 0x0
	s_wait_storecnt 0x0
	s_barrier_signal -1
	s_barrier_wait -1
	global_inv scope:SCOPE_SE
	scratch_load_b64 v[71:72], off, off offset:256
	s_mov_b32 s0, exec_lo
	s_wait_loadcnt 0x0
	ds_store_b64 v69, v[71:72]
	s_wait_dscnt 0x0
	s_barrier_signal -1
	s_barrier_wait -1
	global_inv scope:SCOPE_SE
	v_cmpx_gt_u32_e32 32, v0
	s_cbranch_execz .LBB97_143
; %bb.140:
	v_dual_mov_b32 v71, 0 :: v_dual_add_nc_u32 v72, -1, v0
	v_dual_mov_b32 v74, v75 :: v_dual_add_nc_u32 v73, 0x110, v75
	v_mov_b32_e32 v75, 0
	s_mov_b32 s1, 0
.LBB97_141:                             ; =>This Inner Loop Header: Depth=1
	scratch_load_b64 v[77:78], v74, off
	ds_load_b64 v[79:80], v73
	v_add_nc_u32_e32 v74, 8, v74
	v_add_nc_u32_e32 v72, 1, v72
	;; [unrolled: 1-line block ×3, first 2 shown]
	s_delay_alu instid0(VALU_DEP_2)
	v_cmp_lt_u32_e32 vcc_lo, 30, v72
	s_wait_alu 0xfffe
	s_or_b32 s1, vcc_lo, s1
	s_wait_loadcnt_dscnt 0x0
	v_mul_f32_e32 v81, v80, v78
	v_mul_f32_e32 v78, v79, v78
	s_delay_alu instid0(VALU_DEP_2) | instskip(NEXT) | instid1(VALU_DEP_1)
	v_fma_f32 v79, v79, v77, -v81
	v_dual_fmac_f32 v78, v80, v77 :: v_dual_add_f32 v75, v75, v79
	s_delay_alu instid0(VALU_DEP_1)
	v_add_f32_e32 v71, v71, v78
	s_wait_alu 0xfffe
	s_and_not1_b32 exec_lo, exec_lo, s1
	s_cbranch_execnz .LBB97_141
; %bb.142:
	s_or_b32 exec_lo, exec_lo, s1
	v_mov_b32_e32 v72, 0
	ds_load_b64 v[72:73], v72 offset:256
	s_wait_dscnt 0x0
	v_mul_f32_e32 v77, v71, v73
	v_mul_f32_e32 v74, v75, v73
	s_delay_alu instid0(VALU_DEP_2) | instskip(NEXT) | instid1(VALU_DEP_2)
	v_fma_f32 v73, v75, v72, -v77
	v_fmac_f32_e32 v74, v71, v72
	scratch_store_b64 off, v[73:74], off offset:256
.LBB97_143:
	s_wait_alu 0xfffe
	s_or_b32 exec_lo, exec_lo, s0
	s_wait_loadcnt 0x0
	s_wait_storecnt 0x0
	s_barrier_signal -1
	s_barrier_wait -1
	global_inv scope:SCOPE_SE
	scratch_load_b64 v[71:72], off, off offset:264
	s_mov_b32 s0, exec_lo
	s_wait_loadcnt 0x0
	ds_store_b64 v69, v[71:72]
	s_wait_dscnt 0x0
	s_barrier_signal -1
	s_barrier_wait -1
	global_inv scope:SCOPE_SE
	v_cmpx_ne_u32_e32 33, v0
	s_cbranch_execz .LBB97_147
; %bb.144:
	v_dual_mov_b32 v71, 0 :: v_dual_mov_b32 v72, 0
	s_mov_b32 s1, 0
.LBB97_145:                             ; =>This Inner Loop Header: Depth=1
	scratch_load_b64 v[73:74], v76, off
	ds_load_b64 v[77:78], v69
	v_add_nc_u32_e32 v70, 1, v70
	v_add_nc_u32_e32 v69, 8, v69
	;; [unrolled: 1-line block ×3, first 2 shown]
	s_delay_alu instid0(VALU_DEP_3)
	v_cmp_lt_u32_e32 vcc_lo, 31, v70
	s_wait_alu 0xfffe
	s_or_b32 s1, vcc_lo, s1
	s_wait_loadcnt_dscnt 0x0
	v_mul_f32_e32 v75, v78, v74
	v_mul_f32_e32 v74, v77, v74
	s_delay_alu instid0(VALU_DEP_2) | instskip(NEXT) | instid1(VALU_DEP_2)
	v_fma_f32 v75, v77, v73, -v75
	v_fmac_f32_e32 v74, v78, v73
	s_delay_alu instid0(VALU_DEP_1)
	v_dual_add_f32 v72, v72, v75 :: v_dual_add_f32 v71, v71, v74
	s_wait_alu 0xfffe
	s_and_not1_b32 exec_lo, exec_lo, s1
	s_cbranch_execnz .LBB97_145
; %bb.146:
	s_or_b32 exec_lo, exec_lo, s1
	v_mov_b32_e32 v69, 0
	ds_load_b64 v[69:70], v69 offset:264
	s_wait_dscnt 0x0
	v_mul_f32_e32 v74, v71, v70
	v_mul_f32_e32 v73, v72, v70
	s_delay_alu instid0(VALU_DEP_2) | instskip(NEXT) | instid1(VALU_DEP_2)
	v_fma_f32 v72, v72, v69, -v74
	v_fmac_f32_e32 v73, v71, v69
	scratch_store_b64 off, v[72:73], off offset:264
.LBB97_147:
	s_wait_alu 0xfffe
	s_or_b32 exec_lo, exec_lo, s0
	s_mov_b32 s1, -1
	s_wait_loadcnt 0x0
	s_wait_storecnt 0x0
	s_barrier_signal -1
	s_barrier_wait -1
	global_inv scope:SCOPE_SE
.LBB97_148:
	s_wait_alu 0xfffe
	s_and_b32 vcc_lo, exec_lo, s1
	s_wait_alu 0xfffe
	s_cbranch_vccz .LBB97_150
; %bb.149:
	v_mov_b32_e32 v69, 0
	s_lshl_b64 s[0:1], s[8:9], 2
	s_wait_alu 0xfffe
	s_add_nc_u64 s[0:1], s[6:7], s[0:1]
	global_load_b32 v69, v69, s[0:1]
	s_wait_loadcnt 0x0
	v_cmp_ne_u32_e32 vcc_lo, 0, v69
	s_cbranch_vccz .LBB97_151
.LBB97_150:
	s_nop 0
	s_sendmsg sendmsg(MSG_DEALLOC_VGPRS)
	s_endpgm
.LBB97_151:
	v_lshl_add_u32 v71, v0, 3, 0x110
	s_mov_b32 s0, exec_lo
	v_cmpx_eq_u32_e32 33, v0
	s_cbranch_execz .LBB97_153
; %bb.152:
	scratch_load_b64 v[69:70], off, off offset:256
	v_mov_b32_e32 v72, 0
	s_delay_alu instid0(VALU_DEP_1)
	v_mov_b32_e32 v73, v72
	scratch_store_b64 off, v[72:73], off offset:256
	s_wait_loadcnt 0x0
	ds_store_b64 v71, v[69:70]
.LBB97_153:
	s_wait_alu 0xfffe
	s_or_b32 exec_lo, exec_lo, s0
	s_wait_storecnt_dscnt 0x0
	s_barrier_signal -1
	s_barrier_wait -1
	global_inv scope:SCOPE_SE
	s_clause 0x1
	scratch_load_b64 v[72:73], off, off offset:264
	scratch_load_b64 v[74:75], off, off offset:256
	v_mov_b32_e32 v69, 0
	s_mov_b32 s0, exec_lo
	ds_load_b64 v[76:77], v69 offset:536
	s_wait_loadcnt_dscnt 0x100
	v_mul_f32_e32 v70, v77, v73
	s_delay_alu instid0(VALU_DEP_1) | instskip(NEXT) | instid1(VALU_DEP_1)
	v_fma_f32 v70, v76, v72, -v70
	v_dual_mul_f32 v73, v76, v73 :: v_dual_add_f32 v70, 0, v70
	s_wait_loadcnt 0x0
	s_delay_alu instid0(VALU_DEP_1) | instskip(NEXT) | instid1(VALU_DEP_1)
	v_dual_fmac_f32 v73, v77, v72 :: v_dual_sub_f32 v72, v74, v70
	v_add_f32_e32 v73, 0, v73
	s_delay_alu instid0(VALU_DEP_1)
	v_sub_f32_e32 v73, v75, v73
	scratch_store_b64 off, v[72:73], off offset:256
	v_cmpx_lt_u32_e32 31, v0
	s_cbranch_execz .LBB97_155
; %bb.154:
	scratch_load_b64 v[72:73], off, off offset:248
	v_mov_b32_e32 v70, v69
	scratch_store_b64 off, v[69:70], off offset:248
	s_wait_loadcnt 0x0
	ds_store_b64 v71, v[72:73]
.LBB97_155:
	s_wait_alu 0xfffe
	s_or_b32 exec_lo, exec_lo, s0
	s_wait_storecnt_dscnt 0x0
	s_barrier_signal -1
	s_barrier_wait -1
	global_inv scope:SCOPE_SE
	s_clause 0x1
	scratch_load_b128 v[72:75], off, off offset:256
	scratch_load_b64 v[80:81], off, off offset:248
	ds_load_b128 v[76:79], v69 offset:528
	s_mov_b32 s0, exec_lo
	s_wait_loadcnt_dscnt 0x100
	v_mul_f32_e32 v70, v76, v73
	s_delay_alu instid0(VALU_DEP_1) | instskip(SKIP_2) | instid1(VALU_DEP_1)
	v_fmac_f32_e32 v70, v77, v72
	v_mul_f32_e32 v69, v77, v73
	v_mul_f32_e32 v73, v78, v75
	v_fmac_f32_e32 v73, v79, v74
	s_delay_alu instid0(VALU_DEP_4) | instskip(NEXT) | instid1(VALU_DEP_4)
	v_dual_add_f32 v70, 0, v70 :: v_dual_mul_f32 v75, v79, v75
	v_fma_f32 v69, v76, v72, -v69
	s_delay_alu instid0(VALU_DEP_2) | instskip(NEXT) | instid1(VALU_DEP_3)
	v_add_f32_e32 v70, v70, v73
	v_fma_f32 v72, v78, v74, -v75
	s_wait_loadcnt 0x0
	s_delay_alu instid0(VALU_DEP_2) | instskip(NEXT) | instid1(VALU_DEP_1)
	v_dual_add_f32 v69, 0, v69 :: v_dual_sub_f32 v70, v81, v70
	v_add_f32_e32 v69, v69, v72
	s_delay_alu instid0(VALU_DEP_1)
	v_sub_f32_e32 v69, v80, v69
	scratch_store_b64 off, v[69:70], off offset:248
	v_cmpx_lt_u32_e32 30, v0
	s_cbranch_execz .LBB97_157
; %bb.156:
	scratch_load_b64 v[69:70], off, off offset:240
	v_mov_b32_e32 v72, 0
	s_delay_alu instid0(VALU_DEP_1)
	v_mov_b32_e32 v73, v72
	scratch_store_b64 off, v[72:73], off offset:240
	s_wait_loadcnt 0x0
	ds_store_b64 v71, v[69:70]
.LBB97_157:
	s_wait_alu 0xfffe
	s_or_b32 exec_lo, exec_lo, s0
	s_wait_storecnt_dscnt 0x0
	s_barrier_signal -1
	s_barrier_wait -1
	global_inv scope:SCOPE_SE
	s_clause 0x2
	scratch_load_b128 v[72:75], off, off offset:248
	scratch_load_b64 v[80:81], off, off offset:264
	scratch_load_b64 v[82:83], off, off offset:240
	v_mov_b32_e32 v69, 0
	ds_load_2addr_b64 v[76:79], v69 offset0:65 offset1:66
	ds_load_b64 v[84:85], v69 offset:536
	s_mov_b32 s0, exec_lo
	s_wait_loadcnt_dscnt 0x201
	v_mul_f32_e32 v70, v77, v73
	v_dual_mul_f32 v73, v76, v73 :: v_dual_mul_f32 v86, v78, v75
	v_mul_f32_e32 v75, v79, v75
	s_wait_loadcnt_dscnt 0x100
	v_mul_f32_e32 v87, v84, v81
	v_fma_f32 v70, v76, v72, -v70
	v_fmac_f32_e32 v73, v77, v72
	v_mul_f32_e32 v72, v85, v81
	v_fmac_f32_e32 v86, v79, v74
	v_fma_f32 v74, v78, v74, -v75
	s_delay_alu instid0(VALU_DEP_4) | instskip(NEXT) | instid1(VALU_DEP_4)
	v_dual_add_f32 v70, 0, v70 :: v_dual_add_f32 v73, 0, v73
	v_fma_f32 v72, v84, v80, -v72
	s_delay_alu instid0(VALU_DEP_2) | instskip(NEXT) | instid1(VALU_DEP_1)
	v_add_f32_e32 v70, v70, v74
	v_dual_add_f32 v73, v73, v86 :: v_dual_add_f32 v70, v70, v72
	s_wait_loadcnt 0x0
	s_delay_alu instid0(VALU_DEP_1) | instskip(NEXT) | instid1(VALU_DEP_1)
	v_dual_fmac_f32 v87, v85, v80 :: v_dual_sub_f32 v72, v82, v70
	v_add_f32_e32 v73, v73, v87
	s_delay_alu instid0(VALU_DEP_1)
	v_sub_f32_e32 v73, v83, v73
	scratch_store_b64 off, v[72:73], off offset:240
	v_cmpx_lt_u32_e32 29, v0
	s_cbranch_execz .LBB97_159
; %bb.158:
	scratch_load_b64 v[72:73], off, off offset:232
	v_mov_b32_e32 v70, v69
	scratch_store_b64 off, v[69:70], off offset:232
	s_wait_loadcnt 0x0
	ds_store_b64 v71, v[72:73]
.LBB97_159:
	s_wait_alu 0xfffe
	s_or_b32 exec_lo, exec_lo, s0
	s_wait_storecnt_dscnt 0x0
	s_barrier_signal -1
	s_barrier_wait -1
	global_inv scope:SCOPE_SE
	s_clause 0x2
	scratch_load_b128 v[72:75], off, off offset:240
	scratch_load_b128 v[76:79], off, off offset:256
	scratch_load_b64 v[88:89], off, off offset:232
	ds_load_b128 v[80:83], v69 offset:512
	ds_load_b128 v[84:87], v69 offset:528
	s_mov_b32 s0, exec_lo
	s_wait_loadcnt_dscnt 0x201
	v_mul_f32_e32 v70, v81, v73
	s_wait_loadcnt_dscnt 0x100
	v_dual_mul_f32 v90, v84, v77 :: v_dual_mul_f32 v91, v86, v79
	s_delay_alu instid0(VALU_DEP_2) | instskip(SKIP_2) | instid1(VALU_DEP_4)
	v_fma_f32 v70, v80, v72, -v70
	v_mul_f32_e32 v69, v80, v73
	v_mul_f32_e32 v73, v82, v75
	v_dual_mul_f32 v75, v83, v75 :: v_dual_fmac_f32 v90, v85, v76
	s_delay_alu instid0(VALU_DEP_3) | instskip(NEXT) | instid1(VALU_DEP_3)
	v_dual_add_f32 v70, 0, v70 :: v_dual_fmac_f32 v69, v81, v72
	v_dual_mul_f32 v72, v85, v77 :: v_dual_fmac_f32 v73, v83, v74
	s_delay_alu instid0(VALU_DEP_3) | instskip(SKIP_1) | instid1(VALU_DEP_3)
	v_fma_f32 v74, v82, v74, -v75
	v_fmac_f32_e32 v91, v87, v78
	v_fma_f32 v72, v84, v76, -v72
	s_delay_alu instid0(VALU_DEP_3) | instskip(NEXT) | instid1(VALU_DEP_1)
	v_dual_add_f32 v70, v70, v74 :: v_dual_add_f32 v69, 0, v69
	v_dual_add_f32 v70, v70, v72 :: v_dual_mul_f32 v75, v87, v79
	s_delay_alu instid0(VALU_DEP_2) | instskip(NEXT) | instid1(VALU_DEP_2)
	v_add_f32_e32 v69, v69, v73
	v_fma_f32 v73, v86, v78, -v75
	s_delay_alu instid0(VALU_DEP_1) | instskip(SKIP_1) | instid1(VALU_DEP_1)
	v_dual_add_f32 v69, v69, v90 :: v_dual_add_f32 v70, v70, v73
	s_wait_loadcnt 0x0
	v_dual_add_f32 v72, v69, v91 :: v_dual_sub_f32 v69, v88, v70
	s_delay_alu instid0(VALU_DEP_1)
	v_sub_f32_e32 v70, v89, v72
	scratch_store_b64 off, v[69:70], off offset:232
	v_cmpx_lt_u32_e32 28, v0
	s_cbranch_execz .LBB97_161
; %bb.160:
	scratch_load_b64 v[69:70], off, off offset:224
	v_mov_b32_e32 v72, 0
	s_delay_alu instid0(VALU_DEP_1)
	v_mov_b32_e32 v73, v72
	scratch_store_b64 off, v[72:73], off offset:224
	s_wait_loadcnt 0x0
	ds_store_b64 v71, v[69:70]
.LBB97_161:
	s_wait_alu 0xfffe
	s_or_b32 exec_lo, exec_lo, s0
	s_wait_storecnt_dscnt 0x0
	s_barrier_signal -1
	s_barrier_wait -1
	global_inv scope:SCOPE_SE
	s_clause 0x3
	scratch_load_b128 v[72:75], off, off offset:232
	scratch_load_b128 v[76:79], off, off offset:248
	scratch_load_b64 v[88:89], off, off offset:264
	scratch_load_b64 v[90:91], off, off offset:224
	v_mov_b32_e32 v69, 0
	ds_load_2addr_b64 v[80:83], v69 offset0:63 offset1:64
	ds_load_2addr_b64 v[84:87], v69 offset0:65 offset1:66
	ds_load_b64 v[92:93], v69 offset:536
	s_mov_b32 s0, exec_lo
	s_wait_loadcnt_dscnt 0x302
	v_mul_f32_e32 v70, v80, v73
	v_dual_mul_f32 v94, v82, v75 :: v_dual_mul_f32 v73, v81, v73
	s_wait_loadcnt_dscnt 0x100
	v_mul_f32_e32 v97, v92, v89
	v_dual_mul_f32 v95, v84, v77 :: v_dual_mul_f32 v96, v86, v79
	v_dual_fmac_f32 v70, v81, v72 :: v_dual_mul_f32 v75, v83, v75
	v_fma_f32 v73, v80, v72, -v73
	v_fmac_f32_e32 v94, v83, v74
	v_mul_f32_e32 v72, v85, v77
	s_delay_alu instid0(VALU_DEP_4) | instskip(SKIP_3) | instid1(VALU_DEP_4)
	v_add_f32_e32 v70, 0, v70
	v_fma_f32 v74, v82, v74, -v75
	v_add_f32_e32 v73, 0, v73
	v_mul_f32_e32 v75, v87, v79
	v_dual_fmac_f32 v95, v85, v76 :: v_dual_add_f32 v70, v70, v94
	v_dual_fmac_f32 v96, v87, v78 :: v_dual_fmac_f32 v97, v93, v88
	s_delay_alu instid0(VALU_DEP_4) | instskip(SKIP_1) | instid1(VALU_DEP_4)
	v_add_f32_e32 v73, v73, v74
	v_fma_f32 v72, v84, v76, -v72
	v_add_f32_e32 v70, v70, v95
	v_fma_f32 v75, v86, v78, -v75
	s_delay_alu instid0(VALU_DEP_3) | instskip(NEXT) | instid1(VALU_DEP_3)
	v_add_f32_e32 v72, v73, v72
	v_add_f32_e32 v70, v70, v96
	s_delay_alu instid0(VALU_DEP_2) | instskip(NEXT) | instid1(VALU_DEP_2)
	v_add_f32_e32 v72, v72, v75
	v_add_f32_e32 v70, v70, v97
	v_mul_f32_e32 v74, v93, v89
	s_delay_alu instid0(VALU_DEP_1) | instskip(SKIP_1) | instid1(VALU_DEP_1)
	v_fma_f32 v73, v92, v88, -v74
	s_wait_loadcnt 0x0
	v_dual_add_f32 v72, v72, v73 :: v_dual_sub_f32 v73, v91, v70
	s_delay_alu instid0(VALU_DEP_1)
	v_sub_f32_e32 v72, v90, v72
	scratch_store_b64 off, v[72:73], off offset:224
	v_cmpx_lt_u32_e32 27, v0
	s_cbranch_execz .LBB97_163
; %bb.162:
	scratch_load_b64 v[72:73], off, off offset:216
	v_mov_b32_e32 v70, v69
	scratch_store_b64 off, v[69:70], off offset:216
	s_wait_loadcnt 0x0
	ds_store_b64 v71, v[72:73]
.LBB97_163:
	s_wait_alu 0xfffe
	s_or_b32 exec_lo, exec_lo, s0
	s_wait_storecnt_dscnt 0x0
	s_barrier_signal -1
	s_barrier_wait -1
	global_inv scope:SCOPE_SE
	s_clause 0x3
	scratch_load_b128 v[72:75], off, off offset:224
	scratch_load_b128 v[76:79], off, off offset:240
	;; [unrolled: 1-line block ×3, first 2 shown]
	scratch_load_b64 v[96:97], off, off offset:216
	ds_load_b128 v[84:87], v69 offset:496
	ds_load_b128 v[88:91], v69 offset:512
	;; [unrolled: 1-line block ×3, first 2 shown]
	s_mov_b32 s0, exec_lo
	s_wait_loadcnt_dscnt 0x302
	v_dual_mul_f32 v69, v84, v73 :: v_dual_mul_f32 v70, v86, v75
	v_mul_f32_e32 v73, v85, v73
	s_wait_loadcnt_dscnt 0x201
	v_dual_mul_f32 v75, v87, v75 :: v_dual_mul_f32 v98, v88, v77
	s_delay_alu instid0(VALU_DEP_3) | instskip(NEXT) | instid1(VALU_DEP_3)
	v_dual_mul_f32 v99, v90, v79 :: v_dual_fmac_f32 v70, v87, v74
	v_fma_f32 v73, v84, v72, -v73
	v_fmac_f32_e32 v69, v85, v72
	v_mul_f32_e32 v72, v89, v77
	v_fma_f32 v74, v86, v74, -v75
	v_mul_f32_e32 v75, v91, v79
	v_dual_add_f32 v73, 0, v73 :: v_dual_fmac_f32 v98, v89, v76
	s_delay_alu instid0(VALU_DEP_4) | instskip(SKIP_2) | instid1(VALU_DEP_3)
	v_fma_f32 v72, v88, v76, -v72
	s_wait_loadcnt_dscnt 0x100
	v_dual_mul_f32 v100, v92, v81 :: v_dual_mul_f32 v101, v94, v83
	v_add_f32_e32 v73, v73, v74
	v_fmac_f32_e32 v99, v91, v78
	v_fma_f32 v74, v90, v78, -v75
	s_delay_alu instid0(VALU_DEP_4) | instskip(NEXT) | instid1(VALU_DEP_4)
	v_dual_fmac_f32 v100, v93, v80 :: v_dual_fmac_f32 v101, v95, v82
	v_add_f32_e32 v72, v73, v72
	s_delay_alu instid0(VALU_DEP_1) | instskip(SKIP_1) | instid1(VALU_DEP_1)
	v_dual_add_f32 v72, v72, v74 :: v_dual_add_f32 v69, 0, v69
	v_mul_f32_e32 v73, v95, v83
	v_fma_f32 v73, v94, v82, -v73
	s_delay_alu instid0(VALU_DEP_3) | instskip(SKIP_1) | instid1(VALU_DEP_1)
	v_add_f32_e32 v69, v69, v70
	v_mul_f32_e32 v70, v93, v81
	v_fma_f32 v70, v92, v80, -v70
	s_delay_alu instid0(VALU_DEP_1) | instskip(NEXT) | instid1(VALU_DEP_1)
	v_add_f32_e32 v70, v72, v70
	v_dual_add_f32 v70, v70, v73 :: v_dual_add_f32 v69, v69, v98
	s_delay_alu instid0(VALU_DEP_1) | instskip(NEXT) | instid1(VALU_DEP_1)
	v_add_f32_e32 v69, v69, v99
	v_add_f32_e32 v69, v69, v100
	s_wait_loadcnt 0x0
	s_delay_alu instid0(VALU_DEP_1) | instskip(NEXT) | instid1(VALU_DEP_1)
	v_dual_add_f32 v72, v69, v101 :: v_dual_sub_f32 v69, v96, v70
	v_sub_f32_e32 v70, v97, v72
	scratch_store_b64 off, v[69:70], off offset:216
	v_cmpx_lt_u32_e32 26, v0
	s_cbranch_execz .LBB97_165
; %bb.164:
	scratch_load_b64 v[69:70], off, off offset:208
	v_mov_b32_e32 v72, 0
	s_delay_alu instid0(VALU_DEP_1)
	v_mov_b32_e32 v73, v72
	scratch_store_b64 off, v[72:73], off offset:208
	s_wait_loadcnt 0x0
	ds_store_b64 v71, v[69:70]
.LBB97_165:
	s_wait_alu 0xfffe
	s_or_b32 exec_lo, exec_lo, s0
	s_wait_storecnt_dscnt 0x0
	s_barrier_signal -1
	s_barrier_wait -1
	global_inv scope:SCOPE_SE
	s_clause 0x4
	scratch_load_b128 v[72:75], off, off offset:216
	scratch_load_b128 v[76:79], off, off offset:232
	;; [unrolled: 1-line block ×3, first 2 shown]
	scratch_load_b64 v[96:97], off, off offset:264
	scratch_load_b64 v[98:99], off, off offset:208
	v_mov_b32_e32 v69, 0
	ds_load_2addr_b64 v[84:87], v69 offset0:61 offset1:62
	ds_load_2addr_b64 v[88:91], v69 offset0:63 offset1:64
	;; [unrolled: 1-line block ×3, first 2 shown]
	ds_load_b64 v[100:101], v69 offset:536
	s_mov_b32 s0, exec_lo
	s_wait_loadcnt_dscnt 0x403
	v_mul_f32_e32 v70, v84, v73
	s_wait_loadcnt_dscnt 0x302
	v_dual_mul_f32 v102, v86, v75 :: v_dual_mul_f32 v103, v88, v77
	v_dual_mul_f32 v104, v90, v79 :: v_dual_mul_f32 v73, v85, v73
	s_wait_loadcnt_dscnt 0x100
	v_dual_mul_f32 v107, v100, v97 :: v_dual_fmac_f32 v70, v85, v72
	v_mul_f32_e32 v75, v87, v75
	v_dual_mul_f32 v105, v92, v81 :: v_dual_mul_f32 v106, v94, v83
	v_fma_f32 v73, v84, v72, -v73
	v_fmac_f32_e32 v102, v87, v74
	v_add_f32_e32 v70, 0, v70
	v_mul_f32_e32 v72, v89, v77
	v_fma_f32 v74, v86, v74, -v75
	v_add_f32_e32 v73, 0, v73
	v_mul_f32_e32 v75, v91, v79
	v_dual_fmac_f32 v103, v89, v76 :: v_dual_add_f32 v70, v70, v102
	v_dual_fmac_f32 v104, v91, v78 :: v_dual_fmac_f32 v105, v93, v80
	s_delay_alu instid0(VALU_DEP_4) | instskip(SKIP_1) | instid1(VALU_DEP_4)
	v_add_f32_e32 v73, v73, v74
	v_dual_fmac_f32 v106, v95, v82 :: v_dual_fmac_f32 v107, v101, v96
	v_add_f32_e32 v70, v70, v103
	v_fma_f32 v72, v88, v76, -v72
	v_mul_f32_e32 v74, v93, v81
	v_fma_f32 v75, v90, v78, -v75
	s_delay_alu instid0(VALU_DEP_4) | instskip(NEXT) | instid1(VALU_DEP_1)
	v_add_f32_e32 v70, v70, v104
	v_add_f32_e32 v70, v70, v105
	s_delay_alu instid0(VALU_DEP_1) | instskip(NEXT) | instid1(VALU_DEP_1)
	v_add_f32_e32 v70, v70, v106
	v_add_f32_e32 v70, v70, v107
	v_dual_add_f32 v72, v73, v72 :: v_dual_mul_f32 v73, v95, v83
	v_fma_f32 v74, v92, v80, -v74
	s_delay_alu instid0(VALU_DEP_2) | instskip(NEXT) | instid1(VALU_DEP_3)
	v_dual_add_f32 v72, v72, v75 :: v_dual_mul_f32 v75, v101, v97
	v_fma_f32 v73, v94, v82, -v73
	s_delay_alu instid0(VALU_DEP_2) | instskip(NEXT) | instid1(VALU_DEP_3)
	v_add_f32_e32 v72, v72, v74
	v_fma_f32 v74, v100, v96, -v75
	s_wait_loadcnt 0x0
	s_delay_alu instid0(VALU_DEP_2) | instskip(NEXT) | instid1(VALU_DEP_1)
	v_dual_add_f32 v72, v72, v73 :: v_dual_sub_f32 v73, v99, v70
	v_add_f32_e32 v72, v72, v74
	s_delay_alu instid0(VALU_DEP_1)
	v_sub_f32_e32 v72, v98, v72
	scratch_store_b64 off, v[72:73], off offset:208
	v_cmpx_lt_u32_e32 25, v0
	s_cbranch_execz .LBB97_167
; %bb.166:
	scratch_load_b64 v[72:73], off, off offset:200
	v_mov_b32_e32 v70, v69
	scratch_store_b64 off, v[69:70], off offset:200
	s_wait_loadcnt 0x0
	ds_store_b64 v71, v[72:73]
.LBB97_167:
	s_wait_alu 0xfffe
	s_or_b32 exec_lo, exec_lo, s0
	s_wait_storecnt_dscnt 0x0
	s_barrier_signal -1
	s_barrier_wait -1
	global_inv scope:SCOPE_SE
	s_clause 0x4
	scratch_load_b128 v[72:75], off, off offset:208
	scratch_load_b128 v[76:79], off, off offset:224
	;; [unrolled: 1-line block ×4, first 2 shown]
	scratch_load_b64 v[104:105], off, off offset:200
	ds_load_b128 v[88:91], v69 offset:480
	ds_load_b128 v[92:95], v69 offset:496
	;; [unrolled: 1-line block ×4, first 2 shown]
	s_mov_b32 s0, exec_lo
	s_wait_loadcnt_dscnt 0x403
	v_dual_mul_f32 v69, v88, v73 :: v_dual_mul_f32 v70, v90, v75
	v_mul_f32_e32 v73, v89, v73
	s_wait_loadcnt_dscnt 0x302
	v_dual_mul_f32 v75, v91, v75 :: v_dual_mul_f32 v106, v92, v77
	s_delay_alu instid0(VALU_DEP_3) | instskip(NEXT) | instid1(VALU_DEP_3)
	v_dual_mul_f32 v107, v94, v79 :: v_dual_fmac_f32 v70, v91, v74
	v_fma_f32 v73, v88, v72, -v73
	v_fmac_f32_e32 v69, v89, v72
	v_mul_f32_e32 v72, v93, v77
	v_fma_f32 v74, v90, v74, -v75
	v_mul_f32_e32 v75, v95, v79
	v_dual_add_f32 v73, 0, v73 :: v_dual_fmac_f32 v106, v93, v76
	s_delay_alu instid0(VALU_DEP_4) | instskip(SKIP_2) | instid1(VALU_DEP_3)
	v_fma_f32 v72, v92, v76, -v72
	s_wait_loadcnt_dscnt 0x201
	v_dual_mul_f32 v108, v96, v81 :: v_dual_mul_f32 v109, v98, v83
	v_add_f32_e32 v73, v73, v74
	v_fmac_f32_e32 v107, v95, v78
	v_fma_f32 v74, v94, v78, -v75
	s_wait_loadcnt_dscnt 0x100
	v_dual_mul_f32 v110, v100, v85 :: v_dual_mul_f32 v111, v102, v87
	v_dual_add_f32 v72, v73, v72 :: v_dual_mul_f32 v73, v99, v83
	v_dual_fmac_f32 v108, v97, v80 :: v_dual_fmac_f32 v109, v99, v82
	s_delay_alu instid0(VALU_DEP_3) | instskip(NEXT) | instid1(VALU_DEP_3)
	v_fmac_f32_e32 v110, v101, v84
	v_dual_add_f32 v72, v72, v74 :: v_dual_add_f32 v69, 0, v69
	v_mul_f32_e32 v74, v101, v85
	v_fma_f32 v73, v98, v82, -v73
	v_fmac_f32_e32 v111, v103, v86
	s_delay_alu instid0(VALU_DEP_4) | instskip(SKIP_2) | instid1(VALU_DEP_2)
	v_add_f32_e32 v69, v69, v70
	v_mul_f32_e32 v70, v97, v81
	v_fma_f32 v74, v100, v84, -v74
	v_fma_f32 v70, v96, v80, -v70
	s_delay_alu instid0(VALU_DEP_1) | instskip(SKIP_1) | instid1(VALU_DEP_2)
	v_add_f32_e32 v70, v72, v70
	v_mul_f32_e32 v72, v103, v87
	v_add_f32_e32 v70, v70, v73
	s_delay_alu instid0(VALU_DEP_2) | instskip(NEXT) | instid1(VALU_DEP_2)
	v_fma_f32 v72, v102, v86, -v72
	v_add_f32_e32 v70, v70, v74
	s_delay_alu instid0(VALU_DEP_1) | instskip(NEXT) | instid1(VALU_DEP_1)
	v_dual_add_f32 v69, v69, v106 :: v_dual_add_f32 v70, v70, v72
	v_add_f32_e32 v69, v69, v107
	s_delay_alu instid0(VALU_DEP_1) | instskip(NEXT) | instid1(VALU_DEP_1)
	v_add_f32_e32 v69, v69, v108
	v_add_f32_e32 v69, v69, v109
	s_delay_alu instid0(VALU_DEP_1) | instskip(SKIP_1) | instid1(VALU_DEP_1)
	v_add_f32_e32 v69, v69, v110
	s_wait_loadcnt 0x0
	v_dual_add_f32 v72, v69, v111 :: v_dual_sub_f32 v69, v104, v70
	s_delay_alu instid0(VALU_DEP_1)
	v_sub_f32_e32 v70, v105, v72
	scratch_store_b64 off, v[69:70], off offset:200
	v_cmpx_lt_u32_e32 24, v0
	s_cbranch_execz .LBB97_169
; %bb.168:
	scratch_load_b64 v[69:70], off, off offset:192
	v_mov_b32_e32 v72, 0
	s_delay_alu instid0(VALU_DEP_1)
	v_mov_b32_e32 v73, v72
	scratch_store_b64 off, v[72:73], off offset:192
	s_wait_loadcnt 0x0
	ds_store_b64 v71, v[69:70]
.LBB97_169:
	s_wait_alu 0xfffe
	s_or_b32 exec_lo, exec_lo, s0
	s_wait_storecnt_dscnt 0x0
	s_barrier_signal -1
	s_barrier_wait -1
	global_inv scope:SCOPE_SE
	s_clause 0x5
	scratch_load_b128 v[72:75], off, off offset:200
	scratch_load_b128 v[76:79], off, off offset:216
	;; [unrolled: 1-line block ×4, first 2 shown]
	scratch_load_b64 v[104:105], off, off offset:264
	scratch_load_b64 v[106:107], off, off offset:192
	v_mov_b32_e32 v69, 0
	ds_load_2addr_b64 v[88:91], v69 offset0:59 offset1:60
	ds_load_2addr_b64 v[92:95], v69 offset0:61 offset1:62
	;; [unrolled: 1-line block ×4, first 2 shown]
	ds_load_b64 v[108:109], v69 offset:536
	s_mov_b32 s0, exec_lo
	s_wait_loadcnt_dscnt 0x504
	v_mul_f32_e32 v70, v88, v73
	s_wait_loadcnt_dscnt 0x403
	v_dual_mul_f32 v110, v90, v75 :: v_dual_mul_f32 v111, v92, v77
	s_wait_loadcnt_dscnt 0x302
	v_dual_mul_f32 v114, v98, v83 :: v_dual_mul_f32 v73, v89, v73
	s_wait_loadcnt_dscnt 0x100
	v_dual_mul_f32 v117, v108, v105 :: v_dual_fmac_f32 v70, v89, v72
	v_mul_f32_e32 v75, v91, v75
	v_dual_mul_f32 v112, v94, v79 :: v_dual_mul_f32 v113, v96, v81
	v_fma_f32 v73, v88, v72, -v73
	v_fmac_f32_e32 v110, v91, v74
	v_add_f32_e32 v70, 0, v70
	v_mul_f32_e32 v72, v93, v77
	v_fma_f32 v74, v90, v74, -v75
	v_add_f32_e32 v73, 0, v73
	v_mul_f32_e32 v75, v95, v79
	v_dual_fmac_f32 v111, v93, v76 :: v_dual_add_f32 v70, v70, v110
	v_dual_fmac_f32 v112, v95, v78 :: v_dual_fmac_f32 v113, v97, v80
	s_delay_alu instid0(VALU_DEP_4) | instskip(SKIP_1) | instid1(VALU_DEP_4)
	v_add_f32_e32 v73, v73, v74
	v_dual_mul_f32 v115, v100, v85 :: v_dual_mul_f32 v116, v102, v87
	v_add_f32_e32 v70, v70, v111
	v_dual_fmac_f32 v114, v99, v82 :: v_dual_fmac_f32 v117, v109, v104
	s_delay_alu instid0(VALU_DEP_3) | instskip(NEXT) | instid1(VALU_DEP_3)
	v_dual_fmac_f32 v115, v101, v84 :: v_dual_fmac_f32 v116, v103, v86
	v_add_f32_e32 v70, v70, v112
	v_fma_f32 v72, v92, v76, -v72
	v_mul_f32_e32 v74, v97, v81
	v_fma_f32 v75, v94, v78, -v75
	s_delay_alu instid0(VALU_DEP_4) | instskip(NEXT) | instid1(VALU_DEP_1)
	v_add_f32_e32 v70, v70, v113
	v_add_f32_e32 v70, v70, v114
	s_delay_alu instid0(VALU_DEP_1) | instskip(NEXT) | instid1(VALU_DEP_1)
	v_add_f32_e32 v70, v70, v115
	v_add_f32_e32 v70, v70, v116
	s_delay_alu instid0(VALU_DEP_1) | instskip(SKIP_2) | instid1(VALU_DEP_2)
	v_add_f32_e32 v70, v70, v117
	v_dual_add_f32 v72, v73, v72 :: v_dual_mul_f32 v73, v99, v83
	v_fma_f32 v74, v96, v80, -v74
	v_dual_add_f32 v72, v72, v75 :: v_dual_mul_f32 v75, v101, v85
	s_delay_alu instid0(VALU_DEP_3) | instskip(NEXT) | instid1(VALU_DEP_2)
	v_fma_f32 v73, v98, v82, -v73
	v_add_f32_e32 v72, v72, v74
	v_mul_f32_e32 v74, v103, v87
	s_delay_alu instid0(VALU_DEP_4) | instskip(NEXT) | instid1(VALU_DEP_3)
	v_fma_f32 v75, v100, v84, -v75
	v_add_f32_e32 v72, v72, v73
	v_mul_f32_e32 v73, v109, v105
	s_delay_alu instid0(VALU_DEP_4) | instskip(NEXT) | instid1(VALU_DEP_3)
	v_fma_f32 v74, v102, v86, -v74
	v_add_f32_e32 v72, v72, v75
	s_delay_alu instid0(VALU_DEP_3) | instskip(NEXT) | instid1(VALU_DEP_2)
	v_fma_f32 v73, v108, v104, -v73
	v_add_f32_e32 v72, v72, v74
	s_wait_loadcnt 0x0
	s_delay_alu instid0(VALU_DEP_1) | instskip(NEXT) | instid1(VALU_DEP_1)
	v_dual_add_f32 v72, v72, v73 :: v_dual_sub_f32 v73, v107, v70
	v_sub_f32_e32 v72, v106, v72
	scratch_store_b64 off, v[72:73], off offset:192
	v_cmpx_lt_u32_e32 23, v0
	s_cbranch_execz .LBB97_171
; %bb.170:
	scratch_load_b64 v[72:73], off, off offset:184
	v_mov_b32_e32 v70, v69
	scratch_store_b64 off, v[69:70], off offset:184
	s_wait_loadcnt 0x0
	ds_store_b64 v71, v[72:73]
.LBB97_171:
	s_wait_alu 0xfffe
	s_or_b32 exec_lo, exec_lo, s0
	s_wait_storecnt_dscnt 0x0
	s_barrier_signal -1
	s_barrier_wait -1
	global_inv scope:SCOPE_SE
	s_clause 0x5
	scratch_load_b128 v[72:75], off, off offset:192
	scratch_load_b128 v[76:79], off, off offset:208
	;; [unrolled: 1-line block ×5, first 2 shown]
	scratch_load_b64 v[112:113], off, off offset:184
	ds_load_b128 v[92:95], v69 offset:464
	ds_load_b128 v[96:99], v69 offset:480
	;; [unrolled: 1-line block ×5, first 2 shown]
	s_mov_b32 s0, exec_lo
	s_wait_loadcnt_dscnt 0x504
	v_dual_mul_f32 v69, v92, v73 :: v_dual_mul_f32 v70, v94, v75
	v_mul_f32_e32 v73, v93, v73
	s_wait_loadcnt_dscnt 0x403
	v_dual_mul_f32 v75, v95, v75 :: v_dual_mul_f32 v114, v96, v77
	s_delay_alu instid0(VALU_DEP_3) | instskip(NEXT) | instid1(VALU_DEP_3)
	v_dual_mul_f32 v115, v98, v79 :: v_dual_fmac_f32 v70, v95, v74
	v_fma_f32 v73, v92, v72, -v73
	v_fmac_f32_e32 v69, v93, v72
	v_mul_f32_e32 v72, v97, v77
	v_fma_f32 v74, v94, v74, -v75
	v_mul_f32_e32 v75, v99, v79
	v_dual_add_f32 v73, 0, v73 :: v_dual_fmac_f32 v114, v97, v76
	s_delay_alu instid0(VALU_DEP_4) | instskip(SKIP_2) | instid1(VALU_DEP_3)
	v_fma_f32 v72, v96, v76, -v72
	s_wait_loadcnt_dscnt 0x302
	v_dual_mul_f32 v116, v100, v81 :: v_dual_mul_f32 v117, v102, v83
	v_add_f32_e32 v73, v73, v74
	v_fmac_f32_e32 v115, v99, v78
	v_fma_f32 v74, v98, v78, -v75
	s_wait_loadcnt_dscnt 0x201
	v_dual_mul_f32 v118, v104, v85 :: v_dual_mul_f32 v119, v106, v87
	v_dual_add_f32 v72, v73, v72 :: v_dual_mul_f32 v73, v103, v83
	v_fmac_f32_e32 v116, v101, v80
	s_wait_loadcnt_dscnt 0x100
	v_dual_mul_f32 v120, v108, v89 :: v_dual_mul_f32 v121, v110, v91
	s_delay_alu instid0(VALU_DEP_3) | instskip(SKIP_3) | instid1(VALU_DEP_4)
	v_dual_add_f32 v72, v72, v74 :: v_dual_add_f32 v69, 0, v69
	v_mul_f32_e32 v74, v105, v85
	v_fma_f32 v73, v102, v82, -v73
	v_dual_fmac_f32 v117, v103, v82 :: v_dual_fmac_f32 v118, v105, v84
	v_add_f32_e32 v69, v69, v70
	v_mul_f32_e32 v70, v101, v81
	v_fma_f32 v74, v104, v84, -v74
	v_dual_fmac_f32 v119, v107, v86 :: v_dual_fmac_f32 v120, v109, v88
	s_delay_alu instid0(VALU_DEP_3) | instskip(NEXT) | instid1(VALU_DEP_1)
	v_fma_f32 v70, v100, v80, -v70
	v_add_f32_e32 v70, v72, v70
	v_mul_f32_e32 v72, v107, v87
	s_delay_alu instid0(VALU_DEP_2) | instskip(SKIP_1) | instid1(VALU_DEP_3)
	v_dual_add_f32 v70, v70, v73 :: v_dual_add_f32 v69, v69, v114
	v_mul_f32_e32 v73, v109, v89
	v_fma_f32 v72, v106, v86, -v72
	s_delay_alu instid0(VALU_DEP_3) | instskip(SKIP_3) | instid1(VALU_DEP_4)
	v_add_f32_e32 v70, v70, v74
	v_mul_f32_e32 v74, v111, v91
	v_add_f32_e32 v69, v69, v115
	v_fma_f32 v73, v108, v88, -v73
	v_dual_add_f32 v70, v70, v72 :: v_dual_fmac_f32 v121, v111, v90
	s_delay_alu instid0(VALU_DEP_3) | instskip(SKIP_1) | instid1(VALU_DEP_3)
	v_add_f32_e32 v69, v69, v116
	v_fma_f32 v72, v110, v90, -v74
	v_add_f32_e32 v70, v70, v73
	s_delay_alu instid0(VALU_DEP_1) | instskip(NEXT) | instid1(VALU_DEP_1)
	v_dual_add_f32 v69, v69, v117 :: v_dual_add_f32 v70, v70, v72
	v_add_f32_e32 v69, v69, v118
	s_delay_alu instid0(VALU_DEP_1) | instskip(NEXT) | instid1(VALU_DEP_1)
	v_add_f32_e32 v69, v69, v119
	v_add_f32_e32 v69, v69, v120
	s_wait_loadcnt 0x0
	s_delay_alu instid0(VALU_DEP_1) | instskip(NEXT) | instid1(VALU_DEP_1)
	v_dual_add_f32 v72, v69, v121 :: v_dual_sub_f32 v69, v112, v70
	v_sub_f32_e32 v70, v113, v72
	scratch_store_b64 off, v[69:70], off offset:184
	v_cmpx_lt_u32_e32 22, v0
	s_cbranch_execz .LBB97_173
; %bb.172:
	scratch_load_b64 v[69:70], off, off offset:176
	v_mov_b32_e32 v72, 0
	s_delay_alu instid0(VALU_DEP_1)
	v_mov_b32_e32 v73, v72
	scratch_store_b64 off, v[72:73], off offset:176
	s_wait_loadcnt 0x0
	ds_store_b64 v71, v[69:70]
.LBB97_173:
	s_wait_alu 0xfffe
	s_or_b32 exec_lo, exec_lo, s0
	s_wait_storecnt_dscnt 0x0
	s_barrier_signal -1
	s_barrier_wait -1
	global_inv scope:SCOPE_SE
	s_clause 0x6
	scratch_load_b128 v[72:75], off, off offset:184
	scratch_load_b128 v[76:79], off, off offset:200
	;; [unrolled: 1-line block ×5, first 2 shown]
	scratch_load_b64 v[112:113], off, off offset:264
	scratch_load_b64 v[114:115], off, off offset:176
	v_mov_b32_e32 v69, 0
	ds_load_2addr_b64 v[92:95], v69 offset0:57 offset1:58
	ds_load_2addr_b64 v[96:99], v69 offset0:59 offset1:60
	;; [unrolled: 1-line block ×5, first 2 shown]
	ds_load_b64 v[116:117], v69 offset:536
	s_mov_b32 s0, exec_lo
	s_wait_loadcnt_dscnt 0x605
	v_mul_f32_e32 v70, v92, v73
	v_dual_mul_f32 v73, v93, v73 :: v_dual_mul_f32 v118, v94, v75
	s_wait_loadcnt_dscnt 0x302
	v_dual_mul_f32 v119, v96, v77 :: v_dual_mul_f32 v124, v106, v87
	s_wait_loadcnt_dscnt 0x100
	v_dual_mul_f32 v127, v116, v113 :: v_dual_fmac_f32 v70, v93, v72
	v_mul_f32_e32 v75, v95, v75
	v_fma_f32 v73, v92, v72, -v73
	v_mul_f32_e32 v72, v97, v77
	v_fmac_f32_e32 v118, v95, v74
	v_add_f32_e32 v70, 0, v70
	v_fma_f32 v74, v94, v74, -v75
	v_add_f32_e32 v73, 0, v73
	v_mul_f32_e32 v75, v99, v79
	s_delay_alu instid0(VALU_DEP_4) | instskip(SKIP_1) | instid1(VALU_DEP_4)
	v_dual_fmac_f32 v119, v97, v76 :: v_dual_add_f32 v70, v70, v118
	v_fma_f32 v72, v96, v76, -v72
	v_dual_add_f32 v73, v73, v74 :: v_dual_mul_f32 v120, v98, v79
	v_mul_f32_e32 v121, v100, v81
	v_mul_f32_e32 v74, v101, v81
	v_fma_f32 v75, v98, v78, -v75
	v_add_f32_e32 v70, v70, v119
	v_add_f32_e32 v72, v73, v72
	v_dual_fmac_f32 v120, v99, v78 :: v_dual_fmac_f32 v121, v101, v80
	v_mul_f32_e32 v73, v103, v83
	v_fma_f32 v74, v100, v80, -v74
	s_delay_alu instid0(VALU_DEP_4) | instskip(SKIP_4) | instid1(VALU_DEP_3)
	v_dual_add_f32 v72, v72, v75 :: v_dual_mul_f32 v75, v105, v85
	v_dual_mul_f32 v122, v102, v83 :: v_dual_mul_f32 v123, v104, v85
	v_dual_mul_f32 v125, v108, v89 :: v_dual_mul_f32 v126, v110, v91
	v_add_f32_e32 v70, v70, v120
	v_fma_f32 v73, v102, v82, -v73
	v_dual_add_f32 v72, v72, v74 :: v_dual_fmac_f32 v125, v109, v88
	v_dual_fmac_f32 v122, v103, v82 :: v_dual_fmac_f32 v123, v105, v84
	v_mul_f32_e32 v74, v107, v87
	s_delay_alu instid0(VALU_DEP_3)
	v_add_f32_e32 v72, v72, v73
	v_mul_f32_e32 v73, v109, v89
	v_dual_add_f32 v70, v70, v121 :: v_dual_fmac_f32 v127, v117, v112
	v_fma_f32 v75, v104, v84, -v75
	v_fmac_f32_e32 v124, v107, v86
	v_fma_f32 v74, v106, v86, -v74
	s_delay_alu instid0(VALU_DEP_4)
	v_add_f32_e32 v70, v70, v122
	v_fma_f32 v73, v108, v88, -v73
	v_add_f32_e32 v72, v72, v75
	v_mul_f32_e32 v75, v111, v91
	v_fmac_f32_e32 v126, v111, v90
	v_add_f32_e32 v70, v70, v123
	s_delay_alu instid0(VALU_DEP_4) | instskip(SKIP_2) | instid1(VALU_DEP_4)
	v_add_f32_e32 v72, v72, v74
	v_mul_f32_e32 v74, v117, v113
	v_fma_f32 v75, v110, v90, -v75
	v_add_f32_e32 v70, v70, v124
	s_delay_alu instid0(VALU_DEP_4) | instskip(NEXT) | instid1(VALU_DEP_4)
	v_add_f32_e32 v72, v72, v73
	v_fma_f32 v73, v116, v112, -v74
	s_delay_alu instid0(VALU_DEP_3) | instskip(NEXT) | instid1(VALU_DEP_3)
	v_add_f32_e32 v70, v70, v125
	v_add_f32_e32 v72, v72, v75
	s_delay_alu instid0(VALU_DEP_2) | instskip(NEXT) | instid1(VALU_DEP_2)
	v_add_f32_e32 v70, v70, v126
	v_add_f32_e32 v72, v72, v73
	s_delay_alu instid0(VALU_DEP_2) | instskip(SKIP_1) | instid1(VALU_DEP_1)
	v_add_f32_e32 v70, v70, v127
	s_wait_loadcnt 0x0
	v_dual_sub_f32 v72, v114, v72 :: v_dual_sub_f32 v73, v115, v70
	scratch_store_b64 off, v[72:73], off offset:176
	v_cmpx_lt_u32_e32 21, v0
	s_cbranch_execz .LBB97_175
; %bb.174:
	scratch_load_b64 v[72:73], off, off offset:168
	v_mov_b32_e32 v70, v69
	scratch_store_b64 off, v[69:70], off offset:168
	s_wait_loadcnt 0x0
	ds_store_b64 v71, v[72:73]
.LBB97_175:
	s_wait_alu 0xfffe
	s_or_b32 exec_lo, exec_lo, s0
	s_wait_storecnt_dscnt 0x0
	s_barrier_signal -1
	s_barrier_wait -1
	global_inv scope:SCOPE_SE
	s_clause 0x6
	scratch_load_b128 v[72:75], off, off offset:176
	scratch_load_b128 v[76:79], off, off offset:192
	;; [unrolled: 1-line block ×6, first 2 shown]
	scratch_load_b64 v[120:121], off, off offset:168
	ds_load_b128 v[96:99], v69 offset:448
	ds_load_b128 v[100:103], v69 offset:464
	;; [unrolled: 1-line block ×6, first 2 shown]
	s_mov_b32 s0, exec_lo
	s_wait_loadcnt_dscnt 0x605
	v_dual_mul_f32 v69, v96, v73 :: v_dual_mul_f32 v70, v98, v75
	v_mul_f32_e32 v73, v97, v73
	s_wait_loadcnt_dscnt 0x504
	v_dual_mul_f32 v75, v99, v75 :: v_dual_mul_f32 v122, v100, v77
	s_delay_alu instid0(VALU_DEP_3) | instskip(NEXT) | instid1(VALU_DEP_3)
	v_dual_mul_f32 v123, v102, v79 :: v_dual_fmac_f32 v70, v99, v74
	v_fma_f32 v73, v96, v72, -v73
	v_fmac_f32_e32 v69, v97, v72
	v_mul_f32_e32 v72, v101, v77
	v_fma_f32 v74, v98, v74, -v75
	v_mul_f32_e32 v75, v103, v79
	v_dual_add_f32 v73, 0, v73 :: v_dual_fmac_f32 v122, v101, v76
	s_delay_alu instid0(VALU_DEP_4) | instskip(SKIP_2) | instid1(VALU_DEP_3)
	v_fma_f32 v72, v100, v76, -v72
	s_wait_loadcnt_dscnt 0x403
	v_dual_mul_f32 v124, v104, v81 :: v_dual_mul_f32 v125, v106, v83
	v_add_f32_e32 v73, v73, v74
	v_fmac_f32_e32 v123, v103, v78
	v_fma_f32 v74, v102, v78, -v75
	s_wait_loadcnt_dscnt 0x302
	v_dual_mul_f32 v126, v108, v85 :: v_dual_mul_f32 v127, v110, v87
	v_dual_add_f32 v72, v73, v72 :: v_dual_mul_f32 v73, v107, v83
	v_fmac_f32_e32 v124, v105, v80
	s_wait_loadcnt_dscnt 0x201
	v_dual_mul_f32 v128, v112, v89 :: v_dual_mul_f32 v129, v114, v91
	s_delay_alu instid0(VALU_DEP_3) | instskip(SKIP_3) | instid1(VALU_DEP_4)
	v_dual_add_f32 v72, v72, v74 :: v_dual_add_f32 v69, 0, v69
	v_mul_f32_e32 v74, v109, v85
	v_fma_f32 v73, v106, v82, -v73
	v_dual_fmac_f32 v125, v107, v82 :: v_dual_fmac_f32 v126, v109, v84
	v_add_f32_e32 v69, v69, v70
	v_mul_f32_e32 v70, v105, v81
	v_fma_f32 v74, v108, v84, -v74
	v_dual_fmac_f32 v127, v111, v86 :: v_dual_fmac_f32 v128, v113, v88
	s_wait_loadcnt_dscnt 0x100
	v_dual_mul_f32 v130, v116, v93 :: v_dual_mul_f32 v131, v118, v95
	v_fma_f32 v70, v104, v80, -v70
	s_delay_alu instid0(VALU_DEP_2) | instskip(NEXT) | instid1(VALU_DEP_3)
	v_dual_fmac_f32 v129, v115, v90 :: v_dual_fmac_f32 v130, v117, v92
	v_fmac_f32_e32 v131, v119, v94
	s_delay_alu instid0(VALU_DEP_3) | instskip(SKIP_1) | instid1(VALU_DEP_2)
	v_add_f32_e32 v70, v72, v70
	v_mul_f32_e32 v72, v111, v87
	v_dual_add_f32 v70, v70, v73 :: v_dual_add_f32 v69, v69, v122
	v_mul_f32_e32 v73, v113, v89
	s_delay_alu instid0(VALU_DEP_3) | instskip(NEXT) | instid1(VALU_DEP_3)
	v_fma_f32 v72, v110, v86, -v72
	v_add_f32_e32 v70, v70, v74
	v_mul_f32_e32 v74, v115, v91
	v_add_f32_e32 v69, v69, v123
	v_fma_f32 v73, v112, v88, -v73
	s_delay_alu instid0(VALU_DEP_4) | instskip(SKIP_1) | instid1(VALU_DEP_4)
	v_add_f32_e32 v70, v70, v72
	v_mul_f32_e32 v72, v117, v93
	v_add_f32_e32 v69, v69, v124
	v_fma_f32 v74, v114, v90, -v74
	s_delay_alu instid0(VALU_DEP_4) | instskip(NEXT) | instid1(VALU_DEP_3)
	v_dual_add_f32 v70, v70, v73 :: v_dual_mul_f32 v73, v119, v95
	v_add_f32_e32 v69, v69, v125
	v_fma_f32 v72, v116, v92, -v72
	s_delay_alu instid0(VALU_DEP_3) | instskip(NEXT) | instid1(VALU_DEP_4)
	v_add_f32_e32 v70, v70, v74
	v_fma_f32 v73, v118, v94, -v73
	s_delay_alu instid0(VALU_DEP_2) | instskip(NEXT) | instid1(VALU_DEP_1)
	v_dual_add_f32 v69, v69, v126 :: v_dual_add_f32 v70, v70, v72
	v_dual_add_f32 v69, v69, v127 :: v_dual_add_f32 v70, v70, v73
	s_delay_alu instid0(VALU_DEP_1) | instskip(NEXT) | instid1(VALU_DEP_1)
	v_add_f32_e32 v69, v69, v128
	v_add_f32_e32 v69, v69, v129
	s_delay_alu instid0(VALU_DEP_1) | instskip(SKIP_1) | instid1(VALU_DEP_1)
	v_add_f32_e32 v69, v69, v130
	s_wait_loadcnt 0x0
	v_dual_add_f32 v72, v69, v131 :: v_dual_sub_f32 v69, v120, v70
	s_delay_alu instid0(VALU_DEP_1)
	v_sub_f32_e32 v70, v121, v72
	scratch_store_b64 off, v[69:70], off offset:168
	v_cmpx_lt_u32_e32 20, v0
	s_cbranch_execz .LBB97_177
; %bb.176:
	scratch_load_b64 v[69:70], off, off offset:160
	v_mov_b32_e32 v72, 0
	s_delay_alu instid0(VALU_DEP_1)
	v_mov_b32_e32 v73, v72
	scratch_store_b64 off, v[72:73], off offset:160
	s_wait_loadcnt 0x0
	ds_store_b64 v71, v[69:70]
.LBB97_177:
	s_wait_alu 0xfffe
	s_or_b32 exec_lo, exec_lo, s0
	s_wait_storecnt_dscnt 0x0
	s_barrier_signal -1
	s_barrier_wait -1
	global_inv scope:SCOPE_SE
	s_clause 0x7
	scratch_load_b128 v[72:75], off, off offset:168
	scratch_load_b128 v[76:79], off, off offset:184
	;; [unrolled: 1-line block ×6, first 2 shown]
	scratch_load_b64 v[120:121], off, off offset:264
	scratch_load_b64 v[122:123], off, off offset:160
	v_mov_b32_e32 v69, 0
	ds_load_2addr_b64 v[96:99], v69 offset0:55 offset1:56
	ds_load_2addr_b64 v[100:103], v69 offset0:57 offset1:58
	ds_load_2addr_b64 v[104:107], v69 offset0:59 offset1:60
	ds_load_2addr_b64 v[108:111], v69 offset0:61 offset1:62
	ds_load_2addr_b64 v[112:115], v69 offset0:63 offset1:64
	ds_load_2addr_b64 v[116:119], v69 offset0:65 offset1:66
	ds_load_b64 v[124:125], v69 offset:536
	s_mov_b32 s0, exec_lo
	s_wait_loadcnt_dscnt 0x706
	v_mul_f32_e32 v70, v96, v73
	v_dual_mul_f32 v73, v97, v73 :: v_dual_mul_f32 v126, v98, v75
	s_wait_loadcnt_dscnt 0x302
	v_dual_mul_f32 v127, v100, v77 :: v_dual_mul_f32 v134, v114, v91
	v_mul_f32_e32 v75, v99, v75
	s_wait_loadcnt_dscnt 0x100
	v_dual_mul_f32 v137, v124, v121 :: v_dual_fmac_f32 v70, v97, v72
	v_fma_f32 v73, v96, v72, -v73
	v_mul_f32_e32 v72, v101, v77
	v_fmac_f32_e32 v126, v99, v74
	v_fma_f32 v74, v98, v74, -v75
	v_dual_add_f32 v70, 0, v70 :: v_dual_mul_f32 v75, v103, v79
	v_add_f32_e32 v73, 0, v73
	v_fmac_f32_e32 v127, v101, v76
	v_fma_f32 v72, v100, v76, -v72
	s_delay_alu instid0(VALU_DEP_4)
	v_add_f32_e32 v70, v70, v126
	v_fma_f32 v75, v102, v78, -v75
	v_add_f32_e32 v73, v73, v74
	v_mul_f32_e32 v74, v105, v81
	v_dual_mul_f32 v128, v102, v79 :: v_dual_mul_f32 v129, v104, v81
	v_add_f32_e32 v70, v70, v127
	s_delay_alu instid0(VALU_DEP_4) | instskip(NEXT) | instid1(VALU_DEP_4)
	v_dual_add_f32 v72, v73, v72 :: v_dual_mul_f32 v73, v107, v83
	v_fma_f32 v74, v104, v80, -v74
	v_dual_mul_f32 v132, v110, v87 :: v_dual_mul_f32 v133, v112, v89
	s_delay_alu instid0(VALU_DEP_3) | instskip(NEXT) | instid1(VALU_DEP_4)
	v_dual_add_f32 v72, v72, v75 :: v_dual_mul_f32 v75, v109, v85
	v_fma_f32 v73, v106, v82, -v73
	v_dual_mul_f32 v135, v116, v93 :: v_dual_mul_f32 v136, v118, v95
	s_delay_alu instid0(VALU_DEP_3) | instskip(SKIP_1) | instid1(VALU_DEP_3)
	v_dual_add_f32 v72, v72, v74 :: v_dual_fmac_f32 v133, v113, v88
	v_dual_fmac_f32 v128, v103, v78 :: v_dual_fmac_f32 v129, v105, v80
	v_dual_mul_f32 v74, v111, v87 :: v_dual_fmac_f32 v135, v117, v92
	v_fma_f32 v75, v108, v84, -v75
	s_delay_alu instid0(VALU_DEP_4) | instskip(SKIP_3) | instid1(VALU_DEP_4)
	v_dual_add_f32 v72, v72, v73 :: v_dual_fmac_f32 v137, v125, v120
	v_dual_mul_f32 v130, v106, v83 :: v_dual_mul_f32 v131, v108, v85
	v_dual_add_f32 v70, v70, v128 :: v_dual_mul_f32 v73, v113, v89
	v_fma_f32 v74, v110, v86, -v74
	v_add_f32_e32 v72, v72, v75
	s_delay_alu instid0(VALU_DEP_4) | instskip(NEXT) | instid1(VALU_DEP_4)
	v_dual_fmac_f32 v130, v107, v82 :: v_dual_fmac_f32 v131, v109, v84
	v_dual_add_f32 v70, v70, v129 :: v_dual_mul_f32 v75, v115, v91
	v_fma_f32 v73, v112, v88, -v73
	s_delay_alu instid0(VALU_DEP_4)
	v_add_f32_e32 v72, v72, v74
	v_fmac_f32_e32 v132, v111, v86
	v_mul_f32_e32 v74, v117, v93
	v_fma_f32 v75, v114, v90, -v75
	v_fmac_f32_e32 v134, v115, v90
	v_dual_add_f32 v72, v72, v73 :: v_dual_mul_f32 v73, v119, v95
	v_add_f32_e32 v70, v70, v130
	v_fma_f32 v74, v116, v92, -v74
	v_fmac_f32_e32 v136, v119, v94
	s_delay_alu instid0(VALU_DEP_4) | instskip(NEXT) | instid1(VALU_DEP_4)
	v_dual_add_f32 v72, v72, v75 :: v_dual_mul_f32 v75, v125, v121
	v_add_f32_e32 v70, v70, v131
	v_fma_f32 v73, v118, v94, -v73
	s_delay_alu instid0(VALU_DEP_3) | instskip(NEXT) | instid1(VALU_DEP_4)
	v_add_f32_e32 v72, v72, v74
	v_fma_f32 v74, v124, v120, -v75
	s_delay_alu instid0(VALU_DEP_4) | instskip(NEXT) | instid1(VALU_DEP_3)
	v_add_f32_e32 v70, v70, v132
	v_add_f32_e32 v72, v72, v73
	s_delay_alu instid0(VALU_DEP_2) | instskip(NEXT) | instid1(VALU_DEP_2)
	v_add_f32_e32 v70, v70, v133
	v_add_f32_e32 v72, v72, v74
	s_delay_alu instid0(VALU_DEP_2) | instskip(SKIP_1) | instid1(VALU_DEP_2)
	v_add_f32_e32 v70, v70, v134
	s_wait_loadcnt 0x0
	v_sub_f32_e32 v72, v122, v72
	s_delay_alu instid0(VALU_DEP_2) | instskip(NEXT) | instid1(VALU_DEP_1)
	v_add_f32_e32 v70, v70, v135
	v_add_f32_e32 v70, v70, v136
	s_delay_alu instid0(VALU_DEP_1) | instskip(NEXT) | instid1(VALU_DEP_1)
	v_add_f32_e32 v70, v70, v137
	v_sub_f32_e32 v73, v123, v70
	scratch_store_b64 off, v[72:73], off offset:160
	v_cmpx_lt_u32_e32 19, v0
	s_cbranch_execz .LBB97_179
; %bb.178:
	scratch_load_b64 v[72:73], off, off offset:152
	v_mov_b32_e32 v70, v69
	scratch_store_b64 off, v[69:70], off offset:152
	s_wait_loadcnt 0x0
	ds_store_b64 v71, v[72:73]
.LBB97_179:
	s_wait_alu 0xfffe
	s_or_b32 exec_lo, exec_lo, s0
	s_wait_storecnt_dscnt 0x0
	s_barrier_signal -1
	s_barrier_wait -1
	global_inv scope:SCOPE_SE
	s_clause 0x7
	scratch_load_b128 v[72:75], off, off offset:160
	scratch_load_b128 v[76:79], off, off offset:176
	;; [unrolled: 1-line block ×7, first 2 shown]
	scratch_load_b64 v[128:129], off, off offset:152
	ds_load_b128 v[100:103], v69 offset:432
	ds_load_b128 v[104:107], v69 offset:448
	;; [unrolled: 1-line block ×7, first 2 shown]
	s_mov_b32 s0, exec_lo
	s_wait_loadcnt_dscnt 0x706
	v_dual_mul_f32 v69, v100, v73 :: v_dual_mul_f32 v70, v102, v75
	v_mul_f32_e32 v73, v101, v73
	s_wait_loadcnt_dscnt 0x605
	v_dual_mul_f32 v75, v103, v75 :: v_dual_mul_f32 v130, v104, v77
	s_delay_alu instid0(VALU_DEP_3) | instskip(NEXT) | instid1(VALU_DEP_3)
	v_dual_mul_f32 v131, v106, v79 :: v_dual_fmac_f32 v70, v103, v74
	v_fma_f32 v73, v100, v72, -v73
	v_fmac_f32_e32 v69, v101, v72
	v_mul_f32_e32 v72, v105, v77
	v_fma_f32 v74, v102, v74, -v75
	v_mul_f32_e32 v75, v107, v79
	v_dual_add_f32 v73, 0, v73 :: v_dual_fmac_f32 v130, v105, v76
	s_delay_alu instid0(VALU_DEP_4) | instskip(SKIP_2) | instid1(VALU_DEP_3)
	v_fma_f32 v72, v104, v76, -v72
	s_wait_loadcnt_dscnt 0x504
	v_dual_mul_f32 v132, v108, v81 :: v_dual_mul_f32 v133, v110, v83
	v_add_f32_e32 v73, v73, v74
	v_fmac_f32_e32 v131, v107, v78
	v_fma_f32 v74, v106, v78, -v75
	s_wait_loadcnt_dscnt 0x403
	v_dual_mul_f32 v134, v112, v85 :: v_dual_mul_f32 v135, v114, v87
	v_dual_add_f32 v72, v73, v72 :: v_dual_mul_f32 v73, v111, v83
	v_fmac_f32_e32 v132, v109, v80
	s_wait_loadcnt_dscnt 0x302
	v_dual_mul_f32 v136, v116, v89 :: v_dual_mul_f32 v137, v118, v91
	s_delay_alu instid0(VALU_DEP_3) | instskip(SKIP_3) | instid1(VALU_DEP_4)
	v_dual_add_f32 v72, v72, v74 :: v_dual_add_f32 v69, 0, v69
	v_mul_f32_e32 v74, v113, v85
	v_fma_f32 v73, v110, v82, -v73
	v_dual_fmac_f32 v133, v111, v82 :: v_dual_fmac_f32 v134, v113, v84
	v_add_f32_e32 v69, v69, v70
	v_mul_f32_e32 v70, v109, v81
	v_fma_f32 v74, v112, v84, -v74
	v_dual_fmac_f32 v135, v115, v86 :: v_dual_fmac_f32 v136, v117, v88
	s_wait_loadcnt_dscnt 0x201
	v_dual_mul_f32 v138, v120, v93 :: v_dual_mul_f32 v139, v122, v95
	v_fma_f32 v70, v108, v80, -v70
	s_wait_loadcnt_dscnt 0x100
	v_dual_mul_f32 v140, v124, v97 :: v_dual_mul_f32 v141, v126, v99
	s_delay_alu instid0(VALU_DEP_3) | instskip(NEXT) | instid1(VALU_DEP_3)
	v_dual_fmac_f32 v137, v119, v90 :: v_dual_fmac_f32 v138, v121, v92
	v_add_f32_e32 v70, v72, v70
	v_mul_f32_e32 v72, v115, v87
	s_delay_alu instid0(VALU_DEP_4) | instskip(NEXT) | instid1(VALU_DEP_3)
	v_dual_fmac_f32 v140, v125, v96 :: v_dual_fmac_f32 v141, v127, v98
	v_dual_fmac_f32 v139, v123, v94 :: v_dual_add_f32 v70, v70, v73
	v_add_f32_e32 v69, v69, v130
	v_mul_f32_e32 v73, v117, v89
	v_fma_f32 v72, v114, v86, -v72
	s_delay_alu instid0(VALU_DEP_4) | instskip(SKIP_3) | instid1(VALU_DEP_4)
	v_add_f32_e32 v70, v70, v74
	v_mul_f32_e32 v74, v119, v91
	v_add_f32_e32 v69, v69, v131
	v_fma_f32 v73, v116, v88, -v73
	v_add_f32_e32 v70, v70, v72
	v_mul_f32_e32 v72, v121, v93
	s_delay_alu instid0(VALU_DEP_4) | instskip(SKIP_1) | instid1(VALU_DEP_4)
	v_add_f32_e32 v69, v69, v132
	v_fma_f32 v74, v118, v90, -v74
	v_dual_add_f32 v70, v70, v73 :: v_dual_mul_f32 v73, v123, v95
	s_delay_alu instid0(VALU_DEP_3) | instskip(SKIP_1) | instid1(VALU_DEP_3)
	v_add_f32_e32 v69, v69, v133
	v_fma_f32 v72, v120, v92, -v72
	v_add_f32_e32 v70, v70, v74
	s_delay_alu instid0(VALU_DEP_4) | instskip(NEXT) | instid1(VALU_DEP_4)
	v_fma_f32 v73, v122, v94, -v73
	v_add_f32_e32 v69, v69, v134
	v_mul_f32_e32 v74, v125, v97
	s_delay_alu instid0(VALU_DEP_4) | instskip(SKIP_1) | instid1(VALU_DEP_4)
	v_add_f32_e32 v70, v70, v72
	v_mul_f32_e32 v72, v127, v99
	v_add_f32_e32 v69, v69, v135
	s_delay_alu instid0(VALU_DEP_4) | instskip(NEXT) | instid1(VALU_DEP_4)
	v_fma_f32 v74, v124, v96, -v74
	v_add_f32_e32 v70, v70, v73
	s_delay_alu instid0(VALU_DEP_4) | instskip(NEXT) | instid1(VALU_DEP_2)
	v_fma_f32 v72, v126, v98, -v72
	v_dual_add_f32 v69, v69, v136 :: v_dual_add_f32 v70, v70, v74
	s_delay_alu instid0(VALU_DEP_1) | instskip(NEXT) | instid1(VALU_DEP_1)
	v_dual_add_f32 v69, v69, v137 :: v_dual_add_f32 v70, v70, v72
	v_add_f32_e32 v69, v69, v138
	s_delay_alu instid0(VALU_DEP_1) | instskip(NEXT) | instid1(VALU_DEP_1)
	v_add_f32_e32 v69, v69, v139
	v_add_f32_e32 v69, v69, v140
	s_wait_loadcnt 0x0
	s_delay_alu instid0(VALU_DEP_1) | instskip(NEXT) | instid1(VALU_DEP_1)
	v_dual_add_f32 v72, v69, v141 :: v_dual_sub_f32 v69, v128, v70
	v_sub_f32_e32 v70, v129, v72
	scratch_store_b64 off, v[69:70], off offset:152
	v_cmpx_lt_u32_e32 18, v0
	s_cbranch_execz .LBB97_181
; %bb.180:
	scratch_load_b64 v[69:70], off, off offset:144
	v_mov_b32_e32 v72, 0
	s_delay_alu instid0(VALU_DEP_1)
	v_mov_b32_e32 v73, v72
	scratch_store_b64 off, v[72:73], off offset:144
	s_wait_loadcnt 0x0
	ds_store_b64 v71, v[69:70]
.LBB97_181:
	s_wait_alu 0xfffe
	s_or_b32 exec_lo, exec_lo, s0
	s_wait_storecnt_dscnt 0x0
	s_barrier_signal -1
	s_barrier_wait -1
	global_inv scope:SCOPE_SE
	s_clause 0x8
	scratch_load_b128 v[72:75], off, off offset:152
	scratch_load_b128 v[76:79], off, off offset:168
	;; [unrolled: 1-line block ×7, first 2 shown]
	scratch_load_b64 v[128:129], off, off offset:264
	scratch_load_b64 v[130:131], off, off offset:144
	v_mov_b32_e32 v69, 0
	ds_load_2addr_b64 v[100:103], v69 offset0:53 offset1:54
	ds_load_2addr_b64 v[104:107], v69 offset0:55 offset1:56
	;; [unrolled: 1-line block ×7, first 2 shown]
	ds_load_b64 v[132:133], v69 offset:536
	s_mov_b32 s0, exec_lo
	s_wait_loadcnt_dscnt 0x807
	v_mul_f32_e32 v70, v100, v73
	v_dual_mul_f32 v73, v101, v73 :: v_dual_mul_f32 v134, v102, v75
	s_wait_loadcnt_dscnt 0x706
	v_mul_f32_e32 v135, v104, v77
	v_mul_f32_e32 v75, v103, v75
	s_wait_loadcnt_dscnt 0x302
	v_mul_f32_e32 v144, v122, v95
	v_fma_f32 v73, v100, v72, -v73
	s_wait_loadcnt_dscnt 0x100
	v_dual_mul_f32 v147, v132, v129 :: v_dual_fmac_f32 v70, v101, v72
	v_mul_f32_e32 v72, v105, v77
	s_delay_alu instid0(VALU_DEP_3) | instskip(SKIP_1) | instid1(VALU_DEP_4)
	v_dual_fmac_f32 v134, v103, v74 :: v_dual_add_f32 v73, 0, v73
	v_fma_f32 v74, v102, v74, -v75
	v_dual_add_f32 v70, 0, v70 :: v_dual_mul_f32 v75, v107, v79
	v_fmac_f32_e32 v135, v105, v76
	v_fma_f32 v72, v104, v76, -v72
	v_dual_mul_f32 v136, v106, v79 :: v_dual_mul_f32 v137, v108, v81
	s_delay_alu instid0(VALU_DEP_4)
	v_add_f32_e32 v70, v70, v134
	v_add_f32_e32 v73, v73, v74
	v_mul_f32_e32 v74, v109, v81
	v_fma_f32 v75, v106, v78, -v75
	v_dual_mul_f32 v140, v114, v87 :: v_dual_mul_f32 v141, v116, v89
	v_add_f32_e32 v70, v70, v135
	v_dual_add_f32 v72, v73, v72 :: v_dual_mul_f32 v73, v111, v83
	v_fma_f32 v74, v108, v80, -v74
	v_dual_mul_f32 v142, v118, v91 :: v_dual_mul_f32 v143, v120, v93
	s_delay_alu instid0(VALU_DEP_3) | instskip(NEXT) | instid1(VALU_DEP_4)
	v_dual_add_f32 v72, v72, v75 :: v_dual_mul_f32 v75, v113, v85
	v_fma_f32 v73, v110, v82, -v73
	v_dual_mul_f32 v145, v124, v97 :: v_dual_mul_f32 v146, v126, v99
	s_delay_alu instid0(VALU_DEP_3) | instskip(SKIP_3) | instid1(VALU_DEP_4)
	v_dual_add_f32 v72, v72, v74 :: v_dual_fmac_f32 v141, v117, v88
	v_dual_fmac_f32 v136, v107, v78 :: v_dual_fmac_f32 v137, v109, v80
	v_dual_mul_f32 v74, v115, v87 :: v_dual_fmac_f32 v143, v121, v92
	v_fma_f32 v75, v112, v84, -v75
	v_dual_add_f32 v72, v72, v73 :: v_dual_fmac_f32 v145, v125, v96
	s_delay_alu instid0(VALU_DEP_4) | instskip(NEXT) | instid1(VALU_DEP_4)
	v_dual_add_f32 v70, v70, v136 :: v_dual_mul_f32 v73, v117, v89
	v_fma_f32 v74, v114, v86, -v74
	s_delay_alu instid0(VALU_DEP_3) | instskip(SKIP_3) | instid1(VALU_DEP_4)
	v_dual_add_f32 v72, v72, v75 :: v_dual_fmac_f32 v147, v133, v128
	v_dual_mul_f32 v138, v110, v83 :: v_dual_mul_f32 v139, v112, v85
	v_mul_f32_e32 v75, v119, v91
	v_fma_f32 v73, v116, v88, -v73
	v_add_f32_e32 v72, v72, v74
	s_delay_alu instid0(VALU_DEP_4) | instskip(SKIP_4) | instid1(VALU_DEP_4)
	v_dual_fmac_f32 v138, v111, v82 :: v_dual_fmac_f32 v139, v113, v84
	v_add_f32_e32 v70, v70, v137
	v_mul_f32_e32 v74, v121, v93
	v_fma_f32 v75, v118, v90, -v75
	v_dual_add_f32 v72, v72, v73 :: v_dual_mul_f32 v73, v123, v95
	v_add_f32_e32 v70, v70, v138
	s_delay_alu instid0(VALU_DEP_4) | instskip(SKIP_1) | instid1(VALU_DEP_4)
	v_fma_f32 v74, v120, v92, -v74
	v_fmac_f32_e32 v140, v115, v86
	v_dual_add_f32 v72, v72, v75 :: v_dual_mul_f32 v75, v125, v97
	s_delay_alu instid0(VALU_DEP_4) | instskip(SKIP_2) | instid1(VALU_DEP_4)
	v_add_f32_e32 v70, v70, v139
	v_fma_f32 v73, v122, v94, -v73
	v_fmac_f32_e32 v142, v119, v90
	v_add_f32_e32 v72, v72, v74
	v_fmac_f32_e32 v144, v123, v94
	v_mul_f32_e32 v74, v127, v99
	v_fma_f32 v75, v124, v96, -v75
	v_fmac_f32_e32 v146, v127, v98
	v_add_f32_e32 v72, v72, v73
	v_dual_mul_f32 v73, v133, v129 :: v_dual_add_f32 v70, v70, v140
	v_fma_f32 v74, v126, v98, -v74
	s_delay_alu instid0(VALU_DEP_3) | instskip(NEXT) | instid1(VALU_DEP_3)
	v_add_f32_e32 v72, v72, v75
	v_fma_f32 v73, v132, v128, -v73
	s_delay_alu instid0(VALU_DEP_4) | instskip(NEXT) | instid1(VALU_DEP_3)
	v_add_f32_e32 v70, v70, v141
	v_add_f32_e32 v72, v72, v74
	s_delay_alu instid0(VALU_DEP_2) | instskip(NEXT) | instid1(VALU_DEP_2)
	v_add_f32_e32 v70, v70, v142
	v_add_f32_e32 v72, v72, v73
	s_delay_alu instid0(VALU_DEP_2) | instskip(SKIP_1) | instid1(VALU_DEP_2)
	v_add_f32_e32 v70, v70, v143
	s_wait_loadcnt 0x0
	v_sub_f32_e32 v72, v130, v72
	s_delay_alu instid0(VALU_DEP_2) | instskip(NEXT) | instid1(VALU_DEP_1)
	v_add_f32_e32 v70, v70, v144
	v_add_f32_e32 v70, v70, v145
	s_delay_alu instid0(VALU_DEP_1) | instskip(NEXT) | instid1(VALU_DEP_1)
	v_add_f32_e32 v70, v70, v146
	v_add_f32_e32 v70, v70, v147
	s_delay_alu instid0(VALU_DEP_1)
	v_sub_f32_e32 v73, v131, v70
	scratch_store_b64 off, v[72:73], off offset:144
	v_cmpx_lt_u32_e32 17, v0
	s_cbranch_execz .LBB97_183
; %bb.182:
	scratch_load_b64 v[72:73], off, off offset:136
	v_mov_b32_e32 v70, v69
	scratch_store_b64 off, v[69:70], off offset:136
	s_wait_loadcnt 0x0
	ds_store_b64 v71, v[72:73]
.LBB97_183:
	s_wait_alu 0xfffe
	s_or_b32 exec_lo, exec_lo, s0
	s_wait_storecnt_dscnt 0x0
	s_barrier_signal -1
	s_barrier_wait -1
	global_inv scope:SCOPE_SE
	s_clause 0x8
	scratch_load_b128 v[72:75], off, off offset:144
	scratch_load_b128 v[76:79], off, off offset:160
	;; [unrolled: 1-line block ×8, first 2 shown]
	scratch_load_b64 v[136:137], off, off offset:136
	ds_load_b128 v[104:107], v69 offset:416
	ds_load_b128 v[108:111], v69 offset:432
	;; [unrolled: 1-line block ×8, first 2 shown]
	s_mov_b32 s0, exec_lo
	s_wait_loadcnt_dscnt 0x807
	v_dual_mul_f32 v69, v104, v73 :: v_dual_mul_f32 v70, v106, v75
	v_mul_f32_e32 v73, v105, v73
	s_wait_loadcnt_dscnt 0x706
	v_dual_mul_f32 v75, v107, v75 :: v_dual_mul_f32 v138, v108, v77
	s_delay_alu instid0(VALU_DEP_3) | instskip(NEXT) | instid1(VALU_DEP_3)
	v_dual_mul_f32 v139, v110, v79 :: v_dual_fmac_f32 v70, v107, v74
	v_fma_f32 v73, v104, v72, -v73
	v_fmac_f32_e32 v69, v105, v72
	v_mul_f32_e32 v72, v109, v77
	v_fma_f32 v74, v106, v74, -v75
	v_mul_f32_e32 v75, v111, v79
	v_dual_add_f32 v73, 0, v73 :: v_dual_fmac_f32 v138, v109, v76
	s_delay_alu instid0(VALU_DEP_4) | instskip(SKIP_2) | instid1(VALU_DEP_3)
	v_fma_f32 v72, v108, v76, -v72
	s_wait_loadcnt_dscnt 0x605
	v_dual_mul_f32 v140, v112, v81 :: v_dual_mul_f32 v141, v114, v83
	v_add_f32_e32 v73, v73, v74
	v_fmac_f32_e32 v139, v111, v78
	v_fma_f32 v74, v110, v78, -v75
	s_wait_loadcnt_dscnt 0x504
	v_dual_mul_f32 v142, v116, v85 :: v_dual_mul_f32 v143, v118, v87
	v_dual_add_f32 v72, v73, v72 :: v_dual_mul_f32 v73, v115, v83
	v_fmac_f32_e32 v140, v113, v80
	s_wait_loadcnt_dscnt 0x403
	v_dual_mul_f32 v144, v120, v89 :: v_dual_mul_f32 v145, v122, v91
	s_delay_alu instid0(VALU_DEP_3) | instskip(SKIP_3) | instid1(VALU_DEP_4)
	v_dual_add_f32 v72, v72, v74 :: v_dual_add_f32 v69, 0, v69
	v_mul_f32_e32 v74, v117, v85
	v_fma_f32 v73, v114, v82, -v73
	v_dual_fmac_f32 v141, v115, v82 :: v_dual_fmac_f32 v142, v117, v84
	v_add_f32_e32 v69, v69, v70
	v_mul_f32_e32 v70, v113, v81
	v_fma_f32 v74, v116, v84, -v74
	v_dual_fmac_f32 v143, v119, v86 :: v_dual_fmac_f32 v144, v121, v88
	s_wait_loadcnt_dscnt 0x302
	v_dual_mul_f32 v146, v124, v93 :: v_dual_mul_f32 v147, v126, v95
	v_fma_f32 v70, v112, v80, -v70
	s_wait_loadcnt_dscnt 0x201
	v_dual_mul_f32 v148, v128, v97 :: v_dual_mul_f32 v149, v130, v99
	s_wait_loadcnt_dscnt 0x100
	v_dual_mul_f32 v150, v132, v101 :: v_dual_mul_f32 v151, v134, v103
	v_add_f32_e32 v70, v72, v70
	v_mul_f32_e32 v72, v119, v87
	v_dual_fmac_f32 v148, v129, v96 :: v_dual_fmac_f32 v149, v131, v98
	s_delay_alu instid0(VALU_DEP_4) | instskip(NEXT) | instid1(VALU_DEP_4)
	v_dual_fmac_f32 v150, v133, v100 :: v_dual_fmac_f32 v151, v135, v102
	v_dual_add_f32 v70, v70, v73 :: v_dual_add_f32 v69, v69, v138
	v_mul_f32_e32 v73, v121, v89
	v_fma_f32 v72, v118, v86, -v72
	v_fmac_f32_e32 v145, v123, v90
	s_delay_alu instid0(VALU_DEP_4)
	v_add_f32_e32 v70, v70, v74
	v_mul_f32_e32 v74, v123, v91
	v_add_f32_e32 v69, v69, v139
	v_fma_f32 v73, v120, v88, -v73
	v_fmac_f32_e32 v146, v125, v92
	v_add_f32_e32 v70, v70, v72
	v_mul_f32_e32 v72, v125, v93
	v_add_f32_e32 v69, v69, v140
	v_fma_f32 v74, v122, v90, -v74
	s_delay_alu instid0(VALU_DEP_4) | instskip(SKIP_1) | instid1(VALU_DEP_4)
	v_dual_fmac_f32 v147, v127, v94 :: v_dual_add_f32 v70, v70, v73
	v_mul_f32_e32 v73, v127, v95
	v_add_f32_e32 v69, v69, v141
	v_fma_f32 v72, v124, v92, -v72
	s_delay_alu instid0(VALU_DEP_4) | instskip(NEXT) | instid1(VALU_DEP_4)
	v_add_f32_e32 v70, v70, v74
	v_fma_f32 v73, v126, v94, -v73
	s_delay_alu instid0(VALU_DEP_4) | instskip(SKIP_1) | instid1(VALU_DEP_4)
	v_add_f32_e32 v69, v69, v142
	v_mul_f32_e32 v74, v129, v97
	v_add_f32_e32 v70, v70, v72
	v_mul_f32_e32 v72, v131, v99
	s_delay_alu instid0(VALU_DEP_4) | instskip(NEXT) | instid1(VALU_DEP_4)
	v_add_f32_e32 v69, v69, v143
	v_fma_f32 v74, v128, v96, -v74
	s_delay_alu instid0(VALU_DEP_4) | instskip(SKIP_1) | instid1(VALU_DEP_4)
	v_add_f32_e32 v70, v70, v73
	v_mul_f32_e32 v73, v133, v101
	v_add_f32_e32 v69, v69, v144
	v_fma_f32 v72, v130, v98, -v72
	s_delay_alu instid0(VALU_DEP_4) | instskip(NEXT) | instid1(VALU_DEP_3)
	v_add_f32_e32 v70, v70, v74
	v_dual_mul_f32 v74, v135, v103 :: v_dual_add_f32 v69, v69, v145
	v_fma_f32 v73, v132, v100, -v73
	s_delay_alu instid0(VALU_DEP_3) | instskip(NEXT) | instid1(VALU_DEP_3)
	v_add_f32_e32 v70, v70, v72
	v_fma_f32 v72, v134, v102, -v74
	s_delay_alu instid0(VALU_DEP_2) | instskip(NEXT) | instid1(VALU_DEP_1)
	v_dual_add_f32 v69, v69, v146 :: v_dual_add_f32 v70, v70, v73
	v_dual_add_f32 v69, v69, v147 :: v_dual_add_f32 v70, v70, v72
	s_delay_alu instid0(VALU_DEP_1) | instskip(NEXT) | instid1(VALU_DEP_1)
	v_add_f32_e32 v69, v69, v148
	v_add_f32_e32 v69, v69, v149
	s_delay_alu instid0(VALU_DEP_1) | instskip(SKIP_1) | instid1(VALU_DEP_1)
	v_add_f32_e32 v69, v69, v150
	s_wait_loadcnt 0x0
	v_dual_add_f32 v72, v69, v151 :: v_dual_sub_f32 v69, v136, v70
	s_delay_alu instid0(VALU_DEP_1)
	v_sub_f32_e32 v70, v137, v72
	scratch_store_b64 off, v[69:70], off offset:136
	v_cmpx_lt_u32_e32 16, v0
	s_cbranch_execz .LBB97_185
; %bb.184:
	scratch_load_b64 v[69:70], off, off offset:128
	v_mov_b32_e32 v72, 0
	s_delay_alu instid0(VALU_DEP_1)
	v_mov_b32_e32 v73, v72
	scratch_store_b64 off, v[72:73], off offset:128
	s_wait_loadcnt 0x0
	ds_store_b64 v71, v[69:70]
.LBB97_185:
	s_wait_alu 0xfffe
	s_or_b32 exec_lo, exec_lo, s0
	s_wait_storecnt_dscnt 0x0
	s_barrier_signal -1
	s_barrier_wait -1
	global_inv scope:SCOPE_SE
	s_clause 0x9
	scratch_load_b128 v[72:75], off, off offset:136
	scratch_load_b128 v[76:79], off, off offset:152
	scratch_load_b128 v[80:83], off, off offset:168
	scratch_load_b128 v[84:87], off, off offset:184
	scratch_load_b128 v[88:91], off, off offset:200
	scratch_load_b128 v[92:95], off, off offset:216
	scratch_load_b128 v[96:99], off, off offset:232
	scratch_load_b128 v[100:103], off, off offset:248
	scratch_load_b64 v[136:137], off, off offset:264
	scratch_load_b64 v[138:139], off, off offset:128
	v_mov_b32_e32 v69, 0
	ds_load_2addr_b64 v[104:107], v69 offset0:51 offset1:52
	ds_load_2addr_b64 v[108:111], v69 offset0:53 offset1:54
	;; [unrolled: 1-line block ×8, first 2 shown]
	ds_load_b64 v[140:141], v69 offset:536
	s_mov_b32 s0, exec_lo
	s_wait_loadcnt_dscnt 0x908
	v_mul_f32_e32 v70, v104, v73
	s_wait_loadcnt_dscnt 0x807
	v_dual_mul_f32 v142, v106, v75 :: v_dual_mul_f32 v143, v108, v77
	v_mul_f32_e32 v73, v105, v73
	s_delay_alu instid0(VALU_DEP_3)
	v_dual_mul_f32 v75, v107, v75 :: v_dual_fmac_f32 v70, v105, v72
	s_wait_loadcnt_dscnt 0x302
	v_mul_f32_e32 v154, v130, v99
	v_dual_mul_f32 v144, v110, v79 :: v_dual_mul_f32 v145, v112, v81
	s_wait_loadcnt_dscnt 0x100
	v_mul_f32_e32 v157, v140, v137
	v_fma_f32 v73, v104, v72, -v73
	v_mul_f32_e32 v72, v109, v77
	v_fmac_f32_e32 v142, v107, v74
	v_fma_f32 v74, v106, v74, -v75
	v_dual_add_f32 v70, 0, v70 :: v_dual_mul_f32 v75, v111, v79
	v_add_f32_e32 v73, 0, v73
	v_fmac_f32_e32 v143, v109, v76
	v_fma_f32 v72, v108, v76, -v72
	s_delay_alu instid0(VALU_DEP_4)
	v_add_f32_e32 v70, v70, v142
	v_fma_f32 v75, v110, v78, -v75
	v_add_f32_e32 v73, v73, v74
	v_mul_f32_e32 v74, v113, v81
	v_dual_mul_f32 v148, v118, v87 :: v_dual_mul_f32 v149, v120, v89
	v_add_f32_e32 v70, v70, v143
	s_delay_alu instid0(VALU_DEP_4) | instskip(NEXT) | instid1(VALU_DEP_4)
	v_dual_add_f32 v72, v73, v72 :: v_dual_mul_f32 v73, v115, v83
	v_fma_f32 v74, v112, v80, -v74
	v_dual_mul_f32 v150, v122, v91 :: v_dual_mul_f32 v151, v124, v93
	s_delay_alu instid0(VALU_DEP_3) | instskip(NEXT) | instid1(VALU_DEP_4)
	v_dual_add_f32 v72, v72, v75 :: v_dual_mul_f32 v75, v117, v85
	v_fma_f32 v73, v114, v82, -v73
	v_dual_mul_f32 v152, v126, v95 :: v_dual_mul_f32 v153, v128, v97
	s_delay_alu instid0(VALU_DEP_3) | instskip(SKIP_3) | instid1(VALU_DEP_4)
	v_dual_add_f32 v72, v72, v74 :: v_dual_fmac_f32 v149, v121, v88
	v_dual_fmac_f32 v144, v111, v78 :: v_dual_fmac_f32 v145, v113, v80
	v_dual_mul_f32 v74, v119, v87 :: v_dual_fmac_f32 v151, v125, v92
	v_fma_f32 v75, v116, v84, -v75
	v_dual_add_f32 v72, v72, v73 :: v_dual_fmac_f32 v153, v129, v96
	v_dual_mul_f32 v155, v132, v101 :: v_dual_mul_f32 v156, v134, v103
	v_dual_add_f32 v70, v70, v144 :: v_dual_mul_f32 v73, v121, v89
	v_fma_f32 v74, v118, v86, -v74
	s_delay_alu instid0(VALU_DEP_3) | instskip(SKIP_3) | instid1(VALU_DEP_4)
	v_dual_add_f32 v72, v72, v75 :: v_dual_fmac_f32 v155, v133, v100
	v_dual_mul_f32 v146, v114, v83 :: v_dual_mul_f32 v147, v116, v85
	v_mul_f32_e32 v75, v123, v91
	v_fma_f32 v73, v120, v88, -v73
	v_add_f32_e32 v72, v72, v74
	s_delay_alu instid0(VALU_DEP_4) | instskip(SKIP_4) | instid1(VALU_DEP_4)
	v_dual_fmac_f32 v146, v115, v82 :: v_dual_fmac_f32 v147, v117, v84
	v_add_f32_e32 v70, v70, v145
	v_mul_f32_e32 v74, v125, v93
	v_fma_f32 v75, v122, v90, -v75
	v_dual_add_f32 v72, v72, v73 :: v_dual_mul_f32 v73, v127, v95
	v_add_f32_e32 v70, v70, v146
	s_delay_alu instid0(VALU_DEP_4) | instskip(SKIP_1) | instid1(VALU_DEP_4)
	v_fma_f32 v74, v124, v92, -v74
	v_fmac_f32_e32 v148, v119, v86
	v_dual_add_f32 v72, v72, v75 :: v_dual_mul_f32 v75, v129, v97
	s_delay_alu instid0(VALU_DEP_4) | instskip(SKIP_1) | instid1(VALU_DEP_3)
	v_dual_add_f32 v70, v70, v147 :: v_dual_fmac_f32 v157, v141, v136
	v_fma_f32 v73, v126, v94, -v73
	v_add_f32_e32 v72, v72, v74
	v_fmac_f32_e32 v150, v123, v90
	v_fmac_f32_e32 v152, v127, v94
	v_mul_f32_e32 v74, v131, v99
	v_fma_f32 v75, v128, v96, -v75
	v_add_f32_e32 v72, v72, v73
	v_dual_mul_f32 v73, v133, v101 :: v_dual_add_f32 v70, v70, v148
	v_fmac_f32_e32 v154, v131, v98
	v_fma_f32 v74, v130, v98, -v74
	s_delay_alu instid0(VALU_DEP_4) | instskip(NEXT) | instid1(VALU_DEP_4)
	v_add_f32_e32 v72, v72, v75
	v_dual_mul_f32 v75, v135, v103 :: v_dual_add_f32 v70, v70, v149
	v_fma_f32 v73, v132, v100, -v73
	v_fmac_f32_e32 v156, v135, v102
	s_delay_alu instid0(VALU_DEP_4) | instskip(SKIP_3) | instid1(VALU_DEP_4)
	v_add_f32_e32 v72, v72, v74
	v_mul_f32_e32 v74, v141, v137
	v_add_f32_e32 v70, v70, v150
	v_fma_f32 v75, v134, v102, -v75
	v_add_f32_e32 v72, v72, v73
	s_delay_alu instid0(VALU_DEP_4) | instskip(NEXT) | instid1(VALU_DEP_4)
	v_fma_f32 v73, v140, v136, -v74
	v_add_f32_e32 v70, v70, v151
	s_delay_alu instid0(VALU_DEP_3) | instskip(NEXT) | instid1(VALU_DEP_2)
	v_add_f32_e32 v72, v72, v75
	v_add_f32_e32 v70, v70, v152
	s_delay_alu instid0(VALU_DEP_2) | instskip(NEXT) | instid1(VALU_DEP_2)
	v_add_f32_e32 v72, v72, v73
	v_add_f32_e32 v70, v70, v153
	s_wait_loadcnt 0x0
	s_delay_alu instid0(VALU_DEP_2) | instskip(NEXT) | instid1(VALU_DEP_2)
	v_sub_f32_e32 v72, v138, v72
	v_add_f32_e32 v70, v70, v154
	s_delay_alu instid0(VALU_DEP_1) | instskip(NEXT) | instid1(VALU_DEP_1)
	v_add_f32_e32 v70, v70, v155
	v_add_f32_e32 v70, v70, v156
	s_delay_alu instid0(VALU_DEP_1) | instskip(NEXT) | instid1(VALU_DEP_1)
	v_add_f32_e32 v70, v70, v157
	v_sub_f32_e32 v73, v139, v70
	scratch_store_b64 off, v[72:73], off offset:128
	v_cmpx_lt_u32_e32 15, v0
	s_cbranch_execz .LBB97_187
; %bb.186:
	scratch_load_b64 v[72:73], off, off offset:120
	v_mov_b32_e32 v70, v69
	scratch_store_b64 off, v[69:70], off offset:120
	s_wait_loadcnt 0x0
	ds_store_b64 v71, v[72:73]
.LBB97_187:
	s_wait_alu 0xfffe
	s_or_b32 exec_lo, exec_lo, s0
	s_wait_storecnt_dscnt 0x0
	s_barrier_signal -1
	s_barrier_wait -1
	global_inv scope:SCOPE_SE
	s_clause 0x9
	scratch_load_b128 v[72:75], off, off offset:128
	scratch_load_b128 v[76:79], off, off offset:144
	;; [unrolled: 1-line block ×9, first 2 shown]
	scratch_load_b64 v[144:145], off, off offset:120
	ds_load_b128 v[108:111], v69 offset:400
	ds_load_b128 v[112:115], v69 offset:416
	;; [unrolled: 1-line block ×9, first 2 shown]
	s_mov_b32 s0, exec_lo
	s_wait_loadcnt_dscnt 0x908
	v_dual_mul_f32 v69, v108, v73 :: v_dual_mul_f32 v70, v110, v75
	v_mul_f32_e32 v73, v109, v73
	s_wait_loadcnt_dscnt 0x807
	v_dual_mul_f32 v75, v111, v75 :: v_dual_mul_f32 v146, v112, v77
	s_delay_alu instid0(VALU_DEP_3) | instskip(NEXT) | instid1(VALU_DEP_3)
	v_dual_mul_f32 v147, v114, v79 :: v_dual_fmac_f32 v70, v111, v74
	v_fma_f32 v73, v108, v72, -v73
	v_fmac_f32_e32 v69, v109, v72
	v_mul_f32_e32 v72, v113, v77
	v_fma_f32 v74, v110, v74, -v75
	v_mul_f32_e32 v75, v115, v79
	v_dual_add_f32 v73, 0, v73 :: v_dual_fmac_f32 v146, v113, v76
	s_delay_alu instid0(VALU_DEP_4) | instskip(SKIP_2) | instid1(VALU_DEP_3)
	v_fma_f32 v72, v112, v76, -v72
	s_wait_loadcnt_dscnt 0x706
	v_dual_mul_f32 v148, v116, v81 :: v_dual_mul_f32 v149, v118, v83
	v_add_f32_e32 v73, v73, v74
	v_fmac_f32_e32 v147, v115, v78
	v_fma_f32 v74, v114, v78, -v75
	s_wait_loadcnt_dscnt 0x605
	v_dual_mul_f32 v150, v120, v85 :: v_dual_mul_f32 v151, v122, v87
	v_dual_add_f32 v72, v73, v72 :: v_dual_mul_f32 v73, v119, v83
	v_fmac_f32_e32 v148, v117, v80
	s_wait_loadcnt_dscnt 0x504
	v_dual_mul_f32 v152, v124, v89 :: v_dual_mul_f32 v153, v126, v91
	s_delay_alu instid0(VALU_DEP_3) | instskip(SKIP_3) | instid1(VALU_DEP_4)
	v_dual_add_f32 v72, v72, v74 :: v_dual_add_f32 v69, 0, v69
	v_mul_f32_e32 v74, v121, v85
	v_fma_f32 v73, v118, v82, -v73
	v_dual_fmac_f32 v149, v119, v82 :: v_dual_fmac_f32 v150, v121, v84
	v_add_f32_e32 v69, v69, v70
	v_mul_f32_e32 v70, v117, v81
	v_fma_f32 v74, v120, v84, -v74
	v_dual_fmac_f32 v151, v123, v86 :: v_dual_fmac_f32 v152, v125, v88
	s_wait_loadcnt_dscnt 0x403
	v_dual_mul_f32 v154, v128, v93 :: v_dual_mul_f32 v155, v130, v95
	v_fma_f32 v70, v116, v80, -v70
	s_wait_loadcnt_dscnt 0x302
	v_dual_mul_f32 v156, v132, v97 :: v_dual_mul_f32 v157, v134, v99
	s_wait_loadcnt_dscnt 0x201
	v_dual_mul_f32 v158, v136, v101 :: v_dual_mul_f32 v159, v138, v103
	v_add_f32_e32 v70, v72, v70
	v_mul_f32_e32 v72, v123, v87
	v_dual_fmac_f32 v156, v133, v96 :: v_dual_fmac_f32 v157, v135, v98
	s_delay_alu instid0(VALU_DEP_4) | instskip(NEXT) | instid1(VALU_DEP_4)
	v_dual_fmac_f32 v158, v137, v100 :: v_dual_fmac_f32 v159, v139, v102
	v_dual_add_f32 v70, v70, v73 :: v_dual_add_f32 v69, v69, v146
	v_mul_f32_e32 v73, v125, v89
	v_fma_f32 v72, v122, v86, -v72
	v_fmac_f32_e32 v153, v127, v90
	s_delay_alu instid0(VALU_DEP_4)
	v_add_f32_e32 v70, v70, v74
	v_mul_f32_e32 v74, v127, v91
	v_add_f32_e32 v69, v69, v147
	v_fma_f32 v73, v124, v88, -v73
	v_fmac_f32_e32 v154, v129, v92
	v_add_f32_e32 v70, v70, v72
	v_mul_f32_e32 v72, v129, v93
	v_add_f32_e32 v69, v69, v148
	v_fma_f32 v74, v126, v90, -v74
	s_delay_alu instid0(VALU_DEP_4) | instskip(SKIP_1) | instid1(VALU_DEP_4)
	v_dual_fmac_f32 v155, v131, v94 :: v_dual_add_f32 v70, v70, v73
	v_mul_f32_e32 v73, v131, v95
	v_add_f32_e32 v69, v69, v149
	v_fma_f32 v72, v128, v92, -v72
	s_wait_loadcnt_dscnt 0x100
	v_dual_mul_f32 v160, v140, v105 :: v_dual_mul_f32 v161, v142, v107
	v_add_f32_e32 v70, v70, v74
	v_add_f32_e32 v69, v69, v150
	v_fma_f32 v73, v130, v94, -v73
	v_mul_f32_e32 v74, v133, v97
	v_dual_fmac_f32 v160, v141, v104 :: v_dual_fmac_f32 v161, v143, v106
	s_delay_alu instid0(VALU_DEP_4) | instskip(SKIP_1) | instid1(VALU_DEP_4)
	v_dual_add_f32 v70, v70, v72 :: v_dual_add_f32 v69, v69, v151
	v_mul_f32_e32 v72, v135, v99
	v_fma_f32 v74, v132, v96, -v74
	s_delay_alu instid0(VALU_DEP_3) | instskip(SKIP_1) | instid1(VALU_DEP_4)
	v_dual_add_f32 v70, v70, v73 :: v_dual_add_f32 v69, v69, v152
	v_mul_f32_e32 v73, v137, v101
	v_fma_f32 v72, v134, v98, -v72
	s_delay_alu instid0(VALU_DEP_3) | instskip(SKIP_1) | instid1(VALU_DEP_4)
	;; [unrolled: 4-line block ×4, first 2 shown]
	v_dual_add_f32 v70, v70, v73 :: v_dual_add_f32 v69, v69, v155
	v_mul_f32_e32 v73, v143, v107
	v_fma_f32 v72, v140, v104, -v72
	s_delay_alu instid0(VALU_DEP_3) | instskip(NEXT) | instid1(VALU_DEP_3)
	v_dual_add_f32 v70, v70, v74 :: v_dual_add_f32 v69, v69, v156
	v_fma_f32 v73, v142, v106, -v73
	s_delay_alu instid0(VALU_DEP_2) | instskip(NEXT) | instid1(VALU_DEP_1)
	v_dual_add_f32 v70, v70, v72 :: v_dual_add_f32 v69, v69, v157
	v_dual_add_f32 v70, v70, v73 :: v_dual_add_f32 v69, v69, v158
	s_delay_alu instid0(VALU_DEP_1) | instskip(NEXT) | instid1(VALU_DEP_1)
	v_add_f32_e32 v69, v69, v159
	v_add_f32_e32 v69, v69, v160
	s_wait_loadcnt 0x0
	s_delay_alu instid0(VALU_DEP_1) | instskip(NEXT) | instid1(VALU_DEP_1)
	v_dual_add_f32 v72, v69, v161 :: v_dual_sub_f32 v69, v144, v70
	v_sub_f32_e32 v70, v145, v72
	scratch_store_b64 off, v[69:70], off offset:120
	v_cmpx_lt_u32_e32 14, v0
	s_cbranch_execz .LBB97_189
; %bb.188:
	scratch_load_b64 v[69:70], off, off offset:112
	v_mov_b32_e32 v72, 0
	s_delay_alu instid0(VALU_DEP_1)
	v_mov_b32_e32 v73, v72
	scratch_store_b64 off, v[72:73], off offset:112
	s_wait_loadcnt 0x0
	ds_store_b64 v71, v[69:70]
.LBB97_189:
	s_wait_alu 0xfffe
	s_or_b32 exec_lo, exec_lo, s0
	s_wait_storecnt_dscnt 0x0
	s_barrier_signal -1
	s_barrier_wait -1
	global_inv scope:SCOPE_SE
	s_clause 0xa
	scratch_load_b128 v[72:75], off, off offset:120
	scratch_load_b128 v[76:79], off, off offset:136
	;; [unrolled: 1-line block ×9, first 2 shown]
	scratch_load_b64 v[144:145], off, off offset:264
	scratch_load_b64 v[146:147], off, off offset:112
	v_mov_b32_e32 v69, 0
	ds_load_2addr_b64 v[108:111], v69 offset0:49 offset1:50
	ds_load_2addr_b64 v[112:115], v69 offset0:51 offset1:52
	;; [unrolled: 1-line block ×9, first 2 shown]
	ds_load_b64 v[148:149], v69 offset:536
	s_mov_b32 s0, exec_lo
	s_wait_loadcnt_dscnt 0xa09
	v_mul_f32_e32 v70, v108, v73
	s_wait_loadcnt_dscnt 0x908
	v_dual_mul_f32 v150, v110, v75 :: v_dual_mul_f32 v151, v112, v77
	v_mul_f32_e32 v73, v109, v73
	s_delay_alu instid0(VALU_DEP_3)
	v_dual_mul_f32 v75, v111, v75 :: v_dual_fmac_f32 v70, v109, v72
	s_wait_loadcnt_dscnt 0x807
	v_dual_mul_f32 v152, v114, v79 :: v_dual_mul_f32 v153, v116, v81
	s_wait_loadcnt_dscnt 0x100
	v_dual_mul_f32 v164, v138, v103 :: v_dual_mul_f32 v167, v148, v145
	v_fma_f32 v73, v108, v72, -v73
	v_mul_f32_e32 v72, v113, v77
	v_fmac_f32_e32 v150, v111, v74
	v_fma_f32 v74, v110, v74, -v75
	v_dual_add_f32 v70, 0, v70 :: v_dual_mul_f32 v75, v115, v79
	v_add_f32_e32 v73, 0, v73
	v_fmac_f32_e32 v151, v113, v76
	v_fma_f32 v72, v112, v76, -v72
	s_delay_alu instid0(VALU_DEP_4)
	v_add_f32_e32 v70, v70, v150
	v_fma_f32 v75, v114, v78, -v75
	v_add_f32_e32 v73, v73, v74
	v_mul_f32_e32 v74, v117, v81
	v_dual_mul_f32 v156, v122, v87 :: v_dual_mul_f32 v157, v124, v89
	v_add_f32_e32 v70, v70, v151
	s_delay_alu instid0(VALU_DEP_4) | instskip(NEXT) | instid1(VALU_DEP_4)
	v_dual_add_f32 v72, v73, v72 :: v_dual_mul_f32 v73, v119, v83
	v_fma_f32 v74, v116, v80, -v74
	v_dual_mul_f32 v158, v126, v91 :: v_dual_mul_f32 v159, v128, v93
	s_delay_alu instid0(VALU_DEP_3) | instskip(NEXT) | instid1(VALU_DEP_4)
	v_dual_add_f32 v72, v72, v75 :: v_dual_mul_f32 v75, v121, v85
	v_fma_f32 v73, v118, v82, -v73
	v_dual_mul_f32 v160, v130, v95 :: v_dual_mul_f32 v161, v132, v97
	s_delay_alu instid0(VALU_DEP_3) | instskip(SKIP_3) | instid1(VALU_DEP_4)
	v_dual_add_f32 v72, v72, v74 :: v_dual_fmac_f32 v157, v125, v88
	v_dual_fmac_f32 v152, v115, v78 :: v_dual_fmac_f32 v153, v117, v80
	v_dual_mul_f32 v74, v123, v87 :: v_dual_fmac_f32 v159, v129, v92
	v_fma_f32 v75, v120, v84, -v75
	v_dual_add_f32 v72, v72, v73 :: v_dual_fmac_f32 v161, v133, v96
	v_dual_mul_f32 v162, v134, v99 :: v_dual_mul_f32 v163, v136, v101
	v_dual_add_f32 v70, v70, v152 :: v_dual_mul_f32 v73, v125, v89
	v_fma_f32 v74, v122, v86, -v74
	s_delay_alu instid0(VALU_DEP_3) | instskip(SKIP_1) | instid1(VALU_DEP_4)
	v_dual_add_f32 v72, v72, v75 :: v_dual_fmac_f32 v163, v137, v100
	v_mul_f32_e32 v75, v127, v91
	v_fma_f32 v73, v124, v88, -v73
	v_dual_mul_f32 v154, v118, v83 :: v_dual_mul_f32 v155, v120, v85
	s_delay_alu instid0(VALU_DEP_4) | instskip(SKIP_2) | instid1(VALU_DEP_4)
	v_add_f32_e32 v72, v72, v74
	v_mul_f32_e32 v74, v129, v93
	v_fma_f32 v75, v126, v90, -v75
	v_dual_fmac_f32 v154, v119, v82 :: v_dual_fmac_f32 v155, v121, v84
	s_delay_alu instid0(VALU_DEP_4) | instskip(SKIP_2) | instid1(VALU_DEP_3)
	v_dual_add_f32 v72, v72, v73 :: v_dual_fmac_f32 v167, v149, v144
	v_dual_add_f32 v70, v70, v153 :: v_dual_mul_f32 v73, v131, v95
	v_fma_f32 v74, v128, v92, -v74
	v_dual_add_f32 v72, v72, v75 :: v_dual_mul_f32 v75, v133, v97
	s_delay_alu instid0(VALU_DEP_3) | instskip(NEXT) | instid1(VALU_DEP_4)
	v_add_f32_e32 v70, v70, v154
	v_fma_f32 v73, v130, v94, -v73
	v_dual_mul_f32 v165, v140, v105 :: v_dual_mul_f32 v166, v142, v107
	s_delay_alu instid0(VALU_DEP_4)
	v_add_f32_e32 v72, v72, v74
	v_mul_f32_e32 v74, v135, v99
	v_fma_f32 v75, v132, v96, -v75
	v_fmac_f32_e32 v156, v123, v86
	v_dual_add_f32 v70, v70, v155 :: v_dual_fmac_f32 v165, v141, v104
	v_add_f32_e32 v72, v72, v73
	v_mul_f32_e32 v73, v137, v101
	v_fma_f32 v74, v134, v98, -v74
	s_delay_alu instid0(VALU_DEP_4)
	v_add_f32_e32 v70, v70, v156
	v_fmac_f32_e32 v158, v127, v90
	v_add_f32_e32 v72, v72, v75
	v_mul_f32_e32 v75, v139, v103
	v_fma_f32 v73, v136, v100, -v73
	v_fmac_f32_e32 v160, v131, v94
	v_fmac_f32_e32 v162, v135, v98
	v_add_f32_e32 v72, v72, v74
	v_fma_f32 v75, v138, v102, -v75
	v_mul_f32_e32 v74, v141, v105
	v_fmac_f32_e32 v164, v139, v102
	v_fmac_f32_e32 v166, v143, v106
	v_dual_add_f32 v72, v72, v73 :: v_dual_mul_f32 v73, v143, v107
	v_add_f32_e32 v70, v70, v157
	v_fma_f32 v74, v140, v104, -v74
	s_delay_alu instid0(VALU_DEP_3) | instskip(NEXT) | instid1(VALU_DEP_3)
	v_dual_add_f32 v72, v72, v75 :: v_dual_mul_f32 v75, v149, v145
	v_add_f32_e32 v70, v70, v158
	v_fma_f32 v73, v142, v106, -v73
	s_delay_alu instid0(VALU_DEP_3) | instskip(NEXT) | instid1(VALU_DEP_4)
	v_add_f32_e32 v72, v72, v74
	v_fma_f32 v74, v148, v144, -v75
	s_delay_alu instid0(VALU_DEP_4) | instskip(NEXT) | instid1(VALU_DEP_3)
	v_add_f32_e32 v70, v70, v159
	v_add_f32_e32 v72, v72, v73
	s_delay_alu instid0(VALU_DEP_2) | instskip(NEXT) | instid1(VALU_DEP_2)
	v_add_f32_e32 v70, v70, v160
	v_add_f32_e32 v72, v72, v74
	s_delay_alu instid0(VALU_DEP_2) | instskip(SKIP_1) | instid1(VALU_DEP_2)
	v_add_f32_e32 v70, v70, v161
	s_wait_loadcnt 0x0
	v_sub_f32_e32 v72, v146, v72
	s_delay_alu instid0(VALU_DEP_2) | instskip(NEXT) | instid1(VALU_DEP_1)
	v_add_f32_e32 v70, v70, v162
	v_add_f32_e32 v70, v70, v163
	s_delay_alu instid0(VALU_DEP_1) | instskip(NEXT) | instid1(VALU_DEP_1)
	v_add_f32_e32 v70, v70, v164
	v_add_f32_e32 v70, v70, v165
	s_delay_alu instid0(VALU_DEP_1) | instskip(NEXT) | instid1(VALU_DEP_1)
	v_add_f32_e32 v70, v70, v166
	v_add_f32_e32 v70, v70, v167
	s_delay_alu instid0(VALU_DEP_1)
	v_sub_f32_e32 v73, v147, v70
	scratch_store_b64 off, v[72:73], off offset:112
	v_cmpx_lt_u32_e32 13, v0
	s_cbranch_execz .LBB97_191
; %bb.190:
	scratch_load_b64 v[72:73], off, off offset:104
	v_mov_b32_e32 v70, v69
	scratch_store_b64 off, v[69:70], off offset:104
	s_wait_loadcnt 0x0
	ds_store_b64 v71, v[72:73]
.LBB97_191:
	s_wait_alu 0xfffe
	s_or_b32 exec_lo, exec_lo, s0
	s_wait_storecnt_dscnt 0x0
	s_barrier_signal -1
	s_barrier_wait -1
	global_inv scope:SCOPE_SE
	s_clause 0xa
	scratch_load_b128 v[72:75], off, off offset:112
	scratch_load_b128 v[76:79], off, off offset:128
	;; [unrolled: 1-line block ×10, first 2 shown]
	scratch_load_b64 v[152:153], off, off offset:104
	ds_load_b128 v[112:115], v69 offset:384
	ds_load_b128 v[116:119], v69 offset:400
	;; [unrolled: 1-line block ×10, first 2 shown]
	s_mov_b32 s0, exec_lo
	s_wait_loadcnt_dscnt 0xa09
	v_dual_mul_f32 v69, v112, v73 :: v_dual_mul_f32 v70, v114, v75
	v_mul_f32_e32 v73, v113, v73
	s_wait_loadcnt_dscnt 0x908
	v_dual_mul_f32 v75, v115, v75 :: v_dual_mul_f32 v154, v116, v77
	s_delay_alu instid0(VALU_DEP_3) | instskip(NEXT) | instid1(VALU_DEP_3)
	v_dual_mul_f32 v155, v118, v79 :: v_dual_fmac_f32 v70, v115, v74
	v_fma_f32 v73, v112, v72, -v73
	v_fmac_f32_e32 v69, v113, v72
	v_mul_f32_e32 v72, v117, v77
	v_fma_f32 v74, v114, v74, -v75
	v_mul_f32_e32 v75, v119, v79
	v_dual_add_f32 v73, 0, v73 :: v_dual_fmac_f32 v154, v117, v76
	s_delay_alu instid0(VALU_DEP_4) | instskip(SKIP_2) | instid1(VALU_DEP_3)
	v_fma_f32 v72, v116, v76, -v72
	s_wait_loadcnt_dscnt 0x807
	v_dual_mul_f32 v156, v120, v81 :: v_dual_mul_f32 v157, v122, v83
	v_add_f32_e32 v73, v73, v74
	v_fmac_f32_e32 v155, v119, v78
	v_fma_f32 v74, v118, v78, -v75
	s_wait_loadcnt_dscnt 0x706
	v_dual_mul_f32 v158, v124, v85 :: v_dual_mul_f32 v159, v126, v87
	v_dual_add_f32 v72, v73, v72 :: v_dual_mul_f32 v73, v123, v83
	v_fmac_f32_e32 v156, v121, v80
	s_wait_loadcnt_dscnt 0x605
	v_dual_mul_f32 v160, v128, v89 :: v_dual_mul_f32 v161, v130, v91
	s_delay_alu instid0(VALU_DEP_3) | instskip(SKIP_3) | instid1(VALU_DEP_4)
	v_dual_add_f32 v72, v72, v74 :: v_dual_add_f32 v69, 0, v69
	v_mul_f32_e32 v74, v125, v85
	v_fma_f32 v73, v122, v82, -v73
	v_dual_fmac_f32 v157, v123, v82 :: v_dual_fmac_f32 v158, v125, v84
	v_add_f32_e32 v69, v69, v70
	v_mul_f32_e32 v70, v121, v81
	v_fma_f32 v74, v124, v84, -v74
	v_dual_fmac_f32 v159, v127, v86 :: v_dual_fmac_f32 v160, v129, v88
	s_wait_loadcnt_dscnt 0x504
	v_dual_mul_f32 v162, v132, v93 :: v_dual_mul_f32 v163, v134, v95
	v_fma_f32 v70, v120, v80, -v70
	s_wait_loadcnt_dscnt 0x403
	v_dual_mul_f32 v164, v136, v97 :: v_dual_mul_f32 v165, v138, v99
	s_wait_loadcnt_dscnt 0x302
	v_dual_mul_f32 v166, v140, v101 :: v_dual_mul_f32 v167, v142, v103
	v_add_f32_e32 v70, v72, v70
	v_mul_f32_e32 v72, v127, v87
	v_dual_fmac_f32 v164, v137, v96 :: v_dual_fmac_f32 v165, v139, v98
	s_delay_alu instid0(VALU_DEP_4) | instskip(NEXT) | instid1(VALU_DEP_4)
	v_dual_fmac_f32 v166, v141, v100 :: v_dual_fmac_f32 v167, v143, v102
	v_dual_add_f32 v70, v70, v73 :: v_dual_add_f32 v69, v69, v154
	v_mul_f32_e32 v73, v129, v89
	v_fma_f32 v72, v126, v86, -v72
	v_fmac_f32_e32 v161, v131, v90
	s_delay_alu instid0(VALU_DEP_4)
	v_add_f32_e32 v70, v70, v74
	v_mul_f32_e32 v74, v131, v91
	v_add_f32_e32 v69, v69, v155
	v_fma_f32 v73, v128, v88, -v73
	v_fmac_f32_e32 v162, v133, v92
	v_add_f32_e32 v70, v70, v72
	v_mul_f32_e32 v72, v133, v93
	v_add_f32_e32 v69, v69, v156
	v_fma_f32 v74, v130, v90, -v74
	s_delay_alu instid0(VALU_DEP_4) | instskip(SKIP_1) | instid1(VALU_DEP_4)
	v_dual_fmac_f32 v163, v135, v94 :: v_dual_add_f32 v70, v70, v73
	v_mul_f32_e32 v73, v135, v95
	v_add_f32_e32 v69, v69, v157
	v_fma_f32 v72, v132, v92, -v72
	s_wait_loadcnt_dscnt 0x201
	v_dual_mul_f32 v168, v144, v105 :: v_dual_mul_f32 v169, v146, v107
	v_add_f32_e32 v70, v70, v74
	v_add_f32_e32 v69, v69, v158
	v_fma_f32 v73, v134, v94, -v73
	v_mul_f32_e32 v74, v137, v97
	s_wait_loadcnt_dscnt 0x100
	v_dual_mul_f32 v170, v148, v109 :: v_dual_mul_f32 v171, v150, v111
	v_dual_add_f32 v70, v70, v72 :: v_dual_add_f32 v69, v69, v159
	v_mul_f32_e32 v72, v139, v99
	v_fma_f32 v74, v136, v96, -v74
	v_dual_fmac_f32 v168, v145, v104 :: v_dual_fmac_f32 v169, v147, v106
	s_delay_alu instid0(VALU_DEP_4) | instskip(SKIP_3) | instid1(VALU_DEP_4)
	v_dual_add_f32 v70, v70, v73 :: v_dual_add_f32 v69, v69, v160
	v_mul_f32_e32 v73, v141, v101
	v_fma_f32 v72, v138, v98, -v72
	v_fmac_f32_e32 v171, v151, v110
	v_dual_add_f32 v70, v70, v74 :: v_dual_add_f32 v69, v69, v161
	v_mul_f32_e32 v74, v143, v103
	v_fma_f32 v73, v140, v100, -v73
	s_delay_alu instid0(VALU_DEP_3) | instskip(SKIP_1) | instid1(VALU_DEP_4)
	v_dual_add_f32 v70, v70, v72 :: v_dual_add_f32 v69, v69, v162
	v_mul_f32_e32 v72, v145, v105
	v_fma_f32 v74, v142, v102, -v74
	s_delay_alu instid0(VALU_DEP_3) | instskip(SKIP_1) | instid1(VALU_DEP_4)
	v_dual_add_f32 v70, v70, v73 :: v_dual_add_f32 v69, v69, v163
	v_mul_f32_e32 v73, v147, v107
	v_fma_f32 v72, v144, v104, -v72
	s_delay_alu instid0(VALU_DEP_3) | instskip(SKIP_1) | instid1(VALU_DEP_4)
	v_dual_add_f32 v70, v70, v74 :: v_dual_add_f32 v69, v69, v164
	v_mul_f32_e32 v74, v149, v109
	v_fma_f32 v73, v146, v106, -v73
	s_delay_alu instid0(VALU_DEP_3) | instskip(SKIP_1) | instid1(VALU_DEP_4)
	v_dual_add_f32 v70, v70, v72 :: v_dual_add_f32 v69, v69, v165
	v_mul_f32_e32 v72, v151, v111
	v_fma_f32 v74, v148, v108, -v74
	s_delay_alu instid0(VALU_DEP_3) | instskip(NEXT) | instid1(VALU_DEP_3)
	v_dual_add_f32 v70, v70, v73 :: v_dual_add_f32 v69, v69, v166
	v_fma_f32 v72, v150, v110, -v72
	s_delay_alu instid0(VALU_DEP_2) | instskip(NEXT) | instid1(VALU_DEP_1)
	v_dual_add_f32 v70, v70, v74 :: v_dual_add_f32 v69, v69, v167
	v_add_f32_e32 v70, v70, v72
	s_delay_alu instid0(VALU_DEP_2) | instskip(SKIP_1) | instid1(VALU_DEP_2)
	v_add_f32_e32 v69, v69, v168
	v_fmac_f32_e32 v170, v149, v108
	v_add_f32_e32 v69, v69, v169
	s_delay_alu instid0(VALU_DEP_1) | instskip(SKIP_1) | instid1(VALU_DEP_1)
	v_add_f32_e32 v69, v69, v170
	s_wait_loadcnt 0x0
	v_dual_add_f32 v72, v69, v171 :: v_dual_sub_f32 v69, v152, v70
	s_delay_alu instid0(VALU_DEP_1)
	v_sub_f32_e32 v70, v153, v72
	scratch_store_b64 off, v[69:70], off offset:104
	v_cmpx_lt_u32_e32 12, v0
	s_cbranch_execz .LBB97_193
; %bb.192:
	scratch_load_b64 v[69:70], off, off offset:96
	v_mov_b32_e32 v72, 0
	s_delay_alu instid0(VALU_DEP_1)
	v_mov_b32_e32 v73, v72
	scratch_store_b64 off, v[72:73], off offset:96
	s_wait_loadcnt 0x0
	ds_store_b64 v71, v[69:70]
.LBB97_193:
	s_wait_alu 0xfffe
	s_or_b32 exec_lo, exec_lo, s0
	s_wait_storecnt_dscnt 0x0
	s_barrier_signal -1
	s_barrier_wait -1
	global_inv scope:SCOPE_SE
	s_clause 0xb
	scratch_load_b128 v[72:75], off, off offset:104
	scratch_load_b128 v[76:79], off, off offset:120
	;; [unrolled: 1-line block ×10, first 2 shown]
	scratch_load_b64 v[152:153], off, off offset:264
	scratch_load_b64 v[154:155], off, off offset:96
	v_mov_b32_e32 v69, 0
	ds_load_2addr_b64 v[112:115], v69 offset0:47 offset1:48
	ds_load_2addr_b64 v[116:119], v69 offset0:49 offset1:50
	ds_load_2addr_b64 v[120:123], v69 offset0:51 offset1:52
	ds_load_2addr_b64 v[124:127], v69 offset0:53 offset1:54
	ds_load_2addr_b64 v[128:131], v69 offset0:55 offset1:56
	ds_load_2addr_b64 v[132:135], v69 offset0:57 offset1:58
	ds_load_2addr_b64 v[136:139], v69 offset0:59 offset1:60
	ds_load_2addr_b64 v[140:143], v69 offset0:61 offset1:62
	ds_load_2addr_b64 v[144:147], v69 offset0:63 offset1:64
	ds_load_2addr_b64 v[148:151], v69 offset0:65 offset1:66
	ds_load_b64 v[156:157], v69 offset:536
	s_mov_b32 s0, exec_lo
	s_wait_loadcnt_dscnt 0xb0a
	v_mul_f32_e32 v70, v112, v73
	s_wait_loadcnt_dscnt 0xa09
	v_dual_mul_f32 v158, v114, v75 :: v_dual_mul_f32 v159, v116, v77
	v_mul_f32_e32 v75, v115, v75
	v_dual_mul_f32 v73, v113, v73 :: v_dual_mul_f32 v160, v118, v79
	s_wait_loadcnt_dscnt 0x908
	v_dual_mul_f32 v161, v120, v81 :: v_dual_fmac_f32 v70, v113, v72
	s_wait_loadcnt_dscnt 0x302
	v_mul_f32_e32 v174, v146, v107
	v_fma_f32 v73, v112, v72, -v73
	s_wait_loadcnt_dscnt 0x100
	v_mul_f32_e32 v177, v156, v153
	v_mul_f32_e32 v72, v117, v77
	v_fmac_f32_e32 v158, v115, v74
	v_fma_f32 v74, v114, v74, -v75
	v_dual_add_f32 v73, 0, v73 :: v_dual_add_f32 v70, 0, v70
	v_mul_f32_e32 v75, v119, v79
	v_fmac_f32_e32 v159, v117, v76
	v_fma_f32 v72, v116, v76, -v72
	v_dual_mul_f32 v164, v126, v87 :: v_dual_mul_f32 v165, v128, v89
	v_add_f32_e32 v70, v70, v158
	v_add_f32_e32 v73, v73, v74
	v_mul_f32_e32 v74, v121, v81
	v_fma_f32 v75, v118, v78, -v75
	v_dual_mul_f32 v166, v130, v91 :: v_dual_mul_f32 v167, v132, v93
	v_add_f32_e32 v70, v70, v159
	v_dual_add_f32 v72, v73, v72 :: v_dual_mul_f32 v73, v123, v83
	v_fma_f32 v74, v120, v80, -v74
	v_dual_mul_f32 v168, v134, v95 :: v_dual_mul_f32 v169, v136, v97
	s_delay_alu instid0(VALU_DEP_3) | instskip(NEXT) | instid1(VALU_DEP_4)
	v_dual_add_f32 v72, v72, v75 :: v_dual_mul_f32 v75, v125, v85
	v_fma_f32 v73, v122, v82, -v73
	v_dual_fmac_f32 v160, v119, v78 :: v_dual_fmac_f32 v161, v121, v80
	s_delay_alu instid0(VALU_DEP_3) | instskip(SKIP_2) | instid1(VALU_DEP_3)
	v_dual_add_f32 v72, v72, v74 :: v_dual_fmac_f32 v165, v129, v88
	v_dual_mul_f32 v74, v127, v87 :: v_dual_fmac_f32 v167, v133, v92
	v_fma_f32 v75, v124, v84, -v75
	v_dual_add_f32 v72, v72, v73 :: v_dual_fmac_f32 v169, v137, v96
	v_dual_mul_f32 v170, v138, v99 :: v_dual_mul_f32 v171, v140, v101
	v_dual_add_f32 v70, v70, v160 :: v_dual_mul_f32 v73, v129, v89
	v_fma_f32 v74, v126, v86, -v74
	s_delay_alu instid0(VALU_DEP_3) | instskip(SKIP_1) | instid1(VALU_DEP_4)
	v_dual_add_f32 v72, v72, v75 :: v_dual_fmac_f32 v171, v141, v100
	v_mul_f32_e32 v75, v131, v91
	v_fma_f32 v73, v128, v88, -v73
	v_dual_mul_f32 v162, v122, v83 :: v_dual_mul_f32 v163, v124, v85
	s_delay_alu instid0(VALU_DEP_4) | instskip(SKIP_3) | instid1(VALU_DEP_3)
	v_add_f32_e32 v72, v72, v74
	v_dual_mul_f32 v175, v148, v109 :: v_dual_mul_f32 v176, v150, v111
	v_mul_f32_e32 v74, v133, v93
	v_fma_f32 v75, v130, v90, -v75
	v_dual_add_f32 v72, v72, v73 :: v_dual_fmac_f32 v175, v149, v108
	v_dual_fmac_f32 v162, v123, v82 :: v_dual_fmac_f32 v163, v125, v84
	v_dual_add_f32 v70, v70, v161 :: v_dual_mul_f32 v73, v135, v95
	v_fma_f32 v74, v132, v92, -v74
	s_delay_alu instid0(VALU_DEP_4) | instskip(NEXT) | instid1(VALU_DEP_3)
	v_dual_add_f32 v72, v72, v75 :: v_dual_mul_f32 v75, v137, v97
	v_add_f32_e32 v70, v70, v162
	s_delay_alu instid0(VALU_DEP_4) | instskip(SKIP_1) | instid1(VALU_DEP_4)
	v_fma_f32 v73, v134, v94, -v73
	v_dual_mul_f32 v172, v142, v103 :: v_dual_mul_f32 v173, v144, v105
	v_add_f32_e32 v72, v72, v74
	v_mul_f32_e32 v74, v139, v99
	v_fma_f32 v75, v136, v96, -v75
	v_fmac_f32_e32 v164, v127, v86
	v_dual_add_f32 v70, v70, v163 :: v_dual_fmac_f32 v173, v145, v104
	v_add_f32_e32 v72, v72, v73
	v_mul_f32_e32 v73, v141, v101
	v_fma_f32 v74, v138, v98, -v74
	s_delay_alu instid0(VALU_DEP_4)
	v_add_f32_e32 v70, v70, v164
	v_fmac_f32_e32 v166, v131, v90
	v_add_f32_e32 v72, v72, v75
	v_mul_f32_e32 v75, v143, v103
	v_fma_f32 v73, v140, v100, -v73
	v_dual_fmac_f32 v177, v157, v152 :: v_dual_fmac_f32 v168, v135, v94
	s_delay_alu instid0(VALU_DEP_4) | instskip(NEXT) | instid1(VALU_DEP_4)
	v_add_f32_e32 v72, v72, v74
	v_fma_f32 v75, v142, v102, -v75
	v_fmac_f32_e32 v170, v139, v98
	v_mul_f32_e32 v74, v145, v105
	v_fmac_f32_e32 v172, v143, v102
	v_dual_add_f32 v72, v72, v73 :: v_dual_mul_f32 v73, v147, v107
	v_add_f32_e32 v70, v70, v165
	s_delay_alu instid0(VALU_DEP_4) | instskip(SKIP_1) | instid1(VALU_DEP_4)
	v_fma_f32 v74, v144, v104, -v74
	v_fmac_f32_e32 v174, v147, v106
	v_dual_add_f32 v72, v72, v75 :: v_dual_mul_f32 v75, v149, v109
	s_delay_alu instid0(VALU_DEP_4) | instskip(SKIP_2) | instid1(VALU_DEP_4)
	v_add_f32_e32 v70, v70, v166
	v_fma_f32 v73, v146, v106, -v73
	v_fmac_f32_e32 v176, v151, v110
	v_add_f32_e32 v72, v72, v74
	v_mul_f32_e32 v74, v151, v111
	v_add_f32_e32 v70, v70, v167
	v_fma_f32 v75, v148, v108, -v75
	s_delay_alu instid0(VALU_DEP_4) | instskip(NEXT) | instid1(VALU_DEP_3)
	v_add_f32_e32 v72, v72, v73
	v_dual_mul_f32 v73, v157, v153 :: v_dual_add_f32 v70, v70, v168
	v_fma_f32 v74, v150, v110, -v74
	s_delay_alu instid0(VALU_DEP_3) | instskip(NEXT) | instid1(VALU_DEP_3)
	v_add_f32_e32 v72, v72, v75
	v_fma_f32 v73, v156, v152, -v73
	s_delay_alu instid0(VALU_DEP_4) | instskip(NEXT) | instid1(VALU_DEP_3)
	v_add_f32_e32 v70, v70, v169
	v_add_f32_e32 v72, v72, v74
	s_delay_alu instid0(VALU_DEP_2) | instskip(NEXT) | instid1(VALU_DEP_2)
	v_add_f32_e32 v70, v70, v170
	v_add_f32_e32 v72, v72, v73
	s_delay_alu instid0(VALU_DEP_2) | instskip(SKIP_1) | instid1(VALU_DEP_2)
	v_add_f32_e32 v70, v70, v171
	s_wait_loadcnt 0x0
	v_sub_f32_e32 v72, v154, v72
	s_delay_alu instid0(VALU_DEP_2) | instskip(NEXT) | instid1(VALU_DEP_1)
	v_add_f32_e32 v70, v70, v172
	v_add_f32_e32 v70, v70, v173
	s_delay_alu instid0(VALU_DEP_1) | instskip(NEXT) | instid1(VALU_DEP_1)
	v_add_f32_e32 v70, v70, v174
	v_add_f32_e32 v70, v70, v175
	s_delay_alu instid0(VALU_DEP_1) | instskip(NEXT) | instid1(VALU_DEP_1)
	v_add_f32_e32 v70, v70, v176
	v_add_f32_e32 v70, v70, v177
	s_delay_alu instid0(VALU_DEP_1)
	v_sub_f32_e32 v73, v155, v70
	scratch_store_b64 off, v[72:73], off offset:96
	v_cmpx_lt_u32_e32 11, v0
	s_cbranch_execz .LBB97_195
; %bb.194:
	scratch_load_b64 v[72:73], off, off offset:88
	v_mov_b32_e32 v70, v69
	scratch_store_b64 off, v[69:70], off offset:88
	s_wait_loadcnt 0x0
	ds_store_b64 v71, v[72:73]
.LBB97_195:
	s_wait_alu 0xfffe
	s_or_b32 exec_lo, exec_lo, s0
	s_wait_storecnt_dscnt 0x0
	s_barrier_signal -1
	s_barrier_wait -1
	global_inv scope:SCOPE_SE
	s_clause 0xb
	scratch_load_b128 v[72:75], off, off offset:96
	scratch_load_b128 v[76:79], off, off offset:112
	;; [unrolled: 1-line block ×11, first 2 shown]
	scratch_load_b64 v[160:161], off, off offset:88
	ds_load_b128 v[116:119], v69 offset:368
	ds_load_b128 v[120:123], v69 offset:384
	;; [unrolled: 1-line block ×11, first 2 shown]
	s_mov_b32 s0, exec_lo
	s_wait_loadcnt_dscnt 0xb0a
	v_dual_mul_f32 v69, v116, v73 :: v_dual_mul_f32 v70, v118, v75
	v_mul_f32_e32 v73, v117, v73
	s_wait_loadcnt_dscnt 0xa09
	v_dual_mul_f32 v75, v119, v75 :: v_dual_mul_f32 v162, v120, v77
	s_delay_alu instid0(VALU_DEP_3) | instskip(NEXT) | instid1(VALU_DEP_3)
	v_dual_mul_f32 v163, v122, v79 :: v_dual_fmac_f32 v70, v119, v74
	v_fma_f32 v73, v116, v72, -v73
	v_fmac_f32_e32 v69, v117, v72
	v_mul_f32_e32 v72, v121, v77
	v_fma_f32 v74, v118, v74, -v75
	v_mul_f32_e32 v75, v123, v79
	v_dual_add_f32 v73, 0, v73 :: v_dual_fmac_f32 v162, v121, v76
	s_delay_alu instid0(VALU_DEP_4) | instskip(SKIP_2) | instid1(VALU_DEP_3)
	v_fma_f32 v72, v120, v76, -v72
	s_wait_loadcnt_dscnt 0x908
	v_dual_mul_f32 v164, v124, v81 :: v_dual_mul_f32 v165, v126, v83
	v_add_f32_e32 v73, v73, v74
	v_fmac_f32_e32 v163, v123, v78
	v_fma_f32 v74, v122, v78, -v75
	s_wait_loadcnt_dscnt 0x807
	v_dual_mul_f32 v166, v128, v85 :: v_dual_mul_f32 v167, v130, v87
	v_dual_add_f32 v72, v73, v72 :: v_dual_mul_f32 v73, v127, v83
	v_fmac_f32_e32 v164, v125, v80
	s_wait_loadcnt_dscnt 0x706
	v_dual_mul_f32 v168, v132, v89 :: v_dual_mul_f32 v169, v134, v91
	s_delay_alu instid0(VALU_DEP_3) | instskip(SKIP_3) | instid1(VALU_DEP_4)
	v_dual_add_f32 v72, v72, v74 :: v_dual_add_f32 v69, 0, v69
	v_mul_f32_e32 v74, v129, v85
	v_fma_f32 v73, v126, v82, -v73
	v_dual_fmac_f32 v165, v127, v82 :: v_dual_fmac_f32 v166, v129, v84
	v_add_f32_e32 v69, v69, v70
	v_mul_f32_e32 v70, v125, v81
	v_fma_f32 v74, v128, v84, -v74
	v_dual_fmac_f32 v167, v131, v86 :: v_dual_fmac_f32 v168, v133, v88
	s_wait_loadcnt_dscnt 0x605
	v_dual_mul_f32 v170, v136, v93 :: v_dual_mul_f32 v171, v138, v95
	v_fma_f32 v70, v124, v80, -v70
	s_wait_loadcnt_dscnt 0x504
	v_dual_mul_f32 v172, v140, v97 :: v_dual_mul_f32 v173, v142, v99
	s_wait_loadcnt_dscnt 0x403
	v_dual_mul_f32 v174, v144, v101 :: v_dual_mul_f32 v175, v146, v103
	v_add_f32_e32 v70, v72, v70
	v_mul_f32_e32 v72, v131, v87
	v_dual_fmac_f32 v172, v141, v96 :: v_dual_fmac_f32 v173, v143, v98
	s_delay_alu instid0(VALU_DEP_4) | instskip(NEXT) | instid1(VALU_DEP_4)
	v_dual_fmac_f32 v174, v145, v100 :: v_dual_fmac_f32 v175, v147, v102
	v_dual_add_f32 v70, v70, v73 :: v_dual_add_f32 v69, v69, v162
	v_mul_f32_e32 v73, v133, v89
	v_fma_f32 v72, v130, v86, -v72
	v_fmac_f32_e32 v169, v135, v90
	s_delay_alu instid0(VALU_DEP_4)
	v_add_f32_e32 v70, v70, v74
	v_mul_f32_e32 v74, v135, v91
	v_add_f32_e32 v69, v69, v163
	v_fma_f32 v73, v132, v88, -v73
	v_fmac_f32_e32 v170, v137, v92
	v_add_f32_e32 v70, v70, v72
	v_mul_f32_e32 v72, v137, v93
	v_add_f32_e32 v69, v69, v164
	v_fma_f32 v74, v134, v90, -v74
	s_delay_alu instid0(VALU_DEP_4) | instskip(SKIP_1) | instid1(VALU_DEP_4)
	v_dual_fmac_f32 v171, v139, v94 :: v_dual_add_f32 v70, v70, v73
	v_mul_f32_e32 v73, v139, v95
	v_add_f32_e32 v69, v69, v165
	v_fma_f32 v72, v136, v92, -v72
	s_wait_loadcnt_dscnt 0x302
	v_dual_mul_f32 v176, v148, v105 :: v_dual_mul_f32 v177, v150, v107
	v_add_f32_e32 v70, v70, v74
	v_add_f32_e32 v69, v69, v166
	v_fma_f32 v73, v138, v94, -v73
	v_mul_f32_e32 v74, v141, v97
	s_wait_loadcnt_dscnt 0x201
	v_dual_mul_f32 v178, v152, v109 :: v_dual_mul_f32 v179, v154, v111
	v_dual_add_f32 v70, v70, v72 :: v_dual_add_f32 v69, v69, v167
	v_mul_f32_e32 v72, v143, v99
	v_fma_f32 v74, v140, v96, -v74
	v_dual_fmac_f32 v176, v149, v104 :: v_dual_fmac_f32 v177, v151, v106
	s_delay_alu instid0(VALU_DEP_4)
	v_dual_add_f32 v70, v70, v73 :: v_dual_add_f32 v69, v69, v168
	v_mul_f32_e32 v73, v145, v101
	v_fma_f32 v72, v142, v98, -v72
	s_wait_loadcnt_dscnt 0x100
	v_dual_mul_f32 v180, v156, v113 :: v_dual_mul_f32 v181, v158, v115
	v_dual_add_f32 v69, v69, v169 :: v_dual_add_f32 v70, v70, v74
	v_mul_f32_e32 v74, v147, v103
	v_fma_f32 v73, v144, v100, -v73
	s_delay_alu instid0(VALU_DEP_4) | instskip(NEXT) | instid1(VALU_DEP_4)
	v_dual_fmac_f32 v178, v153, v108 :: v_dual_fmac_f32 v181, v159, v114
	v_dual_add_f32 v69, v69, v170 :: v_dual_add_f32 v70, v70, v72
	v_mul_f32_e32 v72, v149, v105
	v_fma_f32 v74, v146, v102, -v74
	v_fmac_f32_e32 v179, v155, v110
	s_delay_alu instid0(VALU_DEP_4) | instskip(SKIP_2) | instid1(VALU_DEP_3)
	v_dual_add_f32 v69, v69, v171 :: v_dual_add_f32 v70, v70, v73
	v_mul_f32_e32 v73, v151, v107
	v_fma_f32 v72, v148, v104, -v72
	v_dual_add_f32 v69, v69, v172 :: v_dual_add_f32 v70, v70, v74
	v_mul_f32_e32 v74, v153, v109
	s_delay_alu instid0(VALU_DEP_4) | instskip(NEXT) | instid1(VALU_DEP_3)
	v_fma_f32 v73, v150, v106, -v73
	v_dual_add_f32 v69, v69, v173 :: v_dual_add_f32 v70, v70, v72
	v_mul_f32_e32 v72, v155, v111
	s_delay_alu instid0(VALU_DEP_4) | instskip(NEXT) | instid1(VALU_DEP_3)
	;; [unrolled: 4-line block ×4, first 2 shown]
	v_fma_f32 v73, v156, v112, -v73
	v_add_f32_e32 v69, v69, v176
	s_delay_alu instid0(VALU_DEP_4) | instskip(NEXT) | instid1(VALU_DEP_4)
	v_add_f32_e32 v70, v70, v72
	v_fma_f32 v72, v158, v114, -v74
	s_delay_alu instid0(VALU_DEP_3) | instskip(NEXT) | instid1(VALU_DEP_1)
	v_add_f32_e32 v69, v69, v177
	v_dual_add_f32 v70, v70, v73 :: v_dual_add_f32 v69, v69, v178
	s_delay_alu instid0(VALU_DEP_1) | instskip(SKIP_1) | instid1(VALU_DEP_3)
	v_add_f32_e32 v70, v70, v72
	v_fmac_f32_e32 v180, v157, v112
	v_add_f32_e32 v69, v69, v179
	s_delay_alu instid0(VALU_DEP_1) | instskip(SKIP_1) | instid1(VALU_DEP_1)
	v_add_f32_e32 v69, v69, v180
	s_wait_loadcnt 0x0
	v_dual_add_f32 v72, v69, v181 :: v_dual_sub_f32 v69, v160, v70
	s_delay_alu instid0(VALU_DEP_1)
	v_sub_f32_e32 v70, v161, v72
	scratch_store_b64 off, v[69:70], off offset:88
	v_cmpx_lt_u32_e32 10, v0
	s_cbranch_execz .LBB97_197
; %bb.196:
	scratch_load_b64 v[69:70], off, off offset:80
	v_mov_b32_e32 v72, 0
	s_delay_alu instid0(VALU_DEP_1)
	v_mov_b32_e32 v73, v72
	scratch_store_b64 off, v[72:73], off offset:80
	s_wait_loadcnt 0x0
	ds_store_b64 v71, v[69:70]
.LBB97_197:
	s_wait_alu 0xfffe
	s_or_b32 exec_lo, exec_lo, s0
	s_wait_storecnt_dscnt 0x0
	s_barrier_signal -1
	s_barrier_wait -1
	global_inv scope:SCOPE_SE
	s_clause 0xc
	scratch_load_b128 v[72:75], off, off offset:88
	scratch_load_b128 v[76:79], off, off offset:104
	;; [unrolled: 1-line block ×11, first 2 shown]
	scratch_load_b64 v[160:161], off, off offset:264
	scratch_load_b64 v[162:163], off, off offset:80
	v_mov_b32_e32 v69, 0
	ds_load_2addr_b64 v[116:119], v69 offset0:45 offset1:46
	ds_load_2addr_b64 v[120:123], v69 offset0:47 offset1:48
	;; [unrolled: 1-line block ×11, first 2 shown]
	ds_load_b64 v[164:165], v69 offset:536
	s_mov_b32 s0, exec_lo
	s_wait_loadcnt_dscnt 0xc0b
	v_mul_f32_e32 v70, v116, v73
	s_wait_loadcnt_dscnt 0xb0a
	v_dual_mul_f32 v166, v118, v75 :: v_dual_mul_f32 v167, v120, v77
	v_mul_f32_e32 v75, v119, v75
	s_wait_loadcnt_dscnt 0xa09
	v_dual_mul_f32 v168, v122, v79 :: v_dual_mul_f32 v169, v124, v81
	v_mul_f32_e32 v73, v117, v73
	v_fmac_f32_e32 v70, v117, v72
	s_wait_loadcnt_dscnt 0x807
	v_dual_mul_f32 v172, v130, v87 :: v_dual_mul_f32 v173, v132, v89
	s_wait_loadcnt_dscnt 0x100
	v_dual_mul_f32 v184, v154, v111 :: v_dual_mul_f32 v187, v164, v161
	v_fma_f32 v73, v116, v72, -v73
	v_mul_f32_e32 v72, v121, v77
	v_fmac_f32_e32 v166, v119, v74
	v_fma_f32 v74, v118, v74, -v75
	v_dual_add_f32 v70, 0, v70 :: v_dual_mul_f32 v75, v123, v79
	v_add_f32_e32 v73, 0, v73
	v_fmac_f32_e32 v167, v121, v76
	v_fma_f32 v72, v120, v76, -v72
	s_delay_alu instid0(VALU_DEP_4)
	v_add_f32_e32 v70, v70, v166
	v_fma_f32 v75, v122, v78, -v75
	v_add_f32_e32 v73, v73, v74
	v_mul_f32_e32 v74, v125, v81
	v_dual_mul_f32 v174, v134, v91 :: v_dual_mul_f32 v175, v136, v93
	v_add_f32_e32 v70, v70, v167
	s_delay_alu instid0(VALU_DEP_4) | instskip(NEXT) | instid1(VALU_DEP_4)
	v_dual_add_f32 v72, v73, v72 :: v_dual_mul_f32 v73, v127, v83
	v_fma_f32 v74, v124, v80, -v74
	v_dual_mul_f32 v176, v138, v95 :: v_dual_mul_f32 v177, v140, v97
	s_delay_alu instid0(VALU_DEP_3) | instskip(NEXT) | instid1(VALU_DEP_4)
	v_dual_add_f32 v72, v72, v75 :: v_dual_mul_f32 v75, v129, v85
	v_fma_f32 v73, v126, v82, -v73
	v_dual_fmac_f32 v168, v123, v78 :: v_dual_fmac_f32 v169, v125, v80
	s_delay_alu instid0(VALU_DEP_3) | instskip(SKIP_2) | instid1(VALU_DEP_3)
	v_dual_add_f32 v72, v72, v74 :: v_dual_fmac_f32 v173, v133, v88
	v_dual_mul_f32 v74, v131, v87 :: v_dual_fmac_f32 v175, v137, v92
	v_fma_f32 v75, v128, v84, -v75
	v_dual_add_f32 v72, v72, v73 :: v_dual_fmac_f32 v177, v141, v96
	v_dual_mul_f32 v178, v142, v99 :: v_dual_mul_f32 v179, v144, v101
	v_dual_add_f32 v70, v70, v168 :: v_dual_mul_f32 v73, v133, v89
	v_fma_f32 v74, v130, v86, -v74
	s_delay_alu instid0(VALU_DEP_3) | instskip(SKIP_1) | instid1(VALU_DEP_4)
	v_dual_add_f32 v72, v72, v75 :: v_dual_fmac_f32 v179, v145, v100
	v_mul_f32_e32 v75, v135, v91
	v_fma_f32 v73, v132, v88, -v73
	v_dual_mul_f32 v170, v126, v83 :: v_dual_mul_f32 v171, v128, v85
	s_delay_alu instid0(VALU_DEP_4) | instskip(SKIP_3) | instid1(VALU_DEP_4)
	v_add_f32_e32 v72, v72, v74
	v_dual_mul_f32 v182, v150, v107 :: v_dual_mul_f32 v183, v152, v109
	v_mul_f32_e32 v74, v137, v93
	v_fma_f32 v75, v134, v90, -v75
	v_add_f32_e32 v72, v72, v73
	v_dual_fmac_f32 v170, v127, v82 :: v_dual_fmac_f32 v171, v129, v84
	v_dual_add_f32 v70, v70, v169 :: v_dual_mul_f32 v73, v139, v95
	v_fma_f32 v74, v136, v92, -v74
	s_delay_alu instid0(VALU_DEP_4) | instskip(NEXT) | instid1(VALU_DEP_3)
	v_dual_fmac_f32 v183, v153, v108 :: v_dual_add_f32 v72, v72, v75
	v_dual_add_f32 v70, v70, v170 :: v_dual_mul_f32 v75, v141, v97
	s_delay_alu instid0(VALU_DEP_4) | instskip(SKIP_1) | instid1(VALU_DEP_4)
	v_fma_f32 v73, v138, v94, -v73
	v_dual_mul_f32 v180, v146, v103 :: v_dual_mul_f32 v181, v148, v105
	v_add_f32_e32 v72, v72, v74
	v_mul_f32_e32 v74, v143, v99
	v_fma_f32 v75, v140, v96, -v75
	v_fmac_f32_e32 v172, v131, v86
	v_dual_add_f32 v70, v70, v171 :: v_dual_fmac_f32 v181, v149, v104
	v_add_f32_e32 v72, v72, v73
	v_mul_f32_e32 v73, v145, v101
	v_fma_f32 v74, v142, v98, -v74
	s_delay_alu instid0(VALU_DEP_4)
	v_dual_add_f32 v70, v70, v172 :: v_dual_mul_f32 v185, v156, v113
	v_mul_f32_e32 v186, v158, v115
	v_add_f32_e32 v72, v72, v75
	v_mul_f32_e32 v75, v147, v103
	v_fma_f32 v73, v144, v100, -v73
	v_dual_fmac_f32 v174, v135, v90 :: v_dual_fmac_f32 v185, v157, v112
	s_delay_alu instid0(VALU_DEP_4) | instskip(NEXT) | instid1(VALU_DEP_4)
	v_add_f32_e32 v72, v72, v74
	v_fma_f32 v75, v146, v102, -v75
	v_dual_fmac_f32 v176, v139, v94 :: v_dual_fmac_f32 v187, v165, v160
	v_fmac_f32_e32 v178, v143, v98
	s_delay_alu instid0(VALU_DEP_4) | instskip(SKIP_3) | instid1(VALU_DEP_4)
	v_dual_add_f32 v72, v72, v73 :: v_dual_mul_f32 v73, v151, v107
	v_add_f32_e32 v70, v70, v173
	v_mul_f32_e32 v74, v149, v105
	v_fmac_f32_e32 v180, v147, v102
	v_dual_add_f32 v72, v72, v75 :: v_dual_mul_f32 v75, v153, v109
	s_delay_alu instid0(VALU_DEP_4) | instskip(NEXT) | instid1(VALU_DEP_4)
	v_add_f32_e32 v70, v70, v174
	v_fma_f32 v74, v148, v104, -v74
	v_fmac_f32_e32 v182, v151, v106
	v_fma_f32 v73, v150, v106, -v73
	v_fma_f32 v75, v152, v108, -v75
	v_add_f32_e32 v70, v70, v175
	v_add_f32_e32 v72, v72, v74
	v_mul_f32_e32 v74, v155, v111
	v_fmac_f32_e32 v184, v155, v110
	v_fmac_f32_e32 v186, v159, v114
	v_add_f32_e32 v70, v70, v176
	v_add_f32_e32 v72, v72, v73
	v_mul_f32_e32 v73, v157, v113
	v_fma_f32 v74, v154, v110, -v74
	s_delay_alu instid0(VALU_DEP_4) | instskip(NEXT) | instid1(VALU_DEP_4)
	v_add_f32_e32 v70, v70, v177
	v_add_f32_e32 v72, v72, v75
	v_mul_f32_e32 v75, v159, v115
	v_fma_f32 v73, v156, v112, -v73
	s_delay_alu instid0(VALU_DEP_4) | instskip(NEXT) | instid1(VALU_DEP_4)
	;; [unrolled: 5-line block ×3, first 2 shown]
	v_add_f32_e32 v70, v70, v179
	v_add_f32_e32 v72, v72, v73
	s_delay_alu instid0(VALU_DEP_4) | instskip(NEXT) | instid1(VALU_DEP_3)
	v_fma_f32 v73, v164, v160, -v74
	v_add_f32_e32 v70, v70, v180
	s_delay_alu instid0(VALU_DEP_3) | instskip(NEXT) | instid1(VALU_DEP_2)
	v_add_f32_e32 v72, v72, v75
	v_add_f32_e32 v70, v70, v181
	s_delay_alu instid0(VALU_DEP_2) | instskip(NEXT) | instid1(VALU_DEP_2)
	v_add_f32_e32 v72, v72, v73
	v_add_f32_e32 v70, v70, v182
	s_wait_loadcnt 0x0
	s_delay_alu instid0(VALU_DEP_2) | instskip(NEXT) | instid1(VALU_DEP_2)
	v_sub_f32_e32 v72, v162, v72
	v_add_f32_e32 v70, v70, v183
	s_delay_alu instid0(VALU_DEP_1) | instskip(NEXT) | instid1(VALU_DEP_1)
	v_add_f32_e32 v70, v70, v184
	v_add_f32_e32 v70, v70, v185
	s_delay_alu instid0(VALU_DEP_1) | instskip(NEXT) | instid1(VALU_DEP_1)
	v_add_f32_e32 v70, v70, v186
	v_add_f32_e32 v70, v70, v187
	s_delay_alu instid0(VALU_DEP_1)
	v_sub_f32_e32 v73, v163, v70
	scratch_store_b64 off, v[72:73], off offset:80
	v_cmpx_lt_u32_e32 9, v0
	s_cbranch_execz .LBB97_199
; %bb.198:
	scratch_load_b64 v[72:73], off, off offset:72
	v_mov_b32_e32 v70, v69
	scratch_store_b64 off, v[69:70], off offset:72
	s_wait_loadcnt 0x0
	ds_store_b64 v71, v[72:73]
.LBB97_199:
	s_wait_alu 0xfffe
	s_or_b32 exec_lo, exec_lo, s0
	s_wait_storecnt_dscnt 0x0
	s_barrier_signal -1
	s_barrier_wait -1
	global_inv scope:SCOPE_SE
	s_clause 0xc
	scratch_load_b128 v[72:75], off, off offset:80
	scratch_load_b128 v[76:79], off, off offset:96
	;; [unrolled: 1-line block ×12, first 2 shown]
	scratch_load_b64 v[168:169], off, off offset:72
	ds_load_b128 v[120:123], v69 offset:352
	ds_load_b128 v[124:127], v69 offset:368
	;; [unrolled: 1-line block ×12, first 2 shown]
	s_mov_b32 s0, exec_lo
	s_wait_loadcnt_dscnt 0xc0b
	v_dual_mul_f32 v69, v120, v73 :: v_dual_mul_f32 v70, v122, v75
	v_mul_f32_e32 v73, v121, v73
	s_wait_loadcnt_dscnt 0xb0a
	v_dual_mul_f32 v75, v123, v75 :: v_dual_mul_f32 v170, v124, v77
	s_delay_alu instid0(VALU_DEP_3) | instskip(NEXT) | instid1(VALU_DEP_3)
	v_dual_mul_f32 v171, v126, v79 :: v_dual_fmac_f32 v70, v123, v74
	v_fma_f32 v73, v120, v72, -v73
	v_fmac_f32_e32 v69, v121, v72
	v_mul_f32_e32 v72, v125, v77
	v_fma_f32 v74, v122, v74, -v75
	v_mul_f32_e32 v75, v127, v79
	v_dual_add_f32 v73, 0, v73 :: v_dual_fmac_f32 v170, v125, v76
	s_delay_alu instid0(VALU_DEP_4) | instskip(SKIP_2) | instid1(VALU_DEP_3)
	v_fma_f32 v72, v124, v76, -v72
	s_wait_loadcnt_dscnt 0xa09
	v_dual_mul_f32 v172, v128, v81 :: v_dual_mul_f32 v173, v130, v83
	v_add_f32_e32 v73, v73, v74
	v_fmac_f32_e32 v171, v127, v78
	v_fma_f32 v74, v126, v78, -v75
	s_wait_loadcnt_dscnt 0x908
	v_dual_mul_f32 v174, v132, v85 :: v_dual_mul_f32 v175, v134, v87
	v_dual_add_f32 v72, v73, v72 :: v_dual_mul_f32 v73, v131, v83
	v_fmac_f32_e32 v172, v129, v80
	s_wait_loadcnt_dscnt 0x807
	v_dual_mul_f32 v176, v136, v89 :: v_dual_mul_f32 v177, v138, v91
	s_delay_alu instid0(VALU_DEP_3) | instskip(SKIP_3) | instid1(VALU_DEP_4)
	v_dual_add_f32 v72, v72, v74 :: v_dual_add_f32 v69, 0, v69
	v_mul_f32_e32 v74, v133, v85
	v_fma_f32 v73, v130, v82, -v73
	v_dual_fmac_f32 v173, v131, v82 :: v_dual_fmac_f32 v174, v133, v84
	v_add_f32_e32 v69, v69, v70
	v_mul_f32_e32 v70, v129, v81
	v_fma_f32 v74, v132, v84, -v74
	v_dual_fmac_f32 v175, v135, v86 :: v_dual_fmac_f32 v176, v137, v88
	s_wait_loadcnt_dscnt 0x706
	v_dual_mul_f32 v178, v140, v93 :: v_dual_mul_f32 v179, v142, v95
	v_fma_f32 v70, v128, v80, -v70
	s_wait_loadcnt_dscnt 0x605
	v_dual_mul_f32 v180, v144, v97 :: v_dual_mul_f32 v181, v146, v99
	s_wait_loadcnt_dscnt 0x504
	v_dual_mul_f32 v182, v148, v101 :: v_dual_mul_f32 v183, v150, v103
	v_add_f32_e32 v70, v72, v70
	v_mul_f32_e32 v72, v135, v87
	v_dual_fmac_f32 v180, v145, v96 :: v_dual_fmac_f32 v181, v147, v98
	s_delay_alu instid0(VALU_DEP_4) | instskip(NEXT) | instid1(VALU_DEP_4)
	v_dual_fmac_f32 v182, v149, v100 :: v_dual_fmac_f32 v183, v151, v102
	v_dual_add_f32 v70, v70, v73 :: v_dual_add_f32 v69, v69, v170
	v_mul_f32_e32 v73, v137, v89
	v_fma_f32 v72, v134, v86, -v72
	v_fmac_f32_e32 v177, v139, v90
	s_delay_alu instid0(VALU_DEP_4)
	v_add_f32_e32 v70, v70, v74
	v_mul_f32_e32 v74, v139, v91
	v_add_f32_e32 v69, v69, v171
	v_fma_f32 v73, v136, v88, -v73
	v_fmac_f32_e32 v178, v141, v92
	v_add_f32_e32 v70, v70, v72
	v_mul_f32_e32 v72, v141, v93
	v_add_f32_e32 v69, v69, v172
	v_fma_f32 v74, v138, v90, -v74
	s_delay_alu instid0(VALU_DEP_4) | instskip(SKIP_1) | instid1(VALU_DEP_4)
	v_dual_fmac_f32 v179, v143, v94 :: v_dual_add_f32 v70, v70, v73
	v_mul_f32_e32 v73, v143, v95
	v_add_f32_e32 v69, v69, v173
	v_fma_f32 v72, v140, v92, -v72
	s_wait_loadcnt_dscnt 0x403
	v_dual_mul_f32 v184, v152, v105 :: v_dual_mul_f32 v185, v154, v107
	v_add_f32_e32 v70, v70, v74
	v_add_f32_e32 v69, v69, v174
	v_fma_f32 v73, v142, v94, -v73
	v_mul_f32_e32 v74, v145, v97
	s_wait_loadcnt_dscnt 0x302
	v_dual_mul_f32 v186, v156, v109 :: v_dual_mul_f32 v187, v158, v111
	v_dual_add_f32 v70, v70, v72 :: v_dual_add_f32 v69, v69, v175
	v_mul_f32_e32 v72, v147, v99
	v_fma_f32 v74, v144, v96, -v74
	v_dual_fmac_f32 v184, v153, v104 :: v_dual_fmac_f32 v185, v155, v106
	s_delay_alu instid0(VALU_DEP_4)
	v_dual_add_f32 v70, v70, v73 :: v_dual_add_f32 v69, v69, v176
	v_mul_f32_e32 v73, v149, v101
	v_fma_f32 v72, v146, v98, -v72
	s_wait_loadcnt_dscnt 0x201
	v_dual_mul_f32 v188, v160, v113 :: v_dual_mul_f32 v189, v162, v115
	v_dual_add_f32 v69, v69, v177 :: v_dual_add_f32 v70, v70, v74
	v_mul_f32_e32 v74, v151, v103
	v_fma_f32 v73, v148, v100, -v73
	s_delay_alu instid0(VALU_DEP_4) | instskip(NEXT) | instid1(VALU_DEP_4)
	v_dual_fmac_f32 v186, v157, v108 :: v_dual_fmac_f32 v189, v163, v114
	v_dual_add_f32 v69, v69, v178 :: v_dual_add_f32 v70, v70, v72
	v_mul_f32_e32 v72, v153, v105
	v_fma_f32 v74, v150, v102, -v74
	v_fmac_f32_e32 v187, v159, v110
	s_delay_alu instid0(VALU_DEP_4)
	v_dual_add_f32 v69, v69, v179 :: v_dual_add_f32 v70, v70, v73
	v_mul_f32_e32 v73, v155, v107
	v_fma_f32 v72, v152, v104, -v72
	s_wait_loadcnt_dscnt 0x100
	v_dual_mul_f32 v190, v164, v117 :: v_dual_mul_f32 v191, v166, v119
	v_dual_add_f32 v69, v69, v180 :: v_dual_add_f32 v70, v70, v74
	v_mul_f32_e32 v74, v157, v109
	v_fma_f32 v73, v154, v106, -v73
	v_fmac_f32_e32 v188, v161, v112
	s_delay_alu instid0(VALU_DEP_4) | instskip(SKIP_3) | instid1(VALU_DEP_4)
	v_dual_add_f32 v69, v69, v181 :: v_dual_add_f32 v70, v70, v72
	v_mul_f32_e32 v72, v159, v111
	v_fma_f32 v74, v156, v108, -v74
	v_fmac_f32_e32 v191, v167, v118
	v_dual_add_f32 v69, v69, v182 :: v_dual_add_f32 v70, v70, v73
	v_mul_f32_e32 v73, v161, v113
	v_fma_f32 v72, v158, v110, -v72
	s_delay_alu instid0(VALU_DEP_3) | instskip(SKIP_1) | instid1(VALU_DEP_4)
	v_dual_add_f32 v69, v69, v183 :: v_dual_add_f32 v70, v70, v74
	v_mul_f32_e32 v74, v163, v115
	v_fma_f32 v73, v160, v112, -v73
	s_delay_alu instid0(VALU_DEP_3) | instskip(NEXT) | instid1(VALU_DEP_4)
	v_add_f32_e32 v69, v69, v184
	v_add_f32_e32 v70, v70, v72
	v_mul_f32_e32 v72, v165, v117
	v_fma_f32 v74, v162, v114, -v74
	s_delay_alu instid0(VALU_DEP_4) | instskip(NEXT) | instid1(VALU_DEP_4)
	v_add_f32_e32 v69, v69, v185
	v_dual_add_f32 v70, v70, v73 :: v_dual_mul_f32 v73, v167, v119
	s_delay_alu instid0(VALU_DEP_4) | instskip(NEXT) | instid1(VALU_DEP_3)
	v_fma_f32 v72, v164, v116, -v72
	v_add_f32_e32 v69, v69, v186
	s_delay_alu instid0(VALU_DEP_3) | instskip(NEXT) | instid1(VALU_DEP_4)
	v_add_f32_e32 v70, v70, v74
	v_fma_f32 v73, v166, v118, -v73
	s_delay_alu instid0(VALU_DEP_2) | instskip(NEXT) | instid1(VALU_DEP_1)
	v_dual_add_f32 v69, v69, v187 :: v_dual_add_f32 v70, v70, v72
	v_dual_add_f32 v69, v69, v188 :: v_dual_add_f32 v70, v70, v73
	v_fmac_f32_e32 v190, v165, v116
	s_delay_alu instid0(VALU_DEP_2) | instskip(NEXT) | instid1(VALU_DEP_1)
	v_add_f32_e32 v69, v69, v189
	v_add_f32_e32 v69, v69, v190
	s_wait_loadcnt 0x0
	s_delay_alu instid0(VALU_DEP_1) | instskip(NEXT) | instid1(VALU_DEP_1)
	v_dual_add_f32 v72, v69, v191 :: v_dual_sub_f32 v69, v168, v70
	v_sub_f32_e32 v70, v169, v72
	scratch_store_b64 off, v[69:70], off offset:72
	v_cmpx_lt_u32_e32 8, v0
	s_cbranch_execz .LBB97_201
; %bb.200:
	scratch_load_b64 v[69:70], off, off offset:64
	v_mov_b32_e32 v72, 0
	s_delay_alu instid0(VALU_DEP_1)
	v_mov_b32_e32 v73, v72
	scratch_store_b64 off, v[72:73], off offset:64
	s_wait_loadcnt 0x0
	ds_store_b64 v71, v[69:70]
.LBB97_201:
	s_wait_alu 0xfffe
	s_or_b32 exec_lo, exec_lo, s0
	s_wait_storecnt_dscnt 0x0
	s_barrier_signal -1
	s_barrier_wait -1
	global_inv scope:SCOPE_SE
	s_clause 0xd
	scratch_load_b128 v[72:75], off, off offset:72
	scratch_load_b128 v[76:79], off, off offset:88
	;; [unrolled: 1-line block ×12, first 2 shown]
	scratch_load_b64 v[168:169], off, off offset:264
	scratch_load_b64 v[170:171], off, off offset:64
	v_mov_b32_e32 v69, 0
	ds_load_2addr_b64 v[120:123], v69 offset0:43 offset1:44
	ds_load_2addr_b64 v[124:127], v69 offset0:45 offset1:46
	;; [unrolled: 1-line block ×12, first 2 shown]
	ds_load_b64 v[172:173], v69 offset:536
	s_mov_b32 s0, exec_lo
	s_wait_loadcnt_dscnt 0xd0c
	v_mul_f32_e32 v70, v120, v73
	s_wait_loadcnt_dscnt 0xc0b
	v_dual_mul_f32 v174, v122, v75 :: v_dual_mul_f32 v175, v124, v77
	v_mul_f32_e32 v75, v123, v75
	s_wait_loadcnt_dscnt 0xb0a
	v_dual_mul_f32 v176, v126, v79 :: v_dual_mul_f32 v177, v128, v81
	s_wait_loadcnt_dscnt 0xa09
	v_dual_mul_f32 v73, v121, v73 :: v_dual_mul_f32 v180, v134, v87
	s_wait_loadcnt_dscnt 0x908
	v_dual_mul_f32 v181, v136, v89 :: v_dual_fmac_f32 v70, v121, v72
	s_wait_loadcnt_dscnt 0x302
	v_mul_f32_e32 v194, v162, v115
	v_fma_f32 v73, v120, v72, -v73
	s_wait_loadcnt_dscnt 0x100
	v_mul_f32_e32 v197, v172, v169
	v_mul_f32_e32 v72, v125, v77
	v_fmac_f32_e32 v174, v123, v74
	v_fma_f32 v74, v122, v74, -v75
	v_dual_add_f32 v73, 0, v73 :: v_dual_add_f32 v70, 0, v70
	v_mul_f32_e32 v75, v127, v79
	v_fmac_f32_e32 v175, v125, v76
	v_fma_f32 v72, v124, v76, -v72
	v_dual_mul_f32 v182, v138, v91 :: v_dual_mul_f32 v183, v140, v93
	v_add_f32_e32 v70, v70, v174
	v_add_f32_e32 v73, v73, v74
	v_mul_f32_e32 v74, v129, v81
	v_fma_f32 v75, v126, v78, -v75
	v_dual_mul_f32 v184, v142, v95 :: v_dual_mul_f32 v185, v144, v97
	v_add_f32_e32 v70, v70, v175
	v_dual_add_f32 v72, v73, v72 :: v_dual_mul_f32 v73, v131, v83
	v_fma_f32 v74, v128, v80, -v74
	v_dual_fmac_f32 v176, v127, v78 :: v_dual_fmac_f32 v177, v129, v80
	s_delay_alu instid0(VALU_DEP_3) | instskip(NEXT) | instid1(VALU_DEP_4)
	v_dual_add_f32 v72, v72, v75 :: v_dual_mul_f32 v75, v133, v85
	v_fma_f32 v73, v130, v82, -v73
	v_dual_fmac_f32 v181, v137, v88 :: v_dual_mul_f32 v186, v146, v99
	v_mul_f32_e32 v187, v148, v101
	s_delay_alu instid0(VALU_DEP_4) | instskip(SKIP_3) | instid1(VALU_DEP_4)
	v_add_f32_e32 v72, v72, v74
	v_dual_mul_f32 v74, v135, v87 :: v_dual_fmac_f32 v183, v141, v92
	v_fma_f32 v75, v132, v84, -v75
	v_add_f32_e32 v70, v70, v176
	v_dual_add_f32 v72, v72, v73 :: v_dual_fmac_f32 v185, v145, v96
	v_mul_f32_e32 v73, v137, v89
	v_fma_f32 v74, v134, v86, -v74
	s_delay_alu instid0(VALU_DEP_3) | instskip(SKIP_1) | instid1(VALU_DEP_4)
	v_dual_fmac_f32 v187, v149, v100 :: v_dual_add_f32 v72, v72, v75
	v_mul_f32_e32 v75, v139, v91
	v_fma_f32 v73, v136, v88, -v73
	v_dual_mul_f32 v178, v130, v83 :: v_dual_mul_f32 v179, v132, v85
	s_delay_alu instid0(VALU_DEP_4) | instskip(SKIP_3) | instid1(VALU_DEP_4)
	v_add_f32_e32 v72, v72, v74
	v_dual_mul_f32 v190, v154, v107 :: v_dual_mul_f32 v191, v156, v109
	v_mul_f32_e32 v74, v141, v93
	v_fma_f32 v75, v138, v90, -v75
	v_add_f32_e32 v72, v72, v73
	v_dual_fmac_f32 v178, v131, v82 :: v_dual_fmac_f32 v179, v133, v84
	v_dual_add_f32 v70, v70, v177 :: v_dual_mul_f32 v73, v143, v95
	v_fma_f32 v74, v140, v92, -v74
	s_delay_alu instid0(VALU_DEP_4) | instskip(NEXT) | instid1(VALU_DEP_3)
	v_dual_fmac_f32 v191, v157, v108 :: v_dual_add_f32 v72, v72, v75
	v_dual_add_f32 v70, v70, v178 :: v_dual_mul_f32 v75, v145, v97
	s_delay_alu instid0(VALU_DEP_4) | instskip(SKIP_1) | instid1(VALU_DEP_4)
	v_fma_f32 v73, v142, v94, -v73
	v_fmac_f32_e32 v180, v135, v86
	v_add_f32_e32 v72, v72, v74
	v_mul_f32_e32 v74, v147, v99
	v_fma_f32 v75, v144, v96, -v75
	v_dual_mul_f32 v188, v150, v103 :: v_dual_mul_f32 v189, v152, v105
	s_delay_alu instid0(VALU_DEP_4) | instskip(SKIP_2) | instid1(VALU_DEP_4)
	v_add_f32_e32 v72, v72, v73
	v_mul_f32_e32 v73, v149, v101
	v_fma_f32 v74, v146, v98, -v74
	v_dual_add_f32 v70, v70, v179 :: v_dual_fmac_f32 v189, v153, v104
	s_delay_alu instid0(VALU_DEP_4) | instskip(SKIP_2) | instid1(VALU_DEP_4)
	v_add_f32_e32 v72, v72, v75
	v_mul_f32_e32 v75, v151, v103
	v_fma_f32 v73, v148, v100, -v73
	v_add_f32_e32 v70, v70, v180
	v_fmac_f32_e32 v182, v139, v90
	v_add_f32_e32 v72, v72, v74
	v_mul_f32_e32 v74, v153, v105
	v_fma_f32 v75, v150, v102, -v75
	v_dual_mul_f32 v192, v158, v111 :: v_dual_mul_f32 v193, v160, v113
	s_delay_alu instid0(VALU_DEP_4) | instskip(NEXT) | instid1(VALU_DEP_4)
	v_dual_add_f32 v72, v72, v73 :: v_dual_mul_f32 v73, v155, v107
	v_fma_f32 v74, v152, v104, -v74
	s_delay_alu instid0(VALU_DEP_3) | instskip(NEXT) | instid1(VALU_DEP_3)
	v_dual_add_f32 v70, v70, v181 :: v_dual_fmac_f32 v193, v161, v112
	v_dual_add_f32 v72, v72, v75 :: v_dual_mul_f32 v75, v157, v109
	s_delay_alu instid0(VALU_DEP_4) | instskip(NEXT) | instid1(VALU_DEP_3)
	v_fma_f32 v73, v154, v106, -v73
	v_dual_add_f32 v70, v70, v182 :: v_dual_mul_f32 v195, v164, v117
	v_mul_f32_e32 v196, v166, v119
	s_delay_alu instid0(VALU_DEP_4) | instskip(SKIP_3) | instid1(VALU_DEP_4)
	v_add_f32_e32 v72, v72, v74
	v_mul_f32_e32 v74, v159, v111
	v_fma_f32 v75, v156, v108, -v75
	v_dual_fmac_f32 v184, v143, v94 :: v_dual_fmac_f32 v195, v165, v116
	v_add_f32_e32 v72, v72, v73
	v_mul_f32_e32 v73, v161, v113
	v_fma_f32 v74, v158, v110, -v74
	v_fmac_f32_e32 v186, v147, v98
	v_fmac_f32_e32 v188, v151, v102
	v_add_f32_e32 v72, v72, v75
	v_fma_f32 v73, v160, v112, -v73
	v_dual_fmac_f32 v197, v173, v168 :: v_dual_fmac_f32 v190, v155, v106
	v_fmac_f32_e32 v192, v159, v110
	s_delay_alu instid0(VALU_DEP_4) | instskip(SKIP_3) | instid1(VALU_DEP_4)
	v_dual_add_f32 v72, v72, v74 :: v_dual_mul_f32 v75, v163, v115
	v_mul_f32_e32 v74, v165, v117
	v_fmac_f32_e32 v194, v163, v114
	v_fmac_f32_e32 v196, v167, v118
	v_dual_add_f32 v72, v72, v73 :: v_dual_mul_f32 v73, v167, v119
	v_add_f32_e32 v70, v70, v183
	v_fma_f32 v75, v162, v114, -v75
	v_fma_f32 v74, v164, v116, -v74
	s_delay_alu instid0(VALU_DEP_4) | instskip(NEXT) | instid1(VALU_DEP_4)
	v_fma_f32 v73, v166, v118, -v73
	v_add_f32_e32 v70, v70, v184
	s_delay_alu instid0(VALU_DEP_4) | instskip(NEXT) | instid1(VALU_DEP_2)
	v_dual_add_f32 v72, v72, v75 :: v_dual_mul_f32 v75, v173, v169
	v_add_f32_e32 v70, v70, v185
	s_delay_alu instid0(VALU_DEP_2) | instskip(NEXT) | instid1(VALU_DEP_3)
	v_add_f32_e32 v72, v72, v74
	v_fma_f32 v74, v172, v168, -v75
	s_delay_alu instid0(VALU_DEP_3) | instskip(NEXT) | instid1(VALU_DEP_3)
	v_add_f32_e32 v70, v70, v186
	v_add_f32_e32 v72, v72, v73
	s_delay_alu instid0(VALU_DEP_2) | instskip(NEXT) | instid1(VALU_DEP_2)
	v_add_f32_e32 v70, v70, v187
	v_add_f32_e32 v72, v72, v74
	s_delay_alu instid0(VALU_DEP_2) | instskip(SKIP_1) | instid1(VALU_DEP_2)
	v_add_f32_e32 v70, v70, v188
	s_wait_loadcnt 0x0
	v_sub_f32_e32 v72, v170, v72
	s_delay_alu instid0(VALU_DEP_2) | instskip(NEXT) | instid1(VALU_DEP_1)
	v_add_f32_e32 v70, v70, v189
	v_add_f32_e32 v70, v70, v190
	s_delay_alu instid0(VALU_DEP_1) | instskip(NEXT) | instid1(VALU_DEP_1)
	v_add_f32_e32 v70, v70, v191
	v_add_f32_e32 v70, v70, v192
	s_delay_alu instid0(VALU_DEP_1) | instskip(NEXT) | instid1(VALU_DEP_1)
	;; [unrolled: 3-line block ×4, first 2 shown]
	v_add_f32_e32 v70, v70, v197
	v_sub_f32_e32 v73, v171, v70
	scratch_store_b64 off, v[72:73], off offset:64
	v_cmpx_lt_u32_e32 7, v0
	s_cbranch_execz .LBB97_203
; %bb.202:
	scratch_load_b64 v[72:73], off, off offset:56
	v_mov_b32_e32 v70, v69
	scratch_store_b64 off, v[69:70], off offset:56
	s_wait_loadcnt 0x0
	ds_store_b64 v71, v[72:73]
.LBB97_203:
	s_wait_alu 0xfffe
	s_or_b32 exec_lo, exec_lo, s0
	s_wait_storecnt_dscnt 0x0
	s_barrier_signal -1
	s_barrier_wait -1
	global_inv scope:SCOPE_SE
	s_clause 0xd
	scratch_load_b128 v[72:75], off, off offset:64
	scratch_load_b128 v[76:79], off, off offset:80
	;; [unrolled: 1-line block ×13, first 2 shown]
	scratch_load_b64 v[176:177], off, off offset:56
	ds_load_b128 v[124:127], v69 offset:336
	ds_load_b128 v[128:131], v69 offset:352
	;; [unrolled: 1-line block ×13, first 2 shown]
	s_mov_b32 s0, exec_lo
	s_wait_loadcnt_dscnt 0xd0c
	v_dual_mul_f32 v69, v124, v73 :: v_dual_mul_f32 v70, v126, v75
	v_mul_f32_e32 v73, v125, v73
	s_wait_loadcnt_dscnt 0xc0b
	v_dual_mul_f32 v75, v127, v75 :: v_dual_mul_f32 v178, v128, v77
	s_delay_alu instid0(VALU_DEP_3) | instskip(NEXT) | instid1(VALU_DEP_3)
	v_dual_mul_f32 v179, v130, v79 :: v_dual_fmac_f32 v70, v127, v74
	v_fma_f32 v73, v124, v72, -v73
	v_fmac_f32_e32 v69, v125, v72
	v_mul_f32_e32 v72, v129, v77
	v_fma_f32 v74, v126, v74, -v75
	v_mul_f32_e32 v75, v131, v79
	v_dual_add_f32 v73, 0, v73 :: v_dual_fmac_f32 v178, v129, v76
	s_delay_alu instid0(VALU_DEP_4) | instskip(SKIP_2) | instid1(VALU_DEP_3)
	v_fma_f32 v72, v128, v76, -v72
	s_wait_loadcnt_dscnt 0xb0a
	v_dual_mul_f32 v180, v132, v81 :: v_dual_mul_f32 v181, v134, v83
	v_add_f32_e32 v73, v73, v74
	v_fmac_f32_e32 v179, v131, v78
	v_fma_f32 v74, v130, v78, -v75
	s_wait_loadcnt_dscnt 0xa09
	v_dual_mul_f32 v182, v136, v85 :: v_dual_mul_f32 v183, v138, v87
	v_dual_add_f32 v72, v73, v72 :: v_dual_mul_f32 v73, v135, v83
	v_fmac_f32_e32 v180, v133, v80
	s_wait_loadcnt_dscnt 0x908
	v_dual_mul_f32 v184, v140, v89 :: v_dual_mul_f32 v185, v142, v91
	s_delay_alu instid0(VALU_DEP_3) | instskip(SKIP_3) | instid1(VALU_DEP_4)
	v_dual_add_f32 v72, v72, v74 :: v_dual_add_f32 v69, 0, v69
	v_mul_f32_e32 v74, v137, v85
	v_fma_f32 v73, v134, v82, -v73
	v_dual_fmac_f32 v181, v135, v82 :: v_dual_fmac_f32 v182, v137, v84
	v_add_f32_e32 v69, v69, v70
	v_mul_f32_e32 v70, v133, v81
	v_fma_f32 v74, v136, v84, -v74
	v_dual_fmac_f32 v183, v139, v86 :: v_dual_fmac_f32 v184, v141, v88
	s_wait_loadcnt_dscnt 0x807
	v_dual_mul_f32 v186, v144, v93 :: v_dual_mul_f32 v187, v146, v95
	v_fma_f32 v70, v132, v80, -v70
	s_wait_loadcnt_dscnt 0x706
	v_dual_mul_f32 v188, v148, v97 :: v_dual_mul_f32 v189, v150, v99
	s_wait_loadcnt_dscnt 0x605
	v_dual_mul_f32 v190, v152, v101 :: v_dual_mul_f32 v191, v154, v103
	v_add_f32_e32 v70, v72, v70
	v_mul_f32_e32 v72, v139, v87
	v_dual_fmac_f32 v188, v149, v96 :: v_dual_fmac_f32 v189, v151, v98
	s_delay_alu instid0(VALU_DEP_4) | instskip(NEXT) | instid1(VALU_DEP_4)
	v_dual_fmac_f32 v190, v153, v100 :: v_dual_fmac_f32 v191, v155, v102
	v_dual_add_f32 v70, v70, v73 :: v_dual_add_f32 v69, v69, v178
	v_mul_f32_e32 v73, v141, v89
	v_fma_f32 v72, v138, v86, -v72
	v_fmac_f32_e32 v185, v143, v90
	s_delay_alu instid0(VALU_DEP_4)
	v_add_f32_e32 v70, v70, v74
	v_mul_f32_e32 v74, v143, v91
	v_add_f32_e32 v69, v69, v179
	v_fma_f32 v73, v140, v88, -v73
	v_fmac_f32_e32 v186, v145, v92
	v_add_f32_e32 v70, v70, v72
	v_mul_f32_e32 v72, v145, v93
	v_add_f32_e32 v69, v69, v180
	v_fma_f32 v74, v142, v90, -v74
	s_delay_alu instid0(VALU_DEP_4) | instskip(SKIP_1) | instid1(VALU_DEP_4)
	v_dual_fmac_f32 v187, v147, v94 :: v_dual_add_f32 v70, v70, v73
	v_mul_f32_e32 v73, v147, v95
	v_add_f32_e32 v69, v69, v181
	v_fma_f32 v72, v144, v92, -v72
	s_wait_loadcnt_dscnt 0x504
	v_dual_mul_f32 v192, v156, v105 :: v_dual_mul_f32 v193, v158, v107
	v_add_f32_e32 v70, v70, v74
	v_add_f32_e32 v69, v69, v182
	v_fma_f32 v73, v146, v94, -v73
	v_mul_f32_e32 v74, v149, v97
	v_dual_fmac_f32 v192, v157, v104 :: v_dual_fmac_f32 v193, v159, v106
	s_delay_alu instid0(VALU_DEP_4) | instskip(SKIP_1) | instid1(VALU_DEP_4)
	v_dual_add_f32 v70, v70, v72 :: v_dual_add_f32 v69, v69, v183
	v_mul_f32_e32 v72, v151, v99
	v_fma_f32 v74, v148, v96, -v74
	s_wait_loadcnt_dscnt 0x403
	v_dual_mul_f32 v194, v160, v109 :: v_dual_mul_f32 v195, v162, v111
	v_dual_add_f32 v70, v70, v73 :: v_dual_add_f32 v69, v69, v184
	v_mul_f32_e32 v73, v153, v101
	v_fma_f32 v72, v150, v98, -v72
	s_wait_loadcnt_dscnt 0x302
	v_dual_mul_f32 v196, v164, v113 :: v_dual_mul_f32 v197, v166, v115
	v_dual_add_f32 v69, v69, v185 :: v_dual_add_f32 v70, v70, v74
	v_mul_f32_e32 v74, v155, v103
	v_fma_f32 v73, v152, v100, -v73
	s_delay_alu instid0(VALU_DEP_4) | instskip(NEXT) | instid1(VALU_DEP_4)
	v_dual_fmac_f32 v194, v161, v108 :: v_dual_fmac_f32 v197, v167, v114
	v_dual_add_f32 v69, v69, v186 :: v_dual_add_f32 v70, v70, v72
	v_mul_f32_e32 v72, v157, v105
	v_fma_f32 v74, v154, v102, -v74
	v_fmac_f32_e32 v195, v163, v110
	s_delay_alu instid0(VALU_DEP_4) | instskip(SKIP_3) | instid1(VALU_DEP_4)
	v_dual_add_f32 v69, v69, v187 :: v_dual_add_f32 v70, v70, v73
	v_mul_f32_e32 v73, v159, v107
	v_fma_f32 v72, v156, v104, -v72
	v_fmac_f32_e32 v196, v165, v112
	v_dual_add_f32 v69, v69, v188 :: v_dual_add_f32 v70, v70, v74
	s_delay_alu instid0(VALU_DEP_4)
	v_fma_f32 v73, v158, v106, -v73
	v_mul_f32_e32 v74, v161, v109
	s_wait_loadcnt_dscnt 0x201
	v_dual_mul_f32 v198, v168, v117 :: v_dual_mul_f32 v199, v170, v119
	v_dual_add_f32 v69, v69, v189 :: v_dual_add_f32 v70, v70, v72
	v_mul_f32_e32 v72, v163, v111
	v_fma_f32 v74, v160, v108, -v74
	s_wait_loadcnt_dscnt 0x100
	v_dual_mul_f32 v200, v172, v121 :: v_dual_mul_f32 v201, v174, v123
	v_dual_add_f32 v69, v69, v190 :: v_dual_add_f32 v70, v70, v73
	v_mul_f32_e32 v73, v165, v113
	v_fma_f32 v72, v162, v110, -v72
	s_delay_alu instid0(VALU_DEP_4) | instskip(NEXT) | instid1(VALU_DEP_4)
	v_dual_fmac_f32 v198, v169, v116 :: v_dual_fmac_f32 v201, v175, v122
	v_dual_add_f32 v69, v69, v191 :: v_dual_add_f32 v70, v70, v74
	v_mul_f32_e32 v74, v167, v115
	v_fma_f32 v73, v164, v112, -v73
	v_fmac_f32_e32 v199, v171, v118
	s_delay_alu instid0(VALU_DEP_4)
	v_add_f32_e32 v69, v69, v192
	v_add_f32_e32 v70, v70, v72
	v_mul_f32_e32 v72, v169, v117
	v_fma_f32 v74, v166, v114, -v74
	v_fmac_f32_e32 v200, v173, v120
	v_add_f32_e32 v69, v69, v193
	v_dual_add_f32 v70, v70, v73 :: v_dual_mul_f32 v73, v171, v119
	v_fma_f32 v72, v168, v116, -v72
	s_delay_alu instid0(VALU_DEP_3) | instskip(NEXT) | instid1(VALU_DEP_3)
	v_add_f32_e32 v69, v69, v194
	v_add_f32_e32 v70, v70, v74
	v_mul_f32_e32 v74, v173, v121
	v_fma_f32 v73, v170, v118, -v73
	s_delay_alu instid0(VALU_DEP_3) | instskip(SKIP_1) | instid1(VALU_DEP_4)
	v_dual_add_f32 v69, v69, v195 :: v_dual_add_f32 v70, v70, v72
	v_mul_f32_e32 v72, v175, v123
	v_fma_f32 v74, v172, v120, -v74
	s_delay_alu instid0(VALU_DEP_3) | instskip(NEXT) | instid1(VALU_DEP_3)
	v_add_f32_e32 v69, v69, v196
	v_fma_f32 v72, v174, v122, -v72
	s_delay_alu instid0(VALU_DEP_2) | instskip(NEXT) | instid1(VALU_DEP_1)
	v_add_f32_e32 v69, v69, v197
	v_dual_add_f32 v69, v69, v198 :: v_dual_add_f32 v70, v70, v73
	s_delay_alu instid0(VALU_DEP_1) | instskip(NEXT) | instid1(VALU_DEP_1)
	v_dual_add_f32 v69, v69, v199 :: v_dual_add_f32 v70, v70, v74
	v_add_f32_e32 v69, v69, v200
	s_delay_alu instid0(VALU_DEP_2) | instskip(SKIP_1) | instid1(VALU_DEP_1)
	v_add_f32_e32 v70, v70, v72
	s_wait_loadcnt 0x0
	v_dual_add_f32 v72, v69, v201 :: v_dual_sub_f32 v69, v176, v70
	s_delay_alu instid0(VALU_DEP_1)
	v_sub_f32_e32 v70, v177, v72
	scratch_store_b64 off, v[69:70], off offset:56
	v_cmpx_lt_u32_e32 6, v0
	s_cbranch_execz .LBB97_205
; %bb.204:
	scratch_load_b64 v[69:70], off, off offset:48
	v_mov_b32_e32 v72, 0
	s_delay_alu instid0(VALU_DEP_1)
	v_mov_b32_e32 v73, v72
	scratch_store_b64 off, v[72:73], off offset:48
	s_wait_loadcnt 0x0
	ds_store_b64 v71, v[69:70]
.LBB97_205:
	s_wait_alu 0xfffe
	s_or_b32 exec_lo, exec_lo, s0
	s_wait_storecnt_dscnt 0x0
	s_barrier_signal -1
	s_barrier_wait -1
	global_inv scope:SCOPE_SE
	s_clause 0xe
	scratch_load_b128 v[72:75], off, off offset:56
	scratch_load_b128 v[76:79], off, off offset:72
	;; [unrolled: 1-line block ×13, first 2 shown]
	scratch_load_b64 v[176:177], off, off offset:264
	scratch_load_b64 v[178:179], off, off offset:48
	v_mov_b32_e32 v69, 0
	ds_load_2addr_b64 v[124:127], v69 offset0:41 offset1:42
	ds_load_2addr_b64 v[128:131], v69 offset0:43 offset1:44
	;; [unrolled: 1-line block ×13, first 2 shown]
	ds_load_b64 v[180:181], v69 offset:536
	s_mov_b32 s0, exec_lo
	s_wait_loadcnt_dscnt 0xe0d
	v_mul_f32_e32 v70, v124, v73
	s_wait_loadcnt_dscnt 0xd0c
	v_dual_mul_f32 v182, v126, v75 :: v_dual_mul_f32 v183, v128, v77
	v_mul_f32_e32 v75, v127, v75
	s_wait_loadcnt_dscnt 0xc0b
	v_dual_mul_f32 v184, v130, v79 :: v_dual_mul_f32 v185, v132, v81
	s_wait_loadcnt_dscnt 0xa09
	v_dual_mul_f32 v188, v138, v87 :: v_dual_mul_f32 v189, v140, v89
	v_mul_f32_e32 v73, v125, v73
	v_fmac_f32_e32 v70, v125, v72
	s_wait_loadcnt_dscnt 0x908
	v_dual_mul_f32 v190, v142, v91 :: v_dual_mul_f32 v191, v144, v93
	s_wait_loadcnt_dscnt 0x100
	v_dual_mul_f32 v204, v170, v119 :: v_dual_mul_f32 v207, v180, v177
	v_fma_f32 v73, v124, v72, -v73
	v_mul_f32_e32 v72, v129, v77
	v_fmac_f32_e32 v182, v127, v74
	v_fma_f32 v74, v126, v74, -v75
	v_dual_add_f32 v70, 0, v70 :: v_dual_mul_f32 v75, v131, v79
	v_add_f32_e32 v73, 0, v73
	v_fmac_f32_e32 v183, v129, v76
	v_fma_f32 v72, v128, v76, -v72
	s_delay_alu instid0(VALU_DEP_4)
	v_add_f32_e32 v70, v70, v182
	v_fma_f32 v75, v130, v78, -v75
	v_add_f32_e32 v73, v73, v74
	v_mul_f32_e32 v74, v133, v81
	v_dual_mul_f32 v192, v146, v95 :: v_dual_mul_f32 v193, v148, v97
	v_add_f32_e32 v70, v70, v183
	s_delay_alu instid0(VALU_DEP_4) | instskip(NEXT) | instid1(VALU_DEP_4)
	v_dual_add_f32 v72, v73, v72 :: v_dual_mul_f32 v73, v135, v83
	v_fma_f32 v74, v132, v80, -v74
	v_dual_fmac_f32 v184, v131, v78 :: v_dual_fmac_f32 v185, v133, v80
	s_delay_alu instid0(VALU_DEP_3) | instskip(NEXT) | instid1(VALU_DEP_4)
	v_dual_add_f32 v72, v72, v75 :: v_dual_mul_f32 v75, v137, v85
	v_fma_f32 v73, v134, v82, -v73
	v_dual_fmac_f32 v189, v141, v88 :: v_dual_mul_f32 v194, v150, v99
	v_mul_f32_e32 v195, v152, v101
	s_delay_alu instid0(VALU_DEP_4) | instskip(SKIP_3) | instid1(VALU_DEP_4)
	v_add_f32_e32 v72, v72, v74
	v_dual_mul_f32 v74, v139, v87 :: v_dual_fmac_f32 v191, v145, v92
	v_fma_f32 v75, v136, v84, -v75
	v_add_f32_e32 v70, v70, v184
	v_dual_add_f32 v72, v72, v73 :: v_dual_fmac_f32 v193, v149, v96
	v_mul_f32_e32 v73, v141, v89
	v_fma_f32 v74, v138, v86, -v74
	s_delay_alu instid0(VALU_DEP_3) | instskip(SKIP_1) | instid1(VALU_DEP_4)
	v_dual_fmac_f32 v195, v153, v100 :: v_dual_add_f32 v72, v72, v75
	v_mul_f32_e32 v75, v143, v91
	v_fma_f32 v73, v140, v88, -v73
	v_dual_mul_f32 v186, v134, v83 :: v_dual_mul_f32 v187, v136, v85
	s_delay_alu instid0(VALU_DEP_4) | instskip(SKIP_3) | instid1(VALU_DEP_4)
	v_add_f32_e32 v72, v72, v74
	v_dual_mul_f32 v198, v158, v107 :: v_dual_mul_f32 v199, v160, v109
	v_mul_f32_e32 v74, v145, v93
	v_fma_f32 v75, v142, v90, -v75
	v_add_f32_e32 v72, v72, v73
	v_dual_fmac_f32 v186, v135, v82 :: v_dual_fmac_f32 v187, v137, v84
	v_dual_add_f32 v70, v70, v185 :: v_dual_mul_f32 v73, v147, v95
	v_fma_f32 v74, v144, v92, -v74
	s_delay_alu instid0(VALU_DEP_4) | instskip(NEXT) | instid1(VALU_DEP_3)
	v_dual_fmac_f32 v199, v161, v108 :: v_dual_add_f32 v72, v72, v75
	v_dual_add_f32 v70, v70, v186 :: v_dual_mul_f32 v75, v149, v97
	s_delay_alu instid0(VALU_DEP_4) | instskip(SKIP_1) | instid1(VALU_DEP_4)
	v_fma_f32 v73, v146, v94, -v73
	v_fmac_f32_e32 v188, v139, v86
	v_add_f32_e32 v72, v72, v74
	v_mul_f32_e32 v74, v151, v99
	v_fma_f32 v75, v148, v96, -v75
	v_dual_fmac_f32 v207, v181, v176 :: v_dual_mul_f32 v196, v154, v103
	v_mul_f32_e32 v197, v156, v105
	v_add_f32_e32 v72, v72, v73
	v_mul_f32_e32 v73, v153, v101
	v_fma_f32 v74, v150, v98, -v74
	s_delay_alu instid0(VALU_DEP_4) | instskip(NEXT) | instid1(VALU_DEP_4)
	v_dual_add_f32 v70, v70, v187 :: v_dual_fmac_f32 v197, v157, v104
	v_add_f32_e32 v72, v72, v75
	v_mul_f32_e32 v75, v155, v103
	v_fma_f32 v73, v152, v100, -v73
	s_delay_alu instid0(VALU_DEP_4)
	v_add_f32_e32 v70, v70, v188
	v_fmac_f32_e32 v190, v143, v90
	v_add_f32_e32 v72, v72, v74
	v_mul_f32_e32 v74, v157, v105
	v_fma_f32 v75, v154, v102, -v75
	v_dual_mul_f32 v200, v162, v111 :: v_dual_mul_f32 v201, v164, v113
	s_delay_alu instid0(VALU_DEP_4) | instskip(NEXT) | instid1(VALU_DEP_4)
	v_dual_add_f32 v72, v72, v73 :: v_dual_mul_f32 v73, v159, v107
	v_fma_f32 v74, v156, v104, -v74
	s_delay_alu instid0(VALU_DEP_3) | instskip(NEXT) | instid1(VALU_DEP_3)
	v_dual_add_f32 v70, v70, v189 :: v_dual_fmac_f32 v201, v165, v112
	v_dual_add_f32 v72, v72, v75 :: v_dual_mul_f32 v75, v161, v109
	s_delay_alu instid0(VALU_DEP_4) | instskip(NEXT) | instid1(VALU_DEP_3)
	v_fma_f32 v73, v158, v106, -v73
	v_add_f32_e32 v70, v70, v190
	v_dual_mul_f32 v202, v166, v115 :: v_dual_mul_f32 v203, v168, v117
	s_delay_alu instid0(VALU_DEP_4) | instskip(SKIP_3) | instid1(VALU_DEP_4)
	v_add_f32_e32 v72, v72, v74
	v_mul_f32_e32 v74, v163, v111
	v_fma_f32 v75, v160, v108, -v75
	v_dual_mul_f32 v205, v172, v121 :: v_dual_mul_f32 v206, v174, v123
	v_add_f32_e32 v72, v72, v73
	v_mul_f32_e32 v73, v165, v113
	v_fma_f32 v74, v162, v110, -v74
	v_dual_fmac_f32 v192, v147, v94 :: v_dual_fmac_f32 v203, v169, v116
	s_delay_alu instid0(VALU_DEP_4) | instskip(NEXT) | instid1(VALU_DEP_4)
	v_add_f32_e32 v72, v72, v75
	v_fma_f32 v73, v164, v112, -v73
	v_dual_fmac_f32 v205, v173, v120 :: v_dual_fmac_f32 v194, v151, v98
	v_fmac_f32_e32 v196, v155, v102
	s_delay_alu instid0(VALU_DEP_4) | instskip(SKIP_3) | instid1(VALU_DEP_4)
	v_add_f32_e32 v72, v72, v74
	v_fmac_f32_e32 v198, v159, v106
	v_fmac_f32_e32 v200, v163, v110
	v_dual_mul_f32 v75, v167, v115 :: v_dual_mul_f32 v74, v169, v117
	v_dual_add_f32 v72, v72, v73 :: v_dual_mul_f32 v73, v171, v119
	v_add_f32_e32 v70, v70, v191
	v_fmac_f32_e32 v202, v167, v114
	s_delay_alu instid0(VALU_DEP_4)
	v_fma_f32 v75, v166, v114, -v75
	v_fma_f32 v74, v168, v116, -v74
	v_fmac_f32_e32 v204, v171, v118
	v_add_f32_e32 v70, v70, v192
	v_fma_f32 v73, v170, v118, -v73
	v_dual_add_f32 v72, v72, v75 :: v_dual_mul_f32 v75, v173, v121
	v_fmac_f32_e32 v206, v175, v122
	s_delay_alu instid0(VALU_DEP_4) | instskip(NEXT) | instid1(VALU_DEP_3)
	v_add_f32_e32 v70, v70, v193
	v_add_f32_e32 v72, v72, v74
	v_mul_f32_e32 v74, v175, v123
	v_fma_f32 v75, v172, v120, -v75
	s_delay_alu instid0(VALU_DEP_4) | instskip(NEXT) | instid1(VALU_DEP_4)
	v_add_f32_e32 v70, v70, v194
	v_add_f32_e32 v72, v72, v73
	v_mul_f32_e32 v73, v181, v177
	v_fma_f32 v74, v174, v122, -v74
	s_delay_alu instid0(VALU_DEP_4) | instskip(NEXT) | instid1(VALU_DEP_4)
	v_add_f32_e32 v70, v70, v195
	v_add_f32_e32 v72, v72, v75
	s_delay_alu instid0(VALU_DEP_4) | instskip(NEXT) | instid1(VALU_DEP_3)
	v_fma_f32 v73, v180, v176, -v73
	v_add_f32_e32 v70, v70, v196
	s_delay_alu instid0(VALU_DEP_3) | instskip(NEXT) | instid1(VALU_DEP_2)
	v_add_f32_e32 v72, v72, v74
	v_add_f32_e32 v70, v70, v197
	s_delay_alu instid0(VALU_DEP_2) | instskip(NEXT) | instid1(VALU_DEP_2)
	v_add_f32_e32 v72, v72, v73
	v_add_f32_e32 v70, v70, v198
	s_wait_loadcnt 0x0
	s_delay_alu instid0(VALU_DEP_2) | instskip(NEXT) | instid1(VALU_DEP_2)
	v_sub_f32_e32 v72, v178, v72
	v_add_f32_e32 v70, v70, v199
	s_delay_alu instid0(VALU_DEP_1) | instskip(NEXT) | instid1(VALU_DEP_1)
	v_add_f32_e32 v70, v70, v200
	v_add_f32_e32 v70, v70, v201
	s_delay_alu instid0(VALU_DEP_1) | instskip(NEXT) | instid1(VALU_DEP_1)
	v_add_f32_e32 v70, v70, v202
	v_add_f32_e32 v70, v70, v203
	s_delay_alu instid0(VALU_DEP_1) | instskip(NEXT) | instid1(VALU_DEP_1)
	v_add_f32_e32 v70, v70, v204
	v_add_f32_e32 v70, v70, v205
	s_delay_alu instid0(VALU_DEP_1) | instskip(NEXT) | instid1(VALU_DEP_1)
	v_add_f32_e32 v70, v70, v206
	v_add_f32_e32 v70, v70, v207
	s_delay_alu instid0(VALU_DEP_1)
	v_sub_f32_e32 v73, v179, v70
	scratch_store_b64 off, v[72:73], off offset:48
	v_cmpx_lt_u32_e32 5, v0
	s_cbranch_execz .LBB97_207
; %bb.206:
	scratch_load_b64 v[72:73], off, off offset:40
	v_mov_b32_e32 v70, v69
	scratch_store_b64 off, v[69:70], off offset:40
	s_wait_loadcnt 0x0
	ds_store_b64 v71, v[72:73]
.LBB97_207:
	s_wait_alu 0xfffe
	s_or_b32 exec_lo, exec_lo, s0
	s_wait_storecnt_dscnt 0x0
	s_barrier_signal -1
	s_barrier_wait -1
	global_inv scope:SCOPE_SE
	s_clause 0xe
	scratch_load_b128 v[72:75], off, off offset:48
	scratch_load_b128 v[76:79], off, off offset:64
	;; [unrolled: 1-line block ×14, first 2 shown]
	scratch_load_b64 v[184:185], off, off offset:40
	ds_load_b128 v[128:131], v69 offset:320
	ds_load_b128 v[132:135], v69 offset:336
	;; [unrolled: 1-line block ×14, first 2 shown]
	s_mov_b32 s0, exec_lo
	s_wait_loadcnt_dscnt 0xe0d
	v_dual_mul_f32 v69, v128, v73 :: v_dual_mul_f32 v70, v130, v75
	v_mul_f32_e32 v73, v129, v73
	s_wait_loadcnt_dscnt 0xd0c
	v_dual_mul_f32 v75, v131, v75 :: v_dual_mul_f32 v186, v132, v77
	s_delay_alu instid0(VALU_DEP_3) | instskip(NEXT) | instid1(VALU_DEP_3)
	v_dual_mul_f32 v187, v134, v79 :: v_dual_fmac_f32 v70, v131, v74
	v_fma_f32 v73, v128, v72, -v73
	v_fmac_f32_e32 v69, v129, v72
	v_mul_f32_e32 v72, v133, v77
	v_fma_f32 v74, v130, v74, -v75
	v_mul_f32_e32 v75, v135, v79
	v_dual_add_f32 v73, 0, v73 :: v_dual_fmac_f32 v186, v133, v76
	s_delay_alu instid0(VALU_DEP_4) | instskip(SKIP_2) | instid1(VALU_DEP_3)
	v_fma_f32 v72, v132, v76, -v72
	s_wait_loadcnt_dscnt 0xc0b
	v_dual_mul_f32 v188, v136, v81 :: v_dual_mul_f32 v189, v138, v83
	v_add_f32_e32 v73, v73, v74
	v_fmac_f32_e32 v187, v135, v78
	v_fma_f32 v74, v134, v78, -v75
	s_wait_loadcnt_dscnt 0xb0a
	v_dual_mul_f32 v190, v140, v85 :: v_dual_mul_f32 v191, v142, v87
	v_dual_add_f32 v72, v73, v72 :: v_dual_mul_f32 v73, v139, v83
	v_fmac_f32_e32 v188, v137, v80
	s_wait_loadcnt_dscnt 0xa09
	v_dual_mul_f32 v192, v144, v89 :: v_dual_mul_f32 v193, v146, v91
	s_delay_alu instid0(VALU_DEP_3) | instskip(SKIP_3) | instid1(VALU_DEP_4)
	v_dual_add_f32 v72, v72, v74 :: v_dual_add_f32 v69, 0, v69
	v_mul_f32_e32 v74, v141, v85
	v_fma_f32 v73, v138, v82, -v73
	v_dual_fmac_f32 v189, v139, v82 :: v_dual_fmac_f32 v190, v141, v84
	v_add_f32_e32 v69, v69, v70
	v_mul_f32_e32 v70, v137, v81
	v_fma_f32 v74, v140, v84, -v74
	v_dual_fmac_f32 v191, v143, v86 :: v_dual_fmac_f32 v192, v145, v88
	s_wait_loadcnt_dscnt 0x908
	v_dual_mul_f32 v194, v148, v93 :: v_dual_mul_f32 v195, v150, v95
	v_fma_f32 v70, v136, v80, -v70
	s_wait_loadcnt_dscnt 0x807
	v_dual_mul_f32 v196, v152, v97 :: v_dual_mul_f32 v197, v154, v99
	s_wait_loadcnt_dscnt 0x706
	v_dual_mul_f32 v198, v156, v101 :: v_dual_mul_f32 v199, v158, v103
	v_add_f32_e32 v70, v72, v70
	v_mul_f32_e32 v72, v143, v87
	v_dual_fmac_f32 v196, v153, v96 :: v_dual_fmac_f32 v197, v155, v98
	s_delay_alu instid0(VALU_DEP_4) | instskip(NEXT) | instid1(VALU_DEP_4)
	v_dual_fmac_f32 v198, v157, v100 :: v_dual_fmac_f32 v199, v159, v102
	v_dual_add_f32 v70, v70, v73 :: v_dual_add_f32 v69, v69, v186
	v_mul_f32_e32 v73, v145, v89
	v_fma_f32 v72, v142, v86, -v72
	v_fmac_f32_e32 v193, v147, v90
	s_delay_alu instid0(VALU_DEP_4)
	v_add_f32_e32 v70, v70, v74
	v_mul_f32_e32 v74, v147, v91
	v_add_f32_e32 v69, v69, v187
	v_fma_f32 v73, v144, v88, -v73
	v_fmac_f32_e32 v194, v149, v92
	v_add_f32_e32 v70, v70, v72
	v_mul_f32_e32 v72, v149, v93
	v_add_f32_e32 v69, v69, v188
	v_fma_f32 v74, v146, v90, -v74
	s_delay_alu instid0(VALU_DEP_4) | instskip(SKIP_1) | instid1(VALU_DEP_4)
	v_dual_fmac_f32 v195, v151, v94 :: v_dual_add_f32 v70, v70, v73
	v_mul_f32_e32 v73, v151, v95
	v_add_f32_e32 v69, v69, v189
	v_fma_f32 v72, v148, v92, -v72
	s_wait_loadcnt_dscnt 0x605
	v_dual_mul_f32 v200, v160, v105 :: v_dual_mul_f32 v201, v162, v107
	v_add_f32_e32 v70, v70, v74
	v_add_f32_e32 v69, v69, v190
	v_fma_f32 v73, v150, v94, -v73
	v_mul_f32_e32 v74, v153, v97
	s_wait_loadcnt_dscnt 0x504
	v_dual_mul_f32 v202, v164, v109 :: v_dual_mul_f32 v203, v166, v111
	v_dual_add_f32 v70, v70, v72 :: v_dual_add_f32 v69, v69, v191
	v_mul_f32_e32 v72, v155, v99
	v_fma_f32 v74, v152, v96, -v74
	v_dual_fmac_f32 v200, v161, v104 :: v_dual_fmac_f32 v201, v163, v106
	s_delay_alu instid0(VALU_DEP_4)
	v_dual_add_f32 v70, v70, v73 :: v_dual_add_f32 v69, v69, v192
	v_mul_f32_e32 v73, v157, v101
	v_fma_f32 v72, v154, v98, -v72
	s_wait_loadcnt_dscnt 0x403
	v_dual_mul_f32 v204, v168, v113 :: v_dual_mul_f32 v205, v170, v115
	v_dual_add_f32 v69, v69, v193 :: v_dual_add_f32 v70, v70, v74
	v_mul_f32_e32 v74, v159, v103
	v_fma_f32 v73, v156, v100, -v73
	s_delay_alu instid0(VALU_DEP_4) | instskip(NEXT) | instid1(VALU_DEP_4)
	v_dual_fmac_f32 v202, v165, v108 :: v_dual_fmac_f32 v205, v171, v114
	v_dual_add_f32 v69, v69, v194 :: v_dual_add_f32 v70, v70, v72
	v_mul_f32_e32 v72, v161, v105
	v_fma_f32 v74, v158, v102, -v74
	v_fmac_f32_e32 v203, v167, v110
	s_delay_alu instid0(VALU_DEP_4)
	v_dual_add_f32 v69, v69, v195 :: v_dual_add_f32 v70, v70, v73
	v_mul_f32_e32 v73, v163, v107
	v_fma_f32 v72, v160, v104, -v72
	s_wait_loadcnt_dscnt 0x302
	v_dual_mul_f32 v206, v172, v117 :: v_dual_mul_f32 v207, v174, v119
	v_dual_add_f32 v69, v69, v196 :: v_dual_add_f32 v70, v70, v74
	v_mul_f32_e32 v74, v165, v109
	v_fma_f32 v73, v162, v106, -v73
	v_fmac_f32_e32 v204, v169, v112
	s_delay_alu instid0(VALU_DEP_4)
	v_dual_add_f32 v69, v69, v197 :: v_dual_add_f32 v70, v70, v72
	v_mul_f32_e32 v72, v167, v111
	v_fma_f32 v74, v164, v108, -v74
	s_wait_loadcnt_dscnt 0x201
	v_dual_mul_f32 v208, v176, v121 :: v_dual_mul_f32 v209, v178, v123
	;; [unrolled: 10-line block ×3, first 2 shown]
	v_add_f32_e32 v69, v69, v200
	v_add_f32_e32 v70, v70, v72
	v_mul_f32_e32 v72, v173, v117
	v_fma_f32 v74, v170, v114, -v74
	v_dual_fmac_f32 v206, v173, v116 :: v_dual_fmac_f32 v209, v179, v122
	v_add_f32_e32 v69, v69, v201
	v_dual_add_f32 v70, v70, v73 :: v_dual_mul_f32 v73, v175, v119
	v_fma_f32 v72, v172, v116, -v72
	v_fmac_f32_e32 v211, v183, v126
	s_delay_alu instid0(VALU_DEP_4) | instskip(NEXT) | instid1(VALU_DEP_4)
	v_add_f32_e32 v69, v69, v202
	v_add_f32_e32 v70, v70, v74
	v_mul_f32_e32 v74, v177, v121
	v_fma_f32 v73, v174, v118, -v73
	v_fmac_f32_e32 v210, v181, v124
	s_delay_alu instid0(VALU_DEP_4) | instskip(SKIP_2) | instid1(VALU_DEP_3)
	v_dual_add_f32 v69, v69, v203 :: v_dual_add_f32 v70, v70, v72
	v_mul_f32_e32 v72, v179, v123
	v_fma_f32 v74, v176, v120, -v74
	v_add_f32_e32 v69, v69, v204
	s_delay_alu instid0(VALU_DEP_3) | instskip(NEXT) | instid1(VALU_DEP_2)
	v_fma_f32 v72, v178, v122, -v72
	v_add_f32_e32 v69, v69, v205
	s_delay_alu instid0(VALU_DEP_1) | instskip(NEXT) | instid1(VALU_DEP_1)
	v_dual_add_f32 v69, v69, v206 :: v_dual_add_f32 v70, v70, v73
	v_add_f32_e32 v69, v69, v207
	s_delay_alu instid0(VALU_DEP_2) | instskip(SKIP_1) | instid1(VALU_DEP_2)
	v_dual_mul_f32 v73, v181, v125 :: v_dual_add_f32 v70, v70, v74
	v_mul_f32_e32 v74, v183, v127
	v_fma_f32 v73, v180, v124, -v73
	s_delay_alu instid0(VALU_DEP_3) | instskip(NEXT) | instid1(VALU_DEP_3)
	v_add_f32_e32 v70, v70, v72
	v_fma_f32 v72, v182, v126, -v74
	s_delay_alu instid0(VALU_DEP_2) | instskip(NEXT) | instid1(VALU_DEP_1)
	v_add_f32_e32 v70, v70, v73
	v_add_f32_e32 v70, v70, v72
	v_fmac_f32_e32 v208, v177, v120
	s_delay_alu instid0(VALU_DEP_1) | instskip(NEXT) | instid1(VALU_DEP_1)
	v_add_f32_e32 v69, v69, v208
	v_add_f32_e32 v69, v69, v209
	s_delay_alu instid0(VALU_DEP_1) | instskip(SKIP_1) | instid1(VALU_DEP_1)
	v_add_f32_e32 v69, v69, v210
	s_wait_loadcnt 0x0
	v_dual_add_f32 v72, v69, v211 :: v_dual_sub_f32 v69, v184, v70
	s_delay_alu instid0(VALU_DEP_1)
	v_sub_f32_e32 v70, v185, v72
	scratch_store_b64 off, v[69:70], off offset:40
	v_cmpx_lt_u32_e32 4, v0
	s_cbranch_execz .LBB97_209
; %bb.208:
	scratch_load_b64 v[69:70], off, off offset:32
	v_mov_b32_e32 v72, 0
	s_delay_alu instid0(VALU_DEP_1)
	v_mov_b32_e32 v73, v72
	scratch_store_b64 off, v[72:73], off offset:32
	s_wait_loadcnt 0x0
	ds_store_b64 v71, v[69:70]
.LBB97_209:
	s_wait_alu 0xfffe
	s_or_b32 exec_lo, exec_lo, s0
	s_wait_storecnt_dscnt 0x0
	s_barrier_signal -1
	s_barrier_wait -1
	global_inv scope:SCOPE_SE
	s_clause 0xf
	scratch_load_b128 v[72:75], off, off offset:40
	scratch_load_b128 v[76:79], off, off offset:56
	;; [unrolled: 1-line block ×14, first 2 shown]
	scratch_load_b64 v[184:185], off, off offset:264
	scratch_load_b64 v[186:187], off, off offset:32
	v_mov_b32_e32 v69, 0
	ds_load_2addr_b64 v[128:131], v69 offset0:39 offset1:40
	ds_load_2addr_b64 v[132:135], v69 offset0:41 offset1:42
	;; [unrolled: 1-line block ×14, first 2 shown]
	ds_load_b64 v[188:189], v69 offset:536
	s_mov_b32 s0, exec_lo
	s_wait_loadcnt_dscnt 0xf0e
	v_mul_f32_e32 v70, v128, v73
	s_wait_loadcnt_dscnt 0xe0d
	v_dual_mul_f32 v190, v130, v75 :: v_dual_mul_f32 v191, v132, v77
	v_mul_f32_e32 v75, v131, v75
	s_wait_loadcnt_dscnt 0xd0c
	v_dual_mul_f32 v192, v134, v79 :: v_dual_mul_f32 v193, v136, v81
	s_wait_loadcnt_dscnt 0xb0a
	v_dual_mul_f32 v196, v142, v87 :: v_dual_mul_f32 v197, v144, v89
	v_dual_mul_f32 v73, v129, v73 :: v_dual_mul_f32 v198, v146, v91
	s_wait_loadcnt_dscnt 0xa09
	v_dual_mul_f32 v199, v148, v93 :: v_dual_fmac_f32 v70, v129, v72
	s_wait_loadcnt_dscnt 0x302
	v_mul_f32_e32 v214, v178, v123
	v_fma_f32 v73, v128, v72, -v73
	s_wait_loadcnt_dscnt 0x100
	v_mul_f32_e32 v217, v188, v185
	v_mul_f32_e32 v72, v133, v77
	v_fmac_f32_e32 v190, v131, v74
	v_fma_f32 v74, v130, v74, -v75
	v_dual_add_f32 v73, 0, v73 :: v_dual_add_f32 v70, 0, v70
	v_mul_f32_e32 v75, v135, v79
	v_fmac_f32_e32 v191, v133, v76
	v_fma_f32 v72, v132, v76, -v72
	v_dual_mul_f32 v200, v150, v95 :: v_dual_mul_f32 v201, v152, v97
	v_add_f32_e32 v70, v70, v190
	v_add_f32_e32 v73, v73, v74
	v_mul_f32_e32 v74, v137, v81
	v_fma_f32 v75, v134, v78, -v75
	v_dual_fmac_f32 v192, v135, v78 :: v_dual_fmac_f32 v193, v137, v80
	v_add_f32_e32 v70, v70, v191
	v_dual_add_f32 v72, v73, v72 :: v_dual_mul_f32 v73, v139, v83
	v_fma_f32 v74, v136, v80, -v74
	v_dual_mul_f32 v202, v154, v99 :: v_dual_mul_f32 v203, v156, v101
	s_delay_alu instid0(VALU_DEP_3) | instskip(NEXT) | instid1(VALU_DEP_4)
	v_dual_add_f32 v72, v72, v75 :: v_dual_mul_f32 v75, v141, v85
	v_fma_f32 v73, v138, v82, -v73
	v_fmac_f32_e32 v197, v145, v88
	v_add_f32_e32 v70, v70, v192
	s_delay_alu instid0(VALU_DEP_4) | instskip(SKIP_2) | instid1(VALU_DEP_3)
	v_add_f32_e32 v72, v72, v74
	v_dual_mul_f32 v74, v143, v87 :: v_dual_fmac_f32 v199, v149, v92
	v_fma_f32 v75, v140, v84, -v75
	v_dual_fmac_f32 v201, v153, v96 :: v_dual_add_f32 v72, v72, v73
	v_mul_f32_e32 v73, v145, v89
	s_delay_alu instid0(VALU_DEP_4)
	v_fma_f32 v74, v142, v86, -v74
	v_dual_fmac_f32 v203, v157, v100 :: v_dual_mul_f32 v194, v138, v83
	v_mul_f32_e32 v195, v140, v85
	v_add_f32_e32 v72, v72, v75
	v_mul_f32_e32 v75, v147, v91
	v_fma_f32 v73, v144, v88, -v73
	v_dual_mul_f32 v206, v162, v107 :: v_dual_mul_f32 v207, v164, v109
	s_delay_alu instid0(VALU_DEP_4) | instskip(SKIP_3) | instid1(VALU_DEP_4)
	v_add_f32_e32 v72, v72, v74
	v_mul_f32_e32 v74, v149, v93
	v_fma_f32 v75, v146, v90, -v75
	v_dual_fmac_f32 v194, v139, v82 :: v_dual_fmac_f32 v195, v141, v84
	v_dual_add_f32 v72, v72, v73 :: v_dual_fmac_f32 v207, v165, v108
	v_dual_add_f32 v70, v70, v193 :: v_dual_mul_f32 v73, v151, v95
	v_fma_f32 v74, v148, v92, -v74
	s_delay_alu instid0(VALU_DEP_3) | instskip(NEXT) | instid1(VALU_DEP_3)
	v_dual_add_f32 v72, v72, v75 :: v_dual_mul_f32 v75, v153, v97
	v_add_f32_e32 v70, v70, v194
	s_delay_alu instid0(VALU_DEP_4) | instskip(SKIP_1) | instid1(VALU_DEP_4)
	v_fma_f32 v73, v150, v94, -v73
	v_fmac_f32_e32 v196, v143, v86
	v_add_f32_e32 v72, v72, v74
	v_mul_f32_e32 v74, v155, v99
	v_fma_f32 v75, v152, v96, -v75
	v_dual_mul_f32 v204, v158, v103 :: v_dual_mul_f32 v205, v160, v105
	s_delay_alu instid0(VALU_DEP_4) | instskip(SKIP_3) | instid1(VALU_DEP_4)
	v_add_f32_e32 v72, v72, v73
	v_mul_f32_e32 v73, v157, v101
	v_fma_f32 v74, v154, v98, -v74
	v_dual_fmac_f32 v217, v189, v184 :: v_dual_add_f32 v70, v70, v195
	v_dual_fmac_f32 v205, v161, v104 :: v_dual_add_f32 v72, v72, v75
	v_mul_f32_e32 v75, v159, v103
	v_fma_f32 v73, v156, v100, -v73
	s_delay_alu instid0(VALU_DEP_4)
	v_add_f32_e32 v70, v70, v196
	v_fmac_f32_e32 v198, v147, v90
	v_add_f32_e32 v72, v72, v74
	v_mul_f32_e32 v74, v161, v105
	v_fma_f32 v75, v158, v102, -v75
	v_dual_mul_f32 v208, v166, v111 :: v_dual_mul_f32 v209, v168, v113
	s_delay_alu instid0(VALU_DEP_4) | instskip(NEXT) | instid1(VALU_DEP_4)
	v_dual_add_f32 v72, v72, v73 :: v_dual_mul_f32 v73, v163, v107
	v_fma_f32 v74, v160, v104, -v74
	s_delay_alu instid0(VALU_DEP_3) | instskip(NEXT) | instid1(VALU_DEP_3)
	v_dual_add_f32 v70, v70, v197 :: v_dual_fmac_f32 v209, v169, v112
	v_dual_add_f32 v72, v72, v75 :: v_dual_mul_f32 v75, v165, v109
	s_delay_alu instid0(VALU_DEP_4) | instskip(NEXT) | instid1(VALU_DEP_3)
	v_fma_f32 v73, v162, v106, -v73
	v_add_f32_e32 v70, v70, v198
	v_dual_mul_f32 v210, v170, v115 :: v_dual_mul_f32 v211, v172, v117
	s_delay_alu instid0(VALU_DEP_4) | instskip(SKIP_3) | instid1(VALU_DEP_4)
	v_add_f32_e32 v72, v72, v74
	v_mul_f32_e32 v74, v167, v111
	v_fma_f32 v75, v164, v108, -v75
	v_dual_mul_f32 v212, v174, v119 :: v_dual_mul_f32 v213, v176, v121
	v_add_f32_e32 v72, v72, v73
	v_mul_f32_e32 v73, v169, v113
	v_fma_f32 v74, v166, v110, -v74
	v_dual_fmac_f32 v200, v151, v94 :: v_dual_fmac_f32 v211, v173, v116
	s_delay_alu instid0(VALU_DEP_4) | instskip(NEXT) | instid1(VALU_DEP_4)
	v_add_f32_e32 v72, v72, v75
	v_fma_f32 v73, v168, v112, -v73
	v_dual_mul_f32 v215, v180, v125 :: v_dual_mul_f32 v216, v182, v127
	s_delay_alu instid0(VALU_DEP_3) | instskip(NEXT) | instid1(VALU_DEP_2)
	v_dual_fmac_f32 v213, v177, v120 :: v_dual_add_f32 v72, v72, v74
	v_dual_fmac_f32 v202, v155, v98 :: v_dual_fmac_f32 v215, v181, v124
	v_fmac_f32_e32 v204, v159, v102
	v_fmac_f32_e32 v206, v163, v106
	s_delay_alu instid0(VALU_DEP_4) | instskip(SKIP_4) | instid1(VALU_DEP_4)
	v_dual_add_f32 v72, v72, v73 :: v_dual_mul_f32 v73, v175, v119
	v_add_f32_e32 v70, v70, v199
	v_fmac_f32_e32 v208, v167, v110
	v_dual_mul_f32 v75, v171, v115 :: v_dual_mul_f32 v74, v173, v117
	v_fmac_f32_e32 v210, v171, v114
	v_add_f32_e32 v70, v70, v200
	v_fmac_f32_e32 v212, v175, v118
	s_delay_alu instid0(VALU_DEP_4)
	v_fma_f32 v75, v170, v114, -v75
	v_fma_f32 v74, v172, v116, -v74
	v_fma_f32 v73, v174, v118, -v73
	v_add_f32_e32 v70, v70, v201
	v_fmac_f32_e32 v214, v179, v122
	v_dual_add_f32 v72, v72, v75 :: v_dual_mul_f32 v75, v177, v121
	v_fmac_f32_e32 v216, v183, v126
	s_delay_alu instid0(VALU_DEP_4) | instskip(NEXT) | instid1(VALU_DEP_3)
	v_add_f32_e32 v70, v70, v202
	v_add_f32_e32 v72, v72, v74
	v_mul_f32_e32 v74, v179, v123
	v_fma_f32 v75, v176, v120, -v75
	s_delay_alu instid0(VALU_DEP_4) | instskip(NEXT) | instid1(VALU_DEP_4)
	v_add_f32_e32 v70, v70, v203
	v_add_f32_e32 v72, v72, v73
	v_mul_f32_e32 v73, v181, v125
	v_fma_f32 v74, v178, v122, -v74
	s_delay_alu instid0(VALU_DEP_4) | instskip(NEXT) | instid1(VALU_DEP_4)
	;; [unrolled: 5-line block ×4, first 2 shown]
	v_add_f32_e32 v70, v70, v206
	v_add_f32_e32 v72, v72, v73
	s_delay_alu instid0(VALU_DEP_4) | instskip(NEXT) | instid1(VALU_DEP_3)
	v_fma_f32 v73, v188, v184, -v74
	v_add_f32_e32 v70, v70, v207
	s_delay_alu instid0(VALU_DEP_3) | instskip(NEXT) | instid1(VALU_DEP_2)
	v_add_f32_e32 v72, v72, v75
	v_add_f32_e32 v70, v70, v208
	s_delay_alu instid0(VALU_DEP_2) | instskip(NEXT) | instid1(VALU_DEP_2)
	v_add_f32_e32 v72, v72, v73
	v_add_f32_e32 v70, v70, v209
	s_wait_loadcnt 0x0
	s_delay_alu instid0(VALU_DEP_2) | instskip(NEXT) | instid1(VALU_DEP_2)
	v_sub_f32_e32 v72, v186, v72
	v_add_f32_e32 v70, v70, v210
	s_delay_alu instid0(VALU_DEP_1) | instskip(NEXT) | instid1(VALU_DEP_1)
	v_add_f32_e32 v70, v70, v211
	v_add_f32_e32 v70, v70, v212
	s_delay_alu instid0(VALU_DEP_1) | instskip(NEXT) | instid1(VALU_DEP_1)
	v_add_f32_e32 v70, v70, v213
	;; [unrolled: 3-line block ×4, first 2 shown]
	v_sub_f32_e32 v73, v187, v70
	scratch_store_b64 off, v[72:73], off offset:32
	v_cmpx_lt_u32_e32 3, v0
	s_cbranch_execz .LBB97_211
; %bb.210:
	scratch_load_b64 v[72:73], off, off offset:24
	v_mov_b32_e32 v70, v69
	scratch_store_b64 off, v[69:70], off offset:24
	s_wait_loadcnt 0x0
	ds_store_b64 v71, v[72:73]
.LBB97_211:
	s_wait_alu 0xfffe
	s_or_b32 exec_lo, exec_lo, s0
	s_wait_storecnt_dscnt 0x0
	s_barrier_signal -1
	s_barrier_wait -1
	global_inv scope:SCOPE_SE
	s_clause 0xf
	scratch_load_b128 v[72:75], off, off offset:32
	scratch_load_b128 v[76:79], off, off offset:48
	;; [unrolled: 1-line block ×15, first 2 shown]
	scratch_load_b64 v[192:193], off, off offset:24
	ds_load_b128 v[132:135], v69 offset:304
	ds_load_b128 v[136:139], v69 offset:320
	;; [unrolled: 1-line block ×15, first 2 shown]
	s_mov_b32 s0, exec_lo
	s_wait_loadcnt_dscnt 0xf0e
	v_dual_mul_f32 v69, v132, v73 :: v_dual_mul_f32 v70, v134, v75
	v_mul_f32_e32 v73, v133, v73
	s_wait_loadcnt_dscnt 0xe0d
	v_dual_mul_f32 v75, v135, v75 :: v_dual_mul_f32 v194, v136, v77
	s_delay_alu instid0(VALU_DEP_3) | instskip(NEXT) | instid1(VALU_DEP_3)
	v_dual_mul_f32 v195, v138, v79 :: v_dual_fmac_f32 v70, v135, v74
	v_fma_f32 v73, v132, v72, -v73
	v_fmac_f32_e32 v69, v133, v72
	v_mul_f32_e32 v72, v137, v77
	v_fma_f32 v74, v134, v74, -v75
	v_mul_f32_e32 v75, v139, v79
	v_dual_add_f32 v73, 0, v73 :: v_dual_fmac_f32 v194, v137, v76
	s_delay_alu instid0(VALU_DEP_4) | instskip(SKIP_2) | instid1(VALU_DEP_3)
	v_fma_f32 v72, v136, v76, -v72
	s_wait_loadcnt_dscnt 0xd0c
	v_dual_mul_f32 v196, v140, v81 :: v_dual_mul_f32 v197, v142, v83
	v_add_f32_e32 v73, v73, v74
	v_fmac_f32_e32 v195, v139, v78
	v_fma_f32 v74, v138, v78, -v75
	s_wait_loadcnt_dscnt 0xc0b
	v_dual_mul_f32 v198, v144, v85 :: v_dual_mul_f32 v199, v146, v87
	v_dual_add_f32 v72, v73, v72 :: v_dual_mul_f32 v73, v143, v83
	v_fmac_f32_e32 v196, v141, v80
	s_wait_loadcnt_dscnt 0xb0a
	v_dual_mul_f32 v200, v148, v89 :: v_dual_mul_f32 v201, v150, v91
	s_delay_alu instid0(VALU_DEP_3) | instskip(SKIP_3) | instid1(VALU_DEP_4)
	v_dual_add_f32 v72, v72, v74 :: v_dual_add_f32 v69, 0, v69
	v_mul_f32_e32 v74, v145, v85
	v_fma_f32 v73, v142, v82, -v73
	v_dual_fmac_f32 v197, v143, v82 :: v_dual_fmac_f32 v198, v145, v84
	v_add_f32_e32 v69, v69, v70
	v_mul_f32_e32 v70, v141, v81
	v_fma_f32 v74, v144, v84, -v74
	v_dual_fmac_f32 v199, v147, v86 :: v_dual_fmac_f32 v200, v149, v88
	s_wait_loadcnt_dscnt 0xa09
	v_dual_mul_f32 v202, v152, v93 :: v_dual_mul_f32 v203, v154, v95
	v_fma_f32 v70, v140, v80, -v70
	s_wait_loadcnt_dscnt 0x908
	v_dual_mul_f32 v204, v156, v97 :: v_dual_mul_f32 v205, v158, v99
	s_wait_loadcnt_dscnt 0x807
	v_dual_mul_f32 v206, v160, v101 :: v_dual_mul_f32 v207, v162, v103
	v_add_f32_e32 v70, v72, v70
	v_mul_f32_e32 v72, v147, v87
	v_dual_fmac_f32 v204, v157, v96 :: v_dual_fmac_f32 v205, v159, v98
	s_delay_alu instid0(VALU_DEP_4) | instskip(NEXT) | instid1(VALU_DEP_4)
	v_dual_fmac_f32 v206, v161, v100 :: v_dual_fmac_f32 v207, v163, v102
	v_dual_add_f32 v70, v70, v73 :: v_dual_add_f32 v69, v69, v194
	v_mul_f32_e32 v73, v149, v89
	v_fma_f32 v72, v146, v86, -v72
	v_fmac_f32_e32 v201, v151, v90
	s_delay_alu instid0(VALU_DEP_4)
	v_add_f32_e32 v70, v70, v74
	v_mul_f32_e32 v74, v151, v91
	v_add_f32_e32 v69, v69, v195
	v_fma_f32 v73, v148, v88, -v73
	v_fmac_f32_e32 v202, v153, v92
	v_add_f32_e32 v70, v70, v72
	v_mul_f32_e32 v72, v153, v93
	v_add_f32_e32 v69, v69, v196
	v_fma_f32 v74, v150, v90, -v74
	s_delay_alu instid0(VALU_DEP_4) | instskip(SKIP_1) | instid1(VALU_DEP_4)
	v_dual_fmac_f32 v203, v155, v94 :: v_dual_add_f32 v70, v70, v73
	v_mul_f32_e32 v73, v155, v95
	v_add_f32_e32 v69, v69, v197
	v_fma_f32 v72, v152, v92, -v72
	s_wait_loadcnt_dscnt 0x706
	v_dual_mul_f32 v208, v164, v105 :: v_dual_mul_f32 v209, v166, v107
	v_add_f32_e32 v70, v70, v74
	v_add_f32_e32 v69, v69, v198
	v_fma_f32 v73, v154, v94, -v73
	v_mul_f32_e32 v74, v157, v97
	s_wait_loadcnt_dscnt 0x605
	v_dual_mul_f32 v210, v168, v109 :: v_dual_mul_f32 v211, v170, v111
	v_dual_add_f32 v70, v70, v72 :: v_dual_add_f32 v69, v69, v199
	v_mul_f32_e32 v72, v159, v99
	v_fma_f32 v74, v156, v96, -v74
	v_dual_fmac_f32 v208, v165, v104 :: v_dual_fmac_f32 v209, v167, v106
	s_delay_alu instid0(VALU_DEP_4)
	v_dual_add_f32 v70, v70, v73 :: v_dual_add_f32 v69, v69, v200
	v_mul_f32_e32 v73, v161, v101
	v_fma_f32 v72, v158, v98, -v72
	s_wait_loadcnt_dscnt 0x504
	v_dual_mul_f32 v212, v172, v113 :: v_dual_mul_f32 v213, v174, v115
	v_dual_add_f32 v69, v69, v201 :: v_dual_add_f32 v70, v70, v74
	v_mul_f32_e32 v74, v163, v103
	v_fma_f32 v73, v160, v100, -v73
	s_delay_alu instid0(VALU_DEP_4) | instskip(NEXT) | instid1(VALU_DEP_4)
	v_dual_fmac_f32 v210, v169, v108 :: v_dual_fmac_f32 v213, v175, v114
	v_dual_add_f32 v69, v69, v202 :: v_dual_add_f32 v70, v70, v72
	v_mul_f32_e32 v72, v165, v105
	v_fma_f32 v74, v162, v102, -v74
	v_fmac_f32_e32 v211, v171, v110
	s_delay_alu instid0(VALU_DEP_4)
	v_dual_add_f32 v69, v69, v203 :: v_dual_add_f32 v70, v70, v73
	v_mul_f32_e32 v73, v167, v107
	v_fma_f32 v72, v164, v104, -v72
	s_wait_loadcnt_dscnt 0x403
	v_dual_mul_f32 v214, v176, v117 :: v_dual_mul_f32 v215, v178, v119
	v_dual_add_f32 v69, v69, v204 :: v_dual_add_f32 v70, v70, v74
	v_mul_f32_e32 v74, v169, v109
	v_fma_f32 v73, v166, v106, -v73
	v_fmac_f32_e32 v212, v173, v112
	s_delay_alu instid0(VALU_DEP_4)
	v_dual_add_f32 v69, v69, v205 :: v_dual_add_f32 v70, v70, v72
	v_mul_f32_e32 v72, v171, v111
	v_fma_f32 v74, v168, v108, -v74
	s_wait_loadcnt_dscnt 0x302
	v_dual_mul_f32 v216, v180, v121 :: v_dual_mul_f32 v217, v182, v123
	v_dual_add_f32 v69, v69, v206 :: v_dual_add_f32 v70, v70, v73
	v_mul_f32_e32 v73, v173, v113
	v_fma_f32 v72, v170, v110, -v72
	v_fmac_f32_e32 v215, v179, v118
	s_delay_alu instid0(VALU_DEP_4)
	v_dual_add_f32 v69, v69, v207 :: v_dual_add_f32 v70, v70, v74
	v_mul_f32_e32 v74, v175, v115
	v_fma_f32 v73, v172, v112, -v73
	s_wait_loadcnt_dscnt 0x201
	v_dual_mul_f32 v218, v184, v125 :: v_dual_mul_f32 v219, v186, v127
	v_add_f32_e32 v69, v69, v208
	v_add_f32_e32 v70, v70, v72
	v_mul_f32_e32 v72, v177, v117
	v_fma_f32 v74, v174, v114, -v74
	v_dual_fmac_f32 v214, v177, v116 :: v_dual_fmac_f32 v217, v183, v122
	v_add_f32_e32 v69, v69, v209
	v_dual_add_f32 v70, v70, v73 :: v_dual_mul_f32 v73, v179, v119
	v_fma_f32 v72, v176, v116, -v72
	v_fmac_f32_e32 v219, v187, v126
	s_delay_alu instid0(VALU_DEP_4) | instskip(NEXT) | instid1(VALU_DEP_4)
	v_add_f32_e32 v69, v69, v210
	v_add_f32_e32 v70, v70, v74
	v_mul_f32_e32 v74, v181, v121
	v_fma_f32 v73, v178, v118, -v73
	s_wait_loadcnt_dscnt 0x100
	v_dual_mul_f32 v220, v188, v129 :: v_dual_mul_f32 v221, v190, v131
	v_dual_add_f32 v69, v69, v211 :: v_dual_add_f32 v70, v70, v72
	v_mul_f32_e32 v72, v183, v123
	v_fma_f32 v74, v180, v120, -v74
	v_fmac_f32_e32 v216, v181, v120
	s_delay_alu instid0(VALU_DEP_4) | instskip(SKIP_3) | instid1(VALU_DEP_4)
	v_add_f32_e32 v69, v69, v212
	v_dual_fmac_f32 v218, v185, v124 :: v_dual_fmac_f32 v221, v191, v130
	v_fma_f32 v72, v182, v122, -v72
	v_fmac_f32_e32 v220, v189, v128
	v_add_f32_e32 v69, v69, v213
	s_delay_alu instid0(VALU_DEP_1) | instskip(NEXT) | instid1(VALU_DEP_1)
	v_dual_add_f32 v69, v69, v214 :: v_dual_add_f32 v70, v70, v73
	v_add_f32_e32 v69, v69, v215
	s_delay_alu instid0(VALU_DEP_2) | instskip(SKIP_1) | instid1(VALU_DEP_2)
	v_dual_mul_f32 v73, v185, v125 :: v_dual_add_f32 v70, v70, v74
	v_mul_f32_e32 v74, v187, v127
	v_fma_f32 v73, v184, v124, -v73
	s_delay_alu instid0(VALU_DEP_3) | instskip(SKIP_1) | instid1(VALU_DEP_4)
	v_add_f32_e32 v70, v70, v72
	v_mul_f32_e32 v72, v189, v129
	v_fma_f32 v74, v186, v126, -v74
	s_delay_alu instid0(VALU_DEP_3) | instskip(SKIP_1) | instid1(VALU_DEP_4)
	v_dual_add_f32 v70, v70, v73 :: v_dual_mul_f32 v73, v191, v131
	v_add_f32_e32 v69, v69, v216
	v_fma_f32 v72, v188, v128, -v72
	s_delay_alu instid0(VALU_DEP_3) | instskip(NEXT) | instid1(VALU_DEP_3)
	v_fma_f32 v73, v190, v130, -v73
	v_add_f32_e32 v69, v69, v217
	s_delay_alu instid0(VALU_DEP_1) | instskip(NEXT) | instid1(VALU_DEP_1)
	v_add_f32_e32 v69, v69, v218
	v_dual_add_f32 v70, v70, v74 :: v_dual_add_f32 v69, v69, v219
	s_delay_alu instid0(VALU_DEP_1) | instskip(NEXT) | instid1(VALU_DEP_1)
	v_add_f32_e32 v70, v70, v72
	v_dual_add_f32 v69, v69, v220 :: v_dual_add_f32 v70, v70, v73
	s_wait_loadcnt 0x0
	s_delay_alu instid0(VALU_DEP_1) | instskip(NEXT) | instid1(VALU_DEP_1)
	v_dual_add_f32 v72, v69, v221 :: v_dual_sub_f32 v69, v192, v70
	v_sub_f32_e32 v70, v193, v72
	scratch_store_b64 off, v[69:70], off offset:24
	v_cmpx_lt_u32_e32 2, v0
	s_cbranch_execz .LBB97_213
; %bb.212:
	scratch_load_b64 v[69:70], off, off offset:16
	v_mov_b32_e32 v72, 0
	s_delay_alu instid0(VALU_DEP_1)
	v_mov_b32_e32 v73, v72
	scratch_store_b64 off, v[72:73], off offset:16
	s_wait_loadcnt 0x0
	ds_store_b64 v71, v[69:70]
.LBB97_213:
	s_wait_alu 0xfffe
	s_or_b32 exec_lo, exec_lo, s0
	s_wait_storecnt_dscnt 0x0
	s_barrier_signal -1
	s_barrier_wait -1
	global_inv scope:SCOPE_SE
	s_clause 0x10
	scratch_load_b128 v[72:75], off, off offset:24
	scratch_load_b128 v[76:79], off, off offset:40
	;; [unrolled: 1-line block ×15, first 2 shown]
	scratch_load_b64 v[192:193], off, off offset:264
	scratch_load_b64 v[194:195], off, off offset:16
	v_mov_b32_e32 v69, 0
	ds_load_2addr_b64 v[132:135], v69 offset0:37 offset1:38
	ds_load_2addr_b64 v[136:139], v69 offset0:39 offset1:40
	;; [unrolled: 1-line block ×15, first 2 shown]
	ds_load_b64 v[196:197], v69 offset:536
	s_mov_b32 s0, exec_lo
	s_wait_loadcnt_dscnt 0x100f
	v_mul_f32_e32 v70, v132, v73
	s_wait_loadcnt_dscnt 0xf0e
	v_dual_mul_f32 v198, v134, v75 :: v_dual_mul_f32 v199, v136, v77
	v_mul_f32_e32 v75, v135, v75
	s_wait_loadcnt_dscnt 0xe0d
	v_dual_mul_f32 v200, v138, v79 :: v_dual_mul_f32 v201, v140, v81
	s_wait_loadcnt_dscnt 0xc0b
	v_dual_mul_f32 v204, v146, v87 :: v_dual_mul_f32 v205, v148, v89
	s_wait_loadcnt_dscnt 0xb0a
	v_dual_mul_f32 v206, v150, v91 :: v_dual_mul_f32 v207, v152, v93
	v_mul_f32_e32 v73, v133, v73
	v_fmac_f32_e32 v70, v133, v72
	s_wait_loadcnt_dscnt 0xa09
	v_dual_mul_f32 v208, v154, v95 :: v_dual_mul_f32 v209, v156, v97
	s_wait_loadcnt_dscnt 0x100
	v_dual_mul_f32 v224, v186, v127 :: v_dual_mul_f32 v227, v196, v193
	v_fma_f32 v73, v132, v72, -v73
	v_mul_f32_e32 v72, v137, v77
	v_fmac_f32_e32 v198, v135, v74
	v_fma_f32 v74, v134, v74, -v75
	v_dual_add_f32 v70, 0, v70 :: v_dual_mul_f32 v75, v139, v79
	v_add_f32_e32 v73, 0, v73
	v_fmac_f32_e32 v199, v137, v76
	v_fma_f32 v72, v136, v76, -v72
	s_delay_alu instid0(VALU_DEP_4)
	v_add_f32_e32 v70, v70, v198
	v_fma_f32 v75, v138, v78, -v75
	v_add_f32_e32 v73, v73, v74
	v_mul_f32_e32 v74, v141, v81
	v_dual_fmac_f32 v200, v139, v78 :: v_dual_fmac_f32 v201, v141, v80
	v_add_f32_e32 v70, v70, v199
	s_delay_alu instid0(VALU_DEP_4) | instskip(NEXT) | instid1(VALU_DEP_4)
	v_dual_add_f32 v72, v73, v72 :: v_dual_mul_f32 v73, v143, v83
	v_fma_f32 v74, v140, v80, -v74
	v_dual_mul_f32 v210, v158, v99 :: v_dual_mul_f32 v211, v160, v101
	s_delay_alu instid0(VALU_DEP_3) | instskip(NEXT) | instid1(VALU_DEP_4)
	v_dual_add_f32 v72, v72, v75 :: v_dual_mul_f32 v75, v145, v85
	v_fma_f32 v73, v142, v82, -v73
	v_fmac_f32_e32 v205, v149, v88
	v_add_f32_e32 v70, v70, v200
	s_delay_alu instid0(VALU_DEP_4) | instskip(SKIP_2) | instid1(VALU_DEP_3)
	v_add_f32_e32 v72, v72, v74
	v_dual_mul_f32 v74, v147, v87 :: v_dual_fmac_f32 v207, v153, v92
	v_fma_f32 v75, v144, v84, -v75
	v_dual_fmac_f32 v209, v157, v96 :: v_dual_add_f32 v72, v72, v73
	v_mul_f32_e32 v73, v149, v89
	s_delay_alu instid0(VALU_DEP_4)
	v_fma_f32 v74, v146, v86, -v74
	v_dual_fmac_f32 v211, v161, v100 :: v_dual_mul_f32 v202, v142, v83
	v_mul_f32_e32 v203, v144, v85
	v_add_f32_e32 v72, v72, v75
	v_mul_f32_e32 v75, v151, v91
	v_fma_f32 v73, v148, v88, -v73
	v_dual_mul_f32 v214, v166, v107 :: v_dual_mul_f32 v215, v168, v109
	s_delay_alu instid0(VALU_DEP_4) | instskip(SKIP_3) | instid1(VALU_DEP_4)
	v_add_f32_e32 v72, v72, v74
	v_mul_f32_e32 v74, v153, v93
	v_fma_f32 v75, v150, v90, -v75
	v_dual_fmac_f32 v202, v143, v82 :: v_dual_fmac_f32 v203, v145, v84
	v_dual_add_f32 v72, v72, v73 :: v_dual_fmac_f32 v215, v169, v108
	v_dual_add_f32 v70, v70, v201 :: v_dual_mul_f32 v73, v155, v95
	v_fma_f32 v74, v152, v92, -v74
	s_delay_alu instid0(VALU_DEP_3) | instskip(NEXT) | instid1(VALU_DEP_3)
	v_dual_add_f32 v72, v72, v75 :: v_dual_mul_f32 v75, v157, v97
	v_add_f32_e32 v70, v70, v202
	s_delay_alu instid0(VALU_DEP_4) | instskip(SKIP_1) | instid1(VALU_DEP_4)
	v_fma_f32 v73, v154, v94, -v73
	v_dual_mul_f32 v225, v188, v129 :: v_dual_mul_f32 v226, v190, v131
	v_add_f32_e32 v72, v72, v74
	v_mul_f32_e32 v74, v159, v99
	v_fma_f32 v75, v156, v96, -v75
	v_fmac_f32_e32 v204, v147, v86
	v_dual_mul_f32 v212, v162, v103 :: v_dual_mul_f32 v213, v164, v105
	v_add_f32_e32 v72, v72, v73
	v_mul_f32_e32 v73, v161, v101
	v_fma_f32 v74, v158, v98, -v74
	v_dual_fmac_f32 v225, v189, v128 :: v_dual_add_f32 v70, v70, v203
	s_delay_alu instid0(VALU_DEP_4) | instskip(SKIP_2) | instid1(VALU_DEP_4)
	v_dual_fmac_f32 v213, v165, v104 :: v_dual_add_f32 v72, v72, v75
	v_mul_f32_e32 v75, v163, v103
	v_fma_f32 v73, v160, v100, -v73
	v_add_f32_e32 v70, v70, v204
	v_fmac_f32_e32 v206, v151, v90
	v_add_f32_e32 v72, v72, v74
	v_mul_f32_e32 v74, v165, v105
	v_fma_f32 v75, v162, v102, -v75
	v_dual_mul_f32 v216, v170, v111 :: v_dual_mul_f32 v217, v172, v113
	s_delay_alu instid0(VALU_DEP_4) | instskip(NEXT) | instid1(VALU_DEP_4)
	v_dual_add_f32 v72, v72, v73 :: v_dual_mul_f32 v73, v167, v107
	v_fma_f32 v74, v164, v104, -v74
	s_delay_alu instid0(VALU_DEP_3) | instskip(NEXT) | instid1(VALU_DEP_3)
	v_dual_add_f32 v70, v70, v205 :: v_dual_fmac_f32 v217, v173, v112
	v_dual_add_f32 v72, v72, v75 :: v_dual_mul_f32 v75, v169, v109
	s_delay_alu instid0(VALU_DEP_4) | instskip(NEXT) | instid1(VALU_DEP_3)
	v_fma_f32 v73, v166, v106, -v73
	v_add_f32_e32 v70, v70, v206
	v_dual_mul_f32 v218, v174, v115 :: v_dual_mul_f32 v219, v176, v117
	s_delay_alu instid0(VALU_DEP_4) | instskip(SKIP_3) | instid1(VALU_DEP_4)
	v_add_f32_e32 v72, v72, v74
	v_mul_f32_e32 v74, v171, v111
	v_fma_f32 v75, v168, v108, -v75
	v_dual_mul_f32 v220, v178, v119 :: v_dual_mul_f32 v221, v180, v121
	v_add_f32_e32 v72, v72, v73
	v_mul_f32_e32 v73, v173, v113
	v_fma_f32 v74, v170, v110, -v74
	v_dual_fmac_f32 v208, v155, v94 :: v_dual_fmac_f32 v219, v177, v116
	s_delay_alu instid0(VALU_DEP_4)
	v_add_f32_e32 v72, v72, v75
	v_mul_f32_e32 v75, v175, v115
	v_fma_f32 v73, v172, v112, -v73
	v_dual_fmac_f32 v221, v181, v120 :: v_dual_mul_f32 v222, v182, v123
	v_mul_f32_e32 v223, v184, v125
	v_add_f32_e32 v72, v72, v74
	v_mul_f32_e32 v74, v177, v117
	v_fma_f32 v75, v174, v114, -v75
	s_delay_alu instid0(VALU_DEP_4) | instskip(NEXT) | instid1(VALU_DEP_4)
	v_dual_fmac_f32 v210, v159, v98 :: v_dual_fmac_f32 v223, v185, v124
	v_dual_add_f32 v72, v72, v73 :: v_dual_mul_f32 v73, v179, v119
	s_delay_alu instid0(VALU_DEP_4) | instskip(SKIP_2) | instid1(VALU_DEP_4)
	v_fma_f32 v74, v176, v116, -v74
	v_add_f32_e32 v70, v70, v207
	v_fmac_f32_e32 v212, v163, v102
	v_dual_add_f32 v72, v72, v75 :: v_dual_mul_f32 v75, v181, v121
	v_fma_f32 v73, v178, v118, -v73
	s_delay_alu instid0(VALU_DEP_4) | instskip(SKIP_1) | instid1(VALU_DEP_4)
	v_add_f32_e32 v70, v70, v208
	v_fmac_f32_e32 v214, v167, v106
	v_add_f32_e32 v72, v72, v74
	v_mul_f32_e32 v74, v183, v123
	v_fma_f32 v75, v180, v120, -v75
	v_fmac_f32_e32 v216, v171, v110
	v_fmac_f32_e32 v218, v175, v114
	v_add_f32_e32 v72, v72, v73
	v_mul_f32_e32 v73, v185, v125
	v_fma_f32 v74, v182, v122, -v74
	v_fmac_f32_e32 v220, v179, v118
	v_fmac_f32_e32 v222, v183, v122
	v_add_f32_e32 v72, v72, v75
	v_fma_f32 v73, v184, v124, -v73
	v_fmac_f32_e32 v227, v197, v192
	v_mul_f32_e32 v75, v187, v127
	v_fmac_f32_e32 v224, v187, v126
	v_add_f32_e32 v72, v72, v74
	v_mul_f32_e32 v74, v189, v129
	v_fmac_f32_e32 v226, v191, v130
	v_fma_f32 v75, v186, v126, -v75
	s_delay_alu instid0(VALU_DEP_4) | instskip(SKIP_2) | instid1(VALU_DEP_3)
	v_dual_add_f32 v72, v72, v73 :: v_dual_mul_f32 v73, v191, v131
	v_add_f32_e32 v70, v70, v209
	v_fma_f32 v74, v188, v128, -v74
	v_dual_add_f32 v72, v72, v75 :: v_dual_mul_f32 v75, v197, v193
	s_delay_alu instid0(VALU_DEP_3) | instskip(SKIP_1) | instid1(VALU_DEP_3)
	v_add_f32_e32 v70, v70, v210
	v_fma_f32 v73, v190, v130, -v73
	v_add_f32_e32 v72, v72, v74
	s_delay_alu instid0(VALU_DEP_4) | instskip(NEXT) | instid1(VALU_DEP_4)
	v_fma_f32 v74, v196, v192, -v75
	v_add_f32_e32 v70, v70, v211
	s_delay_alu instid0(VALU_DEP_3) | instskip(NEXT) | instid1(VALU_DEP_2)
	v_add_f32_e32 v72, v72, v73
	v_add_f32_e32 v70, v70, v212
	s_delay_alu instid0(VALU_DEP_2) | instskip(NEXT) | instid1(VALU_DEP_2)
	v_add_f32_e32 v72, v72, v74
	v_add_f32_e32 v70, v70, v213
	s_wait_loadcnt 0x0
	s_delay_alu instid0(VALU_DEP_2) | instskip(NEXT) | instid1(VALU_DEP_2)
	v_sub_f32_e32 v72, v194, v72
	v_add_f32_e32 v70, v70, v214
	s_delay_alu instid0(VALU_DEP_1) | instskip(NEXT) | instid1(VALU_DEP_1)
	v_add_f32_e32 v70, v70, v215
	v_add_f32_e32 v70, v70, v216
	s_delay_alu instid0(VALU_DEP_1) | instskip(NEXT) | instid1(VALU_DEP_1)
	v_add_f32_e32 v70, v70, v217
	;; [unrolled: 3-line block ×7, first 2 shown]
	v_sub_f32_e32 v73, v195, v70
	scratch_store_b64 off, v[72:73], off offset:16
	v_cmpx_lt_u32_e32 1, v0
	s_cbranch_execz .LBB97_215
; %bb.214:
	scratch_load_b64 v[72:73], off, off offset:8
	v_mov_b32_e32 v70, v69
	scratch_store_b64 off, v[69:70], off offset:8
	s_wait_loadcnt 0x0
	ds_store_b64 v71, v[72:73]
.LBB97_215:
	s_wait_alu 0xfffe
	s_or_b32 exec_lo, exec_lo, s0
	s_wait_storecnt_dscnt 0x0
	s_barrier_signal -1
	s_barrier_wait -1
	global_inv scope:SCOPE_SE
	s_clause 0x10
	scratch_load_b128 v[72:75], off, off offset:16
	scratch_load_b128 v[76:79], off, off offset:32
	;; [unrolled: 1-line block ×16, first 2 shown]
	scratch_load_b64 v[200:201], off, off offset:8
	ds_load_b128 v[136:139], v69 offset:288
	ds_load_b128 v[140:143], v69 offset:304
	;; [unrolled: 1-line block ×16, first 2 shown]
	s_mov_b32 s0, exec_lo
	s_wait_loadcnt_dscnt 0x100f
	v_dual_mul_f32 v69, v136, v73 :: v_dual_mul_f32 v70, v138, v75
	v_mul_f32_e32 v73, v137, v73
	s_wait_loadcnt_dscnt 0xf0e
	v_dual_mul_f32 v75, v139, v75 :: v_dual_mul_f32 v202, v140, v77
	s_delay_alu instid0(VALU_DEP_3) | instskip(NEXT) | instid1(VALU_DEP_3)
	v_dual_mul_f32 v203, v142, v79 :: v_dual_fmac_f32 v70, v139, v74
	v_fma_f32 v73, v136, v72, -v73
	v_fmac_f32_e32 v69, v137, v72
	v_mul_f32_e32 v72, v141, v77
	v_fma_f32 v74, v138, v74, -v75
	v_mul_f32_e32 v75, v143, v79
	v_dual_add_f32 v73, 0, v73 :: v_dual_fmac_f32 v202, v141, v76
	s_delay_alu instid0(VALU_DEP_4) | instskip(SKIP_2) | instid1(VALU_DEP_3)
	v_fma_f32 v72, v140, v76, -v72
	s_wait_loadcnt_dscnt 0xe0d
	v_dual_mul_f32 v204, v144, v81 :: v_dual_mul_f32 v205, v146, v83
	v_add_f32_e32 v73, v73, v74
	v_fmac_f32_e32 v203, v143, v78
	v_fma_f32 v74, v142, v78, -v75
	s_wait_loadcnt_dscnt 0xd0c
	v_dual_mul_f32 v206, v148, v85 :: v_dual_mul_f32 v207, v150, v87
	v_dual_add_f32 v72, v73, v72 :: v_dual_mul_f32 v73, v147, v83
	v_fmac_f32_e32 v204, v145, v80
	s_wait_loadcnt_dscnt 0xc0b
	v_dual_mul_f32 v208, v152, v89 :: v_dual_mul_f32 v209, v154, v91
	s_delay_alu instid0(VALU_DEP_3) | instskip(SKIP_3) | instid1(VALU_DEP_4)
	v_dual_add_f32 v72, v72, v74 :: v_dual_add_f32 v69, 0, v69
	v_mul_f32_e32 v74, v149, v85
	v_fma_f32 v73, v146, v82, -v73
	v_dual_fmac_f32 v205, v147, v82 :: v_dual_fmac_f32 v206, v149, v84
	v_add_f32_e32 v69, v69, v70
	v_mul_f32_e32 v70, v145, v81
	v_fma_f32 v74, v148, v84, -v74
	v_dual_fmac_f32 v207, v151, v86 :: v_dual_fmac_f32 v208, v153, v88
	s_wait_loadcnt_dscnt 0xb0a
	v_dual_mul_f32 v210, v156, v93 :: v_dual_mul_f32 v211, v158, v95
	v_fma_f32 v70, v144, v80, -v70
	s_wait_loadcnt_dscnt 0xa09
	v_dual_mul_f32 v212, v160, v97 :: v_dual_mul_f32 v213, v162, v99
	s_wait_loadcnt_dscnt 0x908
	v_dual_mul_f32 v214, v164, v101 :: v_dual_mul_f32 v215, v166, v103
	v_add_f32_e32 v70, v72, v70
	v_mul_f32_e32 v72, v151, v87
	v_dual_fmac_f32 v212, v161, v96 :: v_dual_fmac_f32 v213, v163, v98
	s_delay_alu instid0(VALU_DEP_4) | instskip(NEXT) | instid1(VALU_DEP_4)
	v_dual_fmac_f32 v214, v165, v100 :: v_dual_fmac_f32 v215, v167, v102
	v_dual_add_f32 v70, v70, v73 :: v_dual_add_f32 v69, v69, v202
	v_mul_f32_e32 v73, v153, v89
	v_fma_f32 v72, v150, v86, -v72
	v_fmac_f32_e32 v209, v155, v90
	s_delay_alu instid0(VALU_DEP_4)
	v_add_f32_e32 v70, v70, v74
	v_mul_f32_e32 v74, v155, v91
	v_add_f32_e32 v69, v69, v203
	v_fma_f32 v73, v152, v88, -v73
	v_fmac_f32_e32 v210, v157, v92
	v_add_f32_e32 v70, v70, v72
	v_mul_f32_e32 v72, v157, v93
	v_add_f32_e32 v69, v69, v204
	v_fma_f32 v74, v154, v90, -v74
	s_delay_alu instid0(VALU_DEP_4) | instskip(SKIP_1) | instid1(VALU_DEP_4)
	v_dual_fmac_f32 v211, v159, v94 :: v_dual_add_f32 v70, v70, v73
	v_mul_f32_e32 v73, v159, v95
	v_add_f32_e32 v69, v69, v205
	v_fma_f32 v72, v156, v92, -v72
	s_wait_loadcnt_dscnt 0x807
	v_dual_mul_f32 v216, v168, v105 :: v_dual_mul_f32 v217, v170, v107
	v_add_f32_e32 v70, v70, v74
	v_add_f32_e32 v69, v69, v206
	v_fma_f32 v73, v158, v94, -v73
	v_mul_f32_e32 v74, v161, v97
	s_wait_loadcnt_dscnt 0x706
	v_dual_mul_f32 v218, v172, v109 :: v_dual_mul_f32 v219, v174, v111
	v_dual_add_f32 v70, v70, v72 :: v_dual_add_f32 v69, v69, v207
	v_mul_f32_e32 v72, v163, v99
	v_fma_f32 v74, v160, v96, -v74
	v_dual_fmac_f32 v216, v169, v104 :: v_dual_fmac_f32 v217, v171, v106
	s_delay_alu instid0(VALU_DEP_4)
	v_dual_add_f32 v70, v70, v73 :: v_dual_add_f32 v69, v69, v208
	v_mul_f32_e32 v73, v165, v101
	v_fma_f32 v72, v162, v98, -v72
	s_wait_loadcnt_dscnt 0x605
	v_dual_mul_f32 v220, v176, v113 :: v_dual_mul_f32 v221, v178, v115
	v_dual_add_f32 v69, v69, v209 :: v_dual_add_f32 v70, v70, v74
	v_mul_f32_e32 v74, v167, v103
	v_fma_f32 v73, v164, v100, -v73
	s_delay_alu instid0(VALU_DEP_4) | instskip(NEXT) | instid1(VALU_DEP_4)
	v_dual_fmac_f32 v218, v173, v108 :: v_dual_fmac_f32 v221, v179, v114
	v_dual_add_f32 v69, v69, v210 :: v_dual_add_f32 v70, v70, v72
	v_mul_f32_e32 v72, v169, v105
	v_fma_f32 v74, v166, v102, -v74
	v_fmac_f32_e32 v219, v175, v110
	s_delay_alu instid0(VALU_DEP_4)
	v_dual_add_f32 v69, v69, v211 :: v_dual_add_f32 v70, v70, v73
	v_mul_f32_e32 v73, v171, v107
	v_fma_f32 v72, v168, v104, -v72
	s_wait_loadcnt_dscnt 0x504
	v_dual_mul_f32 v222, v180, v117 :: v_dual_mul_f32 v223, v182, v119
	v_dual_add_f32 v69, v69, v212 :: v_dual_add_f32 v70, v70, v74
	v_mul_f32_e32 v74, v173, v109
	v_fma_f32 v73, v170, v106, -v73
	v_fmac_f32_e32 v220, v177, v112
	s_delay_alu instid0(VALU_DEP_4)
	v_dual_add_f32 v69, v69, v213 :: v_dual_add_f32 v70, v70, v72
	v_mul_f32_e32 v72, v175, v111
	v_fma_f32 v74, v172, v108, -v74
	s_wait_loadcnt_dscnt 0x403
	v_dual_mul_f32 v224, v184, v121 :: v_dual_mul_f32 v225, v186, v123
	;; [unrolled: 10-line block ×3, first 2 shown]
	v_add_f32_e32 v69, v69, v216
	v_add_f32_e32 v70, v70, v72
	v_mul_f32_e32 v72, v181, v117
	v_fma_f32 v74, v178, v114, -v74
	v_dual_fmac_f32 v222, v181, v116 :: v_dual_fmac_f32 v225, v187, v122
	v_add_f32_e32 v69, v69, v217
	v_dual_add_f32 v70, v70, v73 :: v_dual_mul_f32 v73, v183, v119
	v_fma_f32 v72, v180, v116, -v72
	v_fmac_f32_e32 v227, v191, v126
	s_delay_alu instid0(VALU_DEP_4) | instskip(NEXT) | instid1(VALU_DEP_4)
	v_add_f32_e32 v69, v69, v218
	v_add_f32_e32 v70, v70, v74
	v_mul_f32_e32 v74, v185, v121
	v_fma_f32 v73, v182, v118, -v73
	s_wait_loadcnt_dscnt 0x201
	v_dual_mul_f32 v228, v192, v129 :: v_dual_mul_f32 v229, v194, v131
	v_dual_add_f32 v69, v69, v219 :: v_dual_add_f32 v70, v70, v72
	v_mul_f32_e32 v72, v187, v123
	v_fma_f32 v74, v184, v120, -v74
	v_fmac_f32_e32 v224, v185, v120
	s_delay_alu instid0(VALU_DEP_4)
	v_add_f32_e32 v69, v69, v220
	v_dual_fmac_f32 v226, v189, v124 :: v_dual_fmac_f32 v229, v195, v130
	v_fma_f32 v72, v186, v122, -v72
	s_wait_loadcnt_dscnt 0x100
	v_dual_mul_f32 v230, v196, v133 :: v_dual_mul_f32 v231, v198, v135
	v_add_f32_e32 v69, v69, v221
	s_delay_alu instid0(VALU_DEP_2) | instskip(NEXT) | instid1(VALU_DEP_2)
	v_dual_fmac_f32 v230, v197, v132 :: v_dual_fmac_f32 v231, v199, v134
	v_dual_add_f32 v69, v69, v222 :: v_dual_add_f32 v70, v70, v73
	s_delay_alu instid0(VALU_DEP_1) | instskip(NEXT) | instid1(VALU_DEP_2)
	v_add_f32_e32 v69, v69, v223
	v_dual_mul_f32 v73, v189, v125 :: v_dual_add_f32 v70, v70, v74
	v_mul_f32_e32 v74, v191, v127
	s_delay_alu instid0(VALU_DEP_2) | instskip(NEXT) | instid1(VALU_DEP_3)
	v_fma_f32 v73, v188, v124, -v73
	v_add_f32_e32 v70, v70, v72
	v_mul_f32_e32 v72, v193, v129
	s_delay_alu instid0(VALU_DEP_4) | instskip(NEXT) | instid1(VALU_DEP_3)
	v_fma_f32 v74, v190, v126, -v74
	v_dual_add_f32 v70, v70, v73 :: v_dual_mul_f32 v73, v195, v131
	v_add_f32_e32 v69, v69, v224
	s_delay_alu instid0(VALU_DEP_4) | instskip(NEXT) | instid1(VALU_DEP_3)
	v_fma_f32 v72, v192, v128, -v72
	v_fma_f32 v73, v194, v130, -v73
	s_delay_alu instid0(VALU_DEP_3) | instskip(NEXT) | instid1(VALU_DEP_1)
	v_add_f32_e32 v69, v69, v225
	v_add_f32_e32 v69, v69, v226
	;; [unrolled: 1-line block ×3, first 2 shown]
	v_mul_f32_e32 v74, v197, v133
	s_delay_alu instid0(VALU_DEP_2) | instskip(SKIP_1) | instid1(VALU_DEP_3)
	v_dual_add_f32 v69, v69, v227 :: v_dual_add_f32 v70, v70, v72
	v_mul_f32_e32 v72, v199, v135
	v_fma_f32 v74, v196, v132, -v74
	s_delay_alu instid0(VALU_DEP_3) | instskip(NEXT) | instid1(VALU_DEP_3)
	v_add_f32_e32 v70, v70, v73
	v_fma_f32 v72, v198, v134, -v72
	s_delay_alu instid0(VALU_DEP_2) | instskip(NEXT) | instid1(VALU_DEP_1)
	v_add_f32_e32 v70, v70, v74
	v_add_f32_e32 v70, v70, v72
	v_fmac_f32_e32 v228, v193, v128
	s_delay_alu instid0(VALU_DEP_1) | instskip(NEXT) | instid1(VALU_DEP_1)
	v_add_f32_e32 v69, v69, v228
	v_add_f32_e32 v69, v69, v229
	s_delay_alu instid0(VALU_DEP_1) | instskip(SKIP_1) | instid1(VALU_DEP_1)
	v_add_f32_e32 v69, v69, v230
	s_wait_loadcnt 0x0
	v_dual_add_f32 v72, v69, v231 :: v_dual_sub_f32 v69, v200, v70
	s_delay_alu instid0(VALU_DEP_1)
	v_sub_f32_e32 v70, v201, v72
	scratch_store_b64 off, v[69:70], off offset:8
	v_cmpx_ne_u32_e32 0, v0
	s_cbranch_execz .LBB97_217
; %bb.216:
	scratch_load_b64 v[69:70], off, off
	v_mov_b32_e32 v72, 0
	s_delay_alu instid0(VALU_DEP_1)
	v_mov_b32_e32 v73, v72
	scratch_store_b64 off, v[72:73], off
	s_wait_loadcnt 0x0
	ds_store_b64 v71, v[69:70]
.LBB97_217:
	s_wait_alu 0xfffe
	s_or_b32 exec_lo, exec_lo, s0
	s_wait_storecnt_dscnt 0x0
	s_barrier_signal -1
	s_barrier_wait -1
	global_inv scope:SCOPE_SE
	s_clause 0x11
	scratch_load_b128 v[69:72], off, off offset:8
	scratch_load_b128 v[73:76], off, off offset:24
	;; [unrolled: 1-line block ×16, first 2 shown]
	scratch_load_b64 v[197:198], off, off offset:264
	scratch_load_b64 v[199:200], off, off
	v_mov_b32_e32 v0, 0
	ds_load_2addr_b64 v[133:136], v0 offset0:35 offset1:36
	ds_load_2addr_b64 v[137:140], v0 offset0:37 offset1:38
	;; [unrolled: 1-line block ×16, first 2 shown]
	ds_load_b64 v[201:202], v0 offset:536
	s_and_b32 vcc_lo, exec_lo, s12
	s_wait_loadcnt_dscnt 0x1110
	v_dual_mul_f32 v203, v133, v70 :: v_dual_mul_f32 v204, v135, v72
	s_wait_loadcnt_dscnt 0x100f
	v_dual_mul_f32 v205, v137, v74 :: v_dual_mul_f32 v72, v136, v72
	;; [unrolled: 2-line block ×3, first 2 shown]
	v_dual_fmac_f32 v203, v134, v69 :: v_dual_fmac_f32 v204, v136, v71
	s_delay_alu instid0(VALU_DEP_3) | instskip(SKIP_1) | instid1(VALU_DEP_4)
	v_fmac_f32_e32 v205, v138, v73
	v_fma_f32 v71, v135, v71, -v72
	v_dual_fmac_f32 v206, v140, v75 :: v_dual_fmac_f32 v207, v142, v77
	s_delay_alu instid0(VALU_DEP_4)
	v_add_f32_e32 v72, 0, v203
	v_mul_f32_e32 v70, v134, v70
	s_wait_loadcnt_dscnt 0xe0d
	v_dual_mul_f32 v208, v143, v80 :: v_dual_mul_f32 v209, v145, v82
	s_wait_loadcnt_dscnt 0xd0c
	v_dual_mul_f32 v210, v147, v84 :: v_dual_mul_f32 v211, v149, v86
	v_fma_f32 v70, v133, v69, -v70
	v_dual_mul_f32 v69, v138, v74 :: v_dual_mul_f32 v74, v140, v76
	v_dual_fmac_f32 v208, v144, v79 :: v_dual_fmac_f32 v209, v146, v81
	s_delay_alu instid0(VALU_DEP_3) | instskip(NEXT) | instid1(VALU_DEP_3)
	v_add_f32_e32 v70, 0, v70
	v_fma_f32 v69, v137, v73, -v69
	s_delay_alu instid0(VALU_DEP_4) | instskip(SKIP_1) | instid1(VALU_DEP_4)
	v_fma_f32 v73, v139, v75, -v74
	v_dual_fmac_f32 v210, v148, v83 :: v_dual_fmac_f32 v211, v150, v85
	v_add_f32_e32 v70, v70, v71
	s_wait_loadcnt_dscnt 0xc0b
	v_dual_mul_f32 v212, v151, v88 :: v_dual_mul_f32 v213, v153, v90
	s_wait_loadcnt_dscnt 0xb0a
	v_dual_mul_f32 v214, v155, v92 :: v_dual_mul_f32 v215, v157, v94
	v_add_f32_e32 v69, v70, v69
	v_add_f32_e32 v71, v72, v204
	v_dual_fmac_f32 v212, v152, v87 :: v_dual_fmac_f32 v213, v154, v89
	s_wait_loadcnt_dscnt 0xa09
	v_dual_mul_f32 v216, v159, v96 :: v_dual_mul_f32 v217, v161, v98
	s_delay_alu instid0(VALU_DEP_3)
	v_dual_add_f32 v70, v71, v205 :: v_dual_mul_f32 v71, v144, v80
	v_add_f32_e32 v69, v69, v73
	v_dual_mul_f32 v73, v146, v82 :: v_dual_mul_f32 v218, v163, v100
	s_wait_loadcnt_dscnt 0x908
	v_mul_f32_e32 v219, v165, v102
	v_fma_f32 v71, v143, v79, -v71
	v_mul_f32_e32 v72, v142, v78
	v_fma_f32 v73, v145, v81, -v73
	v_dual_fmac_f32 v217, v162, v97 :: v_dual_fmac_f32 v218, v164, v99
	s_wait_loadcnt_dscnt 0x807
	v_dual_mul_f32 v220, v167, v104 :: v_dual_mul_f32 v221, v169, v106
	v_fma_f32 v72, v141, v77, -v72
	v_add_f32_e32 v70, v70, v206
	s_delay_alu instid0(VALU_DEP_3) | instskip(SKIP_4) | instid1(VALU_DEP_3)
	v_dual_fmac_f32 v219, v166, v101 :: v_dual_fmac_f32 v220, v168, v103
	s_wait_loadcnt_dscnt 0x706
	v_dual_mul_f32 v222, v171, v108 :: v_dual_mul_f32 v223, v173, v110
	v_add_f32_e32 v69, v69, v72
	v_dual_mul_f32 v72, v148, v84 :: v_dual_fmac_f32 v221, v170, v105
	v_fmac_f32_e32 v222, v172, v107
	s_wait_loadcnt_dscnt 0x605
	v_dual_mul_f32 v224, v175, v112 :: v_dual_mul_f32 v225, v177, v114
	v_add_f32_e32 v69, v69, v71
	v_add_f32_e32 v70, v70, v207
	v_mul_f32_e32 v71, v150, v86
	v_fma_f32 v72, v147, v83, -v72
	s_wait_loadcnt_dscnt 0x504
	v_dual_mul_f32 v226, v179, v116 :: v_dual_mul_f32 v227, v181, v118
	v_add_f32_e32 v69, v69, v73
	v_fma_f32 v71, v149, v85, -v71
	v_mul_f32_e32 v73, v152, v88
	s_delay_alu instid0(VALU_DEP_4) | instskip(NEXT) | instid1(VALU_DEP_4)
	v_dual_fmac_f32 v223, v174, v109 :: v_dual_fmac_f32 v226, v180, v115
	v_add_f32_e32 v69, v69, v72
	v_add_f32_e32 v70, v70, v208
	v_mul_f32_e32 v72, v154, v90
	v_fma_f32 v73, v151, v87, -v73
	v_fmac_f32_e32 v214, v156, v91
	s_delay_alu instid0(VALU_DEP_4) | instskip(SKIP_3) | instid1(VALU_DEP_4)
	v_dual_add_f32 v69, v69, v71 :: v_dual_add_f32 v70, v70, v209
	v_mul_f32_e32 v71, v156, v92
	v_fma_f32 v72, v153, v89, -v72
	v_fmac_f32_e32 v215, v158, v93
	v_dual_add_f32 v69, v69, v73 :: v_dual_add_f32 v70, v70, v210
	s_delay_alu instid0(VALU_DEP_4) | instskip(SKIP_1) | instid1(VALU_DEP_3)
	v_fma_f32 v71, v155, v91, -v71
	v_dual_mul_f32 v73, v158, v94 :: v_dual_fmac_f32 v216, v160, v95
	v_dual_add_f32 v69, v69, v72 :: v_dual_add_f32 v70, v70, v211
	v_mul_f32_e32 v72, v160, v96
	s_delay_alu instid0(VALU_DEP_3) | instskip(SKIP_1) | instid1(VALU_DEP_4)
	v_fma_f32 v73, v157, v93, -v73
	v_fmac_f32_e32 v225, v178, v113
	v_dual_add_f32 v69, v69, v71 :: v_dual_add_f32 v70, v70, v212
	v_mul_f32_e32 v71, v162, v98
	v_fma_f32 v72, v159, v95, -v72
	s_wait_loadcnt_dscnt 0x403
	v_dual_mul_f32 v228, v183, v120 :: v_dual_mul_f32 v229, v185, v122
	v_add_f32_e32 v70, v70, v213
	v_add_f32_e32 v69, v69, v73
	v_mul_f32_e32 v73, v164, v100
	v_fma_f32 v71, v161, v97, -v71
	s_wait_loadcnt_dscnt 0x302
	v_dual_mul_f32 v230, v187, v124 :: v_dual_mul_f32 v231, v189, v126
	v_dual_add_f32 v70, v70, v214 :: v_dual_add_f32 v69, v69, v72
	v_mul_f32_e32 v72, v166, v102
	v_fma_f32 v73, v163, v99, -v73
	s_delay_alu instid0(VALU_DEP_4) | instskip(NEXT) | instid1(VALU_DEP_4)
	v_dual_fmac_f32 v227, v182, v117 :: v_dual_fmac_f32 v230, v188, v123
	v_add_f32_e32 v70, v70, v215
	v_add_f32_e32 v69, v69, v71
	v_mul_f32_e32 v71, v168, v104
	v_fma_f32 v72, v165, v101, -v72
	v_fmac_f32_e32 v224, v176, v111
	v_add_f32_e32 v70, v70, v216
	s_wait_loadcnt_dscnt 0x201
	v_dual_mul_f32 v232, v191, v128 :: v_dual_mul_f32 v233, v193, v130
	v_fma_f32 v71, v167, v103, -v71
	v_fmac_f32_e32 v229, v186, v121
	v_add_f32_e32 v70, v70, v217
	v_add_f32_e32 v69, v69, v73
	v_mul_f32_e32 v73, v170, v106
	v_dual_fmac_f32 v233, v194, v129 :: v_dual_mul_f32 v234, v195, v132
	s_wait_loadcnt_dscnt 0x100
	v_mul_f32_e32 v235, v201, v198
	v_dual_add_f32 v70, v70, v218 :: v_dual_add_f32 v69, v69, v72
	v_mul_f32_e32 v72, v172, v108
	v_fma_f32 v73, v169, v105, -v73
	v_dual_fmac_f32 v231, v190, v125 :: v_dual_fmac_f32 v234, v196, v131
	s_delay_alu instid0(VALU_DEP_4)
	v_add_f32_e32 v70, v70, v219
	v_add_f32_e32 v69, v69, v71
	v_mul_f32_e32 v71, v174, v110
	v_fma_f32 v72, v171, v107, -v72
	v_fmac_f32_e32 v235, v202, v197
	v_add_f32_e32 v70, v70, v220
	v_fmac_f32_e32 v228, v184, v119
	v_fma_f32 v71, v173, v109, -v71
	v_fmac_f32_e32 v232, v192, v127
	s_delay_alu instid0(VALU_DEP_4) | instskip(SKIP_1) | instid1(VALU_DEP_2)
	v_add_f32_e32 v70, v70, v221
	v_add_f32_e32 v69, v69, v73
	v_dual_mul_f32 v73, v176, v112 :: v_dual_add_f32 v70, v70, v222
	s_delay_alu instid0(VALU_DEP_2) | instskip(NEXT) | instid1(VALU_DEP_2)
	v_dual_add_f32 v69, v69, v72 :: v_dual_mul_f32 v72, v178, v114
	v_fma_f32 v73, v175, v111, -v73
	s_delay_alu instid0(VALU_DEP_3) | instskip(NEXT) | instid1(VALU_DEP_3)
	v_add_f32_e32 v70, v70, v223
	v_add_f32_e32 v69, v69, v71
	v_mul_f32_e32 v71, v180, v116
	v_fma_f32 v72, v177, v113, -v72
	s_delay_alu instid0(VALU_DEP_3) | instskip(SKIP_1) | instid1(VALU_DEP_4)
	v_dual_add_f32 v70, v70, v224 :: v_dual_add_f32 v69, v69, v73
	v_mul_f32_e32 v73, v182, v118
	v_fma_f32 v71, v179, v115, -v71
	s_delay_alu instid0(VALU_DEP_3) | instskip(SKIP_3) | instid1(VALU_DEP_3)
	v_add_f32_e32 v69, v69, v72
	v_mul_f32_e32 v72, v184, v120
	v_add_f32_e32 v70, v70, v225
	v_fma_f32 v73, v181, v117, -v73
	v_fma_f32 v72, v183, v119, -v72
	s_delay_alu instid0(VALU_DEP_3) | instskip(NEXT) | instid1(VALU_DEP_1)
	v_add_f32_e32 v70, v70, v226
	v_add_f32_e32 v70, v70, v227
	;; [unrolled: 1-line block ×3, first 2 shown]
	v_mul_f32_e32 v71, v186, v122
	s_delay_alu instid0(VALU_DEP_2) | instskip(SKIP_1) | instid1(VALU_DEP_3)
	v_dual_add_f32 v70, v70, v228 :: v_dual_add_f32 v69, v69, v73
	v_mul_f32_e32 v73, v188, v124
	v_fma_f32 v71, v185, v121, -v71
	s_delay_alu instid0(VALU_DEP_3) | instskip(NEXT) | instid1(VALU_DEP_3)
	v_dual_add_f32 v69, v69, v72 :: v_dual_mul_f32 v72, v190, v126
	v_fma_f32 v73, v187, v123, -v73
	s_delay_alu instid0(VALU_DEP_2) | instskip(NEXT) | instid1(VALU_DEP_3)
	v_add_f32_e32 v69, v69, v71
	v_fma_f32 v72, v189, v125, -v72
	s_delay_alu instid0(VALU_DEP_2) | instskip(SKIP_1) | instid1(VALU_DEP_2)
	v_add_f32_e32 v69, v69, v73
	v_mul_f32_e32 v73, v194, v130
	v_add_f32_e32 v69, v69, v72
	v_mul_f32_e32 v72, v196, v132
	v_add_f32_e32 v70, v70, v229
	s_delay_alu instid0(VALU_DEP_4) | instskip(NEXT) | instid1(VALU_DEP_3)
	v_fma_f32 v73, v193, v129, -v73
	v_fma_f32 v72, v195, v131, -v72
	s_delay_alu instid0(VALU_DEP_3) | instskip(NEXT) | instid1(VALU_DEP_1)
	v_dual_add_f32 v70, v70, v230 :: v_dual_mul_f32 v71, v192, v128
	v_add_f32_e32 v70, v70, v231
	s_delay_alu instid0(VALU_DEP_2) | instskip(NEXT) | instid1(VALU_DEP_2)
	v_fma_f32 v71, v191, v127, -v71
	v_add_f32_e32 v70, v70, v232
	s_delay_alu instid0(VALU_DEP_1) | instskip(SKIP_1) | instid1(VALU_DEP_2)
	v_dual_add_f32 v70, v70, v233 :: v_dual_add_f32 v69, v69, v71
	v_mul_f32_e32 v71, v202, v198
	v_dual_add_f32 v70, v70, v234 :: v_dual_add_f32 v69, v69, v73
	s_delay_alu instid0(VALU_DEP_2) | instskip(NEXT) | instid1(VALU_DEP_2)
	v_fma_f32 v71, v201, v197, -v71
	v_dual_add_f32 v70, v70, v235 :: v_dual_add_f32 v69, v69, v72
	s_wait_loadcnt 0x0
	s_delay_alu instid0(VALU_DEP_1) | instskip(NEXT) | instid1(VALU_DEP_1)
	v_dual_sub_f32 v70, v200, v70 :: v_dual_add_f32 v69, v69, v71
	v_sub_f32_e32 v69, v199, v69
	scratch_store_b64 off, v[69:70], off
	s_wait_alu 0xfffe
	s_cbranch_vccz .LBB97_284
; %bb.218:
	global_load_b32 v0, v0, s[2:3] offset:128
	s_wait_loadcnt 0x0
	v_cmp_ne_u32_e32 vcc_lo, 33, v0
	s_cbranch_vccz .LBB97_220
; %bb.219:
	v_lshlrev_b32_e32 v0, 3, v0
	scratch_load_b64 v[69:70], v0, off offset:-8
	scratch_load_b64 v[71:72], off, off offset:256
	s_wait_loadcnt 0x1
	scratch_store_b64 off, v[69:70], off offset:256
	s_wait_loadcnt 0x0
	scratch_store_b64 v0, v[71:72], off offset:-8
.LBB97_220:
	v_mov_b32_e32 v0, 0
	global_load_b32 v69, v0, s[2:3] offset:124
	s_wait_loadcnt 0x0
	v_cmp_eq_u32_e32 vcc_lo, 32, v69
	s_cbranch_vccnz .LBB97_222
; %bb.221:
	v_lshlrev_b32_e32 v69, 3, v69
	s_delay_alu instid0(VALU_DEP_1)
	v_mov_b32_e32 v73, v69
	scratch_load_b64 v[69:70], v73, off offset:-8
	scratch_load_b64 v[71:72], off, off offset:248
	s_wait_loadcnt 0x1
	scratch_store_b64 off, v[69:70], off offset:248
	s_wait_loadcnt 0x0
	scratch_store_b64 v73, v[71:72], off offset:-8
.LBB97_222:
	global_load_b32 v0, v0, s[2:3] offset:120
	s_wait_loadcnt 0x0
	v_cmp_eq_u32_e32 vcc_lo, 31, v0
	s_cbranch_vccnz .LBB97_224
; %bb.223:
	v_lshlrev_b32_e32 v0, 3, v0
	scratch_load_b64 v[69:70], v0, off offset:-8
	scratch_load_b64 v[71:72], off, off offset:240
	s_wait_loadcnt 0x1
	scratch_store_b64 off, v[69:70], off offset:240
	s_wait_loadcnt 0x0
	scratch_store_b64 v0, v[71:72], off offset:-8
.LBB97_224:
	v_mov_b32_e32 v0, 0
	global_load_b32 v69, v0, s[2:3] offset:116
	s_wait_loadcnt 0x0
	v_cmp_eq_u32_e32 vcc_lo, 30, v69
	s_cbranch_vccnz .LBB97_226
; %bb.225:
	v_lshlrev_b32_e32 v69, 3, v69
	s_delay_alu instid0(VALU_DEP_1)
	v_mov_b32_e32 v73, v69
	scratch_load_b64 v[69:70], v73, off offset:-8
	scratch_load_b64 v[71:72], off, off offset:232
	s_wait_loadcnt 0x1
	scratch_store_b64 off, v[69:70], off offset:232
	s_wait_loadcnt 0x0
	scratch_store_b64 v73, v[71:72], off offset:-8
.LBB97_226:
	global_load_b32 v0, v0, s[2:3] offset:112
	s_wait_loadcnt 0x0
	v_cmp_eq_u32_e32 vcc_lo, 29, v0
	s_cbranch_vccnz .LBB97_228
; %bb.227:
	v_lshlrev_b32_e32 v0, 3, v0
	scratch_load_b64 v[69:70], v0, off offset:-8
	scratch_load_b64 v[71:72], off, off offset:224
	s_wait_loadcnt 0x1
	scratch_store_b64 off, v[69:70], off offset:224
	s_wait_loadcnt 0x0
	scratch_store_b64 v0, v[71:72], off offset:-8
.LBB97_228:
	;; [unrolled: 29-line block ×15, first 2 shown]
	v_mov_b32_e32 v0, 0
	global_load_b32 v69, v0, s[2:3] offset:4
	s_wait_loadcnt 0x0
	v_cmp_eq_u32_e32 vcc_lo, 2, v69
	s_cbranch_vccnz .LBB97_282
; %bb.281:
	v_lshlrev_b32_e32 v69, 3, v69
	s_delay_alu instid0(VALU_DEP_1)
	v_mov_b32_e32 v73, v69
	scratch_load_b64 v[69:70], v73, off offset:-8
	scratch_load_b64 v[71:72], off, off offset:8
	s_wait_loadcnt 0x1
	scratch_store_b64 off, v[69:70], off offset:8
	s_wait_loadcnt 0x0
	scratch_store_b64 v73, v[71:72], off offset:-8
.LBB97_282:
	global_load_b32 v0, v0, s[2:3]
	s_wait_loadcnt 0x0
	v_cmp_eq_u32_e32 vcc_lo, 1, v0
	s_cbranch_vccnz .LBB97_284
; %bb.283:
	v_lshlrev_b32_e32 v0, 3, v0
	scratch_load_b64 v[69:70], v0, off offset:-8
	scratch_load_b64 v[71:72], off, off
	s_wait_loadcnt 0x1
	scratch_store_b64 off, v[69:70], off
	s_wait_loadcnt 0x0
	scratch_store_b64 v0, v[71:72], off offset:-8
.LBB97_284:
	scratch_load_b64 v[69:70], off, off
	s_wait_loadcnt 0x0
	flat_store_b64 v[1:2], v[69:70]
	scratch_load_b64 v[0:1], off, off offset:8
	s_wait_loadcnt 0x0
	flat_store_b64 v[3:4], v[0:1]
	scratch_load_b64 v[0:1], off, off offset:16
	;; [unrolled: 3-line block ×33, first 2 shown]
	s_wait_loadcnt 0x0
	flat_store_b64 v[67:68], v[0:1]
	s_nop 0
	s_sendmsg sendmsg(MSG_DEALLOC_VGPRS)
	s_endpgm
	.section	.rodata,"a",@progbits
	.p2align	6, 0x0
	.amdhsa_kernel _ZN9rocsolver6v33100L18getri_kernel_smallILi34E19rocblas_complex_numIfEPKPS3_EEvT1_iilPiilS8_bb
		.amdhsa_group_segment_fixed_size 548
		.amdhsa_private_segment_fixed_size 288
		.amdhsa_kernarg_size 60
		.amdhsa_user_sgpr_count 2
		.amdhsa_user_sgpr_dispatch_ptr 0
		.amdhsa_user_sgpr_queue_ptr 0
		.amdhsa_user_sgpr_kernarg_segment_ptr 1
		.amdhsa_user_sgpr_dispatch_id 0
		.amdhsa_user_sgpr_private_segment_size 0
		.amdhsa_wavefront_size32 1
		.amdhsa_uses_dynamic_stack 0
		.amdhsa_enable_private_segment 1
		.amdhsa_system_sgpr_workgroup_id_x 1
		.amdhsa_system_sgpr_workgroup_id_y 0
		.amdhsa_system_sgpr_workgroup_id_z 0
		.amdhsa_system_sgpr_workgroup_info 0
		.amdhsa_system_vgpr_workitem_id 0
		.amdhsa_next_free_vgpr 236
		.amdhsa_next_free_sgpr 19
		.amdhsa_reserve_vcc 1
		.amdhsa_float_round_mode_32 0
		.amdhsa_float_round_mode_16_64 0
		.amdhsa_float_denorm_mode_32 3
		.amdhsa_float_denorm_mode_16_64 3
		.amdhsa_fp16_overflow 0
		.amdhsa_workgroup_processor_mode 1
		.amdhsa_memory_ordered 1
		.amdhsa_forward_progress 1
		.amdhsa_inst_pref_size 255
		.amdhsa_round_robin_scheduling 0
		.amdhsa_exception_fp_ieee_invalid_op 0
		.amdhsa_exception_fp_denorm_src 0
		.amdhsa_exception_fp_ieee_div_zero 0
		.amdhsa_exception_fp_ieee_overflow 0
		.amdhsa_exception_fp_ieee_underflow 0
		.amdhsa_exception_fp_ieee_inexact 0
		.amdhsa_exception_int_div_zero 0
	.end_amdhsa_kernel
	.section	.text._ZN9rocsolver6v33100L18getri_kernel_smallILi34E19rocblas_complex_numIfEPKPS3_EEvT1_iilPiilS8_bb,"axG",@progbits,_ZN9rocsolver6v33100L18getri_kernel_smallILi34E19rocblas_complex_numIfEPKPS3_EEvT1_iilPiilS8_bb,comdat
.Lfunc_end97:
	.size	_ZN9rocsolver6v33100L18getri_kernel_smallILi34E19rocblas_complex_numIfEPKPS3_EEvT1_iilPiilS8_bb, .Lfunc_end97-_ZN9rocsolver6v33100L18getri_kernel_smallILi34E19rocblas_complex_numIfEPKPS3_EEvT1_iilPiilS8_bb
                                        ; -- End function
	.set _ZN9rocsolver6v33100L18getri_kernel_smallILi34E19rocblas_complex_numIfEPKPS3_EEvT1_iilPiilS8_bb.num_vgpr, 236
	.set _ZN9rocsolver6v33100L18getri_kernel_smallILi34E19rocblas_complex_numIfEPKPS3_EEvT1_iilPiilS8_bb.num_agpr, 0
	.set _ZN9rocsolver6v33100L18getri_kernel_smallILi34E19rocblas_complex_numIfEPKPS3_EEvT1_iilPiilS8_bb.numbered_sgpr, 19
	.set _ZN9rocsolver6v33100L18getri_kernel_smallILi34E19rocblas_complex_numIfEPKPS3_EEvT1_iilPiilS8_bb.num_named_barrier, 0
	.set _ZN9rocsolver6v33100L18getri_kernel_smallILi34E19rocblas_complex_numIfEPKPS3_EEvT1_iilPiilS8_bb.private_seg_size, 288
	.set _ZN9rocsolver6v33100L18getri_kernel_smallILi34E19rocblas_complex_numIfEPKPS3_EEvT1_iilPiilS8_bb.uses_vcc, 1
	.set _ZN9rocsolver6v33100L18getri_kernel_smallILi34E19rocblas_complex_numIfEPKPS3_EEvT1_iilPiilS8_bb.uses_flat_scratch, 1
	.set _ZN9rocsolver6v33100L18getri_kernel_smallILi34E19rocblas_complex_numIfEPKPS3_EEvT1_iilPiilS8_bb.has_dyn_sized_stack, 0
	.set _ZN9rocsolver6v33100L18getri_kernel_smallILi34E19rocblas_complex_numIfEPKPS3_EEvT1_iilPiilS8_bb.has_recursion, 0
	.set _ZN9rocsolver6v33100L18getri_kernel_smallILi34E19rocblas_complex_numIfEPKPS3_EEvT1_iilPiilS8_bb.has_indirect_call, 0
	.section	.AMDGPU.csdata,"",@progbits
; Kernel info:
; codeLenInByte = 45256
; TotalNumSgprs: 21
; NumVgprs: 236
; ScratchSize: 288
; MemoryBound: 0
; FloatMode: 240
; IeeeMode: 1
; LDSByteSize: 548 bytes/workgroup (compile time only)
; SGPRBlocks: 0
; VGPRBlocks: 29
; NumSGPRsForWavesPerEU: 21
; NumVGPRsForWavesPerEU: 236
; Occupancy: 6
; WaveLimiterHint : 1
; COMPUTE_PGM_RSRC2:SCRATCH_EN: 1
; COMPUTE_PGM_RSRC2:USER_SGPR: 2
; COMPUTE_PGM_RSRC2:TRAP_HANDLER: 0
; COMPUTE_PGM_RSRC2:TGID_X_EN: 1
; COMPUTE_PGM_RSRC2:TGID_Y_EN: 0
; COMPUTE_PGM_RSRC2:TGID_Z_EN: 0
; COMPUTE_PGM_RSRC2:TIDIG_COMP_CNT: 0
	.section	.text._ZN9rocsolver6v33100L18getri_kernel_smallILi35E19rocblas_complex_numIfEPKPS3_EEvT1_iilPiilS8_bb,"axG",@progbits,_ZN9rocsolver6v33100L18getri_kernel_smallILi35E19rocblas_complex_numIfEPKPS3_EEvT1_iilPiilS8_bb,comdat
	.globl	_ZN9rocsolver6v33100L18getri_kernel_smallILi35E19rocblas_complex_numIfEPKPS3_EEvT1_iilPiilS8_bb ; -- Begin function _ZN9rocsolver6v33100L18getri_kernel_smallILi35E19rocblas_complex_numIfEPKPS3_EEvT1_iilPiilS8_bb
	.p2align	8
	.type	_ZN9rocsolver6v33100L18getri_kernel_smallILi35E19rocblas_complex_numIfEPKPS3_EEvT1_iilPiilS8_bb,@function
_ZN9rocsolver6v33100L18getri_kernel_smallILi35E19rocblas_complex_numIfEPKPS3_EEvT1_iilPiilS8_bb: ; @_ZN9rocsolver6v33100L18getri_kernel_smallILi35E19rocblas_complex_numIfEPKPS3_EEvT1_iilPiilS8_bb
; %bb.0:
	s_mov_b32 s2, exec_lo
	v_cmpx_gt_u32_e32 35, v0
	s_cbranch_execz .LBB98_154
; %bb.1:
	s_clause 0x1
	s_load_b32 s13, s[0:1], 0x38
	s_load_b64 s[2:3], s[0:1], 0x0
	s_mov_b32 s8, ttmp9
	s_load_b128 s[4:7], s[0:1], 0x28
	s_wait_kmcnt 0x0
	s_bitcmp1_b32 s13, 8
	s_cselect_b32 s12, -1, 0
	s_ashr_i32 s9, ttmp9, 31
	s_delay_alu instid0(SALU_CYCLE_1) | instskip(NEXT) | instid1(SALU_CYCLE_1)
	s_lshl_b64 s[10:11], s[8:9], 3
	s_add_nc_u64 s[2:3], s[2:3], s[10:11]
	s_load_b64 s[10:11], s[2:3], 0x0
	s_bfe_u32 s2, s13, 0x10008
	s_delay_alu instid0(SALU_CYCLE_1)
	s_cmp_eq_u32 s2, 0
                                        ; implicit-def: $sgpr2_sgpr3
	s_cbranch_scc1 .LBB98_3
; %bb.2:
	s_load_b96 s[16:18], s[0:1], 0x18
	s_mul_u64 s[2:3], s[4:5], s[8:9]
	s_delay_alu instid0(SALU_CYCLE_1)
	s_lshl_b64 s[2:3], s[2:3], 2
	s_wait_kmcnt 0x0
	s_ashr_i32 s5, s18, 31
	s_mov_b32 s4, s18
	s_add_nc_u64 s[2:3], s[16:17], s[2:3]
	s_lshl_b64 s[4:5], s[4:5], 2
	s_delay_alu instid0(SALU_CYCLE_1)
	s_add_nc_u64 s[2:3], s[2:3], s[4:5]
.LBB98_3:
	s_clause 0x1
	s_load_b64 s[4:5], s[0:1], 0x8
	s_load_b32 s13, s[0:1], 0x38
	v_lshlrev_b32_e32 v77, 3, v0
	s_wait_kmcnt 0x0
	s_ashr_i32 s1, s4, 31
	s_mov_b32 s0, s4
	v_add3_u32 v9, s5, s5, v0
	s_lshl_b64 s[0:1], s[0:1], 3
	s_delay_alu instid0(SALU_CYCLE_1)
	s_add_nc_u64 s[0:1], s[10:11], s[0:1]
	s_ashr_i32 s11, s5, 31
	v_add_co_u32 v1, s4, s0, v77
	s_wait_alu 0xf1ff
	v_add_co_ci_u32_e64 v2, null, s1, 0, s4
	s_mov_b32 s10, s5
	v_ashrrev_i32_e32 v10, 31, v9
	s_lshl_b64 s[10:11], s[10:11], 3
	flat_load_b64 v[5:6], v[1:2]
	v_add_co_u32 v3, vcc_lo, v1, s10
	s_delay_alu instid0(VALU_DEP_1) | instskip(SKIP_2) | instid1(VALU_DEP_1)
	v_add_co_ci_u32_e64 v4, null, s11, v2, vcc_lo
	v_add_nc_u32_e32 v12, s5, v9
	s_bitcmp0_b32 s13, 0
	v_ashrrev_i32_e32 v13, 31, v12
	s_wait_loadcnt_dscnt 0x0
	scratch_store_b64 off, v[5:6], off
	flat_load_b64 v[7:8], v[3:4]
	v_lshlrev_b64_e32 v[5:6], 3, v[9:10]
	s_delay_alu instid0(VALU_DEP_1) | instskip(SKIP_1) | instid1(VALU_DEP_2)
	v_add_co_u32 v5, vcc_lo, s0, v5
	s_wait_alu 0xfffd
	v_add_co_ci_u32_e64 v6, null, s1, v6, vcc_lo
	s_wait_loadcnt_dscnt 0x0
	scratch_store_b64 off, v[7:8], off offset:8
	flat_load_b64 v[10:11], v[5:6]
	v_lshlrev_b64_e32 v[7:8], 3, v[12:13]
	s_delay_alu instid0(VALU_DEP_1) | instskip(SKIP_1) | instid1(VALU_DEP_2)
	v_add_co_u32 v7, vcc_lo, s0, v7
	s_wait_alu 0xfffd
	v_add_co_ci_u32_e64 v8, null, s1, v8, vcc_lo
	s_wait_loadcnt_dscnt 0x0
	scratch_store_b64 off, v[10:11], off offset:16
	flat_load_b64 v[13:14], v[7:8]
	v_add_nc_u32_e32 v11, s5, v12
	s_delay_alu instid0(VALU_DEP_1) | instskip(SKIP_1) | instid1(VALU_DEP_2)
	v_ashrrev_i32_e32 v12, 31, v11
	v_add_nc_u32_e32 v15, s5, v11
	v_lshlrev_b64_e32 v[9:10], 3, v[11:12]
	s_delay_alu instid0(VALU_DEP_2) | instskip(SKIP_1) | instid1(VALU_DEP_3)
	v_ashrrev_i32_e32 v16, 31, v15
	v_add_nc_u32_e32 v18, s5, v15
	v_add_co_u32 v9, vcc_lo, s0, v9
	s_wait_alu 0xfffd
	s_delay_alu instid0(VALU_DEP_4) | instskip(SKIP_2) | instid1(VALU_DEP_2)
	v_add_co_ci_u32_e64 v10, null, s1, v10, vcc_lo
	v_lshlrev_b64_e32 v[11:12], 3, v[15:16]
	v_ashrrev_i32_e32 v19, 31, v18
	v_add_co_u32 v11, vcc_lo, s0, v11
	s_wait_alu 0xfffd
	s_delay_alu instid0(VALU_DEP_3)
	v_add_co_ci_u32_e64 v12, null, s1, v12, vcc_lo
	s_wait_loadcnt_dscnt 0x0
	scratch_store_b64 off, v[13:14], off offset:24
	flat_load_b64 v[13:14], v[9:10]
	s_wait_loadcnt_dscnt 0x0
	scratch_store_b64 off, v[13:14], off offset:32
	flat_load_b64 v[16:17], v[11:12]
	v_lshlrev_b64_e32 v[13:14], 3, v[18:19]
	s_delay_alu instid0(VALU_DEP_1) | instskip(SKIP_1) | instid1(VALU_DEP_2)
	v_add_co_u32 v13, vcc_lo, s0, v13
	s_wait_alu 0xfffd
	v_add_co_ci_u32_e64 v14, null, s1, v14, vcc_lo
	s_wait_loadcnt_dscnt 0x0
	scratch_store_b64 off, v[16:17], off offset:40
	flat_load_b64 v[19:20], v[13:14]
	v_add_nc_u32_e32 v17, s5, v18
	s_delay_alu instid0(VALU_DEP_1) | instskip(SKIP_1) | instid1(VALU_DEP_2)
	v_ashrrev_i32_e32 v18, 31, v17
	v_add_nc_u32_e32 v21, s5, v17
	v_lshlrev_b64_e32 v[15:16], 3, v[17:18]
	s_delay_alu instid0(VALU_DEP_2) | instskip(SKIP_1) | instid1(VALU_DEP_3)
	v_ashrrev_i32_e32 v22, 31, v21
	v_add_nc_u32_e32 v24, s5, v21
	v_add_co_u32 v15, vcc_lo, s0, v15
	s_wait_alu 0xfffd
	s_delay_alu instid0(VALU_DEP_4) | instskip(SKIP_2) | instid1(VALU_DEP_2)
	v_add_co_ci_u32_e64 v16, null, s1, v16, vcc_lo
	v_lshlrev_b64_e32 v[17:18], 3, v[21:22]
	v_ashrrev_i32_e32 v25, 31, v24
	v_add_co_u32 v17, vcc_lo, s0, v17
	s_wait_alu 0xfffd
	s_delay_alu instid0(VALU_DEP_3)
	v_add_co_ci_u32_e64 v18, null, s1, v18, vcc_lo
	s_wait_loadcnt_dscnt 0x0
	scratch_store_b64 off, v[19:20], off offset:48
	flat_load_b64 v[19:20], v[15:16]
	;; [unrolled: 32-line block ×9, first 2 shown]
	s_wait_loadcnt_dscnt 0x0
	scratch_store_b64 off, v[61:62], off offset:224
	flat_load_b64 v[64:65], v[59:60]
	v_lshlrev_b64_e32 v[61:62], 3, v[66:67]
	s_delay_alu instid0(VALU_DEP_1) | instskip(SKIP_1) | instid1(VALU_DEP_2)
	v_add_co_u32 v61, vcc_lo, s0, v61
	s_wait_alu 0xfffd
	v_add_co_ci_u32_e64 v62, null, s1, v62, vcc_lo
	s_wait_loadcnt_dscnt 0x0
	scratch_store_b64 off, v[64:65], off offset:232
	flat_load_b64 v[67:68], v[61:62]
	v_add_nc_u32_e32 v65, s5, v66
	s_delay_alu instid0(VALU_DEP_1) | instskip(SKIP_1) | instid1(VALU_DEP_2)
	v_ashrrev_i32_e32 v66, 31, v65
	v_add_nc_u32_e32 v69, s5, v65
	v_lshlrev_b64_e32 v[63:64], 3, v[65:66]
	s_delay_alu instid0(VALU_DEP_2) | instskip(SKIP_1) | instid1(VALU_DEP_3)
	v_ashrrev_i32_e32 v70, 31, v69
	v_add_nc_u32_e32 v72, s5, v69
	v_add_co_u32 v63, vcc_lo, s0, v63
	s_wait_alu 0xfffd
	s_delay_alu instid0(VALU_DEP_4) | instskip(SKIP_3) | instid1(VALU_DEP_3)
	v_add_co_ci_u32_e64 v64, null, s1, v64, vcc_lo
	v_lshlrev_b64_e32 v[65:66], 3, v[69:70]
	v_ashrrev_i32_e32 v73, 31, v72
	v_add_nc_u32_e32 v69, s5, v72
	v_add_co_u32 v65, vcc_lo, s0, v65
	s_wait_alu 0xfffd
	s_delay_alu instid0(VALU_DEP_4)
	v_add_co_ci_u32_e64 v66, null, s1, v66, vcc_lo
	s_wait_loadcnt_dscnt 0x0
	scratch_store_b64 off, v[67:68], off offset:240
	flat_load_b64 v[67:68], v[63:64]
	s_wait_loadcnt_dscnt 0x0
	scratch_store_b64 off, v[67:68], off offset:248
	flat_load_b64 v[70:71], v[65:66]
	v_lshlrev_b64_e32 v[67:68], 3, v[72:73]
	s_delay_alu instid0(VALU_DEP_1) | instskip(SKIP_1) | instid1(VALU_DEP_2)
	v_add_co_u32 v67, vcc_lo, s0, v67
	s_wait_alu 0xfffd
	v_add_co_ci_u32_e64 v68, null, s1, v68, vcc_lo
	s_wait_loadcnt_dscnt 0x0
	scratch_store_b64 off, v[70:71], off offset:256
	flat_load_b64 v[73:74], v[67:68]
	v_ashrrev_i32_e32 v70, 31, v69
	s_delay_alu instid0(VALU_DEP_1) | instskip(NEXT) | instid1(VALU_DEP_1)
	v_lshlrev_b64_e32 v[69:70], 3, v[69:70]
	v_add_co_u32 v69, vcc_lo, s0, v69
	s_wait_alu 0xfffd
	s_delay_alu instid0(VALU_DEP_2)
	v_add_co_ci_u32_e64 v70, null, s1, v70, vcc_lo
	s_mov_b32 s1, -1
	s_wait_loadcnt_dscnt 0x0
	scratch_store_b64 off, v[73:74], off offset:264
	flat_load_b64 v[71:72], v[69:70]
	s_wait_loadcnt_dscnt 0x0
	scratch_store_b64 off, v[71:72], off offset:272
	s_cbranch_scc1 .LBB98_152
; %bb.4:
	v_cmp_eq_u32_e64 s0, 0, v0
	s_and_saveexec_b32 s1, s0
; %bb.5:
	v_mov_b32_e32 v71, 0
	ds_store_b32 v71, v71 offset:280
; %bb.6:
	s_wait_alu 0xfffe
	s_or_b32 exec_lo, exec_lo, s1
	s_wait_storecnt_dscnt 0x0
	s_barrier_signal -1
	s_barrier_wait -1
	global_inv scope:SCOPE_SE
	scratch_load_b64 v[71:72], v77, off
	s_wait_loadcnt 0x0
	v_cmp_eq_f32_e32 vcc_lo, 0, v71
	v_cmp_eq_f32_e64 s1, 0, v72
	s_and_b32 s1, vcc_lo, s1
	s_wait_alu 0xfffe
	s_and_saveexec_b32 s4, s1
	s_cbranch_execz .LBB98_10
; %bb.7:
	v_mov_b32_e32 v71, 0
	s_mov_b32 s5, 0
	ds_load_b32 v72, v71 offset:280
	s_wait_dscnt 0x0
	v_readfirstlane_b32 s1, v72
	v_add_nc_u32_e32 v72, 1, v0
	s_cmp_eq_u32 s1, 0
	s_delay_alu instid0(VALU_DEP_1)
	v_cmp_gt_i32_e32 vcc_lo, s1, v72
	s_cselect_b32 s10, -1, 0
	s_wait_alu 0xfffe
	s_or_b32 s10, s10, vcc_lo
	s_wait_alu 0xfffe
	s_and_b32 exec_lo, exec_lo, s10
	s_cbranch_execz .LBB98_10
; %bb.8:
	v_mov_b32_e32 v73, s1
.LBB98_9:                               ; =>This Inner Loop Header: Depth=1
	ds_cmpstore_rtn_b32 v73, v71, v72, v73 offset:280
	s_wait_dscnt 0x0
	v_cmp_ne_u32_e32 vcc_lo, 0, v73
	v_cmp_le_i32_e64 s1, v73, v72
	s_and_b32 s1, vcc_lo, s1
	s_wait_alu 0xfffe
	s_and_b32 s1, exec_lo, s1
	s_wait_alu 0xfffe
	s_or_b32 s5, s1, s5
	s_wait_alu 0xfffe
	s_and_not1_b32 exec_lo, exec_lo, s5
	s_cbranch_execnz .LBB98_9
.LBB98_10:
	s_wait_alu 0xfffe
	s_or_b32 exec_lo, exec_lo, s4
	v_mov_b32_e32 v71, 0
	s_barrier_signal -1
	s_barrier_wait -1
	global_inv scope:SCOPE_SE
	ds_load_b32 v72, v71 offset:280
	s_and_saveexec_b32 s1, s0
	s_cbranch_execz .LBB98_12
; %bb.11:
	s_lshl_b64 s[4:5], s[8:9], 2
	s_wait_alu 0xfffe
	s_add_nc_u64 s[4:5], s[6:7], s[4:5]
	s_wait_dscnt 0x0
	global_store_b32 v71, v72, s[4:5]
.LBB98_12:
	s_wait_alu 0xfffe
	s_or_b32 exec_lo, exec_lo, s1
	s_wait_dscnt 0x0
	v_cmp_ne_u32_e32 vcc_lo, 0, v72
	s_mov_b32 s1, 0
	s_cbranch_vccnz .LBB98_152
; %bb.13:
	v_mov_b32_e32 v78, v77
                                        ; implicit-def: $vgpr73
                                        ; implicit-def: $vgpr75
	scratch_load_b64 v[71:72], v78, off
	s_wait_loadcnt 0x0
	v_cmp_ngt_f32_e64 s1, |v71|, |v72|
	s_wait_alu 0xfffe
	s_and_saveexec_b32 s4, s1
	s_wait_alu 0xfffe
	s_xor_b32 s1, exec_lo, s4
	s_cbranch_execz .LBB98_15
; %bb.14:
	v_div_scale_f32 v73, null, v72, v72, v71
	v_div_scale_f32 v76, vcc_lo, v71, v72, v71
	s_delay_alu instid0(VALU_DEP_2) | instskip(NEXT) | instid1(TRANS32_DEP_1)
	v_rcp_f32_e32 v74, v73
	v_fma_f32 v75, -v73, v74, 1.0
	s_delay_alu instid0(VALU_DEP_1) | instskip(NEXT) | instid1(VALU_DEP_1)
	v_fmac_f32_e32 v74, v75, v74
	v_mul_f32_e32 v75, v76, v74
	s_delay_alu instid0(VALU_DEP_1) | instskip(NEXT) | instid1(VALU_DEP_1)
	v_fma_f32 v79, -v73, v75, v76
	v_fmac_f32_e32 v75, v79, v74
	s_delay_alu instid0(VALU_DEP_1) | instskip(SKIP_1) | instid1(VALU_DEP_1)
	v_fma_f32 v73, -v73, v75, v76
	s_wait_alu 0xfffd
	v_div_fmas_f32 v73, v73, v74, v75
	s_delay_alu instid0(VALU_DEP_1) | instskip(NEXT) | instid1(VALU_DEP_1)
	v_div_fixup_f32 v73, v73, v72, v71
	v_fmac_f32_e32 v72, v71, v73
	s_delay_alu instid0(VALU_DEP_1) | instskip(NEXT) | instid1(VALU_DEP_1)
	v_div_scale_f32 v71, null, v72, v72, 1.0
	v_rcp_f32_e32 v74, v71
	s_delay_alu instid0(TRANS32_DEP_1) | instskip(NEXT) | instid1(VALU_DEP_1)
	v_fma_f32 v75, -v71, v74, 1.0
	v_fmac_f32_e32 v74, v75, v74
	v_div_scale_f32 v75, vcc_lo, 1.0, v72, 1.0
	s_delay_alu instid0(VALU_DEP_1) | instskip(NEXT) | instid1(VALU_DEP_1)
	v_mul_f32_e32 v76, v75, v74
	v_fma_f32 v79, -v71, v76, v75
	s_delay_alu instid0(VALU_DEP_1) | instskip(NEXT) | instid1(VALU_DEP_1)
	v_fmac_f32_e32 v76, v79, v74
	v_fma_f32 v71, -v71, v76, v75
	s_wait_alu 0xfffd
	s_delay_alu instid0(VALU_DEP_1) | instskip(NEXT) | instid1(VALU_DEP_1)
	v_div_fmas_f32 v71, v71, v74, v76
	v_div_fixup_f32 v71, v71, v72, 1.0
	s_delay_alu instid0(VALU_DEP_1) | instskip(SKIP_1) | instid1(VALU_DEP_2)
	v_mul_f32_e32 v73, v73, v71
	v_xor_b32_e32 v74, 0x80000000, v71
                                        ; implicit-def: $vgpr71_vgpr72
	v_xor_b32_e32 v75, 0x80000000, v73
.LBB98_15:
	s_wait_alu 0xfffe
	s_and_not1_saveexec_b32 s1, s1
	s_cbranch_execz .LBB98_17
; %bb.16:
	v_div_scale_f32 v73, null, v71, v71, v72
	v_div_scale_f32 v76, vcc_lo, v72, v71, v72
	s_delay_alu instid0(VALU_DEP_2) | instskip(NEXT) | instid1(TRANS32_DEP_1)
	v_rcp_f32_e32 v74, v73
	v_fma_f32 v75, -v73, v74, 1.0
	s_delay_alu instid0(VALU_DEP_1) | instskip(NEXT) | instid1(VALU_DEP_1)
	v_fmac_f32_e32 v74, v75, v74
	v_mul_f32_e32 v75, v76, v74
	s_delay_alu instid0(VALU_DEP_1) | instskip(NEXT) | instid1(VALU_DEP_1)
	v_fma_f32 v79, -v73, v75, v76
	v_fmac_f32_e32 v75, v79, v74
	s_delay_alu instid0(VALU_DEP_1) | instskip(SKIP_1) | instid1(VALU_DEP_1)
	v_fma_f32 v73, -v73, v75, v76
	s_wait_alu 0xfffd
	v_div_fmas_f32 v73, v73, v74, v75
	s_delay_alu instid0(VALU_DEP_1) | instskip(NEXT) | instid1(VALU_DEP_1)
	v_div_fixup_f32 v74, v73, v71, v72
	v_fmac_f32_e32 v71, v72, v74
	s_delay_alu instid0(VALU_DEP_1) | instskip(SKIP_1) | instid1(VALU_DEP_2)
	v_div_scale_f32 v72, null, v71, v71, 1.0
	v_div_scale_f32 v76, vcc_lo, 1.0, v71, 1.0
	v_rcp_f32_e32 v73, v72
	s_delay_alu instid0(TRANS32_DEP_1) | instskip(NEXT) | instid1(VALU_DEP_1)
	v_fma_f32 v75, -v72, v73, 1.0
	v_fmac_f32_e32 v73, v75, v73
	s_delay_alu instid0(VALU_DEP_1) | instskip(NEXT) | instid1(VALU_DEP_1)
	v_mul_f32_e32 v75, v76, v73
	v_fma_f32 v79, -v72, v75, v76
	s_delay_alu instid0(VALU_DEP_1) | instskip(NEXT) | instid1(VALU_DEP_1)
	v_fmac_f32_e32 v75, v79, v73
	v_fma_f32 v72, -v72, v75, v76
	s_wait_alu 0xfffd
	s_delay_alu instid0(VALU_DEP_1) | instskip(NEXT) | instid1(VALU_DEP_1)
	v_div_fmas_f32 v72, v72, v73, v75
	v_div_fixup_f32 v73, v72, v71, 1.0
	s_delay_alu instid0(VALU_DEP_1)
	v_xor_b32_e32 v75, 0x80000000, v73
	v_mul_f32_e64 v74, v74, -v73
.LBB98_17:
	s_wait_alu 0xfffe
	s_or_b32 exec_lo, exec_lo, s1
	scratch_store_b64 v78, v[73:74], off
	scratch_load_b64 v[72:73], off, off offset:8
	v_xor_b32_e32 v76, 0x80000000, v74
	v_add_nc_u32_e32 v71, 0x120, v77
	s_wait_loadcnt 0x0
	ds_store_2addr_b64 v77, v[75:76], v[72:73] offset1:36
	s_wait_storecnt_dscnt 0x0
	s_barrier_signal -1
	s_barrier_wait -1
	global_inv scope:SCOPE_SE
	s_and_saveexec_b32 s1, s0
	s_cbranch_execz .LBB98_19
; %bb.18:
	scratch_load_b64 v[72:73], v78, off
	ds_load_b64 v[74:75], v71
	v_mov_b32_e32 v76, 0
	ds_load_b64 v[79:80], v76 offset:8
	s_wait_loadcnt_dscnt 0x1
	v_mul_f32_e32 v76, v74, v73
	v_mul_f32_e32 v73, v75, v73
	s_delay_alu instid0(VALU_DEP_2) | instskip(NEXT) | instid1(VALU_DEP_2)
	v_fmac_f32_e32 v76, v75, v72
	v_fma_f32 v72, v74, v72, -v73
	s_delay_alu instid0(VALU_DEP_2) | instskip(NEXT) | instid1(VALU_DEP_2)
	v_add_f32_e32 v74, 0, v76
	v_add_f32_e32 v72, 0, v72
	s_wait_dscnt 0x0
	s_delay_alu instid0(VALU_DEP_2) | instskip(NEXT) | instid1(VALU_DEP_2)
	v_mul_f32_e32 v75, v74, v80
	v_mul_f32_e32 v73, v72, v80
	s_delay_alu instid0(VALU_DEP_2) | instskip(NEXT) | instid1(VALU_DEP_2)
	v_fma_f32 v72, v72, v79, -v75
	v_fmac_f32_e32 v73, v74, v79
	scratch_store_b64 off, v[72:73], off offset:8
.LBB98_19:
	s_wait_alu 0xfffe
	s_or_b32 exec_lo, exec_lo, s1
	s_wait_loadcnt 0x0
	s_wait_storecnt 0x0
	s_barrier_signal -1
	s_barrier_wait -1
	global_inv scope:SCOPE_SE
	scratch_load_b64 v[72:73], off, off offset:16
	s_mov_b32 s1, exec_lo
	s_wait_loadcnt 0x0
	ds_store_b64 v71, v[72:73]
	s_wait_dscnt 0x0
	s_barrier_signal -1
	s_barrier_wait -1
	global_inv scope:SCOPE_SE
	v_cmpx_gt_u32_e32 2, v0
	s_cbranch_execz .LBB98_23
; %bb.20:
	scratch_load_b64 v[72:73], v78, off
	ds_load_b64 v[74:75], v71
	s_wait_loadcnt_dscnt 0x0
	v_mul_f32_e32 v76, v75, v73
	v_mul_f32_e32 v79, v74, v73
	s_delay_alu instid0(VALU_DEP_2) | instskip(NEXT) | instid1(VALU_DEP_2)
	v_fma_f32 v73, v74, v72, -v76
	v_fmac_f32_e32 v79, v75, v72
	s_delay_alu instid0(VALU_DEP_1)
	v_dual_add_f32 v73, 0, v73 :: v_dual_add_f32 v72, 0, v79
	s_and_saveexec_b32 s4, s0
	s_cbranch_execz .LBB98_22
; %bb.21:
	scratch_load_b64 v[74:75], off, off offset:8
	v_mov_b32_e32 v76, 0
	ds_load_b64 v[79:80], v76 offset:296
	s_wait_loadcnt_dscnt 0x0
	v_mul_f32_e32 v76, v79, v75
	v_mul_f32_e32 v75, v80, v75
	s_delay_alu instid0(VALU_DEP_2) | instskip(NEXT) | instid1(VALU_DEP_2)
	v_fmac_f32_e32 v76, v80, v74
	v_fma_f32 v74, v79, v74, -v75
	s_delay_alu instid0(VALU_DEP_1)
	v_dual_add_f32 v72, v72, v76 :: v_dual_add_f32 v73, v73, v74
.LBB98_22:
	s_wait_alu 0xfffe
	s_or_b32 exec_lo, exec_lo, s4
	v_mov_b32_e32 v74, 0
	ds_load_b64 v[74:75], v74 offset:16
	s_wait_dscnt 0x0
	v_mul_f32_e32 v79, v72, v75
	v_mul_f32_e32 v76, v73, v75
	s_delay_alu instid0(VALU_DEP_2) | instskip(NEXT) | instid1(VALU_DEP_2)
	v_fma_f32 v75, v73, v74, -v79
	v_fmac_f32_e32 v76, v72, v74
	scratch_store_b64 off, v[75:76], off offset:16
.LBB98_23:
	s_wait_alu 0xfffe
	s_or_b32 exec_lo, exec_lo, s1
	s_wait_loadcnt 0x0
	s_wait_storecnt 0x0
	s_barrier_signal -1
	s_barrier_wait -1
	global_inv scope:SCOPE_SE
	scratch_load_b64 v[73:74], off, off offset:24
	v_add_nc_u32_e32 v72, -1, v0
	s_mov_b32 s0, exec_lo
	s_wait_loadcnt 0x0
	ds_store_b64 v71, v[73:74]
	s_wait_dscnt 0x0
	s_barrier_signal -1
	s_barrier_wait -1
	global_inv scope:SCOPE_SE
	v_cmpx_gt_u32_e32 3, v0
	s_cbranch_execz .LBB98_27
; %bb.24:
	v_dual_mov_b32 v73, 0 :: v_dual_add_nc_u32 v74, -1, v0
	v_dual_mov_b32 v76, v77 :: v_dual_add_nc_u32 v75, 0x120, v77
	v_mov_b32_e32 v79, 0
	s_mov_b32 s1, 0
.LBB98_25:                              ; =>This Inner Loop Header: Depth=1
	scratch_load_b64 v[80:81], v76, off
	ds_load_b64 v[82:83], v75
	v_add_nc_u32_e32 v74, 1, v74
	v_add_nc_u32_e32 v75, 8, v75
	s_delay_alu instid0(VALU_DEP_2)
	v_cmp_lt_u32_e32 vcc_lo, 1, v74
	s_wait_alu 0xfffe
	s_or_b32 s1, vcc_lo, s1
	s_wait_loadcnt_dscnt 0x0
	v_mul_f32_e32 v84, v83, v81
	v_mul_f32_e32 v81, v82, v81
	s_delay_alu instid0(VALU_DEP_2) | instskip(NEXT) | instid1(VALU_DEP_2)
	v_fma_f32 v82, v82, v80, -v84
	v_fmac_f32_e32 v81, v83, v80
	s_delay_alu instid0(VALU_DEP_2) | instskip(NEXT) | instid1(VALU_DEP_2)
	v_dual_add_f32 v79, v79, v82 :: v_dual_add_nc_u32 v76, 8, v76
	v_add_f32_e32 v73, v73, v81
	s_wait_alu 0xfffe
	s_and_not1_b32 exec_lo, exec_lo, s1
	s_cbranch_execnz .LBB98_25
; %bb.26:
	s_or_b32 exec_lo, exec_lo, s1
	v_mov_b32_e32 v74, 0
	ds_load_b64 v[74:75], v74 offset:24
	s_wait_dscnt 0x0
	v_mul_f32_e32 v80, v73, v75
	v_mul_f32_e32 v76, v79, v75
	s_delay_alu instid0(VALU_DEP_2) | instskip(NEXT) | instid1(VALU_DEP_2)
	v_fma_f32 v75, v79, v74, -v80
	v_fmac_f32_e32 v76, v73, v74
	scratch_store_b64 off, v[75:76], off offset:24
.LBB98_27:
	s_wait_alu 0xfffe
	s_or_b32 exec_lo, exec_lo, s0
	s_wait_loadcnt 0x0
	s_wait_storecnt 0x0
	s_barrier_signal -1
	s_barrier_wait -1
	global_inv scope:SCOPE_SE
	scratch_load_b64 v[73:74], off, off offset:32
	s_mov_b32 s0, exec_lo
	s_wait_loadcnt 0x0
	ds_store_b64 v71, v[73:74]
	s_wait_dscnt 0x0
	s_barrier_signal -1
	s_barrier_wait -1
	global_inv scope:SCOPE_SE
	v_cmpx_gt_u32_e32 4, v0
	s_cbranch_execz .LBB98_31
; %bb.28:
	v_dual_mov_b32 v73, 0 :: v_dual_add_nc_u32 v74, -1, v0
	v_dual_mov_b32 v76, v77 :: v_dual_add_nc_u32 v75, 0x120, v77
	v_mov_b32_e32 v79, 0
	s_mov_b32 s1, 0
.LBB98_29:                              ; =>This Inner Loop Header: Depth=1
	scratch_load_b64 v[80:81], v76, off
	ds_load_b64 v[82:83], v75
	v_add_nc_u32_e32 v74, 1, v74
	v_add_nc_u32_e32 v75, 8, v75
	s_delay_alu instid0(VALU_DEP_2)
	v_cmp_lt_u32_e32 vcc_lo, 2, v74
	s_wait_alu 0xfffe
	s_or_b32 s1, vcc_lo, s1
	s_wait_loadcnt_dscnt 0x0
	v_mul_f32_e32 v84, v83, v81
	v_mul_f32_e32 v81, v82, v81
	s_delay_alu instid0(VALU_DEP_2) | instskip(NEXT) | instid1(VALU_DEP_2)
	v_fma_f32 v82, v82, v80, -v84
	v_fmac_f32_e32 v81, v83, v80
	s_delay_alu instid0(VALU_DEP_2) | instskip(NEXT) | instid1(VALU_DEP_2)
	v_dual_add_f32 v79, v79, v82 :: v_dual_add_nc_u32 v76, 8, v76
	v_add_f32_e32 v73, v73, v81
	s_wait_alu 0xfffe
	s_and_not1_b32 exec_lo, exec_lo, s1
	s_cbranch_execnz .LBB98_29
; %bb.30:
	s_or_b32 exec_lo, exec_lo, s1
	v_mov_b32_e32 v74, 0
	ds_load_b64 v[74:75], v74 offset:32
	s_wait_dscnt 0x0
	v_mul_f32_e32 v80, v73, v75
	v_mul_f32_e32 v76, v79, v75
	s_delay_alu instid0(VALU_DEP_2) | instskip(NEXT) | instid1(VALU_DEP_2)
	v_fma_f32 v75, v79, v74, -v80
	v_fmac_f32_e32 v76, v73, v74
	scratch_store_b64 off, v[75:76], off offset:32
.LBB98_31:
	s_wait_alu 0xfffe
	s_or_b32 exec_lo, exec_lo, s0
	s_wait_loadcnt 0x0
	s_wait_storecnt 0x0
	s_barrier_signal -1
	s_barrier_wait -1
	global_inv scope:SCOPE_SE
	scratch_load_b64 v[73:74], off, off offset:40
	;; [unrolled: 55-line block ×19, first 2 shown]
	s_mov_b32 s0, exec_lo
	s_wait_loadcnt 0x0
	ds_store_b64 v71, v[73:74]
	s_wait_dscnt 0x0
	s_barrier_signal -1
	s_barrier_wait -1
	global_inv scope:SCOPE_SE
	v_cmpx_gt_u32_e32 22, v0
	s_cbranch_execz .LBB98_103
; %bb.100:
	v_dual_mov_b32 v73, 0 :: v_dual_add_nc_u32 v74, -1, v0
	v_dual_mov_b32 v76, v77 :: v_dual_add_nc_u32 v75, 0x120, v77
	v_mov_b32_e32 v79, 0
	s_mov_b32 s1, 0
.LBB98_101:                             ; =>This Inner Loop Header: Depth=1
	scratch_load_b64 v[80:81], v76, off
	ds_load_b64 v[82:83], v75
	v_add_nc_u32_e32 v74, 1, v74
	v_add_nc_u32_e32 v75, 8, v75
	s_delay_alu instid0(VALU_DEP_2)
	v_cmp_lt_u32_e32 vcc_lo, 20, v74
	s_wait_alu 0xfffe
	s_or_b32 s1, vcc_lo, s1
	s_wait_loadcnt_dscnt 0x0
	v_mul_f32_e32 v84, v83, v81
	v_mul_f32_e32 v81, v82, v81
	s_delay_alu instid0(VALU_DEP_2) | instskip(NEXT) | instid1(VALU_DEP_2)
	v_fma_f32 v82, v82, v80, -v84
	v_fmac_f32_e32 v81, v83, v80
	s_delay_alu instid0(VALU_DEP_2) | instskip(NEXT) | instid1(VALU_DEP_2)
	v_dual_add_f32 v79, v79, v82 :: v_dual_add_nc_u32 v76, 8, v76
	v_add_f32_e32 v73, v73, v81
	s_wait_alu 0xfffe
	s_and_not1_b32 exec_lo, exec_lo, s1
	s_cbranch_execnz .LBB98_101
; %bb.102:
	s_or_b32 exec_lo, exec_lo, s1
	v_mov_b32_e32 v74, 0
	ds_load_b64 v[74:75], v74 offset:176
	s_wait_dscnt 0x0
	v_mul_f32_e32 v80, v73, v75
	v_mul_f32_e32 v76, v79, v75
	s_delay_alu instid0(VALU_DEP_2) | instskip(NEXT) | instid1(VALU_DEP_2)
	v_fma_f32 v75, v79, v74, -v80
	v_fmac_f32_e32 v76, v73, v74
	scratch_store_b64 off, v[75:76], off offset:176
.LBB98_103:
	s_wait_alu 0xfffe
	s_or_b32 exec_lo, exec_lo, s0
	s_wait_loadcnt 0x0
	s_wait_storecnt 0x0
	s_barrier_signal -1
	s_barrier_wait -1
	global_inv scope:SCOPE_SE
	scratch_load_b64 v[73:74], off, off offset:184
	s_mov_b32 s0, exec_lo
	s_wait_loadcnt 0x0
	ds_store_b64 v71, v[73:74]
	s_wait_dscnt 0x0
	s_barrier_signal -1
	s_barrier_wait -1
	global_inv scope:SCOPE_SE
	v_cmpx_gt_u32_e32 23, v0
	s_cbranch_execz .LBB98_107
; %bb.104:
	v_dual_mov_b32 v73, 0 :: v_dual_add_nc_u32 v74, -1, v0
	v_dual_mov_b32 v76, v77 :: v_dual_add_nc_u32 v75, 0x120, v77
	v_mov_b32_e32 v79, 0
	s_mov_b32 s1, 0
.LBB98_105:                             ; =>This Inner Loop Header: Depth=1
	scratch_load_b64 v[80:81], v76, off
	ds_load_b64 v[82:83], v75
	v_add_nc_u32_e32 v74, 1, v74
	v_add_nc_u32_e32 v75, 8, v75
	s_delay_alu instid0(VALU_DEP_2)
	v_cmp_lt_u32_e32 vcc_lo, 21, v74
	s_wait_alu 0xfffe
	s_or_b32 s1, vcc_lo, s1
	s_wait_loadcnt_dscnt 0x0
	v_mul_f32_e32 v84, v83, v81
	v_mul_f32_e32 v81, v82, v81
	s_delay_alu instid0(VALU_DEP_2) | instskip(NEXT) | instid1(VALU_DEP_2)
	v_fma_f32 v82, v82, v80, -v84
	v_fmac_f32_e32 v81, v83, v80
	s_delay_alu instid0(VALU_DEP_2) | instskip(NEXT) | instid1(VALU_DEP_2)
	v_dual_add_f32 v79, v79, v82 :: v_dual_add_nc_u32 v76, 8, v76
	v_add_f32_e32 v73, v73, v81
	s_wait_alu 0xfffe
	s_and_not1_b32 exec_lo, exec_lo, s1
	s_cbranch_execnz .LBB98_105
; %bb.106:
	s_or_b32 exec_lo, exec_lo, s1
	v_mov_b32_e32 v74, 0
	ds_load_b64 v[74:75], v74 offset:184
	s_wait_dscnt 0x0
	v_mul_f32_e32 v80, v73, v75
	v_mul_f32_e32 v76, v79, v75
	s_delay_alu instid0(VALU_DEP_2) | instskip(NEXT) | instid1(VALU_DEP_2)
	v_fma_f32 v75, v79, v74, -v80
	v_fmac_f32_e32 v76, v73, v74
	scratch_store_b64 off, v[75:76], off offset:184
.LBB98_107:
	s_wait_alu 0xfffe
	s_or_b32 exec_lo, exec_lo, s0
	s_wait_loadcnt 0x0
	s_wait_storecnt 0x0
	s_barrier_signal -1
	s_barrier_wait -1
	global_inv scope:SCOPE_SE
	scratch_load_b64 v[73:74], off, off offset:192
	;; [unrolled: 55-line block ×11, first 2 shown]
	s_mov_b32 s0, exec_lo
	s_wait_loadcnt 0x0
	ds_store_b64 v71, v[73:74]
	s_wait_dscnt 0x0
	s_barrier_signal -1
	s_barrier_wait -1
	global_inv scope:SCOPE_SE
	v_cmpx_gt_u32_e32 33, v0
	s_cbranch_execz .LBB98_147
; %bb.144:
	v_dual_mov_b32 v73, 0 :: v_dual_add_nc_u32 v74, -1, v0
	v_dual_mov_b32 v76, v77 :: v_dual_add_nc_u32 v75, 0x120, v77
	v_mov_b32_e32 v77, 0
	s_mov_b32 s1, 0
.LBB98_145:                             ; =>This Inner Loop Header: Depth=1
	scratch_load_b64 v[79:80], v76, off
	ds_load_b64 v[81:82], v75
	v_add_nc_u32_e32 v76, 8, v76
	v_add_nc_u32_e32 v74, 1, v74
	;; [unrolled: 1-line block ×3, first 2 shown]
	s_delay_alu instid0(VALU_DEP_2)
	v_cmp_lt_u32_e32 vcc_lo, 31, v74
	s_wait_alu 0xfffe
	s_or_b32 s1, vcc_lo, s1
	s_wait_loadcnt_dscnt 0x0
	v_mul_f32_e32 v83, v82, v80
	v_mul_f32_e32 v80, v81, v80
	s_delay_alu instid0(VALU_DEP_2) | instskip(NEXT) | instid1(VALU_DEP_1)
	v_fma_f32 v81, v81, v79, -v83
	v_dual_fmac_f32 v80, v82, v79 :: v_dual_add_f32 v77, v77, v81
	s_delay_alu instid0(VALU_DEP_1)
	v_add_f32_e32 v73, v73, v80
	s_wait_alu 0xfffe
	s_and_not1_b32 exec_lo, exec_lo, s1
	s_cbranch_execnz .LBB98_145
; %bb.146:
	s_or_b32 exec_lo, exec_lo, s1
	v_mov_b32_e32 v74, 0
	ds_load_b64 v[74:75], v74 offset:264
	s_wait_dscnt 0x0
	v_mul_f32_e32 v79, v73, v75
	v_mul_f32_e32 v76, v77, v75
	s_delay_alu instid0(VALU_DEP_2) | instskip(NEXT) | instid1(VALU_DEP_2)
	v_fma_f32 v75, v77, v74, -v79
	v_fmac_f32_e32 v76, v73, v74
	scratch_store_b64 off, v[75:76], off offset:264
.LBB98_147:
	s_wait_alu 0xfffe
	s_or_b32 exec_lo, exec_lo, s0
	s_wait_loadcnt 0x0
	s_wait_storecnt 0x0
	s_barrier_signal -1
	s_barrier_wait -1
	global_inv scope:SCOPE_SE
	scratch_load_b64 v[73:74], off, off offset:272
	s_mov_b32 s0, exec_lo
	s_wait_loadcnt 0x0
	ds_store_b64 v71, v[73:74]
	s_wait_dscnt 0x0
	s_barrier_signal -1
	s_barrier_wait -1
	global_inv scope:SCOPE_SE
	v_cmpx_ne_u32_e32 34, v0
	s_cbranch_execz .LBB98_151
; %bb.148:
	v_dual_mov_b32 v73, 0 :: v_dual_mov_b32 v74, 0
	s_mov_b32 s1, 0
.LBB98_149:                             ; =>This Inner Loop Header: Depth=1
	scratch_load_b64 v[75:76], v78, off
	ds_load_b64 v[79:80], v71
	v_add_nc_u32_e32 v72, 1, v72
	v_add_nc_u32_e32 v71, 8, v71
	;; [unrolled: 1-line block ×3, first 2 shown]
	s_delay_alu instid0(VALU_DEP_3)
	v_cmp_lt_u32_e32 vcc_lo, 32, v72
	s_wait_alu 0xfffe
	s_or_b32 s1, vcc_lo, s1
	s_wait_loadcnt_dscnt 0x0
	v_mul_f32_e32 v77, v80, v76
	v_mul_f32_e32 v76, v79, v76
	s_delay_alu instid0(VALU_DEP_2) | instskip(NEXT) | instid1(VALU_DEP_2)
	v_fma_f32 v77, v79, v75, -v77
	v_fmac_f32_e32 v76, v80, v75
	s_delay_alu instid0(VALU_DEP_1)
	v_dual_add_f32 v74, v74, v77 :: v_dual_add_f32 v73, v73, v76
	s_wait_alu 0xfffe
	s_and_not1_b32 exec_lo, exec_lo, s1
	s_cbranch_execnz .LBB98_149
; %bb.150:
	s_or_b32 exec_lo, exec_lo, s1
	v_mov_b32_e32 v71, 0
	ds_load_b64 v[71:72], v71 offset:272
	s_wait_dscnt 0x0
	v_mul_f32_e32 v76, v73, v72
	v_mul_f32_e32 v75, v74, v72
	s_delay_alu instid0(VALU_DEP_2) | instskip(NEXT) | instid1(VALU_DEP_2)
	v_fma_f32 v74, v74, v71, -v76
	v_fmac_f32_e32 v75, v73, v71
	scratch_store_b64 off, v[74:75], off offset:272
.LBB98_151:
	s_wait_alu 0xfffe
	s_or_b32 exec_lo, exec_lo, s0
	s_mov_b32 s1, -1
	s_wait_loadcnt 0x0
	s_wait_storecnt 0x0
	s_barrier_signal -1
	s_barrier_wait -1
	global_inv scope:SCOPE_SE
.LBB98_152:
	s_wait_alu 0xfffe
	s_and_b32 vcc_lo, exec_lo, s1
	s_wait_alu 0xfffe
	s_cbranch_vccz .LBB98_154
; %bb.153:
	v_mov_b32_e32 v71, 0
	s_lshl_b64 s[0:1], s[8:9], 2
	s_wait_alu 0xfffe
	s_add_nc_u64 s[0:1], s[6:7], s[0:1]
	global_load_b32 v71, v71, s[0:1]
	s_wait_loadcnt 0x0
	v_cmp_ne_u32_e32 vcc_lo, 0, v71
	s_cbranch_vccz .LBB98_155
.LBB98_154:
	s_nop 0
	s_sendmsg sendmsg(MSG_DEALLOC_VGPRS)
	s_endpgm
.LBB98_155:
	v_lshl_add_u32 v73, v0, 3, 0x120
	s_mov_b32 s0, exec_lo
	v_cmpx_eq_u32_e32 34, v0
	s_cbranch_execz .LBB98_157
; %bb.156:
	scratch_load_b64 v[71:72], off, off offset:264
	v_mov_b32_e32 v74, 0
	s_delay_alu instid0(VALU_DEP_1)
	v_mov_b32_e32 v75, v74
	scratch_store_b64 off, v[74:75], off offset:264
	s_wait_loadcnt 0x0
	ds_store_b64 v73, v[71:72]
.LBB98_157:
	s_wait_alu 0xfffe
	s_or_b32 exec_lo, exec_lo, s0
	s_wait_storecnt_dscnt 0x0
	s_barrier_signal -1
	s_barrier_wait -1
	global_inv scope:SCOPE_SE
	s_clause 0x1
	scratch_load_b64 v[74:75], off, off offset:272
	scratch_load_b64 v[76:77], off, off offset:264
	v_mov_b32_e32 v71, 0
	s_mov_b32 s0, exec_lo
	ds_load_b64 v[78:79], v71 offset:560
	s_wait_loadcnt_dscnt 0x100
	v_mul_f32_e32 v72, v79, v75
	s_delay_alu instid0(VALU_DEP_1) | instskip(NEXT) | instid1(VALU_DEP_1)
	v_fma_f32 v72, v78, v74, -v72
	v_dual_mul_f32 v75, v78, v75 :: v_dual_add_f32 v72, 0, v72
	s_wait_loadcnt 0x0
	s_delay_alu instid0(VALU_DEP_1) | instskip(NEXT) | instid1(VALU_DEP_1)
	v_dual_fmac_f32 v75, v79, v74 :: v_dual_sub_f32 v74, v76, v72
	v_add_f32_e32 v75, 0, v75
	s_delay_alu instid0(VALU_DEP_1)
	v_sub_f32_e32 v75, v77, v75
	scratch_store_b64 off, v[74:75], off offset:264
	v_cmpx_lt_u32_e32 32, v0
	s_cbranch_execz .LBB98_159
; %bb.158:
	scratch_load_b64 v[74:75], off, off offset:256
	v_mov_b32_e32 v72, v71
	scratch_store_b64 off, v[71:72], off offset:256
	s_wait_loadcnt 0x0
	ds_store_b64 v73, v[74:75]
.LBB98_159:
	s_wait_alu 0xfffe
	s_or_b32 exec_lo, exec_lo, s0
	s_wait_storecnt_dscnt 0x0
	s_barrier_signal -1
	s_barrier_wait -1
	global_inv scope:SCOPE_SE
	s_clause 0x1
	scratch_load_b128 v[74:77], off, off offset:264
	scratch_load_b64 v[82:83], off, off offset:256
	ds_load_2addr_b64 v[78:81], v71 offset0:69 offset1:70
	s_mov_b32 s0, exec_lo
	s_wait_loadcnt_dscnt 0x100
	v_mul_f32_e32 v72, v78, v75
	s_delay_alu instid0(VALU_DEP_1) | instskip(SKIP_2) | instid1(VALU_DEP_1)
	v_fmac_f32_e32 v72, v79, v74
	v_mul_f32_e32 v71, v79, v75
	v_mul_f32_e32 v75, v80, v77
	v_fmac_f32_e32 v75, v81, v76
	s_delay_alu instid0(VALU_DEP_4) | instskip(NEXT) | instid1(VALU_DEP_4)
	v_dual_add_f32 v72, 0, v72 :: v_dual_mul_f32 v77, v81, v77
	v_fma_f32 v71, v78, v74, -v71
	s_delay_alu instid0(VALU_DEP_2) | instskip(NEXT) | instid1(VALU_DEP_3)
	v_add_f32_e32 v72, v72, v75
	v_fma_f32 v74, v80, v76, -v77
	s_wait_loadcnt 0x0
	s_delay_alu instid0(VALU_DEP_2) | instskip(NEXT) | instid1(VALU_DEP_1)
	v_dual_add_f32 v71, 0, v71 :: v_dual_sub_f32 v72, v83, v72
	v_add_f32_e32 v71, v71, v74
	s_delay_alu instid0(VALU_DEP_1)
	v_sub_f32_e32 v71, v82, v71
	scratch_store_b64 off, v[71:72], off offset:256
	v_cmpx_lt_u32_e32 31, v0
	s_cbranch_execz .LBB98_161
; %bb.160:
	scratch_load_b64 v[71:72], off, off offset:248
	v_mov_b32_e32 v74, 0
	s_delay_alu instid0(VALU_DEP_1)
	v_mov_b32_e32 v75, v74
	scratch_store_b64 off, v[74:75], off offset:248
	s_wait_loadcnt 0x0
	ds_store_b64 v73, v[71:72]
.LBB98_161:
	s_wait_alu 0xfffe
	s_or_b32 exec_lo, exec_lo, s0
	s_wait_storecnt_dscnt 0x0
	s_barrier_signal -1
	s_barrier_wait -1
	global_inv scope:SCOPE_SE
	s_clause 0x2
	scratch_load_b128 v[74:77], off, off offset:256
	scratch_load_b64 v[82:83], off, off offset:272
	scratch_load_b64 v[84:85], off, off offset:248
	v_mov_b32_e32 v71, 0
	ds_load_b128 v[78:81], v71 offset:544
	ds_load_b64 v[86:87], v71 offset:560
	s_mov_b32 s0, exec_lo
	s_wait_loadcnt_dscnt 0x201
	v_mul_f32_e32 v72, v79, v75
	v_dual_mul_f32 v75, v78, v75 :: v_dual_mul_f32 v88, v80, v77
	v_mul_f32_e32 v77, v81, v77
	s_wait_loadcnt_dscnt 0x100
	v_mul_f32_e32 v89, v86, v83
	v_fma_f32 v72, v78, v74, -v72
	v_fmac_f32_e32 v75, v79, v74
	v_mul_f32_e32 v74, v87, v83
	v_fmac_f32_e32 v88, v81, v76
	v_fma_f32 v76, v80, v76, -v77
	s_delay_alu instid0(VALU_DEP_4) | instskip(NEXT) | instid1(VALU_DEP_4)
	v_dual_add_f32 v72, 0, v72 :: v_dual_add_f32 v75, 0, v75
	v_fma_f32 v74, v86, v82, -v74
	s_delay_alu instid0(VALU_DEP_2) | instskip(NEXT) | instid1(VALU_DEP_1)
	v_add_f32_e32 v72, v72, v76
	v_dual_add_f32 v75, v75, v88 :: v_dual_add_f32 v72, v72, v74
	s_wait_loadcnt 0x0
	s_delay_alu instid0(VALU_DEP_1) | instskip(NEXT) | instid1(VALU_DEP_1)
	v_dual_fmac_f32 v89, v87, v82 :: v_dual_sub_f32 v74, v84, v72
	v_add_f32_e32 v75, v75, v89
	s_delay_alu instid0(VALU_DEP_1)
	v_sub_f32_e32 v75, v85, v75
	scratch_store_b64 off, v[74:75], off offset:248
	v_cmpx_lt_u32_e32 30, v0
	s_cbranch_execz .LBB98_163
; %bb.162:
	scratch_load_b64 v[74:75], off, off offset:240
	v_mov_b32_e32 v72, v71
	scratch_store_b64 off, v[71:72], off offset:240
	s_wait_loadcnt 0x0
	ds_store_b64 v73, v[74:75]
.LBB98_163:
	s_wait_alu 0xfffe
	s_or_b32 exec_lo, exec_lo, s0
	s_wait_storecnt_dscnt 0x0
	s_barrier_signal -1
	s_barrier_wait -1
	global_inv scope:SCOPE_SE
	s_clause 0x2
	scratch_load_b128 v[74:77], off, off offset:248
	scratch_load_b128 v[78:81], off, off offset:264
	scratch_load_b64 v[90:91], off, off offset:240
	ds_load_2addr_b64 v[82:85], v71 offset0:67 offset1:68
	ds_load_2addr_b64 v[86:89], v71 offset0:69 offset1:70
	s_mov_b32 s0, exec_lo
	s_wait_loadcnt_dscnt 0x201
	v_mul_f32_e32 v72, v83, v75
	s_wait_loadcnt_dscnt 0x100
	v_dual_mul_f32 v92, v86, v79 :: v_dual_mul_f32 v93, v88, v81
	s_delay_alu instid0(VALU_DEP_2) | instskip(SKIP_2) | instid1(VALU_DEP_4)
	v_fma_f32 v72, v82, v74, -v72
	v_mul_f32_e32 v71, v82, v75
	v_mul_f32_e32 v75, v84, v77
	v_dual_mul_f32 v77, v85, v77 :: v_dual_fmac_f32 v92, v87, v78
	s_delay_alu instid0(VALU_DEP_3) | instskip(NEXT) | instid1(VALU_DEP_3)
	v_dual_add_f32 v72, 0, v72 :: v_dual_fmac_f32 v71, v83, v74
	v_dual_mul_f32 v74, v87, v79 :: v_dual_fmac_f32 v75, v85, v76
	s_delay_alu instid0(VALU_DEP_3) | instskip(SKIP_1) | instid1(VALU_DEP_3)
	v_fma_f32 v76, v84, v76, -v77
	v_fmac_f32_e32 v93, v89, v80
	v_fma_f32 v74, v86, v78, -v74
	s_delay_alu instid0(VALU_DEP_3) | instskip(NEXT) | instid1(VALU_DEP_1)
	v_dual_add_f32 v72, v72, v76 :: v_dual_add_f32 v71, 0, v71
	v_dual_add_f32 v72, v72, v74 :: v_dual_mul_f32 v77, v89, v81
	s_delay_alu instid0(VALU_DEP_2) | instskip(NEXT) | instid1(VALU_DEP_2)
	v_add_f32_e32 v71, v71, v75
	v_fma_f32 v75, v88, v80, -v77
	s_delay_alu instid0(VALU_DEP_1) | instskip(SKIP_1) | instid1(VALU_DEP_1)
	v_dual_add_f32 v71, v71, v92 :: v_dual_add_f32 v72, v72, v75
	s_wait_loadcnt 0x0
	v_dual_add_f32 v74, v71, v93 :: v_dual_sub_f32 v71, v90, v72
	s_delay_alu instid0(VALU_DEP_1)
	v_sub_f32_e32 v72, v91, v74
	scratch_store_b64 off, v[71:72], off offset:240
	v_cmpx_lt_u32_e32 29, v0
	s_cbranch_execz .LBB98_165
; %bb.164:
	scratch_load_b64 v[71:72], off, off offset:232
	v_mov_b32_e32 v74, 0
	s_delay_alu instid0(VALU_DEP_1)
	v_mov_b32_e32 v75, v74
	scratch_store_b64 off, v[74:75], off offset:232
	s_wait_loadcnt 0x0
	ds_store_b64 v73, v[71:72]
.LBB98_165:
	s_wait_alu 0xfffe
	s_or_b32 exec_lo, exec_lo, s0
	s_wait_storecnt_dscnt 0x0
	s_barrier_signal -1
	s_barrier_wait -1
	global_inv scope:SCOPE_SE
	s_clause 0x3
	scratch_load_b128 v[74:77], off, off offset:240
	scratch_load_b128 v[78:81], off, off offset:256
	scratch_load_b64 v[90:91], off, off offset:272
	scratch_load_b64 v[92:93], off, off offset:232
	v_mov_b32_e32 v71, 0
	ds_load_b128 v[82:85], v71 offset:528
	ds_load_b128 v[86:89], v71 offset:544
	ds_load_b64 v[94:95], v71 offset:560
	s_mov_b32 s0, exec_lo
	s_wait_loadcnt_dscnt 0x302
	v_mul_f32_e32 v72, v82, v75
	v_dual_mul_f32 v96, v84, v77 :: v_dual_mul_f32 v75, v83, v75
	s_wait_loadcnt_dscnt 0x100
	v_mul_f32_e32 v99, v94, v91
	v_dual_mul_f32 v97, v86, v79 :: v_dual_mul_f32 v98, v88, v81
	v_dual_fmac_f32 v72, v83, v74 :: v_dual_mul_f32 v77, v85, v77
	v_fma_f32 v75, v82, v74, -v75
	v_fmac_f32_e32 v96, v85, v76
	v_mul_f32_e32 v74, v87, v79
	s_delay_alu instid0(VALU_DEP_4) | instskip(SKIP_3) | instid1(VALU_DEP_4)
	v_add_f32_e32 v72, 0, v72
	v_fma_f32 v76, v84, v76, -v77
	v_add_f32_e32 v75, 0, v75
	v_mul_f32_e32 v77, v89, v81
	v_dual_fmac_f32 v97, v87, v78 :: v_dual_add_f32 v72, v72, v96
	v_dual_fmac_f32 v98, v89, v80 :: v_dual_fmac_f32 v99, v95, v90
	s_delay_alu instid0(VALU_DEP_4) | instskip(SKIP_1) | instid1(VALU_DEP_4)
	v_add_f32_e32 v75, v75, v76
	v_fma_f32 v74, v86, v78, -v74
	v_add_f32_e32 v72, v72, v97
	v_fma_f32 v77, v88, v80, -v77
	s_delay_alu instid0(VALU_DEP_3) | instskip(NEXT) | instid1(VALU_DEP_3)
	v_add_f32_e32 v74, v75, v74
	v_add_f32_e32 v72, v72, v98
	s_delay_alu instid0(VALU_DEP_2) | instskip(NEXT) | instid1(VALU_DEP_2)
	v_add_f32_e32 v74, v74, v77
	v_add_f32_e32 v72, v72, v99
	v_mul_f32_e32 v76, v95, v91
	s_delay_alu instid0(VALU_DEP_1) | instskip(SKIP_1) | instid1(VALU_DEP_1)
	v_fma_f32 v75, v94, v90, -v76
	s_wait_loadcnt 0x0
	v_dual_add_f32 v74, v74, v75 :: v_dual_sub_f32 v75, v93, v72
	s_delay_alu instid0(VALU_DEP_1)
	v_sub_f32_e32 v74, v92, v74
	scratch_store_b64 off, v[74:75], off offset:232
	v_cmpx_lt_u32_e32 28, v0
	s_cbranch_execz .LBB98_167
; %bb.166:
	scratch_load_b64 v[74:75], off, off offset:224
	v_mov_b32_e32 v72, v71
	scratch_store_b64 off, v[71:72], off offset:224
	s_wait_loadcnt 0x0
	ds_store_b64 v73, v[74:75]
.LBB98_167:
	s_wait_alu 0xfffe
	s_or_b32 exec_lo, exec_lo, s0
	s_wait_storecnt_dscnt 0x0
	s_barrier_signal -1
	s_barrier_wait -1
	global_inv scope:SCOPE_SE
	s_clause 0x3
	scratch_load_b128 v[74:77], off, off offset:232
	scratch_load_b128 v[78:81], off, off offset:248
	;; [unrolled: 1-line block ×3, first 2 shown]
	scratch_load_b64 v[98:99], off, off offset:224
	ds_load_2addr_b64 v[86:89], v71 offset0:65 offset1:66
	ds_load_2addr_b64 v[90:93], v71 offset0:67 offset1:68
	;; [unrolled: 1-line block ×3, first 2 shown]
	s_mov_b32 s0, exec_lo
	s_wait_loadcnt_dscnt 0x302
	v_dual_mul_f32 v71, v86, v75 :: v_dual_mul_f32 v72, v88, v77
	v_mul_f32_e32 v75, v87, v75
	s_wait_loadcnt_dscnt 0x201
	v_dual_mul_f32 v77, v89, v77 :: v_dual_mul_f32 v100, v90, v79
	s_delay_alu instid0(VALU_DEP_3) | instskip(NEXT) | instid1(VALU_DEP_3)
	v_dual_mul_f32 v101, v92, v81 :: v_dual_fmac_f32 v72, v89, v76
	v_fma_f32 v75, v86, v74, -v75
	v_fmac_f32_e32 v71, v87, v74
	v_mul_f32_e32 v74, v91, v79
	v_fma_f32 v76, v88, v76, -v77
	v_mul_f32_e32 v77, v93, v81
	v_dual_add_f32 v75, 0, v75 :: v_dual_fmac_f32 v100, v91, v78
	s_delay_alu instid0(VALU_DEP_4) | instskip(SKIP_2) | instid1(VALU_DEP_3)
	v_fma_f32 v74, v90, v78, -v74
	s_wait_loadcnt_dscnt 0x100
	v_dual_mul_f32 v102, v94, v83 :: v_dual_mul_f32 v103, v96, v85
	v_add_f32_e32 v75, v75, v76
	v_fmac_f32_e32 v101, v93, v80
	v_fma_f32 v76, v92, v80, -v77
	s_delay_alu instid0(VALU_DEP_4) | instskip(NEXT) | instid1(VALU_DEP_4)
	v_dual_fmac_f32 v102, v95, v82 :: v_dual_fmac_f32 v103, v97, v84
	v_add_f32_e32 v74, v75, v74
	s_delay_alu instid0(VALU_DEP_1) | instskip(SKIP_1) | instid1(VALU_DEP_1)
	v_dual_add_f32 v74, v74, v76 :: v_dual_add_f32 v71, 0, v71
	v_mul_f32_e32 v75, v97, v85
	v_fma_f32 v75, v96, v84, -v75
	s_delay_alu instid0(VALU_DEP_3) | instskip(SKIP_1) | instid1(VALU_DEP_1)
	v_add_f32_e32 v71, v71, v72
	v_mul_f32_e32 v72, v95, v83
	v_fma_f32 v72, v94, v82, -v72
	s_delay_alu instid0(VALU_DEP_1) | instskip(NEXT) | instid1(VALU_DEP_1)
	v_add_f32_e32 v72, v74, v72
	v_dual_add_f32 v72, v72, v75 :: v_dual_add_f32 v71, v71, v100
	s_delay_alu instid0(VALU_DEP_1) | instskip(NEXT) | instid1(VALU_DEP_1)
	v_add_f32_e32 v71, v71, v101
	v_add_f32_e32 v71, v71, v102
	s_wait_loadcnt 0x0
	s_delay_alu instid0(VALU_DEP_1) | instskip(NEXT) | instid1(VALU_DEP_1)
	v_dual_add_f32 v74, v71, v103 :: v_dual_sub_f32 v71, v98, v72
	v_sub_f32_e32 v72, v99, v74
	scratch_store_b64 off, v[71:72], off offset:224
	v_cmpx_lt_u32_e32 27, v0
	s_cbranch_execz .LBB98_169
; %bb.168:
	scratch_load_b64 v[71:72], off, off offset:216
	v_mov_b32_e32 v74, 0
	s_delay_alu instid0(VALU_DEP_1)
	v_mov_b32_e32 v75, v74
	scratch_store_b64 off, v[74:75], off offset:216
	s_wait_loadcnt 0x0
	ds_store_b64 v73, v[71:72]
.LBB98_169:
	s_wait_alu 0xfffe
	s_or_b32 exec_lo, exec_lo, s0
	s_wait_storecnt_dscnt 0x0
	s_barrier_signal -1
	s_barrier_wait -1
	global_inv scope:SCOPE_SE
	s_clause 0x4
	scratch_load_b128 v[74:77], off, off offset:224
	scratch_load_b128 v[78:81], off, off offset:240
	;; [unrolled: 1-line block ×3, first 2 shown]
	scratch_load_b64 v[98:99], off, off offset:272
	scratch_load_b64 v[100:101], off, off offset:216
	v_mov_b32_e32 v71, 0
	ds_load_b128 v[86:89], v71 offset:512
	ds_load_b128 v[90:93], v71 offset:528
	;; [unrolled: 1-line block ×3, first 2 shown]
	ds_load_b64 v[102:103], v71 offset:560
	s_mov_b32 s0, exec_lo
	s_wait_loadcnt_dscnt 0x403
	v_mul_f32_e32 v72, v86, v75
	s_wait_loadcnt_dscnt 0x302
	v_dual_mul_f32 v104, v88, v77 :: v_dual_mul_f32 v105, v90, v79
	v_dual_mul_f32 v106, v92, v81 :: v_dual_mul_f32 v75, v87, v75
	s_wait_loadcnt_dscnt 0x100
	v_dual_mul_f32 v109, v102, v99 :: v_dual_fmac_f32 v72, v87, v74
	v_mul_f32_e32 v77, v89, v77
	v_dual_mul_f32 v107, v94, v83 :: v_dual_mul_f32 v108, v96, v85
	v_fma_f32 v75, v86, v74, -v75
	v_fmac_f32_e32 v104, v89, v76
	v_add_f32_e32 v72, 0, v72
	v_mul_f32_e32 v74, v91, v79
	v_fma_f32 v76, v88, v76, -v77
	v_add_f32_e32 v75, 0, v75
	v_mul_f32_e32 v77, v93, v81
	v_dual_fmac_f32 v105, v91, v78 :: v_dual_add_f32 v72, v72, v104
	v_dual_fmac_f32 v106, v93, v80 :: v_dual_fmac_f32 v107, v95, v82
	s_delay_alu instid0(VALU_DEP_4) | instskip(SKIP_1) | instid1(VALU_DEP_4)
	v_add_f32_e32 v75, v75, v76
	v_dual_fmac_f32 v108, v97, v84 :: v_dual_fmac_f32 v109, v103, v98
	v_add_f32_e32 v72, v72, v105
	v_fma_f32 v74, v90, v78, -v74
	v_mul_f32_e32 v76, v95, v83
	v_fma_f32 v77, v92, v80, -v77
	s_delay_alu instid0(VALU_DEP_4) | instskip(NEXT) | instid1(VALU_DEP_1)
	v_add_f32_e32 v72, v72, v106
	v_add_f32_e32 v72, v72, v107
	s_delay_alu instid0(VALU_DEP_1) | instskip(NEXT) | instid1(VALU_DEP_1)
	v_add_f32_e32 v72, v72, v108
	v_add_f32_e32 v72, v72, v109
	v_dual_add_f32 v74, v75, v74 :: v_dual_mul_f32 v75, v97, v85
	v_fma_f32 v76, v94, v82, -v76
	s_delay_alu instid0(VALU_DEP_2) | instskip(NEXT) | instid1(VALU_DEP_3)
	v_dual_add_f32 v74, v74, v77 :: v_dual_mul_f32 v77, v103, v99
	v_fma_f32 v75, v96, v84, -v75
	s_delay_alu instid0(VALU_DEP_2) | instskip(NEXT) | instid1(VALU_DEP_3)
	v_add_f32_e32 v74, v74, v76
	v_fma_f32 v76, v102, v98, -v77
	s_wait_loadcnt 0x0
	s_delay_alu instid0(VALU_DEP_2) | instskip(NEXT) | instid1(VALU_DEP_1)
	v_dual_add_f32 v74, v74, v75 :: v_dual_sub_f32 v75, v101, v72
	v_add_f32_e32 v74, v74, v76
	s_delay_alu instid0(VALU_DEP_1)
	v_sub_f32_e32 v74, v100, v74
	scratch_store_b64 off, v[74:75], off offset:216
	v_cmpx_lt_u32_e32 26, v0
	s_cbranch_execz .LBB98_171
; %bb.170:
	scratch_load_b64 v[74:75], off, off offset:208
	v_mov_b32_e32 v72, v71
	scratch_store_b64 off, v[71:72], off offset:208
	s_wait_loadcnt 0x0
	ds_store_b64 v73, v[74:75]
.LBB98_171:
	s_wait_alu 0xfffe
	s_or_b32 exec_lo, exec_lo, s0
	s_wait_storecnt_dscnt 0x0
	s_barrier_signal -1
	s_barrier_wait -1
	global_inv scope:SCOPE_SE
	s_clause 0x4
	scratch_load_b128 v[74:77], off, off offset:216
	scratch_load_b128 v[78:81], off, off offset:232
	;; [unrolled: 1-line block ×4, first 2 shown]
	scratch_load_b64 v[106:107], off, off offset:208
	ds_load_2addr_b64 v[90:93], v71 offset0:63 offset1:64
	ds_load_2addr_b64 v[94:97], v71 offset0:65 offset1:66
	;; [unrolled: 1-line block ×4, first 2 shown]
	s_mov_b32 s0, exec_lo
	s_wait_loadcnt_dscnt 0x403
	v_dual_mul_f32 v71, v90, v75 :: v_dual_mul_f32 v72, v92, v77
	v_mul_f32_e32 v75, v91, v75
	s_wait_loadcnt_dscnt 0x302
	v_dual_mul_f32 v77, v93, v77 :: v_dual_mul_f32 v108, v94, v79
	s_delay_alu instid0(VALU_DEP_3) | instskip(NEXT) | instid1(VALU_DEP_3)
	v_dual_mul_f32 v109, v96, v81 :: v_dual_fmac_f32 v72, v93, v76
	v_fma_f32 v75, v90, v74, -v75
	v_fmac_f32_e32 v71, v91, v74
	v_mul_f32_e32 v74, v95, v79
	v_fma_f32 v76, v92, v76, -v77
	v_mul_f32_e32 v77, v97, v81
	v_dual_add_f32 v75, 0, v75 :: v_dual_fmac_f32 v108, v95, v78
	s_delay_alu instid0(VALU_DEP_4) | instskip(SKIP_2) | instid1(VALU_DEP_3)
	v_fma_f32 v74, v94, v78, -v74
	s_wait_loadcnt_dscnt 0x201
	v_dual_mul_f32 v110, v98, v83 :: v_dual_mul_f32 v111, v100, v85
	v_add_f32_e32 v75, v75, v76
	v_fmac_f32_e32 v109, v97, v80
	v_fma_f32 v76, v96, v80, -v77
	s_wait_loadcnt_dscnt 0x100
	v_dual_mul_f32 v112, v102, v87 :: v_dual_mul_f32 v113, v104, v89
	v_dual_add_f32 v74, v75, v74 :: v_dual_mul_f32 v75, v101, v85
	v_dual_fmac_f32 v110, v99, v82 :: v_dual_fmac_f32 v111, v101, v84
	s_delay_alu instid0(VALU_DEP_3) | instskip(NEXT) | instid1(VALU_DEP_3)
	v_fmac_f32_e32 v112, v103, v86
	v_dual_add_f32 v74, v74, v76 :: v_dual_add_f32 v71, 0, v71
	v_mul_f32_e32 v76, v103, v87
	v_fma_f32 v75, v100, v84, -v75
	v_fmac_f32_e32 v113, v105, v88
	s_delay_alu instid0(VALU_DEP_4) | instskip(SKIP_2) | instid1(VALU_DEP_2)
	v_add_f32_e32 v71, v71, v72
	v_mul_f32_e32 v72, v99, v83
	v_fma_f32 v76, v102, v86, -v76
	v_fma_f32 v72, v98, v82, -v72
	s_delay_alu instid0(VALU_DEP_1) | instskip(SKIP_1) | instid1(VALU_DEP_2)
	v_add_f32_e32 v72, v74, v72
	v_mul_f32_e32 v74, v105, v89
	v_add_f32_e32 v72, v72, v75
	s_delay_alu instid0(VALU_DEP_2) | instskip(NEXT) | instid1(VALU_DEP_2)
	v_fma_f32 v74, v104, v88, -v74
	v_add_f32_e32 v72, v72, v76
	s_delay_alu instid0(VALU_DEP_1) | instskip(NEXT) | instid1(VALU_DEP_1)
	v_dual_add_f32 v71, v71, v108 :: v_dual_add_f32 v72, v72, v74
	v_add_f32_e32 v71, v71, v109
	s_delay_alu instid0(VALU_DEP_1) | instskip(NEXT) | instid1(VALU_DEP_1)
	v_add_f32_e32 v71, v71, v110
	v_add_f32_e32 v71, v71, v111
	s_delay_alu instid0(VALU_DEP_1) | instskip(SKIP_1) | instid1(VALU_DEP_1)
	v_add_f32_e32 v71, v71, v112
	s_wait_loadcnt 0x0
	v_dual_add_f32 v74, v71, v113 :: v_dual_sub_f32 v71, v106, v72
	s_delay_alu instid0(VALU_DEP_1)
	v_sub_f32_e32 v72, v107, v74
	scratch_store_b64 off, v[71:72], off offset:208
	v_cmpx_lt_u32_e32 25, v0
	s_cbranch_execz .LBB98_173
; %bb.172:
	scratch_load_b64 v[71:72], off, off offset:200
	v_mov_b32_e32 v74, 0
	s_delay_alu instid0(VALU_DEP_1)
	v_mov_b32_e32 v75, v74
	scratch_store_b64 off, v[74:75], off offset:200
	s_wait_loadcnt 0x0
	ds_store_b64 v73, v[71:72]
.LBB98_173:
	s_wait_alu 0xfffe
	s_or_b32 exec_lo, exec_lo, s0
	s_wait_storecnt_dscnt 0x0
	s_barrier_signal -1
	s_barrier_wait -1
	global_inv scope:SCOPE_SE
	s_clause 0x5
	scratch_load_b128 v[74:77], off, off offset:208
	scratch_load_b128 v[78:81], off, off offset:224
	;; [unrolled: 1-line block ×4, first 2 shown]
	scratch_load_b64 v[106:107], off, off offset:272
	scratch_load_b64 v[108:109], off, off offset:200
	v_mov_b32_e32 v71, 0
	ds_load_b128 v[90:93], v71 offset:496
	ds_load_b128 v[94:97], v71 offset:512
	ds_load_b128 v[98:101], v71 offset:528
	ds_load_b128 v[102:105], v71 offset:544
	ds_load_b64 v[110:111], v71 offset:560
	s_mov_b32 s0, exec_lo
	s_wait_loadcnt_dscnt 0x504
	v_mul_f32_e32 v72, v90, v75
	s_wait_loadcnt_dscnt 0x403
	v_dual_mul_f32 v112, v92, v77 :: v_dual_mul_f32 v113, v94, v79
	s_wait_loadcnt_dscnt 0x302
	v_dual_mul_f32 v116, v100, v85 :: v_dual_mul_f32 v75, v91, v75
	s_wait_loadcnt_dscnt 0x100
	v_dual_mul_f32 v119, v110, v107 :: v_dual_fmac_f32 v72, v91, v74
	v_mul_f32_e32 v77, v93, v77
	v_dual_mul_f32 v114, v96, v81 :: v_dual_mul_f32 v115, v98, v83
	v_fma_f32 v75, v90, v74, -v75
	v_fmac_f32_e32 v112, v93, v76
	v_add_f32_e32 v72, 0, v72
	v_mul_f32_e32 v74, v95, v79
	v_fma_f32 v76, v92, v76, -v77
	v_add_f32_e32 v75, 0, v75
	v_mul_f32_e32 v77, v97, v81
	v_dual_fmac_f32 v113, v95, v78 :: v_dual_add_f32 v72, v72, v112
	v_dual_fmac_f32 v114, v97, v80 :: v_dual_fmac_f32 v115, v99, v82
	s_delay_alu instid0(VALU_DEP_4) | instskip(SKIP_1) | instid1(VALU_DEP_4)
	v_add_f32_e32 v75, v75, v76
	v_dual_mul_f32 v117, v102, v87 :: v_dual_mul_f32 v118, v104, v89
	v_add_f32_e32 v72, v72, v113
	v_dual_fmac_f32 v116, v101, v84 :: v_dual_fmac_f32 v119, v111, v106
	s_delay_alu instid0(VALU_DEP_3) | instskip(NEXT) | instid1(VALU_DEP_3)
	v_dual_fmac_f32 v117, v103, v86 :: v_dual_fmac_f32 v118, v105, v88
	v_add_f32_e32 v72, v72, v114
	v_fma_f32 v74, v94, v78, -v74
	v_mul_f32_e32 v76, v99, v83
	v_fma_f32 v77, v96, v80, -v77
	s_delay_alu instid0(VALU_DEP_4) | instskip(NEXT) | instid1(VALU_DEP_1)
	v_add_f32_e32 v72, v72, v115
	v_add_f32_e32 v72, v72, v116
	s_delay_alu instid0(VALU_DEP_1) | instskip(NEXT) | instid1(VALU_DEP_1)
	v_add_f32_e32 v72, v72, v117
	v_add_f32_e32 v72, v72, v118
	s_delay_alu instid0(VALU_DEP_1) | instskip(SKIP_2) | instid1(VALU_DEP_2)
	v_add_f32_e32 v72, v72, v119
	v_dual_add_f32 v74, v75, v74 :: v_dual_mul_f32 v75, v101, v85
	v_fma_f32 v76, v98, v82, -v76
	v_dual_add_f32 v74, v74, v77 :: v_dual_mul_f32 v77, v103, v87
	s_delay_alu instid0(VALU_DEP_3) | instskip(NEXT) | instid1(VALU_DEP_2)
	v_fma_f32 v75, v100, v84, -v75
	v_add_f32_e32 v74, v74, v76
	v_mul_f32_e32 v76, v105, v89
	s_delay_alu instid0(VALU_DEP_4) | instskip(NEXT) | instid1(VALU_DEP_3)
	v_fma_f32 v77, v102, v86, -v77
	v_add_f32_e32 v74, v74, v75
	v_mul_f32_e32 v75, v111, v107
	s_delay_alu instid0(VALU_DEP_4) | instskip(NEXT) | instid1(VALU_DEP_3)
	v_fma_f32 v76, v104, v88, -v76
	v_add_f32_e32 v74, v74, v77
	s_delay_alu instid0(VALU_DEP_3) | instskip(NEXT) | instid1(VALU_DEP_2)
	v_fma_f32 v75, v110, v106, -v75
	v_add_f32_e32 v74, v74, v76
	s_wait_loadcnt 0x0
	s_delay_alu instid0(VALU_DEP_1) | instskip(NEXT) | instid1(VALU_DEP_1)
	v_dual_add_f32 v74, v74, v75 :: v_dual_sub_f32 v75, v109, v72
	v_sub_f32_e32 v74, v108, v74
	scratch_store_b64 off, v[74:75], off offset:200
	v_cmpx_lt_u32_e32 24, v0
	s_cbranch_execz .LBB98_175
; %bb.174:
	scratch_load_b64 v[74:75], off, off offset:192
	v_mov_b32_e32 v72, v71
	scratch_store_b64 off, v[71:72], off offset:192
	s_wait_loadcnt 0x0
	ds_store_b64 v73, v[74:75]
.LBB98_175:
	s_wait_alu 0xfffe
	s_or_b32 exec_lo, exec_lo, s0
	s_wait_storecnt_dscnt 0x0
	s_barrier_signal -1
	s_barrier_wait -1
	global_inv scope:SCOPE_SE
	s_clause 0x5
	scratch_load_b128 v[74:77], off, off offset:200
	scratch_load_b128 v[78:81], off, off offset:216
	;; [unrolled: 1-line block ×5, first 2 shown]
	scratch_load_b64 v[114:115], off, off offset:192
	ds_load_2addr_b64 v[94:97], v71 offset0:61 offset1:62
	ds_load_2addr_b64 v[98:101], v71 offset0:63 offset1:64
	;; [unrolled: 1-line block ×5, first 2 shown]
	s_mov_b32 s0, exec_lo
	s_wait_loadcnt_dscnt 0x504
	v_dual_mul_f32 v71, v94, v75 :: v_dual_mul_f32 v72, v96, v77
	v_mul_f32_e32 v75, v95, v75
	s_wait_loadcnt_dscnt 0x403
	v_dual_mul_f32 v77, v97, v77 :: v_dual_mul_f32 v116, v98, v79
	s_delay_alu instid0(VALU_DEP_3) | instskip(NEXT) | instid1(VALU_DEP_3)
	v_dual_mul_f32 v117, v100, v81 :: v_dual_fmac_f32 v72, v97, v76
	v_fma_f32 v75, v94, v74, -v75
	v_fmac_f32_e32 v71, v95, v74
	v_mul_f32_e32 v74, v99, v79
	v_fma_f32 v76, v96, v76, -v77
	v_mul_f32_e32 v77, v101, v81
	v_dual_add_f32 v75, 0, v75 :: v_dual_fmac_f32 v116, v99, v78
	s_delay_alu instid0(VALU_DEP_4) | instskip(SKIP_2) | instid1(VALU_DEP_3)
	v_fma_f32 v74, v98, v78, -v74
	s_wait_loadcnt_dscnt 0x302
	v_dual_mul_f32 v118, v102, v83 :: v_dual_mul_f32 v119, v104, v85
	v_add_f32_e32 v75, v75, v76
	v_fmac_f32_e32 v117, v101, v80
	v_fma_f32 v76, v100, v80, -v77
	s_wait_loadcnt_dscnt 0x201
	v_dual_mul_f32 v120, v106, v87 :: v_dual_mul_f32 v121, v108, v89
	v_dual_add_f32 v74, v75, v74 :: v_dual_mul_f32 v75, v105, v85
	v_fmac_f32_e32 v118, v103, v82
	s_wait_loadcnt_dscnt 0x100
	v_dual_mul_f32 v122, v110, v91 :: v_dual_mul_f32 v123, v112, v93
	s_delay_alu instid0(VALU_DEP_3) | instskip(SKIP_3) | instid1(VALU_DEP_4)
	v_dual_add_f32 v74, v74, v76 :: v_dual_add_f32 v71, 0, v71
	v_mul_f32_e32 v76, v107, v87
	v_fma_f32 v75, v104, v84, -v75
	v_dual_fmac_f32 v119, v105, v84 :: v_dual_fmac_f32 v120, v107, v86
	v_add_f32_e32 v71, v71, v72
	v_mul_f32_e32 v72, v103, v83
	v_fma_f32 v76, v106, v86, -v76
	v_dual_fmac_f32 v121, v109, v88 :: v_dual_fmac_f32 v122, v111, v90
	s_delay_alu instid0(VALU_DEP_3) | instskip(NEXT) | instid1(VALU_DEP_1)
	v_fma_f32 v72, v102, v82, -v72
	v_add_f32_e32 v72, v74, v72
	v_mul_f32_e32 v74, v109, v89
	s_delay_alu instid0(VALU_DEP_2) | instskip(SKIP_1) | instid1(VALU_DEP_3)
	v_dual_add_f32 v72, v72, v75 :: v_dual_add_f32 v71, v71, v116
	v_mul_f32_e32 v75, v111, v91
	v_fma_f32 v74, v108, v88, -v74
	s_delay_alu instid0(VALU_DEP_3) | instskip(SKIP_3) | instid1(VALU_DEP_4)
	v_add_f32_e32 v72, v72, v76
	v_mul_f32_e32 v76, v113, v93
	v_add_f32_e32 v71, v71, v117
	v_fma_f32 v75, v110, v90, -v75
	v_dual_add_f32 v72, v72, v74 :: v_dual_fmac_f32 v123, v113, v92
	s_delay_alu instid0(VALU_DEP_3) | instskip(SKIP_1) | instid1(VALU_DEP_3)
	v_add_f32_e32 v71, v71, v118
	v_fma_f32 v74, v112, v92, -v76
	v_add_f32_e32 v72, v72, v75
	s_delay_alu instid0(VALU_DEP_1) | instskip(NEXT) | instid1(VALU_DEP_1)
	v_dual_add_f32 v71, v71, v119 :: v_dual_add_f32 v72, v72, v74
	v_add_f32_e32 v71, v71, v120
	s_delay_alu instid0(VALU_DEP_1) | instskip(NEXT) | instid1(VALU_DEP_1)
	v_add_f32_e32 v71, v71, v121
	v_add_f32_e32 v71, v71, v122
	s_wait_loadcnt 0x0
	s_delay_alu instid0(VALU_DEP_1) | instskip(NEXT) | instid1(VALU_DEP_1)
	v_dual_add_f32 v74, v71, v123 :: v_dual_sub_f32 v71, v114, v72
	v_sub_f32_e32 v72, v115, v74
	scratch_store_b64 off, v[71:72], off offset:192
	v_cmpx_lt_u32_e32 23, v0
	s_cbranch_execz .LBB98_177
; %bb.176:
	scratch_load_b64 v[71:72], off, off offset:184
	v_mov_b32_e32 v74, 0
	s_delay_alu instid0(VALU_DEP_1)
	v_mov_b32_e32 v75, v74
	scratch_store_b64 off, v[74:75], off offset:184
	s_wait_loadcnt 0x0
	ds_store_b64 v73, v[71:72]
.LBB98_177:
	s_wait_alu 0xfffe
	s_or_b32 exec_lo, exec_lo, s0
	s_wait_storecnt_dscnt 0x0
	s_barrier_signal -1
	s_barrier_wait -1
	global_inv scope:SCOPE_SE
	s_clause 0x6
	scratch_load_b128 v[74:77], off, off offset:192
	scratch_load_b128 v[78:81], off, off offset:208
	;; [unrolled: 1-line block ×5, first 2 shown]
	scratch_load_b64 v[114:115], off, off offset:272
	scratch_load_b64 v[116:117], off, off offset:184
	v_mov_b32_e32 v71, 0
	ds_load_b128 v[94:97], v71 offset:480
	ds_load_b128 v[98:101], v71 offset:496
	;; [unrolled: 1-line block ×5, first 2 shown]
	ds_load_b64 v[118:119], v71 offset:560
	s_mov_b32 s0, exec_lo
	s_wait_loadcnt_dscnt 0x605
	v_mul_f32_e32 v72, v94, v75
	v_dual_mul_f32 v75, v95, v75 :: v_dual_mul_f32 v120, v96, v77
	s_wait_loadcnt_dscnt 0x302
	v_dual_mul_f32 v121, v98, v79 :: v_dual_mul_f32 v126, v108, v89
	s_wait_loadcnt_dscnt 0x100
	v_dual_mul_f32 v129, v118, v115 :: v_dual_fmac_f32 v72, v95, v74
	v_mul_f32_e32 v77, v97, v77
	v_fma_f32 v75, v94, v74, -v75
	v_mul_f32_e32 v74, v99, v79
	v_fmac_f32_e32 v120, v97, v76
	v_add_f32_e32 v72, 0, v72
	v_fma_f32 v76, v96, v76, -v77
	v_add_f32_e32 v75, 0, v75
	v_mul_f32_e32 v77, v101, v81
	s_delay_alu instid0(VALU_DEP_4) | instskip(SKIP_1) | instid1(VALU_DEP_4)
	v_dual_fmac_f32 v121, v99, v78 :: v_dual_add_f32 v72, v72, v120
	v_fma_f32 v74, v98, v78, -v74
	v_dual_add_f32 v75, v75, v76 :: v_dual_mul_f32 v122, v100, v81
	v_mul_f32_e32 v123, v102, v83
	v_mul_f32_e32 v76, v103, v83
	v_fma_f32 v77, v100, v80, -v77
	v_add_f32_e32 v72, v72, v121
	v_add_f32_e32 v74, v75, v74
	v_dual_fmac_f32 v122, v101, v80 :: v_dual_fmac_f32 v123, v103, v82
	v_mul_f32_e32 v75, v105, v85
	v_fma_f32 v76, v102, v82, -v76
	s_delay_alu instid0(VALU_DEP_4) | instskip(SKIP_4) | instid1(VALU_DEP_3)
	v_dual_add_f32 v74, v74, v77 :: v_dual_mul_f32 v77, v107, v87
	v_dual_mul_f32 v124, v104, v85 :: v_dual_mul_f32 v125, v106, v87
	v_dual_mul_f32 v127, v110, v91 :: v_dual_mul_f32 v128, v112, v93
	v_add_f32_e32 v72, v72, v122
	v_fma_f32 v75, v104, v84, -v75
	v_dual_add_f32 v74, v74, v76 :: v_dual_fmac_f32 v127, v111, v90
	v_dual_fmac_f32 v124, v105, v84 :: v_dual_fmac_f32 v125, v107, v86
	v_mul_f32_e32 v76, v109, v89
	s_delay_alu instid0(VALU_DEP_3)
	v_add_f32_e32 v74, v74, v75
	v_mul_f32_e32 v75, v111, v91
	v_dual_add_f32 v72, v72, v123 :: v_dual_fmac_f32 v129, v119, v114
	v_fma_f32 v77, v106, v86, -v77
	v_fmac_f32_e32 v126, v109, v88
	v_fma_f32 v76, v108, v88, -v76
	s_delay_alu instid0(VALU_DEP_4)
	v_add_f32_e32 v72, v72, v124
	v_fma_f32 v75, v110, v90, -v75
	v_add_f32_e32 v74, v74, v77
	v_mul_f32_e32 v77, v113, v93
	v_fmac_f32_e32 v128, v113, v92
	v_add_f32_e32 v72, v72, v125
	s_delay_alu instid0(VALU_DEP_4) | instskip(SKIP_2) | instid1(VALU_DEP_4)
	v_add_f32_e32 v74, v74, v76
	v_mul_f32_e32 v76, v119, v115
	v_fma_f32 v77, v112, v92, -v77
	v_add_f32_e32 v72, v72, v126
	s_delay_alu instid0(VALU_DEP_4) | instskip(NEXT) | instid1(VALU_DEP_4)
	v_add_f32_e32 v74, v74, v75
	v_fma_f32 v75, v118, v114, -v76
	s_delay_alu instid0(VALU_DEP_3) | instskip(NEXT) | instid1(VALU_DEP_3)
	v_add_f32_e32 v72, v72, v127
	v_add_f32_e32 v74, v74, v77
	s_delay_alu instid0(VALU_DEP_2) | instskip(NEXT) | instid1(VALU_DEP_2)
	v_add_f32_e32 v72, v72, v128
	v_add_f32_e32 v74, v74, v75
	s_delay_alu instid0(VALU_DEP_2) | instskip(SKIP_1) | instid1(VALU_DEP_1)
	v_add_f32_e32 v72, v72, v129
	s_wait_loadcnt 0x0
	v_dual_sub_f32 v74, v116, v74 :: v_dual_sub_f32 v75, v117, v72
	scratch_store_b64 off, v[74:75], off offset:184
	v_cmpx_lt_u32_e32 22, v0
	s_cbranch_execz .LBB98_179
; %bb.178:
	scratch_load_b64 v[74:75], off, off offset:176
	v_mov_b32_e32 v72, v71
	scratch_store_b64 off, v[71:72], off offset:176
	s_wait_loadcnt 0x0
	ds_store_b64 v73, v[74:75]
.LBB98_179:
	s_wait_alu 0xfffe
	s_or_b32 exec_lo, exec_lo, s0
	s_wait_storecnt_dscnt 0x0
	s_barrier_signal -1
	s_barrier_wait -1
	global_inv scope:SCOPE_SE
	s_clause 0x6
	scratch_load_b128 v[74:77], off, off offset:184
	scratch_load_b128 v[78:81], off, off offset:200
	;; [unrolled: 1-line block ×6, first 2 shown]
	scratch_load_b64 v[122:123], off, off offset:176
	ds_load_2addr_b64 v[98:101], v71 offset0:59 offset1:60
	ds_load_2addr_b64 v[102:105], v71 offset0:61 offset1:62
	;; [unrolled: 1-line block ×6, first 2 shown]
	s_mov_b32 s0, exec_lo
	s_wait_loadcnt_dscnt 0x605
	v_dual_mul_f32 v71, v98, v75 :: v_dual_mul_f32 v72, v100, v77
	v_mul_f32_e32 v75, v99, v75
	s_wait_loadcnt_dscnt 0x504
	v_dual_mul_f32 v77, v101, v77 :: v_dual_mul_f32 v124, v102, v79
	s_delay_alu instid0(VALU_DEP_3) | instskip(NEXT) | instid1(VALU_DEP_3)
	v_dual_mul_f32 v125, v104, v81 :: v_dual_fmac_f32 v72, v101, v76
	v_fma_f32 v75, v98, v74, -v75
	v_fmac_f32_e32 v71, v99, v74
	v_mul_f32_e32 v74, v103, v79
	v_fma_f32 v76, v100, v76, -v77
	v_mul_f32_e32 v77, v105, v81
	v_dual_add_f32 v75, 0, v75 :: v_dual_fmac_f32 v124, v103, v78
	s_delay_alu instid0(VALU_DEP_4) | instskip(SKIP_2) | instid1(VALU_DEP_3)
	v_fma_f32 v74, v102, v78, -v74
	s_wait_loadcnt_dscnt 0x403
	v_dual_mul_f32 v126, v106, v83 :: v_dual_mul_f32 v127, v108, v85
	v_add_f32_e32 v75, v75, v76
	v_fmac_f32_e32 v125, v105, v80
	v_fma_f32 v76, v104, v80, -v77
	s_wait_loadcnt_dscnt 0x302
	v_dual_mul_f32 v128, v110, v87 :: v_dual_mul_f32 v129, v112, v89
	v_dual_add_f32 v74, v75, v74 :: v_dual_mul_f32 v75, v109, v85
	v_fmac_f32_e32 v126, v107, v82
	s_wait_loadcnt_dscnt 0x201
	v_dual_mul_f32 v130, v114, v91 :: v_dual_mul_f32 v131, v116, v93
	s_delay_alu instid0(VALU_DEP_3) | instskip(SKIP_3) | instid1(VALU_DEP_4)
	v_dual_add_f32 v74, v74, v76 :: v_dual_add_f32 v71, 0, v71
	v_mul_f32_e32 v76, v111, v87
	v_fma_f32 v75, v108, v84, -v75
	v_dual_fmac_f32 v127, v109, v84 :: v_dual_fmac_f32 v128, v111, v86
	v_add_f32_e32 v71, v71, v72
	v_mul_f32_e32 v72, v107, v83
	v_fma_f32 v76, v110, v86, -v76
	v_dual_fmac_f32 v129, v113, v88 :: v_dual_fmac_f32 v130, v115, v90
	s_wait_loadcnt_dscnt 0x100
	v_dual_mul_f32 v132, v118, v95 :: v_dual_mul_f32 v133, v120, v97
	v_fma_f32 v72, v106, v82, -v72
	s_delay_alu instid0(VALU_DEP_2) | instskip(NEXT) | instid1(VALU_DEP_3)
	v_dual_fmac_f32 v131, v117, v92 :: v_dual_fmac_f32 v132, v119, v94
	v_fmac_f32_e32 v133, v121, v96
	s_delay_alu instid0(VALU_DEP_3) | instskip(SKIP_1) | instid1(VALU_DEP_2)
	v_add_f32_e32 v72, v74, v72
	v_mul_f32_e32 v74, v113, v89
	v_dual_add_f32 v72, v72, v75 :: v_dual_add_f32 v71, v71, v124
	v_mul_f32_e32 v75, v115, v91
	s_delay_alu instid0(VALU_DEP_3) | instskip(NEXT) | instid1(VALU_DEP_3)
	v_fma_f32 v74, v112, v88, -v74
	v_add_f32_e32 v72, v72, v76
	v_mul_f32_e32 v76, v117, v93
	v_add_f32_e32 v71, v71, v125
	v_fma_f32 v75, v114, v90, -v75
	s_delay_alu instid0(VALU_DEP_4) | instskip(SKIP_1) | instid1(VALU_DEP_4)
	v_add_f32_e32 v72, v72, v74
	v_mul_f32_e32 v74, v119, v95
	v_add_f32_e32 v71, v71, v126
	v_fma_f32 v76, v116, v92, -v76
	s_delay_alu instid0(VALU_DEP_4) | instskip(NEXT) | instid1(VALU_DEP_3)
	v_dual_add_f32 v72, v72, v75 :: v_dual_mul_f32 v75, v121, v97
	v_add_f32_e32 v71, v71, v127
	v_fma_f32 v74, v118, v94, -v74
	s_delay_alu instid0(VALU_DEP_3) | instskip(NEXT) | instid1(VALU_DEP_4)
	v_add_f32_e32 v72, v72, v76
	v_fma_f32 v75, v120, v96, -v75
	s_delay_alu instid0(VALU_DEP_2) | instskip(NEXT) | instid1(VALU_DEP_1)
	v_dual_add_f32 v71, v71, v128 :: v_dual_add_f32 v72, v72, v74
	v_dual_add_f32 v71, v71, v129 :: v_dual_add_f32 v72, v72, v75
	s_delay_alu instid0(VALU_DEP_1) | instskip(NEXT) | instid1(VALU_DEP_1)
	v_add_f32_e32 v71, v71, v130
	v_add_f32_e32 v71, v71, v131
	s_delay_alu instid0(VALU_DEP_1) | instskip(SKIP_1) | instid1(VALU_DEP_1)
	v_add_f32_e32 v71, v71, v132
	s_wait_loadcnt 0x0
	v_dual_add_f32 v74, v71, v133 :: v_dual_sub_f32 v71, v122, v72
	s_delay_alu instid0(VALU_DEP_1)
	v_sub_f32_e32 v72, v123, v74
	scratch_store_b64 off, v[71:72], off offset:176
	v_cmpx_lt_u32_e32 21, v0
	s_cbranch_execz .LBB98_181
; %bb.180:
	scratch_load_b64 v[71:72], off, off offset:168
	v_mov_b32_e32 v74, 0
	s_delay_alu instid0(VALU_DEP_1)
	v_mov_b32_e32 v75, v74
	scratch_store_b64 off, v[74:75], off offset:168
	s_wait_loadcnt 0x0
	ds_store_b64 v73, v[71:72]
.LBB98_181:
	s_wait_alu 0xfffe
	s_or_b32 exec_lo, exec_lo, s0
	s_wait_storecnt_dscnt 0x0
	s_barrier_signal -1
	s_barrier_wait -1
	global_inv scope:SCOPE_SE
	s_clause 0x7
	scratch_load_b128 v[74:77], off, off offset:176
	scratch_load_b128 v[78:81], off, off offset:192
	scratch_load_b128 v[82:85], off, off offset:208
	scratch_load_b128 v[86:89], off, off offset:224
	scratch_load_b128 v[90:93], off, off offset:240
	scratch_load_b128 v[94:97], off, off offset:256
	scratch_load_b64 v[122:123], off, off offset:272
	scratch_load_b64 v[124:125], off, off offset:168
	v_mov_b32_e32 v71, 0
	ds_load_b128 v[98:101], v71 offset:464
	ds_load_b128 v[102:105], v71 offset:480
	;; [unrolled: 1-line block ×6, first 2 shown]
	ds_load_b64 v[126:127], v71 offset:560
	s_mov_b32 s0, exec_lo
	s_wait_loadcnt_dscnt 0x706
	v_mul_f32_e32 v72, v98, v75
	v_dual_mul_f32 v75, v99, v75 :: v_dual_mul_f32 v128, v100, v77
	s_wait_loadcnt_dscnt 0x302
	v_dual_mul_f32 v129, v102, v79 :: v_dual_mul_f32 v136, v116, v93
	v_mul_f32_e32 v77, v101, v77
	s_wait_loadcnt_dscnt 0x100
	v_dual_mul_f32 v139, v126, v123 :: v_dual_fmac_f32 v72, v99, v74
	v_fma_f32 v75, v98, v74, -v75
	v_mul_f32_e32 v74, v103, v79
	v_fmac_f32_e32 v128, v101, v76
	v_fma_f32 v76, v100, v76, -v77
	v_dual_add_f32 v72, 0, v72 :: v_dual_mul_f32 v77, v105, v81
	v_add_f32_e32 v75, 0, v75
	v_fmac_f32_e32 v129, v103, v78
	v_fma_f32 v74, v102, v78, -v74
	s_delay_alu instid0(VALU_DEP_4)
	v_add_f32_e32 v72, v72, v128
	v_fma_f32 v77, v104, v80, -v77
	v_add_f32_e32 v75, v75, v76
	v_mul_f32_e32 v76, v107, v83
	v_dual_mul_f32 v130, v104, v81 :: v_dual_mul_f32 v131, v106, v83
	v_add_f32_e32 v72, v72, v129
	s_delay_alu instid0(VALU_DEP_4) | instskip(NEXT) | instid1(VALU_DEP_4)
	v_dual_add_f32 v74, v75, v74 :: v_dual_mul_f32 v75, v109, v85
	v_fma_f32 v76, v106, v82, -v76
	v_dual_mul_f32 v134, v112, v89 :: v_dual_mul_f32 v135, v114, v91
	s_delay_alu instid0(VALU_DEP_3) | instskip(NEXT) | instid1(VALU_DEP_4)
	v_dual_add_f32 v74, v74, v77 :: v_dual_mul_f32 v77, v111, v87
	v_fma_f32 v75, v108, v84, -v75
	v_dual_mul_f32 v137, v118, v95 :: v_dual_mul_f32 v138, v120, v97
	s_delay_alu instid0(VALU_DEP_3) | instskip(SKIP_1) | instid1(VALU_DEP_3)
	v_dual_add_f32 v74, v74, v76 :: v_dual_fmac_f32 v135, v115, v90
	v_dual_fmac_f32 v130, v105, v80 :: v_dual_fmac_f32 v131, v107, v82
	v_dual_mul_f32 v76, v113, v89 :: v_dual_fmac_f32 v137, v119, v94
	v_fma_f32 v77, v110, v86, -v77
	s_delay_alu instid0(VALU_DEP_4) | instskip(SKIP_3) | instid1(VALU_DEP_4)
	v_dual_add_f32 v74, v74, v75 :: v_dual_fmac_f32 v139, v127, v122
	v_dual_mul_f32 v132, v108, v85 :: v_dual_mul_f32 v133, v110, v87
	v_dual_add_f32 v72, v72, v130 :: v_dual_mul_f32 v75, v115, v91
	v_fma_f32 v76, v112, v88, -v76
	v_add_f32_e32 v74, v74, v77
	s_delay_alu instid0(VALU_DEP_4) | instskip(NEXT) | instid1(VALU_DEP_4)
	v_dual_fmac_f32 v132, v109, v84 :: v_dual_fmac_f32 v133, v111, v86
	v_dual_add_f32 v72, v72, v131 :: v_dual_mul_f32 v77, v117, v93
	v_fma_f32 v75, v114, v90, -v75
	s_delay_alu instid0(VALU_DEP_4)
	v_add_f32_e32 v74, v74, v76
	v_fmac_f32_e32 v134, v113, v88
	v_mul_f32_e32 v76, v119, v95
	v_fma_f32 v77, v116, v92, -v77
	v_fmac_f32_e32 v136, v117, v92
	v_dual_add_f32 v74, v74, v75 :: v_dual_mul_f32 v75, v121, v97
	v_add_f32_e32 v72, v72, v132
	v_fma_f32 v76, v118, v94, -v76
	v_fmac_f32_e32 v138, v121, v96
	s_delay_alu instid0(VALU_DEP_4) | instskip(NEXT) | instid1(VALU_DEP_4)
	v_dual_add_f32 v74, v74, v77 :: v_dual_mul_f32 v77, v127, v123
	v_add_f32_e32 v72, v72, v133
	v_fma_f32 v75, v120, v96, -v75
	s_delay_alu instid0(VALU_DEP_3) | instskip(NEXT) | instid1(VALU_DEP_4)
	v_add_f32_e32 v74, v74, v76
	v_fma_f32 v76, v126, v122, -v77
	s_delay_alu instid0(VALU_DEP_4) | instskip(NEXT) | instid1(VALU_DEP_3)
	v_add_f32_e32 v72, v72, v134
	v_add_f32_e32 v74, v74, v75
	s_delay_alu instid0(VALU_DEP_2) | instskip(NEXT) | instid1(VALU_DEP_2)
	v_add_f32_e32 v72, v72, v135
	v_add_f32_e32 v74, v74, v76
	s_delay_alu instid0(VALU_DEP_2) | instskip(SKIP_1) | instid1(VALU_DEP_2)
	v_add_f32_e32 v72, v72, v136
	s_wait_loadcnt 0x0
	v_sub_f32_e32 v74, v124, v74
	s_delay_alu instid0(VALU_DEP_2) | instskip(NEXT) | instid1(VALU_DEP_1)
	v_add_f32_e32 v72, v72, v137
	v_add_f32_e32 v72, v72, v138
	s_delay_alu instid0(VALU_DEP_1) | instskip(NEXT) | instid1(VALU_DEP_1)
	v_add_f32_e32 v72, v72, v139
	v_sub_f32_e32 v75, v125, v72
	scratch_store_b64 off, v[74:75], off offset:168
	v_cmpx_lt_u32_e32 20, v0
	s_cbranch_execz .LBB98_183
; %bb.182:
	scratch_load_b64 v[74:75], off, off offset:160
	v_mov_b32_e32 v72, v71
	scratch_store_b64 off, v[71:72], off offset:160
	s_wait_loadcnt 0x0
	ds_store_b64 v73, v[74:75]
.LBB98_183:
	s_wait_alu 0xfffe
	s_or_b32 exec_lo, exec_lo, s0
	s_wait_storecnt_dscnt 0x0
	s_barrier_signal -1
	s_barrier_wait -1
	global_inv scope:SCOPE_SE
	s_clause 0x7
	scratch_load_b128 v[74:77], off, off offset:168
	scratch_load_b128 v[78:81], off, off offset:184
	;; [unrolled: 1-line block ×7, first 2 shown]
	scratch_load_b64 v[130:131], off, off offset:160
	ds_load_2addr_b64 v[102:105], v71 offset0:57 offset1:58
	ds_load_2addr_b64 v[106:109], v71 offset0:59 offset1:60
	;; [unrolled: 1-line block ×7, first 2 shown]
	s_mov_b32 s0, exec_lo
	s_wait_loadcnt_dscnt 0x706
	v_dual_mul_f32 v71, v102, v75 :: v_dual_mul_f32 v72, v104, v77
	v_mul_f32_e32 v75, v103, v75
	s_wait_loadcnt_dscnt 0x605
	v_dual_mul_f32 v77, v105, v77 :: v_dual_mul_f32 v132, v106, v79
	s_delay_alu instid0(VALU_DEP_3) | instskip(NEXT) | instid1(VALU_DEP_3)
	v_dual_mul_f32 v133, v108, v81 :: v_dual_fmac_f32 v72, v105, v76
	v_fma_f32 v75, v102, v74, -v75
	v_fmac_f32_e32 v71, v103, v74
	v_mul_f32_e32 v74, v107, v79
	v_fma_f32 v76, v104, v76, -v77
	v_mul_f32_e32 v77, v109, v81
	v_dual_add_f32 v75, 0, v75 :: v_dual_fmac_f32 v132, v107, v78
	s_delay_alu instid0(VALU_DEP_4) | instskip(SKIP_2) | instid1(VALU_DEP_3)
	v_fma_f32 v74, v106, v78, -v74
	s_wait_loadcnt_dscnt 0x504
	v_dual_mul_f32 v134, v110, v83 :: v_dual_mul_f32 v135, v112, v85
	v_add_f32_e32 v75, v75, v76
	v_fmac_f32_e32 v133, v109, v80
	v_fma_f32 v76, v108, v80, -v77
	s_wait_loadcnt_dscnt 0x403
	v_dual_mul_f32 v136, v114, v87 :: v_dual_mul_f32 v137, v116, v89
	v_dual_add_f32 v74, v75, v74 :: v_dual_mul_f32 v75, v113, v85
	v_fmac_f32_e32 v134, v111, v82
	s_wait_loadcnt_dscnt 0x302
	v_dual_mul_f32 v138, v118, v91 :: v_dual_mul_f32 v139, v120, v93
	s_delay_alu instid0(VALU_DEP_3) | instskip(SKIP_3) | instid1(VALU_DEP_4)
	v_dual_add_f32 v74, v74, v76 :: v_dual_add_f32 v71, 0, v71
	v_mul_f32_e32 v76, v115, v87
	v_fma_f32 v75, v112, v84, -v75
	v_dual_fmac_f32 v135, v113, v84 :: v_dual_fmac_f32 v136, v115, v86
	v_add_f32_e32 v71, v71, v72
	v_mul_f32_e32 v72, v111, v83
	v_fma_f32 v76, v114, v86, -v76
	v_dual_fmac_f32 v137, v117, v88 :: v_dual_fmac_f32 v138, v119, v90
	s_wait_loadcnt_dscnt 0x201
	v_dual_mul_f32 v140, v122, v95 :: v_dual_mul_f32 v141, v124, v97
	v_fma_f32 v72, v110, v82, -v72
	s_wait_loadcnt_dscnt 0x100
	v_dual_mul_f32 v142, v126, v99 :: v_dual_mul_f32 v143, v128, v101
	s_delay_alu instid0(VALU_DEP_3) | instskip(NEXT) | instid1(VALU_DEP_3)
	v_dual_fmac_f32 v139, v121, v92 :: v_dual_fmac_f32 v140, v123, v94
	v_add_f32_e32 v72, v74, v72
	v_mul_f32_e32 v74, v117, v89
	s_delay_alu instid0(VALU_DEP_4) | instskip(NEXT) | instid1(VALU_DEP_3)
	v_dual_fmac_f32 v142, v127, v98 :: v_dual_fmac_f32 v143, v129, v100
	v_dual_fmac_f32 v141, v125, v96 :: v_dual_add_f32 v72, v72, v75
	v_add_f32_e32 v71, v71, v132
	v_mul_f32_e32 v75, v119, v91
	v_fma_f32 v74, v116, v88, -v74
	s_delay_alu instid0(VALU_DEP_4) | instskip(SKIP_3) | instid1(VALU_DEP_4)
	v_add_f32_e32 v72, v72, v76
	v_mul_f32_e32 v76, v121, v93
	v_add_f32_e32 v71, v71, v133
	v_fma_f32 v75, v118, v90, -v75
	v_add_f32_e32 v72, v72, v74
	v_mul_f32_e32 v74, v123, v95
	s_delay_alu instid0(VALU_DEP_4) | instskip(SKIP_1) | instid1(VALU_DEP_4)
	v_add_f32_e32 v71, v71, v134
	v_fma_f32 v76, v120, v92, -v76
	v_dual_add_f32 v72, v72, v75 :: v_dual_mul_f32 v75, v125, v97
	s_delay_alu instid0(VALU_DEP_3) | instskip(SKIP_1) | instid1(VALU_DEP_3)
	v_add_f32_e32 v71, v71, v135
	v_fma_f32 v74, v122, v94, -v74
	v_add_f32_e32 v72, v72, v76
	s_delay_alu instid0(VALU_DEP_4) | instskip(NEXT) | instid1(VALU_DEP_4)
	v_fma_f32 v75, v124, v96, -v75
	v_add_f32_e32 v71, v71, v136
	v_mul_f32_e32 v76, v127, v99
	s_delay_alu instid0(VALU_DEP_4) | instskip(SKIP_1) | instid1(VALU_DEP_4)
	v_add_f32_e32 v72, v72, v74
	v_mul_f32_e32 v74, v129, v101
	v_add_f32_e32 v71, v71, v137
	s_delay_alu instid0(VALU_DEP_4) | instskip(NEXT) | instid1(VALU_DEP_4)
	v_fma_f32 v76, v126, v98, -v76
	v_add_f32_e32 v72, v72, v75
	s_delay_alu instid0(VALU_DEP_4) | instskip(NEXT) | instid1(VALU_DEP_2)
	v_fma_f32 v74, v128, v100, -v74
	v_dual_add_f32 v71, v71, v138 :: v_dual_add_f32 v72, v72, v76
	s_delay_alu instid0(VALU_DEP_1) | instskip(NEXT) | instid1(VALU_DEP_1)
	v_dual_add_f32 v71, v71, v139 :: v_dual_add_f32 v72, v72, v74
	v_add_f32_e32 v71, v71, v140
	s_delay_alu instid0(VALU_DEP_1) | instskip(NEXT) | instid1(VALU_DEP_1)
	v_add_f32_e32 v71, v71, v141
	v_add_f32_e32 v71, v71, v142
	s_wait_loadcnt 0x0
	s_delay_alu instid0(VALU_DEP_1) | instskip(NEXT) | instid1(VALU_DEP_1)
	v_dual_add_f32 v74, v71, v143 :: v_dual_sub_f32 v71, v130, v72
	v_sub_f32_e32 v72, v131, v74
	scratch_store_b64 off, v[71:72], off offset:160
	v_cmpx_lt_u32_e32 19, v0
	s_cbranch_execz .LBB98_185
; %bb.184:
	scratch_load_b64 v[71:72], off, off offset:152
	v_mov_b32_e32 v74, 0
	s_delay_alu instid0(VALU_DEP_1)
	v_mov_b32_e32 v75, v74
	scratch_store_b64 off, v[74:75], off offset:152
	s_wait_loadcnt 0x0
	ds_store_b64 v73, v[71:72]
.LBB98_185:
	s_wait_alu 0xfffe
	s_or_b32 exec_lo, exec_lo, s0
	s_wait_storecnt_dscnt 0x0
	s_barrier_signal -1
	s_barrier_wait -1
	global_inv scope:SCOPE_SE
	s_clause 0x8
	scratch_load_b128 v[74:77], off, off offset:160
	scratch_load_b128 v[78:81], off, off offset:176
	scratch_load_b128 v[82:85], off, off offset:192
	scratch_load_b128 v[86:89], off, off offset:208
	scratch_load_b128 v[90:93], off, off offset:224
	scratch_load_b128 v[94:97], off, off offset:240
	scratch_load_b128 v[98:101], off, off offset:256
	scratch_load_b64 v[130:131], off, off offset:272
	scratch_load_b64 v[132:133], off, off offset:152
	v_mov_b32_e32 v71, 0
	ds_load_b128 v[102:105], v71 offset:448
	ds_load_b128 v[106:109], v71 offset:464
	;; [unrolled: 1-line block ×7, first 2 shown]
	ds_load_b64 v[134:135], v71 offset:560
	s_mov_b32 s0, exec_lo
	s_wait_loadcnt_dscnt 0x807
	v_mul_f32_e32 v72, v102, v75
	v_dual_mul_f32 v75, v103, v75 :: v_dual_mul_f32 v136, v104, v77
	s_wait_loadcnt_dscnt 0x706
	v_mul_f32_e32 v137, v106, v79
	v_mul_f32_e32 v77, v105, v77
	s_wait_loadcnt_dscnt 0x302
	v_mul_f32_e32 v146, v124, v97
	v_fma_f32 v75, v102, v74, -v75
	s_wait_loadcnt_dscnt 0x100
	v_dual_mul_f32 v149, v134, v131 :: v_dual_fmac_f32 v72, v103, v74
	v_mul_f32_e32 v74, v107, v79
	s_delay_alu instid0(VALU_DEP_3) | instskip(SKIP_1) | instid1(VALU_DEP_4)
	v_dual_fmac_f32 v136, v105, v76 :: v_dual_add_f32 v75, 0, v75
	v_fma_f32 v76, v104, v76, -v77
	v_dual_add_f32 v72, 0, v72 :: v_dual_mul_f32 v77, v109, v81
	v_fmac_f32_e32 v137, v107, v78
	v_fma_f32 v74, v106, v78, -v74
	v_dual_mul_f32 v138, v108, v81 :: v_dual_mul_f32 v139, v110, v83
	s_delay_alu instid0(VALU_DEP_4)
	v_add_f32_e32 v72, v72, v136
	v_add_f32_e32 v75, v75, v76
	v_mul_f32_e32 v76, v111, v83
	v_fma_f32 v77, v108, v80, -v77
	v_dual_mul_f32 v142, v116, v89 :: v_dual_mul_f32 v143, v118, v91
	v_add_f32_e32 v72, v72, v137
	v_dual_add_f32 v74, v75, v74 :: v_dual_mul_f32 v75, v113, v85
	v_fma_f32 v76, v110, v82, -v76
	v_dual_mul_f32 v144, v120, v93 :: v_dual_mul_f32 v145, v122, v95
	s_delay_alu instid0(VALU_DEP_3) | instskip(NEXT) | instid1(VALU_DEP_4)
	v_dual_add_f32 v74, v74, v77 :: v_dual_mul_f32 v77, v115, v87
	v_fma_f32 v75, v112, v84, -v75
	v_dual_mul_f32 v147, v126, v99 :: v_dual_mul_f32 v148, v128, v101
	s_delay_alu instid0(VALU_DEP_3) | instskip(SKIP_3) | instid1(VALU_DEP_4)
	v_dual_add_f32 v74, v74, v76 :: v_dual_fmac_f32 v143, v119, v90
	v_dual_fmac_f32 v138, v109, v80 :: v_dual_fmac_f32 v139, v111, v82
	v_dual_mul_f32 v76, v117, v89 :: v_dual_fmac_f32 v145, v123, v94
	v_fma_f32 v77, v114, v86, -v77
	v_dual_add_f32 v74, v74, v75 :: v_dual_fmac_f32 v147, v127, v98
	s_delay_alu instid0(VALU_DEP_4) | instskip(NEXT) | instid1(VALU_DEP_4)
	v_dual_add_f32 v72, v72, v138 :: v_dual_mul_f32 v75, v119, v91
	v_fma_f32 v76, v116, v88, -v76
	s_delay_alu instid0(VALU_DEP_3) | instskip(SKIP_3) | instid1(VALU_DEP_4)
	v_dual_add_f32 v74, v74, v77 :: v_dual_fmac_f32 v149, v135, v130
	v_dual_mul_f32 v140, v112, v85 :: v_dual_mul_f32 v141, v114, v87
	v_mul_f32_e32 v77, v121, v93
	v_fma_f32 v75, v118, v90, -v75
	v_add_f32_e32 v74, v74, v76
	s_delay_alu instid0(VALU_DEP_4) | instskip(SKIP_4) | instid1(VALU_DEP_4)
	v_dual_fmac_f32 v140, v113, v84 :: v_dual_fmac_f32 v141, v115, v86
	v_add_f32_e32 v72, v72, v139
	v_mul_f32_e32 v76, v123, v95
	v_fma_f32 v77, v120, v92, -v77
	v_dual_add_f32 v74, v74, v75 :: v_dual_mul_f32 v75, v125, v97
	v_add_f32_e32 v72, v72, v140
	s_delay_alu instid0(VALU_DEP_4) | instskip(SKIP_1) | instid1(VALU_DEP_4)
	v_fma_f32 v76, v122, v94, -v76
	v_fmac_f32_e32 v142, v117, v88
	v_dual_add_f32 v74, v74, v77 :: v_dual_mul_f32 v77, v127, v99
	s_delay_alu instid0(VALU_DEP_4) | instskip(SKIP_2) | instid1(VALU_DEP_4)
	v_add_f32_e32 v72, v72, v141
	v_fma_f32 v75, v124, v96, -v75
	v_fmac_f32_e32 v144, v121, v92
	v_add_f32_e32 v74, v74, v76
	v_fmac_f32_e32 v146, v125, v96
	v_mul_f32_e32 v76, v129, v101
	v_fma_f32 v77, v126, v98, -v77
	v_fmac_f32_e32 v148, v129, v100
	v_add_f32_e32 v74, v74, v75
	v_dual_mul_f32 v75, v135, v131 :: v_dual_add_f32 v72, v72, v142
	v_fma_f32 v76, v128, v100, -v76
	s_delay_alu instid0(VALU_DEP_3) | instskip(NEXT) | instid1(VALU_DEP_3)
	v_add_f32_e32 v74, v74, v77
	v_fma_f32 v75, v134, v130, -v75
	s_delay_alu instid0(VALU_DEP_4) | instskip(NEXT) | instid1(VALU_DEP_3)
	v_add_f32_e32 v72, v72, v143
	v_add_f32_e32 v74, v74, v76
	s_delay_alu instid0(VALU_DEP_2) | instskip(NEXT) | instid1(VALU_DEP_2)
	v_add_f32_e32 v72, v72, v144
	v_add_f32_e32 v74, v74, v75
	s_delay_alu instid0(VALU_DEP_2) | instskip(SKIP_1) | instid1(VALU_DEP_2)
	v_add_f32_e32 v72, v72, v145
	s_wait_loadcnt 0x0
	v_sub_f32_e32 v74, v132, v74
	s_delay_alu instid0(VALU_DEP_2) | instskip(NEXT) | instid1(VALU_DEP_1)
	v_add_f32_e32 v72, v72, v146
	v_add_f32_e32 v72, v72, v147
	s_delay_alu instid0(VALU_DEP_1) | instskip(NEXT) | instid1(VALU_DEP_1)
	v_add_f32_e32 v72, v72, v148
	v_add_f32_e32 v72, v72, v149
	s_delay_alu instid0(VALU_DEP_1)
	v_sub_f32_e32 v75, v133, v72
	scratch_store_b64 off, v[74:75], off offset:152
	v_cmpx_lt_u32_e32 18, v0
	s_cbranch_execz .LBB98_187
; %bb.186:
	scratch_load_b64 v[74:75], off, off offset:144
	v_mov_b32_e32 v72, v71
	scratch_store_b64 off, v[71:72], off offset:144
	s_wait_loadcnt 0x0
	ds_store_b64 v73, v[74:75]
.LBB98_187:
	s_wait_alu 0xfffe
	s_or_b32 exec_lo, exec_lo, s0
	s_wait_storecnt_dscnt 0x0
	s_barrier_signal -1
	s_barrier_wait -1
	global_inv scope:SCOPE_SE
	s_clause 0x8
	scratch_load_b128 v[74:77], off, off offset:152
	scratch_load_b128 v[78:81], off, off offset:168
	;; [unrolled: 1-line block ×8, first 2 shown]
	scratch_load_b64 v[138:139], off, off offset:144
	ds_load_2addr_b64 v[106:109], v71 offset0:55 offset1:56
	ds_load_2addr_b64 v[110:113], v71 offset0:57 offset1:58
	;; [unrolled: 1-line block ×8, first 2 shown]
	s_mov_b32 s0, exec_lo
	s_wait_loadcnt_dscnt 0x807
	v_dual_mul_f32 v71, v106, v75 :: v_dual_mul_f32 v72, v108, v77
	v_mul_f32_e32 v75, v107, v75
	s_wait_loadcnt_dscnt 0x706
	v_dual_mul_f32 v77, v109, v77 :: v_dual_mul_f32 v140, v110, v79
	s_delay_alu instid0(VALU_DEP_3) | instskip(NEXT) | instid1(VALU_DEP_3)
	v_dual_mul_f32 v141, v112, v81 :: v_dual_fmac_f32 v72, v109, v76
	v_fma_f32 v75, v106, v74, -v75
	v_fmac_f32_e32 v71, v107, v74
	v_mul_f32_e32 v74, v111, v79
	v_fma_f32 v76, v108, v76, -v77
	v_mul_f32_e32 v77, v113, v81
	v_dual_add_f32 v75, 0, v75 :: v_dual_fmac_f32 v140, v111, v78
	s_delay_alu instid0(VALU_DEP_4) | instskip(SKIP_2) | instid1(VALU_DEP_3)
	v_fma_f32 v74, v110, v78, -v74
	s_wait_loadcnt_dscnt 0x605
	v_dual_mul_f32 v142, v114, v83 :: v_dual_mul_f32 v143, v116, v85
	v_add_f32_e32 v75, v75, v76
	v_fmac_f32_e32 v141, v113, v80
	v_fma_f32 v76, v112, v80, -v77
	s_wait_loadcnt_dscnt 0x504
	v_dual_mul_f32 v144, v118, v87 :: v_dual_mul_f32 v145, v120, v89
	v_dual_add_f32 v74, v75, v74 :: v_dual_mul_f32 v75, v117, v85
	v_fmac_f32_e32 v142, v115, v82
	s_wait_loadcnt_dscnt 0x403
	v_dual_mul_f32 v146, v122, v91 :: v_dual_mul_f32 v147, v124, v93
	s_delay_alu instid0(VALU_DEP_3) | instskip(SKIP_3) | instid1(VALU_DEP_4)
	v_dual_add_f32 v74, v74, v76 :: v_dual_add_f32 v71, 0, v71
	v_mul_f32_e32 v76, v119, v87
	v_fma_f32 v75, v116, v84, -v75
	v_dual_fmac_f32 v143, v117, v84 :: v_dual_fmac_f32 v144, v119, v86
	v_add_f32_e32 v71, v71, v72
	v_mul_f32_e32 v72, v115, v83
	v_fma_f32 v76, v118, v86, -v76
	v_dual_fmac_f32 v145, v121, v88 :: v_dual_fmac_f32 v146, v123, v90
	s_wait_loadcnt_dscnt 0x302
	v_dual_mul_f32 v148, v126, v95 :: v_dual_mul_f32 v149, v128, v97
	v_fma_f32 v72, v114, v82, -v72
	s_wait_loadcnt_dscnt 0x201
	v_dual_mul_f32 v150, v130, v99 :: v_dual_mul_f32 v151, v132, v101
	s_wait_loadcnt_dscnt 0x100
	v_dual_mul_f32 v152, v134, v103 :: v_dual_mul_f32 v153, v136, v105
	v_add_f32_e32 v72, v74, v72
	v_mul_f32_e32 v74, v121, v89
	v_dual_fmac_f32 v150, v131, v98 :: v_dual_fmac_f32 v151, v133, v100
	s_delay_alu instid0(VALU_DEP_4) | instskip(NEXT) | instid1(VALU_DEP_4)
	v_dual_fmac_f32 v152, v135, v102 :: v_dual_fmac_f32 v153, v137, v104
	v_dual_add_f32 v72, v72, v75 :: v_dual_add_f32 v71, v71, v140
	v_mul_f32_e32 v75, v123, v91
	v_fma_f32 v74, v120, v88, -v74
	v_fmac_f32_e32 v147, v125, v92
	s_delay_alu instid0(VALU_DEP_4)
	v_add_f32_e32 v72, v72, v76
	v_mul_f32_e32 v76, v125, v93
	v_add_f32_e32 v71, v71, v141
	v_fma_f32 v75, v122, v90, -v75
	v_fmac_f32_e32 v148, v127, v94
	v_add_f32_e32 v72, v72, v74
	v_mul_f32_e32 v74, v127, v95
	v_add_f32_e32 v71, v71, v142
	v_fma_f32 v76, v124, v92, -v76
	s_delay_alu instid0(VALU_DEP_4) | instskip(SKIP_1) | instid1(VALU_DEP_4)
	v_dual_fmac_f32 v149, v129, v96 :: v_dual_add_f32 v72, v72, v75
	v_mul_f32_e32 v75, v129, v97
	v_add_f32_e32 v71, v71, v143
	v_fma_f32 v74, v126, v94, -v74
	s_delay_alu instid0(VALU_DEP_4) | instskip(NEXT) | instid1(VALU_DEP_4)
	v_add_f32_e32 v72, v72, v76
	v_fma_f32 v75, v128, v96, -v75
	s_delay_alu instid0(VALU_DEP_4) | instskip(SKIP_1) | instid1(VALU_DEP_4)
	v_add_f32_e32 v71, v71, v144
	v_mul_f32_e32 v76, v131, v99
	v_add_f32_e32 v72, v72, v74
	v_mul_f32_e32 v74, v133, v101
	s_delay_alu instid0(VALU_DEP_4) | instskip(NEXT) | instid1(VALU_DEP_4)
	v_add_f32_e32 v71, v71, v145
	v_fma_f32 v76, v130, v98, -v76
	s_delay_alu instid0(VALU_DEP_4) | instskip(SKIP_1) | instid1(VALU_DEP_4)
	v_add_f32_e32 v72, v72, v75
	v_mul_f32_e32 v75, v135, v103
	v_add_f32_e32 v71, v71, v146
	v_fma_f32 v74, v132, v100, -v74
	s_delay_alu instid0(VALU_DEP_4) | instskip(NEXT) | instid1(VALU_DEP_3)
	v_add_f32_e32 v72, v72, v76
	v_dual_mul_f32 v76, v137, v105 :: v_dual_add_f32 v71, v71, v147
	v_fma_f32 v75, v134, v102, -v75
	s_delay_alu instid0(VALU_DEP_3) | instskip(NEXT) | instid1(VALU_DEP_3)
	v_add_f32_e32 v72, v72, v74
	v_fma_f32 v74, v136, v104, -v76
	s_delay_alu instid0(VALU_DEP_2) | instskip(NEXT) | instid1(VALU_DEP_1)
	v_dual_add_f32 v71, v71, v148 :: v_dual_add_f32 v72, v72, v75
	v_dual_add_f32 v71, v71, v149 :: v_dual_add_f32 v72, v72, v74
	s_delay_alu instid0(VALU_DEP_1) | instskip(NEXT) | instid1(VALU_DEP_1)
	v_add_f32_e32 v71, v71, v150
	v_add_f32_e32 v71, v71, v151
	s_delay_alu instid0(VALU_DEP_1) | instskip(SKIP_1) | instid1(VALU_DEP_1)
	v_add_f32_e32 v71, v71, v152
	s_wait_loadcnt 0x0
	v_dual_add_f32 v74, v71, v153 :: v_dual_sub_f32 v71, v138, v72
	s_delay_alu instid0(VALU_DEP_1)
	v_sub_f32_e32 v72, v139, v74
	scratch_store_b64 off, v[71:72], off offset:144
	v_cmpx_lt_u32_e32 17, v0
	s_cbranch_execz .LBB98_189
; %bb.188:
	scratch_load_b64 v[71:72], off, off offset:136
	v_mov_b32_e32 v74, 0
	s_delay_alu instid0(VALU_DEP_1)
	v_mov_b32_e32 v75, v74
	scratch_store_b64 off, v[74:75], off offset:136
	s_wait_loadcnt 0x0
	ds_store_b64 v73, v[71:72]
.LBB98_189:
	s_wait_alu 0xfffe
	s_or_b32 exec_lo, exec_lo, s0
	s_wait_storecnt_dscnt 0x0
	s_barrier_signal -1
	s_barrier_wait -1
	global_inv scope:SCOPE_SE
	s_clause 0x9
	scratch_load_b128 v[74:77], off, off offset:144
	scratch_load_b128 v[78:81], off, off offset:160
	;; [unrolled: 1-line block ×8, first 2 shown]
	scratch_load_b64 v[138:139], off, off offset:272
	scratch_load_b64 v[140:141], off, off offset:136
	v_mov_b32_e32 v71, 0
	ds_load_b128 v[106:109], v71 offset:432
	ds_load_b128 v[110:113], v71 offset:448
	;; [unrolled: 1-line block ×8, first 2 shown]
	ds_load_b64 v[142:143], v71 offset:560
	s_mov_b32 s0, exec_lo
	s_wait_loadcnt_dscnt 0x908
	v_mul_f32_e32 v72, v106, v75
	s_wait_loadcnt_dscnt 0x807
	v_dual_mul_f32 v144, v108, v77 :: v_dual_mul_f32 v145, v110, v79
	v_mul_f32_e32 v75, v107, v75
	s_delay_alu instid0(VALU_DEP_3)
	v_dual_mul_f32 v77, v109, v77 :: v_dual_fmac_f32 v72, v107, v74
	s_wait_loadcnt_dscnt 0x302
	v_mul_f32_e32 v156, v132, v101
	v_dual_mul_f32 v146, v112, v81 :: v_dual_mul_f32 v147, v114, v83
	s_wait_loadcnt_dscnt 0x100
	v_mul_f32_e32 v159, v142, v139
	v_fma_f32 v75, v106, v74, -v75
	v_mul_f32_e32 v74, v111, v79
	v_fmac_f32_e32 v144, v109, v76
	v_fma_f32 v76, v108, v76, -v77
	v_dual_add_f32 v72, 0, v72 :: v_dual_mul_f32 v77, v113, v81
	v_add_f32_e32 v75, 0, v75
	v_fmac_f32_e32 v145, v111, v78
	v_fma_f32 v74, v110, v78, -v74
	s_delay_alu instid0(VALU_DEP_4)
	v_add_f32_e32 v72, v72, v144
	v_fma_f32 v77, v112, v80, -v77
	v_add_f32_e32 v75, v75, v76
	v_mul_f32_e32 v76, v115, v83
	v_dual_mul_f32 v150, v120, v89 :: v_dual_mul_f32 v151, v122, v91
	v_add_f32_e32 v72, v72, v145
	s_delay_alu instid0(VALU_DEP_4) | instskip(NEXT) | instid1(VALU_DEP_4)
	v_dual_add_f32 v74, v75, v74 :: v_dual_mul_f32 v75, v117, v85
	v_fma_f32 v76, v114, v82, -v76
	v_dual_mul_f32 v152, v124, v93 :: v_dual_mul_f32 v153, v126, v95
	s_delay_alu instid0(VALU_DEP_3) | instskip(NEXT) | instid1(VALU_DEP_4)
	v_dual_add_f32 v74, v74, v77 :: v_dual_mul_f32 v77, v119, v87
	v_fma_f32 v75, v116, v84, -v75
	v_dual_mul_f32 v154, v128, v97 :: v_dual_mul_f32 v155, v130, v99
	s_delay_alu instid0(VALU_DEP_3) | instskip(SKIP_3) | instid1(VALU_DEP_4)
	v_dual_add_f32 v74, v74, v76 :: v_dual_fmac_f32 v151, v123, v90
	v_dual_fmac_f32 v146, v113, v80 :: v_dual_fmac_f32 v147, v115, v82
	v_dual_mul_f32 v76, v121, v89 :: v_dual_fmac_f32 v153, v127, v94
	v_fma_f32 v77, v118, v86, -v77
	v_dual_add_f32 v74, v74, v75 :: v_dual_fmac_f32 v155, v131, v98
	v_dual_mul_f32 v157, v134, v103 :: v_dual_mul_f32 v158, v136, v105
	v_dual_add_f32 v72, v72, v146 :: v_dual_mul_f32 v75, v123, v91
	v_fma_f32 v76, v120, v88, -v76
	s_delay_alu instid0(VALU_DEP_3) | instskip(SKIP_3) | instid1(VALU_DEP_4)
	v_dual_add_f32 v74, v74, v77 :: v_dual_fmac_f32 v157, v135, v102
	v_dual_mul_f32 v148, v116, v85 :: v_dual_mul_f32 v149, v118, v87
	v_mul_f32_e32 v77, v125, v93
	v_fma_f32 v75, v122, v90, -v75
	v_add_f32_e32 v74, v74, v76
	s_delay_alu instid0(VALU_DEP_4) | instskip(SKIP_4) | instid1(VALU_DEP_4)
	v_dual_fmac_f32 v148, v117, v84 :: v_dual_fmac_f32 v149, v119, v86
	v_add_f32_e32 v72, v72, v147
	v_mul_f32_e32 v76, v127, v95
	v_fma_f32 v77, v124, v92, -v77
	v_dual_add_f32 v74, v74, v75 :: v_dual_mul_f32 v75, v129, v97
	v_add_f32_e32 v72, v72, v148
	s_delay_alu instid0(VALU_DEP_4) | instskip(SKIP_1) | instid1(VALU_DEP_4)
	v_fma_f32 v76, v126, v94, -v76
	v_fmac_f32_e32 v150, v121, v88
	v_dual_add_f32 v74, v74, v77 :: v_dual_mul_f32 v77, v131, v99
	s_delay_alu instid0(VALU_DEP_4) | instskip(SKIP_1) | instid1(VALU_DEP_3)
	v_dual_add_f32 v72, v72, v149 :: v_dual_fmac_f32 v159, v143, v138
	v_fma_f32 v75, v128, v96, -v75
	v_add_f32_e32 v74, v74, v76
	v_fmac_f32_e32 v152, v125, v92
	v_fmac_f32_e32 v154, v129, v96
	v_mul_f32_e32 v76, v133, v101
	v_fma_f32 v77, v130, v98, -v77
	v_add_f32_e32 v74, v74, v75
	v_dual_mul_f32 v75, v135, v103 :: v_dual_add_f32 v72, v72, v150
	v_fmac_f32_e32 v156, v133, v100
	v_fma_f32 v76, v132, v100, -v76
	s_delay_alu instid0(VALU_DEP_4) | instskip(NEXT) | instid1(VALU_DEP_4)
	v_add_f32_e32 v74, v74, v77
	v_dual_mul_f32 v77, v137, v105 :: v_dual_add_f32 v72, v72, v151
	v_fma_f32 v75, v134, v102, -v75
	v_fmac_f32_e32 v158, v137, v104
	s_delay_alu instid0(VALU_DEP_4) | instskip(SKIP_3) | instid1(VALU_DEP_4)
	v_add_f32_e32 v74, v74, v76
	v_mul_f32_e32 v76, v143, v139
	v_add_f32_e32 v72, v72, v152
	v_fma_f32 v77, v136, v104, -v77
	v_add_f32_e32 v74, v74, v75
	s_delay_alu instid0(VALU_DEP_4) | instskip(NEXT) | instid1(VALU_DEP_4)
	v_fma_f32 v75, v142, v138, -v76
	v_add_f32_e32 v72, v72, v153
	s_delay_alu instid0(VALU_DEP_3) | instskip(NEXT) | instid1(VALU_DEP_2)
	v_add_f32_e32 v74, v74, v77
	v_add_f32_e32 v72, v72, v154
	s_delay_alu instid0(VALU_DEP_2) | instskip(NEXT) | instid1(VALU_DEP_2)
	v_add_f32_e32 v74, v74, v75
	v_add_f32_e32 v72, v72, v155
	s_wait_loadcnt 0x0
	s_delay_alu instid0(VALU_DEP_2) | instskip(NEXT) | instid1(VALU_DEP_2)
	v_sub_f32_e32 v74, v140, v74
	v_add_f32_e32 v72, v72, v156
	s_delay_alu instid0(VALU_DEP_1) | instskip(NEXT) | instid1(VALU_DEP_1)
	v_add_f32_e32 v72, v72, v157
	v_add_f32_e32 v72, v72, v158
	s_delay_alu instid0(VALU_DEP_1) | instskip(NEXT) | instid1(VALU_DEP_1)
	v_add_f32_e32 v72, v72, v159
	v_sub_f32_e32 v75, v141, v72
	scratch_store_b64 off, v[74:75], off offset:136
	v_cmpx_lt_u32_e32 16, v0
	s_cbranch_execz .LBB98_191
; %bb.190:
	scratch_load_b64 v[74:75], off, off offset:128
	v_mov_b32_e32 v72, v71
	scratch_store_b64 off, v[71:72], off offset:128
	s_wait_loadcnt 0x0
	ds_store_b64 v73, v[74:75]
.LBB98_191:
	s_wait_alu 0xfffe
	s_or_b32 exec_lo, exec_lo, s0
	s_wait_storecnt_dscnt 0x0
	s_barrier_signal -1
	s_barrier_wait -1
	global_inv scope:SCOPE_SE
	s_clause 0x9
	scratch_load_b128 v[74:77], off, off offset:136
	scratch_load_b128 v[78:81], off, off offset:152
	;; [unrolled: 1-line block ×9, first 2 shown]
	scratch_load_b64 v[146:147], off, off offset:128
	ds_load_2addr_b64 v[110:113], v71 offset0:53 offset1:54
	ds_load_2addr_b64 v[114:117], v71 offset0:55 offset1:56
	;; [unrolled: 1-line block ×9, first 2 shown]
	s_mov_b32 s0, exec_lo
	s_wait_loadcnt_dscnt 0x908
	v_dual_mul_f32 v71, v110, v75 :: v_dual_mul_f32 v72, v112, v77
	v_mul_f32_e32 v75, v111, v75
	s_wait_loadcnt_dscnt 0x807
	v_dual_mul_f32 v77, v113, v77 :: v_dual_mul_f32 v148, v114, v79
	s_delay_alu instid0(VALU_DEP_3) | instskip(NEXT) | instid1(VALU_DEP_3)
	v_dual_mul_f32 v149, v116, v81 :: v_dual_fmac_f32 v72, v113, v76
	v_fma_f32 v75, v110, v74, -v75
	v_fmac_f32_e32 v71, v111, v74
	v_mul_f32_e32 v74, v115, v79
	v_fma_f32 v76, v112, v76, -v77
	v_mul_f32_e32 v77, v117, v81
	v_dual_add_f32 v75, 0, v75 :: v_dual_fmac_f32 v148, v115, v78
	s_delay_alu instid0(VALU_DEP_4) | instskip(SKIP_2) | instid1(VALU_DEP_3)
	v_fma_f32 v74, v114, v78, -v74
	s_wait_loadcnt_dscnt 0x706
	v_dual_mul_f32 v150, v118, v83 :: v_dual_mul_f32 v151, v120, v85
	v_add_f32_e32 v75, v75, v76
	v_fmac_f32_e32 v149, v117, v80
	v_fma_f32 v76, v116, v80, -v77
	s_wait_loadcnt_dscnt 0x605
	v_dual_mul_f32 v152, v122, v87 :: v_dual_mul_f32 v153, v124, v89
	v_dual_add_f32 v74, v75, v74 :: v_dual_mul_f32 v75, v121, v85
	v_fmac_f32_e32 v150, v119, v82
	s_wait_loadcnt_dscnt 0x504
	v_dual_mul_f32 v154, v126, v91 :: v_dual_mul_f32 v155, v128, v93
	s_delay_alu instid0(VALU_DEP_3) | instskip(SKIP_3) | instid1(VALU_DEP_4)
	v_dual_add_f32 v74, v74, v76 :: v_dual_add_f32 v71, 0, v71
	v_mul_f32_e32 v76, v123, v87
	v_fma_f32 v75, v120, v84, -v75
	v_dual_fmac_f32 v151, v121, v84 :: v_dual_fmac_f32 v152, v123, v86
	v_add_f32_e32 v71, v71, v72
	v_mul_f32_e32 v72, v119, v83
	v_fma_f32 v76, v122, v86, -v76
	v_dual_fmac_f32 v153, v125, v88 :: v_dual_fmac_f32 v154, v127, v90
	s_wait_loadcnt_dscnt 0x403
	v_dual_mul_f32 v156, v130, v95 :: v_dual_mul_f32 v157, v132, v97
	v_fma_f32 v72, v118, v82, -v72
	s_wait_loadcnt_dscnt 0x302
	v_dual_mul_f32 v158, v134, v99 :: v_dual_mul_f32 v159, v136, v101
	s_wait_loadcnt_dscnt 0x201
	v_dual_mul_f32 v160, v138, v103 :: v_dual_mul_f32 v161, v140, v105
	v_add_f32_e32 v72, v74, v72
	v_mul_f32_e32 v74, v125, v89
	v_dual_fmac_f32 v158, v135, v98 :: v_dual_fmac_f32 v159, v137, v100
	s_delay_alu instid0(VALU_DEP_4) | instskip(NEXT) | instid1(VALU_DEP_4)
	v_dual_fmac_f32 v160, v139, v102 :: v_dual_fmac_f32 v161, v141, v104
	v_dual_add_f32 v72, v72, v75 :: v_dual_add_f32 v71, v71, v148
	v_mul_f32_e32 v75, v127, v91
	v_fma_f32 v74, v124, v88, -v74
	v_fmac_f32_e32 v155, v129, v92
	s_delay_alu instid0(VALU_DEP_4)
	v_add_f32_e32 v72, v72, v76
	v_mul_f32_e32 v76, v129, v93
	v_add_f32_e32 v71, v71, v149
	v_fma_f32 v75, v126, v90, -v75
	v_fmac_f32_e32 v156, v131, v94
	v_add_f32_e32 v72, v72, v74
	v_mul_f32_e32 v74, v131, v95
	v_add_f32_e32 v71, v71, v150
	v_fma_f32 v76, v128, v92, -v76
	s_delay_alu instid0(VALU_DEP_4) | instskip(SKIP_1) | instid1(VALU_DEP_4)
	v_dual_fmac_f32 v157, v133, v96 :: v_dual_add_f32 v72, v72, v75
	v_mul_f32_e32 v75, v133, v97
	v_add_f32_e32 v71, v71, v151
	v_fma_f32 v74, v130, v94, -v74
	s_wait_loadcnt_dscnt 0x100
	v_dual_mul_f32 v162, v142, v107 :: v_dual_mul_f32 v163, v144, v109
	v_add_f32_e32 v72, v72, v76
	v_add_f32_e32 v71, v71, v152
	v_fma_f32 v75, v132, v96, -v75
	v_mul_f32_e32 v76, v135, v99
	v_dual_fmac_f32 v162, v143, v106 :: v_dual_fmac_f32 v163, v145, v108
	s_delay_alu instid0(VALU_DEP_4) | instskip(SKIP_1) | instid1(VALU_DEP_4)
	v_dual_add_f32 v72, v72, v74 :: v_dual_add_f32 v71, v71, v153
	v_mul_f32_e32 v74, v137, v101
	v_fma_f32 v76, v134, v98, -v76
	s_delay_alu instid0(VALU_DEP_3) | instskip(SKIP_1) | instid1(VALU_DEP_4)
	v_dual_add_f32 v72, v72, v75 :: v_dual_add_f32 v71, v71, v154
	v_mul_f32_e32 v75, v139, v103
	v_fma_f32 v74, v136, v100, -v74
	s_delay_alu instid0(VALU_DEP_3) | instskip(SKIP_1) | instid1(VALU_DEP_4)
	;; [unrolled: 4-line block ×4, first 2 shown]
	v_dual_add_f32 v72, v72, v75 :: v_dual_add_f32 v71, v71, v157
	v_mul_f32_e32 v75, v145, v109
	v_fma_f32 v74, v142, v106, -v74
	s_delay_alu instid0(VALU_DEP_3) | instskip(NEXT) | instid1(VALU_DEP_3)
	v_dual_add_f32 v72, v72, v76 :: v_dual_add_f32 v71, v71, v158
	v_fma_f32 v75, v144, v108, -v75
	s_delay_alu instid0(VALU_DEP_2) | instskip(NEXT) | instid1(VALU_DEP_1)
	v_dual_add_f32 v72, v72, v74 :: v_dual_add_f32 v71, v71, v159
	v_dual_add_f32 v72, v72, v75 :: v_dual_add_f32 v71, v71, v160
	s_delay_alu instid0(VALU_DEP_1) | instskip(NEXT) | instid1(VALU_DEP_1)
	v_add_f32_e32 v71, v71, v161
	v_add_f32_e32 v71, v71, v162
	s_wait_loadcnt 0x0
	s_delay_alu instid0(VALU_DEP_1) | instskip(NEXT) | instid1(VALU_DEP_1)
	v_dual_add_f32 v74, v71, v163 :: v_dual_sub_f32 v71, v146, v72
	v_sub_f32_e32 v72, v147, v74
	scratch_store_b64 off, v[71:72], off offset:128
	v_cmpx_lt_u32_e32 15, v0
	s_cbranch_execz .LBB98_193
; %bb.192:
	scratch_load_b64 v[71:72], off, off offset:120
	v_mov_b32_e32 v74, 0
	s_delay_alu instid0(VALU_DEP_1)
	v_mov_b32_e32 v75, v74
	scratch_store_b64 off, v[74:75], off offset:120
	s_wait_loadcnt 0x0
	ds_store_b64 v73, v[71:72]
.LBB98_193:
	s_wait_alu 0xfffe
	s_or_b32 exec_lo, exec_lo, s0
	s_wait_storecnt_dscnt 0x0
	s_barrier_signal -1
	s_barrier_wait -1
	global_inv scope:SCOPE_SE
	s_clause 0xa
	scratch_load_b128 v[74:77], off, off offset:128
	scratch_load_b128 v[78:81], off, off offset:144
	;; [unrolled: 1-line block ×9, first 2 shown]
	scratch_load_b64 v[146:147], off, off offset:272
	scratch_load_b64 v[148:149], off, off offset:120
	v_mov_b32_e32 v71, 0
	ds_load_b128 v[110:113], v71 offset:416
	ds_load_b128 v[114:117], v71 offset:432
	;; [unrolled: 1-line block ×9, first 2 shown]
	ds_load_b64 v[150:151], v71 offset:560
	s_mov_b32 s0, exec_lo
	s_wait_loadcnt_dscnt 0xa09
	v_mul_f32_e32 v72, v110, v75
	s_wait_loadcnt_dscnt 0x908
	v_dual_mul_f32 v152, v112, v77 :: v_dual_mul_f32 v153, v114, v79
	v_mul_f32_e32 v75, v111, v75
	s_delay_alu instid0(VALU_DEP_3)
	v_dual_mul_f32 v77, v113, v77 :: v_dual_fmac_f32 v72, v111, v74
	s_wait_loadcnt_dscnt 0x807
	v_dual_mul_f32 v154, v116, v81 :: v_dual_mul_f32 v155, v118, v83
	s_wait_loadcnt_dscnt 0x100
	v_dual_mul_f32 v166, v140, v105 :: v_dual_mul_f32 v169, v150, v147
	v_fma_f32 v75, v110, v74, -v75
	v_mul_f32_e32 v74, v115, v79
	v_fmac_f32_e32 v152, v113, v76
	v_fma_f32 v76, v112, v76, -v77
	v_dual_add_f32 v72, 0, v72 :: v_dual_mul_f32 v77, v117, v81
	v_add_f32_e32 v75, 0, v75
	v_fmac_f32_e32 v153, v115, v78
	v_fma_f32 v74, v114, v78, -v74
	s_delay_alu instid0(VALU_DEP_4)
	v_add_f32_e32 v72, v72, v152
	v_fma_f32 v77, v116, v80, -v77
	v_add_f32_e32 v75, v75, v76
	v_mul_f32_e32 v76, v119, v83
	v_dual_mul_f32 v158, v124, v89 :: v_dual_mul_f32 v159, v126, v91
	v_add_f32_e32 v72, v72, v153
	s_delay_alu instid0(VALU_DEP_4) | instskip(NEXT) | instid1(VALU_DEP_4)
	v_dual_add_f32 v74, v75, v74 :: v_dual_mul_f32 v75, v121, v85
	v_fma_f32 v76, v118, v82, -v76
	v_dual_mul_f32 v160, v128, v93 :: v_dual_mul_f32 v161, v130, v95
	s_delay_alu instid0(VALU_DEP_3) | instskip(NEXT) | instid1(VALU_DEP_4)
	v_dual_add_f32 v74, v74, v77 :: v_dual_mul_f32 v77, v123, v87
	v_fma_f32 v75, v120, v84, -v75
	v_dual_mul_f32 v162, v132, v97 :: v_dual_mul_f32 v163, v134, v99
	s_delay_alu instid0(VALU_DEP_3) | instskip(SKIP_3) | instid1(VALU_DEP_4)
	v_dual_add_f32 v74, v74, v76 :: v_dual_fmac_f32 v159, v127, v90
	v_dual_fmac_f32 v154, v117, v80 :: v_dual_fmac_f32 v155, v119, v82
	v_dual_mul_f32 v76, v125, v89 :: v_dual_fmac_f32 v161, v131, v94
	v_fma_f32 v77, v122, v86, -v77
	v_dual_add_f32 v74, v74, v75 :: v_dual_fmac_f32 v163, v135, v98
	v_dual_mul_f32 v164, v136, v101 :: v_dual_mul_f32 v165, v138, v103
	v_dual_add_f32 v72, v72, v154 :: v_dual_mul_f32 v75, v127, v91
	v_fma_f32 v76, v124, v88, -v76
	s_delay_alu instid0(VALU_DEP_3) | instskip(SKIP_1) | instid1(VALU_DEP_4)
	v_dual_add_f32 v74, v74, v77 :: v_dual_fmac_f32 v165, v139, v102
	v_mul_f32_e32 v77, v129, v93
	v_fma_f32 v75, v126, v90, -v75
	v_dual_mul_f32 v156, v120, v85 :: v_dual_mul_f32 v157, v122, v87
	s_delay_alu instid0(VALU_DEP_4) | instskip(SKIP_2) | instid1(VALU_DEP_4)
	v_add_f32_e32 v74, v74, v76
	v_mul_f32_e32 v76, v131, v95
	v_fma_f32 v77, v128, v92, -v77
	v_dual_fmac_f32 v156, v121, v84 :: v_dual_fmac_f32 v157, v123, v86
	s_delay_alu instid0(VALU_DEP_4) | instskip(SKIP_2) | instid1(VALU_DEP_3)
	v_dual_add_f32 v74, v74, v75 :: v_dual_fmac_f32 v169, v151, v146
	v_dual_add_f32 v72, v72, v155 :: v_dual_mul_f32 v75, v133, v97
	v_fma_f32 v76, v130, v94, -v76
	v_dual_add_f32 v74, v74, v77 :: v_dual_mul_f32 v77, v135, v99
	s_delay_alu instid0(VALU_DEP_3) | instskip(NEXT) | instid1(VALU_DEP_4)
	v_add_f32_e32 v72, v72, v156
	v_fma_f32 v75, v132, v96, -v75
	v_dual_mul_f32 v167, v142, v107 :: v_dual_mul_f32 v168, v144, v109
	s_delay_alu instid0(VALU_DEP_4)
	v_add_f32_e32 v74, v74, v76
	v_mul_f32_e32 v76, v137, v101
	v_fma_f32 v77, v134, v98, -v77
	v_fmac_f32_e32 v158, v125, v88
	v_dual_add_f32 v72, v72, v157 :: v_dual_fmac_f32 v167, v143, v106
	v_add_f32_e32 v74, v74, v75
	v_mul_f32_e32 v75, v139, v103
	v_fma_f32 v76, v136, v100, -v76
	s_delay_alu instid0(VALU_DEP_4)
	v_add_f32_e32 v72, v72, v158
	v_fmac_f32_e32 v160, v129, v92
	v_add_f32_e32 v74, v74, v77
	v_mul_f32_e32 v77, v141, v105
	v_fma_f32 v75, v138, v102, -v75
	v_fmac_f32_e32 v162, v133, v96
	v_fmac_f32_e32 v164, v137, v100
	v_add_f32_e32 v74, v74, v76
	v_fma_f32 v77, v140, v104, -v77
	v_mul_f32_e32 v76, v143, v107
	v_fmac_f32_e32 v166, v141, v104
	v_fmac_f32_e32 v168, v145, v108
	v_dual_add_f32 v74, v74, v75 :: v_dual_mul_f32 v75, v145, v109
	v_add_f32_e32 v72, v72, v159
	v_fma_f32 v76, v142, v106, -v76
	s_delay_alu instid0(VALU_DEP_3) | instskip(NEXT) | instid1(VALU_DEP_3)
	v_dual_add_f32 v74, v74, v77 :: v_dual_mul_f32 v77, v151, v147
	v_add_f32_e32 v72, v72, v160
	v_fma_f32 v75, v144, v108, -v75
	s_delay_alu instid0(VALU_DEP_3) | instskip(NEXT) | instid1(VALU_DEP_4)
	v_add_f32_e32 v74, v74, v76
	v_fma_f32 v76, v150, v146, -v77
	s_delay_alu instid0(VALU_DEP_4) | instskip(NEXT) | instid1(VALU_DEP_3)
	v_add_f32_e32 v72, v72, v161
	v_add_f32_e32 v74, v74, v75
	s_delay_alu instid0(VALU_DEP_2) | instskip(NEXT) | instid1(VALU_DEP_2)
	v_add_f32_e32 v72, v72, v162
	v_add_f32_e32 v74, v74, v76
	s_delay_alu instid0(VALU_DEP_2) | instskip(SKIP_1) | instid1(VALU_DEP_2)
	v_add_f32_e32 v72, v72, v163
	s_wait_loadcnt 0x0
	v_sub_f32_e32 v74, v148, v74
	s_delay_alu instid0(VALU_DEP_2) | instskip(NEXT) | instid1(VALU_DEP_1)
	v_add_f32_e32 v72, v72, v164
	v_add_f32_e32 v72, v72, v165
	s_delay_alu instid0(VALU_DEP_1) | instskip(NEXT) | instid1(VALU_DEP_1)
	v_add_f32_e32 v72, v72, v166
	v_add_f32_e32 v72, v72, v167
	s_delay_alu instid0(VALU_DEP_1) | instskip(NEXT) | instid1(VALU_DEP_1)
	v_add_f32_e32 v72, v72, v168
	v_add_f32_e32 v72, v72, v169
	s_delay_alu instid0(VALU_DEP_1)
	v_sub_f32_e32 v75, v149, v72
	scratch_store_b64 off, v[74:75], off offset:120
	v_cmpx_lt_u32_e32 14, v0
	s_cbranch_execz .LBB98_195
; %bb.194:
	scratch_load_b64 v[74:75], off, off offset:112
	v_mov_b32_e32 v72, v71
	scratch_store_b64 off, v[71:72], off offset:112
	s_wait_loadcnt 0x0
	ds_store_b64 v73, v[74:75]
.LBB98_195:
	s_wait_alu 0xfffe
	s_or_b32 exec_lo, exec_lo, s0
	s_wait_storecnt_dscnt 0x0
	s_barrier_signal -1
	s_barrier_wait -1
	global_inv scope:SCOPE_SE
	s_clause 0xa
	scratch_load_b128 v[74:77], off, off offset:120
	scratch_load_b128 v[78:81], off, off offset:136
	;; [unrolled: 1-line block ×10, first 2 shown]
	scratch_load_b64 v[154:155], off, off offset:112
	ds_load_2addr_b64 v[114:117], v71 offset0:51 offset1:52
	ds_load_2addr_b64 v[118:121], v71 offset0:53 offset1:54
	ds_load_2addr_b64 v[122:125], v71 offset0:55 offset1:56
	ds_load_2addr_b64 v[126:129], v71 offset0:57 offset1:58
	ds_load_2addr_b64 v[130:133], v71 offset0:59 offset1:60
	ds_load_2addr_b64 v[134:137], v71 offset0:61 offset1:62
	ds_load_2addr_b64 v[138:141], v71 offset0:63 offset1:64
	ds_load_2addr_b64 v[142:145], v71 offset0:65 offset1:66
	ds_load_2addr_b64 v[146:149], v71 offset0:67 offset1:68
	ds_load_2addr_b64 v[150:153], v71 offset0:69 offset1:70
	s_mov_b32 s0, exec_lo
	s_wait_loadcnt_dscnt 0xa09
	v_dual_mul_f32 v71, v114, v75 :: v_dual_mul_f32 v72, v116, v77
	v_mul_f32_e32 v75, v115, v75
	s_wait_loadcnt_dscnt 0x908
	v_dual_mul_f32 v77, v117, v77 :: v_dual_mul_f32 v156, v118, v79
	s_delay_alu instid0(VALU_DEP_3) | instskip(NEXT) | instid1(VALU_DEP_3)
	v_dual_mul_f32 v157, v120, v81 :: v_dual_fmac_f32 v72, v117, v76
	v_fma_f32 v75, v114, v74, -v75
	v_fmac_f32_e32 v71, v115, v74
	v_mul_f32_e32 v74, v119, v79
	v_fma_f32 v76, v116, v76, -v77
	v_mul_f32_e32 v77, v121, v81
	v_dual_add_f32 v75, 0, v75 :: v_dual_fmac_f32 v156, v119, v78
	s_delay_alu instid0(VALU_DEP_4) | instskip(SKIP_2) | instid1(VALU_DEP_3)
	v_fma_f32 v74, v118, v78, -v74
	s_wait_loadcnt_dscnt 0x807
	v_dual_mul_f32 v158, v122, v83 :: v_dual_mul_f32 v159, v124, v85
	v_add_f32_e32 v75, v75, v76
	v_fmac_f32_e32 v157, v121, v80
	v_fma_f32 v76, v120, v80, -v77
	s_wait_loadcnt_dscnt 0x706
	v_dual_mul_f32 v160, v126, v87 :: v_dual_mul_f32 v161, v128, v89
	v_dual_add_f32 v74, v75, v74 :: v_dual_mul_f32 v75, v125, v85
	v_fmac_f32_e32 v158, v123, v82
	s_wait_loadcnt_dscnt 0x605
	v_dual_mul_f32 v162, v130, v91 :: v_dual_mul_f32 v163, v132, v93
	s_delay_alu instid0(VALU_DEP_3) | instskip(SKIP_3) | instid1(VALU_DEP_4)
	v_dual_add_f32 v74, v74, v76 :: v_dual_add_f32 v71, 0, v71
	v_mul_f32_e32 v76, v127, v87
	v_fma_f32 v75, v124, v84, -v75
	v_dual_fmac_f32 v159, v125, v84 :: v_dual_fmac_f32 v160, v127, v86
	v_add_f32_e32 v71, v71, v72
	v_mul_f32_e32 v72, v123, v83
	v_fma_f32 v76, v126, v86, -v76
	v_dual_fmac_f32 v161, v129, v88 :: v_dual_fmac_f32 v162, v131, v90
	s_wait_loadcnt_dscnt 0x504
	v_dual_mul_f32 v164, v134, v95 :: v_dual_mul_f32 v165, v136, v97
	v_fma_f32 v72, v122, v82, -v72
	s_wait_loadcnt_dscnt 0x403
	v_dual_mul_f32 v166, v138, v99 :: v_dual_mul_f32 v167, v140, v101
	s_wait_loadcnt_dscnt 0x302
	v_dual_mul_f32 v168, v142, v103 :: v_dual_mul_f32 v169, v144, v105
	v_add_f32_e32 v72, v74, v72
	v_mul_f32_e32 v74, v129, v89
	v_dual_fmac_f32 v166, v139, v98 :: v_dual_fmac_f32 v167, v141, v100
	s_delay_alu instid0(VALU_DEP_4) | instskip(NEXT) | instid1(VALU_DEP_4)
	v_dual_fmac_f32 v168, v143, v102 :: v_dual_fmac_f32 v169, v145, v104
	v_dual_add_f32 v72, v72, v75 :: v_dual_add_f32 v71, v71, v156
	v_mul_f32_e32 v75, v131, v91
	v_fma_f32 v74, v128, v88, -v74
	v_fmac_f32_e32 v163, v133, v92
	s_delay_alu instid0(VALU_DEP_4)
	v_add_f32_e32 v72, v72, v76
	v_mul_f32_e32 v76, v133, v93
	v_add_f32_e32 v71, v71, v157
	v_fma_f32 v75, v130, v90, -v75
	v_fmac_f32_e32 v164, v135, v94
	v_add_f32_e32 v72, v72, v74
	v_mul_f32_e32 v74, v135, v95
	v_add_f32_e32 v71, v71, v158
	v_fma_f32 v76, v132, v92, -v76
	s_delay_alu instid0(VALU_DEP_4) | instskip(SKIP_1) | instid1(VALU_DEP_4)
	v_dual_fmac_f32 v165, v137, v96 :: v_dual_add_f32 v72, v72, v75
	v_mul_f32_e32 v75, v137, v97
	v_add_f32_e32 v71, v71, v159
	v_fma_f32 v74, v134, v94, -v74
	s_wait_loadcnt_dscnt 0x201
	v_dual_mul_f32 v170, v146, v107 :: v_dual_mul_f32 v171, v148, v109
	v_add_f32_e32 v72, v72, v76
	v_add_f32_e32 v71, v71, v160
	v_fma_f32 v75, v136, v96, -v75
	v_mul_f32_e32 v76, v139, v99
	s_wait_loadcnt_dscnt 0x100
	v_dual_mul_f32 v172, v150, v111 :: v_dual_mul_f32 v173, v152, v113
	v_dual_add_f32 v72, v72, v74 :: v_dual_add_f32 v71, v71, v161
	v_mul_f32_e32 v74, v141, v101
	v_fma_f32 v76, v138, v98, -v76
	v_dual_fmac_f32 v170, v147, v106 :: v_dual_fmac_f32 v171, v149, v108
	s_delay_alu instid0(VALU_DEP_4) | instskip(SKIP_3) | instid1(VALU_DEP_4)
	v_dual_add_f32 v72, v72, v75 :: v_dual_add_f32 v71, v71, v162
	v_mul_f32_e32 v75, v143, v103
	v_fma_f32 v74, v140, v100, -v74
	v_fmac_f32_e32 v173, v153, v112
	v_dual_add_f32 v72, v72, v76 :: v_dual_add_f32 v71, v71, v163
	v_mul_f32_e32 v76, v145, v105
	v_fma_f32 v75, v142, v102, -v75
	s_delay_alu instid0(VALU_DEP_3) | instskip(SKIP_1) | instid1(VALU_DEP_4)
	v_dual_add_f32 v72, v72, v74 :: v_dual_add_f32 v71, v71, v164
	v_mul_f32_e32 v74, v147, v107
	v_fma_f32 v76, v144, v104, -v76
	s_delay_alu instid0(VALU_DEP_3) | instskip(SKIP_1) | instid1(VALU_DEP_4)
	;; [unrolled: 4-line block ×4, first 2 shown]
	v_dual_add_f32 v72, v72, v74 :: v_dual_add_f32 v71, v71, v167
	v_mul_f32_e32 v74, v153, v113
	v_fma_f32 v76, v150, v110, -v76
	s_delay_alu instid0(VALU_DEP_3) | instskip(NEXT) | instid1(VALU_DEP_3)
	v_dual_add_f32 v72, v72, v75 :: v_dual_add_f32 v71, v71, v168
	v_fma_f32 v74, v152, v112, -v74
	s_delay_alu instid0(VALU_DEP_2) | instskip(NEXT) | instid1(VALU_DEP_1)
	v_dual_add_f32 v72, v72, v76 :: v_dual_add_f32 v71, v71, v169
	v_add_f32_e32 v72, v72, v74
	s_delay_alu instid0(VALU_DEP_2) | instskip(SKIP_1) | instid1(VALU_DEP_2)
	v_add_f32_e32 v71, v71, v170
	v_fmac_f32_e32 v172, v151, v110
	v_add_f32_e32 v71, v71, v171
	s_delay_alu instid0(VALU_DEP_1) | instskip(SKIP_1) | instid1(VALU_DEP_1)
	v_add_f32_e32 v71, v71, v172
	s_wait_loadcnt 0x0
	v_dual_add_f32 v74, v71, v173 :: v_dual_sub_f32 v71, v154, v72
	s_delay_alu instid0(VALU_DEP_1)
	v_sub_f32_e32 v72, v155, v74
	scratch_store_b64 off, v[71:72], off offset:112
	v_cmpx_lt_u32_e32 13, v0
	s_cbranch_execz .LBB98_197
; %bb.196:
	scratch_load_b64 v[71:72], off, off offset:104
	v_mov_b32_e32 v74, 0
	s_delay_alu instid0(VALU_DEP_1)
	v_mov_b32_e32 v75, v74
	scratch_store_b64 off, v[74:75], off offset:104
	s_wait_loadcnt 0x0
	ds_store_b64 v73, v[71:72]
.LBB98_197:
	s_wait_alu 0xfffe
	s_or_b32 exec_lo, exec_lo, s0
	s_wait_storecnt_dscnt 0x0
	s_barrier_signal -1
	s_barrier_wait -1
	global_inv scope:SCOPE_SE
	s_clause 0xb
	scratch_load_b128 v[74:77], off, off offset:112
	scratch_load_b128 v[78:81], off, off offset:128
	scratch_load_b128 v[82:85], off, off offset:144
	scratch_load_b128 v[86:89], off, off offset:160
	scratch_load_b128 v[90:93], off, off offset:176
	scratch_load_b128 v[94:97], off, off offset:192
	scratch_load_b128 v[98:101], off, off offset:208
	scratch_load_b128 v[102:105], off, off offset:224
	scratch_load_b128 v[106:109], off, off offset:240
	scratch_load_b128 v[110:113], off, off offset:256
	scratch_load_b64 v[154:155], off, off offset:272
	scratch_load_b64 v[156:157], off, off offset:104
	v_mov_b32_e32 v71, 0
	ds_load_b128 v[114:117], v71 offset:400
	ds_load_b128 v[118:121], v71 offset:416
	;; [unrolled: 1-line block ×10, first 2 shown]
	ds_load_b64 v[158:159], v71 offset:560
	s_mov_b32 s0, exec_lo
	s_wait_loadcnt_dscnt 0xb0a
	v_mul_f32_e32 v72, v114, v75
	s_wait_loadcnt_dscnt 0xa09
	v_dual_mul_f32 v160, v116, v77 :: v_dual_mul_f32 v161, v118, v79
	v_mul_f32_e32 v77, v117, v77
	v_dual_mul_f32 v75, v115, v75 :: v_dual_mul_f32 v162, v120, v81
	s_wait_loadcnt_dscnt 0x908
	v_dual_mul_f32 v163, v122, v83 :: v_dual_fmac_f32 v72, v115, v74
	s_wait_loadcnt_dscnt 0x302
	v_mul_f32_e32 v176, v148, v109
	v_fma_f32 v75, v114, v74, -v75
	s_wait_loadcnt_dscnt 0x100
	v_mul_f32_e32 v179, v158, v155
	v_mul_f32_e32 v74, v119, v79
	v_fmac_f32_e32 v160, v117, v76
	v_fma_f32 v76, v116, v76, -v77
	v_dual_add_f32 v75, 0, v75 :: v_dual_add_f32 v72, 0, v72
	v_mul_f32_e32 v77, v121, v81
	v_fmac_f32_e32 v161, v119, v78
	v_fma_f32 v74, v118, v78, -v74
	v_dual_mul_f32 v166, v128, v89 :: v_dual_mul_f32 v167, v130, v91
	v_add_f32_e32 v72, v72, v160
	v_add_f32_e32 v75, v75, v76
	v_mul_f32_e32 v76, v123, v83
	v_fma_f32 v77, v120, v80, -v77
	v_dual_mul_f32 v168, v132, v93 :: v_dual_mul_f32 v169, v134, v95
	v_add_f32_e32 v72, v72, v161
	v_dual_add_f32 v74, v75, v74 :: v_dual_mul_f32 v75, v125, v85
	v_fma_f32 v76, v122, v82, -v76
	v_dual_mul_f32 v170, v136, v97 :: v_dual_mul_f32 v171, v138, v99
	s_delay_alu instid0(VALU_DEP_3) | instskip(NEXT) | instid1(VALU_DEP_4)
	v_dual_add_f32 v74, v74, v77 :: v_dual_mul_f32 v77, v127, v87
	v_fma_f32 v75, v124, v84, -v75
	v_dual_fmac_f32 v162, v121, v80 :: v_dual_fmac_f32 v163, v123, v82
	s_delay_alu instid0(VALU_DEP_3) | instskip(SKIP_2) | instid1(VALU_DEP_3)
	v_dual_add_f32 v74, v74, v76 :: v_dual_fmac_f32 v167, v131, v90
	v_dual_mul_f32 v76, v129, v89 :: v_dual_fmac_f32 v169, v135, v94
	v_fma_f32 v77, v126, v86, -v77
	v_dual_add_f32 v74, v74, v75 :: v_dual_fmac_f32 v171, v139, v98
	v_dual_mul_f32 v172, v140, v101 :: v_dual_mul_f32 v173, v142, v103
	v_dual_add_f32 v72, v72, v162 :: v_dual_mul_f32 v75, v131, v91
	v_fma_f32 v76, v128, v88, -v76
	s_delay_alu instid0(VALU_DEP_3) | instskip(SKIP_1) | instid1(VALU_DEP_4)
	v_dual_add_f32 v74, v74, v77 :: v_dual_fmac_f32 v173, v143, v102
	v_mul_f32_e32 v77, v133, v93
	v_fma_f32 v75, v130, v90, -v75
	v_dual_mul_f32 v164, v124, v85 :: v_dual_mul_f32 v165, v126, v87
	s_delay_alu instid0(VALU_DEP_4) | instskip(SKIP_3) | instid1(VALU_DEP_3)
	v_add_f32_e32 v74, v74, v76
	v_dual_mul_f32 v177, v150, v111 :: v_dual_mul_f32 v178, v152, v113
	v_mul_f32_e32 v76, v135, v95
	v_fma_f32 v77, v132, v92, -v77
	v_dual_add_f32 v74, v74, v75 :: v_dual_fmac_f32 v177, v151, v110
	v_dual_fmac_f32 v164, v125, v84 :: v_dual_fmac_f32 v165, v127, v86
	v_dual_add_f32 v72, v72, v163 :: v_dual_mul_f32 v75, v137, v97
	v_fma_f32 v76, v134, v94, -v76
	s_delay_alu instid0(VALU_DEP_4) | instskip(NEXT) | instid1(VALU_DEP_3)
	v_dual_add_f32 v74, v74, v77 :: v_dual_mul_f32 v77, v139, v99
	v_add_f32_e32 v72, v72, v164
	s_delay_alu instid0(VALU_DEP_4) | instskip(SKIP_1) | instid1(VALU_DEP_4)
	v_fma_f32 v75, v136, v96, -v75
	v_dual_mul_f32 v174, v144, v105 :: v_dual_mul_f32 v175, v146, v107
	v_add_f32_e32 v74, v74, v76
	v_mul_f32_e32 v76, v141, v101
	v_fma_f32 v77, v138, v98, -v77
	v_fmac_f32_e32 v166, v129, v88
	v_dual_add_f32 v72, v72, v165 :: v_dual_fmac_f32 v175, v147, v106
	v_add_f32_e32 v74, v74, v75
	v_mul_f32_e32 v75, v143, v103
	v_fma_f32 v76, v140, v100, -v76
	s_delay_alu instid0(VALU_DEP_4)
	v_add_f32_e32 v72, v72, v166
	v_fmac_f32_e32 v168, v133, v92
	v_add_f32_e32 v74, v74, v77
	v_mul_f32_e32 v77, v145, v105
	v_fma_f32 v75, v142, v102, -v75
	v_dual_fmac_f32 v179, v159, v154 :: v_dual_fmac_f32 v170, v137, v96
	s_delay_alu instid0(VALU_DEP_4) | instskip(NEXT) | instid1(VALU_DEP_4)
	v_add_f32_e32 v74, v74, v76
	v_fma_f32 v77, v144, v104, -v77
	v_fmac_f32_e32 v172, v141, v100
	v_mul_f32_e32 v76, v147, v107
	v_fmac_f32_e32 v174, v145, v104
	v_dual_add_f32 v74, v74, v75 :: v_dual_mul_f32 v75, v149, v109
	v_add_f32_e32 v72, v72, v167
	s_delay_alu instid0(VALU_DEP_4) | instskip(SKIP_1) | instid1(VALU_DEP_4)
	v_fma_f32 v76, v146, v106, -v76
	v_fmac_f32_e32 v176, v149, v108
	v_dual_add_f32 v74, v74, v77 :: v_dual_mul_f32 v77, v151, v111
	s_delay_alu instid0(VALU_DEP_4) | instskip(SKIP_2) | instid1(VALU_DEP_4)
	v_add_f32_e32 v72, v72, v168
	v_fma_f32 v75, v148, v108, -v75
	v_fmac_f32_e32 v178, v153, v112
	v_add_f32_e32 v74, v74, v76
	v_mul_f32_e32 v76, v153, v113
	v_add_f32_e32 v72, v72, v169
	v_fma_f32 v77, v150, v110, -v77
	s_delay_alu instid0(VALU_DEP_4) | instskip(NEXT) | instid1(VALU_DEP_3)
	v_add_f32_e32 v74, v74, v75
	v_dual_mul_f32 v75, v159, v155 :: v_dual_add_f32 v72, v72, v170
	v_fma_f32 v76, v152, v112, -v76
	s_delay_alu instid0(VALU_DEP_3) | instskip(NEXT) | instid1(VALU_DEP_3)
	v_add_f32_e32 v74, v74, v77
	v_fma_f32 v75, v158, v154, -v75
	s_delay_alu instid0(VALU_DEP_4) | instskip(NEXT) | instid1(VALU_DEP_3)
	v_add_f32_e32 v72, v72, v171
	v_add_f32_e32 v74, v74, v76
	s_delay_alu instid0(VALU_DEP_2) | instskip(NEXT) | instid1(VALU_DEP_2)
	v_add_f32_e32 v72, v72, v172
	v_add_f32_e32 v74, v74, v75
	s_delay_alu instid0(VALU_DEP_2) | instskip(SKIP_1) | instid1(VALU_DEP_2)
	v_add_f32_e32 v72, v72, v173
	s_wait_loadcnt 0x0
	v_sub_f32_e32 v74, v156, v74
	s_delay_alu instid0(VALU_DEP_2) | instskip(NEXT) | instid1(VALU_DEP_1)
	v_add_f32_e32 v72, v72, v174
	v_add_f32_e32 v72, v72, v175
	s_delay_alu instid0(VALU_DEP_1) | instskip(NEXT) | instid1(VALU_DEP_1)
	v_add_f32_e32 v72, v72, v176
	v_add_f32_e32 v72, v72, v177
	s_delay_alu instid0(VALU_DEP_1) | instskip(NEXT) | instid1(VALU_DEP_1)
	v_add_f32_e32 v72, v72, v178
	v_add_f32_e32 v72, v72, v179
	s_delay_alu instid0(VALU_DEP_1)
	v_sub_f32_e32 v75, v157, v72
	scratch_store_b64 off, v[74:75], off offset:104
	v_cmpx_lt_u32_e32 12, v0
	s_cbranch_execz .LBB98_199
; %bb.198:
	scratch_load_b64 v[74:75], off, off offset:96
	v_mov_b32_e32 v72, v71
	scratch_store_b64 off, v[71:72], off offset:96
	s_wait_loadcnt 0x0
	ds_store_b64 v73, v[74:75]
.LBB98_199:
	s_wait_alu 0xfffe
	s_or_b32 exec_lo, exec_lo, s0
	s_wait_storecnt_dscnt 0x0
	s_barrier_signal -1
	s_barrier_wait -1
	global_inv scope:SCOPE_SE
	s_clause 0xb
	scratch_load_b128 v[74:77], off, off offset:104
	scratch_load_b128 v[78:81], off, off offset:120
	;; [unrolled: 1-line block ×11, first 2 shown]
	scratch_load_b64 v[162:163], off, off offset:96
	ds_load_2addr_b64 v[118:121], v71 offset0:49 offset1:50
	ds_load_2addr_b64 v[122:125], v71 offset0:51 offset1:52
	;; [unrolled: 1-line block ×11, first 2 shown]
	s_mov_b32 s0, exec_lo
	s_wait_loadcnt_dscnt 0xb0a
	v_dual_mul_f32 v71, v118, v75 :: v_dual_mul_f32 v72, v120, v77
	v_mul_f32_e32 v75, v119, v75
	s_wait_loadcnt_dscnt 0xa09
	v_dual_mul_f32 v77, v121, v77 :: v_dual_mul_f32 v164, v122, v79
	s_delay_alu instid0(VALU_DEP_3) | instskip(NEXT) | instid1(VALU_DEP_3)
	v_dual_mul_f32 v165, v124, v81 :: v_dual_fmac_f32 v72, v121, v76
	v_fma_f32 v75, v118, v74, -v75
	v_fmac_f32_e32 v71, v119, v74
	v_mul_f32_e32 v74, v123, v79
	v_fma_f32 v76, v120, v76, -v77
	v_mul_f32_e32 v77, v125, v81
	v_dual_add_f32 v75, 0, v75 :: v_dual_fmac_f32 v164, v123, v78
	s_delay_alu instid0(VALU_DEP_4) | instskip(SKIP_2) | instid1(VALU_DEP_3)
	v_fma_f32 v74, v122, v78, -v74
	s_wait_loadcnt_dscnt 0x908
	v_dual_mul_f32 v166, v126, v83 :: v_dual_mul_f32 v167, v128, v85
	v_add_f32_e32 v75, v75, v76
	v_fmac_f32_e32 v165, v125, v80
	v_fma_f32 v76, v124, v80, -v77
	s_wait_loadcnt_dscnt 0x807
	v_dual_mul_f32 v168, v130, v87 :: v_dual_mul_f32 v169, v132, v89
	v_dual_add_f32 v74, v75, v74 :: v_dual_mul_f32 v75, v129, v85
	v_fmac_f32_e32 v166, v127, v82
	s_wait_loadcnt_dscnt 0x706
	v_dual_mul_f32 v170, v134, v91 :: v_dual_mul_f32 v171, v136, v93
	s_delay_alu instid0(VALU_DEP_3) | instskip(SKIP_3) | instid1(VALU_DEP_4)
	v_dual_add_f32 v74, v74, v76 :: v_dual_add_f32 v71, 0, v71
	v_mul_f32_e32 v76, v131, v87
	v_fma_f32 v75, v128, v84, -v75
	v_dual_fmac_f32 v167, v129, v84 :: v_dual_fmac_f32 v168, v131, v86
	v_add_f32_e32 v71, v71, v72
	v_mul_f32_e32 v72, v127, v83
	v_fma_f32 v76, v130, v86, -v76
	v_dual_fmac_f32 v169, v133, v88 :: v_dual_fmac_f32 v170, v135, v90
	s_wait_loadcnt_dscnt 0x605
	v_dual_mul_f32 v172, v138, v95 :: v_dual_mul_f32 v173, v140, v97
	v_fma_f32 v72, v126, v82, -v72
	s_wait_loadcnt_dscnt 0x504
	v_dual_mul_f32 v174, v142, v99 :: v_dual_mul_f32 v175, v144, v101
	s_wait_loadcnt_dscnt 0x403
	v_dual_mul_f32 v176, v146, v103 :: v_dual_mul_f32 v177, v148, v105
	v_add_f32_e32 v72, v74, v72
	v_mul_f32_e32 v74, v133, v89
	v_dual_fmac_f32 v174, v143, v98 :: v_dual_fmac_f32 v175, v145, v100
	s_delay_alu instid0(VALU_DEP_4) | instskip(NEXT) | instid1(VALU_DEP_4)
	v_dual_fmac_f32 v176, v147, v102 :: v_dual_fmac_f32 v177, v149, v104
	v_dual_add_f32 v72, v72, v75 :: v_dual_add_f32 v71, v71, v164
	v_mul_f32_e32 v75, v135, v91
	v_fma_f32 v74, v132, v88, -v74
	v_fmac_f32_e32 v171, v137, v92
	s_delay_alu instid0(VALU_DEP_4)
	v_add_f32_e32 v72, v72, v76
	v_mul_f32_e32 v76, v137, v93
	v_add_f32_e32 v71, v71, v165
	v_fma_f32 v75, v134, v90, -v75
	v_fmac_f32_e32 v172, v139, v94
	v_add_f32_e32 v72, v72, v74
	v_mul_f32_e32 v74, v139, v95
	v_add_f32_e32 v71, v71, v166
	v_fma_f32 v76, v136, v92, -v76
	s_delay_alu instid0(VALU_DEP_4) | instskip(SKIP_1) | instid1(VALU_DEP_4)
	v_dual_fmac_f32 v173, v141, v96 :: v_dual_add_f32 v72, v72, v75
	v_mul_f32_e32 v75, v141, v97
	v_add_f32_e32 v71, v71, v167
	v_fma_f32 v74, v138, v94, -v74
	s_wait_loadcnt_dscnt 0x302
	v_dual_mul_f32 v178, v150, v107 :: v_dual_mul_f32 v179, v152, v109
	v_add_f32_e32 v72, v72, v76
	v_add_f32_e32 v71, v71, v168
	v_fma_f32 v75, v140, v96, -v75
	v_mul_f32_e32 v76, v143, v99
	s_wait_loadcnt_dscnt 0x201
	v_dual_mul_f32 v180, v154, v111 :: v_dual_mul_f32 v181, v156, v113
	v_dual_add_f32 v72, v72, v74 :: v_dual_add_f32 v71, v71, v169
	v_mul_f32_e32 v74, v145, v101
	v_fma_f32 v76, v142, v98, -v76
	v_dual_fmac_f32 v178, v151, v106 :: v_dual_fmac_f32 v179, v153, v108
	s_delay_alu instid0(VALU_DEP_4)
	v_dual_add_f32 v72, v72, v75 :: v_dual_add_f32 v71, v71, v170
	v_mul_f32_e32 v75, v147, v103
	v_fma_f32 v74, v144, v100, -v74
	s_wait_loadcnt_dscnt 0x100
	v_dual_mul_f32 v182, v158, v115 :: v_dual_mul_f32 v183, v160, v117
	v_dual_add_f32 v71, v71, v171 :: v_dual_add_f32 v72, v72, v76
	v_mul_f32_e32 v76, v149, v105
	v_fma_f32 v75, v146, v102, -v75
	s_delay_alu instid0(VALU_DEP_4) | instskip(NEXT) | instid1(VALU_DEP_4)
	v_dual_fmac_f32 v180, v155, v110 :: v_dual_fmac_f32 v183, v161, v116
	v_dual_add_f32 v71, v71, v172 :: v_dual_add_f32 v72, v72, v74
	v_mul_f32_e32 v74, v151, v107
	v_fma_f32 v76, v148, v104, -v76
	v_fmac_f32_e32 v181, v157, v112
	s_delay_alu instid0(VALU_DEP_4) | instskip(SKIP_2) | instid1(VALU_DEP_3)
	v_dual_add_f32 v71, v71, v173 :: v_dual_add_f32 v72, v72, v75
	v_mul_f32_e32 v75, v153, v109
	v_fma_f32 v74, v150, v106, -v74
	v_dual_add_f32 v71, v71, v174 :: v_dual_add_f32 v72, v72, v76
	v_mul_f32_e32 v76, v155, v111
	s_delay_alu instid0(VALU_DEP_4) | instskip(NEXT) | instid1(VALU_DEP_3)
	v_fma_f32 v75, v152, v108, -v75
	v_dual_add_f32 v71, v71, v175 :: v_dual_add_f32 v72, v72, v74
	v_mul_f32_e32 v74, v157, v113
	s_delay_alu instid0(VALU_DEP_4) | instskip(NEXT) | instid1(VALU_DEP_3)
	;; [unrolled: 4-line block ×4, first 2 shown]
	v_fma_f32 v75, v158, v114, -v75
	v_add_f32_e32 v71, v71, v178
	s_delay_alu instid0(VALU_DEP_4) | instskip(NEXT) | instid1(VALU_DEP_4)
	v_add_f32_e32 v72, v72, v74
	v_fma_f32 v74, v160, v116, -v76
	s_delay_alu instid0(VALU_DEP_3) | instskip(NEXT) | instid1(VALU_DEP_1)
	v_add_f32_e32 v71, v71, v179
	v_dual_add_f32 v72, v72, v75 :: v_dual_add_f32 v71, v71, v180
	s_delay_alu instid0(VALU_DEP_1) | instskip(SKIP_1) | instid1(VALU_DEP_3)
	v_add_f32_e32 v72, v72, v74
	v_fmac_f32_e32 v182, v159, v114
	v_add_f32_e32 v71, v71, v181
	s_delay_alu instid0(VALU_DEP_1) | instskip(SKIP_1) | instid1(VALU_DEP_1)
	v_add_f32_e32 v71, v71, v182
	s_wait_loadcnt 0x0
	v_dual_add_f32 v74, v71, v183 :: v_dual_sub_f32 v71, v162, v72
	s_delay_alu instid0(VALU_DEP_1)
	v_sub_f32_e32 v72, v163, v74
	scratch_store_b64 off, v[71:72], off offset:96
	v_cmpx_lt_u32_e32 11, v0
	s_cbranch_execz .LBB98_201
; %bb.200:
	scratch_load_b64 v[71:72], off, off offset:88
	v_mov_b32_e32 v74, 0
	s_delay_alu instid0(VALU_DEP_1)
	v_mov_b32_e32 v75, v74
	scratch_store_b64 off, v[74:75], off offset:88
	s_wait_loadcnt 0x0
	ds_store_b64 v73, v[71:72]
.LBB98_201:
	s_wait_alu 0xfffe
	s_or_b32 exec_lo, exec_lo, s0
	s_wait_storecnt_dscnt 0x0
	s_barrier_signal -1
	s_barrier_wait -1
	global_inv scope:SCOPE_SE
	s_clause 0xc
	scratch_load_b128 v[74:77], off, off offset:96
	scratch_load_b128 v[78:81], off, off offset:112
	;; [unrolled: 1-line block ×11, first 2 shown]
	scratch_load_b64 v[162:163], off, off offset:272
	scratch_load_b64 v[164:165], off, off offset:88
	v_mov_b32_e32 v71, 0
	ds_load_b128 v[118:121], v71 offset:384
	ds_load_b128 v[122:125], v71 offset:400
	;; [unrolled: 1-line block ×11, first 2 shown]
	ds_load_b64 v[166:167], v71 offset:560
	s_mov_b32 s0, exec_lo
	s_wait_loadcnt_dscnt 0xc0b
	v_mul_f32_e32 v72, v118, v75
	s_wait_loadcnt_dscnt 0xb0a
	v_dual_mul_f32 v168, v120, v77 :: v_dual_mul_f32 v169, v122, v79
	v_mul_f32_e32 v77, v121, v77
	s_wait_loadcnt_dscnt 0xa09
	v_dual_mul_f32 v170, v124, v81 :: v_dual_mul_f32 v171, v126, v83
	v_mul_f32_e32 v75, v119, v75
	v_fmac_f32_e32 v72, v119, v74
	s_wait_loadcnt_dscnt 0x807
	v_dual_mul_f32 v174, v132, v89 :: v_dual_mul_f32 v175, v134, v91
	s_wait_loadcnt_dscnt 0x100
	v_dual_mul_f32 v186, v156, v113 :: v_dual_mul_f32 v189, v166, v163
	v_fma_f32 v75, v118, v74, -v75
	v_mul_f32_e32 v74, v123, v79
	v_fmac_f32_e32 v168, v121, v76
	v_fma_f32 v76, v120, v76, -v77
	v_dual_add_f32 v72, 0, v72 :: v_dual_mul_f32 v77, v125, v81
	v_add_f32_e32 v75, 0, v75
	v_fmac_f32_e32 v169, v123, v78
	v_fma_f32 v74, v122, v78, -v74
	s_delay_alu instid0(VALU_DEP_4)
	v_add_f32_e32 v72, v72, v168
	v_fma_f32 v77, v124, v80, -v77
	v_add_f32_e32 v75, v75, v76
	v_mul_f32_e32 v76, v127, v83
	v_dual_mul_f32 v176, v136, v93 :: v_dual_mul_f32 v177, v138, v95
	v_add_f32_e32 v72, v72, v169
	s_delay_alu instid0(VALU_DEP_4) | instskip(NEXT) | instid1(VALU_DEP_4)
	v_dual_add_f32 v74, v75, v74 :: v_dual_mul_f32 v75, v129, v85
	v_fma_f32 v76, v126, v82, -v76
	v_dual_mul_f32 v178, v140, v97 :: v_dual_mul_f32 v179, v142, v99
	s_delay_alu instid0(VALU_DEP_3) | instskip(NEXT) | instid1(VALU_DEP_4)
	v_dual_add_f32 v74, v74, v77 :: v_dual_mul_f32 v77, v131, v87
	v_fma_f32 v75, v128, v84, -v75
	v_dual_fmac_f32 v170, v125, v80 :: v_dual_fmac_f32 v171, v127, v82
	s_delay_alu instid0(VALU_DEP_3) | instskip(SKIP_2) | instid1(VALU_DEP_3)
	v_dual_add_f32 v74, v74, v76 :: v_dual_fmac_f32 v175, v135, v90
	v_dual_mul_f32 v76, v133, v89 :: v_dual_fmac_f32 v177, v139, v94
	v_fma_f32 v77, v130, v86, -v77
	v_dual_add_f32 v74, v74, v75 :: v_dual_fmac_f32 v179, v143, v98
	v_dual_mul_f32 v180, v144, v101 :: v_dual_mul_f32 v181, v146, v103
	v_dual_add_f32 v72, v72, v170 :: v_dual_mul_f32 v75, v135, v91
	v_fma_f32 v76, v132, v88, -v76
	s_delay_alu instid0(VALU_DEP_3) | instskip(SKIP_1) | instid1(VALU_DEP_4)
	v_dual_add_f32 v74, v74, v77 :: v_dual_fmac_f32 v181, v147, v102
	v_mul_f32_e32 v77, v137, v93
	v_fma_f32 v75, v134, v90, -v75
	v_dual_mul_f32 v172, v128, v85 :: v_dual_mul_f32 v173, v130, v87
	s_delay_alu instid0(VALU_DEP_4) | instskip(SKIP_3) | instid1(VALU_DEP_4)
	v_add_f32_e32 v74, v74, v76
	v_dual_mul_f32 v184, v152, v109 :: v_dual_mul_f32 v185, v154, v111
	v_mul_f32_e32 v76, v139, v95
	v_fma_f32 v77, v136, v92, -v77
	v_add_f32_e32 v74, v74, v75
	v_dual_fmac_f32 v172, v129, v84 :: v_dual_fmac_f32 v173, v131, v86
	v_dual_add_f32 v72, v72, v171 :: v_dual_mul_f32 v75, v141, v97
	v_fma_f32 v76, v138, v94, -v76
	s_delay_alu instid0(VALU_DEP_4) | instskip(NEXT) | instid1(VALU_DEP_3)
	v_dual_fmac_f32 v185, v155, v110 :: v_dual_add_f32 v74, v74, v77
	v_dual_add_f32 v72, v72, v172 :: v_dual_mul_f32 v77, v143, v99
	s_delay_alu instid0(VALU_DEP_4) | instskip(SKIP_1) | instid1(VALU_DEP_4)
	v_fma_f32 v75, v140, v96, -v75
	v_dual_mul_f32 v182, v148, v105 :: v_dual_mul_f32 v183, v150, v107
	v_add_f32_e32 v74, v74, v76
	v_mul_f32_e32 v76, v145, v101
	v_fma_f32 v77, v142, v98, -v77
	v_fmac_f32_e32 v174, v133, v88
	v_dual_add_f32 v72, v72, v173 :: v_dual_fmac_f32 v183, v151, v106
	v_add_f32_e32 v74, v74, v75
	v_mul_f32_e32 v75, v147, v103
	v_fma_f32 v76, v144, v100, -v76
	s_delay_alu instid0(VALU_DEP_4)
	v_dual_add_f32 v72, v72, v174 :: v_dual_mul_f32 v187, v158, v115
	v_mul_f32_e32 v188, v160, v117
	v_add_f32_e32 v74, v74, v77
	v_mul_f32_e32 v77, v149, v105
	v_fma_f32 v75, v146, v102, -v75
	v_dual_fmac_f32 v176, v137, v92 :: v_dual_fmac_f32 v187, v159, v114
	s_delay_alu instid0(VALU_DEP_4) | instskip(NEXT) | instid1(VALU_DEP_4)
	v_add_f32_e32 v74, v74, v76
	v_fma_f32 v77, v148, v104, -v77
	v_dual_fmac_f32 v178, v141, v96 :: v_dual_fmac_f32 v189, v167, v162
	v_fmac_f32_e32 v180, v145, v100
	s_delay_alu instid0(VALU_DEP_4) | instskip(SKIP_3) | instid1(VALU_DEP_4)
	v_dual_add_f32 v74, v74, v75 :: v_dual_mul_f32 v75, v153, v109
	v_add_f32_e32 v72, v72, v175
	v_mul_f32_e32 v76, v151, v107
	v_fmac_f32_e32 v182, v149, v104
	v_dual_add_f32 v74, v74, v77 :: v_dual_mul_f32 v77, v155, v111
	s_delay_alu instid0(VALU_DEP_4) | instskip(NEXT) | instid1(VALU_DEP_4)
	v_add_f32_e32 v72, v72, v176
	v_fma_f32 v76, v150, v106, -v76
	v_fmac_f32_e32 v184, v153, v108
	v_fma_f32 v75, v152, v108, -v75
	v_fma_f32 v77, v154, v110, -v77
	v_add_f32_e32 v72, v72, v177
	v_add_f32_e32 v74, v74, v76
	v_mul_f32_e32 v76, v157, v113
	v_fmac_f32_e32 v186, v157, v112
	v_fmac_f32_e32 v188, v161, v116
	v_add_f32_e32 v72, v72, v178
	v_add_f32_e32 v74, v74, v75
	v_mul_f32_e32 v75, v159, v115
	v_fma_f32 v76, v156, v112, -v76
	s_delay_alu instid0(VALU_DEP_4) | instskip(NEXT) | instid1(VALU_DEP_4)
	v_add_f32_e32 v72, v72, v179
	v_add_f32_e32 v74, v74, v77
	v_mul_f32_e32 v77, v161, v117
	v_fma_f32 v75, v158, v114, -v75
	s_delay_alu instid0(VALU_DEP_4) | instskip(NEXT) | instid1(VALU_DEP_4)
	;; [unrolled: 5-line block ×3, first 2 shown]
	v_add_f32_e32 v72, v72, v181
	v_add_f32_e32 v74, v74, v75
	s_delay_alu instid0(VALU_DEP_4) | instskip(NEXT) | instid1(VALU_DEP_3)
	v_fma_f32 v75, v166, v162, -v76
	v_add_f32_e32 v72, v72, v182
	s_delay_alu instid0(VALU_DEP_3) | instskip(NEXT) | instid1(VALU_DEP_2)
	v_add_f32_e32 v74, v74, v77
	v_add_f32_e32 v72, v72, v183
	s_delay_alu instid0(VALU_DEP_2) | instskip(NEXT) | instid1(VALU_DEP_2)
	v_add_f32_e32 v74, v74, v75
	v_add_f32_e32 v72, v72, v184
	s_wait_loadcnt 0x0
	s_delay_alu instid0(VALU_DEP_2) | instskip(NEXT) | instid1(VALU_DEP_2)
	v_sub_f32_e32 v74, v164, v74
	v_add_f32_e32 v72, v72, v185
	s_delay_alu instid0(VALU_DEP_1) | instskip(NEXT) | instid1(VALU_DEP_1)
	v_add_f32_e32 v72, v72, v186
	v_add_f32_e32 v72, v72, v187
	s_delay_alu instid0(VALU_DEP_1) | instskip(NEXT) | instid1(VALU_DEP_1)
	v_add_f32_e32 v72, v72, v188
	v_add_f32_e32 v72, v72, v189
	s_delay_alu instid0(VALU_DEP_1)
	v_sub_f32_e32 v75, v165, v72
	scratch_store_b64 off, v[74:75], off offset:88
	v_cmpx_lt_u32_e32 10, v0
	s_cbranch_execz .LBB98_203
; %bb.202:
	scratch_load_b64 v[74:75], off, off offset:80
	v_mov_b32_e32 v72, v71
	scratch_store_b64 off, v[71:72], off offset:80
	s_wait_loadcnt 0x0
	ds_store_b64 v73, v[74:75]
.LBB98_203:
	s_wait_alu 0xfffe
	s_or_b32 exec_lo, exec_lo, s0
	s_wait_storecnt_dscnt 0x0
	s_barrier_signal -1
	s_barrier_wait -1
	global_inv scope:SCOPE_SE
	s_clause 0xc
	scratch_load_b128 v[74:77], off, off offset:88
	scratch_load_b128 v[78:81], off, off offset:104
	;; [unrolled: 1-line block ×12, first 2 shown]
	scratch_load_b64 v[170:171], off, off offset:80
	ds_load_2addr_b64 v[122:125], v71 offset0:47 offset1:48
	ds_load_2addr_b64 v[126:129], v71 offset0:49 offset1:50
	;; [unrolled: 1-line block ×12, first 2 shown]
	s_mov_b32 s0, exec_lo
	s_wait_loadcnt_dscnt 0xc0b
	v_dual_mul_f32 v71, v122, v75 :: v_dual_mul_f32 v72, v124, v77
	v_mul_f32_e32 v75, v123, v75
	s_wait_loadcnt_dscnt 0xb0a
	v_dual_mul_f32 v77, v125, v77 :: v_dual_mul_f32 v172, v126, v79
	s_delay_alu instid0(VALU_DEP_3) | instskip(NEXT) | instid1(VALU_DEP_3)
	v_dual_mul_f32 v173, v128, v81 :: v_dual_fmac_f32 v72, v125, v76
	v_fma_f32 v75, v122, v74, -v75
	v_fmac_f32_e32 v71, v123, v74
	v_mul_f32_e32 v74, v127, v79
	v_fma_f32 v76, v124, v76, -v77
	v_mul_f32_e32 v77, v129, v81
	v_dual_add_f32 v75, 0, v75 :: v_dual_fmac_f32 v172, v127, v78
	s_delay_alu instid0(VALU_DEP_4) | instskip(SKIP_2) | instid1(VALU_DEP_3)
	v_fma_f32 v74, v126, v78, -v74
	s_wait_loadcnt_dscnt 0xa09
	v_dual_mul_f32 v174, v130, v83 :: v_dual_mul_f32 v175, v132, v85
	v_add_f32_e32 v75, v75, v76
	v_fmac_f32_e32 v173, v129, v80
	v_fma_f32 v76, v128, v80, -v77
	s_wait_loadcnt_dscnt 0x908
	v_dual_mul_f32 v176, v134, v87 :: v_dual_mul_f32 v177, v136, v89
	v_dual_add_f32 v74, v75, v74 :: v_dual_mul_f32 v75, v133, v85
	v_fmac_f32_e32 v174, v131, v82
	s_wait_loadcnt_dscnt 0x807
	v_dual_mul_f32 v178, v138, v91 :: v_dual_mul_f32 v179, v140, v93
	s_delay_alu instid0(VALU_DEP_3) | instskip(SKIP_3) | instid1(VALU_DEP_4)
	v_dual_add_f32 v74, v74, v76 :: v_dual_add_f32 v71, 0, v71
	v_mul_f32_e32 v76, v135, v87
	v_fma_f32 v75, v132, v84, -v75
	v_dual_fmac_f32 v175, v133, v84 :: v_dual_fmac_f32 v176, v135, v86
	v_add_f32_e32 v71, v71, v72
	v_mul_f32_e32 v72, v131, v83
	v_fma_f32 v76, v134, v86, -v76
	v_dual_fmac_f32 v177, v137, v88 :: v_dual_fmac_f32 v178, v139, v90
	s_wait_loadcnt_dscnt 0x706
	v_dual_mul_f32 v180, v142, v95 :: v_dual_mul_f32 v181, v144, v97
	v_fma_f32 v72, v130, v82, -v72
	s_wait_loadcnt_dscnt 0x605
	v_dual_mul_f32 v182, v146, v99 :: v_dual_mul_f32 v183, v148, v101
	s_wait_loadcnt_dscnt 0x504
	v_dual_mul_f32 v184, v150, v103 :: v_dual_mul_f32 v185, v152, v105
	v_add_f32_e32 v72, v74, v72
	v_mul_f32_e32 v74, v137, v89
	v_dual_fmac_f32 v182, v147, v98 :: v_dual_fmac_f32 v183, v149, v100
	s_delay_alu instid0(VALU_DEP_4) | instskip(NEXT) | instid1(VALU_DEP_4)
	v_dual_fmac_f32 v184, v151, v102 :: v_dual_fmac_f32 v185, v153, v104
	v_dual_add_f32 v72, v72, v75 :: v_dual_add_f32 v71, v71, v172
	v_mul_f32_e32 v75, v139, v91
	v_fma_f32 v74, v136, v88, -v74
	v_fmac_f32_e32 v179, v141, v92
	s_delay_alu instid0(VALU_DEP_4)
	v_add_f32_e32 v72, v72, v76
	v_mul_f32_e32 v76, v141, v93
	v_add_f32_e32 v71, v71, v173
	v_fma_f32 v75, v138, v90, -v75
	v_fmac_f32_e32 v180, v143, v94
	v_add_f32_e32 v72, v72, v74
	v_mul_f32_e32 v74, v143, v95
	v_add_f32_e32 v71, v71, v174
	v_fma_f32 v76, v140, v92, -v76
	s_delay_alu instid0(VALU_DEP_4) | instskip(SKIP_1) | instid1(VALU_DEP_4)
	v_dual_fmac_f32 v181, v145, v96 :: v_dual_add_f32 v72, v72, v75
	v_mul_f32_e32 v75, v145, v97
	v_add_f32_e32 v71, v71, v175
	v_fma_f32 v74, v142, v94, -v74
	s_wait_loadcnt_dscnt 0x403
	v_dual_mul_f32 v186, v154, v107 :: v_dual_mul_f32 v187, v156, v109
	v_add_f32_e32 v72, v72, v76
	v_add_f32_e32 v71, v71, v176
	v_fma_f32 v75, v144, v96, -v75
	v_mul_f32_e32 v76, v147, v99
	s_wait_loadcnt_dscnt 0x302
	v_dual_mul_f32 v188, v158, v111 :: v_dual_mul_f32 v189, v160, v113
	v_dual_add_f32 v72, v72, v74 :: v_dual_add_f32 v71, v71, v177
	v_mul_f32_e32 v74, v149, v101
	v_fma_f32 v76, v146, v98, -v76
	v_dual_fmac_f32 v186, v155, v106 :: v_dual_fmac_f32 v187, v157, v108
	s_delay_alu instid0(VALU_DEP_4)
	v_dual_add_f32 v72, v72, v75 :: v_dual_add_f32 v71, v71, v178
	v_mul_f32_e32 v75, v151, v103
	v_fma_f32 v74, v148, v100, -v74
	s_wait_loadcnt_dscnt 0x201
	v_dual_mul_f32 v190, v162, v115 :: v_dual_mul_f32 v191, v164, v117
	v_dual_add_f32 v71, v71, v179 :: v_dual_add_f32 v72, v72, v76
	v_mul_f32_e32 v76, v153, v105
	v_fma_f32 v75, v150, v102, -v75
	s_delay_alu instid0(VALU_DEP_4) | instskip(NEXT) | instid1(VALU_DEP_4)
	v_dual_fmac_f32 v188, v159, v110 :: v_dual_fmac_f32 v191, v165, v116
	v_dual_add_f32 v71, v71, v180 :: v_dual_add_f32 v72, v72, v74
	v_mul_f32_e32 v74, v155, v107
	v_fma_f32 v76, v152, v104, -v76
	v_fmac_f32_e32 v189, v161, v112
	s_delay_alu instid0(VALU_DEP_4)
	v_dual_add_f32 v71, v71, v181 :: v_dual_add_f32 v72, v72, v75
	v_mul_f32_e32 v75, v157, v109
	v_fma_f32 v74, v154, v106, -v74
	s_wait_loadcnt_dscnt 0x100
	v_dual_mul_f32 v192, v166, v119 :: v_dual_mul_f32 v193, v168, v121
	v_dual_add_f32 v71, v71, v182 :: v_dual_add_f32 v72, v72, v76
	v_mul_f32_e32 v76, v159, v111
	v_fma_f32 v75, v156, v108, -v75
	v_fmac_f32_e32 v190, v163, v114
	s_delay_alu instid0(VALU_DEP_4) | instskip(SKIP_3) | instid1(VALU_DEP_4)
	v_dual_add_f32 v71, v71, v183 :: v_dual_add_f32 v72, v72, v74
	v_mul_f32_e32 v74, v161, v113
	v_fma_f32 v76, v158, v110, -v76
	v_fmac_f32_e32 v193, v169, v120
	v_dual_add_f32 v71, v71, v184 :: v_dual_add_f32 v72, v72, v75
	v_mul_f32_e32 v75, v163, v115
	v_fma_f32 v74, v160, v112, -v74
	s_delay_alu instid0(VALU_DEP_3) | instskip(SKIP_1) | instid1(VALU_DEP_4)
	v_dual_add_f32 v71, v71, v185 :: v_dual_add_f32 v72, v72, v76
	v_mul_f32_e32 v76, v165, v117
	v_fma_f32 v75, v162, v114, -v75
	s_delay_alu instid0(VALU_DEP_3) | instskip(NEXT) | instid1(VALU_DEP_4)
	v_add_f32_e32 v71, v71, v186
	v_add_f32_e32 v72, v72, v74
	v_mul_f32_e32 v74, v167, v119
	v_fma_f32 v76, v164, v116, -v76
	s_delay_alu instid0(VALU_DEP_4) | instskip(NEXT) | instid1(VALU_DEP_4)
	v_add_f32_e32 v71, v71, v187
	v_dual_add_f32 v72, v72, v75 :: v_dual_mul_f32 v75, v169, v121
	s_delay_alu instid0(VALU_DEP_4) | instskip(NEXT) | instid1(VALU_DEP_3)
	v_fma_f32 v74, v166, v118, -v74
	v_add_f32_e32 v71, v71, v188
	s_delay_alu instid0(VALU_DEP_3) | instskip(NEXT) | instid1(VALU_DEP_4)
	v_add_f32_e32 v72, v72, v76
	v_fma_f32 v75, v168, v120, -v75
	s_delay_alu instid0(VALU_DEP_2) | instskip(NEXT) | instid1(VALU_DEP_1)
	v_dual_add_f32 v71, v71, v189 :: v_dual_add_f32 v72, v72, v74
	v_dual_add_f32 v71, v71, v190 :: v_dual_add_f32 v72, v72, v75
	v_fmac_f32_e32 v192, v167, v118
	s_delay_alu instid0(VALU_DEP_2) | instskip(NEXT) | instid1(VALU_DEP_1)
	v_add_f32_e32 v71, v71, v191
	v_add_f32_e32 v71, v71, v192
	s_wait_loadcnt 0x0
	s_delay_alu instid0(VALU_DEP_1) | instskip(NEXT) | instid1(VALU_DEP_1)
	v_dual_add_f32 v74, v71, v193 :: v_dual_sub_f32 v71, v170, v72
	v_sub_f32_e32 v72, v171, v74
	scratch_store_b64 off, v[71:72], off offset:80
	v_cmpx_lt_u32_e32 9, v0
	s_cbranch_execz .LBB98_205
; %bb.204:
	scratch_load_b64 v[71:72], off, off offset:72
	v_mov_b32_e32 v74, 0
	s_delay_alu instid0(VALU_DEP_1)
	v_mov_b32_e32 v75, v74
	scratch_store_b64 off, v[74:75], off offset:72
	s_wait_loadcnt 0x0
	ds_store_b64 v73, v[71:72]
.LBB98_205:
	s_wait_alu 0xfffe
	s_or_b32 exec_lo, exec_lo, s0
	s_wait_storecnt_dscnt 0x0
	s_barrier_signal -1
	s_barrier_wait -1
	global_inv scope:SCOPE_SE
	s_clause 0xd
	scratch_load_b128 v[74:77], off, off offset:80
	scratch_load_b128 v[78:81], off, off offset:96
	;; [unrolled: 1-line block ×12, first 2 shown]
	scratch_load_b64 v[170:171], off, off offset:272
	scratch_load_b64 v[172:173], off, off offset:72
	v_mov_b32_e32 v71, 0
	ds_load_b128 v[122:125], v71 offset:368
	ds_load_b128 v[126:129], v71 offset:384
	;; [unrolled: 1-line block ×12, first 2 shown]
	ds_load_b64 v[174:175], v71 offset:560
	s_mov_b32 s0, exec_lo
	s_wait_loadcnt_dscnt 0xd0c
	v_mul_f32_e32 v72, v122, v75
	s_wait_loadcnt_dscnt 0xc0b
	v_dual_mul_f32 v176, v124, v77 :: v_dual_mul_f32 v177, v126, v79
	v_mul_f32_e32 v77, v125, v77
	s_wait_loadcnt_dscnt 0xb0a
	v_dual_mul_f32 v178, v128, v81 :: v_dual_mul_f32 v179, v130, v83
	s_wait_loadcnt_dscnt 0xa09
	v_dual_mul_f32 v75, v123, v75 :: v_dual_mul_f32 v182, v136, v89
	s_wait_loadcnt_dscnt 0x908
	v_dual_mul_f32 v183, v138, v91 :: v_dual_fmac_f32 v72, v123, v74
	s_wait_loadcnt_dscnt 0x302
	v_mul_f32_e32 v196, v164, v117
	v_fma_f32 v75, v122, v74, -v75
	s_wait_loadcnt_dscnt 0x100
	v_mul_f32_e32 v199, v174, v171
	v_mul_f32_e32 v74, v127, v79
	v_fmac_f32_e32 v176, v125, v76
	v_fma_f32 v76, v124, v76, -v77
	v_dual_add_f32 v75, 0, v75 :: v_dual_add_f32 v72, 0, v72
	v_mul_f32_e32 v77, v129, v81
	v_fmac_f32_e32 v177, v127, v78
	v_fma_f32 v74, v126, v78, -v74
	v_dual_mul_f32 v184, v140, v93 :: v_dual_mul_f32 v185, v142, v95
	v_add_f32_e32 v72, v72, v176
	v_add_f32_e32 v75, v75, v76
	v_mul_f32_e32 v76, v131, v83
	v_fma_f32 v77, v128, v80, -v77
	v_dual_mul_f32 v186, v144, v97 :: v_dual_mul_f32 v187, v146, v99
	v_add_f32_e32 v72, v72, v177
	v_dual_add_f32 v74, v75, v74 :: v_dual_mul_f32 v75, v133, v85
	v_fma_f32 v76, v130, v82, -v76
	v_dual_fmac_f32 v178, v129, v80 :: v_dual_fmac_f32 v179, v131, v82
	s_delay_alu instid0(VALU_DEP_3) | instskip(NEXT) | instid1(VALU_DEP_4)
	v_dual_add_f32 v74, v74, v77 :: v_dual_mul_f32 v77, v135, v87
	v_fma_f32 v75, v132, v84, -v75
	v_dual_fmac_f32 v183, v139, v90 :: v_dual_mul_f32 v188, v148, v101
	v_mul_f32_e32 v189, v150, v103
	s_delay_alu instid0(VALU_DEP_4) | instskip(SKIP_3) | instid1(VALU_DEP_4)
	v_add_f32_e32 v74, v74, v76
	v_dual_mul_f32 v76, v137, v89 :: v_dual_fmac_f32 v185, v143, v94
	v_fma_f32 v77, v134, v86, -v77
	v_add_f32_e32 v72, v72, v178
	v_dual_add_f32 v74, v74, v75 :: v_dual_fmac_f32 v187, v147, v98
	v_mul_f32_e32 v75, v139, v91
	v_fma_f32 v76, v136, v88, -v76
	s_delay_alu instid0(VALU_DEP_3) | instskip(SKIP_1) | instid1(VALU_DEP_4)
	v_dual_fmac_f32 v189, v151, v102 :: v_dual_add_f32 v74, v74, v77
	v_mul_f32_e32 v77, v141, v93
	v_fma_f32 v75, v138, v90, -v75
	v_dual_mul_f32 v180, v132, v85 :: v_dual_mul_f32 v181, v134, v87
	s_delay_alu instid0(VALU_DEP_4) | instskip(SKIP_3) | instid1(VALU_DEP_4)
	v_add_f32_e32 v74, v74, v76
	v_dual_mul_f32 v192, v156, v109 :: v_dual_mul_f32 v193, v158, v111
	v_mul_f32_e32 v76, v143, v95
	v_fma_f32 v77, v140, v92, -v77
	v_add_f32_e32 v74, v74, v75
	v_dual_fmac_f32 v180, v133, v84 :: v_dual_fmac_f32 v181, v135, v86
	v_dual_add_f32 v72, v72, v179 :: v_dual_mul_f32 v75, v145, v97
	v_fma_f32 v76, v142, v94, -v76
	s_delay_alu instid0(VALU_DEP_4) | instskip(NEXT) | instid1(VALU_DEP_3)
	v_dual_fmac_f32 v193, v159, v110 :: v_dual_add_f32 v74, v74, v77
	v_dual_add_f32 v72, v72, v180 :: v_dual_mul_f32 v77, v147, v99
	s_delay_alu instid0(VALU_DEP_4) | instskip(SKIP_1) | instid1(VALU_DEP_4)
	v_fma_f32 v75, v144, v96, -v75
	v_fmac_f32_e32 v182, v137, v88
	v_add_f32_e32 v74, v74, v76
	v_mul_f32_e32 v76, v149, v101
	v_fma_f32 v77, v146, v98, -v77
	v_dual_mul_f32 v190, v152, v105 :: v_dual_mul_f32 v191, v154, v107
	s_delay_alu instid0(VALU_DEP_4) | instskip(SKIP_2) | instid1(VALU_DEP_4)
	v_add_f32_e32 v74, v74, v75
	v_mul_f32_e32 v75, v151, v103
	v_fma_f32 v76, v148, v100, -v76
	v_dual_add_f32 v72, v72, v181 :: v_dual_fmac_f32 v191, v155, v106
	s_delay_alu instid0(VALU_DEP_4) | instskip(SKIP_2) | instid1(VALU_DEP_4)
	v_add_f32_e32 v74, v74, v77
	v_mul_f32_e32 v77, v153, v105
	v_fma_f32 v75, v150, v102, -v75
	v_add_f32_e32 v72, v72, v182
	v_fmac_f32_e32 v184, v141, v92
	v_add_f32_e32 v74, v74, v76
	v_mul_f32_e32 v76, v155, v107
	v_fma_f32 v77, v152, v104, -v77
	v_dual_mul_f32 v194, v160, v113 :: v_dual_mul_f32 v195, v162, v115
	s_delay_alu instid0(VALU_DEP_4) | instskip(NEXT) | instid1(VALU_DEP_4)
	v_dual_add_f32 v74, v74, v75 :: v_dual_mul_f32 v75, v157, v109
	v_fma_f32 v76, v154, v106, -v76
	s_delay_alu instid0(VALU_DEP_3) | instskip(NEXT) | instid1(VALU_DEP_3)
	v_dual_add_f32 v72, v72, v183 :: v_dual_fmac_f32 v195, v163, v114
	v_dual_add_f32 v74, v74, v77 :: v_dual_mul_f32 v77, v159, v111
	s_delay_alu instid0(VALU_DEP_4) | instskip(NEXT) | instid1(VALU_DEP_3)
	v_fma_f32 v75, v156, v108, -v75
	v_dual_add_f32 v72, v72, v184 :: v_dual_mul_f32 v197, v166, v119
	v_mul_f32_e32 v198, v168, v121
	s_delay_alu instid0(VALU_DEP_4) | instskip(SKIP_3) | instid1(VALU_DEP_4)
	v_add_f32_e32 v74, v74, v76
	v_mul_f32_e32 v76, v161, v113
	v_fma_f32 v77, v158, v110, -v77
	v_dual_fmac_f32 v186, v145, v96 :: v_dual_fmac_f32 v197, v167, v118
	v_add_f32_e32 v74, v74, v75
	v_mul_f32_e32 v75, v163, v115
	v_fma_f32 v76, v160, v112, -v76
	v_fmac_f32_e32 v188, v149, v100
	v_fmac_f32_e32 v190, v153, v104
	v_add_f32_e32 v74, v74, v77
	v_fma_f32 v75, v162, v114, -v75
	v_dual_fmac_f32 v199, v175, v170 :: v_dual_fmac_f32 v192, v157, v108
	v_fmac_f32_e32 v194, v161, v112
	s_delay_alu instid0(VALU_DEP_4) | instskip(SKIP_3) | instid1(VALU_DEP_4)
	v_dual_add_f32 v74, v74, v76 :: v_dual_mul_f32 v77, v165, v117
	v_mul_f32_e32 v76, v167, v119
	v_fmac_f32_e32 v196, v165, v116
	v_fmac_f32_e32 v198, v169, v120
	v_dual_add_f32 v74, v74, v75 :: v_dual_mul_f32 v75, v169, v121
	v_add_f32_e32 v72, v72, v185
	v_fma_f32 v77, v164, v116, -v77
	v_fma_f32 v76, v166, v118, -v76
	s_delay_alu instid0(VALU_DEP_4) | instskip(NEXT) | instid1(VALU_DEP_4)
	v_fma_f32 v75, v168, v120, -v75
	v_add_f32_e32 v72, v72, v186
	s_delay_alu instid0(VALU_DEP_4) | instskip(NEXT) | instid1(VALU_DEP_2)
	v_dual_add_f32 v74, v74, v77 :: v_dual_mul_f32 v77, v175, v171
	v_add_f32_e32 v72, v72, v187
	s_delay_alu instid0(VALU_DEP_2) | instskip(NEXT) | instid1(VALU_DEP_3)
	v_add_f32_e32 v74, v74, v76
	v_fma_f32 v76, v174, v170, -v77
	s_delay_alu instid0(VALU_DEP_3) | instskip(NEXT) | instid1(VALU_DEP_3)
	v_add_f32_e32 v72, v72, v188
	v_add_f32_e32 v74, v74, v75
	s_delay_alu instid0(VALU_DEP_2) | instskip(NEXT) | instid1(VALU_DEP_2)
	v_add_f32_e32 v72, v72, v189
	v_add_f32_e32 v74, v74, v76
	s_delay_alu instid0(VALU_DEP_2) | instskip(SKIP_1) | instid1(VALU_DEP_2)
	v_add_f32_e32 v72, v72, v190
	s_wait_loadcnt 0x0
	v_sub_f32_e32 v74, v172, v74
	s_delay_alu instid0(VALU_DEP_2) | instskip(NEXT) | instid1(VALU_DEP_1)
	v_add_f32_e32 v72, v72, v191
	v_add_f32_e32 v72, v72, v192
	s_delay_alu instid0(VALU_DEP_1) | instskip(NEXT) | instid1(VALU_DEP_1)
	v_add_f32_e32 v72, v72, v193
	v_add_f32_e32 v72, v72, v194
	s_delay_alu instid0(VALU_DEP_1) | instskip(NEXT) | instid1(VALU_DEP_1)
	;; [unrolled: 3-line block ×4, first 2 shown]
	v_add_f32_e32 v72, v72, v199
	v_sub_f32_e32 v75, v173, v72
	scratch_store_b64 off, v[74:75], off offset:72
	v_cmpx_lt_u32_e32 8, v0
	s_cbranch_execz .LBB98_207
; %bb.206:
	scratch_load_b64 v[74:75], off, off offset:64
	v_mov_b32_e32 v72, v71
	scratch_store_b64 off, v[71:72], off offset:64
	s_wait_loadcnt 0x0
	ds_store_b64 v73, v[74:75]
.LBB98_207:
	s_wait_alu 0xfffe
	s_or_b32 exec_lo, exec_lo, s0
	s_wait_storecnt_dscnt 0x0
	s_barrier_signal -1
	s_barrier_wait -1
	global_inv scope:SCOPE_SE
	s_clause 0xd
	scratch_load_b128 v[74:77], off, off offset:72
	scratch_load_b128 v[78:81], off, off offset:88
	;; [unrolled: 1-line block ×13, first 2 shown]
	scratch_load_b64 v[178:179], off, off offset:64
	ds_load_2addr_b64 v[126:129], v71 offset0:45 offset1:46
	ds_load_2addr_b64 v[130:133], v71 offset0:47 offset1:48
	ds_load_2addr_b64 v[134:137], v71 offset0:49 offset1:50
	ds_load_2addr_b64 v[138:141], v71 offset0:51 offset1:52
	ds_load_2addr_b64 v[142:145], v71 offset0:53 offset1:54
	ds_load_2addr_b64 v[146:149], v71 offset0:55 offset1:56
	ds_load_2addr_b64 v[150:153], v71 offset0:57 offset1:58
	ds_load_2addr_b64 v[154:157], v71 offset0:59 offset1:60
	ds_load_2addr_b64 v[158:161], v71 offset0:61 offset1:62
	ds_load_2addr_b64 v[162:165], v71 offset0:63 offset1:64
	ds_load_2addr_b64 v[166:169], v71 offset0:65 offset1:66
	ds_load_2addr_b64 v[170:173], v71 offset0:67 offset1:68
	ds_load_2addr_b64 v[174:177], v71 offset0:69 offset1:70
	s_mov_b32 s0, exec_lo
	s_wait_loadcnt_dscnt 0xd0c
	v_dual_mul_f32 v71, v126, v75 :: v_dual_mul_f32 v72, v128, v77
	v_mul_f32_e32 v75, v127, v75
	s_wait_loadcnt_dscnt 0xc0b
	v_dual_mul_f32 v77, v129, v77 :: v_dual_mul_f32 v180, v130, v79
	s_delay_alu instid0(VALU_DEP_3) | instskip(NEXT) | instid1(VALU_DEP_3)
	v_dual_mul_f32 v181, v132, v81 :: v_dual_fmac_f32 v72, v129, v76
	v_fma_f32 v75, v126, v74, -v75
	v_fmac_f32_e32 v71, v127, v74
	v_mul_f32_e32 v74, v131, v79
	v_fma_f32 v76, v128, v76, -v77
	v_mul_f32_e32 v77, v133, v81
	v_dual_add_f32 v75, 0, v75 :: v_dual_fmac_f32 v180, v131, v78
	s_delay_alu instid0(VALU_DEP_4) | instskip(SKIP_2) | instid1(VALU_DEP_3)
	v_fma_f32 v74, v130, v78, -v74
	s_wait_loadcnt_dscnt 0xb0a
	v_dual_mul_f32 v182, v134, v83 :: v_dual_mul_f32 v183, v136, v85
	v_add_f32_e32 v75, v75, v76
	v_fmac_f32_e32 v181, v133, v80
	v_fma_f32 v76, v132, v80, -v77
	s_wait_loadcnt_dscnt 0xa09
	v_dual_mul_f32 v184, v138, v87 :: v_dual_mul_f32 v185, v140, v89
	v_dual_add_f32 v74, v75, v74 :: v_dual_mul_f32 v75, v137, v85
	v_fmac_f32_e32 v182, v135, v82
	s_wait_loadcnt_dscnt 0x908
	v_dual_mul_f32 v186, v142, v91 :: v_dual_mul_f32 v187, v144, v93
	s_delay_alu instid0(VALU_DEP_3) | instskip(SKIP_3) | instid1(VALU_DEP_4)
	v_dual_add_f32 v74, v74, v76 :: v_dual_add_f32 v71, 0, v71
	v_mul_f32_e32 v76, v139, v87
	v_fma_f32 v75, v136, v84, -v75
	v_dual_fmac_f32 v183, v137, v84 :: v_dual_fmac_f32 v184, v139, v86
	v_add_f32_e32 v71, v71, v72
	v_mul_f32_e32 v72, v135, v83
	v_fma_f32 v76, v138, v86, -v76
	v_dual_fmac_f32 v185, v141, v88 :: v_dual_fmac_f32 v186, v143, v90
	s_wait_loadcnt_dscnt 0x807
	v_dual_mul_f32 v188, v146, v95 :: v_dual_mul_f32 v189, v148, v97
	v_fma_f32 v72, v134, v82, -v72
	s_wait_loadcnt_dscnt 0x706
	v_dual_mul_f32 v190, v150, v99 :: v_dual_mul_f32 v191, v152, v101
	s_wait_loadcnt_dscnt 0x605
	v_dual_mul_f32 v192, v154, v103 :: v_dual_mul_f32 v193, v156, v105
	v_add_f32_e32 v72, v74, v72
	v_mul_f32_e32 v74, v141, v89
	v_dual_fmac_f32 v190, v151, v98 :: v_dual_fmac_f32 v191, v153, v100
	s_delay_alu instid0(VALU_DEP_4) | instskip(NEXT) | instid1(VALU_DEP_4)
	v_dual_fmac_f32 v192, v155, v102 :: v_dual_fmac_f32 v193, v157, v104
	v_dual_add_f32 v72, v72, v75 :: v_dual_add_f32 v71, v71, v180
	v_mul_f32_e32 v75, v143, v91
	v_fma_f32 v74, v140, v88, -v74
	v_fmac_f32_e32 v187, v145, v92
	s_delay_alu instid0(VALU_DEP_4)
	v_add_f32_e32 v72, v72, v76
	v_mul_f32_e32 v76, v145, v93
	v_add_f32_e32 v71, v71, v181
	v_fma_f32 v75, v142, v90, -v75
	v_fmac_f32_e32 v188, v147, v94
	v_add_f32_e32 v72, v72, v74
	v_mul_f32_e32 v74, v147, v95
	v_add_f32_e32 v71, v71, v182
	v_fma_f32 v76, v144, v92, -v76
	s_delay_alu instid0(VALU_DEP_4) | instskip(SKIP_1) | instid1(VALU_DEP_4)
	v_dual_fmac_f32 v189, v149, v96 :: v_dual_add_f32 v72, v72, v75
	v_mul_f32_e32 v75, v149, v97
	v_add_f32_e32 v71, v71, v183
	v_fma_f32 v74, v146, v94, -v74
	s_wait_loadcnt_dscnt 0x504
	v_dual_mul_f32 v194, v158, v107 :: v_dual_mul_f32 v195, v160, v109
	v_add_f32_e32 v72, v72, v76
	v_add_f32_e32 v71, v71, v184
	v_fma_f32 v75, v148, v96, -v75
	v_mul_f32_e32 v76, v151, v99
	v_dual_fmac_f32 v194, v159, v106 :: v_dual_fmac_f32 v195, v161, v108
	s_delay_alu instid0(VALU_DEP_4) | instskip(SKIP_1) | instid1(VALU_DEP_4)
	v_dual_add_f32 v72, v72, v74 :: v_dual_add_f32 v71, v71, v185
	v_mul_f32_e32 v74, v153, v101
	v_fma_f32 v76, v150, v98, -v76
	s_wait_loadcnt_dscnt 0x403
	v_dual_mul_f32 v196, v162, v111 :: v_dual_mul_f32 v197, v164, v113
	v_dual_add_f32 v72, v72, v75 :: v_dual_add_f32 v71, v71, v186
	v_mul_f32_e32 v75, v155, v103
	v_fma_f32 v74, v152, v100, -v74
	s_wait_loadcnt_dscnt 0x302
	v_dual_mul_f32 v198, v166, v115 :: v_dual_mul_f32 v199, v168, v117
	v_dual_add_f32 v71, v71, v187 :: v_dual_add_f32 v72, v72, v76
	v_mul_f32_e32 v76, v157, v105
	v_fma_f32 v75, v154, v102, -v75
	s_delay_alu instid0(VALU_DEP_4) | instskip(NEXT) | instid1(VALU_DEP_4)
	v_dual_fmac_f32 v196, v163, v110 :: v_dual_fmac_f32 v199, v169, v116
	v_dual_add_f32 v71, v71, v188 :: v_dual_add_f32 v72, v72, v74
	v_mul_f32_e32 v74, v159, v107
	v_fma_f32 v76, v156, v104, -v76
	v_fmac_f32_e32 v197, v165, v112
	s_delay_alu instid0(VALU_DEP_4) | instskip(SKIP_3) | instid1(VALU_DEP_4)
	v_dual_add_f32 v71, v71, v189 :: v_dual_add_f32 v72, v72, v75
	v_mul_f32_e32 v75, v161, v109
	v_fma_f32 v74, v158, v106, -v74
	v_fmac_f32_e32 v198, v167, v114
	v_dual_add_f32 v71, v71, v190 :: v_dual_add_f32 v72, v72, v76
	s_delay_alu instid0(VALU_DEP_4)
	v_fma_f32 v75, v160, v108, -v75
	v_mul_f32_e32 v76, v163, v111
	s_wait_loadcnt_dscnt 0x201
	v_dual_mul_f32 v200, v170, v119 :: v_dual_mul_f32 v201, v172, v121
	v_dual_add_f32 v71, v71, v191 :: v_dual_add_f32 v72, v72, v74
	v_mul_f32_e32 v74, v165, v113
	v_fma_f32 v76, v162, v110, -v76
	s_wait_loadcnt_dscnt 0x100
	v_dual_mul_f32 v202, v174, v123 :: v_dual_mul_f32 v203, v176, v125
	v_dual_add_f32 v71, v71, v192 :: v_dual_add_f32 v72, v72, v75
	v_mul_f32_e32 v75, v167, v115
	v_fma_f32 v74, v164, v112, -v74
	s_delay_alu instid0(VALU_DEP_4) | instskip(NEXT) | instid1(VALU_DEP_4)
	v_dual_fmac_f32 v200, v171, v118 :: v_dual_fmac_f32 v203, v177, v124
	v_dual_add_f32 v71, v71, v193 :: v_dual_add_f32 v72, v72, v76
	v_mul_f32_e32 v76, v169, v117
	v_fma_f32 v75, v166, v114, -v75
	v_fmac_f32_e32 v201, v173, v120
	s_delay_alu instid0(VALU_DEP_4)
	v_add_f32_e32 v71, v71, v194
	v_add_f32_e32 v72, v72, v74
	v_mul_f32_e32 v74, v171, v119
	v_fma_f32 v76, v168, v116, -v76
	v_fmac_f32_e32 v202, v175, v122
	v_add_f32_e32 v71, v71, v195
	v_dual_add_f32 v72, v72, v75 :: v_dual_mul_f32 v75, v173, v121
	v_fma_f32 v74, v170, v118, -v74
	s_delay_alu instid0(VALU_DEP_3) | instskip(NEXT) | instid1(VALU_DEP_3)
	v_add_f32_e32 v71, v71, v196
	v_add_f32_e32 v72, v72, v76
	v_mul_f32_e32 v76, v175, v123
	v_fma_f32 v75, v172, v120, -v75
	s_delay_alu instid0(VALU_DEP_3) | instskip(SKIP_1) | instid1(VALU_DEP_4)
	v_dual_add_f32 v71, v71, v197 :: v_dual_add_f32 v72, v72, v74
	v_mul_f32_e32 v74, v177, v125
	v_fma_f32 v76, v174, v122, -v76
	s_delay_alu instid0(VALU_DEP_3) | instskip(NEXT) | instid1(VALU_DEP_3)
	v_add_f32_e32 v71, v71, v198
	v_fma_f32 v74, v176, v124, -v74
	s_delay_alu instid0(VALU_DEP_2) | instskip(NEXT) | instid1(VALU_DEP_1)
	v_add_f32_e32 v71, v71, v199
	v_dual_add_f32 v71, v71, v200 :: v_dual_add_f32 v72, v72, v75
	s_delay_alu instid0(VALU_DEP_1) | instskip(NEXT) | instid1(VALU_DEP_1)
	v_dual_add_f32 v71, v71, v201 :: v_dual_add_f32 v72, v72, v76
	v_add_f32_e32 v71, v71, v202
	s_delay_alu instid0(VALU_DEP_2) | instskip(SKIP_1) | instid1(VALU_DEP_1)
	v_add_f32_e32 v72, v72, v74
	s_wait_loadcnt 0x0
	v_dual_add_f32 v74, v71, v203 :: v_dual_sub_f32 v71, v178, v72
	s_delay_alu instid0(VALU_DEP_1)
	v_sub_f32_e32 v72, v179, v74
	scratch_store_b64 off, v[71:72], off offset:64
	v_cmpx_lt_u32_e32 7, v0
	s_cbranch_execz .LBB98_209
; %bb.208:
	scratch_load_b64 v[71:72], off, off offset:56
	v_mov_b32_e32 v74, 0
	s_delay_alu instid0(VALU_DEP_1)
	v_mov_b32_e32 v75, v74
	scratch_store_b64 off, v[74:75], off offset:56
	s_wait_loadcnt 0x0
	ds_store_b64 v73, v[71:72]
.LBB98_209:
	s_wait_alu 0xfffe
	s_or_b32 exec_lo, exec_lo, s0
	s_wait_storecnt_dscnt 0x0
	s_barrier_signal -1
	s_barrier_wait -1
	global_inv scope:SCOPE_SE
	s_clause 0xe
	scratch_load_b128 v[74:77], off, off offset:64
	scratch_load_b128 v[78:81], off, off offset:80
	;; [unrolled: 1-line block ×13, first 2 shown]
	scratch_load_b64 v[178:179], off, off offset:272
	scratch_load_b64 v[180:181], off, off offset:56
	v_mov_b32_e32 v71, 0
	ds_load_b128 v[126:129], v71 offset:352
	ds_load_b128 v[130:133], v71 offset:368
	;; [unrolled: 1-line block ×13, first 2 shown]
	ds_load_b64 v[182:183], v71 offset:560
	s_mov_b32 s0, exec_lo
	s_wait_loadcnt_dscnt 0xe0d
	v_mul_f32_e32 v72, v126, v75
	s_wait_loadcnt_dscnt 0xd0c
	v_dual_mul_f32 v184, v128, v77 :: v_dual_mul_f32 v185, v130, v79
	v_mul_f32_e32 v77, v129, v77
	s_wait_loadcnt_dscnt 0xc0b
	v_dual_mul_f32 v186, v132, v81 :: v_dual_mul_f32 v187, v134, v83
	s_wait_loadcnt_dscnt 0xa09
	v_dual_mul_f32 v190, v140, v89 :: v_dual_mul_f32 v191, v142, v91
	v_mul_f32_e32 v75, v127, v75
	v_fmac_f32_e32 v72, v127, v74
	s_wait_loadcnt_dscnt 0x908
	v_dual_mul_f32 v192, v144, v93 :: v_dual_mul_f32 v193, v146, v95
	s_wait_loadcnt_dscnt 0x100
	v_dual_mul_f32 v206, v172, v121 :: v_dual_mul_f32 v209, v182, v179
	v_fma_f32 v75, v126, v74, -v75
	v_mul_f32_e32 v74, v131, v79
	v_fmac_f32_e32 v184, v129, v76
	v_fma_f32 v76, v128, v76, -v77
	v_dual_add_f32 v72, 0, v72 :: v_dual_mul_f32 v77, v133, v81
	v_add_f32_e32 v75, 0, v75
	v_fmac_f32_e32 v185, v131, v78
	v_fma_f32 v74, v130, v78, -v74
	s_delay_alu instid0(VALU_DEP_4)
	v_add_f32_e32 v72, v72, v184
	v_fma_f32 v77, v132, v80, -v77
	v_add_f32_e32 v75, v75, v76
	v_mul_f32_e32 v76, v135, v83
	v_dual_mul_f32 v194, v148, v97 :: v_dual_mul_f32 v195, v150, v99
	v_add_f32_e32 v72, v72, v185
	s_delay_alu instid0(VALU_DEP_4) | instskip(NEXT) | instid1(VALU_DEP_4)
	v_dual_add_f32 v74, v75, v74 :: v_dual_mul_f32 v75, v137, v85
	v_fma_f32 v76, v134, v82, -v76
	v_dual_fmac_f32 v186, v133, v80 :: v_dual_fmac_f32 v187, v135, v82
	s_delay_alu instid0(VALU_DEP_3) | instskip(NEXT) | instid1(VALU_DEP_4)
	v_dual_add_f32 v74, v74, v77 :: v_dual_mul_f32 v77, v139, v87
	v_fma_f32 v75, v136, v84, -v75
	v_dual_fmac_f32 v191, v143, v90 :: v_dual_mul_f32 v196, v152, v101
	v_mul_f32_e32 v197, v154, v103
	s_delay_alu instid0(VALU_DEP_4) | instskip(SKIP_3) | instid1(VALU_DEP_4)
	v_add_f32_e32 v74, v74, v76
	v_dual_mul_f32 v76, v141, v89 :: v_dual_fmac_f32 v193, v147, v94
	v_fma_f32 v77, v138, v86, -v77
	v_add_f32_e32 v72, v72, v186
	v_dual_add_f32 v74, v74, v75 :: v_dual_fmac_f32 v195, v151, v98
	v_mul_f32_e32 v75, v143, v91
	v_fma_f32 v76, v140, v88, -v76
	s_delay_alu instid0(VALU_DEP_3) | instskip(SKIP_1) | instid1(VALU_DEP_4)
	v_dual_fmac_f32 v197, v155, v102 :: v_dual_add_f32 v74, v74, v77
	v_mul_f32_e32 v77, v145, v93
	v_fma_f32 v75, v142, v90, -v75
	v_dual_mul_f32 v188, v136, v85 :: v_dual_mul_f32 v189, v138, v87
	s_delay_alu instid0(VALU_DEP_4) | instskip(SKIP_3) | instid1(VALU_DEP_4)
	v_add_f32_e32 v74, v74, v76
	v_dual_mul_f32 v200, v160, v109 :: v_dual_mul_f32 v201, v162, v111
	v_mul_f32_e32 v76, v147, v95
	v_fma_f32 v77, v144, v92, -v77
	v_add_f32_e32 v74, v74, v75
	v_dual_fmac_f32 v188, v137, v84 :: v_dual_fmac_f32 v189, v139, v86
	v_dual_add_f32 v72, v72, v187 :: v_dual_mul_f32 v75, v149, v97
	v_fma_f32 v76, v146, v94, -v76
	s_delay_alu instid0(VALU_DEP_4) | instskip(NEXT) | instid1(VALU_DEP_3)
	v_dual_fmac_f32 v201, v163, v110 :: v_dual_add_f32 v74, v74, v77
	v_dual_add_f32 v72, v72, v188 :: v_dual_mul_f32 v77, v151, v99
	s_delay_alu instid0(VALU_DEP_4) | instskip(SKIP_1) | instid1(VALU_DEP_4)
	v_fma_f32 v75, v148, v96, -v75
	v_fmac_f32_e32 v190, v141, v88
	v_add_f32_e32 v74, v74, v76
	v_mul_f32_e32 v76, v153, v101
	v_fma_f32 v77, v150, v98, -v77
	v_dual_fmac_f32 v209, v183, v178 :: v_dual_mul_f32 v198, v156, v105
	v_mul_f32_e32 v199, v158, v107
	v_add_f32_e32 v74, v74, v75
	v_mul_f32_e32 v75, v155, v103
	v_fma_f32 v76, v152, v100, -v76
	s_delay_alu instid0(VALU_DEP_4) | instskip(NEXT) | instid1(VALU_DEP_4)
	v_dual_add_f32 v72, v72, v189 :: v_dual_fmac_f32 v199, v159, v106
	v_add_f32_e32 v74, v74, v77
	v_mul_f32_e32 v77, v157, v105
	v_fma_f32 v75, v154, v102, -v75
	s_delay_alu instid0(VALU_DEP_4)
	v_add_f32_e32 v72, v72, v190
	v_fmac_f32_e32 v192, v145, v92
	v_add_f32_e32 v74, v74, v76
	v_mul_f32_e32 v76, v159, v107
	v_fma_f32 v77, v156, v104, -v77
	v_dual_mul_f32 v202, v164, v113 :: v_dual_mul_f32 v203, v166, v115
	s_delay_alu instid0(VALU_DEP_4) | instskip(NEXT) | instid1(VALU_DEP_4)
	v_dual_add_f32 v74, v74, v75 :: v_dual_mul_f32 v75, v161, v109
	v_fma_f32 v76, v158, v106, -v76
	s_delay_alu instid0(VALU_DEP_3) | instskip(NEXT) | instid1(VALU_DEP_3)
	v_dual_add_f32 v72, v72, v191 :: v_dual_fmac_f32 v203, v167, v114
	v_dual_add_f32 v74, v74, v77 :: v_dual_mul_f32 v77, v163, v111
	s_delay_alu instid0(VALU_DEP_4) | instskip(NEXT) | instid1(VALU_DEP_3)
	v_fma_f32 v75, v160, v108, -v75
	v_add_f32_e32 v72, v72, v192
	v_dual_mul_f32 v204, v168, v117 :: v_dual_mul_f32 v205, v170, v119
	s_delay_alu instid0(VALU_DEP_4) | instskip(SKIP_3) | instid1(VALU_DEP_4)
	v_add_f32_e32 v74, v74, v76
	v_mul_f32_e32 v76, v165, v113
	v_fma_f32 v77, v162, v110, -v77
	v_dual_mul_f32 v207, v174, v123 :: v_dual_mul_f32 v208, v176, v125
	v_add_f32_e32 v74, v74, v75
	v_mul_f32_e32 v75, v167, v115
	v_fma_f32 v76, v164, v112, -v76
	v_dual_fmac_f32 v194, v149, v96 :: v_dual_fmac_f32 v205, v171, v118
	s_delay_alu instid0(VALU_DEP_4) | instskip(NEXT) | instid1(VALU_DEP_4)
	v_add_f32_e32 v74, v74, v77
	v_fma_f32 v75, v166, v114, -v75
	v_dual_fmac_f32 v207, v175, v122 :: v_dual_fmac_f32 v196, v153, v100
	v_fmac_f32_e32 v198, v157, v104
	s_delay_alu instid0(VALU_DEP_4) | instskip(SKIP_3) | instid1(VALU_DEP_4)
	v_add_f32_e32 v74, v74, v76
	v_fmac_f32_e32 v200, v161, v108
	v_fmac_f32_e32 v202, v165, v112
	v_dual_mul_f32 v77, v169, v117 :: v_dual_mul_f32 v76, v171, v119
	v_dual_add_f32 v74, v74, v75 :: v_dual_mul_f32 v75, v173, v121
	v_add_f32_e32 v72, v72, v193
	v_fmac_f32_e32 v204, v169, v116
	s_delay_alu instid0(VALU_DEP_4)
	v_fma_f32 v77, v168, v116, -v77
	v_fma_f32 v76, v170, v118, -v76
	v_fmac_f32_e32 v206, v173, v120
	v_add_f32_e32 v72, v72, v194
	v_fma_f32 v75, v172, v120, -v75
	v_dual_add_f32 v74, v74, v77 :: v_dual_mul_f32 v77, v175, v123
	v_fmac_f32_e32 v208, v177, v124
	s_delay_alu instid0(VALU_DEP_4) | instskip(NEXT) | instid1(VALU_DEP_3)
	v_add_f32_e32 v72, v72, v195
	v_add_f32_e32 v74, v74, v76
	v_mul_f32_e32 v76, v177, v125
	v_fma_f32 v77, v174, v122, -v77
	s_delay_alu instid0(VALU_DEP_4) | instskip(NEXT) | instid1(VALU_DEP_4)
	v_add_f32_e32 v72, v72, v196
	v_add_f32_e32 v74, v74, v75
	v_mul_f32_e32 v75, v183, v179
	v_fma_f32 v76, v176, v124, -v76
	s_delay_alu instid0(VALU_DEP_4) | instskip(NEXT) | instid1(VALU_DEP_4)
	v_add_f32_e32 v72, v72, v197
	v_add_f32_e32 v74, v74, v77
	s_delay_alu instid0(VALU_DEP_4) | instskip(NEXT) | instid1(VALU_DEP_3)
	v_fma_f32 v75, v182, v178, -v75
	v_add_f32_e32 v72, v72, v198
	s_delay_alu instid0(VALU_DEP_3) | instskip(NEXT) | instid1(VALU_DEP_2)
	v_add_f32_e32 v74, v74, v76
	v_add_f32_e32 v72, v72, v199
	s_delay_alu instid0(VALU_DEP_2) | instskip(NEXT) | instid1(VALU_DEP_2)
	v_add_f32_e32 v74, v74, v75
	v_add_f32_e32 v72, v72, v200
	s_wait_loadcnt 0x0
	s_delay_alu instid0(VALU_DEP_2) | instskip(NEXT) | instid1(VALU_DEP_2)
	v_sub_f32_e32 v74, v180, v74
	v_add_f32_e32 v72, v72, v201
	s_delay_alu instid0(VALU_DEP_1) | instskip(NEXT) | instid1(VALU_DEP_1)
	v_add_f32_e32 v72, v72, v202
	v_add_f32_e32 v72, v72, v203
	s_delay_alu instid0(VALU_DEP_1) | instskip(NEXT) | instid1(VALU_DEP_1)
	v_add_f32_e32 v72, v72, v204
	;; [unrolled: 3-line block ×4, first 2 shown]
	v_add_f32_e32 v72, v72, v209
	s_delay_alu instid0(VALU_DEP_1)
	v_sub_f32_e32 v75, v181, v72
	scratch_store_b64 off, v[74:75], off offset:56
	v_cmpx_lt_u32_e32 6, v0
	s_cbranch_execz .LBB98_211
; %bb.210:
	scratch_load_b64 v[74:75], off, off offset:48
	v_mov_b32_e32 v72, v71
	scratch_store_b64 off, v[71:72], off offset:48
	s_wait_loadcnt 0x0
	ds_store_b64 v73, v[74:75]
.LBB98_211:
	s_wait_alu 0xfffe
	s_or_b32 exec_lo, exec_lo, s0
	s_wait_storecnt_dscnt 0x0
	s_barrier_signal -1
	s_barrier_wait -1
	global_inv scope:SCOPE_SE
	s_clause 0xe
	scratch_load_b128 v[74:77], off, off offset:56
	scratch_load_b128 v[78:81], off, off offset:72
	;; [unrolled: 1-line block ×14, first 2 shown]
	scratch_load_b64 v[186:187], off, off offset:48
	ds_load_2addr_b64 v[130:133], v71 offset0:43 offset1:44
	ds_load_2addr_b64 v[134:137], v71 offset0:45 offset1:46
	;; [unrolled: 1-line block ×14, first 2 shown]
	s_mov_b32 s0, exec_lo
	s_wait_loadcnt_dscnt 0xe0d
	v_dual_mul_f32 v71, v130, v75 :: v_dual_mul_f32 v72, v132, v77
	v_mul_f32_e32 v75, v131, v75
	s_wait_loadcnt_dscnt 0xd0c
	v_dual_mul_f32 v77, v133, v77 :: v_dual_mul_f32 v188, v134, v79
	s_delay_alu instid0(VALU_DEP_3) | instskip(NEXT) | instid1(VALU_DEP_3)
	v_dual_mul_f32 v189, v136, v81 :: v_dual_fmac_f32 v72, v133, v76
	v_fma_f32 v75, v130, v74, -v75
	v_fmac_f32_e32 v71, v131, v74
	v_mul_f32_e32 v74, v135, v79
	v_fma_f32 v76, v132, v76, -v77
	v_mul_f32_e32 v77, v137, v81
	v_dual_add_f32 v75, 0, v75 :: v_dual_fmac_f32 v188, v135, v78
	s_delay_alu instid0(VALU_DEP_4) | instskip(SKIP_2) | instid1(VALU_DEP_3)
	v_fma_f32 v74, v134, v78, -v74
	s_wait_loadcnt_dscnt 0xc0b
	v_dual_mul_f32 v190, v138, v83 :: v_dual_mul_f32 v191, v140, v85
	v_add_f32_e32 v75, v75, v76
	v_fmac_f32_e32 v189, v137, v80
	v_fma_f32 v76, v136, v80, -v77
	s_wait_loadcnt_dscnt 0xb0a
	v_dual_mul_f32 v192, v142, v87 :: v_dual_mul_f32 v193, v144, v89
	v_dual_add_f32 v74, v75, v74 :: v_dual_mul_f32 v75, v141, v85
	v_fmac_f32_e32 v190, v139, v82
	s_wait_loadcnt_dscnt 0xa09
	v_dual_mul_f32 v194, v146, v91 :: v_dual_mul_f32 v195, v148, v93
	s_delay_alu instid0(VALU_DEP_3) | instskip(SKIP_3) | instid1(VALU_DEP_4)
	v_dual_add_f32 v74, v74, v76 :: v_dual_add_f32 v71, 0, v71
	v_mul_f32_e32 v76, v143, v87
	v_fma_f32 v75, v140, v84, -v75
	v_dual_fmac_f32 v191, v141, v84 :: v_dual_fmac_f32 v192, v143, v86
	v_add_f32_e32 v71, v71, v72
	v_mul_f32_e32 v72, v139, v83
	v_fma_f32 v76, v142, v86, -v76
	v_dual_fmac_f32 v193, v145, v88 :: v_dual_fmac_f32 v194, v147, v90
	s_wait_loadcnt_dscnt 0x908
	v_dual_mul_f32 v196, v150, v95 :: v_dual_mul_f32 v197, v152, v97
	v_fma_f32 v72, v138, v82, -v72
	s_wait_loadcnt_dscnt 0x807
	v_dual_mul_f32 v198, v154, v99 :: v_dual_mul_f32 v199, v156, v101
	s_wait_loadcnt_dscnt 0x706
	v_dual_mul_f32 v200, v158, v103 :: v_dual_mul_f32 v201, v160, v105
	v_add_f32_e32 v72, v74, v72
	v_mul_f32_e32 v74, v145, v89
	v_dual_fmac_f32 v198, v155, v98 :: v_dual_fmac_f32 v199, v157, v100
	s_delay_alu instid0(VALU_DEP_4) | instskip(NEXT) | instid1(VALU_DEP_4)
	v_dual_fmac_f32 v200, v159, v102 :: v_dual_fmac_f32 v201, v161, v104
	v_dual_add_f32 v72, v72, v75 :: v_dual_add_f32 v71, v71, v188
	v_mul_f32_e32 v75, v147, v91
	v_fma_f32 v74, v144, v88, -v74
	v_fmac_f32_e32 v195, v149, v92
	s_delay_alu instid0(VALU_DEP_4)
	v_add_f32_e32 v72, v72, v76
	v_mul_f32_e32 v76, v149, v93
	v_add_f32_e32 v71, v71, v189
	v_fma_f32 v75, v146, v90, -v75
	v_fmac_f32_e32 v196, v151, v94
	v_add_f32_e32 v72, v72, v74
	v_mul_f32_e32 v74, v151, v95
	v_add_f32_e32 v71, v71, v190
	v_fma_f32 v76, v148, v92, -v76
	s_delay_alu instid0(VALU_DEP_4) | instskip(SKIP_1) | instid1(VALU_DEP_4)
	v_dual_fmac_f32 v197, v153, v96 :: v_dual_add_f32 v72, v72, v75
	v_mul_f32_e32 v75, v153, v97
	v_add_f32_e32 v71, v71, v191
	v_fma_f32 v74, v150, v94, -v74
	s_wait_loadcnt_dscnt 0x605
	v_dual_mul_f32 v202, v162, v107 :: v_dual_mul_f32 v203, v164, v109
	v_add_f32_e32 v72, v72, v76
	v_add_f32_e32 v71, v71, v192
	v_fma_f32 v75, v152, v96, -v75
	v_mul_f32_e32 v76, v155, v99
	s_wait_loadcnt_dscnt 0x504
	v_dual_mul_f32 v204, v166, v111 :: v_dual_mul_f32 v205, v168, v113
	v_dual_add_f32 v72, v72, v74 :: v_dual_add_f32 v71, v71, v193
	v_mul_f32_e32 v74, v157, v101
	v_fma_f32 v76, v154, v98, -v76
	v_dual_fmac_f32 v202, v163, v106 :: v_dual_fmac_f32 v203, v165, v108
	s_delay_alu instid0(VALU_DEP_4)
	v_dual_add_f32 v72, v72, v75 :: v_dual_add_f32 v71, v71, v194
	v_mul_f32_e32 v75, v159, v103
	v_fma_f32 v74, v156, v100, -v74
	s_wait_loadcnt_dscnt 0x403
	v_dual_mul_f32 v206, v170, v115 :: v_dual_mul_f32 v207, v172, v117
	v_dual_add_f32 v71, v71, v195 :: v_dual_add_f32 v72, v72, v76
	v_mul_f32_e32 v76, v161, v105
	v_fma_f32 v75, v158, v102, -v75
	s_delay_alu instid0(VALU_DEP_4) | instskip(NEXT) | instid1(VALU_DEP_4)
	v_dual_fmac_f32 v204, v167, v110 :: v_dual_fmac_f32 v207, v173, v116
	v_dual_add_f32 v71, v71, v196 :: v_dual_add_f32 v72, v72, v74
	v_mul_f32_e32 v74, v163, v107
	v_fma_f32 v76, v160, v104, -v76
	v_fmac_f32_e32 v205, v169, v112
	s_delay_alu instid0(VALU_DEP_4)
	v_dual_add_f32 v71, v71, v197 :: v_dual_add_f32 v72, v72, v75
	v_mul_f32_e32 v75, v165, v109
	v_fma_f32 v74, v162, v106, -v74
	s_wait_loadcnt_dscnt 0x302
	v_dual_mul_f32 v208, v174, v119 :: v_dual_mul_f32 v209, v176, v121
	v_dual_add_f32 v71, v71, v198 :: v_dual_add_f32 v72, v72, v76
	v_mul_f32_e32 v76, v167, v111
	v_fma_f32 v75, v164, v108, -v75
	v_fmac_f32_e32 v206, v171, v114
	s_delay_alu instid0(VALU_DEP_4)
	v_dual_add_f32 v71, v71, v199 :: v_dual_add_f32 v72, v72, v74
	v_mul_f32_e32 v74, v169, v113
	v_fma_f32 v76, v166, v110, -v76
	s_wait_loadcnt_dscnt 0x201
	v_dual_mul_f32 v210, v178, v123 :: v_dual_mul_f32 v211, v180, v125
	;; [unrolled: 10-line block ×3, first 2 shown]
	v_add_f32_e32 v71, v71, v202
	v_add_f32_e32 v72, v72, v74
	v_mul_f32_e32 v74, v175, v119
	v_fma_f32 v76, v172, v116, -v76
	v_dual_fmac_f32 v208, v175, v118 :: v_dual_fmac_f32 v211, v181, v124
	v_add_f32_e32 v71, v71, v203
	v_dual_add_f32 v72, v72, v75 :: v_dual_mul_f32 v75, v177, v121
	v_fma_f32 v74, v174, v118, -v74
	v_fmac_f32_e32 v213, v185, v128
	s_delay_alu instid0(VALU_DEP_4) | instskip(NEXT) | instid1(VALU_DEP_4)
	v_add_f32_e32 v71, v71, v204
	v_add_f32_e32 v72, v72, v76
	v_mul_f32_e32 v76, v179, v123
	v_fma_f32 v75, v176, v120, -v75
	v_fmac_f32_e32 v212, v183, v126
	s_delay_alu instid0(VALU_DEP_4) | instskip(SKIP_2) | instid1(VALU_DEP_3)
	v_dual_add_f32 v71, v71, v205 :: v_dual_add_f32 v72, v72, v74
	v_mul_f32_e32 v74, v181, v125
	v_fma_f32 v76, v178, v122, -v76
	v_add_f32_e32 v71, v71, v206
	s_delay_alu instid0(VALU_DEP_3) | instskip(NEXT) | instid1(VALU_DEP_2)
	v_fma_f32 v74, v180, v124, -v74
	v_add_f32_e32 v71, v71, v207
	s_delay_alu instid0(VALU_DEP_1) | instskip(NEXT) | instid1(VALU_DEP_1)
	v_dual_add_f32 v71, v71, v208 :: v_dual_add_f32 v72, v72, v75
	v_add_f32_e32 v71, v71, v209
	s_delay_alu instid0(VALU_DEP_2) | instskip(SKIP_1) | instid1(VALU_DEP_2)
	v_dual_mul_f32 v75, v183, v127 :: v_dual_add_f32 v72, v72, v76
	v_mul_f32_e32 v76, v185, v129
	v_fma_f32 v75, v182, v126, -v75
	s_delay_alu instid0(VALU_DEP_3) | instskip(NEXT) | instid1(VALU_DEP_3)
	v_add_f32_e32 v72, v72, v74
	v_fma_f32 v74, v184, v128, -v76
	s_delay_alu instid0(VALU_DEP_2) | instskip(NEXT) | instid1(VALU_DEP_1)
	v_add_f32_e32 v72, v72, v75
	v_add_f32_e32 v72, v72, v74
	v_fmac_f32_e32 v210, v179, v122
	s_delay_alu instid0(VALU_DEP_1) | instskip(NEXT) | instid1(VALU_DEP_1)
	v_add_f32_e32 v71, v71, v210
	v_add_f32_e32 v71, v71, v211
	s_delay_alu instid0(VALU_DEP_1) | instskip(SKIP_1) | instid1(VALU_DEP_1)
	v_add_f32_e32 v71, v71, v212
	s_wait_loadcnt 0x0
	v_dual_add_f32 v74, v71, v213 :: v_dual_sub_f32 v71, v186, v72
	s_delay_alu instid0(VALU_DEP_1)
	v_sub_f32_e32 v72, v187, v74
	scratch_store_b64 off, v[71:72], off offset:48
	v_cmpx_lt_u32_e32 5, v0
	s_cbranch_execz .LBB98_213
; %bb.212:
	scratch_load_b64 v[71:72], off, off offset:40
	v_mov_b32_e32 v74, 0
	s_delay_alu instid0(VALU_DEP_1)
	v_mov_b32_e32 v75, v74
	scratch_store_b64 off, v[74:75], off offset:40
	s_wait_loadcnt 0x0
	ds_store_b64 v73, v[71:72]
.LBB98_213:
	s_wait_alu 0xfffe
	s_or_b32 exec_lo, exec_lo, s0
	s_wait_storecnt_dscnt 0x0
	s_barrier_signal -1
	s_barrier_wait -1
	global_inv scope:SCOPE_SE
	s_clause 0xf
	scratch_load_b128 v[74:77], off, off offset:48
	scratch_load_b128 v[78:81], off, off offset:64
	scratch_load_b128 v[82:85], off, off offset:80
	scratch_load_b128 v[86:89], off, off offset:96
	scratch_load_b128 v[90:93], off, off offset:112
	scratch_load_b128 v[94:97], off, off offset:128
	scratch_load_b128 v[98:101], off, off offset:144
	scratch_load_b128 v[102:105], off, off offset:160
	scratch_load_b128 v[106:109], off, off offset:176
	scratch_load_b128 v[110:113], off, off offset:192
	scratch_load_b128 v[114:117], off, off offset:208
	scratch_load_b128 v[118:121], off, off offset:224
	scratch_load_b128 v[122:125], off, off offset:240
	scratch_load_b128 v[126:129], off, off offset:256
	scratch_load_b64 v[186:187], off, off offset:272
	scratch_load_b64 v[188:189], off, off offset:40
	v_mov_b32_e32 v71, 0
	ds_load_b128 v[130:133], v71 offset:336
	ds_load_b128 v[134:137], v71 offset:352
	;; [unrolled: 1-line block ×14, first 2 shown]
	ds_load_b64 v[190:191], v71 offset:560
	s_mov_b32 s0, exec_lo
	s_wait_loadcnt_dscnt 0xf0e
	v_mul_f32_e32 v72, v130, v75
	s_wait_loadcnt_dscnt 0xe0d
	v_dual_mul_f32 v192, v132, v77 :: v_dual_mul_f32 v193, v134, v79
	v_mul_f32_e32 v77, v133, v77
	s_wait_loadcnt_dscnt 0xd0c
	v_dual_mul_f32 v194, v136, v81 :: v_dual_mul_f32 v195, v138, v83
	s_wait_loadcnt_dscnt 0xb0a
	v_dual_mul_f32 v198, v144, v89 :: v_dual_mul_f32 v199, v146, v91
	v_dual_mul_f32 v75, v131, v75 :: v_dual_mul_f32 v200, v148, v93
	s_wait_loadcnt_dscnt 0xa09
	v_dual_mul_f32 v201, v150, v95 :: v_dual_fmac_f32 v72, v131, v74
	s_wait_loadcnt_dscnt 0x302
	v_mul_f32_e32 v216, v180, v125
	v_fma_f32 v75, v130, v74, -v75
	s_wait_loadcnt_dscnt 0x100
	v_mul_f32_e32 v219, v190, v187
	v_mul_f32_e32 v74, v135, v79
	v_fmac_f32_e32 v192, v133, v76
	v_fma_f32 v76, v132, v76, -v77
	v_dual_add_f32 v75, 0, v75 :: v_dual_add_f32 v72, 0, v72
	v_mul_f32_e32 v77, v137, v81
	v_fmac_f32_e32 v193, v135, v78
	v_fma_f32 v74, v134, v78, -v74
	v_dual_mul_f32 v202, v152, v97 :: v_dual_mul_f32 v203, v154, v99
	v_add_f32_e32 v72, v72, v192
	v_add_f32_e32 v75, v75, v76
	v_mul_f32_e32 v76, v139, v83
	v_fma_f32 v77, v136, v80, -v77
	v_dual_fmac_f32 v194, v137, v80 :: v_dual_fmac_f32 v195, v139, v82
	v_add_f32_e32 v72, v72, v193
	v_dual_add_f32 v74, v75, v74 :: v_dual_mul_f32 v75, v141, v85
	v_fma_f32 v76, v138, v82, -v76
	v_dual_mul_f32 v204, v156, v101 :: v_dual_mul_f32 v205, v158, v103
	s_delay_alu instid0(VALU_DEP_3) | instskip(NEXT) | instid1(VALU_DEP_4)
	v_dual_add_f32 v74, v74, v77 :: v_dual_mul_f32 v77, v143, v87
	v_fma_f32 v75, v140, v84, -v75
	v_fmac_f32_e32 v199, v147, v90
	v_add_f32_e32 v72, v72, v194
	s_delay_alu instid0(VALU_DEP_4) | instskip(SKIP_2) | instid1(VALU_DEP_3)
	v_add_f32_e32 v74, v74, v76
	v_dual_mul_f32 v76, v145, v89 :: v_dual_fmac_f32 v201, v151, v94
	v_fma_f32 v77, v142, v86, -v77
	v_dual_fmac_f32 v203, v155, v98 :: v_dual_add_f32 v74, v74, v75
	v_mul_f32_e32 v75, v147, v91
	s_delay_alu instid0(VALU_DEP_4)
	v_fma_f32 v76, v144, v88, -v76
	v_dual_fmac_f32 v205, v159, v102 :: v_dual_mul_f32 v196, v140, v85
	v_mul_f32_e32 v197, v142, v87
	v_add_f32_e32 v74, v74, v77
	v_mul_f32_e32 v77, v149, v93
	v_fma_f32 v75, v146, v90, -v75
	v_dual_mul_f32 v208, v164, v109 :: v_dual_mul_f32 v209, v166, v111
	s_delay_alu instid0(VALU_DEP_4) | instskip(SKIP_3) | instid1(VALU_DEP_4)
	v_add_f32_e32 v74, v74, v76
	v_mul_f32_e32 v76, v151, v95
	v_fma_f32 v77, v148, v92, -v77
	v_dual_fmac_f32 v196, v141, v84 :: v_dual_fmac_f32 v197, v143, v86
	v_dual_add_f32 v74, v74, v75 :: v_dual_fmac_f32 v209, v167, v110
	v_dual_add_f32 v72, v72, v195 :: v_dual_mul_f32 v75, v153, v97
	v_fma_f32 v76, v150, v94, -v76
	s_delay_alu instid0(VALU_DEP_3) | instskip(NEXT) | instid1(VALU_DEP_3)
	v_dual_add_f32 v74, v74, v77 :: v_dual_mul_f32 v77, v155, v99
	v_add_f32_e32 v72, v72, v196
	s_delay_alu instid0(VALU_DEP_4) | instskip(SKIP_1) | instid1(VALU_DEP_4)
	v_fma_f32 v75, v152, v96, -v75
	v_fmac_f32_e32 v198, v145, v88
	v_add_f32_e32 v74, v74, v76
	v_mul_f32_e32 v76, v157, v101
	v_fma_f32 v77, v154, v98, -v77
	v_dual_mul_f32 v206, v160, v105 :: v_dual_mul_f32 v207, v162, v107
	s_delay_alu instid0(VALU_DEP_4) | instskip(SKIP_3) | instid1(VALU_DEP_4)
	v_add_f32_e32 v74, v74, v75
	v_mul_f32_e32 v75, v159, v103
	v_fma_f32 v76, v156, v100, -v76
	v_dual_fmac_f32 v219, v191, v186 :: v_dual_add_f32 v72, v72, v197
	v_dual_fmac_f32 v207, v163, v106 :: v_dual_add_f32 v74, v74, v77
	v_mul_f32_e32 v77, v161, v105
	v_fma_f32 v75, v158, v102, -v75
	s_delay_alu instid0(VALU_DEP_4)
	v_add_f32_e32 v72, v72, v198
	v_fmac_f32_e32 v200, v149, v92
	v_add_f32_e32 v74, v74, v76
	v_mul_f32_e32 v76, v163, v107
	v_fma_f32 v77, v160, v104, -v77
	v_dual_mul_f32 v210, v168, v113 :: v_dual_mul_f32 v211, v170, v115
	s_delay_alu instid0(VALU_DEP_4) | instskip(NEXT) | instid1(VALU_DEP_4)
	v_dual_add_f32 v74, v74, v75 :: v_dual_mul_f32 v75, v165, v109
	v_fma_f32 v76, v162, v106, -v76
	s_delay_alu instid0(VALU_DEP_3) | instskip(NEXT) | instid1(VALU_DEP_3)
	v_dual_add_f32 v72, v72, v199 :: v_dual_fmac_f32 v211, v171, v114
	v_dual_add_f32 v74, v74, v77 :: v_dual_mul_f32 v77, v167, v111
	s_delay_alu instid0(VALU_DEP_4) | instskip(NEXT) | instid1(VALU_DEP_3)
	v_fma_f32 v75, v164, v108, -v75
	v_add_f32_e32 v72, v72, v200
	v_dual_mul_f32 v212, v172, v117 :: v_dual_mul_f32 v213, v174, v119
	s_delay_alu instid0(VALU_DEP_4) | instskip(SKIP_3) | instid1(VALU_DEP_4)
	v_add_f32_e32 v74, v74, v76
	v_mul_f32_e32 v76, v169, v113
	v_fma_f32 v77, v166, v110, -v77
	v_dual_mul_f32 v214, v176, v121 :: v_dual_mul_f32 v215, v178, v123
	v_add_f32_e32 v74, v74, v75
	v_mul_f32_e32 v75, v171, v115
	v_fma_f32 v76, v168, v112, -v76
	v_dual_fmac_f32 v202, v153, v96 :: v_dual_fmac_f32 v213, v175, v118
	s_delay_alu instid0(VALU_DEP_4) | instskip(NEXT) | instid1(VALU_DEP_4)
	v_add_f32_e32 v74, v74, v77
	v_fma_f32 v75, v170, v114, -v75
	v_dual_mul_f32 v217, v182, v127 :: v_dual_mul_f32 v218, v184, v129
	s_delay_alu instid0(VALU_DEP_3) | instskip(NEXT) | instid1(VALU_DEP_2)
	v_dual_fmac_f32 v215, v179, v122 :: v_dual_add_f32 v74, v74, v76
	v_dual_fmac_f32 v204, v157, v100 :: v_dual_fmac_f32 v217, v183, v126
	v_fmac_f32_e32 v206, v161, v104
	v_fmac_f32_e32 v208, v165, v108
	s_delay_alu instid0(VALU_DEP_4) | instskip(SKIP_4) | instid1(VALU_DEP_4)
	v_dual_add_f32 v74, v74, v75 :: v_dual_mul_f32 v75, v177, v121
	v_add_f32_e32 v72, v72, v201
	v_fmac_f32_e32 v210, v169, v112
	v_dual_mul_f32 v77, v173, v117 :: v_dual_mul_f32 v76, v175, v119
	v_fmac_f32_e32 v212, v173, v116
	v_add_f32_e32 v72, v72, v202
	v_fmac_f32_e32 v214, v177, v120
	s_delay_alu instid0(VALU_DEP_4)
	v_fma_f32 v77, v172, v116, -v77
	v_fma_f32 v76, v174, v118, -v76
	;; [unrolled: 1-line block ×3, first 2 shown]
	v_add_f32_e32 v72, v72, v203
	v_fmac_f32_e32 v216, v181, v124
	v_dual_add_f32 v74, v74, v77 :: v_dual_mul_f32 v77, v179, v123
	v_fmac_f32_e32 v218, v185, v128
	s_delay_alu instid0(VALU_DEP_4) | instskip(NEXT) | instid1(VALU_DEP_3)
	v_add_f32_e32 v72, v72, v204
	v_add_f32_e32 v74, v74, v76
	v_mul_f32_e32 v76, v181, v125
	v_fma_f32 v77, v178, v122, -v77
	s_delay_alu instid0(VALU_DEP_4) | instskip(NEXT) | instid1(VALU_DEP_4)
	v_add_f32_e32 v72, v72, v205
	v_add_f32_e32 v74, v74, v75
	v_mul_f32_e32 v75, v183, v127
	v_fma_f32 v76, v180, v124, -v76
	s_delay_alu instid0(VALU_DEP_4) | instskip(NEXT) | instid1(VALU_DEP_4)
	;; [unrolled: 5-line block ×4, first 2 shown]
	v_add_f32_e32 v72, v72, v208
	v_add_f32_e32 v74, v74, v75
	s_delay_alu instid0(VALU_DEP_4) | instskip(NEXT) | instid1(VALU_DEP_3)
	v_fma_f32 v75, v190, v186, -v76
	v_add_f32_e32 v72, v72, v209
	s_delay_alu instid0(VALU_DEP_3) | instskip(NEXT) | instid1(VALU_DEP_2)
	v_add_f32_e32 v74, v74, v77
	v_add_f32_e32 v72, v72, v210
	s_delay_alu instid0(VALU_DEP_2) | instskip(NEXT) | instid1(VALU_DEP_2)
	v_add_f32_e32 v74, v74, v75
	v_add_f32_e32 v72, v72, v211
	s_wait_loadcnt 0x0
	s_delay_alu instid0(VALU_DEP_2) | instskip(NEXT) | instid1(VALU_DEP_2)
	v_sub_f32_e32 v74, v188, v74
	v_add_f32_e32 v72, v72, v212
	s_delay_alu instid0(VALU_DEP_1) | instskip(NEXT) | instid1(VALU_DEP_1)
	v_add_f32_e32 v72, v72, v213
	v_add_f32_e32 v72, v72, v214
	s_delay_alu instid0(VALU_DEP_1) | instskip(NEXT) | instid1(VALU_DEP_1)
	v_add_f32_e32 v72, v72, v215
	;; [unrolled: 3-line block ×4, first 2 shown]
	v_sub_f32_e32 v75, v189, v72
	scratch_store_b64 off, v[74:75], off offset:40
	v_cmpx_lt_u32_e32 4, v0
	s_cbranch_execz .LBB98_215
; %bb.214:
	scratch_load_b64 v[74:75], off, off offset:32
	v_mov_b32_e32 v72, v71
	scratch_store_b64 off, v[71:72], off offset:32
	s_wait_loadcnt 0x0
	ds_store_b64 v73, v[74:75]
.LBB98_215:
	s_wait_alu 0xfffe
	s_or_b32 exec_lo, exec_lo, s0
	s_wait_storecnt_dscnt 0x0
	s_barrier_signal -1
	s_barrier_wait -1
	global_inv scope:SCOPE_SE
	s_clause 0xf
	scratch_load_b128 v[74:77], off, off offset:40
	scratch_load_b128 v[78:81], off, off offset:56
	;; [unrolled: 1-line block ×15, first 2 shown]
	scratch_load_b64 v[194:195], off, off offset:32
	ds_load_2addr_b64 v[134:137], v71 offset0:41 offset1:42
	ds_load_2addr_b64 v[138:141], v71 offset0:43 offset1:44
	;; [unrolled: 1-line block ×15, first 2 shown]
	s_mov_b32 s0, exec_lo
	s_wait_loadcnt_dscnt 0xf0e
	v_dual_mul_f32 v71, v134, v75 :: v_dual_mul_f32 v72, v136, v77
	v_mul_f32_e32 v75, v135, v75
	s_wait_loadcnt_dscnt 0xe0d
	v_dual_mul_f32 v77, v137, v77 :: v_dual_mul_f32 v196, v138, v79
	s_delay_alu instid0(VALU_DEP_3) | instskip(NEXT) | instid1(VALU_DEP_3)
	v_dual_mul_f32 v197, v140, v81 :: v_dual_fmac_f32 v72, v137, v76
	v_fma_f32 v75, v134, v74, -v75
	v_fmac_f32_e32 v71, v135, v74
	v_mul_f32_e32 v74, v139, v79
	v_fma_f32 v76, v136, v76, -v77
	v_mul_f32_e32 v77, v141, v81
	v_dual_add_f32 v75, 0, v75 :: v_dual_fmac_f32 v196, v139, v78
	s_delay_alu instid0(VALU_DEP_4) | instskip(SKIP_2) | instid1(VALU_DEP_3)
	v_fma_f32 v74, v138, v78, -v74
	s_wait_loadcnt_dscnt 0xd0c
	v_dual_mul_f32 v198, v142, v83 :: v_dual_mul_f32 v199, v144, v85
	v_add_f32_e32 v75, v75, v76
	v_fmac_f32_e32 v197, v141, v80
	v_fma_f32 v76, v140, v80, -v77
	s_wait_loadcnt_dscnt 0xc0b
	v_dual_mul_f32 v200, v146, v87 :: v_dual_mul_f32 v201, v148, v89
	v_dual_add_f32 v74, v75, v74 :: v_dual_mul_f32 v75, v145, v85
	v_fmac_f32_e32 v198, v143, v82
	s_wait_loadcnt_dscnt 0xb0a
	v_dual_mul_f32 v202, v150, v91 :: v_dual_mul_f32 v203, v152, v93
	s_delay_alu instid0(VALU_DEP_3) | instskip(SKIP_3) | instid1(VALU_DEP_4)
	v_dual_add_f32 v74, v74, v76 :: v_dual_add_f32 v71, 0, v71
	v_mul_f32_e32 v76, v147, v87
	v_fma_f32 v75, v144, v84, -v75
	v_dual_fmac_f32 v199, v145, v84 :: v_dual_fmac_f32 v200, v147, v86
	v_add_f32_e32 v71, v71, v72
	v_mul_f32_e32 v72, v143, v83
	v_fma_f32 v76, v146, v86, -v76
	v_dual_fmac_f32 v201, v149, v88 :: v_dual_fmac_f32 v202, v151, v90
	s_wait_loadcnt_dscnt 0xa09
	v_dual_mul_f32 v204, v154, v95 :: v_dual_mul_f32 v205, v156, v97
	v_fma_f32 v72, v142, v82, -v72
	s_wait_loadcnt_dscnt 0x908
	v_dual_mul_f32 v206, v158, v99 :: v_dual_mul_f32 v207, v160, v101
	s_wait_loadcnt_dscnt 0x807
	v_dual_mul_f32 v208, v162, v103 :: v_dual_mul_f32 v209, v164, v105
	v_add_f32_e32 v72, v74, v72
	v_mul_f32_e32 v74, v149, v89
	v_dual_fmac_f32 v206, v159, v98 :: v_dual_fmac_f32 v207, v161, v100
	s_delay_alu instid0(VALU_DEP_4) | instskip(NEXT) | instid1(VALU_DEP_4)
	v_dual_fmac_f32 v208, v163, v102 :: v_dual_fmac_f32 v209, v165, v104
	v_dual_add_f32 v72, v72, v75 :: v_dual_add_f32 v71, v71, v196
	v_mul_f32_e32 v75, v151, v91
	v_fma_f32 v74, v148, v88, -v74
	v_fmac_f32_e32 v203, v153, v92
	s_delay_alu instid0(VALU_DEP_4)
	v_add_f32_e32 v72, v72, v76
	v_mul_f32_e32 v76, v153, v93
	v_add_f32_e32 v71, v71, v197
	v_fma_f32 v75, v150, v90, -v75
	v_fmac_f32_e32 v204, v155, v94
	v_add_f32_e32 v72, v72, v74
	v_mul_f32_e32 v74, v155, v95
	v_add_f32_e32 v71, v71, v198
	v_fma_f32 v76, v152, v92, -v76
	s_delay_alu instid0(VALU_DEP_4) | instskip(SKIP_1) | instid1(VALU_DEP_4)
	v_dual_fmac_f32 v205, v157, v96 :: v_dual_add_f32 v72, v72, v75
	v_mul_f32_e32 v75, v157, v97
	v_add_f32_e32 v71, v71, v199
	v_fma_f32 v74, v154, v94, -v74
	s_wait_loadcnt_dscnt 0x706
	v_dual_mul_f32 v210, v166, v107 :: v_dual_mul_f32 v211, v168, v109
	v_add_f32_e32 v72, v72, v76
	v_add_f32_e32 v71, v71, v200
	v_fma_f32 v75, v156, v96, -v75
	v_mul_f32_e32 v76, v159, v99
	s_wait_loadcnt_dscnt 0x605
	v_dual_mul_f32 v212, v170, v111 :: v_dual_mul_f32 v213, v172, v113
	v_dual_add_f32 v72, v72, v74 :: v_dual_add_f32 v71, v71, v201
	v_mul_f32_e32 v74, v161, v101
	v_fma_f32 v76, v158, v98, -v76
	v_dual_fmac_f32 v210, v167, v106 :: v_dual_fmac_f32 v211, v169, v108
	s_delay_alu instid0(VALU_DEP_4)
	v_dual_add_f32 v72, v72, v75 :: v_dual_add_f32 v71, v71, v202
	v_mul_f32_e32 v75, v163, v103
	v_fma_f32 v74, v160, v100, -v74
	s_wait_loadcnt_dscnt 0x504
	v_dual_mul_f32 v214, v174, v115 :: v_dual_mul_f32 v215, v176, v117
	v_dual_add_f32 v71, v71, v203 :: v_dual_add_f32 v72, v72, v76
	v_mul_f32_e32 v76, v165, v105
	v_fma_f32 v75, v162, v102, -v75
	s_delay_alu instid0(VALU_DEP_4) | instskip(NEXT) | instid1(VALU_DEP_4)
	v_dual_fmac_f32 v212, v171, v110 :: v_dual_fmac_f32 v215, v177, v116
	v_dual_add_f32 v71, v71, v204 :: v_dual_add_f32 v72, v72, v74
	v_mul_f32_e32 v74, v167, v107
	v_fma_f32 v76, v164, v104, -v76
	v_fmac_f32_e32 v213, v173, v112
	s_delay_alu instid0(VALU_DEP_4)
	v_dual_add_f32 v71, v71, v205 :: v_dual_add_f32 v72, v72, v75
	v_mul_f32_e32 v75, v169, v109
	v_fma_f32 v74, v166, v106, -v74
	s_wait_loadcnt_dscnt 0x403
	v_dual_mul_f32 v216, v178, v119 :: v_dual_mul_f32 v217, v180, v121
	v_dual_add_f32 v71, v71, v206 :: v_dual_add_f32 v72, v72, v76
	v_mul_f32_e32 v76, v171, v111
	v_fma_f32 v75, v168, v108, -v75
	v_fmac_f32_e32 v214, v175, v114
	s_delay_alu instid0(VALU_DEP_4)
	v_dual_add_f32 v71, v71, v207 :: v_dual_add_f32 v72, v72, v74
	v_mul_f32_e32 v74, v173, v113
	v_fma_f32 v76, v170, v110, -v76
	s_wait_loadcnt_dscnt 0x302
	v_dual_mul_f32 v218, v182, v123 :: v_dual_mul_f32 v219, v184, v125
	;; [unrolled: 10-line block ×3, first 2 shown]
	v_add_f32_e32 v71, v71, v210
	v_add_f32_e32 v72, v72, v74
	v_mul_f32_e32 v74, v179, v119
	v_fma_f32 v76, v176, v116, -v76
	v_dual_fmac_f32 v216, v179, v118 :: v_dual_fmac_f32 v219, v185, v124
	v_add_f32_e32 v71, v71, v211
	v_dual_add_f32 v72, v72, v75 :: v_dual_mul_f32 v75, v181, v121
	v_fma_f32 v74, v178, v118, -v74
	v_fmac_f32_e32 v221, v189, v128
	s_delay_alu instid0(VALU_DEP_4) | instskip(NEXT) | instid1(VALU_DEP_4)
	v_add_f32_e32 v71, v71, v212
	v_add_f32_e32 v72, v72, v76
	v_mul_f32_e32 v76, v183, v123
	v_fma_f32 v75, v180, v120, -v75
	s_wait_loadcnt_dscnt 0x100
	v_dual_mul_f32 v222, v190, v131 :: v_dual_mul_f32 v223, v192, v133
	v_dual_add_f32 v71, v71, v213 :: v_dual_add_f32 v72, v72, v74
	v_mul_f32_e32 v74, v185, v125
	v_fma_f32 v76, v182, v122, -v76
	v_fmac_f32_e32 v218, v183, v122
	s_delay_alu instid0(VALU_DEP_4) | instskip(SKIP_3) | instid1(VALU_DEP_4)
	v_add_f32_e32 v71, v71, v214
	v_dual_fmac_f32 v220, v187, v126 :: v_dual_fmac_f32 v223, v193, v132
	v_fma_f32 v74, v184, v124, -v74
	v_fmac_f32_e32 v222, v191, v130
	v_add_f32_e32 v71, v71, v215
	s_delay_alu instid0(VALU_DEP_1) | instskip(NEXT) | instid1(VALU_DEP_1)
	v_dual_add_f32 v71, v71, v216 :: v_dual_add_f32 v72, v72, v75
	v_add_f32_e32 v71, v71, v217
	s_delay_alu instid0(VALU_DEP_2) | instskip(SKIP_1) | instid1(VALU_DEP_2)
	v_dual_mul_f32 v75, v187, v127 :: v_dual_add_f32 v72, v72, v76
	v_mul_f32_e32 v76, v189, v129
	v_fma_f32 v75, v186, v126, -v75
	s_delay_alu instid0(VALU_DEP_3) | instskip(SKIP_1) | instid1(VALU_DEP_4)
	v_add_f32_e32 v72, v72, v74
	v_mul_f32_e32 v74, v191, v131
	v_fma_f32 v76, v188, v128, -v76
	s_delay_alu instid0(VALU_DEP_3) | instskip(SKIP_1) | instid1(VALU_DEP_4)
	v_dual_add_f32 v72, v72, v75 :: v_dual_mul_f32 v75, v193, v133
	v_add_f32_e32 v71, v71, v218
	v_fma_f32 v74, v190, v130, -v74
	s_delay_alu instid0(VALU_DEP_3) | instskip(NEXT) | instid1(VALU_DEP_3)
	v_fma_f32 v75, v192, v132, -v75
	v_add_f32_e32 v71, v71, v219
	s_delay_alu instid0(VALU_DEP_1) | instskip(NEXT) | instid1(VALU_DEP_1)
	v_add_f32_e32 v71, v71, v220
	v_dual_add_f32 v72, v72, v76 :: v_dual_add_f32 v71, v71, v221
	s_delay_alu instid0(VALU_DEP_1) | instskip(NEXT) | instid1(VALU_DEP_1)
	v_add_f32_e32 v72, v72, v74
	v_dual_add_f32 v71, v71, v222 :: v_dual_add_f32 v72, v72, v75
	s_wait_loadcnt 0x0
	s_delay_alu instid0(VALU_DEP_1) | instskip(NEXT) | instid1(VALU_DEP_1)
	v_dual_add_f32 v74, v71, v223 :: v_dual_sub_f32 v71, v194, v72
	v_sub_f32_e32 v72, v195, v74
	scratch_store_b64 off, v[71:72], off offset:32
	v_cmpx_lt_u32_e32 3, v0
	s_cbranch_execz .LBB98_217
; %bb.216:
	scratch_load_b64 v[71:72], off, off offset:24
	v_mov_b32_e32 v74, 0
	s_delay_alu instid0(VALU_DEP_1)
	v_mov_b32_e32 v75, v74
	scratch_store_b64 off, v[74:75], off offset:24
	s_wait_loadcnt 0x0
	ds_store_b64 v73, v[71:72]
.LBB98_217:
	s_wait_alu 0xfffe
	s_or_b32 exec_lo, exec_lo, s0
	s_wait_storecnt_dscnt 0x0
	s_barrier_signal -1
	s_barrier_wait -1
	global_inv scope:SCOPE_SE
	s_clause 0x10
	scratch_load_b128 v[74:77], off, off offset:32
	scratch_load_b128 v[78:81], off, off offset:48
	;; [unrolled: 1-line block ×15, first 2 shown]
	scratch_load_b64 v[194:195], off, off offset:272
	scratch_load_b64 v[196:197], off, off offset:24
	v_mov_b32_e32 v71, 0
	ds_load_b128 v[134:137], v71 offset:320
	ds_load_b128 v[138:141], v71 offset:336
	ds_load_b128 v[142:145], v71 offset:352
	ds_load_b128 v[146:149], v71 offset:368
	ds_load_b128 v[150:153], v71 offset:384
	ds_load_b128 v[154:157], v71 offset:400
	ds_load_b128 v[158:161], v71 offset:416
	ds_load_b128 v[162:165], v71 offset:432
	ds_load_b128 v[166:169], v71 offset:448
	ds_load_b128 v[170:173], v71 offset:464
	ds_load_b128 v[174:177], v71 offset:480
	ds_load_b128 v[178:181], v71 offset:496
	ds_load_b128 v[182:185], v71 offset:512
	ds_load_b128 v[186:189], v71 offset:528
	ds_load_b128 v[190:193], v71 offset:544
	ds_load_b64 v[198:199], v71 offset:560
	s_mov_b32 s0, exec_lo
	s_wait_loadcnt_dscnt 0x100f
	v_mul_f32_e32 v72, v134, v75
	s_wait_loadcnt_dscnt 0xf0e
	v_dual_mul_f32 v200, v136, v77 :: v_dual_mul_f32 v201, v138, v79
	v_mul_f32_e32 v77, v137, v77
	s_wait_loadcnt_dscnt 0xe0d
	v_dual_mul_f32 v202, v140, v81 :: v_dual_mul_f32 v203, v142, v83
	s_wait_loadcnt_dscnt 0xc0b
	v_dual_mul_f32 v206, v148, v89 :: v_dual_mul_f32 v207, v150, v91
	;; [unrolled: 2-line block ×3, first 2 shown]
	v_mul_f32_e32 v75, v135, v75
	v_fmac_f32_e32 v72, v135, v74
	s_wait_loadcnt_dscnt 0xa09
	v_dual_mul_f32 v210, v156, v97 :: v_dual_mul_f32 v211, v158, v99
	s_wait_loadcnt_dscnt 0x100
	v_dual_mul_f32 v226, v188, v129 :: v_dual_mul_f32 v229, v198, v195
	v_fma_f32 v75, v134, v74, -v75
	v_mul_f32_e32 v74, v139, v79
	v_fmac_f32_e32 v200, v137, v76
	v_fma_f32 v76, v136, v76, -v77
	v_dual_add_f32 v72, 0, v72 :: v_dual_mul_f32 v77, v141, v81
	v_add_f32_e32 v75, 0, v75
	v_fmac_f32_e32 v201, v139, v78
	v_fma_f32 v74, v138, v78, -v74
	s_delay_alu instid0(VALU_DEP_4)
	v_add_f32_e32 v72, v72, v200
	v_fma_f32 v77, v140, v80, -v77
	v_add_f32_e32 v75, v75, v76
	v_mul_f32_e32 v76, v143, v83
	v_dual_fmac_f32 v202, v141, v80 :: v_dual_fmac_f32 v203, v143, v82
	v_add_f32_e32 v72, v72, v201
	s_delay_alu instid0(VALU_DEP_4) | instskip(NEXT) | instid1(VALU_DEP_4)
	v_dual_add_f32 v74, v75, v74 :: v_dual_mul_f32 v75, v145, v85
	v_fma_f32 v76, v142, v82, -v76
	v_dual_mul_f32 v212, v160, v101 :: v_dual_mul_f32 v213, v162, v103
	s_delay_alu instid0(VALU_DEP_3) | instskip(NEXT) | instid1(VALU_DEP_4)
	v_dual_add_f32 v74, v74, v77 :: v_dual_mul_f32 v77, v147, v87
	v_fma_f32 v75, v144, v84, -v75
	v_fmac_f32_e32 v207, v151, v90
	v_add_f32_e32 v72, v72, v202
	s_delay_alu instid0(VALU_DEP_4) | instskip(SKIP_2) | instid1(VALU_DEP_3)
	v_add_f32_e32 v74, v74, v76
	v_dual_mul_f32 v76, v149, v89 :: v_dual_fmac_f32 v209, v155, v94
	v_fma_f32 v77, v146, v86, -v77
	v_dual_fmac_f32 v211, v159, v98 :: v_dual_add_f32 v74, v74, v75
	v_mul_f32_e32 v75, v151, v91
	s_delay_alu instid0(VALU_DEP_4)
	v_fma_f32 v76, v148, v88, -v76
	v_dual_fmac_f32 v213, v163, v102 :: v_dual_mul_f32 v204, v144, v85
	v_mul_f32_e32 v205, v146, v87
	v_add_f32_e32 v74, v74, v77
	v_mul_f32_e32 v77, v153, v93
	v_fma_f32 v75, v150, v90, -v75
	v_dual_mul_f32 v216, v168, v109 :: v_dual_mul_f32 v217, v170, v111
	s_delay_alu instid0(VALU_DEP_4) | instskip(SKIP_3) | instid1(VALU_DEP_4)
	v_add_f32_e32 v74, v74, v76
	v_mul_f32_e32 v76, v155, v95
	v_fma_f32 v77, v152, v92, -v77
	v_dual_fmac_f32 v204, v145, v84 :: v_dual_fmac_f32 v205, v147, v86
	v_dual_add_f32 v74, v74, v75 :: v_dual_fmac_f32 v217, v171, v110
	v_dual_add_f32 v72, v72, v203 :: v_dual_mul_f32 v75, v157, v97
	v_fma_f32 v76, v154, v94, -v76
	s_delay_alu instid0(VALU_DEP_3) | instskip(NEXT) | instid1(VALU_DEP_3)
	v_dual_add_f32 v74, v74, v77 :: v_dual_mul_f32 v77, v159, v99
	v_add_f32_e32 v72, v72, v204
	s_delay_alu instid0(VALU_DEP_4) | instskip(SKIP_1) | instid1(VALU_DEP_4)
	v_fma_f32 v75, v156, v96, -v75
	v_dual_mul_f32 v227, v190, v131 :: v_dual_mul_f32 v228, v192, v133
	v_add_f32_e32 v74, v74, v76
	v_mul_f32_e32 v76, v161, v101
	v_fma_f32 v77, v158, v98, -v77
	v_fmac_f32_e32 v206, v149, v88
	v_dual_mul_f32 v214, v164, v105 :: v_dual_mul_f32 v215, v166, v107
	v_add_f32_e32 v74, v74, v75
	v_mul_f32_e32 v75, v163, v103
	v_fma_f32 v76, v160, v100, -v76
	v_dual_fmac_f32 v227, v191, v130 :: v_dual_add_f32 v72, v72, v205
	s_delay_alu instid0(VALU_DEP_4) | instskip(SKIP_2) | instid1(VALU_DEP_4)
	v_dual_fmac_f32 v215, v167, v106 :: v_dual_add_f32 v74, v74, v77
	v_mul_f32_e32 v77, v165, v105
	v_fma_f32 v75, v162, v102, -v75
	v_add_f32_e32 v72, v72, v206
	v_fmac_f32_e32 v208, v153, v92
	v_add_f32_e32 v74, v74, v76
	v_mul_f32_e32 v76, v167, v107
	v_fma_f32 v77, v164, v104, -v77
	v_dual_mul_f32 v218, v172, v113 :: v_dual_mul_f32 v219, v174, v115
	s_delay_alu instid0(VALU_DEP_4) | instskip(NEXT) | instid1(VALU_DEP_4)
	v_dual_add_f32 v74, v74, v75 :: v_dual_mul_f32 v75, v169, v109
	v_fma_f32 v76, v166, v106, -v76
	s_delay_alu instid0(VALU_DEP_3) | instskip(NEXT) | instid1(VALU_DEP_3)
	v_dual_add_f32 v72, v72, v207 :: v_dual_fmac_f32 v219, v175, v114
	v_dual_add_f32 v74, v74, v77 :: v_dual_mul_f32 v77, v171, v111
	s_delay_alu instid0(VALU_DEP_4) | instskip(NEXT) | instid1(VALU_DEP_3)
	v_fma_f32 v75, v168, v108, -v75
	v_add_f32_e32 v72, v72, v208
	v_dual_mul_f32 v220, v176, v117 :: v_dual_mul_f32 v221, v178, v119
	s_delay_alu instid0(VALU_DEP_4) | instskip(SKIP_3) | instid1(VALU_DEP_4)
	v_add_f32_e32 v74, v74, v76
	v_mul_f32_e32 v76, v173, v113
	v_fma_f32 v77, v170, v110, -v77
	v_dual_mul_f32 v222, v180, v121 :: v_dual_mul_f32 v223, v182, v123
	v_add_f32_e32 v74, v74, v75
	v_mul_f32_e32 v75, v175, v115
	v_fma_f32 v76, v172, v112, -v76
	v_dual_fmac_f32 v210, v157, v96 :: v_dual_fmac_f32 v221, v179, v118
	s_delay_alu instid0(VALU_DEP_4)
	v_add_f32_e32 v74, v74, v77
	v_mul_f32_e32 v77, v177, v117
	v_fma_f32 v75, v174, v114, -v75
	v_dual_fmac_f32 v223, v183, v122 :: v_dual_mul_f32 v224, v184, v125
	v_mul_f32_e32 v225, v186, v127
	v_add_f32_e32 v74, v74, v76
	v_mul_f32_e32 v76, v179, v119
	v_fma_f32 v77, v176, v116, -v77
	s_delay_alu instid0(VALU_DEP_4) | instskip(NEXT) | instid1(VALU_DEP_4)
	v_dual_fmac_f32 v212, v161, v100 :: v_dual_fmac_f32 v225, v187, v126
	v_dual_add_f32 v74, v74, v75 :: v_dual_mul_f32 v75, v181, v121
	s_delay_alu instid0(VALU_DEP_4) | instskip(SKIP_2) | instid1(VALU_DEP_4)
	v_fma_f32 v76, v178, v118, -v76
	v_add_f32_e32 v72, v72, v209
	v_fmac_f32_e32 v214, v165, v104
	v_dual_add_f32 v74, v74, v77 :: v_dual_mul_f32 v77, v183, v123
	v_fma_f32 v75, v180, v120, -v75
	s_delay_alu instid0(VALU_DEP_4) | instskip(SKIP_1) | instid1(VALU_DEP_4)
	v_add_f32_e32 v72, v72, v210
	v_fmac_f32_e32 v216, v169, v108
	v_add_f32_e32 v74, v74, v76
	v_mul_f32_e32 v76, v185, v125
	v_fma_f32 v77, v182, v122, -v77
	v_fmac_f32_e32 v218, v173, v112
	v_fmac_f32_e32 v220, v177, v116
	v_add_f32_e32 v74, v74, v75
	v_mul_f32_e32 v75, v187, v127
	v_fma_f32 v76, v184, v124, -v76
	v_fmac_f32_e32 v222, v181, v120
	v_fmac_f32_e32 v224, v185, v124
	v_add_f32_e32 v74, v74, v77
	v_fma_f32 v75, v186, v126, -v75
	v_fmac_f32_e32 v229, v199, v194
	v_mul_f32_e32 v77, v189, v129
	v_fmac_f32_e32 v226, v189, v128
	v_add_f32_e32 v74, v74, v76
	v_mul_f32_e32 v76, v191, v131
	v_fmac_f32_e32 v228, v193, v132
	v_fma_f32 v77, v188, v128, -v77
	s_delay_alu instid0(VALU_DEP_4) | instskip(SKIP_2) | instid1(VALU_DEP_3)
	v_dual_add_f32 v74, v74, v75 :: v_dual_mul_f32 v75, v193, v133
	v_add_f32_e32 v72, v72, v211
	v_fma_f32 v76, v190, v130, -v76
	v_dual_add_f32 v74, v74, v77 :: v_dual_mul_f32 v77, v199, v195
	s_delay_alu instid0(VALU_DEP_3) | instskip(SKIP_1) | instid1(VALU_DEP_3)
	v_add_f32_e32 v72, v72, v212
	v_fma_f32 v75, v192, v132, -v75
	v_add_f32_e32 v74, v74, v76
	s_delay_alu instid0(VALU_DEP_4) | instskip(NEXT) | instid1(VALU_DEP_4)
	v_fma_f32 v76, v198, v194, -v77
	v_add_f32_e32 v72, v72, v213
	s_delay_alu instid0(VALU_DEP_3) | instskip(NEXT) | instid1(VALU_DEP_2)
	v_add_f32_e32 v74, v74, v75
	v_add_f32_e32 v72, v72, v214
	s_delay_alu instid0(VALU_DEP_2) | instskip(NEXT) | instid1(VALU_DEP_2)
	v_add_f32_e32 v74, v74, v76
	v_add_f32_e32 v72, v72, v215
	s_wait_loadcnt 0x0
	s_delay_alu instid0(VALU_DEP_2) | instskip(NEXT) | instid1(VALU_DEP_2)
	v_sub_f32_e32 v74, v196, v74
	v_add_f32_e32 v72, v72, v216
	s_delay_alu instid0(VALU_DEP_1) | instskip(NEXT) | instid1(VALU_DEP_1)
	v_add_f32_e32 v72, v72, v217
	v_add_f32_e32 v72, v72, v218
	s_delay_alu instid0(VALU_DEP_1) | instskip(NEXT) | instid1(VALU_DEP_1)
	v_add_f32_e32 v72, v72, v219
	;; [unrolled: 3-line block ×7, first 2 shown]
	v_sub_f32_e32 v75, v197, v72
	scratch_store_b64 off, v[74:75], off offset:24
	v_cmpx_lt_u32_e32 2, v0
	s_cbranch_execz .LBB98_219
; %bb.218:
	scratch_load_b64 v[74:75], off, off offset:16
	v_mov_b32_e32 v72, v71
	scratch_store_b64 off, v[71:72], off offset:16
	s_wait_loadcnt 0x0
	ds_store_b64 v73, v[74:75]
.LBB98_219:
	s_wait_alu 0xfffe
	s_or_b32 exec_lo, exec_lo, s0
	s_wait_storecnt_dscnt 0x0
	s_barrier_signal -1
	s_barrier_wait -1
	global_inv scope:SCOPE_SE
	s_clause 0x10
	scratch_load_b128 v[74:77], off, off offset:24
	scratch_load_b128 v[78:81], off, off offset:40
	;; [unrolled: 1-line block ×16, first 2 shown]
	scratch_load_b64 v[202:203], off, off offset:16
	ds_load_2addr_b64 v[138:141], v71 offset0:39 offset1:40
	ds_load_2addr_b64 v[142:145], v71 offset0:41 offset1:42
	;; [unrolled: 1-line block ×16, first 2 shown]
	s_mov_b32 s0, exec_lo
	s_wait_loadcnt_dscnt 0x100f
	v_dual_mul_f32 v71, v138, v75 :: v_dual_mul_f32 v72, v140, v77
	v_mul_f32_e32 v75, v139, v75
	s_wait_loadcnt_dscnt 0xf0e
	v_dual_mul_f32 v77, v141, v77 :: v_dual_mul_f32 v204, v142, v79
	s_delay_alu instid0(VALU_DEP_3) | instskip(NEXT) | instid1(VALU_DEP_3)
	v_dual_mul_f32 v205, v144, v81 :: v_dual_fmac_f32 v72, v141, v76
	v_fma_f32 v75, v138, v74, -v75
	v_fmac_f32_e32 v71, v139, v74
	v_mul_f32_e32 v74, v143, v79
	v_fma_f32 v76, v140, v76, -v77
	v_mul_f32_e32 v77, v145, v81
	v_dual_add_f32 v75, 0, v75 :: v_dual_fmac_f32 v204, v143, v78
	s_delay_alu instid0(VALU_DEP_4) | instskip(SKIP_2) | instid1(VALU_DEP_3)
	v_fma_f32 v74, v142, v78, -v74
	s_wait_loadcnt_dscnt 0xe0d
	v_dual_mul_f32 v206, v146, v83 :: v_dual_mul_f32 v207, v148, v85
	v_add_f32_e32 v75, v75, v76
	v_fmac_f32_e32 v205, v145, v80
	v_fma_f32 v76, v144, v80, -v77
	s_wait_loadcnt_dscnt 0xd0c
	v_dual_mul_f32 v208, v150, v87 :: v_dual_mul_f32 v209, v152, v89
	v_dual_add_f32 v74, v75, v74 :: v_dual_mul_f32 v75, v149, v85
	v_fmac_f32_e32 v206, v147, v82
	s_wait_loadcnt_dscnt 0xc0b
	v_dual_mul_f32 v210, v154, v91 :: v_dual_mul_f32 v211, v156, v93
	s_delay_alu instid0(VALU_DEP_3) | instskip(SKIP_3) | instid1(VALU_DEP_4)
	v_dual_add_f32 v74, v74, v76 :: v_dual_add_f32 v71, 0, v71
	v_mul_f32_e32 v76, v151, v87
	v_fma_f32 v75, v148, v84, -v75
	v_dual_fmac_f32 v207, v149, v84 :: v_dual_fmac_f32 v208, v151, v86
	v_add_f32_e32 v71, v71, v72
	v_mul_f32_e32 v72, v147, v83
	v_fma_f32 v76, v150, v86, -v76
	v_dual_fmac_f32 v209, v153, v88 :: v_dual_fmac_f32 v210, v155, v90
	s_wait_loadcnt_dscnt 0xb0a
	v_dual_mul_f32 v212, v158, v95 :: v_dual_mul_f32 v213, v160, v97
	v_fma_f32 v72, v146, v82, -v72
	s_wait_loadcnt_dscnt 0xa09
	v_dual_mul_f32 v214, v162, v99 :: v_dual_mul_f32 v215, v164, v101
	s_wait_loadcnt_dscnt 0x908
	v_dual_mul_f32 v216, v166, v103 :: v_dual_mul_f32 v217, v168, v105
	v_add_f32_e32 v72, v74, v72
	v_mul_f32_e32 v74, v153, v89
	v_dual_fmac_f32 v214, v163, v98 :: v_dual_fmac_f32 v215, v165, v100
	s_delay_alu instid0(VALU_DEP_4) | instskip(NEXT) | instid1(VALU_DEP_4)
	v_dual_fmac_f32 v216, v167, v102 :: v_dual_fmac_f32 v217, v169, v104
	v_dual_add_f32 v72, v72, v75 :: v_dual_add_f32 v71, v71, v204
	v_mul_f32_e32 v75, v155, v91
	v_fma_f32 v74, v152, v88, -v74
	v_fmac_f32_e32 v211, v157, v92
	s_delay_alu instid0(VALU_DEP_4)
	v_add_f32_e32 v72, v72, v76
	v_mul_f32_e32 v76, v157, v93
	v_add_f32_e32 v71, v71, v205
	v_fma_f32 v75, v154, v90, -v75
	v_fmac_f32_e32 v212, v159, v94
	v_add_f32_e32 v72, v72, v74
	v_mul_f32_e32 v74, v159, v95
	v_add_f32_e32 v71, v71, v206
	v_fma_f32 v76, v156, v92, -v76
	s_delay_alu instid0(VALU_DEP_4) | instskip(SKIP_1) | instid1(VALU_DEP_4)
	v_dual_fmac_f32 v213, v161, v96 :: v_dual_add_f32 v72, v72, v75
	v_mul_f32_e32 v75, v161, v97
	v_add_f32_e32 v71, v71, v207
	v_fma_f32 v74, v158, v94, -v74
	s_wait_loadcnt_dscnt 0x807
	v_dual_mul_f32 v218, v170, v107 :: v_dual_mul_f32 v219, v172, v109
	v_add_f32_e32 v72, v72, v76
	v_add_f32_e32 v71, v71, v208
	v_fma_f32 v75, v160, v96, -v75
	v_mul_f32_e32 v76, v163, v99
	s_wait_loadcnt_dscnt 0x706
	v_dual_mul_f32 v220, v174, v111 :: v_dual_mul_f32 v221, v176, v113
	v_dual_add_f32 v72, v72, v74 :: v_dual_add_f32 v71, v71, v209
	v_mul_f32_e32 v74, v165, v101
	v_fma_f32 v76, v162, v98, -v76
	v_dual_fmac_f32 v218, v171, v106 :: v_dual_fmac_f32 v219, v173, v108
	s_delay_alu instid0(VALU_DEP_4)
	v_dual_add_f32 v72, v72, v75 :: v_dual_add_f32 v71, v71, v210
	v_mul_f32_e32 v75, v167, v103
	v_fma_f32 v74, v164, v100, -v74
	s_wait_loadcnt_dscnt 0x605
	v_dual_mul_f32 v222, v178, v115 :: v_dual_mul_f32 v223, v180, v117
	v_dual_add_f32 v71, v71, v211 :: v_dual_add_f32 v72, v72, v76
	v_mul_f32_e32 v76, v169, v105
	v_fma_f32 v75, v166, v102, -v75
	s_delay_alu instid0(VALU_DEP_4) | instskip(NEXT) | instid1(VALU_DEP_4)
	v_dual_fmac_f32 v220, v175, v110 :: v_dual_fmac_f32 v223, v181, v116
	v_dual_add_f32 v71, v71, v212 :: v_dual_add_f32 v72, v72, v74
	v_mul_f32_e32 v74, v171, v107
	v_fma_f32 v76, v168, v104, -v76
	v_fmac_f32_e32 v221, v177, v112
	s_delay_alu instid0(VALU_DEP_4)
	v_dual_add_f32 v71, v71, v213 :: v_dual_add_f32 v72, v72, v75
	v_mul_f32_e32 v75, v173, v109
	v_fma_f32 v74, v170, v106, -v74
	s_wait_loadcnt_dscnt 0x504
	v_dual_mul_f32 v224, v182, v119 :: v_dual_mul_f32 v225, v184, v121
	v_dual_add_f32 v71, v71, v214 :: v_dual_add_f32 v72, v72, v76
	v_mul_f32_e32 v76, v175, v111
	v_fma_f32 v75, v172, v108, -v75
	v_fmac_f32_e32 v222, v179, v114
	s_delay_alu instid0(VALU_DEP_4)
	v_dual_add_f32 v71, v71, v215 :: v_dual_add_f32 v72, v72, v74
	v_mul_f32_e32 v74, v177, v113
	v_fma_f32 v76, v174, v110, -v76
	s_wait_loadcnt_dscnt 0x403
	v_dual_mul_f32 v226, v186, v123 :: v_dual_mul_f32 v227, v188, v125
	;; [unrolled: 10-line block ×3, first 2 shown]
	v_add_f32_e32 v71, v71, v218
	v_add_f32_e32 v72, v72, v74
	v_mul_f32_e32 v74, v183, v119
	v_fma_f32 v76, v180, v116, -v76
	v_dual_fmac_f32 v224, v183, v118 :: v_dual_fmac_f32 v227, v189, v124
	v_add_f32_e32 v71, v71, v219
	v_dual_add_f32 v72, v72, v75 :: v_dual_mul_f32 v75, v185, v121
	v_fma_f32 v74, v182, v118, -v74
	v_fmac_f32_e32 v229, v193, v128
	s_delay_alu instid0(VALU_DEP_4) | instskip(NEXT) | instid1(VALU_DEP_4)
	v_add_f32_e32 v71, v71, v220
	v_add_f32_e32 v72, v72, v76
	v_mul_f32_e32 v76, v187, v123
	v_fma_f32 v75, v184, v120, -v75
	s_wait_loadcnt_dscnt 0x201
	v_dual_mul_f32 v230, v194, v131 :: v_dual_mul_f32 v231, v196, v133
	v_dual_add_f32 v71, v71, v221 :: v_dual_add_f32 v72, v72, v74
	v_mul_f32_e32 v74, v189, v125
	v_fma_f32 v76, v186, v122, -v76
	v_fmac_f32_e32 v226, v187, v122
	s_delay_alu instid0(VALU_DEP_4)
	v_add_f32_e32 v71, v71, v222
	v_dual_fmac_f32 v228, v191, v126 :: v_dual_fmac_f32 v231, v197, v132
	v_fma_f32 v74, v188, v124, -v74
	s_wait_loadcnt_dscnt 0x100
	v_dual_mul_f32 v232, v198, v135 :: v_dual_mul_f32 v233, v200, v137
	v_add_f32_e32 v71, v71, v223
	s_delay_alu instid0(VALU_DEP_2) | instskip(NEXT) | instid1(VALU_DEP_2)
	v_dual_fmac_f32 v232, v199, v134 :: v_dual_fmac_f32 v233, v201, v136
	v_dual_add_f32 v71, v71, v224 :: v_dual_add_f32 v72, v72, v75
	s_delay_alu instid0(VALU_DEP_1) | instskip(NEXT) | instid1(VALU_DEP_2)
	v_add_f32_e32 v71, v71, v225
	v_dual_mul_f32 v75, v191, v127 :: v_dual_add_f32 v72, v72, v76
	v_mul_f32_e32 v76, v193, v129
	s_delay_alu instid0(VALU_DEP_2) | instskip(NEXT) | instid1(VALU_DEP_3)
	v_fma_f32 v75, v190, v126, -v75
	v_add_f32_e32 v72, v72, v74
	v_mul_f32_e32 v74, v195, v131
	s_delay_alu instid0(VALU_DEP_4) | instskip(NEXT) | instid1(VALU_DEP_3)
	v_fma_f32 v76, v192, v128, -v76
	v_dual_add_f32 v72, v72, v75 :: v_dual_mul_f32 v75, v197, v133
	v_add_f32_e32 v71, v71, v226
	s_delay_alu instid0(VALU_DEP_4) | instskip(NEXT) | instid1(VALU_DEP_3)
	v_fma_f32 v74, v194, v130, -v74
	v_fma_f32 v75, v196, v132, -v75
	s_delay_alu instid0(VALU_DEP_3) | instskip(NEXT) | instid1(VALU_DEP_1)
	v_add_f32_e32 v71, v71, v227
	v_add_f32_e32 v71, v71, v228
	;; [unrolled: 1-line block ×3, first 2 shown]
	v_mul_f32_e32 v76, v199, v135
	s_delay_alu instid0(VALU_DEP_2) | instskip(SKIP_1) | instid1(VALU_DEP_3)
	v_dual_add_f32 v71, v71, v229 :: v_dual_add_f32 v72, v72, v74
	v_mul_f32_e32 v74, v201, v137
	v_fma_f32 v76, v198, v134, -v76
	s_delay_alu instid0(VALU_DEP_3) | instskip(NEXT) | instid1(VALU_DEP_3)
	v_add_f32_e32 v72, v72, v75
	v_fma_f32 v74, v200, v136, -v74
	s_delay_alu instid0(VALU_DEP_2) | instskip(NEXT) | instid1(VALU_DEP_1)
	v_add_f32_e32 v72, v72, v76
	v_add_f32_e32 v72, v72, v74
	v_fmac_f32_e32 v230, v195, v130
	s_delay_alu instid0(VALU_DEP_1) | instskip(NEXT) | instid1(VALU_DEP_1)
	v_add_f32_e32 v71, v71, v230
	v_add_f32_e32 v71, v71, v231
	s_delay_alu instid0(VALU_DEP_1) | instskip(SKIP_1) | instid1(VALU_DEP_1)
	v_add_f32_e32 v71, v71, v232
	s_wait_loadcnt 0x0
	v_dual_add_f32 v74, v71, v233 :: v_dual_sub_f32 v71, v202, v72
	s_delay_alu instid0(VALU_DEP_1)
	v_sub_f32_e32 v72, v203, v74
	scratch_store_b64 off, v[71:72], off offset:16
	v_cmpx_lt_u32_e32 1, v0
	s_cbranch_execz .LBB98_221
; %bb.220:
	scratch_load_b64 v[71:72], off, off offset:8
	v_mov_b32_e32 v74, 0
	s_delay_alu instid0(VALU_DEP_1)
	v_mov_b32_e32 v75, v74
	scratch_store_b64 off, v[74:75], off offset:8
	s_wait_loadcnt 0x0
	ds_store_b64 v73, v[71:72]
.LBB98_221:
	s_wait_alu 0xfffe
	s_or_b32 exec_lo, exec_lo, s0
	s_wait_storecnt_dscnt 0x0
	s_barrier_signal -1
	s_barrier_wait -1
	global_inv scope:SCOPE_SE
	s_clause 0x11
	scratch_load_b128 v[74:77], off, off offset:16
	scratch_load_b128 v[78:81], off, off offset:32
	;; [unrolled: 1-line block ×16, first 2 shown]
	scratch_load_b64 v[202:203], off, off offset:272
	scratch_load_b64 v[204:205], off, off offset:8
	v_mov_b32_e32 v71, 0
	ds_load_b128 v[138:141], v71 offset:304
	ds_load_b128 v[142:145], v71 offset:320
	;; [unrolled: 1-line block ×16, first 2 shown]
	ds_load_b64 v[206:207], v71 offset:560
	s_mov_b32 s0, exec_lo
	s_wait_loadcnt_dscnt 0x1110
	v_mul_f32_e32 v72, v138, v75
	s_wait_loadcnt_dscnt 0x100f
	v_dual_mul_f32 v208, v140, v77 :: v_dual_mul_f32 v209, v142, v79
	v_mul_f32_e32 v77, v141, v77
	s_wait_loadcnt_dscnt 0xf0e
	v_dual_mul_f32 v210, v144, v81 :: v_dual_mul_f32 v211, v146, v83
	s_wait_loadcnt_dscnt 0xd0c
	v_dual_mul_f32 v214, v152, v89 :: v_dual_mul_f32 v215, v154, v91
	;; [unrolled: 2-line block ×3, first 2 shown]
	v_dual_mul_f32 v75, v139, v75 :: v_dual_mul_f32 v218, v160, v97
	s_wait_loadcnt_dscnt 0xb0a
	v_dual_mul_f32 v219, v162, v99 :: v_dual_fmac_f32 v72, v139, v74
	s_wait_loadcnt_dscnt 0x302
	v_mul_f32_e32 v236, v196, v133
	v_fma_f32 v75, v138, v74, -v75
	s_wait_loadcnt_dscnt 0x100
	v_mul_f32_e32 v239, v206, v203
	v_mul_f32_e32 v74, v143, v79
	v_fmac_f32_e32 v208, v141, v76
	v_fma_f32 v76, v140, v76, -v77
	v_dual_add_f32 v75, 0, v75 :: v_dual_add_f32 v72, 0, v72
	v_mul_f32_e32 v77, v145, v81
	v_fmac_f32_e32 v209, v143, v78
	v_fma_f32 v74, v142, v78, -v74
	v_dual_fmac_f32 v210, v145, v80 :: v_dual_fmac_f32 v211, v147, v82
	v_add_f32_e32 v72, v72, v208
	v_add_f32_e32 v75, v75, v76
	v_mul_f32_e32 v76, v147, v83
	v_fma_f32 v77, v144, v80, -v77
	v_dual_mul_f32 v220, v164, v101 :: v_dual_mul_f32 v221, v166, v103
	v_add_f32_e32 v72, v72, v209
	v_dual_add_f32 v74, v75, v74 :: v_dual_mul_f32 v75, v149, v85
	v_fma_f32 v76, v146, v82, -v76
	v_dual_mul_f32 v212, v148, v85 :: v_dual_mul_f32 v213, v150, v87
	s_delay_alu instid0(VALU_DEP_3) | instskip(NEXT) | instid1(VALU_DEP_4)
	v_dual_add_f32 v74, v74, v77 :: v_dual_mul_f32 v77, v151, v87
	v_fma_f32 v75, v148, v84, -v75
	v_fmac_f32_e32 v215, v155, v90
	v_add_f32_e32 v72, v72, v210
	s_delay_alu instid0(VALU_DEP_4) | instskip(SKIP_2) | instid1(VALU_DEP_3)
	v_add_f32_e32 v74, v74, v76
	v_dual_mul_f32 v76, v153, v89 :: v_dual_fmac_f32 v217, v159, v94
	v_fma_f32 v77, v150, v86, -v77
	v_dual_fmac_f32 v219, v163, v98 :: v_dual_add_f32 v74, v74, v75
	v_mul_f32_e32 v75, v155, v91
	s_delay_alu instid0(VALU_DEP_4)
	v_fma_f32 v76, v152, v88, -v76
	v_dual_fmac_f32 v221, v167, v102 :: v_dual_mul_f32 v224, v172, v109
	v_mul_f32_e32 v225, v174, v111
	v_add_f32_e32 v74, v74, v77
	v_mul_f32_e32 v77, v157, v93
	v_fma_f32 v75, v154, v90, -v75
	v_dual_fmac_f32 v212, v149, v84 :: v_dual_fmac_f32 v213, v151, v86
	s_delay_alu instid0(VALU_DEP_4) | instskip(SKIP_3) | instid1(VALU_DEP_4)
	v_add_f32_e32 v74, v74, v76
	v_mul_f32_e32 v76, v159, v95
	v_fma_f32 v77, v156, v92, -v77
	v_dual_add_f32 v72, v72, v211 :: v_dual_fmac_f32 v225, v175, v110
	v_dual_add_f32 v74, v74, v75 :: v_dual_mul_f32 v75, v161, v97
	s_delay_alu instid0(VALU_DEP_4) | instskip(NEXT) | instid1(VALU_DEP_3)
	v_fma_f32 v76, v158, v94, -v76
	v_add_f32_e32 v72, v72, v212
	v_dual_mul_f32 v234, v192, v129 :: v_dual_mul_f32 v235, v194, v131
	s_delay_alu instid0(VALU_DEP_4) | instskip(SKIP_3) | instid1(VALU_DEP_4)
	v_dual_add_f32 v74, v74, v77 :: v_dual_mul_f32 v77, v163, v99
	v_fma_f32 v75, v160, v96, -v75
	v_fmac_f32_e32 v214, v153, v88
	v_dual_mul_f32 v222, v168, v105 :: v_dual_mul_f32 v223, v170, v107
	v_add_f32_e32 v74, v74, v76
	v_mul_f32_e32 v76, v165, v101
	v_fma_f32 v77, v162, v98, -v77
	v_dual_fmac_f32 v235, v195, v130 :: v_dual_add_f32 v72, v72, v213
	s_delay_alu instid0(VALU_DEP_4) | instskip(SKIP_2) | instid1(VALU_DEP_4)
	v_dual_fmac_f32 v223, v171, v106 :: v_dual_add_f32 v74, v74, v75
	v_mul_f32_e32 v75, v167, v103
	v_fma_f32 v76, v164, v100, -v76
	v_add_f32_e32 v72, v72, v214
	v_fmac_f32_e32 v216, v157, v92
	v_add_f32_e32 v74, v74, v77
	v_mul_f32_e32 v77, v169, v105
	v_fma_f32 v75, v166, v102, -v75
	v_dual_mul_f32 v226, v176, v113 :: v_dual_mul_f32 v227, v178, v115
	s_delay_alu instid0(VALU_DEP_4) | instskip(SKIP_3) | instid1(VALU_DEP_4)
	v_add_f32_e32 v74, v74, v76
	v_mul_f32_e32 v76, v171, v107
	v_fma_f32 v77, v168, v104, -v77
	v_dual_mul_f32 v228, v180, v117 :: v_dual_mul_f32 v229, v182, v119
	v_dual_add_f32 v74, v74, v75 :: v_dual_mul_f32 v75, v173, v109
	s_delay_alu instid0(VALU_DEP_4) | instskip(SKIP_1) | instid1(VALU_DEP_3)
	v_fma_f32 v76, v170, v106, -v76
	v_dual_add_f32 v72, v72, v215 :: v_dual_fmac_f32 v227, v179, v114
	v_dual_add_f32 v74, v74, v77 :: v_dual_mul_f32 v77, v175, v111
	s_delay_alu instid0(VALU_DEP_4) | instskip(NEXT) | instid1(VALU_DEP_3)
	v_fma_f32 v75, v172, v108, -v75
	v_add_f32_e32 v72, v72, v216
	v_dual_mul_f32 v230, v184, v121 :: v_dual_mul_f32 v231, v186, v123
	s_delay_alu instid0(VALU_DEP_4) | instskip(SKIP_3) | instid1(VALU_DEP_4)
	v_add_f32_e32 v74, v74, v76
	v_mul_f32_e32 v76, v177, v113
	v_fma_f32 v77, v174, v110, -v77
	v_dual_fmac_f32 v218, v161, v96 :: v_dual_fmac_f32 v229, v183, v118
	v_add_f32_e32 v74, v74, v75
	v_mul_f32_e32 v75, v179, v115
	v_fma_f32 v76, v176, v112, -v76
	v_dual_mul_f32 v232, v188, v125 :: v_dual_mul_f32 v233, v190, v127
	s_delay_alu instid0(VALU_DEP_4)
	v_add_f32_e32 v74, v74, v77
	v_mul_f32_e32 v77, v181, v117
	v_fma_f32 v75, v178, v114, -v75
	v_fmac_f32_e32 v231, v187, v122
	v_dual_mul_f32 v237, v198, v135 :: v_dual_mul_f32 v238, v200, v137
	v_add_f32_e32 v74, v74, v76
	v_mul_f32_e32 v76, v183, v119
	v_fma_f32 v77, v180, v116, -v77
	v_dual_fmac_f32 v220, v165, v100 :: v_dual_fmac_f32 v233, v191, v126
	s_delay_alu instid0(VALU_DEP_4) | instskip(NEXT) | instid1(VALU_DEP_4)
	v_dual_add_f32 v74, v74, v75 :: v_dual_mul_f32 v75, v185, v121
	v_fma_f32 v76, v182, v118, -v76
	v_add_f32_e32 v72, v72, v217
	v_dual_fmac_f32 v222, v169, v104 :: v_dual_fmac_f32 v239, v207, v202
	s_delay_alu instid0(VALU_DEP_4) | instskip(SKIP_1) | instid1(VALU_DEP_4)
	v_dual_add_f32 v74, v74, v77 :: v_dual_mul_f32 v77, v187, v123
	v_fma_f32 v75, v184, v120, -v75
	v_add_f32_e32 v72, v72, v218
	v_fmac_f32_e32 v224, v173, v108
	s_delay_alu instid0(VALU_DEP_4)
	v_add_f32_e32 v74, v74, v76
	v_mul_f32_e32 v76, v189, v125
	v_fma_f32 v77, v186, v122, -v77
	v_fmac_f32_e32 v226, v177, v112
	v_fmac_f32_e32 v228, v181, v116
	v_add_f32_e32 v74, v74, v75
	v_mul_f32_e32 v75, v191, v127
	v_fma_f32 v76, v188, v124, -v76
	v_dual_fmac_f32 v230, v185, v120 :: v_dual_fmac_f32 v237, v199, v134
	s_delay_alu instid0(VALU_DEP_4)
	v_add_f32_e32 v74, v74, v77
	v_mul_f32_e32 v77, v193, v129
	v_fma_f32 v75, v190, v126, -v75
	v_fmac_f32_e32 v232, v189, v124
	v_fmac_f32_e32 v234, v193, v128
	v_add_f32_e32 v74, v74, v76
	v_mul_f32_e32 v76, v195, v131
	v_fma_f32 v77, v192, v128, -v77
	v_fmac_f32_e32 v236, v197, v132
	v_fmac_f32_e32 v238, v201, v136
	v_dual_add_f32 v74, v74, v75 :: v_dual_mul_f32 v75, v197, v133
	v_add_f32_e32 v72, v72, v219
	v_fma_f32 v76, v194, v130, -v76
	s_delay_alu instid0(VALU_DEP_3) | instskip(NEXT) | instid1(VALU_DEP_4)
	v_add_f32_e32 v74, v74, v77
	v_fma_f32 v75, v196, v132, -v75
	s_delay_alu instid0(VALU_DEP_4) | instskip(NEXT) | instid1(VALU_DEP_3)
	v_dual_add_f32 v72, v72, v220 :: v_dual_mul_f32 v77, v199, v135
	v_add_f32_e32 v74, v74, v76
	v_mul_f32_e32 v76, v201, v137
	s_delay_alu instid0(VALU_DEP_3) | instskip(NEXT) | instid1(VALU_DEP_3)
	v_fma_f32 v77, v198, v134, -v77
	v_add_f32_e32 v74, v74, v75
	v_dual_mul_f32 v75, v207, v203 :: v_dual_add_f32 v72, v72, v221
	s_delay_alu instid0(VALU_DEP_4) | instskip(NEXT) | instid1(VALU_DEP_3)
	v_fma_f32 v76, v200, v136, -v76
	v_add_f32_e32 v74, v74, v77
	s_delay_alu instid0(VALU_DEP_3) | instskip(NEXT) | instid1(VALU_DEP_4)
	v_fma_f32 v75, v206, v202, -v75
	v_add_f32_e32 v72, v72, v222
	s_delay_alu instid0(VALU_DEP_3) | instskip(NEXT) | instid1(VALU_DEP_2)
	v_add_f32_e32 v74, v74, v76
	v_add_f32_e32 v72, v72, v223
	s_delay_alu instid0(VALU_DEP_2) | instskip(NEXT) | instid1(VALU_DEP_2)
	v_add_f32_e32 v74, v74, v75
	v_add_f32_e32 v72, v72, v224
	s_wait_loadcnt 0x0
	s_delay_alu instid0(VALU_DEP_2) | instskip(NEXT) | instid1(VALU_DEP_2)
	v_sub_f32_e32 v74, v204, v74
	v_add_f32_e32 v72, v72, v225
	s_delay_alu instid0(VALU_DEP_1) | instskip(NEXT) | instid1(VALU_DEP_1)
	v_add_f32_e32 v72, v72, v226
	v_add_f32_e32 v72, v72, v227
	s_delay_alu instid0(VALU_DEP_1) | instskip(NEXT) | instid1(VALU_DEP_1)
	v_add_f32_e32 v72, v72, v228
	;; [unrolled: 3-line block ×7, first 2 shown]
	v_add_f32_e32 v72, v72, v239
	s_delay_alu instid0(VALU_DEP_1)
	v_sub_f32_e32 v75, v205, v72
	scratch_store_b64 off, v[74:75], off offset:8
	v_cmpx_ne_u32_e32 0, v0
	s_cbranch_execz .LBB98_223
; %bb.222:
	scratch_load_b64 v[74:75], off, off
	v_mov_b32_e32 v72, v71
	scratch_store_b64 off, v[71:72], off
	s_wait_loadcnt 0x0
	ds_store_b64 v73, v[74:75]
.LBB98_223:
	s_wait_alu 0xfffe
	s_or_b32 exec_lo, exec_lo, s0
	s_wait_storecnt_dscnt 0x0
	s_barrier_signal -1
	s_barrier_wait -1
	global_inv scope:SCOPE_SE
	s_clause 0x11
	scratch_load_b128 v[72:75], off, off offset:8
	scratch_load_b128 v[76:79], off, off offset:24
	;; [unrolled: 1-line block ×17, first 2 shown]
	scratch_load_b64 v[208:209], off, off
	ds_load_2addr_b64 v[140:143], v71 offset0:37 offset1:38
	ds_load_2addr_b64 v[144:147], v71 offset0:39 offset1:40
	;; [unrolled: 1-line block ×17, first 2 shown]
	s_and_b32 vcc_lo, exec_lo, s12
	s_wait_loadcnt_dscnt 0x1110
	v_dual_mul_f32 v0, v140, v73 :: v_dual_mul_f32 v71, v142, v75
	s_wait_loadcnt_dscnt 0x100f
	v_dual_mul_f32 v75, v143, v75 :: v_dual_mul_f32 v210, v144, v77
	s_delay_alu instid0(VALU_DEP_2) | instskip(SKIP_2) | instid1(VALU_DEP_4)
	v_dual_mul_f32 v211, v146, v79 :: v_dual_fmac_f32 v0, v141, v72
	v_mul_f32_e32 v73, v141, v73
	v_fmac_f32_e32 v71, v143, v74
	v_fma_f32 v74, v142, v74, -v75
	s_wait_loadcnt_dscnt 0xf0e
	v_dual_mul_f32 v212, v148, v81 :: v_dual_mul_f32 v213, v150, v83
	v_add_f32_e32 v0, 0, v0
	v_fma_f32 v73, v140, v72, -v73
	v_mul_f32_e32 v72, v145, v77
	v_dual_fmac_f32 v210, v145, v76 :: v_dual_fmac_f32 v211, v147, v78
	s_delay_alu instid0(VALU_DEP_3) | instskip(NEXT) | instid1(VALU_DEP_3)
	v_dual_fmac_f32 v212, v149, v80 :: v_dual_add_f32 v73, 0, v73
	v_fma_f32 v72, v144, v76, -v72
	v_dual_add_f32 v0, v0, v71 :: v_dual_mul_f32 v71, v149, v81
	s_wait_loadcnt_dscnt 0xe0d
	v_dual_mul_f32 v214, v152, v85 :: v_dual_mul_f32 v215, v154, v87
	v_add_f32_e32 v73, v73, v74
	s_delay_alu instid0(VALU_DEP_3) | instskip(SKIP_1) | instid1(VALU_DEP_3)
	v_dual_mul_f32 v75, v147, v79 :: v_dual_add_f32 v0, v0, v210
	v_fma_f32 v71, v148, v80, -v71
	v_dual_fmac_f32 v213, v151, v82 :: v_dual_add_f32 v72, v73, v72
	s_delay_alu instid0(VALU_DEP_3) | instskip(SKIP_3) | instid1(VALU_DEP_4)
	v_fma_f32 v74, v146, v78, -v75
	v_mul_f32_e32 v73, v151, v83
	v_add_f32_e32 v0, v0, v211
	v_dual_fmac_f32 v214, v153, v84 :: v_dual_fmac_f32 v215, v155, v86
	v_add_f32_e32 v72, v72, v74
	v_mul_f32_e32 v74, v153, v85
	v_fma_f32 v73, v150, v82, -v73
	s_wait_loadcnt_dscnt 0xd0c
	v_dual_mul_f32 v216, v156, v89 :: v_dual_mul_f32 v217, v158, v91
	v_add_f32_e32 v71, v72, v71
	v_add_f32_e32 v0, v0, v212
	v_mul_f32_e32 v72, v155, v87
	v_fma_f32 v74, v152, v84, -v74
	v_dual_fmac_f32 v216, v157, v88 :: v_dual_fmac_f32 v217, v159, v90
	v_add_f32_e32 v71, v71, v73
	v_add_f32_e32 v0, v0, v213
	v_mul_f32_e32 v73, v157, v89
	v_fma_f32 v72, v154, v86, -v72
	s_wait_loadcnt_dscnt 0xc0b
	v_dual_mul_f32 v218, v160, v93 :: v_dual_mul_f32 v219, v162, v95
	v_add_f32_e32 v71, v71, v74
	v_add_f32_e32 v0, v0, v214
	v_mul_f32_e32 v74, v159, v91
	v_fma_f32 v73, v156, v88, -v73
	s_wait_loadcnt_dscnt 0xb0a
	v_dual_mul_f32 v220, v164, v97 :: v_dual_mul_f32 v221, v166, v99
	v_dual_add_f32 v71, v71, v72 :: v_dual_add_f32 v0, v0, v215
	v_mul_f32_e32 v72, v161, v93
	v_fma_f32 v74, v158, v90, -v74
	v_dual_fmac_f32 v218, v161, v92 :: v_dual_fmac_f32 v219, v163, v94
	s_delay_alu instid0(VALU_DEP_4) | instskip(SKIP_3) | instid1(VALU_DEP_4)
	v_dual_add_f32 v71, v71, v73 :: v_dual_add_f32 v0, v0, v216
	v_mul_f32_e32 v73, v163, v95
	v_fma_f32 v72, v160, v92, -v72
	v_fmac_f32_e32 v221, v167, v98
	v_dual_add_f32 v71, v71, v74 :: v_dual_add_f32 v0, v0, v217
	v_mul_f32_e32 v74, v165, v97
	v_fma_f32 v73, v162, v94, -v73
	s_wait_loadcnt_dscnt 0xa09
	v_dual_mul_f32 v222, v168, v101 :: v_dual_mul_f32 v223, v170, v103
	v_dual_add_f32 v71, v71, v72 :: v_dual_add_f32 v0, v0, v218
	v_mul_f32_e32 v72, v167, v99
	v_fma_f32 v74, v164, v96, -v74
	s_delay_alu instid0(VALU_DEP_4) | instskip(NEXT) | instid1(VALU_DEP_4)
	v_fmac_f32_e32 v223, v171, v102
	v_dual_add_f32 v71, v71, v73 :: v_dual_fmac_f32 v220, v165, v96
	v_mul_f32_e32 v73, v169, v101
	v_fma_f32 v72, v166, v98, -v72
	s_wait_loadcnt_dscnt 0x908
	v_dual_mul_f32 v224, v172, v105 :: v_dual_mul_f32 v225, v174, v107
	v_dual_add_f32 v71, v71, v74 :: v_dual_add_f32 v0, v0, v219
	v_mul_f32_e32 v74, v171, v103
	v_fma_f32 v73, v168, v100, -v73
	s_wait_loadcnt_dscnt 0x807
	v_dual_mul_f32 v226, v176, v109 :: v_dual_mul_f32 v227, v178, v111
	v_add_f32_e32 v71, v71, v72
	v_add_f32_e32 v0, v0, v220
	v_fmac_f32_e32 v222, v169, v100
	v_fma_f32 v74, v170, v102, -v74
	v_dual_fmac_f32 v224, v173, v104 :: v_dual_fmac_f32 v225, v175, v106
	v_add_f32_e32 v71, v71, v73
	v_mul_f32_e32 v72, v173, v105
	v_dual_add_f32 v0, v0, v221 :: v_dual_mul_f32 v73, v175, v107
	v_fmac_f32_e32 v227, v179, v110
	s_delay_alu instid0(VALU_DEP_4) | instskip(NEXT) | instid1(VALU_DEP_4)
	v_add_f32_e32 v71, v71, v74
	v_fma_f32 v72, v172, v104, -v72
	s_delay_alu instid0(VALU_DEP_4)
	v_add_f32_e32 v0, v0, v222
	v_mul_f32_e32 v74, v177, v109
	v_fma_f32 v73, v174, v106, -v73
	s_wait_loadcnt_dscnt 0x706
	v_dual_mul_f32 v228, v180, v113 :: v_dual_mul_f32 v229, v182, v115
	v_dual_add_f32 v71, v71, v72 :: v_dual_add_f32 v0, v0, v223
	v_mul_f32_e32 v72, v179, v111
	v_fma_f32 v74, v176, v108, -v74
	s_delay_alu instid0(VALU_DEP_4) | instskip(NEXT) | instid1(VALU_DEP_4)
	v_dual_fmac_f32 v226, v177, v108 :: v_dual_fmac_f32 v229, v183, v114
	v_dual_add_f32 v71, v71, v73 :: v_dual_add_f32 v0, v0, v224
	v_mul_f32_e32 v73, v181, v113
	v_fma_f32 v72, v178, v110, -v72
	s_wait_loadcnt_dscnt 0x605
	v_dual_mul_f32 v230, v184, v117 :: v_dual_mul_f32 v231, v186, v119
	v_dual_add_f32 v71, v71, v74 :: v_dual_add_f32 v0, v0, v225
	v_mul_f32_e32 v74, v183, v115
	v_fma_f32 v73, v180, v112, -v73
	v_fmac_f32_e32 v228, v181, v112
	s_delay_alu instid0(VALU_DEP_4) | instskip(SKIP_2) | instid1(VALU_DEP_3)
	v_dual_add_f32 v71, v71, v72 :: v_dual_add_f32 v0, v0, v226
	v_dual_mul_f32 v72, v185, v117 :: v_dual_fmac_f32 v231, v187, v118
	v_fma_f32 v74, v182, v114, -v74
	v_dual_add_f32 v71, v71, v73 :: v_dual_add_f32 v0, v0, v227
	v_mul_f32_e32 v73, v187, v119
	s_delay_alu instid0(VALU_DEP_4) | instskip(SKIP_4) | instid1(VALU_DEP_3)
	v_fma_f32 v72, v184, v116, -v72
	s_wait_loadcnt_dscnt 0x504
	v_dual_mul_f32 v232, v188, v121 :: v_dual_mul_f32 v233, v190, v123
	v_dual_add_f32 v71, v71, v74 :: v_dual_mul_f32 v74, v189, v121
	v_fma_f32 v73, v186, v118, -v73
	v_dual_fmac_f32 v230, v185, v116 :: v_dual_fmac_f32 v233, v191, v122
	s_delay_alu instid0(VALU_DEP_3)
	v_add_f32_e32 v71, v71, v72
	v_add_f32_e32 v0, v0, v228
	v_mul_f32_e32 v72, v191, v123
	v_fma_f32 v74, v188, v120, -v74
	s_wait_loadcnt_dscnt 0x403
	v_dual_mul_f32 v234, v192, v125 :: v_dual_mul_f32 v235, v194, v127
	v_add_f32_e32 v71, v71, v73
	v_add_f32_e32 v0, v0, v229
	v_mul_f32_e32 v73, v193, v125
	v_fma_f32 v72, v190, v122, -v72
	v_dual_fmac_f32 v232, v189, v120 :: v_dual_fmac_f32 v235, v195, v126
	v_add_f32_e32 v71, v71, v74
	v_add_f32_e32 v0, v0, v230
	v_mul_f32_e32 v74, v195, v127
	v_fma_f32 v73, v192, v124, -v73
	s_wait_loadcnt_dscnt 0x201
	v_dual_mul_f32 v238, v200, v133 :: v_dual_mul_f32 v239, v202, v135
	v_dual_add_f32 v71, v71, v72 :: v_dual_add_f32 v0, v0, v231
	v_mul_f32_e32 v72, v197, v129
	v_fma_f32 v74, v194, v126, -v74
	v_dual_mul_f32 v236, v196, v129 :: v_dual_mul_f32 v237, v198, v131
	s_delay_alu instid0(VALU_DEP_4) | instskip(SKIP_3) | instid1(VALU_DEP_4)
	v_dual_add_f32 v71, v71, v73 :: v_dual_add_f32 v0, v0, v232
	v_dual_mul_f32 v73, v199, v131 :: v_dual_fmac_f32 v234, v193, v124
	v_fmac_f32_e32 v239, v203, v134
	v_fma_f32 v72, v196, v128, -v72
	v_dual_add_f32 v0, v0, v233 :: v_dual_fmac_f32 v237, v199, v130
	v_add_f32_e32 v71, v71, v74
	v_fma_f32 v73, v198, v130, -v73
	s_wait_loadcnt_dscnt 0x100
	v_dual_mul_f32 v240, v204, v137 :: v_dual_mul_f32 v241, v206, v139
	s_delay_alu instid0(VALU_DEP_3) | instskip(SKIP_1) | instid1(VALU_DEP_3)
	v_dual_add_f32 v0, v0, v234 :: v_dual_add_f32 v71, v71, v72
	v_mul_f32_e32 v72, v203, v135
	v_dual_fmac_f32 v236, v197, v128 :: v_dual_fmac_f32 v241, v207, v138
	s_delay_alu instid0(VALU_DEP_3) | instskip(NEXT) | instid1(VALU_DEP_3)
	v_add_f32_e32 v71, v71, v73
	v_fma_f32 v72, v202, v134, -v72
	v_mul_f32_e32 v74, v201, v133
	v_mul_f32_e32 v73, v205, v137
	s_delay_alu instid0(VALU_DEP_2) | instskip(SKIP_1) | instid1(VALU_DEP_3)
	v_fma_f32 v74, v200, v132, -v74
	v_add_f32_e32 v0, v0, v235
	v_fma_f32 v73, v204, v136, -v73
	s_delay_alu instid0(VALU_DEP_2) | instskip(SKIP_1) | instid1(VALU_DEP_2)
	v_dual_add_f32 v71, v71, v74 :: v_dual_add_f32 v0, v0, v236
	v_mul_f32_e32 v74, v207, v139
	v_add_f32_e32 v71, v71, v72
	v_fmac_f32_e32 v238, v201, v132
	s_delay_alu instid0(VALU_DEP_3) | instskip(NEXT) | instid1(VALU_DEP_3)
	v_fma_f32 v72, v206, v138, -v74
	v_add_f32_e32 v71, v71, v73
	s_delay_alu instid0(VALU_DEP_1) | instskip(NEXT) | instid1(VALU_DEP_1)
	v_dual_add_f32 v0, v0, v237 :: v_dual_add_f32 v71, v71, v72
	v_add_f32_e32 v0, v0, v238
	s_wait_loadcnt 0x0
	s_delay_alu instid0(VALU_DEP_2) | instskip(NEXT) | instid1(VALU_DEP_2)
	v_dual_fmac_f32 v240, v205, v136 :: v_dual_sub_f32 v71, v208, v71
	v_add_f32_e32 v0, v0, v239
	s_delay_alu instid0(VALU_DEP_1) | instskip(NEXT) | instid1(VALU_DEP_1)
	v_add_f32_e32 v0, v0, v240
	v_add_f32_e32 v0, v0, v241
	s_delay_alu instid0(VALU_DEP_1)
	v_sub_f32_e32 v72, v209, v0
	scratch_store_b64 off, v[71:72], off
	s_wait_alu 0xfffe
	s_cbranch_vccz .LBB98_292
; %bb.224:
	v_mov_b32_e32 v0, 0
	global_load_b32 v71, v0, s[2:3] offset:132
	s_wait_loadcnt 0x0
	v_cmp_ne_u32_e32 vcc_lo, 34, v71
	s_cbranch_vccz .LBB98_226
; %bb.225:
	v_lshlrev_b32_e32 v71, 3, v71
	s_delay_alu instid0(VALU_DEP_1)
	v_mov_b32_e32 v75, v71
	scratch_load_b64 v[71:72], v75, off offset:-8
	scratch_load_b64 v[73:74], off, off offset:264
	s_wait_loadcnt 0x1
	scratch_store_b64 off, v[71:72], off offset:264
	s_wait_loadcnt 0x0
	scratch_store_b64 v75, v[73:74], off offset:-8
.LBB98_226:
	global_load_b32 v0, v0, s[2:3] offset:128
	s_wait_loadcnt 0x0
	v_cmp_eq_u32_e32 vcc_lo, 33, v0
	s_cbranch_vccnz .LBB98_228
; %bb.227:
	v_lshlrev_b32_e32 v0, 3, v0
	scratch_load_b64 v[71:72], v0, off offset:-8
	scratch_load_b64 v[73:74], off, off offset:256
	s_wait_loadcnt 0x1
	scratch_store_b64 off, v[71:72], off offset:256
	s_wait_loadcnt 0x0
	scratch_store_b64 v0, v[73:74], off offset:-8
.LBB98_228:
	v_mov_b32_e32 v0, 0
	global_load_b32 v71, v0, s[2:3] offset:124
	s_wait_loadcnt 0x0
	v_cmp_eq_u32_e32 vcc_lo, 32, v71
	s_cbranch_vccnz .LBB98_230
; %bb.229:
	v_lshlrev_b32_e32 v71, 3, v71
	s_delay_alu instid0(VALU_DEP_1)
	v_mov_b32_e32 v75, v71
	scratch_load_b64 v[71:72], v75, off offset:-8
	scratch_load_b64 v[73:74], off, off offset:248
	s_wait_loadcnt 0x1
	scratch_store_b64 off, v[71:72], off offset:248
	s_wait_loadcnt 0x0
	scratch_store_b64 v75, v[73:74], off offset:-8
.LBB98_230:
	global_load_b32 v0, v0, s[2:3] offset:120
	s_wait_loadcnt 0x0
	v_cmp_eq_u32_e32 vcc_lo, 31, v0
	s_cbranch_vccnz .LBB98_232
; %bb.231:
	v_lshlrev_b32_e32 v0, 3, v0
	scratch_load_b64 v[71:72], v0, off offset:-8
	scratch_load_b64 v[73:74], off, off offset:240
	s_wait_loadcnt 0x1
	scratch_store_b64 off, v[71:72], off offset:240
	s_wait_loadcnt 0x0
	scratch_store_b64 v0, v[73:74], off offset:-8
.LBB98_232:
	v_mov_b32_e32 v0, 0
	global_load_b32 v71, v0, s[2:3] offset:116
	s_wait_loadcnt 0x0
	v_cmp_eq_u32_e32 vcc_lo, 30, v71
	s_cbranch_vccnz .LBB98_234
; %bb.233:
	v_lshlrev_b32_e32 v71, 3, v71
	s_delay_alu instid0(VALU_DEP_1)
	v_mov_b32_e32 v75, v71
	scratch_load_b64 v[71:72], v75, off offset:-8
	scratch_load_b64 v[73:74], off, off offset:232
	s_wait_loadcnt 0x1
	scratch_store_b64 off, v[71:72], off offset:232
	s_wait_loadcnt 0x0
	scratch_store_b64 v75, v[73:74], off offset:-8
.LBB98_234:
	;; [unrolled: 29-line block ×16, first 2 shown]
	global_load_b32 v0, v0, s[2:3]
	s_wait_loadcnt 0x0
	v_cmp_eq_u32_e32 vcc_lo, 1, v0
	s_cbranch_vccnz .LBB98_292
; %bb.291:
	v_lshlrev_b32_e32 v0, 3, v0
	scratch_load_b64 v[71:72], v0, off offset:-8
	scratch_load_b64 v[73:74], off, off
	s_wait_loadcnt 0x1
	scratch_store_b64 off, v[71:72], off
	s_wait_loadcnt 0x0
	scratch_store_b64 v0, v[73:74], off offset:-8
.LBB98_292:
	scratch_load_b64 v[71:72], off, off
	s_wait_loadcnt 0x0
	flat_store_b64 v[1:2], v[71:72]
	scratch_load_b64 v[0:1], off, off offset:8
	s_wait_loadcnt 0x0
	flat_store_b64 v[3:4], v[0:1]
	scratch_load_b64 v[0:1], off, off offset:16
	;; [unrolled: 3-line block ×34, first 2 shown]
	s_wait_loadcnt 0x0
	flat_store_b64 v[69:70], v[0:1]
	s_nop 0
	s_sendmsg sendmsg(MSG_DEALLOC_VGPRS)
	s_endpgm
	.section	.rodata,"a",@progbits
	.p2align	6, 0x0
	.amdhsa_kernel _ZN9rocsolver6v33100L18getri_kernel_smallILi35E19rocblas_complex_numIfEPKPS3_EEvT1_iilPiilS8_bb
		.amdhsa_group_segment_fixed_size 568
		.amdhsa_private_segment_fixed_size 288
		.amdhsa_kernarg_size 60
		.amdhsa_user_sgpr_count 2
		.amdhsa_user_sgpr_dispatch_ptr 0
		.amdhsa_user_sgpr_queue_ptr 0
		.amdhsa_user_sgpr_kernarg_segment_ptr 1
		.amdhsa_user_sgpr_dispatch_id 0
		.amdhsa_user_sgpr_private_segment_size 0
		.amdhsa_wavefront_size32 1
		.amdhsa_uses_dynamic_stack 0
		.amdhsa_enable_private_segment 1
		.amdhsa_system_sgpr_workgroup_id_x 1
		.amdhsa_system_sgpr_workgroup_id_y 0
		.amdhsa_system_sgpr_workgroup_id_z 0
		.amdhsa_system_sgpr_workgroup_info 0
		.amdhsa_system_vgpr_workitem_id 0
		.amdhsa_next_free_vgpr 242
		.amdhsa_next_free_sgpr 19
		.amdhsa_reserve_vcc 1
		.amdhsa_float_round_mode_32 0
		.amdhsa_float_round_mode_16_64 0
		.amdhsa_float_denorm_mode_32 3
		.amdhsa_float_denorm_mode_16_64 3
		.amdhsa_fp16_overflow 0
		.amdhsa_workgroup_processor_mode 1
		.amdhsa_memory_ordered 1
		.amdhsa_forward_progress 1
		.amdhsa_inst_pref_size 255
		.amdhsa_round_robin_scheduling 0
		.amdhsa_exception_fp_ieee_invalid_op 0
		.amdhsa_exception_fp_denorm_src 0
		.amdhsa_exception_fp_ieee_div_zero 0
		.amdhsa_exception_fp_ieee_overflow 0
		.amdhsa_exception_fp_ieee_underflow 0
		.amdhsa_exception_fp_ieee_inexact 0
		.amdhsa_exception_int_div_zero 0
	.end_amdhsa_kernel
	.section	.text._ZN9rocsolver6v33100L18getri_kernel_smallILi35E19rocblas_complex_numIfEPKPS3_EEvT1_iilPiilS8_bb,"axG",@progbits,_ZN9rocsolver6v33100L18getri_kernel_smallILi35E19rocblas_complex_numIfEPKPS3_EEvT1_iilPiilS8_bb,comdat
.Lfunc_end98:
	.size	_ZN9rocsolver6v33100L18getri_kernel_smallILi35E19rocblas_complex_numIfEPKPS3_EEvT1_iilPiilS8_bb, .Lfunc_end98-_ZN9rocsolver6v33100L18getri_kernel_smallILi35E19rocblas_complex_numIfEPKPS3_EEvT1_iilPiilS8_bb
                                        ; -- End function
	.set _ZN9rocsolver6v33100L18getri_kernel_smallILi35E19rocblas_complex_numIfEPKPS3_EEvT1_iilPiilS8_bb.num_vgpr, 242
	.set _ZN9rocsolver6v33100L18getri_kernel_smallILi35E19rocblas_complex_numIfEPKPS3_EEvT1_iilPiilS8_bb.num_agpr, 0
	.set _ZN9rocsolver6v33100L18getri_kernel_smallILi35E19rocblas_complex_numIfEPKPS3_EEvT1_iilPiilS8_bb.numbered_sgpr, 19
	.set _ZN9rocsolver6v33100L18getri_kernel_smallILi35E19rocblas_complex_numIfEPKPS3_EEvT1_iilPiilS8_bb.num_named_barrier, 0
	.set _ZN9rocsolver6v33100L18getri_kernel_smallILi35E19rocblas_complex_numIfEPKPS3_EEvT1_iilPiilS8_bb.private_seg_size, 288
	.set _ZN9rocsolver6v33100L18getri_kernel_smallILi35E19rocblas_complex_numIfEPKPS3_EEvT1_iilPiilS8_bb.uses_vcc, 1
	.set _ZN9rocsolver6v33100L18getri_kernel_smallILi35E19rocblas_complex_numIfEPKPS3_EEvT1_iilPiilS8_bb.uses_flat_scratch, 1
	.set _ZN9rocsolver6v33100L18getri_kernel_smallILi35E19rocblas_complex_numIfEPKPS3_EEvT1_iilPiilS8_bb.has_dyn_sized_stack, 0
	.set _ZN9rocsolver6v33100L18getri_kernel_smallILi35E19rocblas_complex_numIfEPKPS3_EEvT1_iilPiilS8_bb.has_recursion, 0
	.set _ZN9rocsolver6v33100L18getri_kernel_smallILi35E19rocblas_complex_numIfEPKPS3_EEvT1_iilPiilS8_bb.has_indirect_call, 0
	.section	.AMDGPU.csdata,"",@progbits
; Kernel info:
; codeLenInByte = 47272
; TotalNumSgprs: 21
; NumVgprs: 242
; ScratchSize: 288
; MemoryBound: 0
; FloatMode: 240
; IeeeMode: 1
; LDSByteSize: 568 bytes/workgroup (compile time only)
; SGPRBlocks: 0
; VGPRBlocks: 30
; NumSGPRsForWavesPerEU: 21
; NumVGPRsForWavesPerEU: 242
; Occupancy: 5
; WaveLimiterHint : 1
; COMPUTE_PGM_RSRC2:SCRATCH_EN: 1
; COMPUTE_PGM_RSRC2:USER_SGPR: 2
; COMPUTE_PGM_RSRC2:TRAP_HANDLER: 0
; COMPUTE_PGM_RSRC2:TGID_X_EN: 1
; COMPUTE_PGM_RSRC2:TGID_Y_EN: 0
; COMPUTE_PGM_RSRC2:TGID_Z_EN: 0
; COMPUTE_PGM_RSRC2:TIDIG_COMP_CNT: 0
	.section	.text._ZN9rocsolver6v33100L18getri_kernel_smallILi36E19rocblas_complex_numIfEPKPS3_EEvT1_iilPiilS8_bb,"axG",@progbits,_ZN9rocsolver6v33100L18getri_kernel_smallILi36E19rocblas_complex_numIfEPKPS3_EEvT1_iilPiilS8_bb,comdat
	.globl	_ZN9rocsolver6v33100L18getri_kernel_smallILi36E19rocblas_complex_numIfEPKPS3_EEvT1_iilPiilS8_bb ; -- Begin function _ZN9rocsolver6v33100L18getri_kernel_smallILi36E19rocblas_complex_numIfEPKPS3_EEvT1_iilPiilS8_bb
	.p2align	8
	.type	_ZN9rocsolver6v33100L18getri_kernel_smallILi36E19rocblas_complex_numIfEPKPS3_EEvT1_iilPiilS8_bb,@function
_ZN9rocsolver6v33100L18getri_kernel_smallILi36E19rocblas_complex_numIfEPKPS3_EEvT1_iilPiilS8_bb: ; @_ZN9rocsolver6v33100L18getri_kernel_smallILi36E19rocblas_complex_numIfEPKPS3_EEvT1_iilPiilS8_bb
; %bb.0:
	s_mov_b32 s2, exec_lo
	v_cmpx_gt_u32_e32 36, v0
	s_cbranch_execz .LBB99_158
; %bb.1:
	s_clause 0x1
	s_load_b32 s13, s[0:1], 0x38
	s_load_b64 s[2:3], s[0:1], 0x0
	s_mov_b32 s8, ttmp9
	s_load_b128 s[4:7], s[0:1], 0x28
	s_wait_kmcnt 0x0
	s_bitcmp1_b32 s13, 8
	s_cselect_b32 s12, -1, 0
	s_ashr_i32 s9, ttmp9, 31
	s_delay_alu instid0(SALU_CYCLE_1) | instskip(NEXT) | instid1(SALU_CYCLE_1)
	s_lshl_b64 s[10:11], s[8:9], 3
	s_add_nc_u64 s[2:3], s[2:3], s[10:11]
	s_load_b64 s[10:11], s[2:3], 0x0
	s_bfe_u32 s2, s13, 0x10008
	s_delay_alu instid0(SALU_CYCLE_1)
	s_cmp_eq_u32 s2, 0
                                        ; implicit-def: $sgpr2_sgpr3
	s_cbranch_scc1 .LBB99_3
; %bb.2:
	s_load_b96 s[16:18], s[0:1], 0x18
	s_mul_u64 s[2:3], s[4:5], s[8:9]
	s_delay_alu instid0(SALU_CYCLE_1)
	s_lshl_b64 s[2:3], s[2:3], 2
	s_wait_kmcnt 0x0
	s_ashr_i32 s5, s18, 31
	s_mov_b32 s4, s18
	s_add_nc_u64 s[2:3], s[16:17], s[2:3]
	s_lshl_b64 s[4:5], s[4:5], 2
	s_delay_alu instid0(SALU_CYCLE_1)
	s_add_nc_u64 s[2:3], s[2:3], s[4:5]
.LBB99_3:
	s_clause 0x1
	s_load_b64 s[4:5], s[0:1], 0x8
	s_load_b32 s13, s[0:1], 0x38
	v_lshlrev_b32_e32 v79, 3, v0
	s_wait_kmcnt 0x0
	s_ashr_i32 s1, s4, 31
	s_mov_b32 s0, s4
	v_add3_u32 v9, s5, s5, v0
	s_lshl_b64 s[0:1], s[0:1], 3
	s_delay_alu instid0(SALU_CYCLE_1)
	s_add_nc_u64 s[0:1], s[10:11], s[0:1]
	s_ashr_i32 s11, s5, 31
	v_add_co_u32 v1, s4, s0, v79
	s_wait_alu 0xf1ff
	v_add_co_ci_u32_e64 v2, null, s1, 0, s4
	s_mov_b32 s10, s5
	v_ashrrev_i32_e32 v10, 31, v9
	s_lshl_b64 s[10:11], s[10:11], 3
	flat_load_b64 v[5:6], v[1:2]
	v_add_co_u32 v3, vcc_lo, v1, s10
	s_delay_alu instid0(VALU_DEP_1) | instskip(SKIP_2) | instid1(VALU_DEP_1)
	v_add_co_ci_u32_e64 v4, null, s11, v2, vcc_lo
	v_add_nc_u32_e32 v12, s5, v9
	s_bitcmp0_b32 s13, 0
	v_ashrrev_i32_e32 v13, 31, v12
	s_wait_loadcnt_dscnt 0x0
	scratch_store_b64 off, v[5:6], off
	flat_load_b64 v[7:8], v[3:4]
	v_lshlrev_b64_e32 v[5:6], 3, v[9:10]
	s_delay_alu instid0(VALU_DEP_1) | instskip(SKIP_1) | instid1(VALU_DEP_2)
	v_add_co_u32 v5, vcc_lo, s0, v5
	s_wait_alu 0xfffd
	v_add_co_ci_u32_e64 v6, null, s1, v6, vcc_lo
	s_wait_loadcnt_dscnt 0x0
	scratch_store_b64 off, v[7:8], off offset:8
	flat_load_b64 v[10:11], v[5:6]
	v_lshlrev_b64_e32 v[7:8], 3, v[12:13]
	s_delay_alu instid0(VALU_DEP_1) | instskip(SKIP_1) | instid1(VALU_DEP_2)
	v_add_co_u32 v7, vcc_lo, s0, v7
	s_wait_alu 0xfffd
	v_add_co_ci_u32_e64 v8, null, s1, v8, vcc_lo
	s_wait_loadcnt_dscnt 0x0
	scratch_store_b64 off, v[10:11], off offset:16
	flat_load_b64 v[13:14], v[7:8]
	v_add_nc_u32_e32 v11, s5, v12
	s_delay_alu instid0(VALU_DEP_1) | instskip(SKIP_1) | instid1(VALU_DEP_2)
	v_ashrrev_i32_e32 v12, 31, v11
	v_add_nc_u32_e32 v15, s5, v11
	v_lshlrev_b64_e32 v[9:10], 3, v[11:12]
	s_delay_alu instid0(VALU_DEP_2) | instskip(SKIP_1) | instid1(VALU_DEP_3)
	v_ashrrev_i32_e32 v16, 31, v15
	v_add_nc_u32_e32 v18, s5, v15
	v_add_co_u32 v9, vcc_lo, s0, v9
	s_wait_alu 0xfffd
	s_delay_alu instid0(VALU_DEP_4) | instskip(SKIP_2) | instid1(VALU_DEP_2)
	v_add_co_ci_u32_e64 v10, null, s1, v10, vcc_lo
	v_lshlrev_b64_e32 v[11:12], 3, v[15:16]
	v_ashrrev_i32_e32 v19, 31, v18
	v_add_co_u32 v11, vcc_lo, s0, v11
	s_wait_alu 0xfffd
	s_delay_alu instid0(VALU_DEP_3)
	v_add_co_ci_u32_e64 v12, null, s1, v12, vcc_lo
	s_wait_loadcnt_dscnt 0x0
	scratch_store_b64 off, v[13:14], off offset:24
	flat_load_b64 v[13:14], v[9:10]
	s_wait_loadcnt_dscnt 0x0
	scratch_store_b64 off, v[13:14], off offset:32
	flat_load_b64 v[16:17], v[11:12]
	v_lshlrev_b64_e32 v[13:14], 3, v[18:19]
	s_delay_alu instid0(VALU_DEP_1) | instskip(SKIP_1) | instid1(VALU_DEP_2)
	v_add_co_u32 v13, vcc_lo, s0, v13
	s_wait_alu 0xfffd
	v_add_co_ci_u32_e64 v14, null, s1, v14, vcc_lo
	s_wait_loadcnt_dscnt 0x0
	scratch_store_b64 off, v[16:17], off offset:40
	flat_load_b64 v[19:20], v[13:14]
	v_add_nc_u32_e32 v17, s5, v18
	s_delay_alu instid0(VALU_DEP_1) | instskip(SKIP_1) | instid1(VALU_DEP_2)
	v_ashrrev_i32_e32 v18, 31, v17
	v_add_nc_u32_e32 v21, s5, v17
	v_lshlrev_b64_e32 v[15:16], 3, v[17:18]
	s_delay_alu instid0(VALU_DEP_2) | instskip(SKIP_1) | instid1(VALU_DEP_3)
	v_ashrrev_i32_e32 v22, 31, v21
	v_add_nc_u32_e32 v24, s5, v21
	v_add_co_u32 v15, vcc_lo, s0, v15
	s_wait_alu 0xfffd
	s_delay_alu instid0(VALU_DEP_4) | instskip(SKIP_2) | instid1(VALU_DEP_2)
	v_add_co_ci_u32_e64 v16, null, s1, v16, vcc_lo
	v_lshlrev_b64_e32 v[17:18], 3, v[21:22]
	v_ashrrev_i32_e32 v25, 31, v24
	v_add_co_u32 v17, vcc_lo, s0, v17
	s_wait_alu 0xfffd
	s_delay_alu instid0(VALU_DEP_3)
	v_add_co_ci_u32_e64 v18, null, s1, v18, vcc_lo
	s_wait_loadcnt_dscnt 0x0
	scratch_store_b64 off, v[19:20], off offset:48
	flat_load_b64 v[19:20], v[15:16]
	;; [unrolled: 32-line block ×10, first 2 shown]
	s_wait_loadcnt_dscnt 0x0
	scratch_store_b64 off, v[67:68], off offset:248
	flat_load_b64 v[70:71], v[65:66]
	v_lshlrev_b64_e32 v[67:68], 3, v[72:73]
	s_delay_alu instid0(VALU_DEP_1) | instskip(SKIP_1) | instid1(VALU_DEP_2)
	v_add_co_u32 v67, vcc_lo, s0, v67
	s_wait_alu 0xfffd
	v_add_co_ci_u32_e64 v68, null, s1, v68, vcc_lo
	s_wait_loadcnt_dscnt 0x0
	scratch_store_b64 off, v[70:71], off offset:256
	flat_load_b64 v[73:74], v[67:68]
	v_add_nc_u32_e32 v71, s5, v72
	s_delay_alu instid0(VALU_DEP_1) | instskip(NEXT) | instid1(VALU_DEP_1)
	v_ashrrev_i32_e32 v72, 31, v71
	v_lshlrev_b64_e32 v[69:70], 3, v[71:72]
	v_add_nc_u32_e32 v71, s5, v71
	s_delay_alu instid0(VALU_DEP_1) | instskip(NEXT) | instid1(VALU_DEP_3)
	v_ashrrev_i32_e32 v72, 31, v71
	v_add_co_u32 v69, vcc_lo, s0, v69
	s_wait_alu 0xfffd
	s_delay_alu instid0(VALU_DEP_4) | instskip(NEXT) | instid1(VALU_DEP_3)
	v_add_co_ci_u32_e64 v70, null, s1, v70, vcc_lo
	v_lshlrev_b64_e32 v[71:72], 3, v[71:72]
	s_delay_alu instid0(VALU_DEP_1) | instskip(SKIP_1) | instid1(VALU_DEP_2)
	v_add_co_u32 v71, vcc_lo, s0, v71
	s_wait_alu 0xfffd
	v_add_co_ci_u32_e64 v72, null, s1, v72, vcc_lo
	s_mov_b32 s1, -1
	s_wait_loadcnt_dscnt 0x0
	scratch_store_b64 off, v[73:74], off offset:264
	flat_load_b64 v[73:74], v[69:70]
	s_wait_loadcnt_dscnt 0x0
	scratch_store_b64 off, v[73:74], off offset:272
	flat_load_b64 v[73:74], v[71:72]
	s_wait_loadcnt_dscnt 0x0
	scratch_store_b64 off, v[73:74], off offset:280
	s_cbranch_scc1 .LBB99_156
; %bb.4:
	v_cmp_eq_u32_e64 s0, 0, v0
	s_and_saveexec_b32 s1, s0
; %bb.5:
	v_mov_b32_e32 v73, 0
	ds_store_b32 v73, v73 offset:576
; %bb.6:
	s_wait_alu 0xfffe
	s_or_b32 exec_lo, exec_lo, s1
	s_wait_storecnt_dscnt 0x0
	s_barrier_signal -1
	s_barrier_wait -1
	global_inv scope:SCOPE_SE
	scratch_load_b64 v[73:74], v79, off
	s_wait_loadcnt 0x0
	v_cmp_eq_f32_e32 vcc_lo, 0, v73
	v_cmp_eq_f32_e64 s1, 0, v74
	s_and_b32 s1, vcc_lo, s1
	s_wait_alu 0xfffe
	s_and_saveexec_b32 s4, s1
	s_cbranch_execz .LBB99_10
; %bb.7:
	v_mov_b32_e32 v73, 0
	s_mov_b32 s5, 0
	ds_load_b32 v74, v73 offset:576
	s_wait_dscnt 0x0
	v_readfirstlane_b32 s1, v74
	v_add_nc_u32_e32 v74, 1, v0
	s_cmp_eq_u32 s1, 0
	s_delay_alu instid0(VALU_DEP_1)
	v_cmp_gt_i32_e32 vcc_lo, s1, v74
	s_cselect_b32 s10, -1, 0
	s_wait_alu 0xfffe
	s_or_b32 s10, s10, vcc_lo
	s_wait_alu 0xfffe
	s_and_b32 exec_lo, exec_lo, s10
	s_cbranch_execz .LBB99_10
; %bb.8:
	v_mov_b32_e32 v75, s1
.LBB99_9:                               ; =>This Inner Loop Header: Depth=1
	ds_cmpstore_rtn_b32 v75, v73, v74, v75 offset:576
	s_wait_dscnt 0x0
	v_cmp_ne_u32_e32 vcc_lo, 0, v75
	v_cmp_le_i32_e64 s1, v75, v74
	s_and_b32 s1, vcc_lo, s1
	s_wait_alu 0xfffe
	s_and_b32 s1, exec_lo, s1
	s_wait_alu 0xfffe
	s_or_b32 s5, s1, s5
	s_wait_alu 0xfffe
	s_and_not1_b32 exec_lo, exec_lo, s5
	s_cbranch_execnz .LBB99_9
.LBB99_10:
	s_wait_alu 0xfffe
	s_or_b32 exec_lo, exec_lo, s4
	v_mov_b32_e32 v73, 0
	s_barrier_signal -1
	s_barrier_wait -1
	global_inv scope:SCOPE_SE
	ds_load_b32 v74, v73 offset:576
	s_and_saveexec_b32 s1, s0
	s_cbranch_execz .LBB99_12
; %bb.11:
	s_lshl_b64 s[4:5], s[8:9], 2
	s_wait_alu 0xfffe
	s_add_nc_u64 s[4:5], s[6:7], s[4:5]
	s_wait_dscnt 0x0
	global_store_b32 v73, v74, s[4:5]
.LBB99_12:
	s_wait_alu 0xfffe
	s_or_b32 exec_lo, exec_lo, s1
	s_wait_dscnt 0x0
	v_cmp_ne_u32_e32 vcc_lo, 0, v74
	s_mov_b32 s1, 0
	s_cbranch_vccnz .LBB99_156
; %bb.13:
	v_mov_b32_e32 v80, v79
                                        ; implicit-def: $vgpr75
                                        ; implicit-def: $vgpr77
	scratch_load_b64 v[73:74], v80, off
	s_wait_loadcnt 0x0
	v_cmp_ngt_f32_e64 s1, |v73|, |v74|
	s_wait_alu 0xfffe
	s_and_saveexec_b32 s4, s1
	s_wait_alu 0xfffe
	s_xor_b32 s1, exec_lo, s4
	s_cbranch_execz .LBB99_15
; %bb.14:
	v_div_scale_f32 v75, null, v74, v74, v73
	v_div_scale_f32 v78, vcc_lo, v73, v74, v73
	s_delay_alu instid0(VALU_DEP_2) | instskip(NEXT) | instid1(TRANS32_DEP_1)
	v_rcp_f32_e32 v76, v75
	v_fma_f32 v77, -v75, v76, 1.0
	s_delay_alu instid0(VALU_DEP_1) | instskip(NEXT) | instid1(VALU_DEP_1)
	v_fmac_f32_e32 v76, v77, v76
	v_mul_f32_e32 v77, v78, v76
	s_delay_alu instid0(VALU_DEP_1) | instskip(NEXT) | instid1(VALU_DEP_1)
	v_fma_f32 v81, -v75, v77, v78
	v_fmac_f32_e32 v77, v81, v76
	s_delay_alu instid0(VALU_DEP_1) | instskip(SKIP_1) | instid1(VALU_DEP_1)
	v_fma_f32 v75, -v75, v77, v78
	s_wait_alu 0xfffd
	v_div_fmas_f32 v75, v75, v76, v77
	s_delay_alu instid0(VALU_DEP_1) | instskip(NEXT) | instid1(VALU_DEP_1)
	v_div_fixup_f32 v75, v75, v74, v73
	v_fmac_f32_e32 v74, v73, v75
	s_delay_alu instid0(VALU_DEP_1) | instskip(NEXT) | instid1(VALU_DEP_1)
	v_div_scale_f32 v73, null, v74, v74, 1.0
	v_rcp_f32_e32 v76, v73
	s_delay_alu instid0(TRANS32_DEP_1) | instskip(NEXT) | instid1(VALU_DEP_1)
	v_fma_f32 v77, -v73, v76, 1.0
	v_fmac_f32_e32 v76, v77, v76
	v_div_scale_f32 v77, vcc_lo, 1.0, v74, 1.0
	s_delay_alu instid0(VALU_DEP_1) | instskip(NEXT) | instid1(VALU_DEP_1)
	v_mul_f32_e32 v78, v77, v76
	v_fma_f32 v81, -v73, v78, v77
	s_delay_alu instid0(VALU_DEP_1) | instskip(NEXT) | instid1(VALU_DEP_1)
	v_fmac_f32_e32 v78, v81, v76
	v_fma_f32 v73, -v73, v78, v77
	s_wait_alu 0xfffd
	s_delay_alu instid0(VALU_DEP_1) | instskip(NEXT) | instid1(VALU_DEP_1)
	v_div_fmas_f32 v73, v73, v76, v78
	v_div_fixup_f32 v73, v73, v74, 1.0
	s_delay_alu instid0(VALU_DEP_1) | instskip(SKIP_1) | instid1(VALU_DEP_2)
	v_mul_f32_e32 v75, v75, v73
	v_xor_b32_e32 v76, 0x80000000, v73
                                        ; implicit-def: $vgpr73_vgpr74
	v_xor_b32_e32 v77, 0x80000000, v75
.LBB99_15:
	s_wait_alu 0xfffe
	s_and_not1_saveexec_b32 s1, s1
	s_cbranch_execz .LBB99_17
; %bb.16:
	v_div_scale_f32 v75, null, v73, v73, v74
	v_div_scale_f32 v78, vcc_lo, v74, v73, v74
	s_delay_alu instid0(VALU_DEP_2) | instskip(NEXT) | instid1(TRANS32_DEP_1)
	v_rcp_f32_e32 v76, v75
	v_fma_f32 v77, -v75, v76, 1.0
	s_delay_alu instid0(VALU_DEP_1) | instskip(NEXT) | instid1(VALU_DEP_1)
	v_fmac_f32_e32 v76, v77, v76
	v_mul_f32_e32 v77, v78, v76
	s_delay_alu instid0(VALU_DEP_1) | instskip(NEXT) | instid1(VALU_DEP_1)
	v_fma_f32 v81, -v75, v77, v78
	v_fmac_f32_e32 v77, v81, v76
	s_delay_alu instid0(VALU_DEP_1) | instskip(SKIP_1) | instid1(VALU_DEP_1)
	v_fma_f32 v75, -v75, v77, v78
	s_wait_alu 0xfffd
	v_div_fmas_f32 v75, v75, v76, v77
	s_delay_alu instid0(VALU_DEP_1) | instskip(NEXT) | instid1(VALU_DEP_1)
	v_div_fixup_f32 v76, v75, v73, v74
	v_fmac_f32_e32 v73, v74, v76
	s_delay_alu instid0(VALU_DEP_1) | instskip(SKIP_1) | instid1(VALU_DEP_2)
	v_div_scale_f32 v74, null, v73, v73, 1.0
	v_div_scale_f32 v78, vcc_lo, 1.0, v73, 1.0
	v_rcp_f32_e32 v75, v74
	s_delay_alu instid0(TRANS32_DEP_1) | instskip(NEXT) | instid1(VALU_DEP_1)
	v_fma_f32 v77, -v74, v75, 1.0
	v_fmac_f32_e32 v75, v77, v75
	s_delay_alu instid0(VALU_DEP_1) | instskip(NEXT) | instid1(VALU_DEP_1)
	v_mul_f32_e32 v77, v78, v75
	v_fma_f32 v81, -v74, v77, v78
	s_delay_alu instid0(VALU_DEP_1) | instskip(NEXT) | instid1(VALU_DEP_1)
	v_fmac_f32_e32 v77, v81, v75
	v_fma_f32 v74, -v74, v77, v78
	s_wait_alu 0xfffd
	s_delay_alu instid0(VALU_DEP_1) | instskip(NEXT) | instid1(VALU_DEP_1)
	v_div_fmas_f32 v74, v74, v75, v77
	v_div_fixup_f32 v75, v74, v73, 1.0
	s_delay_alu instid0(VALU_DEP_1)
	v_xor_b32_e32 v77, 0x80000000, v75
	v_mul_f32_e64 v76, v76, -v75
.LBB99_17:
	s_wait_alu 0xfffe
	s_or_b32 exec_lo, exec_lo, s1
	scratch_store_b64 v80, v[75:76], off
	scratch_load_b64 v[74:75], off, off offset:8
	v_xor_b32_e32 v78, 0x80000000, v76
	v_add_nc_u32_e32 v73, 0x120, v79
	s_wait_loadcnt 0x0
	ds_store_2addr_b64 v79, v[77:78], v[74:75] offset1:36
	s_wait_storecnt_dscnt 0x0
	s_barrier_signal -1
	s_barrier_wait -1
	global_inv scope:SCOPE_SE
	s_and_saveexec_b32 s1, s0
	s_cbranch_execz .LBB99_19
; %bb.18:
	scratch_load_b64 v[74:75], v80, off
	ds_load_b64 v[76:77], v73
	v_mov_b32_e32 v78, 0
	ds_load_b64 v[81:82], v78 offset:8
	s_wait_loadcnt_dscnt 0x1
	v_mul_f32_e32 v78, v76, v75
	v_mul_f32_e32 v75, v77, v75
	s_delay_alu instid0(VALU_DEP_2) | instskip(NEXT) | instid1(VALU_DEP_2)
	v_fmac_f32_e32 v78, v77, v74
	v_fma_f32 v74, v76, v74, -v75
	s_delay_alu instid0(VALU_DEP_2) | instskip(NEXT) | instid1(VALU_DEP_2)
	v_add_f32_e32 v76, 0, v78
	v_add_f32_e32 v74, 0, v74
	s_wait_dscnt 0x0
	s_delay_alu instid0(VALU_DEP_2) | instskip(NEXT) | instid1(VALU_DEP_2)
	v_mul_f32_e32 v77, v76, v82
	v_mul_f32_e32 v75, v74, v82
	s_delay_alu instid0(VALU_DEP_2) | instskip(NEXT) | instid1(VALU_DEP_2)
	v_fma_f32 v74, v74, v81, -v77
	v_fmac_f32_e32 v75, v76, v81
	scratch_store_b64 off, v[74:75], off offset:8
.LBB99_19:
	s_wait_alu 0xfffe
	s_or_b32 exec_lo, exec_lo, s1
	s_wait_loadcnt 0x0
	s_wait_storecnt 0x0
	s_barrier_signal -1
	s_barrier_wait -1
	global_inv scope:SCOPE_SE
	scratch_load_b64 v[74:75], off, off offset:16
	s_mov_b32 s1, exec_lo
	s_wait_loadcnt 0x0
	ds_store_b64 v73, v[74:75]
	s_wait_dscnt 0x0
	s_barrier_signal -1
	s_barrier_wait -1
	global_inv scope:SCOPE_SE
	v_cmpx_gt_u32_e32 2, v0
	s_cbranch_execz .LBB99_23
; %bb.20:
	scratch_load_b64 v[74:75], v80, off
	ds_load_b64 v[76:77], v73
	s_wait_loadcnt_dscnt 0x0
	v_mul_f32_e32 v78, v77, v75
	v_mul_f32_e32 v81, v76, v75
	s_delay_alu instid0(VALU_DEP_2) | instskip(NEXT) | instid1(VALU_DEP_2)
	v_fma_f32 v75, v76, v74, -v78
	v_fmac_f32_e32 v81, v77, v74
	s_delay_alu instid0(VALU_DEP_1)
	v_dual_add_f32 v75, 0, v75 :: v_dual_add_f32 v74, 0, v81
	s_and_saveexec_b32 s4, s0
	s_cbranch_execz .LBB99_22
; %bb.21:
	scratch_load_b64 v[76:77], off, off offset:8
	v_mov_b32_e32 v78, 0
	ds_load_b64 v[81:82], v78 offset:296
	s_wait_loadcnt_dscnt 0x0
	v_mul_f32_e32 v78, v81, v77
	v_mul_f32_e32 v77, v82, v77
	s_delay_alu instid0(VALU_DEP_2) | instskip(NEXT) | instid1(VALU_DEP_2)
	v_fmac_f32_e32 v78, v82, v76
	v_fma_f32 v76, v81, v76, -v77
	s_delay_alu instid0(VALU_DEP_1)
	v_dual_add_f32 v74, v74, v78 :: v_dual_add_f32 v75, v75, v76
.LBB99_22:
	s_wait_alu 0xfffe
	s_or_b32 exec_lo, exec_lo, s4
	v_mov_b32_e32 v76, 0
	ds_load_b64 v[76:77], v76 offset:16
	s_wait_dscnt 0x0
	v_mul_f32_e32 v81, v74, v77
	v_mul_f32_e32 v78, v75, v77
	s_delay_alu instid0(VALU_DEP_2) | instskip(NEXT) | instid1(VALU_DEP_2)
	v_fma_f32 v77, v75, v76, -v81
	v_fmac_f32_e32 v78, v74, v76
	scratch_store_b64 off, v[77:78], off offset:16
.LBB99_23:
	s_wait_alu 0xfffe
	s_or_b32 exec_lo, exec_lo, s1
	s_wait_loadcnt 0x0
	s_wait_storecnt 0x0
	s_barrier_signal -1
	s_barrier_wait -1
	global_inv scope:SCOPE_SE
	scratch_load_b64 v[75:76], off, off offset:24
	v_add_nc_u32_e32 v74, -1, v0
	s_mov_b32 s0, exec_lo
	s_wait_loadcnt 0x0
	ds_store_b64 v73, v[75:76]
	s_wait_dscnt 0x0
	s_barrier_signal -1
	s_barrier_wait -1
	global_inv scope:SCOPE_SE
	v_cmpx_gt_u32_e32 3, v0
	s_cbranch_execz .LBB99_27
; %bb.24:
	v_dual_mov_b32 v75, 0 :: v_dual_add_nc_u32 v76, -1, v0
	v_dual_mov_b32 v78, v79 :: v_dual_add_nc_u32 v77, 0x120, v79
	v_mov_b32_e32 v81, 0
	s_mov_b32 s1, 0
.LBB99_25:                              ; =>This Inner Loop Header: Depth=1
	scratch_load_b64 v[82:83], v78, off
	ds_load_b64 v[84:85], v77
	v_add_nc_u32_e32 v76, 1, v76
	v_add_nc_u32_e32 v77, 8, v77
	s_delay_alu instid0(VALU_DEP_2)
	v_cmp_lt_u32_e32 vcc_lo, 1, v76
	s_wait_alu 0xfffe
	s_or_b32 s1, vcc_lo, s1
	s_wait_loadcnt_dscnt 0x0
	v_mul_f32_e32 v86, v85, v83
	v_mul_f32_e32 v83, v84, v83
	s_delay_alu instid0(VALU_DEP_2) | instskip(NEXT) | instid1(VALU_DEP_2)
	v_fma_f32 v84, v84, v82, -v86
	v_fmac_f32_e32 v83, v85, v82
	s_delay_alu instid0(VALU_DEP_2) | instskip(NEXT) | instid1(VALU_DEP_2)
	v_dual_add_f32 v81, v81, v84 :: v_dual_add_nc_u32 v78, 8, v78
	v_add_f32_e32 v75, v75, v83
	s_wait_alu 0xfffe
	s_and_not1_b32 exec_lo, exec_lo, s1
	s_cbranch_execnz .LBB99_25
; %bb.26:
	s_or_b32 exec_lo, exec_lo, s1
	v_mov_b32_e32 v76, 0
	ds_load_b64 v[76:77], v76 offset:24
	s_wait_dscnt 0x0
	v_mul_f32_e32 v82, v75, v77
	v_mul_f32_e32 v78, v81, v77
	s_delay_alu instid0(VALU_DEP_2) | instskip(NEXT) | instid1(VALU_DEP_2)
	v_fma_f32 v77, v81, v76, -v82
	v_fmac_f32_e32 v78, v75, v76
	scratch_store_b64 off, v[77:78], off offset:24
.LBB99_27:
	s_wait_alu 0xfffe
	s_or_b32 exec_lo, exec_lo, s0
	s_wait_loadcnt 0x0
	s_wait_storecnt 0x0
	s_barrier_signal -1
	s_barrier_wait -1
	global_inv scope:SCOPE_SE
	scratch_load_b64 v[75:76], off, off offset:32
	s_mov_b32 s0, exec_lo
	s_wait_loadcnt 0x0
	ds_store_b64 v73, v[75:76]
	s_wait_dscnt 0x0
	s_barrier_signal -1
	s_barrier_wait -1
	global_inv scope:SCOPE_SE
	v_cmpx_gt_u32_e32 4, v0
	s_cbranch_execz .LBB99_31
; %bb.28:
	v_dual_mov_b32 v75, 0 :: v_dual_add_nc_u32 v76, -1, v0
	v_dual_mov_b32 v78, v79 :: v_dual_add_nc_u32 v77, 0x120, v79
	v_mov_b32_e32 v81, 0
	s_mov_b32 s1, 0
.LBB99_29:                              ; =>This Inner Loop Header: Depth=1
	scratch_load_b64 v[82:83], v78, off
	ds_load_b64 v[84:85], v77
	v_add_nc_u32_e32 v76, 1, v76
	v_add_nc_u32_e32 v77, 8, v77
	s_delay_alu instid0(VALU_DEP_2)
	v_cmp_lt_u32_e32 vcc_lo, 2, v76
	s_wait_alu 0xfffe
	s_or_b32 s1, vcc_lo, s1
	s_wait_loadcnt_dscnt 0x0
	v_mul_f32_e32 v86, v85, v83
	v_mul_f32_e32 v83, v84, v83
	s_delay_alu instid0(VALU_DEP_2) | instskip(NEXT) | instid1(VALU_DEP_2)
	v_fma_f32 v84, v84, v82, -v86
	v_fmac_f32_e32 v83, v85, v82
	s_delay_alu instid0(VALU_DEP_2) | instskip(NEXT) | instid1(VALU_DEP_2)
	v_dual_add_f32 v81, v81, v84 :: v_dual_add_nc_u32 v78, 8, v78
	v_add_f32_e32 v75, v75, v83
	s_wait_alu 0xfffe
	s_and_not1_b32 exec_lo, exec_lo, s1
	s_cbranch_execnz .LBB99_29
; %bb.30:
	s_or_b32 exec_lo, exec_lo, s1
	v_mov_b32_e32 v76, 0
	ds_load_b64 v[76:77], v76 offset:32
	s_wait_dscnt 0x0
	v_mul_f32_e32 v82, v75, v77
	v_mul_f32_e32 v78, v81, v77
	s_delay_alu instid0(VALU_DEP_2) | instskip(NEXT) | instid1(VALU_DEP_2)
	v_fma_f32 v77, v81, v76, -v82
	v_fmac_f32_e32 v78, v75, v76
	scratch_store_b64 off, v[77:78], off offset:32
.LBB99_31:
	s_wait_alu 0xfffe
	s_or_b32 exec_lo, exec_lo, s0
	s_wait_loadcnt 0x0
	s_wait_storecnt 0x0
	s_barrier_signal -1
	s_barrier_wait -1
	global_inv scope:SCOPE_SE
	scratch_load_b64 v[75:76], off, off offset:40
	;; [unrolled: 55-line block ×19, first 2 shown]
	s_mov_b32 s0, exec_lo
	s_wait_loadcnt 0x0
	ds_store_b64 v73, v[75:76]
	s_wait_dscnt 0x0
	s_barrier_signal -1
	s_barrier_wait -1
	global_inv scope:SCOPE_SE
	v_cmpx_gt_u32_e32 22, v0
	s_cbranch_execz .LBB99_103
; %bb.100:
	v_dual_mov_b32 v75, 0 :: v_dual_add_nc_u32 v76, -1, v0
	v_dual_mov_b32 v78, v79 :: v_dual_add_nc_u32 v77, 0x120, v79
	v_mov_b32_e32 v81, 0
	s_mov_b32 s1, 0
.LBB99_101:                             ; =>This Inner Loop Header: Depth=1
	scratch_load_b64 v[82:83], v78, off
	ds_load_b64 v[84:85], v77
	v_add_nc_u32_e32 v76, 1, v76
	v_add_nc_u32_e32 v77, 8, v77
	s_delay_alu instid0(VALU_DEP_2)
	v_cmp_lt_u32_e32 vcc_lo, 20, v76
	s_wait_alu 0xfffe
	s_or_b32 s1, vcc_lo, s1
	s_wait_loadcnt_dscnt 0x0
	v_mul_f32_e32 v86, v85, v83
	v_mul_f32_e32 v83, v84, v83
	s_delay_alu instid0(VALU_DEP_2) | instskip(NEXT) | instid1(VALU_DEP_2)
	v_fma_f32 v84, v84, v82, -v86
	v_fmac_f32_e32 v83, v85, v82
	s_delay_alu instid0(VALU_DEP_2) | instskip(NEXT) | instid1(VALU_DEP_2)
	v_dual_add_f32 v81, v81, v84 :: v_dual_add_nc_u32 v78, 8, v78
	v_add_f32_e32 v75, v75, v83
	s_wait_alu 0xfffe
	s_and_not1_b32 exec_lo, exec_lo, s1
	s_cbranch_execnz .LBB99_101
; %bb.102:
	s_or_b32 exec_lo, exec_lo, s1
	v_mov_b32_e32 v76, 0
	ds_load_b64 v[76:77], v76 offset:176
	s_wait_dscnt 0x0
	v_mul_f32_e32 v82, v75, v77
	v_mul_f32_e32 v78, v81, v77
	s_delay_alu instid0(VALU_DEP_2) | instskip(NEXT) | instid1(VALU_DEP_2)
	v_fma_f32 v77, v81, v76, -v82
	v_fmac_f32_e32 v78, v75, v76
	scratch_store_b64 off, v[77:78], off offset:176
.LBB99_103:
	s_wait_alu 0xfffe
	s_or_b32 exec_lo, exec_lo, s0
	s_wait_loadcnt 0x0
	s_wait_storecnt 0x0
	s_barrier_signal -1
	s_barrier_wait -1
	global_inv scope:SCOPE_SE
	scratch_load_b64 v[75:76], off, off offset:184
	s_mov_b32 s0, exec_lo
	s_wait_loadcnt 0x0
	ds_store_b64 v73, v[75:76]
	s_wait_dscnt 0x0
	s_barrier_signal -1
	s_barrier_wait -1
	global_inv scope:SCOPE_SE
	v_cmpx_gt_u32_e32 23, v0
	s_cbranch_execz .LBB99_107
; %bb.104:
	v_dual_mov_b32 v75, 0 :: v_dual_add_nc_u32 v76, -1, v0
	v_dual_mov_b32 v78, v79 :: v_dual_add_nc_u32 v77, 0x120, v79
	v_mov_b32_e32 v81, 0
	s_mov_b32 s1, 0
.LBB99_105:                             ; =>This Inner Loop Header: Depth=1
	scratch_load_b64 v[82:83], v78, off
	ds_load_b64 v[84:85], v77
	v_add_nc_u32_e32 v76, 1, v76
	v_add_nc_u32_e32 v77, 8, v77
	s_delay_alu instid0(VALU_DEP_2)
	v_cmp_lt_u32_e32 vcc_lo, 21, v76
	s_wait_alu 0xfffe
	s_or_b32 s1, vcc_lo, s1
	s_wait_loadcnt_dscnt 0x0
	v_mul_f32_e32 v86, v85, v83
	v_mul_f32_e32 v83, v84, v83
	s_delay_alu instid0(VALU_DEP_2) | instskip(NEXT) | instid1(VALU_DEP_2)
	v_fma_f32 v84, v84, v82, -v86
	v_fmac_f32_e32 v83, v85, v82
	s_delay_alu instid0(VALU_DEP_2) | instskip(NEXT) | instid1(VALU_DEP_2)
	v_dual_add_f32 v81, v81, v84 :: v_dual_add_nc_u32 v78, 8, v78
	v_add_f32_e32 v75, v75, v83
	s_wait_alu 0xfffe
	s_and_not1_b32 exec_lo, exec_lo, s1
	s_cbranch_execnz .LBB99_105
; %bb.106:
	s_or_b32 exec_lo, exec_lo, s1
	v_mov_b32_e32 v76, 0
	ds_load_b64 v[76:77], v76 offset:184
	s_wait_dscnt 0x0
	v_mul_f32_e32 v82, v75, v77
	v_mul_f32_e32 v78, v81, v77
	s_delay_alu instid0(VALU_DEP_2) | instskip(NEXT) | instid1(VALU_DEP_2)
	v_fma_f32 v77, v81, v76, -v82
	v_fmac_f32_e32 v78, v75, v76
	scratch_store_b64 off, v[77:78], off offset:184
.LBB99_107:
	s_wait_alu 0xfffe
	s_or_b32 exec_lo, exec_lo, s0
	s_wait_loadcnt 0x0
	s_wait_storecnt 0x0
	s_barrier_signal -1
	s_barrier_wait -1
	global_inv scope:SCOPE_SE
	scratch_load_b64 v[75:76], off, off offset:192
	;; [unrolled: 55-line block ×12, first 2 shown]
	s_mov_b32 s0, exec_lo
	s_wait_loadcnt 0x0
	ds_store_b64 v73, v[75:76]
	s_wait_dscnt 0x0
	s_barrier_signal -1
	s_barrier_wait -1
	global_inv scope:SCOPE_SE
	v_cmpx_gt_u32_e32 34, v0
	s_cbranch_execz .LBB99_151
; %bb.148:
	v_dual_mov_b32 v75, 0 :: v_dual_add_nc_u32 v76, -1, v0
	v_dual_mov_b32 v78, v79 :: v_dual_add_nc_u32 v77, 0x120, v79
	v_mov_b32_e32 v79, 0
	s_mov_b32 s1, 0
.LBB99_149:                             ; =>This Inner Loop Header: Depth=1
	scratch_load_b64 v[81:82], v78, off
	ds_load_b64 v[83:84], v77
	v_add_nc_u32_e32 v78, 8, v78
	v_add_nc_u32_e32 v76, 1, v76
	;; [unrolled: 1-line block ×3, first 2 shown]
	s_delay_alu instid0(VALU_DEP_2)
	v_cmp_lt_u32_e32 vcc_lo, 32, v76
	s_wait_alu 0xfffe
	s_or_b32 s1, vcc_lo, s1
	s_wait_loadcnt_dscnt 0x0
	v_mul_f32_e32 v85, v84, v82
	v_mul_f32_e32 v82, v83, v82
	s_delay_alu instid0(VALU_DEP_2) | instskip(NEXT) | instid1(VALU_DEP_1)
	v_fma_f32 v83, v83, v81, -v85
	v_dual_fmac_f32 v82, v84, v81 :: v_dual_add_f32 v79, v79, v83
	s_delay_alu instid0(VALU_DEP_1)
	v_add_f32_e32 v75, v75, v82
	s_wait_alu 0xfffe
	s_and_not1_b32 exec_lo, exec_lo, s1
	s_cbranch_execnz .LBB99_149
; %bb.150:
	s_or_b32 exec_lo, exec_lo, s1
	v_mov_b32_e32 v76, 0
	ds_load_b64 v[76:77], v76 offset:272
	s_wait_dscnt 0x0
	v_mul_f32_e32 v81, v75, v77
	v_mul_f32_e32 v78, v79, v77
	s_delay_alu instid0(VALU_DEP_2) | instskip(NEXT) | instid1(VALU_DEP_2)
	v_fma_f32 v77, v79, v76, -v81
	v_fmac_f32_e32 v78, v75, v76
	scratch_store_b64 off, v[77:78], off offset:272
.LBB99_151:
	s_wait_alu 0xfffe
	s_or_b32 exec_lo, exec_lo, s0
	s_wait_loadcnt 0x0
	s_wait_storecnt 0x0
	s_barrier_signal -1
	s_barrier_wait -1
	global_inv scope:SCOPE_SE
	scratch_load_b64 v[75:76], off, off offset:280
	s_mov_b32 s0, exec_lo
	s_wait_loadcnt 0x0
	ds_store_b64 v73, v[75:76]
	s_wait_dscnt 0x0
	s_barrier_signal -1
	s_barrier_wait -1
	global_inv scope:SCOPE_SE
	v_cmpx_ne_u32_e32 35, v0
	s_cbranch_execz .LBB99_155
; %bb.152:
	v_dual_mov_b32 v75, 0 :: v_dual_mov_b32 v76, 0
	s_mov_b32 s1, 0
.LBB99_153:                             ; =>This Inner Loop Header: Depth=1
	scratch_load_b64 v[77:78], v80, off
	ds_load_b64 v[81:82], v73
	v_add_nc_u32_e32 v74, 1, v74
	v_add_nc_u32_e32 v73, 8, v73
	;; [unrolled: 1-line block ×3, first 2 shown]
	s_delay_alu instid0(VALU_DEP_3)
	v_cmp_lt_u32_e32 vcc_lo, 33, v74
	s_wait_alu 0xfffe
	s_or_b32 s1, vcc_lo, s1
	s_wait_loadcnt_dscnt 0x0
	v_mul_f32_e32 v79, v82, v78
	v_mul_f32_e32 v78, v81, v78
	s_delay_alu instid0(VALU_DEP_2) | instskip(NEXT) | instid1(VALU_DEP_2)
	v_fma_f32 v79, v81, v77, -v79
	v_fmac_f32_e32 v78, v82, v77
	s_delay_alu instid0(VALU_DEP_1)
	v_dual_add_f32 v76, v76, v79 :: v_dual_add_f32 v75, v75, v78
	s_wait_alu 0xfffe
	s_and_not1_b32 exec_lo, exec_lo, s1
	s_cbranch_execnz .LBB99_153
; %bb.154:
	s_or_b32 exec_lo, exec_lo, s1
	v_mov_b32_e32 v73, 0
	ds_load_b64 v[73:74], v73 offset:280
	s_wait_dscnt 0x0
	v_mul_f32_e32 v78, v75, v74
	v_mul_f32_e32 v77, v76, v74
	s_delay_alu instid0(VALU_DEP_2) | instskip(NEXT) | instid1(VALU_DEP_2)
	v_fma_f32 v76, v76, v73, -v78
	v_fmac_f32_e32 v77, v75, v73
	scratch_store_b64 off, v[76:77], off offset:280
.LBB99_155:
	s_wait_alu 0xfffe
	s_or_b32 exec_lo, exec_lo, s0
	s_mov_b32 s1, -1
	s_wait_loadcnt 0x0
	s_wait_storecnt 0x0
	s_barrier_signal -1
	s_barrier_wait -1
	global_inv scope:SCOPE_SE
.LBB99_156:
	s_wait_alu 0xfffe
	s_and_b32 vcc_lo, exec_lo, s1
	s_wait_alu 0xfffe
	s_cbranch_vccz .LBB99_158
; %bb.157:
	v_mov_b32_e32 v73, 0
	s_lshl_b64 s[0:1], s[8:9], 2
	s_wait_alu 0xfffe
	s_add_nc_u64 s[0:1], s[6:7], s[0:1]
	global_load_b32 v73, v73, s[0:1]
	s_wait_loadcnt 0x0
	v_cmp_ne_u32_e32 vcc_lo, 0, v73
	s_cbranch_vccz .LBB99_159
.LBB99_158:
	s_nop 0
	s_sendmsg sendmsg(MSG_DEALLOC_VGPRS)
	s_endpgm
.LBB99_159:
	v_lshl_add_u32 v75, v0, 3, 0x120
	s_mov_b32 s0, exec_lo
	v_cmpx_eq_u32_e32 35, v0
	s_cbranch_execz .LBB99_161
; %bb.160:
	scratch_load_b64 v[73:74], off, off offset:272
	v_mov_b32_e32 v76, 0
	s_delay_alu instid0(VALU_DEP_1)
	v_mov_b32_e32 v77, v76
	scratch_store_b64 off, v[76:77], off offset:272
	s_wait_loadcnt 0x0
	ds_store_b64 v75, v[73:74]
.LBB99_161:
	s_wait_alu 0xfffe
	s_or_b32 exec_lo, exec_lo, s0
	s_wait_storecnt_dscnt 0x0
	s_barrier_signal -1
	s_barrier_wait -1
	global_inv scope:SCOPE_SE
	s_clause 0x1
	scratch_load_b64 v[76:77], off, off offset:280
	scratch_load_b64 v[78:79], off, off offset:272
	v_mov_b32_e32 v73, 0
	s_mov_b32 s0, exec_lo
	ds_load_b64 v[80:81], v73 offset:568
	s_wait_loadcnt_dscnt 0x100
	v_mul_f32_e32 v74, v81, v77
	s_delay_alu instid0(VALU_DEP_1) | instskip(NEXT) | instid1(VALU_DEP_1)
	v_fma_f32 v74, v80, v76, -v74
	v_dual_mul_f32 v77, v80, v77 :: v_dual_add_f32 v74, 0, v74
	s_wait_loadcnt 0x0
	s_delay_alu instid0(VALU_DEP_1) | instskip(NEXT) | instid1(VALU_DEP_1)
	v_dual_fmac_f32 v77, v81, v76 :: v_dual_sub_f32 v76, v78, v74
	v_add_f32_e32 v77, 0, v77
	s_delay_alu instid0(VALU_DEP_1)
	v_sub_f32_e32 v77, v79, v77
	scratch_store_b64 off, v[76:77], off offset:272
	v_cmpx_lt_u32_e32 33, v0
	s_cbranch_execz .LBB99_163
; %bb.162:
	scratch_load_b64 v[76:77], off, off offset:264
	v_mov_b32_e32 v74, v73
	scratch_store_b64 off, v[73:74], off offset:264
	s_wait_loadcnt 0x0
	ds_store_b64 v75, v[76:77]
.LBB99_163:
	s_wait_alu 0xfffe
	s_or_b32 exec_lo, exec_lo, s0
	s_wait_storecnt_dscnt 0x0
	s_barrier_signal -1
	s_barrier_wait -1
	global_inv scope:SCOPE_SE
	s_clause 0x1
	scratch_load_b128 v[76:79], off, off offset:272
	scratch_load_b64 v[84:85], off, off offset:264
	ds_load_b128 v[80:83], v73 offset:560
	s_mov_b32 s0, exec_lo
	s_wait_loadcnt_dscnt 0x100
	v_mul_f32_e32 v74, v80, v77
	s_delay_alu instid0(VALU_DEP_1) | instskip(SKIP_2) | instid1(VALU_DEP_1)
	v_fmac_f32_e32 v74, v81, v76
	v_mul_f32_e32 v73, v81, v77
	v_mul_f32_e32 v77, v82, v79
	v_fmac_f32_e32 v77, v83, v78
	s_delay_alu instid0(VALU_DEP_4) | instskip(NEXT) | instid1(VALU_DEP_4)
	v_dual_add_f32 v74, 0, v74 :: v_dual_mul_f32 v79, v83, v79
	v_fma_f32 v73, v80, v76, -v73
	s_delay_alu instid0(VALU_DEP_2) | instskip(NEXT) | instid1(VALU_DEP_3)
	v_add_f32_e32 v74, v74, v77
	v_fma_f32 v76, v82, v78, -v79
	s_wait_loadcnt 0x0
	s_delay_alu instid0(VALU_DEP_2) | instskip(NEXT) | instid1(VALU_DEP_1)
	v_dual_add_f32 v73, 0, v73 :: v_dual_sub_f32 v74, v85, v74
	v_add_f32_e32 v73, v73, v76
	s_delay_alu instid0(VALU_DEP_1)
	v_sub_f32_e32 v73, v84, v73
	scratch_store_b64 off, v[73:74], off offset:264
	v_cmpx_lt_u32_e32 32, v0
	s_cbranch_execz .LBB99_165
; %bb.164:
	scratch_load_b64 v[73:74], off, off offset:256
	v_mov_b32_e32 v76, 0
	s_delay_alu instid0(VALU_DEP_1)
	v_mov_b32_e32 v77, v76
	scratch_store_b64 off, v[76:77], off offset:256
	s_wait_loadcnt 0x0
	ds_store_b64 v75, v[73:74]
.LBB99_165:
	s_wait_alu 0xfffe
	s_or_b32 exec_lo, exec_lo, s0
	s_wait_storecnt_dscnt 0x0
	s_barrier_signal -1
	s_barrier_wait -1
	global_inv scope:SCOPE_SE
	s_clause 0x2
	scratch_load_b128 v[76:79], off, off offset:264
	scratch_load_b64 v[84:85], off, off offset:280
	scratch_load_b64 v[86:87], off, off offset:256
	v_mov_b32_e32 v73, 0
	ds_load_2addr_b64 v[80:83], v73 offset0:69 offset1:70
	ds_load_b64 v[88:89], v73 offset:568
	s_mov_b32 s0, exec_lo
	s_wait_loadcnt_dscnt 0x201
	v_mul_f32_e32 v74, v81, v77
	v_dual_mul_f32 v77, v80, v77 :: v_dual_mul_f32 v90, v82, v79
	v_mul_f32_e32 v79, v83, v79
	s_wait_loadcnt_dscnt 0x100
	v_mul_f32_e32 v91, v88, v85
	v_fma_f32 v74, v80, v76, -v74
	v_fmac_f32_e32 v77, v81, v76
	v_mul_f32_e32 v76, v89, v85
	v_fmac_f32_e32 v90, v83, v78
	v_fma_f32 v78, v82, v78, -v79
	s_delay_alu instid0(VALU_DEP_4) | instskip(NEXT) | instid1(VALU_DEP_4)
	v_dual_add_f32 v74, 0, v74 :: v_dual_add_f32 v77, 0, v77
	v_fma_f32 v76, v88, v84, -v76
	s_delay_alu instid0(VALU_DEP_2) | instskip(NEXT) | instid1(VALU_DEP_1)
	v_add_f32_e32 v74, v74, v78
	v_dual_add_f32 v77, v77, v90 :: v_dual_add_f32 v74, v74, v76
	s_wait_loadcnt 0x0
	s_delay_alu instid0(VALU_DEP_1) | instskip(NEXT) | instid1(VALU_DEP_1)
	v_dual_fmac_f32 v91, v89, v84 :: v_dual_sub_f32 v76, v86, v74
	v_add_f32_e32 v77, v77, v91
	s_delay_alu instid0(VALU_DEP_1)
	v_sub_f32_e32 v77, v87, v77
	scratch_store_b64 off, v[76:77], off offset:256
	v_cmpx_lt_u32_e32 31, v0
	s_cbranch_execz .LBB99_167
; %bb.166:
	scratch_load_b64 v[76:77], off, off offset:248
	v_mov_b32_e32 v74, v73
	scratch_store_b64 off, v[73:74], off offset:248
	s_wait_loadcnt 0x0
	ds_store_b64 v75, v[76:77]
.LBB99_167:
	s_wait_alu 0xfffe
	s_or_b32 exec_lo, exec_lo, s0
	s_wait_storecnt_dscnt 0x0
	s_barrier_signal -1
	s_barrier_wait -1
	global_inv scope:SCOPE_SE
	s_clause 0x2
	scratch_load_b128 v[76:79], off, off offset:256
	scratch_load_b128 v[80:83], off, off offset:272
	scratch_load_b64 v[92:93], off, off offset:248
	ds_load_b128 v[84:87], v73 offset:544
	ds_load_b128 v[88:91], v73 offset:560
	s_mov_b32 s0, exec_lo
	s_wait_loadcnt_dscnt 0x201
	v_mul_f32_e32 v74, v85, v77
	s_wait_loadcnt_dscnt 0x100
	v_dual_mul_f32 v94, v88, v81 :: v_dual_mul_f32 v95, v90, v83
	s_delay_alu instid0(VALU_DEP_2) | instskip(SKIP_2) | instid1(VALU_DEP_4)
	v_fma_f32 v74, v84, v76, -v74
	v_mul_f32_e32 v73, v84, v77
	v_mul_f32_e32 v77, v86, v79
	v_dual_mul_f32 v79, v87, v79 :: v_dual_fmac_f32 v94, v89, v80
	s_delay_alu instid0(VALU_DEP_3) | instskip(NEXT) | instid1(VALU_DEP_3)
	v_dual_add_f32 v74, 0, v74 :: v_dual_fmac_f32 v73, v85, v76
	v_dual_mul_f32 v76, v89, v81 :: v_dual_fmac_f32 v77, v87, v78
	s_delay_alu instid0(VALU_DEP_3) | instskip(SKIP_1) | instid1(VALU_DEP_3)
	v_fma_f32 v78, v86, v78, -v79
	v_fmac_f32_e32 v95, v91, v82
	v_fma_f32 v76, v88, v80, -v76
	s_delay_alu instid0(VALU_DEP_3) | instskip(NEXT) | instid1(VALU_DEP_1)
	v_dual_add_f32 v74, v74, v78 :: v_dual_add_f32 v73, 0, v73
	v_dual_add_f32 v74, v74, v76 :: v_dual_mul_f32 v79, v91, v83
	s_delay_alu instid0(VALU_DEP_2) | instskip(NEXT) | instid1(VALU_DEP_2)
	v_add_f32_e32 v73, v73, v77
	v_fma_f32 v77, v90, v82, -v79
	s_delay_alu instid0(VALU_DEP_1) | instskip(SKIP_1) | instid1(VALU_DEP_1)
	v_dual_add_f32 v73, v73, v94 :: v_dual_add_f32 v74, v74, v77
	s_wait_loadcnt 0x0
	v_dual_add_f32 v76, v73, v95 :: v_dual_sub_f32 v73, v92, v74
	s_delay_alu instid0(VALU_DEP_1)
	v_sub_f32_e32 v74, v93, v76
	scratch_store_b64 off, v[73:74], off offset:248
	v_cmpx_lt_u32_e32 30, v0
	s_cbranch_execz .LBB99_169
; %bb.168:
	scratch_load_b64 v[73:74], off, off offset:240
	v_mov_b32_e32 v76, 0
	s_delay_alu instid0(VALU_DEP_1)
	v_mov_b32_e32 v77, v76
	scratch_store_b64 off, v[76:77], off offset:240
	s_wait_loadcnt 0x0
	ds_store_b64 v75, v[73:74]
.LBB99_169:
	s_wait_alu 0xfffe
	s_or_b32 exec_lo, exec_lo, s0
	s_wait_storecnt_dscnt 0x0
	s_barrier_signal -1
	s_barrier_wait -1
	global_inv scope:SCOPE_SE
	s_clause 0x3
	scratch_load_b128 v[76:79], off, off offset:248
	scratch_load_b128 v[80:83], off, off offset:264
	scratch_load_b64 v[92:93], off, off offset:280
	scratch_load_b64 v[94:95], off, off offset:240
	v_mov_b32_e32 v73, 0
	ds_load_2addr_b64 v[84:87], v73 offset0:67 offset1:68
	ds_load_2addr_b64 v[88:91], v73 offset0:69 offset1:70
	ds_load_b64 v[96:97], v73 offset:568
	s_mov_b32 s0, exec_lo
	s_wait_loadcnt_dscnt 0x302
	v_mul_f32_e32 v74, v84, v77
	v_dual_mul_f32 v98, v86, v79 :: v_dual_mul_f32 v77, v85, v77
	s_wait_loadcnt_dscnt 0x100
	v_mul_f32_e32 v101, v96, v93
	v_dual_mul_f32 v99, v88, v81 :: v_dual_mul_f32 v100, v90, v83
	v_dual_fmac_f32 v74, v85, v76 :: v_dual_mul_f32 v79, v87, v79
	v_fma_f32 v77, v84, v76, -v77
	v_fmac_f32_e32 v98, v87, v78
	v_mul_f32_e32 v76, v89, v81
	s_delay_alu instid0(VALU_DEP_4) | instskip(SKIP_3) | instid1(VALU_DEP_4)
	v_add_f32_e32 v74, 0, v74
	v_fma_f32 v78, v86, v78, -v79
	v_add_f32_e32 v77, 0, v77
	v_mul_f32_e32 v79, v91, v83
	v_dual_fmac_f32 v99, v89, v80 :: v_dual_add_f32 v74, v74, v98
	v_dual_fmac_f32 v100, v91, v82 :: v_dual_fmac_f32 v101, v97, v92
	s_delay_alu instid0(VALU_DEP_4) | instskip(SKIP_1) | instid1(VALU_DEP_4)
	v_add_f32_e32 v77, v77, v78
	v_fma_f32 v76, v88, v80, -v76
	v_add_f32_e32 v74, v74, v99
	v_fma_f32 v79, v90, v82, -v79
	s_delay_alu instid0(VALU_DEP_3) | instskip(NEXT) | instid1(VALU_DEP_3)
	v_add_f32_e32 v76, v77, v76
	v_add_f32_e32 v74, v74, v100
	s_delay_alu instid0(VALU_DEP_2) | instskip(NEXT) | instid1(VALU_DEP_2)
	v_add_f32_e32 v76, v76, v79
	v_add_f32_e32 v74, v74, v101
	v_mul_f32_e32 v78, v97, v93
	s_delay_alu instid0(VALU_DEP_1) | instskip(SKIP_1) | instid1(VALU_DEP_1)
	v_fma_f32 v77, v96, v92, -v78
	s_wait_loadcnt 0x0
	v_dual_add_f32 v76, v76, v77 :: v_dual_sub_f32 v77, v95, v74
	s_delay_alu instid0(VALU_DEP_1)
	v_sub_f32_e32 v76, v94, v76
	scratch_store_b64 off, v[76:77], off offset:240
	v_cmpx_lt_u32_e32 29, v0
	s_cbranch_execz .LBB99_171
; %bb.170:
	scratch_load_b64 v[76:77], off, off offset:232
	v_mov_b32_e32 v74, v73
	scratch_store_b64 off, v[73:74], off offset:232
	s_wait_loadcnt 0x0
	ds_store_b64 v75, v[76:77]
.LBB99_171:
	s_wait_alu 0xfffe
	s_or_b32 exec_lo, exec_lo, s0
	s_wait_storecnt_dscnt 0x0
	s_barrier_signal -1
	s_barrier_wait -1
	global_inv scope:SCOPE_SE
	s_clause 0x3
	scratch_load_b128 v[76:79], off, off offset:240
	scratch_load_b128 v[80:83], off, off offset:256
	;; [unrolled: 1-line block ×3, first 2 shown]
	scratch_load_b64 v[100:101], off, off offset:232
	ds_load_b128 v[88:91], v73 offset:528
	ds_load_b128 v[92:95], v73 offset:544
	;; [unrolled: 1-line block ×3, first 2 shown]
	s_mov_b32 s0, exec_lo
	s_wait_loadcnt_dscnt 0x302
	v_dual_mul_f32 v73, v88, v77 :: v_dual_mul_f32 v74, v90, v79
	v_mul_f32_e32 v77, v89, v77
	s_wait_loadcnt_dscnt 0x201
	v_dual_mul_f32 v79, v91, v79 :: v_dual_mul_f32 v102, v92, v81
	s_delay_alu instid0(VALU_DEP_3) | instskip(NEXT) | instid1(VALU_DEP_3)
	v_dual_mul_f32 v103, v94, v83 :: v_dual_fmac_f32 v74, v91, v78
	v_fma_f32 v77, v88, v76, -v77
	v_fmac_f32_e32 v73, v89, v76
	v_mul_f32_e32 v76, v93, v81
	v_fma_f32 v78, v90, v78, -v79
	v_mul_f32_e32 v79, v95, v83
	v_dual_add_f32 v77, 0, v77 :: v_dual_fmac_f32 v102, v93, v80
	s_delay_alu instid0(VALU_DEP_4) | instskip(SKIP_2) | instid1(VALU_DEP_3)
	v_fma_f32 v76, v92, v80, -v76
	s_wait_loadcnt_dscnt 0x100
	v_dual_mul_f32 v104, v96, v85 :: v_dual_mul_f32 v105, v98, v87
	v_add_f32_e32 v77, v77, v78
	v_fmac_f32_e32 v103, v95, v82
	v_fma_f32 v78, v94, v82, -v79
	s_delay_alu instid0(VALU_DEP_4) | instskip(NEXT) | instid1(VALU_DEP_4)
	v_dual_fmac_f32 v104, v97, v84 :: v_dual_fmac_f32 v105, v99, v86
	v_add_f32_e32 v76, v77, v76
	s_delay_alu instid0(VALU_DEP_1) | instskip(SKIP_1) | instid1(VALU_DEP_1)
	v_dual_add_f32 v76, v76, v78 :: v_dual_add_f32 v73, 0, v73
	v_mul_f32_e32 v77, v99, v87
	v_fma_f32 v77, v98, v86, -v77
	s_delay_alu instid0(VALU_DEP_3) | instskip(SKIP_1) | instid1(VALU_DEP_1)
	v_add_f32_e32 v73, v73, v74
	v_mul_f32_e32 v74, v97, v85
	v_fma_f32 v74, v96, v84, -v74
	s_delay_alu instid0(VALU_DEP_1) | instskip(NEXT) | instid1(VALU_DEP_1)
	v_add_f32_e32 v74, v76, v74
	v_dual_add_f32 v74, v74, v77 :: v_dual_add_f32 v73, v73, v102
	s_delay_alu instid0(VALU_DEP_1) | instskip(NEXT) | instid1(VALU_DEP_1)
	v_add_f32_e32 v73, v73, v103
	v_add_f32_e32 v73, v73, v104
	s_wait_loadcnt 0x0
	s_delay_alu instid0(VALU_DEP_1) | instskip(NEXT) | instid1(VALU_DEP_1)
	v_dual_add_f32 v76, v73, v105 :: v_dual_sub_f32 v73, v100, v74
	v_sub_f32_e32 v74, v101, v76
	scratch_store_b64 off, v[73:74], off offset:232
	v_cmpx_lt_u32_e32 28, v0
	s_cbranch_execz .LBB99_173
; %bb.172:
	scratch_load_b64 v[73:74], off, off offset:224
	v_mov_b32_e32 v76, 0
	s_delay_alu instid0(VALU_DEP_1)
	v_mov_b32_e32 v77, v76
	scratch_store_b64 off, v[76:77], off offset:224
	s_wait_loadcnt 0x0
	ds_store_b64 v75, v[73:74]
.LBB99_173:
	s_wait_alu 0xfffe
	s_or_b32 exec_lo, exec_lo, s0
	s_wait_storecnt_dscnt 0x0
	s_barrier_signal -1
	s_barrier_wait -1
	global_inv scope:SCOPE_SE
	s_clause 0x4
	scratch_load_b128 v[76:79], off, off offset:232
	scratch_load_b128 v[80:83], off, off offset:248
	scratch_load_b128 v[84:87], off, off offset:264
	scratch_load_b64 v[100:101], off, off offset:280
	scratch_load_b64 v[102:103], off, off offset:224
	v_mov_b32_e32 v73, 0
	ds_load_2addr_b64 v[88:91], v73 offset0:65 offset1:66
	ds_load_2addr_b64 v[92:95], v73 offset0:67 offset1:68
	;; [unrolled: 1-line block ×3, first 2 shown]
	ds_load_b64 v[104:105], v73 offset:568
	s_mov_b32 s0, exec_lo
	s_wait_loadcnt_dscnt 0x403
	v_mul_f32_e32 v74, v88, v77
	s_wait_loadcnt_dscnt 0x302
	v_dual_mul_f32 v106, v90, v79 :: v_dual_mul_f32 v107, v92, v81
	v_dual_mul_f32 v108, v94, v83 :: v_dual_mul_f32 v77, v89, v77
	s_wait_loadcnt_dscnt 0x100
	v_dual_mul_f32 v111, v104, v101 :: v_dual_fmac_f32 v74, v89, v76
	v_mul_f32_e32 v79, v91, v79
	v_dual_mul_f32 v109, v96, v85 :: v_dual_mul_f32 v110, v98, v87
	v_fma_f32 v77, v88, v76, -v77
	v_fmac_f32_e32 v106, v91, v78
	v_add_f32_e32 v74, 0, v74
	v_mul_f32_e32 v76, v93, v81
	v_fma_f32 v78, v90, v78, -v79
	v_add_f32_e32 v77, 0, v77
	v_mul_f32_e32 v79, v95, v83
	v_dual_fmac_f32 v107, v93, v80 :: v_dual_add_f32 v74, v74, v106
	v_dual_fmac_f32 v108, v95, v82 :: v_dual_fmac_f32 v109, v97, v84
	s_delay_alu instid0(VALU_DEP_4) | instskip(SKIP_1) | instid1(VALU_DEP_4)
	v_add_f32_e32 v77, v77, v78
	v_dual_fmac_f32 v110, v99, v86 :: v_dual_fmac_f32 v111, v105, v100
	v_add_f32_e32 v74, v74, v107
	v_fma_f32 v76, v92, v80, -v76
	v_mul_f32_e32 v78, v97, v85
	v_fma_f32 v79, v94, v82, -v79
	s_delay_alu instid0(VALU_DEP_4) | instskip(NEXT) | instid1(VALU_DEP_1)
	v_add_f32_e32 v74, v74, v108
	v_add_f32_e32 v74, v74, v109
	s_delay_alu instid0(VALU_DEP_1) | instskip(NEXT) | instid1(VALU_DEP_1)
	v_add_f32_e32 v74, v74, v110
	v_add_f32_e32 v74, v74, v111
	v_dual_add_f32 v76, v77, v76 :: v_dual_mul_f32 v77, v99, v87
	v_fma_f32 v78, v96, v84, -v78
	s_delay_alu instid0(VALU_DEP_2) | instskip(NEXT) | instid1(VALU_DEP_3)
	v_dual_add_f32 v76, v76, v79 :: v_dual_mul_f32 v79, v105, v101
	v_fma_f32 v77, v98, v86, -v77
	s_delay_alu instid0(VALU_DEP_2) | instskip(NEXT) | instid1(VALU_DEP_3)
	v_add_f32_e32 v76, v76, v78
	v_fma_f32 v78, v104, v100, -v79
	s_wait_loadcnt 0x0
	s_delay_alu instid0(VALU_DEP_2) | instskip(NEXT) | instid1(VALU_DEP_1)
	v_dual_add_f32 v76, v76, v77 :: v_dual_sub_f32 v77, v103, v74
	v_add_f32_e32 v76, v76, v78
	s_delay_alu instid0(VALU_DEP_1)
	v_sub_f32_e32 v76, v102, v76
	scratch_store_b64 off, v[76:77], off offset:224
	v_cmpx_lt_u32_e32 27, v0
	s_cbranch_execz .LBB99_175
; %bb.174:
	scratch_load_b64 v[76:77], off, off offset:216
	v_mov_b32_e32 v74, v73
	scratch_store_b64 off, v[73:74], off offset:216
	s_wait_loadcnt 0x0
	ds_store_b64 v75, v[76:77]
.LBB99_175:
	s_wait_alu 0xfffe
	s_or_b32 exec_lo, exec_lo, s0
	s_wait_storecnt_dscnt 0x0
	s_barrier_signal -1
	s_barrier_wait -1
	global_inv scope:SCOPE_SE
	s_clause 0x4
	scratch_load_b128 v[76:79], off, off offset:224
	scratch_load_b128 v[80:83], off, off offset:240
	;; [unrolled: 1-line block ×4, first 2 shown]
	scratch_load_b64 v[108:109], off, off offset:216
	ds_load_b128 v[92:95], v73 offset:512
	ds_load_b128 v[96:99], v73 offset:528
	;; [unrolled: 1-line block ×4, first 2 shown]
	s_mov_b32 s0, exec_lo
	s_wait_loadcnt_dscnt 0x403
	v_dual_mul_f32 v73, v92, v77 :: v_dual_mul_f32 v74, v94, v79
	v_mul_f32_e32 v77, v93, v77
	s_wait_loadcnt_dscnt 0x302
	v_dual_mul_f32 v79, v95, v79 :: v_dual_mul_f32 v110, v96, v81
	s_delay_alu instid0(VALU_DEP_3) | instskip(NEXT) | instid1(VALU_DEP_3)
	v_dual_mul_f32 v111, v98, v83 :: v_dual_fmac_f32 v74, v95, v78
	v_fma_f32 v77, v92, v76, -v77
	v_fmac_f32_e32 v73, v93, v76
	v_mul_f32_e32 v76, v97, v81
	v_fma_f32 v78, v94, v78, -v79
	v_mul_f32_e32 v79, v99, v83
	v_dual_add_f32 v77, 0, v77 :: v_dual_fmac_f32 v110, v97, v80
	s_delay_alu instid0(VALU_DEP_4) | instskip(SKIP_2) | instid1(VALU_DEP_3)
	v_fma_f32 v76, v96, v80, -v76
	s_wait_loadcnt_dscnt 0x201
	v_dual_mul_f32 v112, v100, v85 :: v_dual_mul_f32 v113, v102, v87
	v_add_f32_e32 v77, v77, v78
	v_fmac_f32_e32 v111, v99, v82
	v_fma_f32 v78, v98, v82, -v79
	s_wait_loadcnt_dscnt 0x100
	v_dual_mul_f32 v114, v104, v89 :: v_dual_mul_f32 v115, v106, v91
	v_dual_add_f32 v76, v77, v76 :: v_dual_mul_f32 v77, v103, v87
	v_dual_fmac_f32 v112, v101, v84 :: v_dual_fmac_f32 v113, v103, v86
	s_delay_alu instid0(VALU_DEP_3) | instskip(NEXT) | instid1(VALU_DEP_3)
	v_fmac_f32_e32 v114, v105, v88
	v_dual_add_f32 v76, v76, v78 :: v_dual_add_f32 v73, 0, v73
	v_mul_f32_e32 v78, v105, v89
	v_fma_f32 v77, v102, v86, -v77
	v_fmac_f32_e32 v115, v107, v90
	s_delay_alu instid0(VALU_DEP_4) | instskip(SKIP_2) | instid1(VALU_DEP_2)
	v_add_f32_e32 v73, v73, v74
	v_mul_f32_e32 v74, v101, v85
	v_fma_f32 v78, v104, v88, -v78
	v_fma_f32 v74, v100, v84, -v74
	s_delay_alu instid0(VALU_DEP_1) | instskip(SKIP_1) | instid1(VALU_DEP_2)
	v_add_f32_e32 v74, v76, v74
	v_mul_f32_e32 v76, v107, v91
	v_add_f32_e32 v74, v74, v77
	s_delay_alu instid0(VALU_DEP_2) | instskip(NEXT) | instid1(VALU_DEP_2)
	v_fma_f32 v76, v106, v90, -v76
	v_add_f32_e32 v74, v74, v78
	s_delay_alu instid0(VALU_DEP_1) | instskip(NEXT) | instid1(VALU_DEP_1)
	v_dual_add_f32 v73, v73, v110 :: v_dual_add_f32 v74, v74, v76
	v_add_f32_e32 v73, v73, v111
	s_delay_alu instid0(VALU_DEP_1) | instskip(NEXT) | instid1(VALU_DEP_1)
	v_add_f32_e32 v73, v73, v112
	v_add_f32_e32 v73, v73, v113
	s_delay_alu instid0(VALU_DEP_1) | instskip(SKIP_1) | instid1(VALU_DEP_1)
	v_add_f32_e32 v73, v73, v114
	s_wait_loadcnt 0x0
	v_dual_add_f32 v76, v73, v115 :: v_dual_sub_f32 v73, v108, v74
	s_delay_alu instid0(VALU_DEP_1)
	v_sub_f32_e32 v74, v109, v76
	scratch_store_b64 off, v[73:74], off offset:216
	v_cmpx_lt_u32_e32 26, v0
	s_cbranch_execz .LBB99_177
; %bb.176:
	scratch_load_b64 v[73:74], off, off offset:208
	v_mov_b32_e32 v76, 0
	s_delay_alu instid0(VALU_DEP_1)
	v_mov_b32_e32 v77, v76
	scratch_store_b64 off, v[76:77], off offset:208
	s_wait_loadcnt 0x0
	ds_store_b64 v75, v[73:74]
.LBB99_177:
	s_wait_alu 0xfffe
	s_or_b32 exec_lo, exec_lo, s0
	s_wait_storecnt_dscnt 0x0
	s_barrier_signal -1
	s_barrier_wait -1
	global_inv scope:SCOPE_SE
	s_clause 0x5
	scratch_load_b128 v[76:79], off, off offset:216
	scratch_load_b128 v[80:83], off, off offset:232
	;; [unrolled: 1-line block ×4, first 2 shown]
	scratch_load_b64 v[108:109], off, off offset:280
	scratch_load_b64 v[110:111], off, off offset:208
	v_mov_b32_e32 v73, 0
	ds_load_2addr_b64 v[92:95], v73 offset0:63 offset1:64
	ds_load_2addr_b64 v[96:99], v73 offset0:65 offset1:66
	;; [unrolled: 1-line block ×4, first 2 shown]
	ds_load_b64 v[112:113], v73 offset:568
	s_mov_b32 s0, exec_lo
	s_wait_loadcnt_dscnt 0x504
	v_mul_f32_e32 v74, v92, v77
	s_wait_loadcnt_dscnt 0x403
	v_dual_mul_f32 v114, v94, v79 :: v_dual_mul_f32 v115, v96, v81
	s_wait_loadcnt_dscnt 0x302
	v_dual_mul_f32 v118, v102, v87 :: v_dual_mul_f32 v77, v93, v77
	s_wait_loadcnt_dscnt 0x100
	v_dual_mul_f32 v121, v112, v109 :: v_dual_fmac_f32 v74, v93, v76
	v_mul_f32_e32 v79, v95, v79
	v_dual_mul_f32 v116, v98, v83 :: v_dual_mul_f32 v117, v100, v85
	v_fma_f32 v77, v92, v76, -v77
	v_fmac_f32_e32 v114, v95, v78
	v_add_f32_e32 v74, 0, v74
	v_mul_f32_e32 v76, v97, v81
	v_fma_f32 v78, v94, v78, -v79
	v_add_f32_e32 v77, 0, v77
	v_mul_f32_e32 v79, v99, v83
	v_dual_fmac_f32 v115, v97, v80 :: v_dual_add_f32 v74, v74, v114
	v_dual_fmac_f32 v116, v99, v82 :: v_dual_fmac_f32 v117, v101, v84
	s_delay_alu instid0(VALU_DEP_4) | instskip(SKIP_1) | instid1(VALU_DEP_4)
	v_add_f32_e32 v77, v77, v78
	v_dual_mul_f32 v119, v104, v89 :: v_dual_mul_f32 v120, v106, v91
	v_add_f32_e32 v74, v74, v115
	v_dual_fmac_f32 v118, v103, v86 :: v_dual_fmac_f32 v121, v113, v108
	s_delay_alu instid0(VALU_DEP_3) | instskip(NEXT) | instid1(VALU_DEP_3)
	v_dual_fmac_f32 v119, v105, v88 :: v_dual_fmac_f32 v120, v107, v90
	v_add_f32_e32 v74, v74, v116
	v_fma_f32 v76, v96, v80, -v76
	v_mul_f32_e32 v78, v101, v85
	v_fma_f32 v79, v98, v82, -v79
	s_delay_alu instid0(VALU_DEP_4) | instskip(NEXT) | instid1(VALU_DEP_1)
	v_add_f32_e32 v74, v74, v117
	v_add_f32_e32 v74, v74, v118
	s_delay_alu instid0(VALU_DEP_1) | instskip(NEXT) | instid1(VALU_DEP_1)
	v_add_f32_e32 v74, v74, v119
	v_add_f32_e32 v74, v74, v120
	s_delay_alu instid0(VALU_DEP_1) | instskip(SKIP_2) | instid1(VALU_DEP_2)
	v_add_f32_e32 v74, v74, v121
	v_dual_add_f32 v76, v77, v76 :: v_dual_mul_f32 v77, v103, v87
	v_fma_f32 v78, v100, v84, -v78
	v_dual_add_f32 v76, v76, v79 :: v_dual_mul_f32 v79, v105, v89
	s_delay_alu instid0(VALU_DEP_3) | instskip(NEXT) | instid1(VALU_DEP_2)
	v_fma_f32 v77, v102, v86, -v77
	v_add_f32_e32 v76, v76, v78
	v_mul_f32_e32 v78, v107, v91
	s_delay_alu instid0(VALU_DEP_4) | instskip(NEXT) | instid1(VALU_DEP_3)
	v_fma_f32 v79, v104, v88, -v79
	v_add_f32_e32 v76, v76, v77
	v_mul_f32_e32 v77, v113, v109
	s_delay_alu instid0(VALU_DEP_4) | instskip(NEXT) | instid1(VALU_DEP_3)
	v_fma_f32 v78, v106, v90, -v78
	v_add_f32_e32 v76, v76, v79
	s_delay_alu instid0(VALU_DEP_3) | instskip(NEXT) | instid1(VALU_DEP_2)
	v_fma_f32 v77, v112, v108, -v77
	v_add_f32_e32 v76, v76, v78
	s_wait_loadcnt 0x0
	s_delay_alu instid0(VALU_DEP_1) | instskip(NEXT) | instid1(VALU_DEP_1)
	v_dual_add_f32 v76, v76, v77 :: v_dual_sub_f32 v77, v111, v74
	v_sub_f32_e32 v76, v110, v76
	scratch_store_b64 off, v[76:77], off offset:208
	v_cmpx_lt_u32_e32 25, v0
	s_cbranch_execz .LBB99_179
; %bb.178:
	scratch_load_b64 v[76:77], off, off offset:200
	v_mov_b32_e32 v74, v73
	scratch_store_b64 off, v[73:74], off offset:200
	s_wait_loadcnt 0x0
	ds_store_b64 v75, v[76:77]
.LBB99_179:
	s_wait_alu 0xfffe
	s_or_b32 exec_lo, exec_lo, s0
	s_wait_storecnt_dscnt 0x0
	s_barrier_signal -1
	s_barrier_wait -1
	global_inv scope:SCOPE_SE
	s_clause 0x5
	scratch_load_b128 v[76:79], off, off offset:208
	scratch_load_b128 v[80:83], off, off offset:224
	;; [unrolled: 1-line block ×5, first 2 shown]
	scratch_load_b64 v[116:117], off, off offset:200
	ds_load_b128 v[96:99], v73 offset:496
	ds_load_b128 v[100:103], v73 offset:512
	;; [unrolled: 1-line block ×5, first 2 shown]
	s_mov_b32 s0, exec_lo
	s_wait_loadcnt_dscnt 0x504
	v_dual_mul_f32 v73, v96, v77 :: v_dual_mul_f32 v74, v98, v79
	v_mul_f32_e32 v77, v97, v77
	s_wait_loadcnt_dscnt 0x403
	v_dual_mul_f32 v79, v99, v79 :: v_dual_mul_f32 v118, v100, v81
	s_delay_alu instid0(VALU_DEP_3) | instskip(NEXT) | instid1(VALU_DEP_3)
	v_dual_mul_f32 v119, v102, v83 :: v_dual_fmac_f32 v74, v99, v78
	v_fma_f32 v77, v96, v76, -v77
	v_fmac_f32_e32 v73, v97, v76
	v_mul_f32_e32 v76, v101, v81
	v_fma_f32 v78, v98, v78, -v79
	v_mul_f32_e32 v79, v103, v83
	v_dual_add_f32 v77, 0, v77 :: v_dual_fmac_f32 v118, v101, v80
	s_delay_alu instid0(VALU_DEP_4) | instskip(SKIP_2) | instid1(VALU_DEP_3)
	v_fma_f32 v76, v100, v80, -v76
	s_wait_loadcnt_dscnt 0x302
	v_dual_mul_f32 v120, v104, v85 :: v_dual_mul_f32 v121, v106, v87
	v_add_f32_e32 v77, v77, v78
	v_fmac_f32_e32 v119, v103, v82
	v_fma_f32 v78, v102, v82, -v79
	s_wait_loadcnt_dscnt 0x201
	v_dual_mul_f32 v122, v108, v89 :: v_dual_mul_f32 v123, v110, v91
	v_dual_add_f32 v76, v77, v76 :: v_dual_mul_f32 v77, v107, v87
	v_fmac_f32_e32 v120, v105, v84
	s_wait_loadcnt_dscnt 0x100
	v_dual_mul_f32 v124, v112, v93 :: v_dual_mul_f32 v125, v114, v95
	s_delay_alu instid0(VALU_DEP_3) | instskip(SKIP_3) | instid1(VALU_DEP_4)
	v_dual_add_f32 v76, v76, v78 :: v_dual_add_f32 v73, 0, v73
	v_mul_f32_e32 v78, v109, v89
	v_fma_f32 v77, v106, v86, -v77
	v_dual_fmac_f32 v121, v107, v86 :: v_dual_fmac_f32 v122, v109, v88
	v_add_f32_e32 v73, v73, v74
	v_mul_f32_e32 v74, v105, v85
	v_fma_f32 v78, v108, v88, -v78
	v_dual_fmac_f32 v123, v111, v90 :: v_dual_fmac_f32 v124, v113, v92
	s_delay_alu instid0(VALU_DEP_3) | instskip(NEXT) | instid1(VALU_DEP_1)
	v_fma_f32 v74, v104, v84, -v74
	v_add_f32_e32 v74, v76, v74
	v_mul_f32_e32 v76, v111, v91
	s_delay_alu instid0(VALU_DEP_2) | instskip(SKIP_1) | instid1(VALU_DEP_3)
	v_dual_add_f32 v74, v74, v77 :: v_dual_add_f32 v73, v73, v118
	v_mul_f32_e32 v77, v113, v93
	v_fma_f32 v76, v110, v90, -v76
	s_delay_alu instid0(VALU_DEP_3) | instskip(SKIP_3) | instid1(VALU_DEP_4)
	v_add_f32_e32 v74, v74, v78
	v_mul_f32_e32 v78, v115, v95
	v_add_f32_e32 v73, v73, v119
	v_fma_f32 v77, v112, v92, -v77
	v_dual_add_f32 v74, v74, v76 :: v_dual_fmac_f32 v125, v115, v94
	s_delay_alu instid0(VALU_DEP_3) | instskip(SKIP_1) | instid1(VALU_DEP_3)
	v_add_f32_e32 v73, v73, v120
	v_fma_f32 v76, v114, v94, -v78
	v_add_f32_e32 v74, v74, v77
	s_delay_alu instid0(VALU_DEP_1) | instskip(NEXT) | instid1(VALU_DEP_1)
	v_dual_add_f32 v73, v73, v121 :: v_dual_add_f32 v74, v74, v76
	v_add_f32_e32 v73, v73, v122
	s_delay_alu instid0(VALU_DEP_1) | instskip(NEXT) | instid1(VALU_DEP_1)
	v_add_f32_e32 v73, v73, v123
	v_add_f32_e32 v73, v73, v124
	s_wait_loadcnt 0x0
	s_delay_alu instid0(VALU_DEP_1) | instskip(NEXT) | instid1(VALU_DEP_1)
	v_dual_add_f32 v76, v73, v125 :: v_dual_sub_f32 v73, v116, v74
	v_sub_f32_e32 v74, v117, v76
	scratch_store_b64 off, v[73:74], off offset:200
	v_cmpx_lt_u32_e32 24, v0
	s_cbranch_execz .LBB99_181
; %bb.180:
	scratch_load_b64 v[73:74], off, off offset:192
	v_mov_b32_e32 v76, 0
	s_delay_alu instid0(VALU_DEP_1)
	v_mov_b32_e32 v77, v76
	scratch_store_b64 off, v[76:77], off offset:192
	s_wait_loadcnt 0x0
	ds_store_b64 v75, v[73:74]
.LBB99_181:
	s_wait_alu 0xfffe
	s_or_b32 exec_lo, exec_lo, s0
	s_wait_storecnt_dscnt 0x0
	s_barrier_signal -1
	s_barrier_wait -1
	global_inv scope:SCOPE_SE
	s_clause 0x6
	scratch_load_b128 v[76:79], off, off offset:200
	scratch_load_b128 v[80:83], off, off offset:216
	;; [unrolled: 1-line block ×5, first 2 shown]
	scratch_load_b64 v[116:117], off, off offset:280
	scratch_load_b64 v[118:119], off, off offset:192
	v_mov_b32_e32 v73, 0
	ds_load_2addr_b64 v[96:99], v73 offset0:61 offset1:62
	ds_load_2addr_b64 v[100:103], v73 offset0:63 offset1:64
	;; [unrolled: 1-line block ×5, first 2 shown]
	ds_load_b64 v[120:121], v73 offset:568
	s_mov_b32 s0, exec_lo
	s_wait_loadcnt_dscnt 0x605
	v_mul_f32_e32 v74, v96, v77
	v_dual_mul_f32 v77, v97, v77 :: v_dual_mul_f32 v122, v98, v79
	s_wait_loadcnt_dscnt 0x302
	v_dual_mul_f32 v123, v100, v81 :: v_dual_mul_f32 v128, v110, v91
	s_wait_loadcnt_dscnt 0x100
	v_dual_mul_f32 v131, v120, v117 :: v_dual_fmac_f32 v74, v97, v76
	v_mul_f32_e32 v79, v99, v79
	v_fma_f32 v77, v96, v76, -v77
	v_mul_f32_e32 v76, v101, v81
	v_fmac_f32_e32 v122, v99, v78
	v_add_f32_e32 v74, 0, v74
	v_fma_f32 v78, v98, v78, -v79
	v_add_f32_e32 v77, 0, v77
	v_mul_f32_e32 v79, v103, v83
	s_delay_alu instid0(VALU_DEP_4) | instskip(SKIP_1) | instid1(VALU_DEP_4)
	v_dual_fmac_f32 v123, v101, v80 :: v_dual_add_f32 v74, v74, v122
	v_fma_f32 v76, v100, v80, -v76
	v_dual_add_f32 v77, v77, v78 :: v_dual_mul_f32 v124, v102, v83
	v_mul_f32_e32 v125, v104, v85
	v_mul_f32_e32 v78, v105, v85
	v_fma_f32 v79, v102, v82, -v79
	v_add_f32_e32 v74, v74, v123
	v_add_f32_e32 v76, v77, v76
	v_dual_fmac_f32 v124, v103, v82 :: v_dual_fmac_f32 v125, v105, v84
	v_mul_f32_e32 v77, v107, v87
	v_fma_f32 v78, v104, v84, -v78
	s_delay_alu instid0(VALU_DEP_4) | instskip(SKIP_4) | instid1(VALU_DEP_3)
	v_dual_add_f32 v76, v76, v79 :: v_dual_mul_f32 v79, v109, v89
	v_dual_mul_f32 v126, v106, v87 :: v_dual_mul_f32 v127, v108, v89
	v_dual_mul_f32 v129, v112, v93 :: v_dual_mul_f32 v130, v114, v95
	v_add_f32_e32 v74, v74, v124
	v_fma_f32 v77, v106, v86, -v77
	v_dual_add_f32 v76, v76, v78 :: v_dual_fmac_f32 v129, v113, v92
	v_dual_fmac_f32 v126, v107, v86 :: v_dual_fmac_f32 v127, v109, v88
	v_mul_f32_e32 v78, v111, v91
	s_delay_alu instid0(VALU_DEP_3)
	v_add_f32_e32 v76, v76, v77
	v_mul_f32_e32 v77, v113, v93
	v_dual_add_f32 v74, v74, v125 :: v_dual_fmac_f32 v131, v121, v116
	v_fma_f32 v79, v108, v88, -v79
	v_fmac_f32_e32 v128, v111, v90
	v_fma_f32 v78, v110, v90, -v78
	s_delay_alu instid0(VALU_DEP_4)
	v_add_f32_e32 v74, v74, v126
	v_fma_f32 v77, v112, v92, -v77
	v_add_f32_e32 v76, v76, v79
	v_mul_f32_e32 v79, v115, v95
	v_fmac_f32_e32 v130, v115, v94
	v_add_f32_e32 v74, v74, v127
	s_delay_alu instid0(VALU_DEP_4) | instskip(SKIP_2) | instid1(VALU_DEP_4)
	v_add_f32_e32 v76, v76, v78
	v_mul_f32_e32 v78, v121, v117
	v_fma_f32 v79, v114, v94, -v79
	v_add_f32_e32 v74, v74, v128
	s_delay_alu instid0(VALU_DEP_4) | instskip(NEXT) | instid1(VALU_DEP_4)
	v_add_f32_e32 v76, v76, v77
	v_fma_f32 v77, v120, v116, -v78
	s_delay_alu instid0(VALU_DEP_3) | instskip(NEXT) | instid1(VALU_DEP_3)
	v_add_f32_e32 v74, v74, v129
	v_add_f32_e32 v76, v76, v79
	s_delay_alu instid0(VALU_DEP_2) | instskip(NEXT) | instid1(VALU_DEP_2)
	v_add_f32_e32 v74, v74, v130
	v_add_f32_e32 v76, v76, v77
	s_delay_alu instid0(VALU_DEP_2) | instskip(SKIP_1) | instid1(VALU_DEP_1)
	v_add_f32_e32 v74, v74, v131
	s_wait_loadcnt 0x0
	v_dual_sub_f32 v76, v118, v76 :: v_dual_sub_f32 v77, v119, v74
	scratch_store_b64 off, v[76:77], off offset:192
	v_cmpx_lt_u32_e32 23, v0
	s_cbranch_execz .LBB99_183
; %bb.182:
	scratch_load_b64 v[76:77], off, off offset:184
	v_mov_b32_e32 v74, v73
	scratch_store_b64 off, v[73:74], off offset:184
	s_wait_loadcnt 0x0
	ds_store_b64 v75, v[76:77]
.LBB99_183:
	s_wait_alu 0xfffe
	s_or_b32 exec_lo, exec_lo, s0
	s_wait_storecnt_dscnt 0x0
	s_barrier_signal -1
	s_barrier_wait -1
	global_inv scope:SCOPE_SE
	s_clause 0x6
	scratch_load_b128 v[76:79], off, off offset:192
	scratch_load_b128 v[80:83], off, off offset:208
	;; [unrolled: 1-line block ×6, first 2 shown]
	scratch_load_b64 v[124:125], off, off offset:184
	ds_load_b128 v[100:103], v73 offset:480
	ds_load_b128 v[104:107], v73 offset:496
	;; [unrolled: 1-line block ×6, first 2 shown]
	s_mov_b32 s0, exec_lo
	s_wait_loadcnt_dscnt 0x605
	v_dual_mul_f32 v73, v100, v77 :: v_dual_mul_f32 v74, v102, v79
	v_mul_f32_e32 v77, v101, v77
	s_wait_loadcnt_dscnt 0x504
	v_dual_mul_f32 v79, v103, v79 :: v_dual_mul_f32 v126, v104, v81
	s_delay_alu instid0(VALU_DEP_3) | instskip(NEXT) | instid1(VALU_DEP_3)
	v_dual_mul_f32 v127, v106, v83 :: v_dual_fmac_f32 v74, v103, v78
	v_fma_f32 v77, v100, v76, -v77
	v_fmac_f32_e32 v73, v101, v76
	v_mul_f32_e32 v76, v105, v81
	v_fma_f32 v78, v102, v78, -v79
	v_mul_f32_e32 v79, v107, v83
	v_dual_add_f32 v77, 0, v77 :: v_dual_fmac_f32 v126, v105, v80
	s_delay_alu instid0(VALU_DEP_4) | instskip(SKIP_2) | instid1(VALU_DEP_3)
	v_fma_f32 v76, v104, v80, -v76
	s_wait_loadcnt_dscnt 0x403
	v_dual_mul_f32 v128, v108, v85 :: v_dual_mul_f32 v129, v110, v87
	v_add_f32_e32 v77, v77, v78
	v_fmac_f32_e32 v127, v107, v82
	v_fma_f32 v78, v106, v82, -v79
	s_wait_loadcnt_dscnt 0x302
	v_dual_mul_f32 v130, v112, v89 :: v_dual_mul_f32 v131, v114, v91
	v_dual_add_f32 v76, v77, v76 :: v_dual_mul_f32 v77, v111, v87
	v_fmac_f32_e32 v128, v109, v84
	s_wait_loadcnt_dscnt 0x201
	v_dual_mul_f32 v132, v116, v93 :: v_dual_mul_f32 v133, v118, v95
	s_delay_alu instid0(VALU_DEP_3) | instskip(SKIP_3) | instid1(VALU_DEP_4)
	v_dual_add_f32 v76, v76, v78 :: v_dual_add_f32 v73, 0, v73
	v_mul_f32_e32 v78, v113, v89
	v_fma_f32 v77, v110, v86, -v77
	v_dual_fmac_f32 v129, v111, v86 :: v_dual_fmac_f32 v130, v113, v88
	v_add_f32_e32 v73, v73, v74
	v_mul_f32_e32 v74, v109, v85
	v_fma_f32 v78, v112, v88, -v78
	v_dual_fmac_f32 v131, v115, v90 :: v_dual_fmac_f32 v132, v117, v92
	s_wait_loadcnt_dscnt 0x100
	v_dual_mul_f32 v134, v120, v97 :: v_dual_mul_f32 v135, v122, v99
	v_fma_f32 v74, v108, v84, -v74
	s_delay_alu instid0(VALU_DEP_2) | instskip(NEXT) | instid1(VALU_DEP_3)
	v_dual_fmac_f32 v133, v119, v94 :: v_dual_fmac_f32 v134, v121, v96
	v_fmac_f32_e32 v135, v123, v98
	s_delay_alu instid0(VALU_DEP_3) | instskip(SKIP_1) | instid1(VALU_DEP_2)
	v_add_f32_e32 v74, v76, v74
	v_mul_f32_e32 v76, v115, v91
	v_dual_add_f32 v74, v74, v77 :: v_dual_add_f32 v73, v73, v126
	v_mul_f32_e32 v77, v117, v93
	s_delay_alu instid0(VALU_DEP_3) | instskip(NEXT) | instid1(VALU_DEP_3)
	v_fma_f32 v76, v114, v90, -v76
	v_add_f32_e32 v74, v74, v78
	v_mul_f32_e32 v78, v119, v95
	v_add_f32_e32 v73, v73, v127
	v_fma_f32 v77, v116, v92, -v77
	s_delay_alu instid0(VALU_DEP_4) | instskip(SKIP_1) | instid1(VALU_DEP_4)
	v_add_f32_e32 v74, v74, v76
	v_mul_f32_e32 v76, v121, v97
	v_add_f32_e32 v73, v73, v128
	v_fma_f32 v78, v118, v94, -v78
	s_delay_alu instid0(VALU_DEP_4) | instskip(NEXT) | instid1(VALU_DEP_3)
	v_dual_add_f32 v74, v74, v77 :: v_dual_mul_f32 v77, v123, v99
	v_add_f32_e32 v73, v73, v129
	v_fma_f32 v76, v120, v96, -v76
	s_delay_alu instid0(VALU_DEP_3) | instskip(NEXT) | instid1(VALU_DEP_4)
	v_add_f32_e32 v74, v74, v78
	v_fma_f32 v77, v122, v98, -v77
	s_delay_alu instid0(VALU_DEP_2) | instskip(NEXT) | instid1(VALU_DEP_1)
	v_dual_add_f32 v73, v73, v130 :: v_dual_add_f32 v74, v74, v76
	v_dual_add_f32 v73, v73, v131 :: v_dual_add_f32 v74, v74, v77
	s_delay_alu instid0(VALU_DEP_1) | instskip(NEXT) | instid1(VALU_DEP_1)
	v_add_f32_e32 v73, v73, v132
	v_add_f32_e32 v73, v73, v133
	s_delay_alu instid0(VALU_DEP_1) | instskip(SKIP_1) | instid1(VALU_DEP_1)
	v_add_f32_e32 v73, v73, v134
	s_wait_loadcnt 0x0
	v_dual_add_f32 v76, v73, v135 :: v_dual_sub_f32 v73, v124, v74
	s_delay_alu instid0(VALU_DEP_1)
	v_sub_f32_e32 v74, v125, v76
	scratch_store_b64 off, v[73:74], off offset:184
	v_cmpx_lt_u32_e32 22, v0
	s_cbranch_execz .LBB99_185
; %bb.184:
	scratch_load_b64 v[73:74], off, off offset:176
	v_mov_b32_e32 v76, 0
	s_delay_alu instid0(VALU_DEP_1)
	v_mov_b32_e32 v77, v76
	scratch_store_b64 off, v[76:77], off offset:176
	s_wait_loadcnt 0x0
	ds_store_b64 v75, v[73:74]
.LBB99_185:
	s_wait_alu 0xfffe
	s_or_b32 exec_lo, exec_lo, s0
	s_wait_storecnt_dscnt 0x0
	s_barrier_signal -1
	s_barrier_wait -1
	global_inv scope:SCOPE_SE
	s_clause 0x7
	scratch_load_b128 v[76:79], off, off offset:184
	scratch_load_b128 v[80:83], off, off offset:200
	;; [unrolled: 1-line block ×6, first 2 shown]
	scratch_load_b64 v[124:125], off, off offset:280
	scratch_load_b64 v[126:127], off, off offset:176
	v_mov_b32_e32 v73, 0
	ds_load_2addr_b64 v[100:103], v73 offset0:59 offset1:60
	ds_load_2addr_b64 v[104:107], v73 offset0:61 offset1:62
	;; [unrolled: 1-line block ×6, first 2 shown]
	ds_load_b64 v[128:129], v73 offset:568
	s_mov_b32 s0, exec_lo
	s_wait_loadcnt_dscnt 0x706
	v_mul_f32_e32 v74, v100, v77
	v_dual_mul_f32 v77, v101, v77 :: v_dual_mul_f32 v130, v102, v79
	s_wait_loadcnt_dscnt 0x302
	v_dual_mul_f32 v131, v104, v81 :: v_dual_mul_f32 v138, v118, v95
	v_mul_f32_e32 v79, v103, v79
	s_wait_loadcnt_dscnt 0x100
	v_dual_mul_f32 v141, v128, v125 :: v_dual_fmac_f32 v74, v101, v76
	v_fma_f32 v77, v100, v76, -v77
	v_mul_f32_e32 v76, v105, v81
	v_fmac_f32_e32 v130, v103, v78
	v_fma_f32 v78, v102, v78, -v79
	v_dual_add_f32 v74, 0, v74 :: v_dual_mul_f32 v79, v107, v83
	v_add_f32_e32 v77, 0, v77
	v_fmac_f32_e32 v131, v105, v80
	v_fma_f32 v76, v104, v80, -v76
	s_delay_alu instid0(VALU_DEP_4)
	v_add_f32_e32 v74, v74, v130
	v_fma_f32 v79, v106, v82, -v79
	v_add_f32_e32 v77, v77, v78
	v_mul_f32_e32 v78, v109, v85
	v_dual_mul_f32 v132, v106, v83 :: v_dual_mul_f32 v133, v108, v85
	v_add_f32_e32 v74, v74, v131
	s_delay_alu instid0(VALU_DEP_4) | instskip(NEXT) | instid1(VALU_DEP_4)
	v_dual_add_f32 v76, v77, v76 :: v_dual_mul_f32 v77, v111, v87
	v_fma_f32 v78, v108, v84, -v78
	v_dual_mul_f32 v136, v114, v91 :: v_dual_mul_f32 v137, v116, v93
	s_delay_alu instid0(VALU_DEP_3) | instskip(NEXT) | instid1(VALU_DEP_4)
	v_dual_add_f32 v76, v76, v79 :: v_dual_mul_f32 v79, v113, v89
	v_fma_f32 v77, v110, v86, -v77
	v_dual_mul_f32 v139, v120, v97 :: v_dual_mul_f32 v140, v122, v99
	s_delay_alu instid0(VALU_DEP_3) | instskip(SKIP_1) | instid1(VALU_DEP_3)
	v_dual_add_f32 v76, v76, v78 :: v_dual_fmac_f32 v137, v117, v92
	v_dual_fmac_f32 v132, v107, v82 :: v_dual_fmac_f32 v133, v109, v84
	v_dual_mul_f32 v78, v115, v91 :: v_dual_fmac_f32 v139, v121, v96
	v_fma_f32 v79, v112, v88, -v79
	s_delay_alu instid0(VALU_DEP_4) | instskip(SKIP_3) | instid1(VALU_DEP_4)
	v_dual_add_f32 v76, v76, v77 :: v_dual_fmac_f32 v141, v129, v124
	v_dual_mul_f32 v134, v110, v87 :: v_dual_mul_f32 v135, v112, v89
	v_dual_add_f32 v74, v74, v132 :: v_dual_mul_f32 v77, v117, v93
	v_fma_f32 v78, v114, v90, -v78
	v_add_f32_e32 v76, v76, v79
	s_delay_alu instid0(VALU_DEP_4) | instskip(NEXT) | instid1(VALU_DEP_4)
	v_dual_fmac_f32 v134, v111, v86 :: v_dual_fmac_f32 v135, v113, v88
	v_dual_add_f32 v74, v74, v133 :: v_dual_mul_f32 v79, v119, v95
	v_fma_f32 v77, v116, v92, -v77
	s_delay_alu instid0(VALU_DEP_4)
	v_add_f32_e32 v76, v76, v78
	v_fmac_f32_e32 v136, v115, v90
	v_mul_f32_e32 v78, v121, v97
	v_fma_f32 v79, v118, v94, -v79
	v_fmac_f32_e32 v138, v119, v94
	v_dual_add_f32 v76, v76, v77 :: v_dual_mul_f32 v77, v123, v99
	v_add_f32_e32 v74, v74, v134
	v_fma_f32 v78, v120, v96, -v78
	v_fmac_f32_e32 v140, v123, v98
	s_delay_alu instid0(VALU_DEP_4) | instskip(NEXT) | instid1(VALU_DEP_4)
	v_dual_add_f32 v76, v76, v79 :: v_dual_mul_f32 v79, v129, v125
	v_add_f32_e32 v74, v74, v135
	v_fma_f32 v77, v122, v98, -v77
	s_delay_alu instid0(VALU_DEP_3) | instskip(NEXT) | instid1(VALU_DEP_4)
	v_add_f32_e32 v76, v76, v78
	v_fma_f32 v78, v128, v124, -v79
	s_delay_alu instid0(VALU_DEP_4) | instskip(NEXT) | instid1(VALU_DEP_3)
	v_add_f32_e32 v74, v74, v136
	v_add_f32_e32 v76, v76, v77
	s_delay_alu instid0(VALU_DEP_2) | instskip(NEXT) | instid1(VALU_DEP_2)
	v_add_f32_e32 v74, v74, v137
	v_add_f32_e32 v76, v76, v78
	s_delay_alu instid0(VALU_DEP_2) | instskip(SKIP_1) | instid1(VALU_DEP_2)
	v_add_f32_e32 v74, v74, v138
	s_wait_loadcnt 0x0
	v_sub_f32_e32 v76, v126, v76
	s_delay_alu instid0(VALU_DEP_2) | instskip(NEXT) | instid1(VALU_DEP_1)
	v_add_f32_e32 v74, v74, v139
	v_add_f32_e32 v74, v74, v140
	s_delay_alu instid0(VALU_DEP_1) | instskip(NEXT) | instid1(VALU_DEP_1)
	v_add_f32_e32 v74, v74, v141
	v_sub_f32_e32 v77, v127, v74
	scratch_store_b64 off, v[76:77], off offset:176
	v_cmpx_lt_u32_e32 21, v0
	s_cbranch_execz .LBB99_187
; %bb.186:
	scratch_load_b64 v[76:77], off, off offset:168
	v_mov_b32_e32 v74, v73
	scratch_store_b64 off, v[73:74], off offset:168
	s_wait_loadcnt 0x0
	ds_store_b64 v75, v[76:77]
.LBB99_187:
	s_wait_alu 0xfffe
	s_or_b32 exec_lo, exec_lo, s0
	s_wait_storecnt_dscnt 0x0
	s_barrier_signal -1
	s_barrier_wait -1
	global_inv scope:SCOPE_SE
	s_clause 0x7
	scratch_load_b128 v[76:79], off, off offset:176
	scratch_load_b128 v[80:83], off, off offset:192
	;; [unrolled: 1-line block ×7, first 2 shown]
	scratch_load_b64 v[132:133], off, off offset:168
	ds_load_b128 v[104:107], v73 offset:464
	ds_load_b128 v[108:111], v73 offset:480
	;; [unrolled: 1-line block ×7, first 2 shown]
	s_mov_b32 s0, exec_lo
	s_wait_loadcnt_dscnt 0x706
	v_dual_mul_f32 v73, v104, v77 :: v_dual_mul_f32 v74, v106, v79
	v_mul_f32_e32 v77, v105, v77
	s_wait_loadcnt_dscnt 0x605
	v_dual_mul_f32 v79, v107, v79 :: v_dual_mul_f32 v134, v108, v81
	s_delay_alu instid0(VALU_DEP_3) | instskip(NEXT) | instid1(VALU_DEP_3)
	v_dual_mul_f32 v135, v110, v83 :: v_dual_fmac_f32 v74, v107, v78
	v_fma_f32 v77, v104, v76, -v77
	v_fmac_f32_e32 v73, v105, v76
	v_mul_f32_e32 v76, v109, v81
	v_fma_f32 v78, v106, v78, -v79
	v_mul_f32_e32 v79, v111, v83
	v_dual_add_f32 v77, 0, v77 :: v_dual_fmac_f32 v134, v109, v80
	s_delay_alu instid0(VALU_DEP_4) | instskip(SKIP_2) | instid1(VALU_DEP_3)
	v_fma_f32 v76, v108, v80, -v76
	s_wait_loadcnt_dscnt 0x504
	v_dual_mul_f32 v136, v112, v85 :: v_dual_mul_f32 v137, v114, v87
	v_add_f32_e32 v77, v77, v78
	v_fmac_f32_e32 v135, v111, v82
	v_fma_f32 v78, v110, v82, -v79
	s_wait_loadcnt_dscnt 0x403
	v_dual_mul_f32 v138, v116, v89 :: v_dual_mul_f32 v139, v118, v91
	v_dual_add_f32 v76, v77, v76 :: v_dual_mul_f32 v77, v115, v87
	v_fmac_f32_e32 v136, v113, v84
	s_wait_loadcnt_dscnt 0x302
	v_dual_mul_f32 v140, v120, v93 :: v_dual_mul_f32 v141, v122, v95
	s_delay_alu instid0(VALU_DEP_3) | instskip(SKIP_3) | instid1(VALU_DEP_4)
	v_dual_add_f32 v76, v76, v78 :: v_dual_add_f32 v73, 0, v73
	v_mul_f32_e32 v78, v117, v89
	v_fma_f32 v77, v114, v86, -v77
	v_dual_fmac_f32 v137, v115, v86 :: v_dual_fmac_f32 v138, v117, v88
	v_add_f32_e32 v73, v73, v74
	v_mul_f32_e32 v74, v113, v85
	v_fma_f32 v78, v116, v88, -v78
	v_dual_fmac_f32 v139, v119, v90 :: v_dual_fmac_f32 v140, v121, v92
	s_wait_loadcnt_dscnt 0x201
	v_dual_mul_f32 v142, v124, v97 :: v_dual_mul_f32 v143, v126, v99
	v_fma_f32 v74, v112, v84, -v74
	s_wait_loadcnt_dscnt 0x100
	v_dual_mul_f32 v144, v128, v101 :: v_dual_mul_f32 v145, v130, v103
	s_delay_alu instid0(VALU_DEP_3) | instskip(NEXT) | instid1(VALU_DEP_3)
	v_dual_fmac_f32 v141, v123, v94 :: v_dual_fmac_f32 v142, v125, v96
	v_add_f32_e32 v74, v76, v74
	v_mul_f32_e32 v76, v119, v91
	s_delay_alu instid0(VALU_DEP_4) | instskip(NEXT) | instid1(VALU_DEP_3)
	v_dual_fmac_f32 v144, v129, v100 :: v_dual_fmac_f32 v145, v131, v102
	v_dual_fmac_f32 v143, v127, v98 :: v_dual_add_f32 v74, v74, v77
	v_add_f32_e32 v73, v73, v134
	v_mul_f32_e32 v77, v121, v93
	v_fma_f32 v76, v118, v90, -v76
	s_delay_alu instid0(VALU_DEP_4) | instskip(SKIP_3) | instid1(VALU_DEP_4)
	v_add_f32_e32 v74, v74, v78
	v_mul_f32_e32 v78, v123, v95
	v_add_f32_e32 v73, v73, v135
	v_fma_f32 v77, v120, v92, -v77
	v_add_f32_e32 v74, v74, v76
	v_mul_f32_e32 v76, v125, v97
	s_delay_alu instid0(VALU_DEP_4) | instskip(SKIP_1) | instid1(VALU_DEP_4)
	v_add_f32_e32 v73, v73, v136
	v_fma_f32 v78, v122, v94, -v78
	v_dual_add_f32 v74, v74, v77 :: v_dual_mul_f32 v77, v127, v99
	s_delay_alu instid0(VALU_DEP_3) | instskip(SKIP_1) | instid1(VALU_DEP_3)
	v_add_f32_e32 v73, v73, v137
	v_fma_f32 v76, v124, v96, -v76
	v_add_f32_e32 v74, v74, v78
	s_delay_alu instid0(VALU_DEP_4) | instskip(NEXT) | instid1(VALU_DEP_4)
	v_fma_f32 v77, v126, v98, -v77
	v_add_f32_e32 v73, v73, v138
	v_mul_f32_e32 v78, v129, v101
	s_delay_alu instid0(VALU_DEP_4) | instskip(SKIP_1) | instid1(VALU_DEP_4)
	v_add_f32_e32 v74, v74, v76
	v_mul_f32_e32 v76, v131, v103
	v_add_f32_e32 v73, v73, v139
	s_delay_alu instid0(VALU_DEP_4) | instskip(NEXT) | instid1(VALU_DEP_4)
	v_fma_f32 v78, v128, v100, -v78
	v_add_f32_e32 v74, v74, v77
	s_delay_alu instid0(VALU_DEP_4) | instskip(NEXT) | instid1(VALU_DEP_2)
	v_fma_f32 v76, v130, v102, -v76
	v_dual_add_f32 v73, v73, v140 :: v_dual_add_f32 v74, v74, v78
	s_delay_alu instid0(VALU_DEP_1) | instskip(NEXT) | instid1(VALU_DEP_1)
	v_dual_add_f32 v73, v73, v141 :: v_dual_add_f32 v74, v74, v76
	v_add_f32_e32 v73, v73, v142
	s_delay_alu instid0(VALU_DEP_1) | instskip(NEXT) | instid1(VALU_DEP_1)
	v_add_f32_e32 v73, v73, v143
	v_add_f32_e32 v73, v73, v144
	s_wait_loadcnt 0x0
	s_delay_alu instid0(VALU_DEP_1) | instskip(NEXT) | instid1(VALU_DEP_1)
	v_dual_add_f32 v76, v73, v145 :: v_dual_sub_f32 v73, v132, v74
	v_sub_f32_e32 v74, v133, v76
	scratch_store_b64 off, v[73:74], off offset:168
	v_cmpx_lt_u32_e32 20, v0
	s_cbranch_execz .LBB99_189
; %bb.188:
	scratch_load_b64 v[73:74], off, off offset:160
	v_mov_b32_e32 v76, 0
	s_delay_alu instid0(VALU_DEP_1)
	v_mov_b32_e32 v77, v76
	scratch_store_b64 off, v[76:77], off offset:160
	s_wait_loadcnt 0x0
	ds_store_b64 v75, v[73:74]
.LBB99_189:
	s_wait_alu 0xfffe
	s_or_b32 exec_lo, exec_lo, s0
	s_wait_storecnt_dscnt 0x0
	s_barrier_signal -1
	s_barrier_wait -1
	global_inv scope:SCOPE_SE
	s_clause 0x8
	scratch_load_b128 v[76:79], off, off offset:168
	scratch_load_b128 v[80:83], off, off offset:184
	scratch_load_b128 v[84:87], off, off offset:200
	scratch_load_b128 v[88:91], off, off offset:216
	scratch_load_b128 v[92:95], off, off offset:232
	scratch_load_b128 v[96:99], off, off offset:248
	scratch_load_b128 v[100:103], off, off offset:264
	scratch_load_b64 v[132:133], off, off offset:280
	scratch_load_b64 v[134:135], off, off offset:160
	v_mov_b32_e32 v73, 0
	ds_load_2addr_b64 v[104:107], v73 offset0:57 offset1:58
	ds_load_2addr_b64 v[108:111], v73 offset0:59 offset1:60
	;; [unrolled: 1-line block ×7, first 2 shown]
	ds_load_b64 v[136:137], v73 offset:568
	s_mov_b32 s0, exec_lo
	s_wait_loadcnt_dscnt 0x807
	v_mul_f32_e32 v74, v104, v77
	v_dual_mul_f32 v77, v105, v77 :: v_dual_mul_f32 v138, v106, v79
	s_wait_loadcnt_dscnt 0x706
	v_mul_f32_e32 v139, v108, v81
	v_mul_f32_e32 v79, v107, v79
	s_wait_loadcnt_dscnt 0x302
	v_mul_f32_e32 v148, v126, v99
	v_fma_f32 v77, v104, v76, -v77
	s_wait_loadcnt_dscnt 0x100
	v_dual_mul_f32 v151, v136, v133 :: v_dual_fmac_f32 v74, v105, v76
	v_mul_f32_e32 v76, v109, v81
	s_delay_alu instid0(VALU_DEP_3) | instskip(SKIP_1) | instid1(VALU_DEP_4)
	v_dual_fmac_f32 v138, v107, v78 :: v_dual_add_f32 v77, 0, v77
	v_fma_f32 v78, v106, v78, -v79
	v_dual_add_f32 v74, 0, v74 :: v_dual_mul_f32 v79, v111, v83
	v_fmac_f32_e32 v139, v109, v80
	v_fma_f32 v76, v108, v80, -v76
	v_dual_mul_f32 v140, v110, v83 :: v_dual_mul_f32 v141, v112, v85
	s_delay_alu instid0(VALU_DEP_4)
	v_add_f32_e32 v74, v74, v138
	v_add_f32_e32 v77, v77, v78
	v_mul_f32_e32 v78, v113, v85
	v_fma_f32 v79, v110, v82, -v79
	v_dual_mul_f32 v144, v118, v91 :: v_dual_mul_f32 v145, v120, v93
	v_add_f32_e32 v74, v74, v139
	v_dual_add_f32 v76, v77, v76 :: v_dual_mul_f32 v77, v115, v87
	v_fma_f32 v78, v112, v84, -v78
	v_dual_mul_f32 v146, v122, v95 :: v_dual_mul_f32 v147, v124, v97
	s_delay_alu instid0(VALU_DEP_3) | instskip(NEXT) | instid1(VALU_DEP_4)
	v_dual_add_f32 v76, v76, v79 :: v_dual_mul_f32 v79, v117, v89
	v_fma_f32 v77, v114, v86, -v77
	v_dual_mul_f32 v149, v128, v101 :: v_dual_mul_f32 v150, v130, v103
	s_delay_alu instid0(VALU_DEP_3) | instskip(SKIP_3) | instid1(VALU_DEP_4)
	v_dual_add_f32 v76, v76, v78 :: v_dual_fmac_f32 v145, v121, v92
	v_dual_fmac_f32 v140, v111, v82 :: v_dual_fmac_f32 v141, v113, v84
	v_dual_mul_f32 v78, v119, v91 :: v_dual_fmac_f32 v147, v125, v96
	v_fma_f32 v79, v116, v88, -v79
	v_dual_add_f32 v76, v76, v77 :: v_dual_fmac_f32 v149, v129, v100
	s_delay_alu instid0(VALU_DEP_4) | instskip(NEXT) | instid1(VALU_DEP_4)
	v_dual_add_f32 v74, v74, v140 :: v_dual_mul_f32 v77, v121, v93
	v_fma_f32 v78, v118, v90, -v78
	s_delay_alu instid0(VALU_DEP_3) | instskip(SKIP_3) | instid1(VALU_DEP_4)
	v_dual_add_f32 v76, v76, v79 :: v_dual_fmac_f32 v151, v137, v132
	v_dual_mul_f32 v142, v114, v87 :: v_dual_mul_f32 v143, v116, v89
	v_mul_f32_e32 v79, v123, v95
	v_fma_f32 v77, v120, v92, -v77
	v_add_f32_e32 v76, v76, v78
	s_delay_alu instid0(VALU_DEP_4) | instskip(SKIP_4) | instid1(VALU_DEP_4)
	v_dual_fmac_f32 v142, v115, v86 :: v_dual_fmac_f32 v143, v117, v88
	v_add_f32_e32 v74, v74, v141
	v_mul_f32_e32 v78, v125, v97
	v_fma_f32 v79, v122, v94, -v79
	v_dual_add_f32 v76, v76, v77 :: v_dual_mul_f32 v77, v127, v99
	v_add_f32_e32 v74, v74, v142
	s_delay_alu instid0(VALU_DEP_4) | instskip(SKIP_1) | instid1(VALU_DEP_4)
	v_fma_f32 v78, v124, v96, -v78
	v_fmac_f32_e32 v144, v119, v90
	v_dual_add_f32 v76, v76, v79 :: v_dual_mul_f32 v79, v129, v101
	s_delay_alu instid0(VALU_DEP_4) | instskip(SKIP_2) | instid1(VALU_DEP_4)
	v_add_f32_e32 v74, v74, v143
	v_fma_f32 v77, v126, v98, -v77
	v_fmac_f32_e32 v146, v123, v94
	v_add_f32_e32 v76, v76, v78
	v_fmac_f32_e32 v148, v127, v98
	v_mul_f32_e32 v78, v131, v103
	v_fma_f32 v79, v128, v100, -v79
	v_fmac_f32_e32 v150, v131, v102
	v_add_f32_e32 v76, v76, v77
	v_dual_mul_f32 v77, v137, v133 :: v_dual_add_f32 v74, v74, v144
	v_fma_f32 v78, v130, v102, -v78
	s_delay_alu instid0(VALU_DEP_3) | instskip(NEXT) | instid1(VALU_DEP_3)
	v_add_f32_e32 v76, v76, v79
	v_fma_f32 v77, v136, v132, -v77
	s_delay_alu instid0(VALU_DEP_4) | instskip(NEXT) | instid1(VALU_DEP_3)
	v_add_f32_e32 v74, v74, v145
	v_add_f32_e32 v76, v76, v78
	s_delay_alu instid0(VALU_DEP_2) | instskip(NEXT) | instid1(VALU_DEP_2)
	v_add_f32_e32 v74, v74, v146
	v_add_f32_e32 v76, v76, v77
	s_delay_alu instid0(VALU_DEP_2) | instskip(SKIP_1) | instid1(VALU_DEP_2)
	v_add_f32_e32 v74, v74, v147
	s_wait_loadcnt 0x0
	v_sub_f32_e32 v76, v134, v76
	s_delay_alu instid0(VALU_DEP_2) | instskip(NEXT) | instid1(VALU_DEP_1)
	v_add_f32_e32 v74, v74, v148
	v_add_f32_e32 v74, v74, v149
	s_delay_alu instid0(VALU_DEP_1) | instskip(NEXT) | instid1(VALU_DEP_1)
	v_add_f32_e32 v74, v74, v150
	v_add_f32_e32 v74, v74, v151
	s_delay_alu instid0(VALU_DEP_1)
	v_sub_f32_e32 v77, v135, v74
	scratch_store_b64 off, v[76:77], off offset:160
	v_cmpx_lt_u32_e32 19, v0
	s_cbranch_execz .LBB99_191
; %bb.190:
	scratch_load_b64 v[76:77], off, off offset:152
	v_mov_b32_e32 v74, v73
	scratch_store_b64 off, v[73:74], off offset:152
	s_wait_loadcnt 0x0
	ds_store_b64 v75, v[76:77]
.LBB99_191:
	s_wait_alu 0xfffe
	s_or_b32 exec_lo, exec_lo, s0
	s_wait_storecnt_dscnt 0x0
	s_barrier_signal -1
	s_barrier_wait -1
	global_inv scope:SCOPE_SE
	s_clause 0x8
	scratch_load_b128 v[76:79], off, off offset:160
	scratch_load_b128 v[80:83], off, off offset:176
	;; [unrolled: 1-line block ×8, first 2 shown]
	scratch_load_b64 v[140:141], off, off offset:152
	ds_load_b128 v[108:111], v73 offset:448
	ds_load_b128 v[112:115], v73 offset:464
	;; [unrolled: 1-line block ×8, first 2 shown]
	s_mov_b32 s0, exec_lo
	s_wait_loadcnt_dscnt 0x807
	v_dual_mul_f32 v73, v108, v77 :: v_dual_mul_f32 v74, v110, v79
	v_mul_f32_e32 v77, v109, v77
	s_wait_loadcnt_dscnt 0x706
	v_dual_mul_f32 v79, v111, v79 :: v_dual_mul_f32 v142, v112, v81
	s_delay_alu instid0(VALU_DEP_3) | instskip(NEXT) | instid1(VALU_DEP_3)
	v_dual_mul_f32 v143, v114, v83 :: v_dual_fmac_f32 v74, v111, v78
	v_fma_f32 v77, v108, v76, -v77
	v_fmac_f32_e32 v73, v109, v76
	v_mul_f32_e32 v76, v113, v81
	v_fma_f32 v78, v110, v78, -v79
	v_mul_f32_e32 v79, v115, v83
	v_dual_add_f32 v77, 0, v77 :: v_dual_fmac_f32 v142, v113, v80
	s_delay_alu instid0(VALU_DEP_4) | instskip(SKIP_2) | instid1(VALU_DEP_3)
	v_fma_f32 v76, v112, v80, -v76
	s_wait_loadcnt_dscnt 0x605
	v_dual_mul_f32 v144, v116, v85 :: v_dual_mul_f32 v145, v118, v87
	v_add_f32_e32 v77, v77, v78
	v_fmac_f32_e32 v143, v115, v82
	v_fma_f32 v78, v114, v82, -v79
	s_wait_loadcnt_dscnt 0x504
	v_dual_mul_f32 v146, v120, v89 :: v_dual_mul_f32 v147, v122, v91
	v_dual_add_f32 v76, v77, v76 :: v_dual_mul_f32 v77, v119, v87
	v_fmac_f32_e32 v144, v117, v84
	s_wait_loadcnt_dscnt 0x403
	v_dual_mul_f32 v148, v124, v93 :: v_dual_mul_f32 v149, v126, v95
	s_delay_alu instid0(VALU_DEP_3) | instskip(SKIP_3) | instid1(VALU_DEP_4)
	v_dual_add_f32 v76, v76, v78 :: v_dual_add_f32 v73, 0, v73
	v_mul_f32_e32 v78, v121, v89
	v_fma_f32 v77, v118, v86, -v77
	v_dual_fmac_f32 v145, v119, v86 :: v_dual_fmac_f32 v146, v121, v88
	v_add_f32_e32 v73, v73, v74
	v_mul_f32_e32 v74, v117, v85
	v_fma_f32 v78, v120, v88, -v78
	v_dual_fmac_f32 v147, v123, v90 :: v_dual_fmac_f32 v148, v125, v92
	s_wait_loadcnt_dscnt 0x302
	v_dual_mul_f32 v150, v128, v97 :: v_dual_mul_f32 v151, v130, v99
	v_fma_f32 v74, v116, v84, -v74
	s_wait_loadcnt_dscnt 0x201
	v_dual_mul_f32 v152, v132, v101 :: v_dual_mul_f32 v153, v134, v103
	s_wait_loadcnt_dscnt 0x100
	v_dual_mul_f32 v154, v136, v105 :: v_dual_mul_f32 v155, v138, v107
	v_add_f32_e32 v74, v76, v74
	v_mul_f32_e32 v76, v123, v91
	v_dual_fmac_f32 v152, v133, v100 :: v_dual_fmac_f32 v153, v135, v102
	s_delay_alu instid0(VALU_DEP_4) | instskip(NEXT) | instid1(VALU_DEP_4)
	v_dual_fmac_f32 v154, v137, v104 :: v_dual_fmac_f32 v155, v139, v106
	v_dual_add_f32 v74, v74, v77 :: v_dual_add_f32 v73, v73, v142
	v_mul_f32_e32 v77, v125, v93
	v_fma_f32 v76, v122, v90, -v76
	v_fmac_f32_e32 v149, v127, v94
	s_delay_alu instid0(VALU_DEP_4)
	v_add_f32_e32 v74, v74, v78
	v_mul_f32_e32 v78, v127, v95
	v_add_f32_e32 v73, v73, v143
	v_fma_f32 v77, v124, v92, -v77
	v_fmac_f32_e32 v150, v129, v96
	v_add_f32_e32 v74, v74, v76
	v_mul_f32_e32 v76, v129, v97
	v_add_f32_e32 v73, v73, v144
	v_fma_f32 v78, v126, v94, -v78
	s_delay_alu instid0(VALU_DEP_4) | instskip(SKIP_1) | instid1(VALU_DEP_4)
	v_dual_fmac_f32 v151, v131, v98 :: v_dual_add_f32 v74, v74, v77
	v_mul_f32_e32 v77, v131, v99
	v_add_f32_e32 v73, v73, v145
	v_fma_f32 v76, v128, v96, -v76
	s_delay_alu instid0(VALU_DEP_4) | instskip(NEXT) | instid1(VALU_DEP_4)
	v_add_f32_e32 v74, v74, v78
	v_fma_f32 v77, v130, v98, -v77
	s_delay_alu instid0(VALU_DEP_4) | instskip(SKIP_1) | instid1(VALU_DEP_4)
	v_add_f32_e32 v73, v73, v146
	v_mul_f32_e32 v78, v133, v101
	v_add_f32_e32 v74, v74, v76
	v_mul_f32_e32 v76, v135, v103
	s_delay_alu instid0(VALU_DEP_4) | instskip(NEXT) | instid1(VALU_DEP_4)
	v_add_f32_e32 v73, v73, v147
	v_fma_f32 v78, v132, v100, -v78
	s_delay_alu instid0(VALU_DEP_4) | instskip(SKIP_1) | instid1(VALU_DEP_4)
	v_add_f32_e32 v74, v74, v77
	v_mul_f32_e32 v77, v137, v105
	v_add_f32_e32 v73, v73, v148
	v_fma_f32 v76, v134, v102, -v76
	s_delay_alu instid0(VALU_DEP_4) | instskip(NEXT) | instid1(VALU_DEP_3)
	v_add_f32_e32 v74, v74, v78
	v_dual_mul_f32 v78, v139, v107 :: v_dual_add_f32 v73, v73, v149
	v_fma_f32 v77, v136, v104, -v77
	s_delay_alu instid0(VALU_DEP_3) | instskip(NEXT) | instid1(VALU_DEP_3)
	v_add_f32_e32 v74, v74, v76
	v_fma_f32 v76, v138, v106, -v78
	s_delay_alu instid0(VALU_DEP_2) | instskip(NEXT) | instid1(VALU_DEP_1)
	v_dual_add_f32 v73, v73, v150 :: v_dual_add_f32 v74, v74, v77
	v_dual_add_f32 v73, v73, v151 :: v_dual_add_f32 v74, v74, v76
	s_delay_alu instid0(VALU_DEP_1) | instskip(NEXT) | instid1(VALU_DEP_1)
	v_add_f32_e32 v73, v73, v152
	v_add_f32_e32 v73, v73, v153
	s_delay_alu instid0(VALU_DEP_1) | instskip(SKIP_1) | instid1(VALU_DEP_1)
	v_add_f32_e32 v73, v73, v154
	s_wait_loadcnt 0x0
	v_dual_add_f32 v76, v73, v155 :: v_dual_sub_f32 v73, v140, v74
	s_delay_alu instid0(VALU_DEP_1)
	v_sub_f32_e32 v74, v141, v76
	scratch_store_b64 off, v[73:74], off offset:152
	v_cmpx_lt_u32_e32 18, v0
	s_cbranch_execz .LBB99_193
; %bb.192:
	scratch_load_b64 v[73:74], off, off offset:144
	v_mov_b32_e32 v76, 0
	s_delay_alu instid0(VALU_DEP_1)
	v_mov_b32_e32 v77, v76
	scratch_store_b64 off, v[76:77], off offset:144
	s_wait_loadcnt 0x0
	ds_store_b64 v75, v[73:74]
.LBB99_193:
	s_wait_alu 0xfffe
	s_or_b32 exec_lo, exec_lo, s0
	s_wait_storecnt_dscnt 0x0
	s_barrier_signal -1
	s_barrier_wait -1
	global_inv scope:SCOPE_SE
	s_clause 0x9
	scratch_load_b128 v[76:79], off, off offset:152
	scratch_load_b128 v[80:83], off, off offset:168
	;; [unrolled: 1-line block ×8, first 2 shown]
	scratch_load_b64 v[140:141], off, off offset:280
	scratch_load_b64 v[142:143], off, off offset:144
	v_mov_b32_e32 v73, 0
	ds_load_2addr_b64 v[108:111], v73 offset0:55 offset1:56
	ds_load_2addr_b64 v[112:115], v73 offset0:57 offset1:58
	;; [unrolled: 1-line block ×8, first 2 shown]
	ds_load_b64 v[144:145], v73 offset:568
	s_mov_b32 s0, exec_lo
	s_wait_loadcnt_dscnt 0x908
	v_mul_f32_e32 v74, v108, v77
	s_wait_loadcnt_dscnt 0x807
	v_dual_mul_f32 v146, v110, v79 :: v_dual_mul_f32 v147, v112, v81
	v_mul_f32_e32 v77, v109, v77
	s_delay_alu instid0(VALU_DEP_3)
	v_dual_mul_f32 v79, v111, v79 :: v_dual_fmac_f32 v74, v109, v76
	s_wait_loadcnt_dscnt 0x302
	v_mul_f32_e32 v158, v134, v103
	v_dual_mul_f32 v148, v114, v83 :: v_dual_mul_f32 v149, v116, v85
	s_wait_loadcnt_dscnt 0x100
	v_mul_f32_e32 v161, v144, v141
	v_fma_f32 v77, v108, v76, -v77
	v_mul_f32_e32 v76, v113, v81
	v_fmac_f32_e32 v146, v111, v78
	v_fma_f32 v78, v110, v78, -v79
	v_dual_add_f32 v74, 0, v74 :: v_dual_mul_f32 v79, v115, v83
	v_add_f32_e32 v77, 0, v77
	v_fmac_f32_e32 v147, v113, v80
	v_fma_f32 v76, v112, v80, -v76
	s_delay_alu instid0(VALU_DEP_4)
	v_add_f32_e32 v74, v74, v146
	v_fma_f32 v79, v114, v82, -v79
	v_add_f32_e32 v77, v77, v78
	v_mul_f32_e32 v78, v117, v85
	v_dual_mul_f32 v152, v122, v91 :: v_dual_mul_f32 v153, v124, v93
	v_add_f32_e32 v74, v74, v147
	s_delay_alu instid0(VALU_DEP_4) | instskip(NEXT) | instid1(VALU_DEP_4)
	v_dual_add_f32 v76, v77, v76 :: v_dual_mul_f32 v77, v119, v87
	v_fma_f32 v78, v116, v84, -v78
	v_dual_mul_f32 v154, v126, v95 :: v_dual_mul_f32 v155, v128, v97
	s_delay_alu instid0(VALU_DEP_3) | instskip(NEXT) | instid1(VALU_DEP_4)
	v_dual_add_f32 v76, v76, v79 :: v_dual_mul_f32 v79, v121, v89
	v_fma_f32 v77, v118, v86, -v77
	v_dual_mul_f32 v156, v130, v99 :: v_dual_mul_f32 v157, v132, v101
	s_delay_alu instid0(VALU_DEP_3) | instskip(SKIP_3) | instid1(VALU_DEP_4)
	v_dual_add_f32 v76, v76, v78 :: v_dual_fmac_f32 v153, v125, v92
	v_dual_fmac_f32 v148, v115, v82 :: v_dual_fmac_f32 v149, v117, v84
	v_dual_mul_f32 v78, v123, v91 :: v_dual_fmac_f32 v155, v129, v96
	v_fma_f32 v79, v120, v88, -v79
	v_dual_add_f32 v76, v76, v77 :: v_dual_fmac_f32 v157, v133, v100
	v_dual_mul_f32 v159, v136, v105 :: v_dual_mul_f32 v160, v138, v107
	v_dual_add_f32 v74, v74, v148 :: v_dual_mul_f32 v77, v125, v93
	v_fma_f32 v78, v122, v90, -v78
	s_delay_alu instid0(VALU_DEP_3) | instskip(SKIP_3) | instid1(VALU_DEP_4)
	v_dual_add_f32 v76, v76, v79 :: v_dual_fmac_f32 v159, v137, v104
	v_dual_mul_f32 v150, v118, v87 :: v_dual_mul_f32 v151, v120, v89
	v_mul_f32_e32 v79, v127, v95
	v_fma_f32 v77, v124, v92, -v77
	v_add_f32_e32 v76, v76, v78
	s_delay_alu instid0(VALU_DEP_4) | instskip(SKIP_4) | instid1(VALU_DEP_4)
	v_dual_fmac_f32 v150, v119, v86 :: v_dual_fmac_f32 v151, v121, v88
	v_add_f32_e32 v74, v74, v149
	v_mul_f32_e32 v78, v129, v97
	v_fma_f32 v79, v126, v94, -v79
	v_dual_add_f32 v76, v76, v77 :: v_dual_mul_f32 v77, v131, v99
	v_add_f32_e32 v74, v74, v150
	s_delay_alu instid0(VALU_DEP_4) | instskip(SKIP_1) | instid1(VALU_DEP_4)
	v_fma_f32 v78, v128, v96, -v78
	v_fmac_f32_e32 v152, v123, v90
	v_dual_add_f32 v76, v76, v79 :: v_dual_mul_f32 v79, v133, v101
	s_delay_alu instid0(VALU_DEP_4) | instskip(SKIP_1) | instid1(VALU_DEP_3)
	v_dual_add_f32 v74, v74, v151 :: v_dual_fmac_f32 v161, v145, v140
	v_fma_f32 v77, v130, v98, -v77
	v_add_f32_e32 v76, v76, v78
	v_fmac_f32_e32 v154, v127, v94
	v_fmac_f32_e32 v156, v131, v98
	v_mul_f32_e32 v78, v135, v103
	v_fma_f32 v79, v132, v100, -v79
	v_add_f32_e32 v76, v76, v77
	v_dual_mul_f32 v77, v137, v105 :: v_dual_add_f32 v74, v74, v152
	v_fmac_f32_e32 v158, v135, v102
	v_fma_f32 v78, v134, v102, -v78
	s_delay_alu instid0(VALU_DEP_4) | instskip(NEXT) | instid1(VALU_DEP_4)
	v_add_f32_e32 v76, v76, v79
	v_dual_mul_f32 v79, v139, v107 :: v_dual_add_f32 v74, v74, v153
	v_fma_f32 v77, v136, v104, -v77
	v_fmac_f32_e32 v160, v139, v106
	s_delay_alu instid0(VALU_DEP_4) | instskip(SKIP_3) | instid1(VALU_DEP_4)
	v_add_f32_e32 v76, v76, v78
	v_mul_f32_e32 v78, v145, v141
	v_add_f32_e32 v74, v74, v154
	v_fma_f32 v79, v138, v106, -v79
	v_add_f32_e32 v76, v76, v77
	s_delay_alu instid0(VALU_DEP_4) | instskip(NEXT) | instid1(VALU_DEP_4)
	v_fma_f32 v77, v144, v140, -v78
	v_add_f32_e32 v74, v74, v155
	s_delay_alu instid0(VALU_DEP_3) | instskip(NEXT) | instid1(VALU_DEP_2)
	v_add_f32_e32 v76, v76, v79
	v_add_f32_e32 v74, v74, v156
	s_delay_alu instid0(VALU_DEP_2) | instskip(NEXT) | instid1(VALU_DEP_2)
	v_add_f32_e32 v76, v76, v77
	v_add_f32_e32 v74, v74, v157
	s_wait_loadcnt 0x0
	s_delay_alu instid0(VALU_DEP_2) | instskip(NEXT) | instid1(VALU_DEP_2)
	v_sub_f32_e32 v76, v142, v76
	v_add_f32_e32 v74, v74, v158
	s_delay_alu instid0(VALU_DEP_1) | instskip(NEXT) | instid1(VALU_DEP_1)
	v_add_f32_e32 v74, v74, v159
	v_add_f32_e32 v74, v74, v160
	s_delay_alu instid0(VALU_DEP_1) | instskip(NEXT) | instid1(VALU_DEP_1)
	v_add_f32_e32 v74, v74, v161
	v_sub_f32_e32 v77, v143, v74
	scratch_store_b64 off, v[76:77], off offset:144
	v_cmpx_lt_u32_e32 17, v0
	s_cbranch_execz .LBB99_195
; %bb.194:
	scratch_load_b64 v[76:77], off, off offset:136
	v_mov_b32_e32 v74, v73
	scratch_store_b64 off, v[73:74], off offset:136
	s_wait_loadcnt 0x0
	ds_store_b64 v75, v[76:77]
.LBB99_195:
	s_wait_alu 0xfffe
	s_or_b32 exec_lo, exec_lo, s0
	s_wait_storecnt_dscnt 0x0
	s_barrier_signal -1
	s_barrier_wait -1
	global_inv scope:SCOPE_SE
	s_clause 0x9
	scratch_load_b128 v[76:79], off, off offset:144
	scratch_load_b128 v[80:83], off, off offset:160
	scratch_load_b128 v[84:87], off, off offset:176
	scratch_load_b128 v[88:91], off, off offset:192
	scratch_load_b128 v[92:95], off, off offset:208
	scratch_load_b128 v[96:99], off, off offset:224
	scratch_load_b128 v[100:103], off, off offset:240
	scratch_load_b128 v[104:107], off, off offset:256
	scratch_load_b128 v[108:111], off, off offset:272
	scratch_load_b64 v[148:149], off, off offset:136
	ds_load_b128 v[112:115], v73 offset:432
	ds_load_b128 v[116:119], v73 offset:448
	;; [unrolled: 1-line block ×9, first 2 shown]
	s_mov_b32 s0, exec_lo
	s_wait_loadcnt_dscnt 0x908
	v_dual_mul_f32 v73, v112, v77 :: v_dual_mul_f32 v74, v114, v79
	v_mul_f32_e32 v77, v113, v77
	s_wait_loadcnt_dscnt 0x807
	v_dual_mul_f32 v79, v115, v79 :: v_dual_mul_f32 v150, v116, v81
	s_delay_alu instid0(VALU_DEP_3) | instskip(NEXT) | instid1(VALU_DEP_3)
	v_dual_mul_f32 v151, v118, v83 :: v_dual_fmac_f32 v74, v115, v78
	v_fma_f32 v77, v112, v76, -v77
	v_fmac_f32_e32 v73, v113, v76
	v_mul_f32_e32 v76, v117, v81
	v_fma_f32 v78, v114, v78, -v79
	v_mul_f32_e32 v79, v119, v83
	v_dual_add_f32 v77, 0, v77 :: v_dual_fmac_f32 v150, v117, v80
	s_delay_alu instid0(VALU_DEP_4) | instskip(SKIP_2) | instid1(VALU_DEP_3)
	v_fma_f32 v76, v116, v80, -v76
	s_wait_loadcnt_dscnt 0x706
	v_dual_mul_f32 v152, v120, v85 :: v_dual_mul_f32 v153, v122, v87
	v_add_f32_e32 v77, v77, v78
	v_fmac_f32_e32 v151, v119, v82
	v_fma_f32 v78, v118, v82, -v79
	s_wait_loadcnt_dscnt 0x605
	v_dual_mul_f32 v154, v124, v89 :: v_dual_mul_f32 v155, v126, v91
	v_dual_add_f32 v76, v77, v76 :: v_dual_mul_f32 v77, v123, v87
	v_fmac_f32_e32 v152, v121, v84
	s_wait_loadcnt_dscnt 0x504
	v_dual_mul_f32 v156, v128, v93 :: v_dual_mul_f32 v157, v130, v95
	s_delay_alu instid0(VALU_DEP_3) | instskip(SKIP_3) | instid1(VALU_DEP_4)
	v_dual_add_f32 v76, v76, v78 :: v_dual_add_f32 v73, 0, v73
	v_mul_f32_e32 v78, v125, v89
	v_fma_f32 v77, v122, v86, -v77
	v_dual_fmac_f32 v153, v123, v86 :: v_dual_fmac_f32 v154, v125, v88
	v_add_f32_e32 v73, v73, v74
	v_mul_f32_e32 v74, v121, v85
	v_fma_f32 v78, v124, v88, -v78
	v_dual_fmac_f32 v155, v127, v90 :: v_dual_fmac_f32 v156, v129, v92
	s_wait_loadcnt_dscnt 0x403
	v_dual_mul_f32 v158, v132, v97 :: v_dual_mul_f32 v159, v134, v99
	v_fma_f32 v74, v120, v84, -v74
	s_wait_loadcnt_dscnt 0x302
	v_dual_mul_f32 v160, v136, v101 :: v_dual_mul_f32 v161, v138, v103
	s_wait_loadcnt_dscnt 0x201
	v_dual_mul_f32 v162, v140, v105 :: v_dual_mul_f32 v163, v142, v107
	v_add_f32_e32 v74, v76, v74
	v_mul_f32_e32 v76, v127, v91
	v_dual_fmac_f32 v160, v137, v100 :: v_dual_fmac_f32 v161, v139, v102
	s_delay_alu instid0(VALU_DEP_4) | instskip(NEXT) | instid1(VALU_DEP_4)
	v_dual_fmac_f32 v162, v141, v104 :: v_dual_fmac_f32 v163, v143, v106
	v_dual_add_f32 v74, v74, v77 :: v_dual_add_f32 v73, v73, v150
	v_mul_f32_e32 v77, v129, v93
	v_fma_f32 v76, v126, v90, -v76
	v_fmac_f32_e32 v157, v131, v94
	s_delay_alu instid0(VALU_DEP_4)
	v_add_f32_e32 v74, v74, v78
	v_mul_f32_e32 v78, v131, v95
	v_add_f32_e32 v73, v73, v151
	v_fma_f32 v77, v128, v92, -v77
	v_fmac_f32_e32 v158, v133, v96
	v_add_f32_e32 v74, v74, v76
	v_mul_f32_e32 v76, v133, v97
	v_add_f32_e32 v73, v73, v152
	v_fma_f32 v78, v130, v94, -v78
	s_delay_alu instid0(VALU_DEP_4) | instskip(SKIP_1) | instid1(VALU_DEP_4)
	v_dual_fmac_f32 v159, v135, v98 :: v_dual_add_f32 v74, v74, v77
	v_mul_f32_e32 v77, v135, v99
	v_add_f32_e32 v73, v73, v153
	v_fma_f32 v76, v132, v96, -v76
	s_wait_loadcnt_dscnt 0x100
	v_dual_mul_f32 v164, v144, v109 :: v_dual_mul_f32 v165, v146, v111
	v_add_f32_e32 v74, v74, v78
	v_add_f32_e32 v73, v73, v154
	v_fma_f32 v77, v134, v98, -v77
	v_mul_f32_e32 v78, v137, v101
	v_dual_fmac_f32 v164, v145, v108 :: v_dual_fmac_f32 v165, v147, v110
	s_delay_alu instid0(VALU_DEP_4) | instskip(SKIP_1) | instid1(VALU_DEP_4)
	v_dual_add_f32 v74, v74, v76 :: v_dual_add_f32 v73, v73, v155
	v_mul_f32_e32 v76, v139, v103
	v_fma_f32 v78, v136, v100, -v78
	s_delay_alu instid0(VALU_DEP_3) | instskip(SKIP_1) | instid1(VALU_DEP_4)
	v_dual_add_f32 v74, v74, v77 :: v_dual_add_f32 v73, v73, v156
	v_mul_f32_e32 v77, v141, v105
	v_fma_f32 v76, v138, v102, -v76
	s_delay_alu instid0(VALU_DEP_3) | instskip(SKIP_1) | instid1(VALU_DEP_4)
	;; [unrolled: 4-line block ×4, first 2 shown]
	v_dual_add_f32 v74, v74, v77 :: v_dual_add_f32 v73, v73, v159
	v_mul_f32_e32 v77, v147, v111
	v_fma_f32 v76, v144, v108, -v76
	s_delay_alu instid0(VALU_DEP_3) | instskip(NEXT) | instid1(VALU_DEP_3)
	v_dual_add_f32 v74, v74, v78 :: v_dual_add_f32 v73, v73, v160
	v_fma_f32 v77, v146, v110, -v77
	s_delay_alu instid0(VALU_DEP_2) | instskip(NEXT) | instid1(VALU_DEP_1)
	v_dual_add_f32 v74, v74, v76 :: v_dual_add_f32 v73, v73, v161
	v_dual_add_f32 v74, v74, v77 :: v_dual_add_f32 v73, v73, v162
	s_delay_alu instid0(VALU_DEP_1) | instskip(NEXT) | instid1(VALU_DEP_1)
	v_add_f32_e32 v73, v73, v163
	v_add_f32_e32 v73, v73, v164
	s_wait_loadcnt 0x0
	s_delay_alu instid0(VALU_DEP_1) | instskip(NEXT) | instid1(VALU_DEP_1)
	v_dual_add_f32 v76, v73, v165 :: v_dual_sub_f32 v73, v148, v74
	v_sub_f32_e32 v74, v149, v76
	scratch_store_b64 off, v[73:74], off offset:136
	v_cmpx_lt_u32_e32 16, v0
	s_cbranch_execz .LBB99_197
; %bb.196:
	scratch_load_b64 v[73:74], off, off offset:128
	v_mov_b32_e32 v76, 0
	s_delay_alu instid0(VALU_DEP_1)
	v_mov_b32_e32 v77, v76
	scratch_store_b64 off, v[76:77], off offset:128
	s_wait_loadcnt 0x0
	ds_store_b64 v75, v[73:74]
.LBB99_197:
	s_wait_alu 0xfffe
	s_or_b32 exec_lo, exec_lo, s0
	s_wait_storecnt_dscnt 0x0
	s_barrier_signal -1
	s_barrier_wait -1
	global_inv scope:SCOPE_SE
	s_clause 0xa
	scratch_load_b128 v[76:79], off, off offset:136
	scratch_load_b128 v[80:83], off, off offset:152
	;; [unrolled: 1-line block ×9, first 2 shown]
	scratch_load_b64 v[148:149], off, off offset:280
	scratch_load_b64 v[150:151], off, off offset:128
	v_mov_b32_e32 v73, 0
	ds_load_2addr_b64 v[112:115], v73 offset0:53 offset1:54
	ds_load_2addr_b64 v[116:119], v73 offset0:55 offset1:56
	;; [unrolled: 1-line block ×9, first 2 shown]
	ds_load_b64 v[152:153], v73 offset:568
	s_mov_b32 s0, exec_lo
	s_wait_loadcnt_dscnt 0xa09
	v_mul_f32_e32 v74, v112, v77
	s_wait_loadcnt_dscnt 0x908
	v_dual_mul_f32 v154, v114, v79 :: v_dual_mul_f32 v155, v116, v81
	v_mul_f32_e32 v77, v113, v77
	s_delay_alu instid0(VALU_DEP_3)
	v_dual_mul_f32 v79, v115, v79 :: v_dual_fmac_f32 v74, v113, v76
	s_wait_loadcnt_dscnt 0x807
	v_dual_mul_f32 v156, v118, v83 :: v_dual_mul_f32 v157, v120, v85
	s_wait_loadcnt_dscnt 0x100
	v_dual_mul_f32 v168, v142, v107 :: v_dual_mul_f32 v171, v152, v149
	v_fma_f32 v77, v112, v76, -v77
	v_mul_f32_e32 v76, v117, v81
	v_fmac_f32_e32 v154, v115, v78
	v_fma_f32 v78, v114, v78, -v79
	v_dual_add_f32 v74, 0, v74 :: v_dual_mul_f32 v79, v119, v83
	v_add_f32_e32 v77, 0, v77
	v_fmac_f32_e32 v155, v117, v80
	v_fma_f32 v76, v116, v80, -v76
	s_delay_alu instid0(VALU_DEP_4)
	v_add_f32_e32 v74, v74, v154
	v_fma_f32 v79, v118, v82, -v79
	v_add_f32_e32 v77, v77, v78
	v_mul_f32_e32 v78, v121, v85
	v_dual_mul_f32 v160, v126, v91 :: v_dual_mul_f32 v161, v128, v93
	v_add_f32_e32 v74, v74, v155
	s_delay_alu instid0(VALU_DEP_4) | instskip(NEXT) | instid1(VALU_DEP_4)
	v_dual_add_f32 v76, v77, v76 :: v_dual_mul_f32 v77, v123, v87
	v_fma_f32 v78, v120, v84, -v78
	v_dual_mul_f32 v162, v130, v95 :: v_dual_mul_f32 v163, v132, v97
	s_delay_alu instid0(VALU_DEP_3) | instskip(NEXT) | instid1(VALU_DEP_4)
	v_dual_add_f32 v76, v76, v79 :: v_dual_mul_f32 v79, v125, v89
	v_fma_f32 v77, v122, v86, -v77
	v_dual_mul_f32 v164, v134, v99 :: v_dual_mul_f32 v165, v136, v101
	s_delay_alu instid0(VALU_DEP_3) | instskip(SKIP_3) | instid1(VALU_DEP_4)
	v_dual_add_f32 v76, v76, v78 :: v_dual_fmac_f32 v161, v129, v92
	v_dual_fmac_f32 v156, v119, v82 :: v_dual_fmac_f32 v157, v121, v84
	v_dual_mul_f32 v78, v127, v91 :: v_dual_fmac_f32 v163, v133, v96
	v_fma_f32 v79, v124, v88, -v79
	v_dual_add_f32 v76, v76, v77 :: v_dual_fmac_f32 v165, v137, v100
	v_dual_mul_f32 v166, v138, v103 :: v_dual_mul_f32 v167, v140, v105
	v_dual_add_f32 v74, v74, v156 :: v_dual_mul_f32 v77, v129, v93
	v_fma_f32 v78, v126, v90, -v78
	s_delay_alu instid0(VALU_DEP_3) | instskip(SKIP_1) | instid1(VALU_DEP_4)
	v_dual_add_f32 v76, v76, v79 :: v_dual_fmac_f32 v167, v141, v104
	v_mul_f32_e32 v79, v131, v95
	v_fma_f32 v77, v128, v92, -v77
	v_dual_mul_f32 v158, v122, v87 :: v_dual_mul_f32 v159, v124, v89
	s_delay_alu instid0(VALU_DEP_4) | instskip(SKIP_2) | instid1(VALU_DEP_4)
	v_add_f32_e32 v76, v76, v78
	v_mul_f32_e32 v78, v133, v97
	v_fma_f32 v79, v130, v94, -v79
	v_dual_fmac_f32 v158, v123, v86 :: v_dual_fmac_f32 v159, v125, v88
	s_delay_alu instid0(VALU_DEP_4) | instskip(SKIP_2) | instid1(VALU_DEP_3)
	v_dual_add_f32 v76, v76, v77 :: v_dual_fmac_f32 v171, v153, v148
	v_dual_add_f32 v74, v74, v157 :: v_dual_mul_f32 v77, v135, v99
	v_fma_f32 v78, v132, v96, -v78
	v_dual_add_f32 v76, v76, v79 :: v_dual_mul_f32 v79, v137, v101
	s_delay_alu instid0(VALU_DEP_3) | instskip(NEXT) | instid1(VALU_DEP_4)
	v_add_f32_e32 v74, v74, v158
	v_fma_f32 v77, v134, v98, -v77
	v_dual_mul_f32 v169, v144, v109 :: v_dual_mul_f32 v170, v146, v111
	s_delay_alu instid0(VALU_DEP_4)
	v_add_f32_e32 v76, v76, v78
	v_mul_f32_e32 v78, v139, v103
	v_fma_f32 v79, v136, v100, -v79
	v_fmac_f32_e32 v160, v127, v90
	v_dual_add_f32 v74, v74, v159 :: v_dual_fmac_f32 v169, v145, v108
	v_add_f32_e32 v76, v76, v77
	v_mul_f32_e32 v77, v141, v105
	v_fma_f32 v78, v138, v102, -v78
	s_delay_alu instid0(VALU_DEP_4)
	v_add_f32_e32 v74, v74, v160
	v_fmac_f32_e32 v162, v131, v94
	v_add_f32_e32 v76, v76, v79
	v_mul_f32_e32 v79, v143, v107
	v_fma_f32 v77, v140, v104, -v77
	v_fmac_f32_e32 v164, v135, v98
	v_fmac_f32_e32 v166, v139, v102
	v_add_f32_e32 v76, v76, v78
	v_fma_f32 v79, v142, v106, -v79
	v_mul_f32_e32 v78, v145, v109
	v_fmac_f32_e32 v168, v143, v106
	v_fmac_f32_e32 v170, v147, v110
	v_dual_add_f32 v76, v76, v77 :: v_dual_mul_f32 v77, v147, v111
	v_add_f32_e32 v74, v74, v161
	v_fma_f32 v78, v144, v108, -v78
	s_delay_alu instid0(VALU_DEP_3) | instskip(NEXT) | instid1(VALU_DEP_3)
	v_dual_add_f32 v76, v76, v79 :: v_dual_mul_f32 v79, v153, v149
	v_add_f32_e32 v74, v74, v162
	v_fma_f32 v77, v146, v110, -v77
	s_delay_alu instid0(VALU_DEP_3) | instskip(NEXT) | instid1(VALU_DEP_4)
	v_add_f32_e32 v76, v76, v78
	v_fma_f32 v78, v152, v148, -v79
	s_delay_alu instid0(VALU_DEP_4) | instskip(NEXT) | instid1(VALU_DEP_3)
	v_add_f32_e32 v74, v74, v163
	v_add_f32_e32 v76, v76, v77
	s_delay_alu instid0(VALU_DEP_2) | instskip(NEXT) | instid1(VALU_DEP_2)
	v_add_f32_e32 v74, v74, v164
	v_add_f32_e32 v76, v76, v78
	s_delay_alu instid0(VALU_DEP_2) | instskip(SKIP_1) | instid1(VALU_DEP_2)
	v_add_f32_e32 v74, v74, v165
	s_wait_loadcnt 0x0
	v_sub_f32_e32 v76, v150, v76
	s_delay_alu instid0(VALU_DEP_2) | instskip(NEXT) | instid1(VALU_DEP_1)
	v_add_f32_e32 v74, v74, v166
	v_add_f32_e32 v74, v74, v167
	s_delay_alu instid0(VALU_DEP_1) | instskip(NEXT) | instid1(VALU_DEP_1)
	v_add_f32_e32 v74, v74, v168
	v_add_f32_e32 v74, v74, v169
	s_delay_alu instid0(VALU_DEP_1) | instskip(NEXT) | instid1(VALU_DEP_1)
	v_add_f32_e32 v74, v74, v170
	v_add_f32_e32 v74, v74, v171
	s_delay_alu instid0(VALU_DEP_1)
	v_sub_f32_e32 v77, v151, v74
	scratch_store_b64 off, v[76:77], off offset:128
	v_cmpx_lt_u32_e32 15, v0
	s_cbranch_execz .LBB99_199
; %bb.198:
	scratch_load_b64 v[76:77], off, off offset:120
	v_mov_b32_e32 v74, v73
	scratch_store_b64 off, v[73:74], off offset:120
	s_wait_loadcnt 0x0
	ds_store_b64 v75, v[76:77]
.LBB99_199:
	s_wait_alu 0xfffe
	s_or_b32 exec_lo, exec_lo, s0
	s_wait_storecnt_dscnt 0x0
	s_barrier_signal -1
	s_barrier_wait -1
	global_inv scope:SCOPE_SE
	s_clause 0xa
	scratch_load_b128 v[76:79], off, off offset:128
	scratch_load_b128 v[80:83], off, off offset:144
	;; [unrolled: 1-line block ×10, first 2 shown]
	scratch_load_b64 v[156:157], off, off offset:120
	ds_load_b128 v[116:119], v73 offset:416
	ds_load_b128 v[120:123], v73 offset:432
	;; [unrolled: 1-line block ×10, first 2 shown]
	s_mov_b32 s0, exec_lo
	s_wait_loadcnt_dscnt 0xa09
	v_dual_mul_f32 v73, v116, v77 :: v_dual_mul_f32 v74, v118, v79
	v_mul_f32_e32 v77, v117, v77
	s_wait_loadcnt_dscnt 0x908
	v_dual_mul_f32 v79, v119, v79 :: v_dual_mul_f32 v158, v120, v81
	s_delay_alu instid0(VALU_DEP_3) | instskip(NEXT) | instid1(VALU_DEP_3)
	v_dual_mul_f32 v159, v122, v83 :: v_dual_fmac_f32 v74, v119, v78
	v_fma_f32 v77, v116, v76, -v77
	v_fmac_f32_e32 v73, v117, v76
	v_mul_f32_e32 v76, v121, v81
	v_fma_f32 v78, v118, v78, -v79
	v_mul_f32_e32 v79, v123, v83
	v_dual_add_f32 v77, 0, v77 :: v_dual_fmac_f32 v158, v121, v80
	s_delay_alu instid0(VALU_DEP_4) | instskip(SKIP_2) | instid1(VALU_DEP_3)
	v_fma_f32 v76, v120, v80, -v76
	s_wait_loadcnt_dscnt 0x807
	v_dual_mul_f32 v160, v124, v85 :: v_dual_mul_f32 v161, v126, v87
	v_add_f32_e32 v77, v77, v78
	v_fmac_f32_e32 v159, v123, v82
	v_fma_f32 v78, v122, v82, -v79
	s_wait_loadcnt_dscnt 0x706
	v_dual_mul_f32 v162, v128, v89 :: v_dual_mul_f32 v163, v130, v91
	v_dual_add_f32 v76, v77, v76 :: v_dual_mul_f32 v77, v127, v87
	v_fmac_f32_e32 v160, v125, v84
	s_wait_loadcnt_dscnt 0x605
	v_dual_mul_f32 v164, v132, v93 :: v_dual_mul_f32 v165, v134, v95
	s_delay_alu instid0(VALU_DEP_3) | instskip(SKIP_3) | instid1(VALU_DEP_4)
	v_dual_add_f32 v76, v76, v78 :: v_dual_add_f32 v73, 0, v73
	v_mul_f32_e32 v78, v129, v89
	v_fma_f32 v77, v126, v86, -v77
	v_dual_fmac_f32 v161, v127, v86 :: v_dual_fmac_f32 v162, v129, v88
	v_add_f32_e32 v73, v73, v74
	v_mul_f32_e32 v74, v125, v85
	v_fma_f32 v78, v128, v88, -v78
	v_dual_fmac_f32 v163, v131, v90 :: v_dual_fmac_f32 v164, v133, v92
	s_wait_loadcnt_dscnt 0x504
	v_dual_mul_f32 v166, v136, v97 :: v_dual_mul_f32 v167, v138, v99
	v_fma_f32 v74, v124, v84, -v74
	s_wait_loadcnt_dscnt 0x403
	v_dual_mul_f32 v168, v140, v101 :: v_dual_mul_f32 v169, v142, v103
	s_wait_loadcnt_dscnt 0x302
	v_dual_mul_f32 v170, v144, v105 :: v_dual_mul_f32 v171, v146, v107
	v_add_f32_e32 v74, v76, v74
	v_mul_f32_e32 v76, v131, v91
	v_dual_fmac_f32 v168, v141, v100 :: v_dual_fmac_f32 v169, v143, v102
	s_delay_alu instid0(VALU_DEP_4) | instskip(NEXT) | instid1(VALU_DEP_4)
	v_dual_fmac_f32 v170, v145, v104 :: v_dual_fmac_f32 v171, v147, v106
	v_dual_add_f32 v74, v74, v77 :: v_dual_add_f32 v73, v73, v158
	v_mul_f32_e32 v77, v133, v93
	v_fma_f32 v76, v130, v90, -v76
	v_fmac_f32_e32 v165, v135, v94
	s_delay_alu instid0(VALU_DEP_4)
	v_add_f32_e32 v74, v74, v78
	v_mul_f32_e32 v78, v135, v95
	v_add_f32_e32 v73, v73, v159
	v_fma_f32 v77, v132, v92, -v77
	v_fmac_f32_e32 v166, v137, v96
	v_add_f32_e32 v74, v74, v76
	v_mul_f32_e32 v76, v137, v97
	v_add_f32_e32 v73, v73, v160
	v_fma_f32 v78, v134, v94, -v78
	s_delay_alu instid0(VALU_DEP_4) | instskip(SKIP_1) | instid1(VALU_DEP_4)
	v_dual_fmac_f32 v167, v139, v98 :: v_dual_add_f32 v74, v74, v77
	v_mul_f32_e32 v77, v139, v99
	v_add_f32_e32 v73, v73, v161
	v_fma_f32 v76, v136, v96, -v76
	s_wait_loadcnt_dscnt 0x201
	v_dual_mul_f32 v172, v148, v109 :: v_dual_mul_f32 v173, v150, v111
	v_add_f32_e32 v74, v74, v78
	v_add_f32_e32 v73, v73, v162
	v_fma_f32 v77, v138, v98, -v77
	v_mul_f32_e32 v78, v141, v101
	s_wait_loadcnt_dscnt 0x100
	v_dual_mul_f32 v174, v152, v113 :: v_dual_mul_f32 v175, v154, v115
	v_dual_add_f32 v74, v74, v76 :: v_dual_add_f32 v73, v73, v163
	v_mul_f32_e32 v76, v143, v103
	v_fma_f32 v78, v140, v100, -v78
	v_dual_fmac_f32 v172, v149, v108 :: v_dual_fmac_f32 v173, v151, v110
	s_delay_alu instid0(VALU_DEP_4) | instskip(SKIP_3) | instid1(VALU_DEP_4)
	v_dual_add_f32 v74, v74, v77 :: v_dual_add_f32 v73, v73, v164
	v_mul_f32_e32 v77, v145, v105
	v_fma_f32 v76, v142, v102, -v76
	v_fmac_f32_e32 v175, v155, v114
	v_dual_add_f32 v74, v74, v78 :: v_dual_add_f32 v73, v73, v165
	v_mul_f32_e32 v78, v147, v107
	v_fma_f32 v77, v144, v104, -v77
	s_delay_alu instid0(VALU_DEP_3) | instskip(SKIP_1) | instid1(VALU_DEP_4)
	v_dual_add_f32 v74, v74, v76 :: v_dual_add_f32 v73, v73, v166
	v_mul_f32_e32 v76, v149, v109
	v_fma_f32 v78, v146, v106, -v78
	s_delay_alu instid0(VALU_DEP_3) | instskip(SKIP_1) | instid1(VALU_DEP_4)
	;; [unrolled: 4-line block ×4, first 2 shown]
	v_dual_add_f32 v74, v74, v76 :: v_dual_add_f32 v73, v73, v169
	v_mul_f32_e32 v76, v155, v115
	v_fma_f32 v78, v152, v112, -v78
	s_delay_alu instid0(VALU_DEP_3) | instskip(NEXT) | instid1(VALU_DEP_3)
	v_dual_add_f32 v74, v74, v77 :: v_dual_add_f32 v73, v73, v170
	v_fma_f32 v76, v154, v114, -v76
	s_delay_alu instid0(VALU_DEP_2) | instskip(NEXT) | instid1(VALU_DEP_1)
	v_dual_add_f32 v74, v74, v78 :: v_dual_add_f32 v73, v73, v171
	v_add_f32_e32 v74, v74, v76
	s_delay_alu instid0(VALU_DEP_2) | instskip(SKIP_1) | instid1(VALU_DEP_2)
	v_add_f32_e32 v73, v73, v172
	v_fmac_f32_e32 v174, v153, v112
	v_add_f32_e32 v73, v73, v173
	s_delay_alu instid0(VALU_DEP_1) | instskip(SKIP_1) | instid1(VALU_DEP_1)
	v_add_f32_e32 v73, v73, v174
	s_wait_loadcnt 0x0
	v_dual_add_f32 v76, v73, v175 :: v_dual_sub_f32 v73, v156, v74
	s_delay_alu instid0(VALU_DEP_1)
	v_sub_f32_e32 v74, v157, v76
	scratch_store_b64 off, v[73:74], off offset:120
	v_cmpx_lt_u32_e32 14, v0
	s_cbranch_execz .LBB99_201
; %bb.200:
	scratch_load_b64 v[73:74], off, off offset:112
	v_mov_b32_e32 v76, 0
	s_delay_alu instid0(VALU_DEP_1)
	v_mov_b32_e32 v77, v76
	scratch_store_b64 off, v[76:77], off offset:112
	s_wait_loadcnt 0x0
	ds_store_b64 v75, v[73:74]
.LBB99_201:
	s_wait_alu 0xfffe
	s_or_b32 exec_lo, exec_lo, s0
	s_wait_storecnt_dscnt 0x0
	s_barrier_signal -1
	s_barrier_wait -1
	global_inv scope:SCOPE_SE
	s_clause 0xb
	scratch_load_b128 v[76:79], off, off offset:120
	scratch_load_b128 v[80:83], off, off offset:136
	;; [unrolled: 1-line block ×10, first 2 shown]
	scratch_load_b64 v[156:157], off, off offset:280
	scratch_load_b64 v[158:159], off, off offset:112
	v_mov_b32_e32 v73, 0
	ds_load_2addr_b64 v[116:119], v73 offset0:51 offset1:52
	ds_load_2addr_b64 v[120:123], v73 offset0:53 offset1:54
	;; [unrolled: 1-line block ×10, first 2 shown]
	ds_load_b64 v[160:161], v73 offset:568
	s_mov_b32 s0, exec_lo
	s_wait_loadcnt_dscnt 0xb0a
	v_mul_f32_e32 v74, v116, v77
	s_wait_loadcnt_dscnt 0xa09
	v_dual_mul_f32 v162, v118, v79 :: v_dual_mul_f32 v163, v120, v81
	v_mul_f32_e32 v79, v119, v79
	v_dual_mul_f32 v77, v117, v77 :: v_dual_mul_f32 v164, v122, v83
	s_wait_loadcnt_dscnt 0x908
	v_dual_mul_f32 v165, v124, v85 :: v_dual_fmac_f32 v74, v117, v76
	s_wait_loadcnt_dscnt 0x302
	v_mul_f32_e32 v178, v150, v111
	v_fma_f32 v77, v116, v76, -v77
	s_wait_loadcnt_dscnt 0x100
	v_mul_f32_e32 v181, v160, v157
	v_mul_f32_e32 v76, v121, v81
	v_fmac_f32_e32 v162, v119, v78
	v_fma_f32 v78, v118, v78, -v79
	v_dual_add_f32 v77, 0, v77 :: v_dual_add_f32 v74, 0, v74
	v_mul_f32_e32 v79, v123, v83
	v_fmac_f32_e32 v163, v121, v80
	v_fma_f32 v76, v120, v80, -v76
	v_dual_mul_f32 v168, v130, v91 :: v_dual_mul_f32 v169, v132, v93
	v_add_f32_e32 v74, v74, v162
	v_add_f32_e32 v77, v77, v78
	v_mul_f32_e32 v78, v125, v85
	v_fma_f32 v79, v122, v82, -v79
	v_dual_mul_f32 v170, v134, v95 :: v_dual_mul_f32 v171, v136, v97
	v_add_f32_e32 v74, v74, v163
	v_dual_add_f32 v76, v77, v76 :: v_dual_mul_f32 v77, v127, v87
	v_fma_f32 v78, v124, v84, -v78
	v_dual_mul_f32 v172, v138, v99 :: v_dual_mul_f32 v173, v140, v101
	s_delay_alu instid0(VALU_DEP_3) | instskip(NEXT) | instid1(VALU_DEP_4)
	v_dual_add_f32 v76, v76, v79 :: v_dual_mul_f32 v79, v129, v89
	v_fma_f32 v77, v126, v86, -v77
	v_dual_fmac_f32 v164, v123, v82 :: v_dual_fmac_f32 v165, v125, v84
	s_delay_alu instid0(VALU_DEP_3) | instskip(SKIP_2) | instid1(VALU_DEP_3)
	v_dual_add_f32 v76, v76, v78 :: v_dual_fmac_f32 v169, v133, v92
	v_dual_mul_f32 v78, v131, v91 :: v_dual_fmac_f32 v171, v137, v96
	v_fma_f32 v79, v128, v88, -v79
	v_dual_add_f32 v76, v76, v77 :: v_dual_fmac_f32 v173, v141, v100
	v_dual_mul_f32 v174, v142, v103 :: v_dual_mul_f32 v175, v144, v105
	v_dual_add_f32 v74, v74, v164 :: v_dual_mul_f32 v77, v133, v93
	v_fma_f32 v78, v130, v90, -v78
	s_delay_alu instid0(VALU_DEP_3) | instskip(SKIP_1) | instid1(VALU_DEP_4)
	v_dual_add_f32 v76, v76, v79 :: v_dual_fmac_f32 v175, v145, v104
	v_mul_f32_e32 v79, v135, v95
	v_fma_f32 v77, v132, v92, -v77
	v_dual_mul_f32 v166, v126, v87 :: v_dual_mul_f32 v167, v128, v89
	s_delay_alu instid0(VALU_DEP_4) | instskip(SKIP_3) | instid1(VALU_DEP_3)
	v_add_f32_e32 v76, v76, v78
	v_dual_mul_f32 v179, v152, v113 :: v_dual_mul_f32 v180, v154, v115
	v_mul_f32_e32 v78, v137, v97
	v_fma_f32 v79, v134, v94, -v79
	v_dual_add_f32 v76, v76, v77 :: v_dual_fmac_f32 v179, v153, v112
	v_dual_fmac_f32 v166, v127, v86 :: v_dual_fmac_f32 v167, v129, v88
	v_dual_add_f32 v74, v74, v165 :: v_dual_mul_f32 v77, v139, v99
	v_fma_f32 v78, v136, v96, -v78
	s_delay_alu instid0(VALU_DEP_4) | instskip(NEXT) | instid1(VALU_DEP_3)
	v_dual_add_f32 v76, v76, v79 :: v_dual_mul_f32 v79, v141, v101
	v_add_f32_e32 v74, v74, v166
	s_delay_alu instid0(VALU_DEP_4) | instskip(SKIP_1) | instid1(VALU_DEP_4)
	v_fma_f32 v77, v138, v98, -v77
	v_dual_mul_f32 v176, v146, v107 :: v_dual_mul_f32 v177, v148, v109
	v_add_f32_e32 v76, v76, v78
	v_mul_f32_e32 v78, v143, v103
	v_fma_f32 v79, v140, v100, -v79
	v_fmac_f32_e32 v168, v131, v90
	v_dual_add_f32 v74, v74, v167 :: v_dual_fmac_f32 v177, v149, v108
	v_add_f32_e32 v76, v76, v77
	v_mul_f32_e32 v77, v145, v105
	v_fma_f32 v78, v142, v102, -v78
	s_delay_alu instid0(VALU_DEP_4)
	v_add_f32_e32 v74, v74, v168
	v_fmac_f32_e32 v170, v135, v94
	v_add_f32_e32 v76, v76, v79
	v_mul_f32_e32 v79, v147, v107
	v_fma_f32 v77, v144, v104, -v77
	v_dual_fmac_f32 v181, v161, v156 :: v_dual_fmac_f32 v172, v139, v98
	s_delay_alu instid0(VALU_DEP_4) | instskip(NEXT) | instid1(VALU_DEP_4)
	v_add_f32_e32 v76, v76, v78
	v_fma_f32 v79, v146, v106, -v79
	v_fmac_f32_e32 v174, v143, v102
	v_mul_f32_e32 v78, v149, v109
	v_fmac_f32_e32 v176, v147, v106
	v_dual_add_f32 v76, v76, v77 :: v_dual_mul_f32 v77, v151, v111
	v_add_f32_e32 v74, v74, v169
	s_delay_alu instid0(VALU_DEP_4) | instskip(SKIP_1) | instid1(VALU_DEP_4)
	v_fma_f32 v78, v148, v108, -v78
	v_fmac_f32_e32 v178, v151, v110
	v_dual_add_f32 v76, v76, v79 :: v_dual_mul_f32 v79, v153, v113
	s_delay_alu instid0(VALU_DEP_4) | instskip(SKIP_2) | instid1(VALU_DEP_4)
	v_add_f32_e32 v74, v74, v170
	v_fma_f32 v77, v150, v110, -v77
	v_fmac_f32_e32 v180, v155, v114
	v_add_f32_e32 v76, v76, v78
	v_mul_f32_e32 v78, v155, v115
	v_add_f32_e32 v74, v74, v171
	v_fma_f32 v79, v152, v112, -v79
	s_delay_alu instid0(VALU_DEP_4) | instskip(NEXT) | instid1(VALU_DEP_3)
	v_add_f32_e32 v76, v76, v77
	v_dual_mul_f32 v77, v161, v157 :: v_dual_add_f32 v74, v74, v172
	v_fma_f32 v78, v154, v114, -v78
	s_delay_alu instid0(VALU_DEP_3) | instskip(NEXT) | instid1(VALU_DEP_3)
	v_add_f32_e32 v76, v76, v79
	v_fma_f32 v77, v160, v156, -v77
	s_delay_alu instid0(VALU_DEP_4) | instskip(NEXT) | instid1(VALU_DEP_3)
	v_add_f32_e32 v74, v74, v173
	v_add_f32_e32 v76, v76, v78
	s_delay_alu instid0(VALU_DEP_2) | instskip(NEXT) | instid1(VALU_DEP_2)
	v_add_f32_e32 v74, v74, v174
	v_add_f32_e32 v76, v76, v77
	s_delay_alu instid0(VALU_DEP_2) | instskip(SKIP_1) | instid1(VALU_DEP_2)
	v_add_f32_e32 v74, v74, v175
	s_wait_loadcnt 0x0
	v_sub_f32_e32 v76, v158, v76
	s_delay_alu instid0(VALU_DEP_2) | instskip(NEXT) | instid1(VALU_DEP_1)
	v_add_f32_e32 v74, v74, v176
	v_add_f32_e32 v74, v74, v177
	s_delay_alu instid0(VALU_DEP_1) | instskip(NEXT) | instid1(VALU_DEP_1)
	v_add_f32_e32 v74, v74, v178
	v_add_f32_e32 v74, v74, v179
	s_delay_alu instid0(VALU_DEP_1) | instskip(NEXT) | instid1(VALU_DEP_1)
	v_add_f32_e32 v74, v74, v180
	v_add_f32_e32 v74, v74, v181
	s_delay_alu instid0(VALU_DEP_1)
	v_sub_f32_e32 v77, v159, v74
	scratch_store_b64 off, v[76:77], off offset:112
	v_cmpx_lt_u32_e32 13, v0
	s_cbranch_execz .LBB99_203
; %bb.202:
	scratch_load_b64 v[76:77], off, off offset:104
	v_mov_b32_e32 v74, v73
	scratch_store_b64 off, v[73:74], off offset:104
	s_wait_loadcnt 0x0
	ds_store_b64 v75, v[76:77]
.LBB99_203:
	s_wait_alu 0xfffe
	s_or_b32 exec_lo, exec_lo, s0
	s_wait_storecnt_dscnt 0x0
	s_barrier_signal -1
	s_barrier_wait -1
	global_inv scope:SCOPE_SE
	s_clause 0xb
	scratch_load_b128 v[76:79], off, off offset:112
	scratch_load_b128 v[80:83], off, off offset:128
	;; [unrolled: 1-line block ×11, first 2 shown]
	scratch_load_b64 v[164:165], off, off offset:104
	ds_load_b128 v[120:123], v73 offset:400
	ds_load_b128 v[124:127], v73 offset:416
	;; [unrolled: 1-line block ×11, first 2 shown]
	s_mov_b32 s0, exec_lo
	s_wait_loadcnt_dscnt 0xb0a
	v_dual_mul_f32 v73, v120, v77 :: v_dual_mul_f32 v74, v122, v79
	v_mul_f32_e32 v77, v121, v77
	s_wait_loadcnt_dscnt 0xa09
	v_dual_mul_f32 v79, v123, v79 :: v_dual_mul_f32 v166, v124, v81
	s_delay_alu instid0(VALU_DEP_3) | instskip(NEXT) | instid1(VALU_DEP_3)
	v_dual_mul_f32 v167, v126, v83 :: v_dual_fmac_f32 v74, v123, v78
	v_fma_f32 v77, v120, v76, -v77
	v_fmac_f32_e32 v73, v121, v76
	v_mul_f32_e32 v76, v125, v81
	v_fma_f32 v78, v122, v78, -v79
	v_mul_f32_e32 v79, v127, v83
	v_dual_add_f32 v77, 0, v77 :: v_dual_fmac_f32 v166, v125, v80
	s_delay_alu instid0(VALU_DEP_4) | instskip(SKIP_2) | instid1(VALU_DEP_3)
	v_fma_f32 v76, v124, v80, -v76
	s_wait_loadcnt_dscnt 0x908
	v_dual_mul_f32 v168, v128, v85 :: v_dual_mul_f32 v169, v130, v87
	v_add_f32_e32 v77, v77, v78
	v_fmac_f32_e32 v167, v127, v82
	v_fma_f32 v78, v126, v82, -v79
	s_wait_loadcnt_dscnt 0x807
	v_dual_mul_f32 v170, v132, v89 :: v_dual_mul_f32 v171, v134, v91
	v_dual_add_f32 v76, v77, v76 :: v_dual_mul_f32 v77, v131, v87
	v_fmac_f32_e32 v168, v129, v84
	s_wait_loadcnt_dscnt 0x706
	v_dual_mul_f32 v172, v136, v93 :: v_dual_mul_f32 v173, v138, v95
	s_delay_alu instid0(VALU_DEP_3) | instskip(SKIP_3) | instid1(VALU_DEP_4)
	v_dual_add_f32 v76, v76, v78 :: v_dual_add_f32 v73, 0, v73
	v_mul_f32_e32 v78, v133, v89
	v_fma_f32 v77, v130, v86, -v77
	v_dual_fmac_f32 v169, v131, v86 :: v_dual_fmac_f32 v170, v133, v88
	v_add_f32_e32 v73, v73, v74
	v_mul_f32_e32 v74, v129, v85
	v_fma_f32 v78, v132, v88, -v78
	v_dual_fmac_f32 v171, v135, v90 :: v_dual_fmac_f32 v172, v137, v92
	s_wait_loadcnt_dscnt 0x605
	v_dual_mul_f32 v174, v140, v97 :: v_dual_mul_f32 v175, v142, v99
	v_fma_f32 v74, v128, v84, -v74
	s_wait_loadcnt_dscnt 0x504
	v_dual_mul_f32 v176, v144, v101 :: v_dual_mul_f32 v177, v146, v103
	s_wait_loadcnt_dscnt 0x403
	v_dual_mul_f32 v178, v148, v105 :: v_dual_mul_f32 v179, v150, v107
	v_add_f32_e32 v74, v76, v74
	v_mul_f32_e32 v76, v135, v91
	v_dual_fmac_f32 v176, v145, v100 :: v_dual_fmac_f32 v177, v147, v102
	s_delay_alu instid0(VALU_DEP_4) | instskip(NEXT) | instid1(VALU_DEP_4)
	v_dual_fmac_f32 v178, v149, v104 :: v_dual_fmac_f32 v179, v151, v106
	v_dual_add_f32 v74, v74, v77 :: v_dual_add_f32 v73, v73, v166
	v_mul_f32_e32 v77, v137, v93
	v_fma_f32 v76, v134, v90, -v76
	v_fmac_f32_e32 v173, v139, v94
	s_delay_alu instid0(VALU_DEP_4)
	v_add_f32_e32 v74, v74, v78
	v_mul_f32_e32 v78, v139, v95
	v_add_f32_e32 v73, v73, v167
	v_fma_f32 v77, v136, v92, -v77
	v_fmac_f32_e32 v174, v141, v96
	v_add_f32_e32 v74, v74, v76
	v_mul_f32_e32 v76, v141, v97
	v_add_f32_e32 v73, v73, v168
	v_fma_f32 v78, v138, v94, -v78
	s_delay_alu instid0(VALU_DEP_4) | instskip(SKIP_1) | instid1(VALU_DEP_4)
	v_dual_fmac_f32 v175, v143, v98 :: v_dual_add_f32 v74, v74, v77
	v_mul_f32_e32 v77, v143, v99
	v_add_f32_e32 v73, v73, v169
	v_fma_f32 v76, v140, v96, -v76
	s_wait_loadcnt_dscnt 0x302
	v_dual_mul_f32 v180, v152, v109 :: v_dual_mul_f32 v181, v154, v111
	v_add_f32_e32 v74, v74, v78
	v_add_f32_e32 v73, v73, v170
	v_fma_f32 v77, v142, v98, -v77
	v_mul_f32_e32 v78, v145, v101
	s_wait_loadcnt_dscnt 0x201
	v_dual_mul_f32 v182, v156, v113 :: v_dual_mul_f32 v183, v158, v115
	v_dual_add_f32 v74, v74, v76 :: v_dual_add_f32 v73, v73, v171
	v_mul_f32_e32 v76, v147, v103
	v_fma_f32 v78, v144, v100, -v78
	v_dual_fmac_f32 v180, v153, v108 :: v_dual_fmac_f32 v181, v155, v110
	s_delay_alu instid0(VALU_DEP_4)
	v_dual_add_f32 v74, v74, v77 :: v_dual_add_f32 v73, v73, v172
	v_mul_f32_e32 v77, v149, v105
	v_fma_f32 v76, v146, v102, -v76
	s_wait_loadcnt_dscnt 0x100
	v_dual_mul_f32 v184, v160, v117 :: v_dual_mul_f32 v185, v162, v119
	v_dual_add_f32 v73, v73, v173 :: v_dual_add_f32 v74, v74, v78
	v_mul_f32_e32 v78, v151, v107
	v_fma_f32 v77, v148, v104, -v77
	s_delay_alu instid0(VALU_DEP_4) | instskip(NEXT) | instid1(VALU_DEP_4)
	v_dual_fmac_f32 v182, v157, v112 :: v_dual_fmac_f32 v185, v163, v118
	v_dual_add_f32 v73, v73, v174 :: v_dual_add_f32 v74, v74, v76
	v_mul_f32_e32 v76, v153, v109
	v_fma_f32 v78, v150, v106, -v78
	v_fmac_f32_e32 v183, v159, v114
	s_delay_alu instid0(VALU_DEP_4) | instskip(SKIP_2) | instid1(VALU_DEP_3)
	v_dual_add_f32 v73, v73, v175 :: v_dual_add_f32 v74, v74, v77
	v_mul_f32_e32 v77, v155, v111
	v_fma_f32 v76, v152, v108, -v76
	v_dual_add_f32 v73, v73, v176 :: v_dual_add_f32 v74, v74, v78
	v_mul_f32_e32 v78, v157, v113
	s_delay_alu instid0(VALU_DEP_4) | instskip(NEXT) | instid1(VALU_DEP_3)
	v_fma_f32 v77, v154, v110, -v77
	v_dual_add_f32 v73, v73, v177 :: v_dual_add_f32 v74, v74, v76
	v_mul_f32_e32 v76, v159, v115
	s_delay_alu instid0(VALU_DEP_4) | instskip(NEXT) | instid1(VALU_DEP_3)
	;; [unrolled: 4-line block ×4, first 2 shown]
	v_fma_f32 v77, v160, v116, -v77
	v_add_f32_e32 v73, v73, v180
	s_delay_alu instid0(VALU_DEP_4) | instskip(NEXT) | instid1(VALU_DEP_4)
	v_add_f32_e32 v74, v74, v76
	v_fma_f32 v76, v162, v118, -v78
	s_delay_alu instid0(VALU_DEP_3) | instskip(NEXT) | instid1(VALU_DEP_1)
	v_add_f32_e32 v73, v73, v181
	v_dual_add_f32 v74, v74, v77 :: v_dual_add_f32 v73, v73, v182
	s_delay_alu instid0(VALU_DEP_1) | instskip(SKIP_1) | instid1(VALU_DEP_3)
	v_add_f32_e32 v74, v74, v76
	v_fmac_f32_e32 v184, v161, v116
	v_add_f32_e32 v73, v73, v183
	s_delay_alu instid0(VALU_DEP_1) | instskip(SKIP_1) | instid1(VALU_DEP_1)
	v_add_f32_e32 v73, v73, v184
	s_wait_loadcnt 0x0
	v_dual_add_f32 v76, v73, v185 :: v_dual_sub_f32 v73, v164, v74
	s_delay_alu instid0(VALU_DEP_1)
	v_sub_f32_e32 v74, v165, v76
	scratch_store_b64 off, v[73:74], off offset:104
	v_cmpx_lt_u32_e32 12, v0
	s_cbranch_execz .LBB99_205
; %bb.204:
	scratch_load_b64 v[73:74], off, off offset:96
	v_mov_b32_e32 v76, 0
	s_delay_alu instid0(VALU_DEP_1)
	v_mov_b32_e32 v77, v76
	scratch_store_b64 off, v[76:77], off offset:96
	s_wait_loadcnt 0x0
	ds_store_b64 v75, v[73:74]
.LBB99_205:
	s_wait_alu 0xfffe
	s_or_b32 exec_lo, exec_lo, s0
	s_wait_storecnt_dscnt 0x0
	s_barrier_signal -1
	s_barrier_wait -1
	global_inv scope:SCOPE_SE
	s_clause 0xc
	scratch_load_b128 v[76:79], off, off offset:104
	scratch_load_b128 v[80:83], off, off offset:120
	scratch_load_b128 v[84:87], off, off offset:136
	scratch_load_b128 v[88:91], off, off offset:152
	scratch_load_b128 v[92:95], off, off offset:168
	scratch_load_b128 v[96:99], off, off offset:184
	scratch_load_b128 v[100:103], off, off offset:200
	scratch_load_b128 v[104:107], off, off offset:216
	scratch_load_b128 v[108:111], off, off offset:232
	scratch_load_b128 v[112:115], off, off offset:248
	scratch_load_b128 v[116:119], off, off offset:264
	scratch_load_b64 v[164:165], off, off offset:280
	scratch_load_b64 v[166:167], off, off offset:96
	v_mov_b32_e32 v73, 0
	ds_load_2addr_b64 v[120:123], v73 offset0:49 offset1:50
	ds_load_2addr_b64 v[124:127], v73 offset0:51 offset1:52
	;; [unrolled: 1-line block ×11, first 2 shown]
	ds_load_b64 v[168:169], v73 offset:568
	s_mov_b32 s0, exec_lo
	s_wait_loadcnt_dscnt 0xc0b
	v_mul_f32_e32 v74, v120, v77
	s_wait_loadcnt_dscnt 0xb0a
	v_dual_mul_f32 v170, v122, v79 :: v_dual_mul_f32 v171, v124, v81
	v_mul_f32_e32 v79, v123, v79
	s_wait_loadcnt_dscnt 0xa09
	v_dual_mul_f32 v172, v126, v83 :: v_dual_mul_f32 v173, v128, v85
	v_mul_f32_e32 v77, v121, v77
	v_fmac_f32_e32 v74, v121, v76
	s_wait_loadcnt_dscnt 0x807
	v_dual_mul_f32 v176, v134, v91 :: v_dual_mul_f32 v177, v136, v93
	s_wait_loadcnt_dscnt 0x100
	v_dual_mul_f32 v188, v158, v115 :: v_dual_mul_f32 v191, v168, v165
	v_fma_f32 v77, v120, v76, -v77
	v_mul_f32_e32 v76, v125, v81
	v_fmac_f32_e32 v170, v123, v78
	v_fma_f32 v78, v122, v78, -v79
	v_dual_add_f32 v74, 0, v74 :: v_dual_mul_f32 v79, v127, v83
	v_add_f32_e32 v77, 0, v77
	v_fmac_f32_e32 v171, v125, v80
	v_fma_f32 v76, v124, v80, -v76
	s_delay_alu instid0(VALU_DEP_4)
	v_add_f32_e32 v74, v74, v170
	v_fma_f32 v79, v126, v82, -v79
	v_add_f32_e32 v77, v77, v78
	v_mul_f32_e32 v78, v129, v85
	v_dual_mul_f32 v178, v138, v95 :: v_dual_mul_f32 v179, v140, v97
	v_add_f32_e32 v74, v74, v171
	s_delay_alu instid0(VALU_DEP_4) | instskip(NEXT) | instid1(VALU_DEP_4)
	v_dual_add_f32 v76, v77, v76 :: v_dual_mul_f32 v77, v131, v87
	v_fma_f32 v78, v128, v84, -v78
	v_dual_mul_f32 v180, v142, v99 :: v_dual_mul_f32 v181, v144, v101
	s_delay_alu instid0(VALU_DEP_3) | instskip(NEXT) | instid1(VALU_DEP_4)
	v_dual_add_f32 v76, v76, v79 :: v_dual_mul_f32 v79, v133, v89
	v_fma_f32 v77, v130, v86, -v77
	v_dual_fmac_f32 v172, v127, v82 :: v_dual_fmac_f32 v173, v129, v84
	s_delay_alu instid0(VALU_DEP_3) | instskip(SKIP_2) | instid1(VALU_DEP_3)
	v_dual_add_f32 v76, v76, v78 :: v_dual_fmac_f32 v177, v137, v92
	v_dual_mul_f32 v78, v135, v91 :: v_dual_fmac_f32 v179, v141, v96
	v_fma_f32 v79, v132, v88, -v79
	v_dual_add_f32 v76, v76, v77 :: v_dual_fmac_f32 v181, v145, v100
	v_dual_mul_f32 v182, v146, v103 :: v_dual_mul_f32 v183, v148, v105
	v_dual_add_f32 v74, v74, v172 :: v_dual_mul_f32 v77, v137, v93
	v_fma_f32 v78, v134, v90, -v78
	s_delay_alu instid0(VALU_DEP_3) | instskip(SKIP_1) | instid1(VALU_DEP_4)
	v_dual_add_f32 v76, v76, v79 :: v_dual_fmac_f32 v183, v149, v104
	v_mul_f32_e32 v79, v139, v95
	v_fma_f32 v77, v136, v92, -v77
	v_dual_mul_f32 v174, v130, v87 :: v_dual_mul_f32 v175, v132, v89
	s_delay_alu instid0(VALU_DEP_4) | instskip(SKIP_3) | instid1(VALU_DEP_4)
	v_add_f32_e32 v76, v76, v78
	v_dual_mul_f32 v186, v154, v111 :: v_dual_mul_f32 v187, v156, v113
	v_mul_f32_e32 v78, v141, v97
	v_fma_f32 v79, v138, v94, -v79
	v_add_f32_e32 v76, v76, v77
	v_dual_fmac_f32 v174, v131, v86 :: v_dual_fmac_f32 v175, v133, v88
	v_dual_add_f32 v74, v74, v173 :: v_dual_mul_f32 v77, v143, v99
	v_fma_f32 v78, v140, v96, -v78
	s_delay_alu instid0(VALU_DEP_4) | instskip(NEXT) | instid1(VALU_DEP_3)
	v_dual_fmac_f32 v187, v157, v112 :: v_dual_add_f32 v76, v76, v79
	v_dual_add_f32 v74, v74, v174 :: v_dual_mul_f32 v79, v145, v101
	s_delay_alu instid0(VALU_DEP_4) | instskip(SKIP_1) | instid1(VALU_DEP_4)
	v_fma_f32 v77, v142, v98, -v77
	v_dual_mul_f32 v184, v150, v107 :: v_dual_mul_f32 v185, v152, v109
	v_add_f32_e32 v76, v76, v78
	v_mul_f32_e32 v78, v147, v103
	v_fma_f32 v79, v144, v100, -v79
	v_fmac_f32_e32 v176, v135, v90
	v_dual_add_f32 v74, v74, v175 :: v_dual_fmac_f32 v185, v153, v108
	v_add_f32_e32 v76, v76, v77
	v_mul_f32_e32 v77, v149, v105
	v_fma_f32 v78, v146, v102, -v78
	s_delay_alu instid0(VALU_DEP_4)
	v_dual_add_f32 v74, v74, v176 :: v_dual_mul_f32 v189, v160, v117
	v_mul_f32_e32 v190, v162, v119
	v_add_f32_e32 v76, v76, v79
	v_mul_f32_e32 v79, v151, v107
	v_fma_f32 v77, v148, v104, -v77
	v_dual_fmac_f32 v178, v139, v94 :: v_dual_fmac_f32 v189, v161, v116
	s_delay_alu instid0(VALU_DEP_4) | instskip(NEXT) | instid1(VALU_DEP_4)
	v_add_f32_e32 v76, v76, v78
	v_fma_f32 v79, v150, v106, -v79
	v_dual_fmac_f32 v180, v143, v98 :: v_dual_fmac_f32 v191, v169, v164
	v_fmac_f32_e32 v182, v147, v102
	s_delay_alu instid0(VALU_DEP_4) | instskip(SKIP_3) | instid1(VALU_DEP_4)
	v_dual_add_f32 v76, v76, v77 :: v_dual_mul_f32 v77, v155, v111
	v_add_f32_e32 v74, v74, v177
	v_mul_f32_e32 v78, v153, v109
	v_fmac_f32_e32 v184, v151, v106
	v_dual_add_f32 v76, v76, v79 :: v_dual_mul_f32 v79, v157, v113
	s_delay_alu instid0(VALU_DEP_4) | instskip(NEXT) | instid1(VALU_DEP_4)
	v_add_f32_e32 v74, v74, v178
	v_fma_f32 v78, v152, v108, -v78
	v_fmac_f32_e32 v186, v155, v110
	v_fma_f32 v77, v154, v110, -v77
	v_fma_f32 v79, v156, v112, -v79
	v_add_f32_e32 v74, v74, v179
	v_add_f32_e32 v76, v76, v78
	v_mul_f32_e32 v78, v159, v115
	v_fmac_f32_e32 v188, v159, v114
	v_fmac_f32_e32 v190, v163, v118
	v_add_f32_e32 v74, v74, v180
	v_add_f32_e32 v76, v76, v77
	v_mul_f32_e32 v77, v161, v117
	v_fma_f32 v78, v158, v114, -v78
	s_delay_alu instid0(VALU_DEP_4) | instskip(NEXT) | instid1(VALU_DEP_4)
	v_add_f32_e32 v74, v74, v181
	v_add_f32_e32 v76, v76, v79
	v_mul_f32_e32 v79, v163, v119
	v_fma_f32 v77, v160, v116, -v77
	s_delay_alu instid0(VALU_DEP_4) | instskip(NEXT) | instid1(VALU_DEP_4)
	;; [unrolled: 5-line block ×3, first 2 shown]
	v_add_f32_e32 v74, v74, v183
	v_add_f32_e32 v76, v76, v77
	s_delay_alu instid0(VALU_DEP_4) | instskip(NEXT) | instid1(VALU_DEP_3)
	v_fma_f32 v77, v168, v164, -v78
	v_add_f32_e32 v74, v74, v184
	s_delay_alu instid0(VALU_DEP_3) | instskip(NEXT) | instid1(VALU_DEP_2)
	v_add_f32_e32 v76, v76, v79
	v_add_f32_e32 v74, v74, v185
	s_delay_alu instid0(VALU_DEP_2) | instskip(NEXT) | instid1(VALU_DEP_2)
	v_add_f32_e32 v76, v76, v77
	v_add_f32_e32 v74, v74, v186
	s_wait_loadcnt 0x0
	s_delay_alu instid0(VALU_DEP_2) | instskip(NEXT) | instid1(VALU_DEP_2)
	v_sub_f32_e32 v76, v166, v76
	v_add_f32_e32 v74, v74, v187
	s_delay_alu instid0(VALU_DEP_1) | instskip(NEXT) | instid1(VALU_DEP_1)
	v_add_f32_e32 v74, v74, v188
	v_add_f32_e32 v74, v74, v189
	s_delay_alu instid0(VALU_DEP_1) | instskip(NEXT) | instid1(VALU_DEP_1)
	v_add_f32_e32 v74, v74, v190
	v_add_f32_e32 v74, v74, v191
	s_delay_alu instid0(VALU_DEP_1)
	v_sub_f32_e32 v77, v167, v74
	scratch_store_b64 off, v[76:77], off offset:96
	v_cmpx_lt_u32_e32 11, v0
	s_cbranch_execz .LBB99_207
; %bb.206:
	scratch_load_b64 v[76:77], off, off offset:88
	v_mov_b32_e32 v74, v73
	scratch_store_b64 off, v[73:74], off offset:88
	s_wait_loadcnt 0x0
	ds_store_b64 v75, v[76:77]
.LBB99_207:
	s_wait_alu 0xfffe
	s_or_b32 exec_lo, exec_lo, s0
	s_wait_storecnt_dscnt 0x0
	s_barrier_signal -1
	s_barrier_wait -1
	global_inv scope:SCOPE_SE
	s_clause 0xc
	scratch_load_b128 v[76:79], off, off offset:96
	scratch_load_b128 v[80:83], off, off offset:112
	;; [unrolled: 1-line block ×12, first 2 shown]
	scratch_load_b64 v[172:173], off, off offset:88
	ds_load_b128 v[124:127], v73 offset:384
	ds_load_b128 v[128:131], v73 offset:400
	;; [unrolled: 1-line block ×12, first 2 shown]
	s_mov_b32 s0, exec_lo
	s_wait_loadcnt_dscnt 0xc0b
	v_dual_mul_f32 v73, v124, v77 :: v_dual_mul_f32 v74, v126, v79
	v_mul_f32_e32 v77, v125, v77
	s_wait_loadcnt_dscnt 0xb0a
	v_dual_mul_f32 v79, v127, v79 :: v_dual_mul_f32 v174, v128, v81
	s_delay_alu instid0(VALU_DEP_3) | instskip(NEXT) | instid1(VALU_DEP_3)
	v_dual_mul_f32 v175, v130, v83 :: v_dual_fmac_f32 v74, v127, v78
	v_fma_f32 v77, v124, v76, -v77
	v_fmac_f32_e32 v73, v125, v76
	v_mul_f32_e32 v76, v129, v81
	v_fma_f32 v78, v126, v78, -v79
	v_mul_f32_e32 v79, v131, v83
	v_dual_add_f32 v77, 0, v77 :: v_dual_fmac_f32 v174, v129, v80
	s_delay_alu instid0(VALU_DEP_4) | instskip(SKIP_2) | instid1(VALU_DEP_3)
	v_fma_f32 v76, v128, v80, -v76
	s_wait_loadcnt_dscnt 0xa09
	v_dual_mul_f32 v176, v132, v85 :: v_dual_mul_f32 v177, v134, v87
	v_add_f32_e32 v77, v77, v78
	v_fmac_f32_e32 v175, v131, v82
	v_fma_f32 v78, v130, v82, -v79
	s_wait_loadcnt_dscnt 0x908
	v_dual_mul_f32 v178, v136, v89 :: v_dual_mul_f32 v179, v138, v91
	v_dual_add_f32 v76, v77, v76 :: v_dual_mul_f32 v77, v135, v87
	v_fmac_f32_e32 v176, v133, v84
	s_wait_loadcnt_dscnt 0x807
	v_dual_mul_f32 v180, v140, v93 :: v_dual_mul_f32 v181, v142, v95
	s_delay_alu instid0(VALU_DEP_3) | instskip(SKIP_3) | instid1(VALU_DEP_4)
	v_dual_add_f32 v76, v76, v78 :: v_dual_add_f32 v73, 0, v73
	v_mul_f32_e32 v78, v137, v89
	v_fma_f32 v77, v134, v86, -v77
	v_dual_fmac_f32 v177, v135, v86 :: v_dual_fmac_f32 v178, v137, v88
	v_add_f32_e32 v73, v73, v74
	v_mul_f32_e32 v74, v133, v85
	v_fma_f32 v78, v136, v88, -v78
	v_dual_fmac_f32 v179, v139, v90 :: v_dual_fmac_f32 v180, v141, v92
	s_wait_loadcnt_dscnt 0x706
	v_dual_mul_f32 v182, v144, v97 :: v_dual_mul_f32 v183, v146, v99
	v_fma_f32 v74, v132, v84, -v74
	s_wait_loadcnt_dscnt 0x605
	v_dual_mul_f32 v184, v148, v101 :: v_dual_mul_f32 v185, v150, v103
	s_wait_loadcnt_dscnt 0x504
	v_dual_mul_f32 v186, v152, v105 :: v_dual_mul_f32 v187, v154, v107
	v_add_f32_e32 v74, v76, v74
	v_mul_f32_e32 v76, v139, v91
	v_dual_fmac_f32 v184, v149, v100 :: v_dual_fmac_f32 v185, v151, v102
	s_delay_alu instid0(VALU_DEP_4) | instskip(NEXT) | instid1(VALU_DEP_4)
	v_dual_fmac_f32 v186, v153, v104 :: v_dual_fmac_f32 v187, v155, v106
	v_dual_add_f32 v74, v74, v77 :: v_dual_add_f32 v73, v73, v174
	v_mul_f32_e32 v77, v141, v93
	v_fma_f32 v76, v138, v90, -v76
	v_fmac_f32_e32 v181, v143, v94
	s_delay_alu instid0(VALU_DEP_4)
	v_add_f32_e32 v74, v74, v78
	v_mul_f32_e32 v78, v143, v95
	v_add_f32_e32 v73, v73, v175
	v_fma_f32 v77, v140, v92, -v77
	v_fmac_f32_e32 v182, v145, v96
	v_add_f32_e32 v74, v74, v76
	v_mul_f32_e32 v76, v145, v97
	v_add_f32_e32 v73, v73, v176
	v_fma_f32 v78, v142, v94, -v78
	s_delay_alu instid0(VALU_DEP_4) | instskip(SKIP_1) | instid1(VALU_DEP_4)
	v_dual_fmac_f32 v183, v147, v98 :: v_dual_add_f32 v74, v74, v77
	v_mul_f32_e32 v77, v147, v99
	v_add_f32_e32 v73, v73, v177
	v_fma_f32 v76, v144, v96, -v76
	s_wait_loadcnt_dscnt 0x403
	v_dual_mul_f32 v188, v156, v109 :: v_dual_mul_f32 v189, v158, v111
	v_add_f32_e32 v74, v74, v78
	v_add_f32_e32 v73, v73, v178
	v_fma_f32 v77, v146, v98, -v77
	v_mul_f32_e32 v78, v149, v101
	s_wait_loadcnt_dscnt 0x302
	v_dual_mul_f32 v190, v160, v113 :: v_dual_mul_f32 v191, v162, v115
	v_dual_add_f32 v74, v74, v76 :: v_dual_add_f32 v73, v73, v179
	v_mul_f32_e32 v76, v151, v103
	v_fma_f32 v78, v148, v100, -v78
	v_dual_fmac_f32 v188, v157, v108 :: v_dual_fmac_f32 v189, v159, v110
	s_delay_alu instid0(VALU_DEP_4)
	v_dual_add_f32 v74, v74, v77 :: v_dual_add_f32 v73, v73, v180
	v_mul_f32_e32 v77, v153, v105
	v_fma_f32 v76, v150, v102, -v76
	s_wait_loadcnt_dscnt 0x201
	v_dual_mul_f32 v192, v164, v117 :: v_dual_mul_f32 v193, v166, v119
	v_dual_add_f32 v73, v73, v181 :: v_dual_add_f32 v74, v74, v78
	v_mul_f32_e32 v78, v155, v107
	v_fma_f32 v77, v152, v104, -v77
	s_delay_alu instid0(VALU_DEP_4) | instskip(NEXT) | instid1(VALU_DEP_4)
	v_dual_fmac_f32 v190, v161, v112 :: v_dual_fmac_f32 v193, v167, v118
	v_dual_add_f32 v73, v73, v182 :: v_dual_add_f32 v74, v74, v76
	v_mul_f32_e32 v76, v157, v109
	v_fma_f32 v78, v154, v106, -v78
	v_fmac_f32_e32 v191, v163, v114
	s_delay_alu instid0(VALU_DEP_4)
	v_dual_add_f32 v73, v73, v183 :: v_dual_add_f32 v74, v74, v77
	v_mul_f32_e32 v77, v159, v111
	v_fma_f32 v76, v156, v108, -v76
	s_wait_loadcnt_dscnt 0x100
	v_dual_mul_f32 v194, v168, v121 :: v_dual_mul_f32 v195, v170, v123
	v_dual_add_f32 v73, v73, v184 :: v_dual_add_f32 v74, v74, v78
	v_mul_f32_e32 v78, v161, v113
	v_fma_f32 v77, v158, v110, -v77
	v_fmac_f32_e32 v192, v165, v116
	s_delay_alu instid0(VALU_DEP_4) | instskip(SKIP_3) | instid1(VALU_DEP_4)
	v_dual_add_f32 v73, v73, v185 :: v_dual_add_f32 v74, v74, v76
	v_mul_f32_e32 v76, v163, v115
	v_fma_f32 v78, v160, v112, -v78
	v_fmac_f32_e32 v195, v171, v122
	v_dual_add_f32 v73, v73, v186 :: v_dual_add_f32 v74, v74, v77
	v_mul_f32_e32 v77, v165, v117
	v_fma_f32 v76, v162, v114, -v76
	s_delay_alu instid0(VALU_DEP_3) | instskip(SKIP_1) | instid1(VALU_DEP_4)
	v_dual_add_f32 v73, v73, v187 :: v_dual_add_f32 v74, v74, v78
	v_mul_f32_e32 v78, v167, v119
	v_fma_f32 v77, v164, v116, -v77
	s_delay_alu instid0(VALU_DEP_3) | instskip(NEXT) | instid1(VALU_DEP_4)
	v_add_f32_e32 v73, v73, v188
	v_add_f32_e32 v74, v74, v76
	v_mul_f32_e32 v76, v169, v121
	v_fma_f32 v78, v166, v118, -v78
	s_delay_alu instid0(VALU_DEP_4) | instskip(NEXT) | instid1(VALU_DEP_4)
	v_add_f32_e32 v73, v73, v189
	v_dual_add_f32 v74, v74, v77 :: v_dual_mul_f32 v77, v171, v123
	s_delay_alu instid0(VALU_DEP_4) | instskip(NEXT) | instid1(VALU_DEP_3)
	v_fma_f32 v76, v168, v120, -v76
	v_add_f32_e32 v73, v73, v190
	s_delay_alu instid0(VALU_DEP_3) | instskip(NEXT) | instid1(VALU_DEP_4)
	v_add_f32_e32 v74, v74, v78
	v_fma_f32 v77, v170, v122, -v77
	s_delay_alu instid0(VALU_DEP_2) | instskip(NEXT) | instid1(VALU_DEP_1)
	v_dual_add_f32 v73, v73, v191 :: v_dual_add_f32 v74, v74, v76
	v_dual_add_f32 v73, v73, v192 :: v_dual_add_f32 v74, v74, v77
	v_fmac_f32_e32 v194, v169, v120
	s_delay_alu instid0(VALU_DEP_2) | instskip(NEXT) | instid1(VALU_DEP_1)
	v_add_f32_e32 v73, v73, v193
	v_add_f32_e32 v73, v73, v194
	s_wait_loadcnt 0x0
	s_delay_alu instid0(VALU_DEP_1) | instskip(NEXT) | instid1(VALU_DEP_1)
	v_dual_add_f32 v76, v73, v195 :: v_dual_sub_f32 v73, v172, v74
	v_sub_f32_e32 v74, v173, v76
	scratch_store_b64 off, v[73:74], off offset:88
	v_cmpx_lt_u32_e32 10, v0
	s_cbranch_execz .LBB99_209
; %bb.208:
	scratch_load_b64 v[73:74], off, off offset:80
	v_mov_b32_e32 v76, 0
	s_delay_alu instid0(VALU_DEP_1)
	v_mov_b32_e32 v77, v76
	scratch_store_b64 off, v[76:77], off offset:80
	s_wait_loadcnt 0x0
	ds_store_b64 v75, v[73:74]
.LBB99_209:
	s_wait_alu 0xfffe
	s_or_b32 exec_lo, exec_lo, s0
	s_wait_storecnt_dscnt 0x0
	s_barrier_signal -1
	s_barrier_wait -1
	global_inv scope:SCOPE_SE
	s_clause 0xd
	scratch_load_b128 v[76:79], off, off offset:88
	scratch_load_b128 v[80:83], off, off offset:104
	;; [unrolled: 1-line block ×12, first 2 shown]
	scratch_load_b64 v[172:173], off, off offset:280
	scratch_load_b64 v[174:175], off, off offset:80
	v_mov_b32_e32 v73, 0
	ds_load_2addr_b64 v[124:127], v73 offset0:47 offset1:48
	ds_load_2addr_b64 v[128:131], v73 offset0:49 offset1:50
	;; [unrolled: 1-line block ×12, first 2 shown]
	ds_load_b64 v[176:177], v73 offset:568
	s_mov_b32 s0, exec_lo
	s_wait_loadcnt_dscnt 0xd0c
	v_mul_f32_e32 v74, v124, v77
	s_wait_loadcnt_dscnt 0xc0b
	v_dual_mul_f32 v178, v126, v79 :: v_dual_mul_f32 v179, v128, v81
	v_mul_f32_e32 v79, v127, v79
	s_wait_loadcnt_dscnt 0xb0a
	v_dual_mul_f32 v180, v130, v83 :: v_dual_mul_f32 v181, v132, v85
	s_wait_loadcnt_dscnt 0xa09
	v_dual_mul_f32 v77, v125, v77 :: v_dual_mul_f32 v184, v138, v91
	s_wait_loadcnt_dscnt 0x908
	v_dual_mul_f32 v185, v140, v93 :: v_dual_fmac_f32 v74, v125, v76
	s_wait_loadcnt_dscnt 0x302
	v_mul_f32_e32 v198, v166, v119
	v_fma_f32 v77, v124, v76, -v77
	s_wait_loadcnt_dscnt 0x100
	v_mul_f32_e32 v201, v176, v173
	v_mul_f32_e32 v76, v129, v81
	v_fmac_f32_e32 v178, v127, v78
	v_fma_f32 v78, v126, v78, -v79
	v_dual_add_f32 v77, 0, v77 :: v_dual_add_f32 v74, 0, v74
	v_mul_f32_e32 v79, v131, v83
	v_fmac_f32_e32 v179, v129, v80
	v_fma_f32 v76, v128, v80, -v76
	v_dual_mul_f32 v186, v142, v95 :: v_dual_mul_f32 v187, v144, v97
	v_add_f32_e32 v74, v74, v178
	v_add_f32_e32 v77, v77, v78
	v_mul_f32_e32 v78, v133, v85
	v_fma_f32 v79, v130, v82, -v79
	v_dual_mul_f32 v188, v146, v99 :: v_dual_mul_f32 v189, v148, v101
	v_add_f32_e32 v74, v74, v179
	v_dual_add_f32 v76, v77, v76 :: v_dual_mul_f32 v77, v135, v87
	v_fma_f32 v78, v132, v84, -v78
	v_dual_fmac_f32 v180, v131, v82 :: v_dual_fmac_f32 v181, v133, v84
	s_delay_alu instid0(VALU_DEP_3) | instskip(NEXT) | instid1(VALU_DEP_4)
	v_dual_add_f32 v76, v76, v79 :: v_dual_mul_f32 v79, v137, v89
	v_fma_f32 v77, v134, v86, -v77
	v_dual_fmac_f32 v185, v141, v92 :: v_dual_mul_f32 v190, v150, v103
	v_mul_f32_e32 v191, v152, v105
	s_delay_alu instid0(VALU_DEP_4) | instskip(SKIP_3) | instid1(VALU_DEP_4)
	v_add_f32_e32 v76, v76, v78
	v_dual_mul_f32 v78, v139, v91 :: v_dual_fmac_f32 v187, v145, v96
	v_fma_f32 v79, v136, v88, -v79
	v_add_f32_e32 v74, v74, v180
	v_dual_add_f32 v76, v76, v77 :: v_dual_fmac_f32 v189, v149, v100
	v_mul_f32_e32 v77, v141, v93
	v_fma_f32 v78, v138, v90, -v78
	s_delay_alu instid0(VALU_DEP_3) | instskip(SKIP_1) | instid1(VALU_DEP_4)
	v_dual_fmac_f32 v191, v153, v104 :: v_dual_add_f32 v76, v76, v79
	v_mul_f32_e32 v79, v143, v95
	v_fma_f32 v77, v140, v92, -v77
	v_dual_mul_f32 v182, v134, v87 :: v_dual_mul_f32 v183, v136, v89
	s_delay_alu instid0(VALU_DEP_4) | instskip(SKIP_3) | instid1(VALU_DEP_4)
	v_add_f32_e32 v76, v76, v78
	v_dual_mul_f32 v194, v158, v111 :: v_dual_mul_f32 v195, v160, v113
	v_mul_f32_e32 v78, v145, v97
	v_fma_f32 v79, v142, v94, -v79
	v_add_f32_e32 v76, v76, v77
	v_dual_fmac_f32 v182, v135, v86 :: v_dual_fmac_f32 v183, v137, v88
	v_dual_add_f32 v74, v74, v181 :: v_dual_mul_f32 v77, v147, v99
	v_fma_f32 v78, v144, v96, -v78
	s_delay_alu instid0(VALU_DEP_4) | instskip(NEXT) | instid1(VALU_DEP_3)
	v_dual_fmac_f32 v195, v161, v112 :: v_dual_add_f32 v76, v76, v79
	v_dual_add_f32 v74, v74, v182 :: v_dual_mul_f32 v79, v149, v101
	s_delay_alu instid0(VALU_DEP_4) | instskip(SKIP_1) | instid1(VALU_DEP_4)
	v_fma_f32 v77, v146, v98, -v77
	v_fmac_f32_e32 v184, v139, v90
	v_add_f32_e32 v76, v76, v78
	v_mul_f32_e32 v78, v151, v103
	v_fma_f32 v79, v148, v100, -v79
	v_dual_mul_f32 v192, v154, v107 :: v_dual_mul_f32 v193, v156, v109
	s_delay_alu instid0(VALU_DEP_4) | instskip(SKIP_2) | instid1(VALU_DEP_4)
	v_add_f32_e32 v76, v76, v77
	v_mul_f32_e32 v77, v153, v105
	v_fma_f32 v78, v150, v102, -v78
	v_dual_add_f32 v74, v74, v183 :: v_dual_fmac_f32 v193, v157, v108
	s_delay_alu instid0(VALU_DEP_4) | instskip(SKIP_2) | instid1(VALU_DEP_4)
	v_add_f32_e32 v76, v76, v79
	v_mul_f32_e32 v79, v155, v107
	v_fma_f32 v77, v152, v104, -v77
	v_add_f32_e32 v74, v74, v184
	v_fmac_f32_e32 v186, v143, v94
	v_add_f32_e32 v76, v76, v78
	v_mul_f32_e32 v78, v157, v109
	v_fma_f32 v79, v154, v106, -v79
	v_dual_mul_f32 v196, v162, v115 :: v_dual_mul_f32 v197, v164, v117
	s_delay_alu instid0(VALU_DEP_4) | instskip(NEXT) | instid1(VALU_DEP_4)
	v_dual_add_f32 v76, v76, v77 :: v_dual_mul_f32 v77, v159, v111
	v_fma_f32 v78, v156, v108, -v78
	s_delay_alu instid0(VALU_DEP_3) | instskip(NEXT) | instid1(VALU_DEP_3)
	v_dual_add_f32 v74, v74, v185 :: v_dual_fmac_f32 v197, v165, v116
	v_dual_add_f32 v76, v76, v79 :: v_dual_mul_f32 v79, v161, v113
	s_delay_alu instid0(VALU_DEP_4) | instskip(NEXT) | instid1(VALU_DEP_3)
	v_fma_f32 v77, v158, v110, -v77
	v_dual_add_f32 v74, v74, v186 :: v_dual_mul_f32 v199, v168, v121
	v_mul_f32_e32 v200, v170, v123
	s_delay_alu instid0(VALU_DEP_4) | instskip(SKIP_3) | instid1(VALU_DEP_4)
	v_add_f32_e32 v76, v76, v78
	v_mul_f32_e32 v78, v163, v115
	v_fma_f32 v79, v160, v112, -v79
	v_dual_fmac_f32 v188, v147, v98 :: v_dual_fmac_f32 v199, v169, v120
	v_add_f32_e32 v76, v76, v77
	v_mul_f32_e32 v77, v165, v117
	v_fma_f32 v78, v162, v114, -v78
	v_fmac_f32_e32 v190, v151, v102
	v_fmac_f32_e32 v192, v155, v106
	v_add_f32_e32 v76, v76, v79
	v_fma_f32 v77, v164, v116, -v77
	v_dual_fmac_f32 v201, v177, v172 :: v_dual_fmac_f32 v194, v159, v110
	v_fmac_f32_e32 v196, v163, v114
	s_delay_alu instid0(VALU_DEP_4) | instskip(SKIP_3) | instid1(VALU_DEP_4)
	v_dual_add_f32 v76, v76, v78 :: v_dual_mul_f32 v79, v167, v119
	v_mul_f32_e32 v78, v169, v121
	v_fmac_f32_e32 v198, v167, v118
	v_fmac_f32_e32 v200, v171, v122
	v_dual_add_f32 v76, v76, v77 :: v_dual_mul_f32 v77, v171, v123
	v_add_f32_e32 v74, v74, v187
	v_fma_f32 v79, v166, v118, -v79
	v_fma_f32 v78, v168, v120, -v78
	s_delay_alu instid0(VALU_DEP_4) | instskip(NEXT) | instid1(VALU_DEP_4)
	v_fma_f32 v77, v170, v122, -v77
	v_add_f32_e32 v74, v74, v188
	s_delay_alu instid0(VALU_DEP_4) | instskip(NEXT) | instid1(VALU_DEP_2)
	v_dual_add_f32 v76, v76, v79 :: v_dual_mul_f32 v79, v177, v173
	v_add_f32_e32 v74, v74, v189
	s_delay_alu instid0(VALU_DEP_2) | instskip(NEXT) | instid1(VALU_DEP_3)
	v_add_f32_e32 v76, v76, v78
	v_fma_f32 v78, v176, v172, -v79
	s_delay_alu instid0(VALU_DEP_3) | instskip(NEXT) | instid1(VALU_DEP_3)
	v_add_f32_e32 v74, v74, v190
	v_add_f32_e32 v76, v76, v77
	s_delay_alu instid0(VALU_DEP_2) | instskip(NEXT) | instid1(VALU_DEP_2)
	v_add_f32_e32 v74, v74, v191
	v_add_f32_e32 v76, v76, v78
	s_delay_alu instid0(VALU_DEP_2) | instskip(SKIP_1) | instid1(VALU_DEP_2)
	v_add_f32_e32 v74, v74, v192
	s_wait_loadcnt 0x0
	v_sub_f32_e32 v76, v174, v76
	s_delay_alu instid0(VALU_DEP_2) | instskip(NEXT) | instid1(VALU_DEP_1)
	v_add_f32_e32 v74, v74, v193
	v_add_f32_e32 v74, v74, v194
	s_delay_alu instid0(VALU_DEP_1) | instskip(NEXT) | instid1(VALU_DEP_1)
	v_add_f32_e32 v74, v74, v195
	v_add_f32_e32 v74, v74, v196
	s_delay_alu instid0(VALU_DEP_1) | instskip(NEXT) | instid1(VALU_DEP_1)
	;; [unrolled: 3-line block ×4, first 2 shown]
	v_add_f32_e32 v74, v74, v201
	v_sub_f32_e32 v77, v175, v74
	scratch_store_b64 off, v[76:77], off offset:80
	v_cmpx_lt_u32_e32 9, v0
	s_cbranch_execz .LBB99_211
; %bb.210:
	scratch_load_b64 v[76:77], off, off offset:72
	v_mov_b32_e32 v74, v73
	scratch_store_b64 off, v[73:74], off offset:72
	s_wait_loadcnt 0x0
	ds_store_b64 v75, v[76:77]
.LBB99_211:
	s_wait_alu 0xfffe
	s_or_b32 exec_lo, exec_lo, s0
	s_wait_storecnt_dscnt 0x0
	s_barrier_signal -1
	s_barrier_wait -1
	global_inv scope:SCOPE_SE
	s_clause 0xd
	scratch_load_b128 v[76:79], off, off offset:80
	scratch_load_b128 v[80:83], off, off offset:96
	;; [unrolled: 1-line block ×13, first 2 shown]
	scratch_load_b64 v[180:181], off, off offset:72
	ds_load_b128 v[128:131], v73 offset:368
	ds_load_b128 v[132:135], v73 offset:384
	;; [unrolled: 1-line block ×13, first 2 shown]
	s_mov_b32 s0, exec_lo
	s_wait_loadcnt_dscnt 0xd0c
	v_dual_mul_f32 v73, v128, v77 :: v_dual_mul_f32 v74, v130, v79
	v_mul_f32_e32 v77, v129, v77
	s_wait_loadcnt_dscnt 0xc0b
	v_dual_mul_f32 v79, v131, v79 :: v_dual_mul_f32 v182, v132, v81
	s_delay_alu instid0(VALU_DEP_3) | instskip(NEXT) | instid1(VALU_DEP_3)
	v_dual_mul_f32 v183, v134, v83 :: v_dual_fmac_f32 v74, v131, v78
	v_fma_f32 v77, v128, v76, -v77
	v_fmac_f32_e32 v73, v129, v76
	v_mul_f32_e32 v76, v133, v81
	v_fma_f32 v78, v130, v78, -v79
	v_mul_f32_e32 v79, v135, v83
	v_dual_add_f32 v77, 0, v77 :: v_dual_fmac_f32 v182, v133, v80
	s_delay_alu instid0(VALU_DEP_4) | instskip(SKIP_2) | instid1(VALU_DEP_3)
	v_fma_f32 v76, v132, v80, -v76
	s_wait_loadcnt_dscnt 0xb0a
	v_dual_mul_f32 v184, v136, v85 :: v_dual_mul_f32 v185, v138, v87
	v_add_f32_e32 v77, v77, v78
	v_fmac_f32_e32 v183, v135, v82
	v_fma_f32 v78, v134, v82, -v79
	s_wait_loadcnt_dscnt 0xa09
	v_dual_mul_f32 v186, v140, v89 :: v_dual_mul_f32 v187, v142, v91
	v_dual_add_f32 v76, v77, v76 :: v_dual_mul_f32 v77, v139, v87
	v_fmac_f32_e32 v184, v137, v84
	s_wait_loadcnt_dscnt 0x908
	v_dual_mul_f32 v188, v144, v93 :: v_dual_mul_f32 v189, v146, v95
	s_delay_alu instid0(VALU_DEP_3) | instskip(SKIP_3) | instid1(VALU_DEP_4)
	v_dual_add_f32 v76, v76, v78 :: v_dual_add_f32 v73, 0, v73
	v_mul_f32_e32 v78, v141, v89
	v_fma_f32 v77, v138, v86, -v77
	v_dual_fmac_f32 v185, v139, v86 :: v_dual_fmac_f32 v186, v141, v88
	v_add_f32_e32 v73, v73, v74
	v_mul_f32_e32 v74, v137, v85
	v_fma_f32 v78, v140, v88, -v78
	v_dual_fmac_f32 v187, v143, v90 :: v_dual_fmac_f32 v188, v145, v92
	s_wait_loadcnt_dscnt 0x807
	v_dual_mul_f32 v190, v148, v97 :: v_dual_mul_f32 v191, v150, v99
	v_fma_f32 v74, v136, v84, -v74
	s_wait_loadcnt_dscnt 0x706
	v_dual_mul_f32 v192, v152, v101 :: v_dual_mul_f32 v193, v154, v103
	s_wait_loadcnt_dscnt 0x605
	v_dual_mul_f32 v194, v156, v105 :: v_dual_mul_f32 v195, v158, v107
	v_add_f32_e32 v74, v76, v74
	v_mul_f32_e32 v76, v143, v91
	v_dual_fmac_f32 v192, v153, v100 :: v_dual_fmac_f32 v193, v155, v102
	s_delay_alu instid0(VALU_DEP_4) | instskip(NEXT) | instid1(VALU_DEP_4)
	v_dual_fmac_f32 v194, v157, v104 :: v_dual_fmac_f32 v195, v159, v106
	v_dual_add_f32 v74, v74, v77 :: v_dual_add_f32 v73, v73, v182
	v_mul_f32_e32 v77, v145, v93
	v_fma_f32 v76, v142, v90, -v76
	v_fmac_f32_e32 v189, v147, v94
	s_delay_alu instid0(VALU_DEP_4)
	v_add_f32_e32 v74, v74, v78
	v_mul_f32_e32 v78, v147, v95
	v_add_f32_e32 v73, v73, v183
	v_fma_f32 v77, v144, v92, -v77
	v_fmac_f32_e32 v190, v149, v96
	v_add_f32_e32 v74, v74, v76
	v_mul_f32_e32 v76, v149, v97
	v_add_f32_e32 v73, v73, v184
	v_fma_f32 v78, v146, v94, -v78
	s_delay_alu instid0(VALU_DEP_4) | instskip(SKIP_1) | instid1(VALU_DEP_4)
	v_dual_fmac_f32 v191, v151, v98 :: v_dual_add_f32 v74, v74, v77
	v_mul_f32_e32 v77, v151, v99
	v_add_f32_e32 v73, v73, v185
	v_fma_f32 v76, v148, v96, -v76
	s_wait_loadcnt_dscnt 0x504
	v_dual_mul_f32 v196, v160, v109 :: v_dual_mul_f32 v197, v162, v111
	v_add_f32_e32 v74, v74, v78
	v_add_f32_e32 v73, v73, v186
	v_fma_f32 v77, v150, v98, -v77
	v_mul_f32_e32 v78, v153, v101
	v_dual_fmac_f32 v196, v161, v108 :: v_dual_fmac_f32 v197, v163, v110
	s_delay_alu instid0(VALU_DEP_4) | instskip(SKIP_1) | instid1(VALU_DEP_4)
	v_dual_add_f32 v74, v74, v76 :: v_dual_add_f32 v73, v73, v187
	v_mul_f32_e32 v76, v155, v103
	v_fma_f32 v78, v152, v100, -v78
	s_wait_loadcnt_dscnt 0x403
	v_dual_mul_f32 v198, v164, v113 :: v_dual_mul_f32 v199, v166, v115
	v_dual_add_f32 v74, v74, v77 :: v_dual_add_f32 v73, v73, v188
	v_mul_f32_e32 v77, v157, v105
	v_fma_f32 v76, v154, v102, -v76
	s_wait_loadcnt_dscnt 0x302
	v_dual_mul_f32 v200, v168, v117 :: v_dual_mul_f32 v201, v170, v119
	v_dual_add_f32 v73, v73, v189 :: v_dual_add_f32 v74, v74, v78
	v_mul_f32_e32 v78, v159, v107
	v_fma_f32 v77, v156, v104, -v77
	s_delay_alu instid0(VALU_DEP_4) | instskip(NEXT) | instid1(VALU_DEP_4)
	v_dual_fmac_f32 v198, v165, v112 :: v_dual_fmac_f32 v201, v171, v118
	v_dual_add_f32 v73, v73, v190 :: v_dual_add_f32 v74, v74, v76
	v_mul_f32_e32 v76, v161, v109
	v_fma_f32 v78, v158, v106, -v78
	v_fmac_f32_e32 v199, v167, v114
	s_delay_alu instid0(VALU_DEP_4) | instskip(SKIP_3) | instid1(VALU_DEP_4)
	v_dual_add_f32 v73, v73, v191 :: v_dual_add_f32 v74, v74, v77
	v_mul_f32_e32 v77, v163, v111
	v_fma_f32 v76, v160, v108, -v76
	v_fmac_f32_e32 v200, v169, v116
	v_dual_add_f32 v73, v73, v192 :: v_dual_add_f32 v74, v74, v78
	s_delay_alu instid0(VALU_DEP_4)
	v_fma_f32 v77, v162, v110, -v77
	v_mul_f32_e32 v78, v165, v113
	s_wait_loadcnt_dscnt 0x201
	v_dual_mul_f32 v202, v172, v121 :: v_dual_mul_f32 v203, v174, v123
	v_dual_add_f32 v73, v73, v193 :: v_dual_add_f32 v74, v74, v76
	v_mul_f32_e32 v76, v167, v115
	v_fma_f32 v78, v164, v112, -v78
	s_wait_loadcnt_dscnt 0x100
	v_dual_mul_f32 v204, v176, v125 :: v_dual_mul_f32 v205, v178, v127
	v_dual_add_f32 v73, v73, v194 :: v_dual_add_f32 v74, v74, v77
	v_mul_f32_e32 v77, v169, v117
	v_fma_f32 v76, v166, v114, -v76
	s_delay_alu instid0(VALU_DEP_4) | instskip(NEXT) | instid1(VALU_DEP_4)
	v_dual_fmac_f32 v202, v173, v120 :: v_dual_fmac_f32 v205, v179, v126
	v_dual_add_f32 v73, v73, v195 :: v_dual_add_f32 v74, v74, v78
	v_mul_f32_e32 v78, v171, v119
	v_fma_f32 v77, v168, v116, -v77
	v_fmac_f32_e32 v203, v175, v122
	s_delay_alu instid0(VALU_DEP_4)
	v_add_f32_e32 v73, v73, v196
	v_add_f32_e32 v74, v74, v76
	v_mul_f32_e32 v76, v173, v121
	v_fma_f32 v78, v170, v118, -v78
	v_fmac_f32_e32 v204, v177, v124
	v_add_f32_e32 v73, v73, v197
	v_dual_add_f32 v74, v74, v77 :: v_dual_mul_f32 v77, v175, v123
	v_fma_f32 v76, v172, v120, -v76
	s_delay_alu instid0(VALU_DEP_3) | instskip(NEXT) | instid1(VALU_DEP_3)
	v_add_f32_e32 v73, v73, v198
	v_add_f32_e32 v74, v74, v78
	v_mul_f32_e32 v78, v177, v125
	v_fma_f32 v77, v174, v122, -v77
	s_delay_alu instid0(VALU_DEP_3) | instskip(SKIP_1) | instid1(VALU_DEP_4)
	v_dual_add_f32 v73, v73, v199 :: v_dual_add_f32 v74, v74, v76
	v_mul_f32_e32 v76, v179, v127
	v_fma_f32 v78, v176, v124, -v78
	s_delay_alu instid0(VALU_DEP_3) | instskip(NEXT) | instid1(VALU_DEP_3)
	v_add_f32_e32 v73, v73, v200
	v_fma_f32 v76, v178, v126, -v76
	s_delay_alu instid0(VALU_DEP_2) | instskip(NEXT) | instid1(VALU_DEP_1)
	v_add_f32_e32 v73, v73, v201
	v_dual_add_f32 v73, v73, v202 :: v_dual_add_f32 v74, v74, v77
	s_delay_alu instid0(VALU_DEP_1) | instskip(NEXT) | instid1(VALU_DEP_1)
	v_dual_add_f32 v73, v73, v203 :: v_dual_add_f32 v74, v74, v78
	v_add_f32_e32 v73, v73, v204
	s_delay_alu instid0(VALU_DEP_2) | instskip(SKIP_1) | instid1(VALU_DEP_1)
	v_add_f32_e32 v74, v74, v76
	s_wait_loadcnt 0x0
	v_dual_add_f32 v76, v73, v205 :: v_dual_sub_f32 v73, v180, v74
	s_delay_alu instid0(VALU_DEP_1)
	v_sub_f32_e32 v74, v181, v76
	scratch_store_b64 off, v[73:74], off offset:72
	v_cmpx_lt_u32_e32 8, v0
	s_cbranch_execz .LBB99_213
; %bb.212:
	scratch_load_b64 v[73:74], off, off offset:64
	v_mov_b32_e32 v76, 0
	s_delay_alu instid0(VALU_DEP_1)
	v_mov_b32_e32 v77, v76
	scratch_store_b64 off, v[76:77], off offset:64
	s_wait_loadcnt 0x0
	ds_store_b64 v75, v[73:74]
.LBB99_213:
	s_wait_alu 0xfffe
	s_or_b32 exec_lo, exec_lo, s0
	s_wait_storecnt_dscnt 0x0
	s_barrier_signal -1
	s_barrier_wait -1
	global_inv scope:SCOPE_SE
	s_clause 0xe
	scratch_load_b128 v[76:79], off, off offset:72
	scratch_load_b128 v[80:83], off, off offset:88
	;; [unrolled: 1-line block ×13, first 2 shown]
	scratch_load_b64 v[180:181], off, off offset:280
	scratch_load_b64 v[182:183], off, off offset:64
	v_mov_b32_e32 v73, 0
	ds_load_2addr_b64 v[128:131], v73 offset0:45 offset1:46
	ds_load_2addr_b64 v[132:135], v73 offset0:47 offset1:48
	;; [unrolled: 1-line block ×13, first 2 shown]
	ds_load_b64 v[184:185], v73 offset:568
	s_mov_b32 s0, exec_lo
	s_wait_loadcnt_dscnt 0xe0d
	v_mul_f32_e32 v74, v128, v77
	s_wait_loadcnt_dscnt 0xd0c
	v_dual_mul_f32 v186, v130, v79 :: v_dual_mul_f32 v187, v132, v81
	v_mul_f32_e32 v79, v131, v79
	s_wait_loadcnt_dscnt 0xc0b
	v_dual_mul_f32 v188, v134, v83 :: v_dual_mul_f32 v189, v136, v85
	s_wait_loadcnt_dscnt 0xa09
	v_dual_mul_f32 v192, v142, v91 :: v_dual_mul_f32 v193, v144, v93
	v_mul_f32_e32 v77, v129, v77
	v_fmac_f32_e32 v74, v129, v76
	s_wait_loadcnt_dscnt 0x908
	v_dual_mul_f32 v194, v146, v95 :: v_dual_mul_f32 v195, v148, v97
	s_wait_loadcnt_dscnt 0x100
	v_dual_mul_f32 v208, v174, v123 :: v_dual_mul_f32 v211, v184, v181
	v_fma_f32 v77, v128, v76, -v77
	v_mul_f32_e32 v76, v133, v81
	v_fmac_f32_e32 v186, v131, v78
	v_fma_f32 v78, v130, v78, -v79
	v_dual_add_f32 v74, 0, v74 :: v_dual_mul_f32 v79, v135, v83
	v_add_f32_e32 v77, 0, v77
	v_fmac_f32_e32 v187, v133, v80
	v_fma_f32 v76, v132, v80, -v76
	s_delay_alu instid0(VALU_DEP_4)
	v_add_f32_e32 v74, v74, v186
	v_fma_f32 v79, v134, v82, -v79
	v_add_f32_e32 v77, v77, v78
	v_mul_f32_e32 v78, v137, v85
	v_dual_mul_f32 v196, v150, v99 :: v_dual_mul_f32 v197, v152, v101
	v_add_f32_e32 v74, v74, v187
	s_delay_alu instid0(VALU_DEP_4) | instskip(NEXT) | instid1(VALU_DEP_4)
	v_dual_add_f32 v76, v77, v76 :: v_dual_mul_f32 v77, v139, v87
	v_fma_f32 v78, v136, v84, -v78
	v_dual_fmac_f32 v188, v135, v82 :: v_dual_fmac_f32 v189, v137, v84
	s_delay_alu instid0(VALU_DEP_3) | instskip(NEXT) | instid1(VALU_DEP_4)
	v_dual_add_f32 v76, v76, v79 :: v_dual_mul_f32 v79, v141, v89
	v_fma_f32 v77, v138, v86, -v77
	v_dual_fmac_f32 v193, v145, v92 :: v_dual_mul_f32 v198, v154, v103
	v_mul_f32_e32 v199, v156, v105
	s_delay_alu instid0(VALU_DEP_4) | instskip(SKIP_3) | instid1(VALU_DEP_4)
	v_add_f32_e32 v76, v76, v78
	v_dual_mul_f32 v78, v143, v91 :: v_dual_fmac_f32 v195, v149, v96
	v_fma_f32 v79, v140, v88, -v79
	v_add_f32_e32 v74, v74, v188
	v_dual_add_f32 v76, v76, v77 :: v_dual_fmac_f32 v197, v153, v100
	v_mul_f32_e32 v77, v145, v93
	v_fma_f32 v78, v142, v90, -v78
	s_delay_alu instid0(VALU_DEP_3) | instskip(SKIP_1) | instid1(VALU_DEP_4)
	v_dual_fmac_f32 v199, v157, v104 :: v_dual_add_f32 v76, v76, v79
	v_mul_f32_e32 v79, v147, v95
	v_fma_f32 v77, v144, v92, -v77
	v_dual_mul_f32 v190, v138, v87 :: v_dual_mul_f32 v191, v140, v89
	s_delay_alu instid0(VALU_DEP_4) | instskip(SKIP_3) | instid1(VALU_DEP_4)
	v_add_f32_e32 v76, v76, v78
	v_dual_mul_f32 v202, v162, v111 :: v_dual_mul_f32 v203, v164, v113
	v_mul_f32_e32 v78, v149, v97
	v_fma_f32 v79, v146, v94, -v79
	v_add_f32_e32 v76, v76, v77
	v_dual_fmac_f32 v190, v139, v86 :: v_dual_fmac_f32 v191, v141, v88
	v_dual_add_f32 v74, v74, v189 :: v_dual_mul_f32 v77, v151, v99
	v_fma_f32 v78, v148, v96, -v78
	s_delay_alu instid0(VALU_DEP_4) | instskip(NEXT) | instid1(VALU_DEP_3)
	v_dual_fmac_f32 v203, v165, v112 :: v_dual_add_f32 v76, v76, v79
	v_dual_add_f32 v74, v74, v190 :: v_dual_mul_f32 v79, v153, v101
	s_delay_alu instid0(VALU_DEP_4) | instskip(SKIP_1) | instid1(VALU_DEP_4)
	v_fma_f32 v77, v150, v98, -v77
	v_fmac_f32_e32 v192, v143, v90
	v_add_f32_e32 v76, v76, v78
	v_mul_f32_e32 v78, v155, v103
	v_fma_f32 v79, v152, v100, -v79
	v_dual_fmac_f32 v211, v185, v180 :: v_dual_mul_f32 v200, v158, v107
	v_mul_f32_e32 v201, v160, v109
	v_add_f32_e32 v76, v76, v77
	v_mul_f32_e32 v77, v157, v105
	v_fma_f32 v78, v154, v102, -v78
	s_delay_alu instid0(VALU_DEP_4) | instskip(NEXT) | instid1(VALU_DEP_4)
	v_dual_add_f32 v74, v74, v191 :: v_dual_fmac_f32 v201, v161, v108
	v_add_f32_e32 v76, v76, v79
	v_mul_f32_e32 v79, v159, v107
	v_fma_f32 v77, v156, v104, -v77
	s_delay_alu instid0(VALU_DEP_4)
	v_add_f32_e32 v74, v74, v192
	v_fmac_f32_e32 v194, v147, v94
	v_add_f32_e32 v76, v76, v78
	v_mul_f32_e32 v78, v161, v109
	v_fma_f32 v79, v158, v106, -v79
	v_dual_mul_f32 v204, v166, v115 :: v_dual_mul_f32 v205, v168, v117
	s_delay_alu instid0(VALU_DEP_4) | instskip(NEXT) | instid1(VALU_DEP_4)
	v_dual_add_f32 v76, v76, v77 :: v_dual_mul_f32 v77, v163, v111
	v_fma_f32 v78, v160, v108, -v78
	s_delay_alu instid0(VALU_DEP_3) | instskip(NEXT) | instid1(VALU_DEP_3)
	v_dual_add_f32 v74, v74, v193 :: v_dual_fmac_f32 v205, v169, v116
	v_dual_add_f32 v76, v76, v79 :: v_dual_mul_f32 v79, v165, v113
	s_delay_alu instid0(VALU_DEP_4) | instskip(NEXT) | instid1(VALU_DEP_3)
	v_fma_f32 v77, v162, v110, -v77
	v_add_f32_e32 v74, v74, v194
	v_dual_mul_f32 v206, v170, v119 :: v_dual_mul_f32 v207, v172, v121
	s_delay_alu instid0(VALU_DEP_4) | instskip(SKIP_3) | instid1(VALU_DEP_4)
	v_add_f32_e32 v76, v76, v78
	v_mul_f32_e32 v78, v167, v115
	v_fma_f32 v79, v164, v112, -v79
	v_dual_mul_f32 v209, v176, v125 :: v_dual_mul_f32 v210, v178, v127
	v_add_f32_e32 v76, v76, v77
	v_mul_f32_e32 v77, v169, v117
	v_fma_f32 v78, v166, v114, -v78
	v_dual_fmac_f32 v196, v151, v98 :: v_dual_fmac_f32 v207, v173, v120
	s_delay_alu instid0(VALU_DEP_4) | instskip(NEXT) | instid1(VALU_DEP_4)
	v_add_f32_e32 v76, v76, v79
	v_fma_f32 v77, v168, v116, -v77
	v_dual_fmac_f32 v209, v177, v124 :: v_dual_fmac_f32 v198, v155, v102
	v_fmac_f32_e32 v200, v159, v106
	s_delay_alu instid0(VALU_DEP_4) | instskip(SKIP_3) | instid1(VALU_DEP_4)
	v_add_f32_e32 v76, v76, v78
	v_fmac_f32_e32 v202, v163, v110
	v_fmac_f32_e32 v204, v167, v114
	v_dual_mul_f32 v79, v171, v119 :: v_dual_mul_f32 v78, v173, v121
	v_dual_add_f32 v76, v76, v77 :: v_dual_mul_f32 v77, v175, v123
	v_add_f32_e32 v74, v74, v195
	v_fmac_f32_e32 v206, v171, v118
	s_delay_alu instid0(VALU_DEP_4)
	v_fma_f32 v79, v170, v118, -v79
	v_fma_f32 v78, v172, v120, -v78
	v_fmac_f32_e32 v208, v175, v122
	v_add_f32_e32 v74, v74, v196
	v_fma_f32 v77, v174, v122, -v77
	v_dual_add_f32 v76, v76, v79 :: v_dual_mul_f32 v79, v177, v125
	v_fmac_f32_e32 v210, v179, v126
	s_delay_alu instid0(VALU_DEP_4) | instskip(NEXT) | instid1(VALU_DEP_3)
	v_add_f32_e32 v74, v74, v197
	v_add_f32_e32 v76, v76, v78
	v_mul_f32_e32 v78, v179, v127
	v_fma_f32 v79, v176, v124, -v79
	s_delay_alu instid0(VALU_DEP_4) | instskip(NEXT) | instid1(VALU_DEP_4)
	v_add_f32_e32 v74, v74, v198
	v_add_f32_e32 v76, v76, v77
	v_mul_f32_e32 v77, v185, v181
	v_fma_f32 v78, v178, v126, -v78
	s_delay_alu instid0(VALU_DEP_4) | instskip(NEXT) | instid1(VALU_DEP_4)
	v_add_f32_e32 v74, v74, v199
	v_add_f32_e32 v76, v76, v79
	s_delay_alu instid0(VALU_DEP_4) | instskip(NEXT) | instid1(VALU_DEP_3)
	v_fma_f32 v77, v184, v180, -v77
	v_add_f32_e32 v74, v74, v200
	s_delay_alu instid0(VALU_DEP_3) | instskip(NEXT) | instid1(VALU_DEP_2)
	v_add_f32_e32 v76, v76, v78
	v_add_f32_e32 v74, v74, v201
	s_delay_alu instid0(VALU_DEP_2) | instskip(NEXT) | instid1(VALU_DEP_2)
	v_add_f32_e32 v76, v76, v77
	v_add_f32_e32 v74, v74, v202
	s_wait_loadcnt 0x0
	s_delay_alu instid0(VALU_DEP_2) | instskip(NEXT) | instid1(VALU_DEP_2)
	v_sub_f32_e32 v76, v182, v76
	v_add_f32_e32 v74, v74, v203
	s_delay_alu instid0(VALU_DEP_1) | instskip(NEXT) | instid1(VALU_DEP_1)
	v_add_f32_e32 v74, v74, v204
	v_add_f32_e32 v74, v74, v205
	s_delay_alu instid0(VALU_DEP_1) | instskip(NEXT) | instid1(VALU_DEP_1)
	v_add_f32_e32 v74, v74, v206
	;; [unrolled: 3-line block ×4, first 2 shown]
	v_add_f32_e32 v74, v74, v211
	s_delay_alu instid0(VALU_DEP_1)
	v_sub_f32_e32 v77, v183, v74
	scratch_store_b64 off, v[76:77], off offset:64
	v_cmpx_lt_u32_e32 7, v0
	s_cbranch_execz .LBB99_215
; %bb.214:
	scratch_load_b64 v[76:77], off, off offset:56
	v_mov_b32_e32 v74, v73
	scratch_store_b64 off, v[73:74], off offset:56
	s_wait_loadcnt 0x0
	ds_store_b64 v75, v[76:77]
.LBB99_215:
	s_wait_alu 0xfffe
	s_or_b32 exec_lo, exec_lo, s0
	s_wait_storecnt_dscnt 0x0
	s_barrier_signal -1
	s_barrier_wait -1
	global_inv scope:SCOPE_SE
	s_clause 0xe
	scratch_load_b128 v[76:79], off, off offset:64
	scratch_load_b128 v[80:83], off, off offset:80
	;; [unrolled: 1-line block ×14, first 2 shown]
	scratch_load_b64 v[188:189], off, off offset:56
	ds_load_b128 v[132:135], v73 offset:352
	ds_load_b128 v[136:139], v73 offset:368
	ds_load_b128 v[140:143], v73 offset:384
	ds_load_b128 v[144:147], v73 offset:400
	ds_load_b128 v[148:151], v73 offset:416
	ds_load_b128 v[152:155], v73 offset:432
	ds_load_b128 v[156:159], v73 offset:448
	ds_load_b128 v[160:163], v73 offset:464
	ds_load_b128 v[164:167], v73 offset:480
	ds_load_b128 v[168:171], v73 offset:496
	ds_load_b128 v[172:175], v73 offset:512
	ds_load_b128 v[176:179], v73 offset:528
	ds_load_b128 v[180:183], v73 offset:544
	ds_load_b128 v[184:187], v73 offset:560
	s_mov_b32 s0, exec_lo
	s_wait_loadcnt_dscnt 0xe0d
	v_dual_mul_f32 v73, v132, v77 :: v_dual_mul_f32 v74, v134, v79
	v_mul_f32_e32 v77, v133, v77
	s_wait_loadcnt_dscnt 0xd0c
	v_dual_mul_f32 v79, v135, v79 :: v_dual_mul_f32 v190, v136, v81
	s_delay_alu instid0(VALU_DEP_3) | instskip(NEXT) | instid1(VALU_DEP_3)
	v_dual_mul_f32 v191, v138, v83 :: v_dual_fmac_f32 v74, v135, v78
	v_fma_f32 v77, v132, v76, -v77
	v_fmac_f32_e32 v73, v133, v76
	v_mul_f32_e32 v76, v137, v81
	v_fma_f32 v78, v134, v78, -v79
	v_mul_f32_e32 v79, v139, v83
	v_dual_add_f32 v77, 0, v77 :: v_dual_fmac_f32 v190, v137, v80
	s_delay_alu instid0(VALU_DEP_4) | instskip(SKIP_2) | instid1(VALU_DEP_3)
	v_fma_f32 v76, v136, v80, -v76
	s_wait_loadcnt_dscnt 0xc0b
	v_dual_mul_f32 v192, v140, v85 :: v_dual_mul_f32 v193, v142, v87
	v_add_f32_e32 v77, v77, v78
	v_fmac_f32_e32 v191, v139, v82
	v_fma_f32 v78, v138, v82, -v79
	s_wait_loadcnt_dscnt 0xb0a
	v_dual_mul_f32 v194, v144, v89 :: v_dual_mul_f32 v195, v146, v91
	v_dual_add_f32 v76, v77, v76 :: v_dual_mul_f32 v77, v143, v87
	v_fmac_f32_e32 v192, v141, v84
	s_wait_loadcnt_dscnt 0xa09
	v_dual_mul_f32 v196, v148, v93 :: v_dual_mul_f32 v197, v150, v95
	s_delay_alu instid0(VALU_DEP_3) | instskip(SKIP_3) | instid1(VALU_DEP_4)
	v_dual_add_f32 v76, v76, v78 :: v_dual_add_f32 v73, 0, v73
	v_mul_f32_e32 v78, v145, v89
	v_fma_f32 v77, v142, v86, -v77
	v_dual_fmac_f32 v193, v143, v86 :: v_dual_fmac_f32 v194, v145, v88
	v_add_f32_e32 v73, v73, v74
	v_mul_f32_e32 v74, v141, v85
	v_fma_f32 v78, v144, v88, -v78
	v_dual_fmac_f32 v195, v147, v90 :: v_dual_fmac_f32 v196, v149, v92
	s_wait_loadcnt_dscnt 0x908
	v_dual_mul_f32 v198, v152, v97 :: v_dual_mul_f32 v199, v154, v99
	v_fma_f32 v74, v140, v84, -v74
	s_wait_loadcnt_dscnt 0x807
	v_dual_mul_f32 v200, v156, v101 :: v_dual_mul_f32 v201, v158, v103
	s_wait_loadcnt_dscnt 0x706
	v_dual_mul_f32 v202, v160, v105 :: v_dual_mul_f32 v203, v162, v107
	v_add_f32_e32 v74, v76, v74
	v_mul_f32_e32 v76, v147, v91
	v_dual_fmac_f32 v200, v157, v100 :: v_dual_fmac_f32 v201, v159, v102
	s_delay_alu instid0(VALU_DEP_4) | instskip(NEXT) | instid1(VALU_DEP_4)
	v_dual_fmac_f32 v202, v161, v104 :: v_dual_fmac_f32 v203, v163, v106
	v_dual_add_f32 v74, v74, v77 :: v_dual_add_f32 v73, v73, v190
	v_mul_f32_e32 v77, v149, v93
	v_fma_f32 v76, v146, v90, -v76
	v_fmac_f32_e32 v197, v151, v94
	s_delay_alu instid0(VALU_DEP_4)
	v_add_f32_e32 v74, v74, v78
	v_mul_f32_e32 v78, v151, v95
	v_add_f32_e32 v73, v73, v191
	v_fma_f32 v77, v148, v92, -v77
	v_fmac_f32_e32 v198, v153, v96
	v_add_f32_e32 v74, v74, v76
	v_mul_f32_e32 v76, v153, v97
	v_add_f32_e32 v73, v73, v192
	v_fma_f32 v78, v150, v94, -v78
	s_delay_alu instid0(VALU_DEP_4) | instskip(SKIP_1) | instid1(VALU_DEP_4)
	v_dual_fmac_f32 v199, v155, v98 :: v_dual_add_f32 v74, v74, v77
	v_mul_f32_e32 v77, v155, v99
	v_add_f32_e32 v73, v73, v193
	v_fma_f32 v76, v152, v96, -v76
	s_wait_loadcnt_dscnt 0x605
	v_dual_mul_f32 v204, v164, v109 :: v_dual_mul_f32 v205, v166, v111
	v_add_f32_e32 v74, v74, v78
	v_add_f32_e32 v73, v73, v194
	v_fma_f32 v77, v154, v98, -v77
	v_mul_f32_e32 v78, v157, v101
	s_wait_loadcnt_dscnt 0x504
	v_dual_mul_f32 v206, v168, v113 :: v_dual_mul_f32 v207, v170, v115
	v_dual_add_f32 v74, v74, v76 :: v_dual_add_f32 v73, v73, v195
	v_mul_f32_e32 v76, v159, v103
	v_fma_f32 v78, v156, v100, -v78
	v_dual_fmac_f32 v204, v165, v108 :: v_dual_fmac_f32 v205, v167, v110
	s_delay_alu instid0(VALU_DEP_4)
	v_dual_add_f32 v74, v74, v77 :: v_dual_add_f32 v73, v73, v196
	v_mul_f32_e32 v77, v161, v105
	v_fma_f32 v76, v158, v102, -v76
	s_wait_loadcnt_dscnt 0x403
	v_dual_mul_f32 v208, v172, v117 :: v_dual_mul_f32 v209, v174, v119
	v_dual_add_f32 v73, v73, v197 :: v_dual_add_f32 v74, v74, v78
	v_mul_f32_e32 v78, v163, v107
	v_fma_f32 v77, v160, v104, -v77
	s_delay_alu instid0(VALU_DEP_4) | instskip(NEXT) | instid1(VALU_DEP_4)
	v_dual_fmac_f32 v206, v169, v112 :: v_dual_fmac_f32 v209, v175, v118
	v_dual_add_f32 v73, v73, v198 :: v_dual_add_f32 v74, v74, v76
	v_mul_f32_e32 v76, v165, v109
	v_fma_f32 v78, v162, v106, -v78
	v_fmac_f32_e32 v207, v171, v114
	s_delay_alu instid0(VALU_DEP_4)
	v_dual_add_f32 v73, v73, v199 :: v_dual_add_f32 v74, v74, v77
	v_mul_f32_e32 v77, v167, v111
	v_fma_f32 v76, v164, v108, -v76
	s_wait_loadcnt_dscnt 0x302
	v_dual_mul_f32 v210, v176, v121 :: v_dual_mul_f32 v211, v178, v123
	v_dual_add_f32 v73, v73, v200 :: v_dual_add_f32 v74, v74, v78
	v_mul_f32_e32 v78, v169, v113
	v_fma_f32 v77, v166, v110, -v77
	v_fmac_f32_e32 v208, v173, v116
	s_delay_alu instid0(VALU_DEP_4)
	v_dual_add_f32 v73, v73, v201 :: v_dual_add_f32 v74, v74, v76
	v_mul_f32_e32 v76, v171, v115
	v_fma_f32 v78, v168, v112, -v78
	s_wait_loadcnt_dscnt 0x201
	v_dual_mul_f32 v212, v180, v125 :: v_dual_mul_f32 v213, v182, v127
	;; [unrolled: 10-line block ×3, first 2 shown]
	v_add_f32_e32 v73, v73, v204
	v_add_f32_e32 v74, v74, v76
	v_mul_f32_e32 v76, v177, v121
	v_fma_f32 v78, v174, v118, -v78
	v_dual_fmac_f32 v210, v177, v120 :: v_dual_fmac_f32 v213, v183, v126
	v_add_f32_e32 v73, v73, v205
	v_dual_add_f32 v74, v74, v77 :: v_dual_mul_f32 v77, v179, v123
	v_fma_f32 v76, v176, v120, -v76
	v_fmac_f32_e32 v215, v187, v130
	s_delay_alu instid0(VALU_DEP_4) | instskip(NEXT) | instid1(VALU_DEP_4)
	v_add_f32_e32 v73, v73, v206
	v_add_f32_e32 v74, v74, v78
	v_mul_f32_e32 v78, v181, v125
	v_fma_f32 v77, v178, v122, -v77
	v_fmac_f32_e32 v214, v185, v128
	s_delay_alu instid0(VALU_DEP_4) | instskip(SKIP_2) | instid1(VALU_DEP_3)
	v_dual_add_f32 v73, v73, v207 :: v_dual_add_f32 v74, v74, v76
	v_mul_f32_e32 v76, v183, v127
	v_fma_f32 v78, v180, v124, -v78
	v_add_f32_e32 v73, v73, v208
	s_delay_alu instid0(VALU_DEP_3) | instskip(NEXT) | instid1(VALU_DEP_2)
	v_fma_f32 v76, v182, v126, -v76
	v_add_f32_e32 v73, v73, v209
	s_delay_alu instid0(VALU_DEP_1) | instskip(NEXT) | instid1(VALU_DEP_1)
	v_dual_add_f32 v73, v73, v210 :: v_dual_add_f32 v74, v74, v77
	v_add_f32_e32 v73, v73, v211
	s_delay_alu instid0(VALU_DEP_2) | instskip(SKIP_1) | instid1(VALU_DEP_2)
	v_dual_mul_f32 v77, v185, v129 :: v_dual_add_f32 v74, v74, v78
	v_mul_f32_e32 v78, v187, v131
	v_fma_f32 v77, v184, v128, -v77
	s_delay_alu instid0(VALU_DEP_3) | instskip(NEXT) | instid1(VALU_DEP_3)
	v_add_f32_e32 v74, v74, v76
	v_fma_f32 v76, v186, v130, -v78
	s_delay_alu instid0(VALU_DEP_2) | instskip(NEXT) | instid1(VALU_DEP_1)
	v_add_f32_e32 v74, v74, v77
	v_add_f32_e32 v74, v74, v76
	v_fmac_f32_e32 v212, v181, v124
	s_delay_alu instid0(VALU_DEP_1) | instskip(NEXT) | instid1(VALU_DEP_1)
	v_add_f32_e32 v73, v73, v212
	v_add_f32_e32 v73, v73, v213
	s_delay_alu instid0(VALU_DEP_1) | instskip(SKIP_1) | instid1(VALU_DEP_1)
	v_add_f32_e32 v73, v73, v214
	s_wait_loadcnt 0x0
	v_dual_add_f32 v76, v73, v215 :: v_dual_sub_f32 v73, v188, v74
	s_delay_alu instid0(VALU_DEP_1)
	v_sub_f32_e32 v74, v189, v76
	scratch_store_b64 off, v[73:74], off offset:56
	v_cmpx_lt_u32_e32 6, v0
	s_cbranch_execz .LBB99_217
; %bb.216:
	scratch_load_b64 v[73:74], off, off offset:48
	v_mov_b32_e32 v76, 0
	s_delay_alu instid0(VALU_DEP_1)
	v_mov_b32_e32 v77, v76
	scratch_store_b64 off, v[76:77], off offset:48
	s_wait_loadcnt 0x0
	ds_store_b64 v75, v[73:74]
.LBB99_217:
	s_wait_alu 0xfffe
	s_or_b32 exec_lo, exec_lo, s0
	s_wait_storecnt_dscnt 0x0
	s_barrier_signal -1
	s_barrier_wait -1
	global_inv scope:SCOPE_SE
	s_clause 0xf
	scratch_load_b128 v[76:79], off, off offset:56
	scratch_load_b128 v[80:83], off, off offset:72
	;; [unrolled: 1-line block ×14, first 2 shown]
	scratch_load_b64 v[188:189], off, off offset:280
	scratch_load_b64 v[190:191], off, off offset:48
	v_mov_b32_e32 v73, 0
	ds_load_2addr_b64 v[132:135], v73 offset0:43 offset1:44
	ds_load_2addr_b64 v[136:139], v73 offset0:45 offset1:46
	;; [unrolled: 1-line block ×14, first 2 shown]
	ds_load_b64 v[192:193], v73 offset:568
	s_mov_b32 s0, exec_lo
	s_wait_loadcnt_dscnt 0xf0e
	v_mul_f32_e32 v74, v132, v77
	s_wait_loadcnt_dscnt 0xe0d
	v_dual_mul_f32 v194, v134, v79 :: v_dual_mul_f32 v195, v136, v81
	v_mul_f32_e32 v79, v135, v79
	s_wait_loadcnt_dscnt 0xd0c
	v_dual_mul_f32 v196, v138, v83 :: v_dual_mul_f32 v197, v140, v85
	s_wait_loadcnt_dscnt 0xb0a
	v_dual_mul_f32 v200, v146, v91 :: v_dual_mul_f32 v201, v148, v93
	v_dual_mul_f32 v77, v133, v77 :: v_dual_mul_f32 v202, v150, v95
	s_wait_loadcnt_dscnt 0xa09
	v_dual_mul_f32 v203, v152, v97 :: v_dual_fmac_f32 v74, v133, v76
	s_wait_loadcnt_dscnt 0x302
	v_mul_f32_e32 v218, v182, v127
	v_fma_f32 v77, v132, v76, -v77
	s_wait_loadcnt_dscnt 0x100
	v_mul_f32_e32 v221, v192, v189
	v_mul_f32_e32 v76, v137, v81
	v_fmac_f32_e32 v194, v135, v78
	v_fma_f32 v78, v134, v78, -v79
	v_dual_add_f32 v77, 0, v77 :: v_dual_add_f32 v74, 0, v74
	v_mul_f32_e32 v79, v139, v83
	v_fmac_f32_e32 v195, v137, v80
	v_fma_f32 v76, v136, v80, -v76
	v_dual_mul_f32 v204, v154, v99 :: v_dual_mul_f32 v205, v156, v101
	v_add_f32_e32 v74, v74, v194
	v_add_f32_e32 v77, v77, v78
	v_mul_f32_e32 v78, v141, v85
	v_fma_f32 v79, v138, v82, -v79
	v_dual_fmac_f32 v196, v139, v82 :: v_dual_fmac_f32 v197, v141, v84
	v_add_f32_e32 v74, v74, v195
	v_dual_add_f32 v76, v77, v76 :: v_dual_mul_f32 v77, v143, v87
	v_fma_f32 v78, v140, v84, -v78
	v_dual_mul_f32 v206, v158, v103 :: v_dual_mul_f32 v207, v160, v105
	s_delay_alu instid0(VALU_DEP_3) | instskip(NEXT) | instid1(VALU_DEP_4)
	v_dual_add_f32 v76, v76, v79 :: v_dual_mul_f32 v79, v145, v89
	v_fma_f32 v77, v142, v86, -v77
	v_fmac_f32_e32 v201, v149, v92
	v_add_f32_e32 v74, v74, v196
	s_delay_alu instid0(VALU_DEP_4) | instskip(SKIP_2) | instid1(VALU_DEP_3)
	v_add_f32_e32 v76, v76, v78
	v_dual_mul_f32 v78, v147, v91 :: v_dual_fmac_f32 v203, v153, v96
	v_fma_f32 v79, v144, v88, -v79
	v_dual_fmac_f32 v205, v157, v100 :: v_dual_add_f32 v76, v76, v77
	v_mul_f32_e32 v77, v149, v93
	s_delay_alu instid0(VALU_DEP_4)
	v_fma_f32 v78, v146, v90, -v78
	v_dual_fmac_f32 v207, v161, v104 :: v_dual_mul_f32 v198, v142, v87
	v_mul_f32_e32 v199, v144, v89
	v_add_f32_e32 v76, v76, v79
	v_mul_f32_e32 v79, v151, v95
	v_fma_f32 v77, v148, v92, -v77
	v_dual_mul_f32 v210, v166, v111 :: v_dual_mul_f32 v211, v168, v113
	s_delay_alu instid0(VALU_DEP_4) | instskip(SKIP_3) | instid1(VALU_DEP_4)
	v_add_f32_e32 v76, v76, v78
	v_mul_f32_e32 v78, v153, v97
	v_fma_f32 v79, v150, v94, -v79
	v_dual_fmac_f32 v198, v143, v86 :: v_dual_fmac_f32 v199, v145, v88
	v_dual_add_f32 v76, v76, v77 :: v_dual_fmac_f32 v211, v169, v112
	v_dual_add_f32 v74, v74, v197 :: v_dual_mul_f32 v77, v155, v99
	v_fma_f32 v78, v152, v96, -v78
	s_delay_alu instid0(VALU_DEP_3) | instskip(NEXT) | instid1(VALU_DEP_3)
	v_dual_add_f32 v76, v76, v79 :: v_dual_mul_f32 v79, v157, v101
	v_add_f32_e32 v74, v74, v198
	s_delay_alu instid0(VALU_DEP_4) | instskip(SKIP_1) | instid1(VALU_DEP_4)
	v_fma_f32 v77, v154, v98, -v77
	v_fmac_f32_e32 v200, v147, v90
	v_add_f32_e32 v76, v76, v78
	v_mul_f32_e32 v78, v159, v103
	v_fma_f32 v79, v156, v100, -v79
	v_dual_mul_f32 v208, v162, v107 :: v_dual_mul_f32 v209, v164, v109
	s_delay_alu instid0(VALU_DEP_4) | instskip(SKIP_3) | instid1(VALU_DEP_4)
	v_add_f32_e32 v76, v76, v77
	v_mul_f32_e32 v77, v161, v105
	v_fma_f32 v78, v158, v102, -v78
	v_dual_fmac_f32 v221, v193, v188 :: v_dual_add_f32 v74, v74, v199
	v_dual_fmac_f32 v209, v165, v108 :: v_dual_add_f32 v76, v76, v79
	v_mul_f32_e32 v79, v163, v107
	v_fma_f32 v77, v160, v104, -v77
	s_delay_alu instid0(VALU_DEP_4)
	v_add_f32_e32 v74, v74, v200
	v_fmac_f32_e32 v202, v151, v94
	v_add_f32_e32 v76, v76, v78
	v_mul_f32_e32 v78, v165, v109
	v_fma_f32 v79, v162, v106, -v79
	v_dual_mul_f32 v212, v170, v115 :: v_dual_mul_f32 v213, v172, v117
	s_delay_alu instid0(VALU_DEP_4) | instskip(NEXT) | instid1(VALU_DEP_4)
	v_dual_add_f32 v76, v76, v77 :: v_dual_mul_f32 v77, v167, v111
	v_fma_f32 v78, v164, v108, -v78
	s_delay_alu instid0(VALU_DEP_3) | instskip(NEXT) | instid1(VALU_DEP_3)
	v_dual_add_f32 v74, v74, v201 :: v_dual_fmac_f32 v213, v173, v116
	v_dual_add_f32 v76, v76, v79 :: v_dual_mul_f32 v79, v169, v113
	s_delay_alu instid0(VALU_DEP_4) | instskip(NEXT) | instid1(VALU_DEP_3)
	v_fma_f32 v77, v166, v110, -v77
	v_add_f32_e32 v74, v74, v202
	v_dual_mul_f32 v214, v174, v119 :: v_dual_mul_f32 v215, v176, v121
	s_delay_alu instid0(VALU_DEP_4) | instskip(SKIP_3) | instid1(VALU_DEP_4)
	v_add_f32_e32 v76, v76, v78
	v_mul_f32_e32 v78, v171, v115
	v_fma_f32 v79, v168, v112, -v79
	v_dual_mul_f32 v216, v178, v123 :: v_dual_mul_f32 v217, v180, v125
	v_add_f32_e32 v76, v76, v77
	v_mul_f32_e32 v77, v173, v117
	v_fma_f32 v78, v170, v114, -v78
	v_dual_fmac_f32 v204, v155, v98 :: v_dual_fmac_f32 v215, v177, v120
	s_delay_alu instid0(VALU_DEP_4) | instskip(NEXT) | instid1(VALU_DEP_4)
	v_add_f32_e32 v76, v76, v79
	v_fma_f32 v77, v172, v116, -v77
	v_dual_mul_f32 v219, v184, v129 :: v_dual_mul_f32 v220, v186, v131
	s_delay_alu instid0(VALU_DEP_3) | instskip(NEXT) | instid1(VALU_DEP_2)
	v_dual_fmac_f32 v217, v181, v124 :: v_dual_add_f32 v76, v76, v78
	v_dual_fmac_f32 v206, v159, v102 :: v_dual_fmac_f32 v219, v185, v128
	v_fmac_f32_e32 v208, v163, v106
	v_fmac_f32_e32 v210, v167, v110
	s_delay_alu instid0(VALU_DEP_4) | instskip(SKIP_4) | instid1(VALU_DEP_4)
	v_dual_add_f32 v76, v76, v77 :: v_dual_mul_f32 v77, v179, v123
	v_add_f32_e32 v74, v74, v203
	v_fmac_f32_e32 v212, v171, v114
	v_dual_mul_f32 v79, v175, v119 :: v_dual_mul_f32 v78, v177, v121
	v_fmac_f32_e32 v214, v175, v118
	v_add_f32_e32 v74, v74, v204
	v_fmac_f32_e32 v216, v179, v122
	s_delay_alu instid0(VALU_DEP_4)
	v_fma_f32 v79, v174, v118, -v79
	v_fma_f32 v78, v176, v120, -v78
	;; [unrolled: 1-line block ×3, first 2 shown]
	v_add_f32_e32 v74, v74, v205
	v_fmac_f32_e32 v218, v183, v126
	v_dual_add_f32 v76, v76, v79 :: v_dual_mul_f32 v79, v181, v125
	v_fmac_f32_e32 v220, v187, v130
	s_delay_alu instid0(VALU_DEP_4) | instskip(NEXT) | instid1(VALU_DEP_3)
	v_add_f32_e32 v74, v74, v206
	v_add_f32_e32 v76, v76, v78
	v_mul_f32_e32 v78, v183, v127
	v_fma_f32 v79, v180, v124, -v79
	s_delay_alu instid0(VALU_DEP_4) | instskip(NEXT) | instid1(VALU_DEP_4)
	v_add_f32_e32 v74, v74, v207
	v_add_f32_e32 v76, v76, v77
	v_mul_f32_e32 v77, v185, v129
	v_fma_f32 v78, v182, v126, -v78
	s_delay_alu instid0(VALU_DEP_4) | instskip(NEXT) | instid1(VALU_DEP_4)
	;; [unrolled: 5-line block ×4, first 2 shown]
	v_add_f32_e32 v74, v74, v210
	v_add_f32_e32 v76, v76, v77
	s_delay_alu instid0(VALU_DEP_4) | instskip(NEXT) | instid1(VALU_DEP_3)
	v_fma_f32 v77, v192, v188, -v78
	v_add_f32_e32 v74, v74, v211
	s_delay_alu instid0(VALU_DEP_3) | instskip(NEXT) | instid1(VALU_DEP_2)
	v_add_f32_e32 v76, v76, v79
	v_add_f32_e32 v74, v74, v212
	s_delay_alu instid0(VALU_DEP_2) | instskip(NEXT) | instid1(VALU_DEP_2)
	v_add_f32_e32 v76, v76, v77
	v_add_f32_e32 v74, v74, v213
	s_wait_loadcnt 0x0
	s_delay_alu instid0(VALU_DEP_2) | instskip(NEXT) | instid1(VALU_DEP_2)
	v_sub_f32_e32 v76, v190, v76
	v_add_f32_e32 v74, v74, v214
	s_delay_alu instid0(VALU_DEP_1) | instskip(NEXT) | instid1(VALU_DEP_1)
	v_add_f32_e32 v74, v74, v215
	v_add_f32_e32 v74, v74, v216
	s_delay_alu instid0(VALU_DEP_1) | instskip(NEXT) | instid1(VALU_DEP_1)
	v_add_f32_e32 v74, v74, v217
	;; [unrolled: 3-line block ×4, first 2 shown]
	v_sub_f32_e32 v77, v191, v74
	scratch_store_b64 off, v[76:77], off offset:48
	v_cmpx_lt_u32_e32 5, v0
	s_cbranch_execz .LBB99_219
; %bb.218:
	scratch_load_b64 v[76:77], off, off offset:40
	v_mov_b32_e32 v74, v73
	scratch_store_b64 off, v[73:74], off offset:40
	s_wait_loadcnt 0x0
	ds_store_b64 v75, v[76:77]
.LBB99_219:
	s_wait_alu 0xfffe
	s_or_b32 exec_lo, exec_lo, s0
	s_wait_storecnt_dscnt 0x0
	s_barrier_signal -1
	s_barrier_wait -1
	global_inv scope:SCOPE_SE
	s_clause 0xf
	scratch_load_b128 v[76:79], off, off offset:48
	scratch_load_b128 v[80:83], off, off offset:64
	;; [unrolled: 1-line block ×15, first 2 shown]
	scratch_load_b64 v[196:197], off, off offset:40
	ds_load_b128 v[136:139], v73 offset:336
	ds_load_b128 v[140:143], v73 offset:352
	;; [unrolled: 1-line block ×15, first 2 shown]
	s_mov_b32 s0, exec_lo
	s_wait_loadcnt_dscnt 0xf0e
	v_dual_mul_f32 v73, v136, v77 :: v_dual_mul_f32 v74, v138, v79
	v_mul_f32_e32 v77, v137, v77
	s_wait_loadcnt_dscnt 0xe0d
	v_dual_mul_f32 v79, v139, v79 :: v_dual_mul_f32 v198, v140, v81
	s_delay_alu instid0(VALU_DEP_3) | instskip(NEXT) | instid1(VALU_DEP_3)
	v_dual_mul_f32 v199, v142, v83 :: v_dual_fmac_f32 v74, v139, v78
	v_fma_f32 v77, v136, v76, -v77
	v_fmac_f32_e32 v73, v137, v76
	v_mul_f32_e32 v76, v141, v81
	v_fma_f32 v78, v138, v78, -v79
	v_mul_f32_e32 v79, v143, v83
	v_dual_add_f32 v77, 0, v77 :: v_dual_fmac_f32 v198, v141, v80
	s_delay_alu instid0(VALU_DEP_4) | instskip(SKIP_2) | instid1(VALU_DEP_3)
	v_fma_f32 v76, v140, v80, -v76
	s_wait_loadcnt_dscnt 0xd0c
	v_dual_mul_f32 v200, v144, v85 :: v_dual_mul_f32 v201, v146, v87
	v_add_f32_e32 v77, v77, v78
	v_fmac_f32_e32 v199, v143, v82
	v_fma_f32 v78, v142, v82, -v79
	s_wait_loadcnt_dscnt 0xc0b
	v_dual_mul_f32 v202, v148, v89 :: v_dual_mul_f32 v203, v150, v91
	v_dual_add_f32 v76, v77, v76 :: v_dual_mul_f32 v77, v147, v87
	v_fmac_f32_e32 v200, v145, v84
	s_wait_loadcnt_dscnt 0xb0a
	v_dual_mul_f32 v204, v152, v93 :: v_dual_mul_f32 v205, v154, v95
	s_delay_alu instid0(VALU_DEP_3) | instskip(SKIP_3) | instid1(VALU_DEP_4)
	v_dual_add_f32 v76, v76, v78 :: v_dual_add_f32 v73, 0, v73
	v_mul_f32_e32 v78, v149, v89
	v_fma_f32 v77, v146, v86, -v77
	v_dual_fmac_f32 v201, v147, v86 :: v_dual_fmac_f32 v202, v149, v88
	v_add_f32_e32 v73, v73, v74
	v_mul_f32_e32 v74, v145, v85
	v_fma_f32 v78, v148, v88, -v78
	v_dual_fmac_f32 v203, v151, v90 :: v_dual_fmac_f32 v204, v153, v92
	s_wait_loadcnt_dscnt 0xa09
	v_dual_mul_f32 v206, v156, v97 :: v_dual_mul_f32 v207, v158, v99
	v_fma_f32 v74, v144, v84, -v74
	s_wait_loadcnt_dscnt 0x908
	v_dual_mul_f32 v208, v160, v101 :: v_dual_mul_f32 v209, v162, v103
	s_wait_loadcnt_dscnt 0x807
	v_dual_mul_f32 v210, v164, v105 :: v_dual_mul_f32 v211, v166, v107
	v_add_f32_e32 v74, v76, v74
	v_mul_f32_e32 v76, v151, v91
	v_dual_fmac_f32 v208, v161, v100 :: v_dual_fmac_f32 v209, v163, v102
	s_delay_alu instid0(VALU_DEP_4) | instskip(NEXT) | instid1(VALU_DEP_4)
	v_dual_fmac_f32 v210, v165, v104 :: v_dual_fmac_f32 v211, v167, v106
	v_dual_add_f32 v74, v74, v77 :: v_dual_add_f32 v73, v73, v198
	v_mul_f32_e32 v77, v153, v93
	v_fma_f32 v76, v150, v90, -v76
	v_fmac_f32_e32 v205, v155, v94
	s_delay_alu instid0(VALU_DEP_4)
	v_add_f32_e32 v74, v74, v78
	v_mul_f32_e32 v78, v155, v95
	v_add_f32_e32 v73, v73, v199
	v_fma_f32 v77, v152, v92, -v77
	v_fmac_f32_e32 v206, v157, v96
	v_add_f32_e32 v74, v74, v76
	v_mul_f32_e32 v76, v157, v97
	v_add_f32_e32 v73, v73, v200
	v_fma_f32 v78, v154, v94, -v78
	s_delay_alu instid0(VALU_DEP_4) | instskip(SKIP_1) | instid1(VALU_DEP_4)
	v_dual_fmac_f32 v207, v159, v98 :: v_dual_add_f32 v74, v74, v77
	v_mul_f32_e32 v77, v159, v99
	v_add_f32_e32 v73, v73, v201
	v_fma_f32 v76, v156, v96, -v76
	s_wait_loadcnt_dscnt 0x706
	v_dual_mul_f32 v212, v168, v109 :: v_dual_mul_f32 v213, v170, v111
	v_add_f32_e32 v74, v74, v78
	v_add_f32_e32 v73, v73, v202
	v_fma_f32 v77, v158, v98, -v77
	v_mul_f32_e32 v78, v161, v101
	s_wait_loadcnt_dscnt 0x605
	v_dual_mul_f32 v214, v172, v113 :: v_dual_mul_f32 v215, v174, v115
	v_dual_add_f32 v74, v74, v76 :: v_dual_add_f32 v73, v73, v203
	v_mul_f32_e32 v76, v163, v103
	v_fma_f32 v78, v160, v100, -v78
	v_dual_fmac_f32 v212, v169, v108 :: v_dual_fmac_f32 v213, v171, v110
	s_delay_alu instid0(VALU_DEP_4)
	v_dual_add_f32 v74, v74, v77 :: v_dual_add_f32 v73, v73, v204
	v_mul_f32_e32 v77, v165, v105
	v_fma_f32 v76, v162, v102, -v76
	s_wait_loadcnt_dscnt 0x504
	v_dual_mul_f32 v216, v176, v117 :: v_dual_mul_f32 v217, v178, v119
	v_dual_add_f32 v73, v73, v205 :: v_dual_add_f32 v74, v74, v78
	v_mul_f32_e32 v78, v167, v107
	v_fma_f32 v77, v164, v104, -v77
	s_delay_alu instid0(VALU_DEP_4) | instskip(NEXT) | instid1(VALU_DEP_4)
	v_dual_fmac_f32 v214, v173, v112 :: v_dual_fmac_f32 v217, v179, v118
	v_dual_add_f32 v73, v73, v206 :: v_dual_add_f32 v74, v74, v76
	v_mul_f32_e32 v76, v169, v109
	v_fma_f32 v78, v166, v106, -v78
	v_fmac_f32_e32 v215, v175, v114
	s_delay_alu instid0(VALU_DEP_4)
	v_dual_add_f32 v73, v73, v207 :: v_dual_add_f32 v74, v74, v77
	v_mul_f32_e32 v77, v171, v111
	v_fma_f32 v76, v168, v108, -v76
	s_wait_loadcnt_dscnt 0x403
	v_dual_mul_f32 v218, v180, v121 :: v_dual_mul_f32 v219, v182, v123
	v_dual_add_f32 v73, v73, v208 :: v_dual_add_f32 v74, v74, v78
	v_mul_f32_e32 v78, v173, v113
	v_fma_f32 v77, v170, v110, -v77
	v_fmac_f32_e32 v216, v177, v116
	s_delay_alu instid0(VALU_DEP_4)
	v_dual_add_f32 v73, v73, v209 :: v_dual_add_f32 v74, v74, v76
	v_mul_f32_e32 v76, v175, v115
	v_fma_f32 v78, v172, v112, -v78
	s_wait_loadcnt_dscnt 0x302
	v_dual_mul_f32 v220, v184, v125 :: v_dual_mul_f32 v221, v186, v127
	;; [unrolled: 10-line block ×3, first 2 shown]
	v_add_f32_e32 v73, v73, v212
	v_add_f32_e32 v74, v74, v76
	v_mul_f32_e32 v76, v181, v121
	v_fma_f32 v78, v178, v118, -v78
	v_dual_fmac_f32 v218, v181, v120 :: v_dual_fmac_f32 v221, v187, v126
	v_add_f32_e32 v73, v73, v213
	v_dual_add_f32 v74, v74, v77 :: v_dual_mul_f32 v77, v183, v123
	v_fma_f32 v76, v180, v120, -v76
	v_fmac_f32_e32 v223, v191, v130
	s_delay_alu instid0(VALU_DEP_4) | instskip(NEXT) | instid1(VALU_DEP_4)
	v_add_f32_e32 v73, v73, v214
	v_add_f32_e32 v74, v74, v78
	v_mul_f32_e32 v78, v185, v125
	v_fma_f32 v77, v182, v122, -v77
	s_wait_loadcnt_dscnt 0x100
	v_dual_mul_f32 v224, v192, v133 :: v_dual_mul_f32 v225, v194, v135
	v_dual_add_f32 v73, v73, v215 :: v_dual_add_f32 v74, v74, v76
	v_mul_f32_e32 v76, v187, v127
	v_fma_f32 v78, v184, v124, -v78
	v_fmac_f32_e32 v220, v185, v124
	s_delay_alu instid0(VALU_DEP_4) | instskip(SKIP_3) | instid1(VALU_DEP_4)
	v_add_f32_e32 v73, v73, v216
	v_dual_fmac_f32 v222, v189, v128 :: v_dual_fmac_f32 v225, v195, v134
	v_fma_f32 v76, v186, v126, -v76
	v_fmac_f32_e32 v224, v193, v132
	v_add_f32_e32 v73, v73, v217
	s_delay_alu instid0(VALU_DEP_1) | instskip(NEXT) | instid1(VALU_DEP_1)
	v_dual_add_f32 v73, v73, v218 :: v_dual_add_f32 v74, v74, v77
	v_add_f32_e32 v73, v73, v219
	s_delay_alu instid0(VALU_DEP_2) | instskip(SKIP_1) | instid1(VALU_DEP_2)
	v_dual_mul_f32 v77, v189, v129 :: v_dual_add_f32 v74, v74, v78
	v_mul_f32_e32 v78, v191, v131
	v_fma_f32 v77, v188, v128, -v77
	s_delay_alu instid0(VALU_DEP_3) | instskip(SKIP_1) | instid1(VALU_DEP_4)
	v_add_f32_e32 v74, v74, v76
	v_mul_f32_e32 v76, v193, v133
	v_fma_f32 v78, v190, v130, -v78
	s_delay_alu instid0(VALU_DEP_3) | instskip(SKIP_1) | instid1(VALU_DEP_4)
	v_dual_add_f32 v74, v74, v77 :: v_dual_mul_f32 v77, v195, v135
	v_add_f32_e32 v73, v73, v220
	v_fma_f32 v76, v192, v132, -v76
	s_delay_alu instid0(VALU_DEP_3) | instskip(NEXT) | instid1(VALU_DEP_3)
	v_fma_f32 v77, v194, v134, -v77
	v_add_f32_e32 v73, v73, v221
	s_delay_alu instid0(VALU_DEP_1) | instskip(NEXT) | instid1(VALU_DEP_1)
	v_add_f32_e32 v73, v73, v222
	v_dual_add_f32 v74, v74, v78 :: v_dual_add_f32 v73, v73, v223
	s_delay_alu instid0(VALU_DEP_1) | instskip(NEXT) | instid1(VALU_DEP_1)
	v_add_f32_e32 v74, v74, v76
	v_dual_add_f32 v73, v73, v224 :: v_dual_add_f32 v74, v74, v77
	s_wait_loadcnt 0x0
	s_delay_alu instid0(VALU_DEP_1) | instskip(NEXT) | instid1(VALU_DEP_1)
	v_dual_add_f32 v76, v73, v225 :: v_dual_sub_f32 v73, v196, v74
	v_sub_f32_e32 v74, v197, v76
	scratch_store_b64 off, v[73:74], off offset:40
	v_cmpx_lt_u32_e32 4, v0
	s_cbranch_execz .LBB99_221
; %bb.220:
	scratch_load_b64 v[73:74], off, off offset:32
	v_mov_b32_e32 v76, 0
	s_delay_alu instid0(VALU_DEP_1)
	v_mov_b32_e32 v77, v76
	scratch_store_b64 off, v[76:77], off offset:32
	s_wait_loadcnt 0x0
	ds_store_b64 v75, v[73:74]
.LBB99_221:
	s_wait_alu 0xfffe
	s_or_b32 exec_lo, exec_lo, s0
	s_wait_storecnt_dscnt 0x0
	s_barrier_signal -1
	s_barrier_wait -1
	global_inv scope:SCOPE_SE
	s_clause 0x10
	scratch_load_b128 v[76:79], off, off offset:40
	scratch_load_b128 v[80:83], off, off offset:56
	;; [unrolled: 1-line block ×15, first 2 shown]
	scratch_load_b64 v[196:197], off, off offset:280
	scratch_load_b64 v[198:199], off, off offset:32
	v_mov_b32_e32 v73, 0
	ds_load_2addr_b64 v[136:139], v73 offset0:41 offset1:42
	ds_load_2addr_b64 v[140:143], v73 offset0:43 offset1:44
	;; [unrolled: 1-line block ×15, first 2 shown]
	ds_load_b64 v[200:201], v73 offset:568
	s_mov_b32 s0, exec_lo
	s_wait_loadcnt_dscnt 0x100f
	v_mul_f32_e32 v74, v136, v77
	s_wait_loadcnt_dscnt 0xf0e
	v_dual_mul_f32 v202, v138, v79 :: v_dual_mul_f32 v203, v140, v81
	v_mul_f32_e32 v79, v139, v79
	s_wait_loadcnt_dscnt 0xe0d
	v_dual_mul_f32 v204, v142, v83 :: v_dual_mul_f32 v205, v144, v85
	s_wait_loadcnt_dscnt 0xc0b
	v_dual_mul_f32 v208, v150, v91 :: v_dual_mul_f32 v209, v152, v93
	;; [unrolled: 2-line block ×3, first 2 shown]
	v_mul_f32_e32 v77, v137, v77
	v_fmac_f32_e32 v74, v137, v76
	s_wait_loadcnt_dscnt 0xa09
	v_dual_mul_f32 v212, v158, v99 :: v_dual_mul_f32 v213, v160, v101
	s_wait_loadcnt_dscnt 0x100
	v_dual_mul_f32 v228, v190, v131 :: v_dual_mul_f32 v231, v200, v197
	v_fma_f32 v77, v136, v76, -v77
	v_mul_f32_e32 v76, v141, v81
	v_fmac_f32_e32 v202, v139, v78
	v_fma_f32 v78, v138, v78, -v79
	v_dual_add_f32 v74, 0, v74 :: v_dual_mul_f32 v79, v143, v83
	v_add_f32_e32 v77, 0, v77
	v_fmac_f32_e32 v203, v141, v80
	v_fma_f32 v76, v140, v80, -v76
	s_delay_alu instid0(VALU_DEP_4)
	v_add_f32_e32 v74, v74, v202
	v_fma_f32 v79, v142, v82, -v79
	v_add_f32_e32 v77, v77, v78
	v_mul_f32_e32 v78, v145, v85
	v_dual_fmac_f32 v204, v143, v82 :: v_dual_fmac_f32 v205, v145, v84
	v_add_f32_e32 v74, v74, v203
	s_delay_alu instid0(VALU_DEP_4) | instskip(NEXT) | instid1(VALU_DEP_4)
	v_dual_add_f32 v76, v77, v76 :: v_dual_mul_f32 v77, v147, v87
	v_fma_f32 v78, v144, v84, -v78
	v_dual_mul_f32 v214, v162, v103 :: v_dual_mul_f32 v215, v164, v105
	s_delay_alu instid0(VALU_DEP_3) | instskip(NEXT) | instid1(VALU_DEP_4)
	v_dual_add_f32 v76, v76, v79 :: v_dual_mul_f32 v79, v149, v89
	v_fma_f32 v77, v146, v86, -v77
	v_fmac_f32_e32 v209, v153, v92
	v_add_f32_e32 v74, v74, v204
	s_delay_alu instid0(VALU_DEP_4) | instskip(SKIP_2) | instid1(VALU_DEP_3)
	v_add_f32_e32 v76, v76, v78
	v_dual_mul_f32 v78, v151, v91 :: v_dual_fmac_f32 v211, v157, v96
	v_fma_f32 v79, v148, v88, -v79
	v_dual_fmac_f32 v213, v161, v100 :: v_dual_add_f32 v76, v76, v77
	v_mul_f32_e32 v77, v153, v93
	s_delay_alu instid0(VALU_DEP_4)
	v_fma_f32 v78, v150, v90, -v78
	v_dual_fmac_f32 v215, v165, v104 :: v_dual_mul_f32 v206, v146, v87
	v_mul_f32_e32 v207, v148, v89
	v_add_f32_e32 v76, v76, v79
	v_mul_f32_e32 v79, v155, v95
	v_fma_f32 v77, v152, v92, -v77
	v_dual_mul_f32 v218, v170, v111 :: v_dual_mul_f32 v219, v172, v113
	s_delay_alu instid0(VALU_DEP_4) | instskip(SKIP_3) | instid1(VALU_DEP_4)
	v_add_f32_e32 v76, v76, v78
	v_mul_f32_e32 v78, v157, v97
	v_fma_f32 v79, v154, v94, -v79
	v_dual_fmac_f32 v206, v147, v86 :: v_dual_fmac_f32 v207, v149, v88
	v_dual_add_f32 v76, v76, v77 :: v_dual_fmac_f32 v219, v173, v112
	v_dual_add_f32 v74, v74, v205 :: v_dual_mul_f32 v77, v159, v99
	v_fma_f32 v78, v156, v96, -v78
	s_delay_alu instid0(VALU_DEP_3) | instskip(NEXT) | instid1(VALU_DEP_3)
	v_dual_add_f32 v76, v76, v79 :: v_dual_mul_f32 v79, v161, v101
	v_add_f32_e32 v74, v74, v206
	s_delay_alu instid0(VALU_DEP_4) | instskip(SKIP_1) | instid1(VALU_DEP_4)
	v_fma_f32 v77, v158, v98, -v77
	v_dual_mul_f32 v229, v192, v133 :: v_dual_mul_f32 v230, v194, v135
	v_add_f32_e32 v76, v76, v78
	v_mul_f32_e32 v78, v163, v103
	v_fma_f32 v79, v160, v100, -v79
	v_fmac_f32_e32 v208, v151, v90
	v_dual_mul_f32 v216, v166, v107 :: v_dual_mul_f32 v217, v168, v109
	v_add_f32_e32 v76, v76, v77
	v_mul_f32_e32 v77, v165, v105
	v_fma_f32 v78, v162, v102, -v78
	v_dual_fmac_f32 v229, v193, v132 :: v_dual_add_f32 v74, v74, v207
	s_delay_alu instid0(VALU_DEP_4) | instskip(SKIP_2) | instid1(VALU_DEP_4)
	v_dual_fmac_f32 v217, v169, v108 :: v_dual_add_f32 v76, v76, v79
	v_mul_f32_e32 v79, v167, v107
	v_fma_f32 v77, v164, v104, -v77
	v_add_f32_e32 v74, v74, v208
	v_fmac_f32_e32 v210, v155, v94
	v_add_f32_e32 v76, v76, v78
	v_mul_f32_e32 v78, v169, v109
	v_fma_f32 v79, v166, v106, -v79
	v_dual_mul_f32 v220, v174, v115 :: v_dual_mul_f32 v221, v176, v117
	s_delay_alu instid0(VALU_DEP_4) | instskip(NEXT) | instid1(VALU_DEP_4)
	v_dual_add_f32 v76, v76, v77 :: v_dual_mul_f32 v77, v171, v111
	v_fma_f32 v78, v168, v108, -v78
	s_delay_alu instid0(VALU_DEP_3) | instskip(NEXT) | instid1(VALU_DEP_3)
	v_dual_add_f32 v74, v74, v209 :: v_dual_fmac_f32 v221, v177, v116
	v_dual_add_f32 v76, v76, v79 :: v_dual_mul_f32 v79, v173, v113
	s_delay_alu instid0(VALU_DEP_4) | instskip(NEXT) | instid1(VALU_DEP_3)
	v_fma_f32 v77, v170, v110, -v77
	v_add_f32_e32 v74, v74, v210
	v_dual_mul_f32 v222, v178, v119 :: v_dual_mul_f32 v223, v180, v121
	s_delay_alu instid0(VALU_DEP_4) | instskip(SKIP_3) | instid1(VALU_DEP_4)
	v_add_f32_e32 v76, v76, v78
	v_mul_f32_e32 v78, v175, v115
	v_fma_f32 v79, v172, v112, -v79
	v_dual_mul_f32 v224, v182, v123 :: v_dual_mul_f32 v225, v184, v125
	v_add_f32_e32 v76, v76, v77
	v_mul_f32_e32 v77, v177, v117
	v_fma_f32 v78, v174, v114, -v78
	v_dual_fmac_f32 v212, v159, v98 :: v_dual_fmac_f32 v223, v181, v120
	s_delay_alu instid0(VALU_DEP_4)
	v_add_f32_e32 v76, v76, v79
	v_mul_f32_e32 v79, v179, v119
	v_fma_f32 v77, v176, v116, -v77
	v_dual_fmac_f32 v225, v185, v124 :: v_dual_mul_f32 v226, v186, v127
	v_mul_f32_e32 v227, v188, v129
	v_add_f32_e32 v76, v76, v78
	v_mul_f32_e32 v78, v181, v121
	v_fma_f32 v79, v178, v118, -v79
	s_delay_alu instid0(VALU_DEP_4) | instskip(NEXT) | instid1(VALU_DEP_4)
	v_dual_fmac_f32 v214, v163, v102 :: v_dual_fmac_f32 v227, v189, v128
	v_dual_add_f32 v76, v76, v77 :: v_dual_mul_f32 v77, v183, v123
	s_delay_alu instid0(VALU_DEP_4) | instskip(SKIP_2) | instid1(VALU_DEP_4)
	v_fma_f32 v78, v180, v120, -v78
	v_add_f32_e32 v74, v74, v211
	v_fmac_f32_e32 v216, v167, v106
	v_dual_add_f32 v76, v76, v79 :: v_dual_mul_f32 v79, v185, v125
	v_fma_f32 v77, v182, v122, -v77
	s_delay_alu instid0(VALU_DEP_4) | instskip(SKIP_1) | instid1(VALU_DEP_4)
	v_add_f32_e32 v74, v74, v212
	v_fmac_f32_e32 v218, v171, v110
	v_add_f32_e32 v76, v76, v78
	v_mul_f32_e32 v78, v187, v127
	v_fma_f32 v79, v184, v124, -v79
	v_fmac_f32_e32 v220, v175, v114
	v_fmac_f32_e32 v222, v179, v118
	v_add_f32_e32 v76, v76, v77
	v_mul_f32_e32 v77, v189, v129
	v_fma_f32 v78, v186, v126, -v78
	v_fmac_f32_e32 v224, v183, v122
	v_fmac_f32_e32 v226, v187, v126
	v_add_f32_e32 v76, v76, v79
	v_fma_f32 v77, v188, v128, -v77
	v_fmac_f32_e32 v231, v201, v196
	v_mul_f32_e32 v79, v191, v131
	v_fmac_f32_e32 v228, v191, v130
	v_add_f32_e32 v76, v76, v78
	v_mul_f32_e32 v78, v193, v133
	v_fmac_f32_e32 v230, v195, v134
	v_fma_f32 v79, v190, v130, -v79
	s_delay_alu instid0(VALU_DEP_4) | instskip(SKIP_2) | instid1(VALU_DEP_3)
	v_dual_add_f32 v76, v76, v77 :: v_dual_mul_f32 v77, v195, v135
	v_add_f32_e32 v74, v74, v213
	v_fma_f32 v78, v192, v132, -v78
	v_dual_add_f32 v76, v76, v79 :: v_dual_mul_f32 v79, v201, v197
	s_delay_alu instid0(VALU_DEP_3) | instskip(SKIP_1) | instid1(VALU_DEP_3)
	v_add_f32_e32 v74, v74, v214
	v_fma_f32 v77, v194, v134, -v77
	v_add_f32_e32 v76, v76, v78
	s_delay_alu instid0(VALU_DEP_4) | instskip(NEXT) | instid1(VALU_DEP_4)
	v_fma_f32 v78, v200, v196, -v79
	v_add_f32_e32 v74, v74, v215
	s_delay_alu instid0(VALU_DEP_3) | instskip(NEXT) | instid1(VALU_DEP_2)
	v_add_f32_e32 v76, v76, v77
	v_add_f32_e32 v74, v74, v216
	s_delay_alu instid0(VALU_DEP_2) | instskip(NEXT) | instid1(VALU_DEP_2)
	v_add_f32_e32 v76, v76, v78
	v_add_f32_e32 v74, v74, v217
	s_wait_loadcnt 0x0
	s_delay_alu instid0(VALU_DEP_2) | instskip(NEXT) | instid1(VALU_DEP_2)
	v_sub_f32_e32 v76, v198, v76
	v_add_f32_e32 v74, v74, v218
	s_delay_alu instid0(VALU_DEP_1) | instskip(NEXT) | instid1(VALU_DEP_1)
	v_add_f32_e32 v74, v74, v219
	v_add_f32_e32 v74, v74, v220
	s_delay_alu instid0(VALU_DEP_1) | instskip(NEXT) | instid1(VALU_DEP_1)
	v_add_f32_e32 v74, v74, v221
	;; [unrolled: 3-line block ×7, first 2 shown]
	v_sub_f32_e32 v77, v199, v74
	scratch_store_b64 off, v[76:77], off offset:32
	v_cmpx_lt_u32_e32 3, v0
	s_cbranch_execz .LBB99_223
; %bb.222:
	scratch_load_b64 v[76:77], off, off offset:24
	v_mov_b32_e32 v74, v73
	scratch_store_b64 off, v[73:74], off offset:24
	s_wait_loadcnt 0x0
	ds_store_b64 v75, v[76:77]
.LBB99_223:
	s_wait_alu 0xfffe
	s_or_b32 exec_lo, exec_lo, s0
	s_wait_storecnt_dscnt 0x0
	s_barrier_signal -1
	s_barrier_wait -1
	global_inv scope:SCOPE_SE
	s_clause 0x10
	scratch_load_b128 v[76:79], off, off offset:32
	scratch_load_b128 v[80:83], off, off offset:48
	;; [unrolled: 1-line block ×16, first 2 shown]
	scratch_load_b64 v[204:205], off, off offset:24
	ds_load_b128 v[140:143], v73 offset:320
	ds_load_b128 v[144:147], v73 offset:336
	ds_load_b128 v[148:151], v73 offset:352
	ds_load_b128 v[152:155], v73 offset:368
	ds_load_b128 v[156:159], v73 offset:384
	ds_load_b128 v[160:163], v73 offset:400
	ds_load_b128 v[164:167], v73 offset:416
	ds_load_b128 v[168:171], v73 offset:432
	ds_load_b128 v[172:175], v73 offset:448
	ds_load_b128 v[176:179], v73 offset:464
	ds_load_b128 v[180:183], v73 offset:480
	ds_load_b128 v[184:187], v73 offset:496
	ds_load_b128 v[188:191], v73 offset:512
	ds_load_b128 v[192:195], v73 offset:528
	ds_load_b128 v[196:199], v73 offset:544
	ds_load_b128 v[200:203], v73 offset:560
	s_mov_b32 s0, exec_lo
	s_wait_loadcnt_dscnt 0x100f
	v_dual_mul_f32 v73, v140, v77 :: v_dual_mul_f32 v74, v142, v79
	v_mul_f32_e32 v77, v141, v77
	s_wait_loadcnt_dscnt 0xf0e
	v_dual_mul_f32 v79, v143, v79 :: v_dual_mul_f32 v206, v144, v81
	s_delay_alu instid0(VALU_DEP_3) | instskip(NEXT) | instid1(VALU_DEP_3)
	v_dual_mul_f32 v207, v146, v83 :: v_dual_fmac_f32 v74, v143, v78
	v_fma_f32 v77, v140, v76, -v77
	v_fmac_f32_e32 v73, v141, v76
	v_mul_f32_e32 v76, v145, v81
	v_fma_f32 v78, v142, v78, -v79
	v_mul_f32_e32 v79, v147, v83
	v_dual_add_f32 v77, 0, v77 :: v_dual_fmac_f32 v206, v145, v80
	s_delay_alu instid0(VALU_DEP_4) | instskip(SKIP_2) | instid1(VALU_DEP_3)
	v_fma_f32 v76, v144, v80, -v76
	s_wait_loadcnt_dscnt 0xe0d
	v_dual_mul_f32 v208, v148, v85 :: v_dual_mul_f32 v209, v150, v87
	v_add_f32_e32 v77, v77, v78
	v_fmac_f32_e32 v207, v147, v82
	v_fma_f32 v78, v146, v82, -v79
	s_wait_loadcnt_dscnt 0xd0c
	v_dual_mul_f32 v210, v152, v89 :: v_dual_mul_f32 v211, v154, v91
	v_dual_add_f32 v76, v77, v76 :: v_dual_mul_f32 v77, v151, v87
	v_fmac_f32_e32 v208, v149, v84
	s_wait_loadcnt_dscnt 0xc0b
	v_dual_mul_f32 v212, v156, v93 :: v_dual_mul_f32 v213, v158, v95
	s_delay_alu instid0(VALU_DEP_3) | instskip(SKIP_3) | instid1(VALU_DEP_4)
	v_dual_add_f32 v76, v76, v78 :: v_dual_add_f32 v73, 0, v73
	v_mul_f32_e32 v78, v153, v89
	v_fma_f32 v77, v150, v86, -v77
	v_dual_fmac_f32 v209, v151, v86 :: v_dual_fmac_f32 v210, v153, v88
	v_add_f32_e32 v73, v73, v74
	v_mul_f32_e32 v74, v149, v85
	v_fma_f32 v78, v152, v88, -v78
	v_dual_fmac_f32 v211, v155, v90 :: v_dual_fmac_f32 v212, v157, v92
	s_wait_loadcnt_dscnt 0xb0a
	v_dual_mul_f32 v214, v160, v97 :: v_dual_mul_f32 v215, v162, v99
	v_fma_f32 v74, v148, v84, -v74
	s_wait_loadcnt_dscnt 0xa09
	v_dual_mul_f32 v216, v164, v101 :: v_dual_mul_f32 v217, v166, v103
	s_wait_loadcnt_dscnt 0x908
	v_dual_mul_f32 v218, v168, v105 :: v_dual_mul_f32 v219, v170, v107
	v_add_f32_e32 v74, v76, v74
	v_mul_f32_e32 v76, v155, v91
	v_dual_fmac_f32 v216, v165, v100 :: v_dual_fmac_f32 v217, v167, v102
	s_delay_alu instid0(VALU_DEP_4) | instskip(NEXT) | instid1(VALU_DEP_4)
	v_dual_fmac_f32 v218, v169, v104 :: v_dual_fmac_f32 v219, v171, v106
	v_dual_add_f32 v74, v74, v77 :: v_dual_add_f32 v73, v73, v206
	v_mul_f32_e32 v77, v157, v93
	v_fma_f32 v76, v154, v90, -v76
	v_fmac_f32_e32 v213, v159, v94
	s_delay_alu instid0(VALU_DEP_4)
	v_add_f32_e32 v74, v74, v78
	v_mul_f32_e32 v78, v159, v95
	v_add_f32_e32 v73, v73, v207
	v_fma_f32 v77, v156, v92, -v77
	v_fmac_f32_e32 v214, v161, v96
	v_add_f32_e32 v74, v74, v76
	v_mul_f32_e32 v76, v161, v97
	v_add_f32_e32 v73, v73, v208
	v_fma_f32 v78, v158, v94, -v78
	s_delay_alu instid0(VALU_DEP_4) | instskip(SKIP_1) | instid1(VALU_DEP_4)
	v_dual_fmac_f32 v215, v163, v98 :: v_dual_add_f32 v74, v74, v77
	v_mul_f32_e32 v77, v163, v99
	v_add_f32_e32 v73, v73, v209
	v_fma_f32 v76, v160, v96, -v76
	s_wait_loadcnt_dscnt 0x807
	v_dual_mul_f32 v220, v172, v109 :: v_dual_mul_f32 v221, v174, v111
	v_add_f32_e32 v74, v74, v78
	v_add_f32_e32 v73, v73, v210
	v_fma_f32 v77, v162, v98, -v77
	v_mul_f32_e32 v78, v165, v101
	s_wait_loadcnt_dscnt 0x706
	v_dual_mul_f32 v222, v176, v113 :: v_dual_mul_f32 v223, v178, v115
	v_dual_add_f32 v74, v74, v76 :: v_dual_add_f32 v73, v73, v211
	v_mul_f32_e32 v76, v167, v103
	v_fma_f32 v78, v164, v100, -v78
	v_dual_fmac_f32 v220, v173, v108 :: v_dual_fmac_f32 v221, v175, v110
	s_delay_alu instid0(VALU_DEP_4)
	v_dual_add_f32 v74, v74, v77 :: v_dual_add_f32 v73, v73, v212
	v_mul_f32_e32 v77, v169, v105
	v_fma_f32 v76, v166, v102, -v76
	s_wait_loadcnt_dscnt 0x605
	v_dual_mul_f32 v224, v180, v117 :: v_dual_mul_f32 v225, v182, v119
	v_dual_add_f32 v73, v73, v213 :: v_dual_add_f32 v74, v74, v78
	v_mul_f32_e32 v78, v171, v107
	v_fma_f32 v77, v168, v104, -v77
	s_delay_alu instid0(VALU_DEP_4) | instskip(NEXT) | instid1(VALU_DEP_4)
	v_dual_fmac_f32 v222, v177, v112 :: v_dual_fmac_f32 v225, v183, v118
	v_dual_add_f32 v73, v73, v214 :: v_dual_add_f32 v74, v74, v76
	v_mul_f32_e32 v76, v173, v109
	v_fma_f32 v78, v170, v106, -v78
	v_fmac_f32_e32 v223, v179, v114
	s_delay_alu instid0(VALU_DEP_4)
	v_dual_add_f32 v73, v73, v215 :: v_dual_add_f32 v74, v74, v77
	v_mul_f32_e32 v77, v175, v111
	v_fma_f32 v76, v172, v108, -v76
	s_wait_loadcnt_dscnt 0x504
	v_dual_mul_f32 v226, v184, v121 :: v_dual_mul_f32 v227, v186, v123
	v_dual_add_f32 v73, v73, v216 :: v_dual_add_f32 v74, v74, v78
	v_mul_f32_e32 v78, v177, v113
	v_fma_f32 v77, v174, v110, -v77
	v_fmac_f32_e32 v224, v181, v116
	s_delay_alu instid0(VALU_DEP_4)
	v_dual_add_f32 v73, v73, v217 :: v_dual_add_f32 v74, v74, v76
	v_mul_f32_e32 v76, v179, v115
	v_fma_f32 v78, v176, v112, -v78
	s_wait_loadcnt_dscnt 0x403
	v_dual_mul_f32 v228, v188, v125 :: v_dual_mul_f32 v229, v190, v127
	;; [unrolled: 10-line block ×3, first 2 shown]
	v_add_f32_e32 v73, v73, v220
	v_add_f32_e32 v74, v74, v76
	v_mul_f32_e32 v76, v185, v121
	v_fma_f32 v78, v182, v118, -v78
	v_dual_fmac_f32 v226, v185, v120 :: v_dual_fmac_f32 v229, v191, v126
	v_add_f32_e32 v73, v73, v221
	v_dual_add_f32 v74, v74, v77 :: v_dual_mul_f32 v77, v187, v123
	v_fma_f32 v76, v184, v120, -v76
	v_fmac_f32_e32 v231, v195, v130
	s_delay_alu instid0(VALU_DEP_4) | instskip(NEXT) | instid1(VALU_DEP_4)
	v_add_f32_e32 v73, v73, v222
	v_add_f32_e32 v74, v74, v78
	v_mul_f32_e32 v78, v189, v125
	v_fma_f32 v77, v186, v122, -v77
	s_wait_loadcnt_dscnt 0x201
	v_dual_mul_f32 v232, v196, v133 :: v_dual_mul_f32 v233, v198, v135
	v_dual_add_f32 v73, v73, v223 :: v_dual_add_f32 v74, v74, v76
	v_mul_f32_e32 v76, v191, v127
	v_fma_f32 v78, v188, v124, -v78
	v_fmac_f32_e32 v228, v189, v124
	s_delay_alu instid0(VALU_DEP_4)
	v_add_f32_e32 v73, v73, v224
	v_dual_fmac_f32 v230, v193, v128 :: v_dual_fmac_f32 v233, v199, v134
	v_fma_f32 v76, v190, v126, -v76
	s_wait_loadcnt_dscnt 0x100
	v_dual_mul_f32 v234, v200, v137 :: v_dual_mul_f32 v235, v202, v139
	v_add_f32_e32 v73, v73, v225
	s_delay_alu instid0(VALU_DEP_2) | instskip(NEXT) | instid1(VALU_DEP_2)
	v_dual_fmac_f32 v234, v201, v136 :: v_dual_fmac_f32 v235, v203, v138
	v_dual_add_f32 v73, v73, v226 :: v_dual_add_f32 v74, v74, v77
	s_delay_alu instid0(VALU_DEP_1) | instskip(NEXT) | instid1(VALU_DEP_2)
	v_add_f32_e32 v73, v73, v227
	v_dual_mul_f32 v77, v193, v129 :: v_dual_add_f32 v74, v74, v78
	v_mul_f32_e32 v78, v195, v131
	s_delay_alu instid0(VALU_DEP_2) | instskip(NEXT) | instid1(VALU_DEP_3)
	v_fma_f32 v77, v192, v128, -v77
	v_add_f32_e32 v74, v74, v76
	v_mul_f32_e32 v76, v197, v133
	s_delay_alu instid0(VALU_DEP_4) | instskip(NEXT) | instid1(VALU_DEP_3)
	v_fma_f32 v78, v194, v130, -v78
	v_dual_add_f32 v74, v74, v77 :: v_dual_mul_f32 v77, v199, v135
	v_add_f32_e32 v73, v73, v228
	s_delay_alu instid0(VALU_DEP_4) | instskip(NEXT) | instid1(VALU_DEP_3)
	v_fma_f32 v76, v196, v132, -v76
	v_fma_f32 v77, v198, v134, -v77
	s_delay_alu instid0(VALU_DEP_3) | instskip(NEXT) | instid1(VALU_DEP_1)
	v_add_f32_e32 v73, v73, v229
	v_add_f32_e32 v73, v73, v230
	;; [unrolled: 1-line block ×3, first 2 shown]
	v_mul_f32_e32 v78, v201, v137
	s_delay_alu instid0(VALU_DEP_2) | instskip(SKIP_1) | instid1(VALU_DEP_3)
	v_dual_add_f32 v73, v73, v231 :: v_dual_add_f32 v74, v74, v76
	v_mul_f32_e32 v76, v203, v139
	v_fma_f32 v78, v200, v136, -v78
	s_delay_alu instid0(VALU_DEP_3) | instskip(NEXT) | instid1(VALU_DEP_3)
	v_add_f32_e32 v74, v74, v77
	v_fma_f32 v76, v202, v138, -v76
	s_delay_alu instid0(VALU_DEP_2) | instskip(NEXT) | instid1(VALU_DEP_1)
	v_add_f32_e32 v74, v74, v78
	v_add_f32_e32 v74, v74, v76
	v_fmac_f32_e32 v232, v197, v132
	s_delay_alu instid0(VALU_DEP_1) | instskip(NEXT) | instid1(VALU_DEP_1)
	v_add_f32_e32 v73, v73, v232
	v_add_f32_e32 v73, v73, v233
	s_delay_alu instid0(VALU_DEP_1) | instskip(SKIP_1) | instid1(VALU_DEP_1)
	v_add_f32_e32 v73, v73, v234
	s_wait_loadcnt 0x0
	v_dual_add_f32 v76, v73, v235 :: v_dual_sub_f32 v73, v204, v74
	s_delay_alu instid0(VALU_DEP_1)
	v_sub_f32_e32 v74, v205, v76
	scratch_store_b64 off, v[73:74], off offset:24
	v_cmpx_lt_u32_e32 2, v0
	s_cbranch_execz .LBB99_225
; %bb.224:
	scratch_load_b64 v[73:74], off, off offset:16
	v_mov_b32_e32 v76, 0
	s_delay_alu instid0(VALU_DEP_1)
	v_mov_b32_e32 v77, v76
	scratch_store_b64 off, v[76:77], off offset:16
	s_wait_loadcnt 0x0
	ds_store_b64 v75, v[73:74]
.LBB99_225:
	s_wait_alu 0xfffe
	s_or_b32 exec_lo, exec_lo, s0
	s_wait_storecnt_dscnt 0x0
	s_barrier_signal -1
	s_barrier_wait -1
	global_inv scope:SCOPE_SE
	s_clause 0x11
	scratch_load_b128 v[76:79], off, off offset:24
	scratch_load_b128 v[80:83], off, off offset:40
	;; [unrolled: 1-line block ×16, first 2 shown]
	scratch_load_b64 v[204:205], off, off offset:280
	scratch_load_b64 v[206:207], off, off offset:16
	v_mov_b32_e32 v73, 0
	ds_load_2addr_b64 v[140:143], v73 offset0:39 offset1:40
	ds_load_2addr_b64 v[144:147], v73 offset0:41 offset1:42
	;; [unrolled: 1-line block ×16, first 2 shown]
	ds_load_b64 v[208:209], v73 offset:568
	s_mov_b32 s0, exec_lo
	s_wait_loadcnt_dscnt 0x1110
	v_mul_f32_e32 v74, v140, v77
	s_wait_loadcnt_dscnt 0x100f
	v_dual_mul_f32 v210, v142, v79 :: v_dual_mul_f32 v211, v144, v81
	v_mul_f32_e32 v79, v143, v79
	s_wait_loadcnt_dscnt 0xf0e
	v_dual_mul_f32 v212, v146, v83 :: v_dual_mul_f32 v213, v148, v85
	s_wait_loadcnt_dscnt 0xd0c
	v_dual_mul_f32 v216, v154, v91 :: v_dual_mul_f32 v217, v156, v93
	;; [unrolled: 2-line block ×3, first 2 shown]
	v_dual_mul_f32 v77, v141, v77 :: v_dual_mul_f32 v220, v162, v99
	s_wait_loadcnt_dscnt 0xb0a
	v_dual_mul_f32 v221, v164, v101 :: v_dual_fmac_f32 v74, v141, v76
	s_wait_loadcnt_dscnt 0x302
	v_mul_f32_e32 v238, v198, v135
	v_fma_f32 v77, v140, v76, -v77
	s_wait_loadcnt_dscnt 0x100
	v_mul_f32_e32 v241, v208, v205
	v_mul_f32_e32 v76, v145, v81
	v_fmac_f32_e32 v210, v143, v78
	v_fma_f32 v78, v142, v78, -v79
	v_dual_add_f32 v77, 0, v77 :: v_dual_add_f32 v74, 0, v74
	v_mul_f32_e32 v79, v147, v83
	v_fmac_f32_e32 v211, v145, v80
	v_fma_f32 v76, v144, v80, -v76
	v_dual_fmac_f32 v212, v147, v82 :: v_dual_fmac_f32 v213, v149, v84
	v_add_f32_e32 v74, v74, v210
	v_add_f32_e32 v77, v77, v78
	v_mul_f32_e32 v78, v149, v85
	v_fma_f32 v79, v146, v82, -v79
	v_dual_mul_f32 v222, v166, v103 :: v_dual_mul_f32 v223, v168, v105
	v_add_f32_e32 v74, v74, v211
	v_dual_add_f32 v76, v77, v76 :: v_dual_mul_f32 v77, v151, v87
	v_fma_f32 v78, v148, v84, -v78
	v_dual_mul_f32 v214, v150, v87 :: v_dual_mul_f32 v215, v152, v89
	s_delay_alu instid0(VALU_DEP_3) | instskip(NEXT) | instid1(VALU_DEP_4)
	v_dual_add_f32 v76, v76, v79 :: v_dual_mul_f32 v79, v153, v89
	v_fma_f32 v77, v150, v86, -v77
	v_fmac_f32_e32 v217, v157, v92
	v_add_f32_e32 v74, v74, v212
	s_delay_alu instid0(VALU_DEP_4) | instskip(SKIP_2) | instid1(VALU_DEP_3)
	v_add_f32_e32 v76, v76, v78
	v_dual_mul_f32 v78, v155, v91 :: v_dual_fmac_f32 v219, v161, v96
	v_fma_f32 v79, v152, v88, -v79
	v_dual_fmac_f32 v221, v165, v100 :: v_dual_add_f32 v76, v76, v77
	v_mul_f32_e32 v77, v157, v93
	s_delay_alu instid0(VALU_DEP_4)
	v_fma_f32 v78, v154, v90, -v78
	v_dual_fmac_f32 v223, v169, v104 :: v_dual_mul_f32 v226, v174, v111
	v_mul_f32_e32 v227, v176, v113
	v_add_f32_e32 v76, v76, v79
	v_mul_f32_e32 v79, v159, v95
	v_fma_f32 v77, v156, v92, -v77
	v_dual_fmac_f32 v214, v151, v86 :: v_dual_fmac_f32 v215, v153, v88
	s_delay_alu instid0(VALU_DEP_4) | instskip(SKIP_3) | instid1(VALU_DEP_4)
	v_add_f32_e32 v76, v76, v78
	v_mul_f32_e32 v78, v161, v97
	v_fma_f32 v79, v158, v94, -v79
	v_dual_add_f32 v74, v74, v213 :: v_dual_fmac_f32 v227, v177, v112
	v_dual_add_f32 v76, v76, v77 :: v_dual_mul_f32 v77, v163, v99
	s_delay_alu instid0(VALU_DEP_4) | instskip(NEXT) | instid1(VALU_DEP_3)
	v_fma_f32 v78, v160, v96, -v78
	v_add_f32_e32 v74, v74, v214
	v_dual_mul_f32 v236, v194, v131 :: v_dual_mul_f32 v237, v196, v133
	s_delay_alu instid0(VALU_DEP_4) | instskip(SKIP_3) | instid1(VALU_DEP_4)
	v_dual_add_f32 v76, v76, v79 :: v_dual_mul_f32 v79, v165, v101
	v_fma_f32 v77, v162, v98, -v77
	v_fmac_f32_e32 v216, v155, v90
	v_dual_mul_f32 v224, v170, v107 :: v_dual_mul_f32 v225, v172, v109
	v_add_f32_e32 v76, v76, v78
	v_mul_f32_e32 v78, v167, v103
	v_fma_f32 v79, v164, v100, -v79
	v_dual_fmac_f32 v237, v197, v132 :: v_dual_add_f32 v74, v74, v215
	s_delay_alu instid0(VALU_DEP_4) | instskip(SKIP_2) | instid1(VALU_DEP_4)
	v_dual_fmac_f32 v225, v173, v108 :: v_dual_add_f32 v76, v76, v77
	v_mul_f32_e32 v77, v169, v105
	v_fma_f32 v78, v166, v102, -v78
	v_add_f32_e32 v74, v74, v216
	v_fmac_f32_e32 v218, v159, v94
	v_add_f32_e32 v76, v76, v79
	v_mul_f32_e32 v79, v171, v107
	v_fma_f32 v77, v168, v104, -v77
	v_dual_mul_f32 v228, v178, v115 :: v_dual_mul_f32 v229, v180, v117
	s_delay_alu instid0(VALU_DEP_4) | instskip(SKIP_3) | instid1(VALU_DEP_4)
	v_add_f32_e32 v76, v76, v78
	v_mul_f32_e32 v78, v173, v109
	v_fma_f32 v79, v170, v106, -v79
	v_dual_mul_f32 v230, v182, v119 :: v_dual_mul_f32 v231, v184, v121
	v_dual_add_f32 v76, v76, v77 :: v_dual_mul_f32 v77, v175, v111
	s_delay_alu instid0(VALU_DEP_4) | instskip(SKIP_1) | instid1(VALU_DEP_3)
	v_fma_f32 v78, v172, v108, -v78
	v_dual_add_f32 v74, v74, v217 :: v_dual_fmac_f32 v229, v181, v116
	v_dual_add_f32 v76, v76, v79 :: v_dual_mul_f32 v79, v177, v113
	s_delay_alu instid0(VALU_DEP_4) | instskip(NEXT) | instid1(VALU_DEP_3)
	v_fma_f32 v77, v174, v110, -v77
	v_add_f32_e32 v74, v74, v218
	v_dual_mul_f32 v232, v186, v123 :: v_dual_mul_f32 v233, v188, v125
	s_delay_alu instid0(VALU_DEP_4) | instskip(SKIP_3) | instid1(VALU_DEP_4)
	v_add_f32_e32 v76, v76, v78
	v_mul_f32_e32 v78, v179, v115
	v_fma_f32 v79, v176, v112, -v79
	v_dual_fmac_f32 v220, v163, v98 :: v_dual_fmac_f32 v231, v185, v120
	v_add_f32_e32 v76, v76, v77
	v_mul_f32_e32 v77, v181, v117
	v_fma_f32 v78, v178, v114, -v78
	v_dual_mul_f32 v234, v190, v127 :: v_dual_mul_f32 v235, v192, v129
	s_delay_alu instid0(VALU_DEP_4)
	v_add_f32_e32 v76, v76, v79
	v_mul_f32_e32 v79, v183, v119
	v_fma_f32 v77, v180, v116, -v77
	v_fmac_f32_e32 v233, v189, v124
	v_dual_mul_f32 v239, v200, v137 :: v_dual_mul_f32 v240, v202, v139
	v_add_f32_e32 v76, v76, v78
	v_mul_f32_e32 v78, v185, v121
	v_fma_f32 v79, v182, v118, -v79
	v_dual_fmac_f32 v222, v167, v102 :: v_dual_fmac_f32 v235, v193, v128
	s_delay_alu instid0(VALU_DEP_4) | instskip(NEXT) | instid1(VALU_DEP_4)
	v_dual_add_f32 v76, v76, v77 :: v_dual_mul_f32 v77, v187, v123
	v_fma_f32 v78, v184, v120, -v78
	v_add_f32_e32 v74, v74, v219
	v_dual_fmac_f32 v224, v171, v106 :: v_dual_fmac_f32 v241, v209, v204
	s_delay_alu instid0(VALU_DEP_4) | instskip(SKIP_1) | instid1(VALU_DEP_4)
	v_dual_add_f32 v76, v76, v79 :: v_dual_mul_f32 v79, v189, v125
	v_fma_f32 v77, v186, v122, -v77
	v_add_f32_e32 v74, v74, v220
	v_fmac_f32_e32 v226, v175, v110
	s_delay_alu instid0(VALU_DEP_4)
	v_add_f32_e32 v76, v76, v78
	v_mul_f32_e32 v78, v191, v127
	v_fma_f32 v79, v188, v124, -v79
	v_fmac_f32_e32 v228, v179, v114
	v_fmac_f32_e32 v230, v183, v118
	v_add_f32_e32 v76, v76, v77
	v_mul_f32_e32 v77, v193, v129
	v_fma_f32 v78, v190, v126, -v78
	v_dual_fmac_f32 v232, v187, v122 :: v_dual_fmac_f32 v239, v201, v136
	s_delay_alu instid0(VALU_DEP_4)
	v_add_f32_e32 v76, v76, v79
	v_mul_f32_e32 v79, v195, v131
	v_fma_f32 v77, v192, v128, -v77
	v_fmac_f32_e32 v234, v191, v126
	v_fmac_f32_e32 v236, v195, v130
	v_add_f32_e32 v76, v76, v78
	v_mul_f32_e32 v78, v197, v133
	v_fma_f32 v79, v194, v130, -v79
	v_fmac_f32_e32 v238, v199, v134
	v_fmac_f32_e32 v240, v203, v138
	v_dual_add_f32 v76, v76, v77 :: v_dual_mul_f32 v77, v199, v135
	v_add_f32_e32 v74, v74, v221
	v_fma_f32 v78, v196, v132, -v78
	s_delay_alu instid0(VALU_DEP_3) | instskip(NEXT) | instid1(VALU_DEP_4)
	v_add_f32_e32 v76, v76, v79
	v_fma_f32 v77, v198, v134, -v77
	s_delay_alu instid0(VALU_DEP_4) | instskip(NEXT) | instid1(VALU_DEP_3)
	v_dual_add_f32 v74, v74, v222 :: v_dual_mul_f32 v79, v201, v137
	v_add_f32_e32 v76, v76, v78
	v_mul_f32_e32 v78, v203, v139
	s_delay_alu instid0(VALU_DEP_3) | instskip(NEXT) | instid1(VALU_DEP_3)
	v_fma_f32 v79, v200, v136, -v79
	v_add_f32_e32 v76, v76, v77
	v_dual_mul_f32 v77, v209, v205 :: v_dual_add_f32 v74, v74, v223
	s_delay_alu instid0(VALU_DEP_4) | instskip(NEXT) | instid1(VALU_DEP_3)
	v_fma_f32 v78, v202, v138, -v78
	v_add_f32_e32 v76, v76, v79
	s_delay_alu instid0(VALU_DEP_3) | instskip(NEXT) | instid1(VALU_DEP_4)
	v_fma_f32 v77, v208, v204, -v77
	v_add_f32_e32 v74, v74, v224
	s_delay_alu instid0(VALU_DEP_3) | instskip(NEXT) | instid1(VALU_DEP_2)
	v_add_f32_e32 v76, v76, v78
	v_add_f32_e32 v74, v74, v225
	s_delay_alu instid0(VALU_DEP_2) | instskip(NEXT) | instid1(VALU_DEP_2)
	v_add_f32_e32 v76, v76, v77
	v_add_f32_e32 v74, v74, v226
	s_wait_loadcnt 0x0
	s_delay_alu instid0(VALU_DEP_2) | instskip(NEXT) | instid1(VALU_DEP_2)
	v_sub_f32_e32 v76, v206, v76
	v_add_f32_e32 v74, v74, v227
	s_delay_alu instid0(VALU_DEP_1) | instskip(NEXT) | instid1(VALU_DEP_1)
	v_add_f32_e32 v74, v74, v228
	v_add_f32_e32 v74, v74, v229
	s_delay_alu instid0(VALU_DEP_1) | instskip(NEXT) | instid1(VALU_DEP_1)
	v_add_f32_e32 v74, v74, v230
	;; [unrolled: 3-line block ×7, first 2 shown]
	v_add_f32_e32 v74, v74, v241
	s_delay_alu instid0(VALU_DEP_1)
	v_sub_f32_e32 v77, v207, v74
	scratch_store_b64 off, v[76:77], off offset:16
	v_cmpx_lt_u32_e32 1, v0
	s_cbranch_execz .LBB99_227
; %bb.226:
	scratch_load_b64 v[76:77], off, off offset:8
	v_mov_b32_e32 v74, v73
	scratch_store_b64 off, v[73:74], off offset:8
	s_wait_loadcnt 0x0
	ds_store_b64 v75, v[76:77]
.LBB99_227:
	s_wait_alu 0xfffe
	s_or_b32 exec_lo, exec_lo, s0
	s_wait_storecnt_dscnt 0x0
	s_barrier_signal -1
	s_barrier_wait -1
	global_inv scope:SCOPE_SE
	s_clause 0x11
	scratch_load_b128 v[76:79], off, off offset:16
	scratch_load_b128 v[80:83], off, off offset:32
	scratch_load_b128 v[84:87], off, off offset:48
	scratch_load_b128 v[88:91], off, off offset:64
	scratch_load_b128 v[92:95], off, off offset:80
	scratch_load_b128 v[96:99], off, off offset:96
	scratch_load_b128 v[100:103], off, off offset:112
	scratch_load_b128 v[104:107], off, off offset:128
	scratch_load_b128 v[108:111], off, off offset:144
	scratch_load_b128 v[112:115], off, off offset:160
	scratch_load_b128 v[116:119], off, off offset:176
	scratch_load_b128 v[120:123], off, off offset:192
	scratch_load_b128 v[124:127], off, off offset:208
	scratch_load_b128 v[128:131], off, off offset:224
	scratch_load_b128 v[132:135], off, off offset:240
	scratch_load_b128 v[136:139], off, off offset:256
	scratch_load_b128 v[140:143], off, off offset:272
	scratch_load_b64 v[212:213], off, off offset:8
	ds_load_b128 v[144:147], v73 offset:304
	ds_load_b128 v[148:151], v73 offset:320
	;; [unrolled: 1-line block ×17, first 2 shown]
	s_mov_b32 s0, exec_lo
	s_wait_loadcnt_dscnt 0x1110
	v_dual_mul_f32 v73, v144, v77 :: v_dual_mul_f32 v74, v146, v79
	v_mul_f32_e32 v77, v145, v77
	s_wait_loadcnt_dscnt 0x100f
	v_dual_mul_f32 v79, v147, v79 :: v_dual_mul_f32 v214, v148, v81
	s_delay_alu instid0(VALU_DEP_3) | instskip(NEXT) | instid1(VALU_DEP_3)
	v_dual_mul_f32 v215, v150, v83 :: v_dual_fmac_f32 v74, v147, v78
	v_fma_f32 v77, v144, v76, -v77
	v_fmac_f32_e32 v73, v145, v76
	v_mul_f32_e32 v76, v149, v81
	v_fma_f32 v78, v146, v78, -v79
	v_mul_f32_e32 v79, v151, v83
	v_dual_add_f32 v77, 0, v77 :: v_dual_fmac_f32 v214, v149, v80
	s_delay_alu instid0(VALU_DEP_4) | instskip(SKIP_2) | instid1(VALU_DEP_3)
	v_fma_f32 v76, v148, v80, -v76
	s_wait_loadcnt_dscnt 0xf0e
	v_dual_mul_f32 v216, v152, v85 :: v_dual_mul_f32 v217, v154, v87
	v_add_f32_e32 v77, v77, v78
	v_fmac_f32_e32 v215, v151, v82
	v_fma_f32 v78, v150, v82, -v79
	s_wait_loadcnt_dscnt 0xe0d
	v_dual_mul_f32 v218, v156, v89 :: v_dual_mul_f32 v219, v158, v91
	v_dual_add_f32 v76, v77, v76 :: v_dual_mul_f32 v77, v155, v87
	v_fmac_f32_e32 v216, v153, v84
	s_wait_loadcnt_dscnt 0xd0c
	v_dual_mul_f32 v220, v160, v93 :: v_dual_mul_f32 v221, v162, v95
	s_delay_alu instid0(VALU_DEP_3) | instskip(SKIP_3) | instid1(VALU_DEP_4)
	v_dual_add_f32 v76, v76, v78 :: v_dual_add_f32 v73, 0, v73
	v_mul_f32_e32 v78, v157, v89
	v_fma_f32 v77, v154, v86, -v77
	v_dual_fmac_f32 v217, v155, v86 :: v_dual_fmac_f32 v218, v157, v88
	v_add_f32_e32 v73, v73, v74
	v_mul_f32_e32 v74, v153, v85
	v_fma_f32 v78, v156, v88, -v78
	v_dual_fmac_f32 v219, v159, v90 :: v_dual_fmac_f32 v220, v161, v92
	s_wait_loadcnt_dscnt 0xc0b
	v_dual_mul_f32 v222, v164, v97 :: v_dual_mul_f32 v223, v166, v99
	v_fma_f32 v74, v152, v84, -v74
	s_wait_loadcnt_dscnt 0xb0a
	v_dual_mul_f32 v224, v168, v101 :: v_dual_mul_f32 v225, v170, v103
	s_wait_loadcnt_dscnt 0xa09
	v_dual_mul_f32 v226, v172, v105 :: v_dual_mul_f32 v227, v174, v107
	v_add_f32_e32 v74, v76, v74
	v_mul_f32_e32 v76, v159, v91
	v_dual_fmac_f32 v224, v169, v100 :: v_dual_fmac_f32 v225, v171, v102
	s_delay_alu instid0(VALU_DEP_4) | instskip(NEXT) | instid1(VALU_DEP_4)
	v_dual_fmac_f32 v226, v173, v104 :: v_dual_fmac_f32 v227, v175, v106
	v_dual_add_f32 v74, v74, v77 :: v_dual_add_f32 v73, v73, v214
	v_mul_f32_e32 v77, v161, v93
	v_fma_f32 v76, v158, v90, -v76
	v_fmac_f32_e32 v221, v163, v94
	s_delay_alu instid0(VALU_DEP_4)
	v_add_f32_e32 v74, v74, v78
	v_mul_f32_e32 v78, v163, v95
	v_add_f32_e32 v73, v73, v215
	v_fma_f32 v77, v160, v92, -v77
	v_fmac_f32_e32 v222, v165, v96
	v_add_f32_e32 v74, v74, v76
	v_mul_f32_e32 v76, v165, v97
	v_add_f32_e32 v73, v73, v216
	v_fma_f32 v78, v162, v94, -v78
	s_delay_alu instid0(VALU_DEP_4) | instskip(SKIP_1) | instid1(VALU_DEP_4)
	v_dual_fmac_f32 v223, v167, v98 :: v_dual_add_f32 v74, v74, v77
	v_mul_f32_e32 v77, v167, v99
	v_add_f32_e32 v73, v73, v217
	v_fma_f32 v76, v164, v96, -v76
	s_wait_loadcnt_dscnt 0x908
	v_dual_mul_f32 v228, v176, v109 :: v_dual_mul_f32 v229, v178, v111
	v_add_f32_e32 v74, v74, v78
	v_add_f32_e32 v73, v73, v218
	v_fma_f32 v77, v166, v98, -v77
	v_mul_f32_e32 v78, v169, v101
	s_wait_loadcnt_dscnt 0x807
	v_dual_mul_f32 v230, v180, v113 :: v_dual_mul_f32 v231, v182, v115
	v_dual_add_f32 v74, v74, v76 :: v_dual_add_f32 v73, v73, v219
	v_mul_f32_e32 v76, v171, v103
	v_fma_f32 v78, v168, v100, -v78
	v_dual_fmac_f32 v228, v177, v108 :: v_dual_fmac_f32 v229, v179, v110
	s_delay_alu instid0(VALU_DEP_4)
	v_dual_add_f32 v74, v74, v77 :: v_dual_add_f32 v73, v73, v220
	v_mul_f32_e32 v77, v173, v105
	v_fma_f32 v76, v170, v102, -v76
	s_wait_loadcnt_dscnt 0x706
	v_dual_mul_f32 v232, v184, v117 :: v_dual_mul_f32 v233, v186, v119
	v_dual_add_f32 v73, v73, v221 :: v_dual_add_f32 v74, v74, v78
	v_mul_f32_e32 v78, v175, v107
	v_fma_f32 v77, v172, v104, -v77
	s_delay_alu instid0(VALU_DEP_4) | instskip(NEXT) | instid1(VALU_DEP_4)
	v_dual_fmac_f32 v230, v181, v112 :: v_dual_fmac_f32 v233, v187, v118
	v_dual_add_f32 v73, v73, v222 :: v_dual_add_f32 v74, v74, v76
	v_mul_f32_e32 v76, v177, v109
	v_fma_f32 v78, v174, v106, -v78
	v_fmac_f32_e32 v231, v183, v114
	s_delay_alu instid0(VALU_DEP_4)
	v_dual_add_f32 v73, v73, v223 :: v_dual_add_f32 v74, v74, v77
	v_mul_f32_e32 v77, v179, v111
	v_fma_f32 v76, v176, v108, -v76
	s_wait_loadcnt_dscnt 0x605
	v_dual_mul_f32 v234, v188, v121 :: v_dual_mul_f32 v235, v190, v123
	v_dual_add_f32 v73, v73, v224 :: v_dual_add_f32 v74, v74, v78
	v_mul_f32_e32 v78, v181, v113
	v_fma_f32 v77, v178, v110, -v77
	v_fmac_f32_e32 v232, v185, v116
	s_delay_alu instid0(VALU_DEP_4)
	v_dual_add_f32 v73, v73, v225 :: v_dual_add_f32 v74, v74, v76
	v_mul_f32_e32 v76, v183, v115
	v_fma_f32 v78, v180, v112, -v78
	s_wait_loadcnt_dscnt 0x504
	v_dual_mul_f32 v236, v192, v125 :: v_dual_mul_f32 v237, v194, v127
	;; [unrolled: 10-line block ×3, first 2 shown]
	v_add_f32_e32 v73, v73, v228
	v_add_f32_e32 v74, v74, v76
	v_mul_f32_e32 v76, v189, v121
	v_fma_f32 v78, v186, v118, -v78
	v_dual_fmac_f32 v234, v189, v120 :: v_dual_fmac_f32 v237, v195, v126
	v_add_f32_e32 v73, v73, v229
	v_dual_add_f32 v74, v74, v77 :: v_dual_mul_f32 v77, v191, v123
	v_fma_f32 v76, v188, v120, -v76
	v_fmac_f32_e32 v239, v199, v130
	s_delay_alu instid0(VALU_DEP_4) | instskip(NEXT) | instid1(VALU_DEP_4)
	v_add_f32_e32 v73, v73, v230
	v_add_f32_e32 v74, v74, v78
	v_mul_f32_e32 v78, v193, v125
	v_fma_f32 v77, v190, v122, -v77
	s_wait_loadcnt_dscnt 0x302
	v_dual_mul_f32 v240, v200, v133 :: v_dual_mul_f32 v241, v202, v135
	v_dual_add_f32 v73, v73, v231 :: v_dual_add_f32 v74, v74, v76
	v_mul_f32_e32 v76, v195, v127
	v_fma_f32 v78, v192, v124, -v78
	v_fmac_f32_e32 v236, v193, v124
	s_delay_alu instid0(VALU_DEP_4)
	v_add_f32_e32 v73, v73, v232
	v_dual_fmac_f32 v238, v197, v128 :: v_dual_fmac_f32 v241, v203, v134
	v_fma_f32 v76, v194, v126, -v76
	s_wait_loadcnt_dscnt 0x201
	v_dual_mul_f32 v242, v204, v137 :: v_dual_mul_f32 v243, v206, v139
	v_add_f32_e32 v73, v73, v233
	s_wait_loadcnt_dscnt 0x100
	v_dual_mul_f32 v244, v208, v141 :: v_dual_mul_f32 v245, v210, v143
	s_delay_alu instid0(VALU_DEP_3) | instskip(NEXT) | instid1(VALU_DEP_3)
	v_dual_fmac_f32 v240, v201, v132 :: v_dual_fmac_f32 v243, v207, v138
	v_dual_add_f32 v73, v73, v234 :: v_dual_add_f32 v74, v74, v77
	s_delay_alu instid0(VALU_DEP_3) | instskip(NEXT) | instid1(VALU_DEP_4)
	v_dual_fmac_f32 v245, v211, v142 :: v_dual_fmac_f32 v242, v205, v136
	v_fmac_f32_e32 v244, v209, v140
	s_delay_alu instid0(VALU_DEP_3) | instskip(NEXT) | instid1(VALU_DEP_4)
	v_add_f32_e32 v73, v73, v235
	v_dual_mul_f32 v77, v197, v129 :: v_dual_add_f32 v74, v74, v78
	v_mul_f32_e32 v78, v199, v131
	s_delay_alu instid0(VALU_DEP_2) | instskip(NEXT) | instid1(VALU_DEP_3)
	v_fma_f32 v77, v196, v128, -v77
	v_add_f32_e32 v74, v74, v76
	v_mul_f32_e32 v76, v201, v133
	s_delay_alu instid0(VALU_DEP_4) | instskip(NEXT) | instid1(VALU_DEP_3)
	v_fma_f32 v78, v198, v130, -v78
	v_dual_add_f32 v74, v74, v77 :: v_dual_mul_f32 v77, v203, v135
	v_add_f32_e32 v73, v73, v236
	s_delay_alu instid0(VALU_DEP_4) | instskip(NEXT) | instid1(VALU_DEP_3)
	v_fma_f32 v76, v200, v132, -v76
	v_fma_f32 v77, v202, v134, -v77
	s_delay_alu instid0(VALU_DEP_3) | instskip(NEXT) | instid1(VALU_DEP_1)
	v_add_f32_e32 v73, v73, v237
	v_add_f32_e32 v73, v73, v238
	;; [unrolled: 1-line block ×3, first 2 shown]
	v_mul_f32_e32 v78, v205, v137
	s_delay_alu instid0(VALU_DEP_3) | instskip(NEXT) | instid1(VALU_DEP_2)
	v_add_f32_e32 v73, v73, v239
	v_fma_f32 v78, v204, v136, -v78
	s_delay_alu instid0(VALU_DEP_2) | instskip(SKIP_1) | instid1(VALU_DEP_2)
	v_add_f32_e32 v73, v73, v240
	v_add_f32_e32 v74, v74, v76
	v_dual_mul_f32 v76, v207, v139 :: v_dual_add_f32 v73, v73, v241
	s_delay_alu instid0(VALU_DEP_2) | instskip(NEXT) | instid1(VALU_DEP_2)
	v_add_f32_e32 v74, v74, v77
	v_fma_f32 v76, v206, v138, -v76
	s_delay_alu instid0(VALU_DEP_3) | instskip(NEXT) | instid1(VALU_DEP_3)
	v_add_f32_e32 v73, v73, v242
	v_dual_mul_f32 v77, v209, v141 :: v_dual_add_f32 v74, v74, v78
	s_delay_alu instid0(VALU_DEP_2) | instskip(SKIP_1) | instid1(VALU_DEP_3)
	v_add_f32_e32 v73, v73, v243
	v_mul_f32_e32 v78, v211, v143
	v_fma_f32 v77, v208, v140, -v77
	s_delay_alu instid0(VALU_DEP_4) | instskip(NEXT) | instid1(VALU_DEP_4)
	v_add_f32_e32 v74, v74, v76
	v_add_f32_e32 v73, v73, v244
	s_delay_alu instid0(VALU_DEP_4) | instskip(NEXT) | instid1(VALU_DEP_3)
	v_fma_f32 v76, v210, v142, -v78
	v_add_f32_e32 v74, v74, v77
	s_delay_alu instid0(VALU_DEP_1) | instskip(SKIP_1) | instid1(VALU_DEP_1)
	v_add_f32_e32 v74, v74, v76
	s_wait_loadcnt 0x0
	v_dual_add_f32 v76, v73, v245 :: v_dual_sub_f32 v73, v212, v74
	s_delay_alu instid0(VALU_DEP_1)
	v_sub_f32_e32 v74, v213, v76
	scratch_store_b64 off, v[73:74], off offset:8
	v_cmpx_ne_u32_e32 0, v0
	s_cbranch_execz .LBB99_229
; %bb.228:
	scratch_load_b64 v[73:74], off, off
	v_mov_b32_e32 v76, 0
	s_delay_alu instid0(VALU_DEP_1)
	v_mov_b32_e32 v77, v76
	scratch_store_b64 off, v[76:77], off
	s_wait_loadcnt 0x0
	ds_store_b64 v75, v[73:74]
.LBB99_229:
	s_wait_alu 0xfffe
	s_or_b32 exec_lo, exec_lo, s0
	s_wait_storecnt_dscnt 0x0
	s_barrier_signal -1
	s_barrier_wait -1
	global_inv scope:SCOPE_SE
	s_clause 0x12
	scratch_load_b128 v[73:76], off, off offset:8
	scratch_load_b128 v[77:80], off, off offset:24
	;; [unrolled: 1-line block ×17, first 2 shown]
	scratch_load_b64 v[209:210], off, off offset:280
	scratch_load_b64 v[211:212], off, off
	v_mov_b32_e32 v0, 0
	ds_load_2addr_b64 v[141:144], v0 offset0:37 offset1:38
	ds_load_2addr_b64 v[145:148], v0 offset0:39 offset1:40
	;; [unrolled: 1-line block ×17, first 2 shown]
	ds_load_b64 v[213:214], v0 offset:568
	s_and_b32 vcc_lo, exec_lo, s12
	s_wait_loadcnt_dscnt 0x1211
	v_dual_mul_f32 v215, v141, v74 :: v_dual_mul_f32 v216, v143, v76
	s_wait_loadcnt_dscnt 0x1110
	v_dual_mul_f32 v217, v145, v78 :: v_dual_mul_f32 v76, v144, v76
	;; [unrolled: 2-line block ×3, first 2 shown]
	v_dual_fmac_f32 v215, v142, v73 :: v_dual_fmac_f32 v216, v144, v75
	s_delay_alu instid0(VALU_DEP_3) | instskip(SKIP_1) | instid1(VALU_DEP_4)
	v_fmac_f32_e32 v217, v146, v77
	v_fma_f32 v75, v143, v75, -v76
	v_dual_fmac_f32 v218, v148, v79 :: v_dual_fmac_f32 v219, v150, v81
	s_delay_alu instid0(VALU_DEP_4)
	v_add_f32_e32 v76, 0, v215
	v_mul_f32_e32 v74, v142, v74
	s_wait_loadcnt_dscnt 0xf0e
	v_dual_mul_f32 v220, v151, v84 :: v_dual_mul_f32 v221, v153, v86
	s_wait_loadcnt_dscnt 0xe0d
	v_dual_mul_f32 v222, v155, v88 :: v_dual_mul_f32 v223, v157, v90
	v_fma_f32 v74, v141, v73, -v74
	v_dual_mul_f32 v73, v146, v78 :: v_dual_mul_f32 v78, v148, v80
	v_dual_fmac_f32 v220, v152, v83 :: v_dual_fmac_f32 v221, v154, v85
	s_delay_alu instid0(VALU_DEP_3) | instskip(NEXT) | instid1(VALU_DEP_3)
	v_add_f32_e32 v74, 0, v74
	v_fma_f32 v73, v145, v77, -v73
	s_delay_alu instid0(VALU_DEP_4) | instskip(SKIP_1) | instid1(VALU_DEP_4)
	v_fma_f32 v77, v147, v79, -v78
	v_dual_fmac_f32 v222, v156, v87 :: v_dual_fmac_f32 v223, v158, v89
	v_add_f32_e32 v74, v74, v75
	s_wait_loadcnt_dscnt 0xd0c
	v_dual_mul_f32 v224, v159, v92 :: v_dual_mul_f32 v225, v161, v94
	s_wait_loadcnt_dscnt 0xc0b
	v_dual_mul_f32 v226, v163, v96 :: v_dual_mul_f32 v227, v165, v98
	v_add_f32_e32 v73, v74, v73
	v_add_f32_e32 v75, v76, v216
	v_dual_fmac_f32 v224, v160, v91 :: v_dual_fmac_f32 v225, v162, v93
	s_wait_loadcnt_dscnt 0xb0a
	v_dual_mul_f32 v228, v167, v100 :: v_dual_mul_f32 v229, v169, v102
	s_delay_alu instid0(VALU_DEP_3)
	v_dual_add_f32 v74, v75, v217 :: v_dual_mul_f32 v75, v152, v84
	v_add_f32_e32 v73, v73, v77
	v_dual_mul_f32 v77, v154, v86 :: v_dual_mul_f32 v230, v171, v104
	s_wait_loadcnt_dscnt 0xa09
	v_mul_f32_e32 v231, v173, v106
	v_fma_f32 v75, v151, v83, -v75
	v_mul_f32_e32 v76, v150, v82
	v_fma_f32 v77, v153, v85, -v77
	v_dual_fmac_f32 v229, v170, v101 :: v_dual_fmac_f32 v230, v172, v103
	s_wait_loadcnt_dscnt 0x908
	v_dual_mul_f32 v232, v175, v108 :: v_dual_mul_f32 v233, v177, v110
	v_fma_f32 v76, v149, v81, -v76
	v_add_f32_e32 v74, v74, v218
	s_delay_alu instid0(VALU_DEP_3) | instskip(SKIP_4) | instid1(VALU_DEP_3)
	v_dual_fmac_f32 v231, v174, v105 :: v_dual_fmac_f32 v232, v176, v107
	s_wait_loadcnt_dscnt 0x807
	v_dual_mul_f32 v234, v179, v112 :: v_dual_mul_f32 v235, v181, v114
	v_add_f32_e32 v73, v73, v76
	v_dual_mul_f32 v76, v156, v88 :: v_dual_fmac_f32 v233, v178, v109
	v_fmac_f32_e32 v234, v180, v111
	s_wait_loadcnt_dscnt 0x706
	v_dual_mul_f32 v236, v183, v116 :: v_dual_mul_f32 v237, v185, v118
	v_add_f32_e32 v73, v73, v75
	v_add_f32_e32 v74, v74, v219
	v_mul_f32_e32 v75, v158, v90
	v_fma_f32 v76, v155, v87, -v76
	s_wait_loadcnt_dscnt 0x605
	v_dual_mul_f32 v238, v187, v120 :: v_dual_mul_f32 v239, v189, v122
	v_add_f32_e32 v73, v73, v77
	v_fma_f32 v75, v157, v89, -v75
	v_mul_f32_e32 v77, v160, v92
	s_delay_alu instid0(VALU_DEP_4) | instskip(NEXT) | instid1(VALU_DEP_4)
	v_dual_fmac_f32 v235, v182, v113 :: v_dual_fmac_f32 v238, v188, v119
	v_add_f32_e32 v73, v73, v76
	v_add_f32_e32 v74, v74, v220
	v_mul_f32_e32 v76, v162, v94
	v_fma_f32 v77, v159, v91, -v77
	v_fmac_f32_e32 v226, v164, v95
	s_delay_alu instid0(VALU_DEP_4) | instskip(SKIP_3) | instid1(VALU_DEP_4)
	v_dual_add_f32 v73, v73, v75 :: v_dual_add_f32 v74, v74, v221
	v_mul_f32_e32 v75, v164, v96
	v_fma_f32 v76, v161, v93, -v76
	v_fmac_f32_e32 v227, v166, v97
	v_dual_add_f32 v73, v73, v77 :: v_dual_add_f32 v74, v74, v222
	s_delay_alu instid0(VALU_DEP_4) | instskip(SKIP_1) | instid1(VALU_DEP_3)
	v_fma_f32 v75, v163, v95, -v75
	v_dual_mul_f32 v77, v166, v98 :: v_dual_fmac_f32 v228, v168, v99
	v_dual_add_f32 v73, v73, v76 :: v_dual_add_f32 v74, v74, v223
	v_mul_f32_e32 v76, v168, v100
	s_delay_alu instid0(VALU_DEP_3) | instskip(SKIP_1) | instid1(VALU_DEP_4)
	v_fma_f32 v77, v165, v97, -v77
	v_fmac_f32_e32 v237, v186, v117
	v_dual_add_f32 v73, v73, v75 :: v_dual_add_f32 v74, v74, v224
	v_mul_f32_e32 v75, v170, v102
	v_fma_f32 v76, v167, v99, -v76
	s_wait_loadcnt_dscnt 0x504
	v_dual_mul_f32 v240, v191, v124 :: v_dual_mul_f32 v241, v193, v126
	v_add_f32_e32 v74, v74, v225
	v_add_f32_e32 v73, v73, v77
	v_mul_f32_e32 v77, v172, v104
	v_fma_f32 v75, v169, v101, -v75
	s_wait_loadcnt_dscnt 0x403
	v_dual_mul_f32 v242, v195, v128 :: v_dual_mul_f32 v243, v197, v130
	v_dual_add_f32 v74, v74, v226 :: v_dual_add_f32 v73, v73, v76
	v_mul_f32_e32 v76, v174, v106
	v_fma_f32 v77, v171, v103, -v77
	s_delay_alu instid0(VALU_DEP_4) | instskip(NEXT) | instid1(VALU_DEP_4)
	v_dual_fmac_f32 v239, v190, v121 :: v_dual_fmac_f32 v242, v196, v127
	v_add_f32_e32 v74, v74, v227
	v_add_f32_e32 v73, v73, v75
	v_mul_f32_e32 v75, v176, v108
	v_fma_f32 v76, v173, v105, -v76
	v_fmac_f32_e32 v236, v184, v115
	v_add_f32_e32 v74, v74, v228
	s_wait_loadcnt_dscnt 0x302
	v_dual_mul_f32 v244, v199, v132 :: v_dual_mul_f32 v245, v201, v134
	v_fma_f32 v75, v175, v107, -v75
	v_fmac_f32_e32 v241, v194, v125
	v_add_f32_e32 v74, v74, v229
	v_add_f32_e32 v73, v73, v77
	v_mul_f32_e32 v77, v178, v110
	v_dual_fmac_f32 v245, v202, v133 :: v_dual_mul_f32 v246, v203, v136
	s_wait_loadcnt_dscnt 0x201
	v_mul_f32_e32 v247, v205, v138
	v_dual_add_f32 v74, v74, v230 :: v_dual_add_f32 v73, v73, v76
	v_mul_f32_e32 v76, v180, v112
	v_fma_f32 v77, v177, v109, -v77
	v_dual_fmac_f32 v243, v198, v129 :: v_dual_fmac_f32 v246, v204, v135
	s_delay_alu instid0(VALU_DEP_4)
	v_add_f32_e32 v74, v74, v231
	v_add_f32_e32 v73, v73, v75
	v_mul_f32_e32 v75, v182, v114
	v_fma_f32 v76, v179, v111, -v76
	s_wait_loadcnt_dscnt 0x100
	v_dual_mul_f32 v248, v207, v140 :: v_dual_mul_f32 v249, v213, v210
	v_add_f32_e32 v74, v74, v232
	v_fma_f32 v75, v181, v113, -v75
	v_dual_fmac_f32 v240, v192, v123 :: v_dual_fmac_f32 v247, v206, v137
	s_delay_alu instid0(VALU_DEP_4) | instskip(NEXT) | instid1(VALU_DEP_4)
	v_fmac_f32_e32 v249, v214, v209
	v_add_f32_e32 v74, v74, v233
	v_add_f32_e32 v73, v73, v77
	v_mul_f32_e32 v77, v184, v116
	v_fmac_f32_e32 v244, v200, v131
	v_fmac_f32_e32 v248, v208, v139
	s_delay_alu instid0(VALU_DEP_4) | instskip(SKIP_2) | instid1(VALU_DEP_3)
	v_dual_add_f32 v74, v74, v234 :: v_dual_add_f32 v73, v73, v76
	v_mul_f32_e32 v76, v186, v118
	v_fma_f32 v77, v183, v115, -v77
	v_add_f32_e32 v74, v74, v235
	s_delay_alu instid0(VALU_DEP_4) | instskip(SKIP_2) | instid1(VALU_DEP_3)
	v_add_f32_e32 v73, v73, v75
	v_mul_f32_e32 v75, v188, v120
	v_fma_f32 v76, v185, v117, -v76
	v_dual_add_f32 v74, v74, v236 :: v_dual_add_f32 v73, v73, v77
	v_mul_f32_e32 v77, v190, v122
	s_delay_alu instid0(VALU_DEP_4) | instskip(NEXT) | instid1(VALU_DEP_3)
	v_fma_f32 v75, v187, v119, -v75
	v_add_f32_e32 v73, v73, v76
	v_mul_f32_e32 v76, v192, v124
	v_add_f32_e32 v74, v74, v237
	v_fma_f32 v77, v189, v121, -v77
	s_delay_alu instid0(VALU_DEP_3) | instskip(NEXT) | instid1(VALU_DEP_3)
	v_fma_f32 v76, v191, v123, -v76
	v_add_f32_e32 v74, v74, v238
	s_delay_alu instid0(VALU_DEP_1) | instskip(SKIP_2) | instid1(VALU_DEP_2)
	v_add_f32_e32 v74, v74, v239
	v_add_f32_e32 v73, v73, v75
	v_mul_f32_e32 v75, v194, v126
	v_dual_add_f32 v74, v74, v240 :: v_dual_add_f32 v73, v73, v77
	v_mul_f32_e32 v77, v196, v128
	s_delay_alu instid0(VALU_DEP_3) | instskip(NEXT) | instid1(VALU_DEP_3)
	v_fma_f32 v75, v193, v125, -v75
	v_dual_add_f32 v73, v73, v76 :: v_dual_mul_f32 v76, v198, v130
	s_delay_alu instid0(VALU_DEP_3) | instskip(NEXT) | instid1(VALU_DEP_2)
	v_fma_f32 v77, v195, v127, -v77
	v_add_f32_e32 v73, v73, v75
	s_delay_alu instid0(VALU_DEP_3) | instskip(NEXT) | instid1(VALU_DEP_2)
	v_fma_f32 v76, v197, v129, -v76
	v_add_f32_e32 v73, v73, v77
	v_mul_f32_e32 v77, v202, v134
	s_delay_alu instid0(VALU_DEP_2) | instskip(SKIP_2) | instid1(VALU_DEP_4)
	v_add_f32_e32 v73, v73, v76
	v_mul_f32_e32 v76, v204, v136
	v_add_f32_e32 v74, v74, v241
	v_fma_f32 v77, v201, v133, -v77
	s_delay_alu instid0(VALU_DEP_3) | instskip(NEXT) | instid1(VALU_DEP_3)
	v_fma_f32 v76, v203, v135, -v76
	v_dual_add_f32 v74, v74, v242 :: v_dual_mul_f32 v75, v200, v132
	s_delay_alu instid0(VALU_DEP_1) | instskip(NEXT) | instid1(VALU_DEP_2)
	v_add_f32_e32 v74, v74, v243
	v_fma_f32 v75, v199, v131, -v75
	s_delay_alu instid0(VALU_DEP_2) | instskip(NEXT) | instid1(VALU_DEP_1)
	v_add_f32_e32 v74, v74, v244
	v_dual_add_f32 v74, v74, v245 :: v_dual_add_f32 v73, v73, v75
	v_mul_f32_e32 v75, v206, v138
	s_delay_alu instid0(VALU_DEP_2) | instskip(SKIP_1) | instid1(VALU_DEP_3)
	v_dual_add_f32 v74, v74, v246 :: v_dual_add_f32 v73, v73, v77
	v_mul_f32_e32 v77, v208, v140
	v_fma_f32 v75, v205, v137, -v75
	s_delay_alu instid0(VALU_DEP_3) | instskip(NEXT) | instid1(VALU_DEP_3)
	v_add_f32_e32 v74, v74, v247
	v_fma_f32 v77, v207, v139, -v77
	s_delay_alu instid0(VALU_DEP_2) | instskip(SKIP_1) | instid1(VALU_DEP_1)
	v_add_f32_e32 v74, v74, v248
	v_dual_add_f32 v73, v73, v76 :: v_dual_mul_f32 v76, v214, v210
	v_dual_add_f32 v74, v74, v249 :: v_dual_add_f32 v73, v73, v75
	s_delay_alu instid0(VALU_DEP_2) | instskip(SKIP_1) | instid1(VALU_DEP_2)
	v_fma_f32 v75, v213, v209, -v76
	s_wait_loadcnt 0x0
	v_dual_sub_f32 v74, v212, v74 :: v_dual_add_f32 v73, v73, v77
	s_delay_alu instid0(VALU_DEP_1) | instskip(NEXT) | instid1(VALU_DEP_1)
	v_add_f32_e32 v73, v73, v75
	v_sub_f32_e32 v73, v211, v73
	scratch_store_b64 off, v[73:74], off
	s_wait_alu 0xfffe
	s_cbranch_vccz .LBB99_300
; %bb.230:
	global_load_b32 v0, v0, s[2:3] offset:136
	s_wait_loadcnt 0x0
	v_cmp_ne_u32_e32 vcc_lo, 35, v0
	s_cbranch_vccz .LBB99_232
; %bb.231:
	v_lshlrev_b32_e32 v0, 3, v0
	scratch_load_b64 v[73:74], v0, off offset:-8
	scratch_load_b64 v[75:76], off, off offset:272
	s_wait_loadcnt 0x1
	scratch_store_b64 off, v[73:74], off offset:272
	s_wait_loadcnt 0x0
	scratch_store_b64 v0, v[75:76], off offset:-8
.LBB99_232:
	v_mov_b32_e32 v0, 0
	global_load_b32 v73, v0, s[2:3] offset:132
	s_wait_loadcnt 0x0
	v_cmp_eq_u32_e32 vcc_lo, 34, v73
	s_cbranch_vccnz .LBB99_234
; %bb.233:
	v_lshlrev_b32_e32 v73, 3, v73
	s_delay_alu instid0(VALU_DEP_1)
	v_mov_b32_e32 v77, v73
	scratch_load_b64 v[73:74], v77, off offset:-8
	scratch_load_b64 v[75:76], off, off offset:264
	s_wait_loadcnt 0x1
	scratch_store_b64 off, v[73:74], off offset:264
	s_wait_loadcnt 0x0
	scratch_store_b64 v77, v[75:76], off offset:-8
.LBB99_234:
	global_load_b32 v0, v0, s[2:3] offset:128
	s_wait_loadcnt 0x0
	v_cmp_eq_u32_e32 vcc_lo, 33, v0
	s_cbranch_vccnz .LBB99_236
; %bb.235:
	v_lshlrev_b32_e32 v0, 3, v0
	scratch_load_b64 v[73:74], v0, off offset:-8
	scratch_load_b64 v[75:76], off, off offset:256
	s_wait_loadcnt 0x1
	scratch_store_b64 off, v[73:74], off offset:256
	s_wait_loadcnt 0x0
	scratch_store_b64 v0, v[75:76], off offset:-8
.LBB99_236:
	v_mov_b32_e32 v0, 0
	global_load_b32 v73, v0, s[2:3] offset:124
	s_wait_loadcnt 0x0
	v_cmp_eq_u32_e32 vcc_lo, 32, v73
	s_cbranch_vccnz .LBB99_238
; %bb.237:
	v_lshlrev_b32_e32 v73, 3, v73
	s_delay_alu instid0(VALU_DEP_1)
	v_mov_b32_e32 v77, v73
	scratch_load_b64 v[73:74], v77, off offset:-8
	scratch_load_b64 v[75:76], off, off offset:248
	s_wait_loadcnt 0x1
	scratch_store_b64 off, v[73:74], off offset:248
	s_wait_loadcnt 0x0
	scratch_store_b64 v77, v[75:76], off offset:-8
.LBB99_238:
	global_load_b32 v0, v0, s[2:3] offset:120
	s_wait_loadcnt 0x0
	v_cmp_eq_u32_e32 vcc_lo, 31, v0
	s_cbranch_vccnz .LBB99_240
; %bb.239:
	v_lshlrev_b32_e32 v0, 3, v0
	scratch_load_b64 v[73:74], v0, off offset:-8
	scratch_load_b64 v[75:76], off, off offset:240
	s_wait_loadcnt 0x1
	scratch_store_b64 off, v[73:74], off offset:240
	s_wait_loadcnt 0x0
	scratch_store_b64 v0, v[75:76], off offset:-8
.LBB99_240:
	v_mov_b32_e32 v0, 0
	global_load_b32 v73, v0, s[2:3] offset:116
	s_wait_loadcnt 0x0
	v_cmp_eq_u32_e32 vcc_lo, 30, v73
	s_cbranch_vccnz .LBB99_242
; %bb.241:
	v_lshlrev_b32_e32 v73, 3, v73
	s_delay_alu instid0(VALU_DEP_1)
	v_mov_b32_e32 v77, v73
	scratch_load_b64 v[73:74], v77, off offset:-8
	scratch_load_b64 v[75:76], off, off offset:232
	s_wait_loadcnt 0x1
	scratch_store_b64 off, v[73:74], off offset:232
	s_wait_loadcnt 0x0
	scratch_store_b64 v77, v[75:76], off offset:-8
.LBB99_242:
	global_load_b32 v0, v0, s[2:3] offset:112
	s_wait_loadcnt 0x0
	v_cmp_eq_u32_e32 vcc_lo, 29, v0
	s_cbranch_vccnz .LBB99_244
; %bb.243:
	v_lshlrev_b32_e32 v0, 3, v0
	scratch_load_b64 v[73:74], v0, off offset:-8
	scratch_load_b64 v[75:76], off, off offset:224
	s_wait_loadcnt 0x1
	scratch_store_b64 off, v[73:74], off offset:224
	s_wait_loadcnt 0x0
	scratch_store_b64 v0, v[75:76], off offset:-8
.LBB99_244:
	v_mov_b32_e32 v0, 0
	global_load_b32 v73, v0, s[2:3] offset:108
	s_wait_loadcnt 0x0
	v_cmp_eq_u32_e32 vcc_lo, 28, v73
	s_cbranch_vccnz .LBB99_246
; %bb.245:
	v_lshlrev_b32_e32 v73, 3, v73
	s_delay_alu instid0(VALU_DEP_1)
	v_mov_b32_e32 v77, v73
	scratch_load_b64 v[73:74], v77, off offset:-8
	scratch_load_b64 v[75:76], off, off offset:216
	s_wait_loadcnt 0x1
	scratch_store_b64 off, v[73:74], off offset:216
	s_wait_loadcnt 0x0
	scratch_store_b64 v77, v[75:76], off offset:-8
.LBB99_246:
	global_load_b32 v0, v0, s[2:3] offset:104
	s_wait_loadcnt 0x0
	v_cmp_eq_u32_e32 vcc_lo, 27, v0
	s_cbranch_vccnz .LBB99_248
; %bb.247:
	v_lshlrev_b32_e32 v0, 3, v0
	scratch_load_b64 v[73:74], v0, off offset:-8
	scratch_load_b64 v[75:76], off, off offset:208
	s_wait_loadcnt 0x1
	scratch_store_b64 off, v[73:74], off offset:208
	s_wait_loadcnt 0x0
	scratch_store_b64 v0, v[75:76], off offset:-8
.LBB99_248:
	v_mov_b32_e32 v0, 0
	global_load_b32 v73, v0, s[2:3] offset:100
	s_wait_loadcnt 0x0
	v_cmp_eq_u32_e32 vcc_lo, 26, v73
	s_cbranch_vccnz .LBB99_250
; %bb.249:
	v_lshlrev_b32_e32 v73, 3, v73
	s_delay_alu instid0(VALU_DEP_1)
	v_mov_b32_e32 v77, v73
	scratch_load_b64 v[73:74], v77, off offset:-8
	scratch_load_b64 v[75:76], off, off offset:200
	s_wait_loadcnt 0x1
	scratch_store_b64 off, v[73:74], off offset:200
	s_wait_loadcnt 0x0
	scratch_store_b64 v77, v[75:76], off offset:-8
.LBB99_250:
	global_load_b32 v0, v0, s[2:3] offset:96
	s_wait_loadcnt 0x0
	v_cmp_eq_u32_e32 vcc_lo, 25, v0
	s_cbranch_vccnz .LBB99_252
; %bb.251:
	v_lshlrev_b32_e32 v0, 3, v0
	scratch_load_b64 v[73:74], v0, off offset:-8
	scratch_load_b64 v[75:76], off, off offset:192
	s_wait_loadcnt 0x1
	scratch_store_b64 off, v[73:74], off offset:192
	s_wait_loadcnt 0x0
	scratch_store_b64 v0, v[75:76], off offset:-8
.LBB99_252:
	v_mov_b32_e32 v0, 0
	global_load_b32 v73, v0, s[2:3] offset:92
	s_wait_loadcnt 0x0
	v_cmp_eq_u32_e32 vcc_lo, 24, v73
	s_cbranch_vccnz .LBB99_254
; %bb.253:
	v_lshlrev_b32_e32 v73, 3, v73
	s_delay_alu instid0(VALU_DEP_1)
	v_mov_b32_e32 v77, v73
	scratch_load_b64 v[73:74], v77, off offset:-8
	scratch_load_b64 v[75:76], off, off offset:184
	s_wait_loadcnt 0x1
	scratch_store_b64 off, v[73:74], off offset:184
	s_wait_loadcnt 0x0
	scratch_store_b64 v77, v[75:76], off offset:-8
.LBB99_254:
	global_load_b32 v0, v0, s[2:3] offset:88
	s_wait_loadcnt 0x0
	v_cmp_eq_u32_e32 vcc_lo, 23, v0
	s_cbranch_vccnz .LBB99_256
; %bb.255:
	v_lshlrev_b32_e32 v0, 3, v0
	scratch_load_b64 v[73:74], v0, off offset:-8
	scratch_load_b64 v[75:76], off, off offset:176
	s_wait_loadcnt 0x1
	scratch_store_b64 off, v[73:74], off offset:176
	s_wait_loadcnt 0x0
	scratch_store_b64 v0, v[75:76], off offset:-8
.LBB99_256:
	v_mov_b32_e32 v0, 0
	global_load_b32 v73, v0, s[2:3] offset:84
	s_wait_loadcnt 0x0
	v_cmp_eq_u32_e32 vcc_lo, 22, v73
	s_cbranch_vccnz .LBB99_258
; %bb.257:
	v_lshlrev_b32_e32 v73, 3, v73
	s_delay_alu instid0(VALU_DEP_1)
	v_mov_b32_e32 v77, v73
	scratch_load_b64 v[73:74], v77, off offset:-8
	scratch_load_b64 v[75:76], off, off offset:168
	s_wait_loadcnt 0x1
	scratch_store_b64 off, v[73:74], off offset:168
	s_wait_loadcnt 0x0
	scratch_store_b64 v77, v[75:76], off offset:-8
.LBB99_258:
	global_load_b32 v0, v0, s[2:3] offset:80
	s_wait_loadcnt 0x0
	v_cmp_eq_u32_e32 vcc_lo, 21, v0
	s_cbranch_vccnz .LBB99_260
; %bb.259:
	v_lshlrev_b32_e32 v0, 3, v0
	scratch_load_b64 v[73:74], v0, off offset:-8
	scratch_load_b64 v[75:76], off, off offset:160
	s_wait_loadcnt 0x1
	scratch_store_b64 off, v[73:74], off offset:160
	s_wait_loadcnt 0x0
	scratch_store_b64 v0, v[75:76], off offset:-8
.LBB99_260:
	v_mov_b32_e32 v0, 0
	global_load_b32 v73, v0, s[2:3] offset:76
	s_wait_loadcnt 0x0
	v_cmp_eq_u32_e32 vcc_lo, 20, v73
	s_cbranch_vccnz .LBB99_262
; %bb.261:
	v_lshlrev_b32_e32 v73, 3, v73
	s_delay_alu instid0(VALU_DEP_1)
	v_mov_b32_e32 v77, v73
	scratch_load_b64 v[73:74], v77, off offset:-8
	scratch_load_b64 v[75:76], off, off offset:152
	s_wait_loadcnt 0x1
	scratch_store_b64 off, v[73:74], off offset:152
	s_wait_loadcnt 0x0
	scratch_store_b64 v77, v[75:76], off offset:-8
.LBB99_262:
	global_load_b32 v0, v0, s[2:3] offset:72
	s_wait_loadcnt 0x0
	v_cmp_eq_u32_e32 vcc_lo, 19, v0
	s_cbranch_vccnz .LBB99_264
; %bb.263:
	v_lshlrev_b32_e32 v0, 3, v0
	scratch_load_b64 v[73:74], v0, off offset:-8
	scratch_load_b64 v[75:76], off, off offset:144
	s_wait_loadcnt 0x1
	scratch_store_b64 off, v[73:74], off offset:144
	s_wait_loadcnt 0x0
	scratch_store_b64 v0, v[75:76], off offset:-8
.LBB99_264:
	v_mov_b32_e32 v0, 0
	global_load_b32 v73, v0, s[2:3] offset:68
	s_wait_loadcnt 0x0
	v_cmp_eq_u32_e32 vcc_lo, 18, v73
	s_cbranch_vccnz .LBB99_266
; %bb.265:
	v_lshlrev_b32_e32 v73, 3, v73
	s_delay_alu instid0(VALU_DEP_1)
	v_mov_b32_e32 v77, v73
	scratch_load_b64 v[73:74], v77, off offset:-8
	scratch_load_b64 v[75:76], off, off offset:136
	s_wait_loadcnt 0x1
	scratch_store_b64 off, v[73:74], off offset:136
	s_wait_loadcnt 0x0
	scratch_store_b64 v77, v[75:76], off offset:-8
.LBB99_266:
	global_load_b32 v0, v0, s[2:3] offset:64
	s_wait_loadcnt 0x0
	v_cmp_eq_u32_e32 vcc_lo, 17, v0
	s_cbranch_vccnz .LBB99_268
; %bb.267:
	v_lshlrev_b32_e32 v0, 3, v0
	scratch_load_b64 v[73:74], v0, off offset:-8
	scratch_load_b64 v[75:76], off, off offset:128
	s_wait_loadcnt 0x1
	scratch_store_b64 off, v[73:74], off offset:128
	s_wait_loadcnt 0x0
	scratch_store_b64 v0, v[75:76], off offset:-8
.LBB99_268:
	v_mov_b32_e32 v0, 0
	global_load_b32 v73, v0, s[2:3] offset:60
	s_wait_loadcnt 0x0
	v_cmp_eq_u32_e32 vcc_lo, 16, v73
	s_cbranch_vccnz .LBB99_270
; %bb.269:
	v_lshlrev_b32_e32 v73, 3, v73
	s_delay_alu instid0(VALU_DEP_1)
	v_mov_b32_e32 v77, v73
	scratch_load_b64 v[73:74], v77, off offset:-8
	scratch_load_b64 v[75:76], off, off offset:120
	s_wait_loadcnt 0x1
	scratch_store_b64 off, v[73:74], off offset:120
	s_wait_loadcnt 0x0
	scratch_store_b64 v77, v[75:76], off offset:-8
.LBB99_270:
	global_load_b32 v0, v0, s[2:3] offset:56
	s_wait_loadcnt 0x0
	v_cmp_eq_u32_e32 vcc_lo, 15, v0
	s_cbranch_vccnz .LBB99_272
; %bb.271:
	v_lshlrev_b32_e32 v0, 3, v0
	scratch_load_b64 v[73:74], v0, off offset:-8
	scratch_load_b64 v[75:76], off, off offset:112
	s_wait_loadcnt 0x1
	scratch_store_b64 off, v[73:74], off offset:112
	s_wait_loadcnt 0x0
	scratch_store_b64 v0, v[75:76], off offset:-8
.LBB99_272:
	v_mov_b32_e32 v0, 0
	global_load_b32 v73, v0, s[2:3] offset:52
	s_wait_loadcnt 0x0
	v_cmp_eq_u32_e32 vcc_lo, 14, v73
	s_cbranch_vccnz .LBB99_274
; %bb.273:
	v_lshlrev_b32_e32 v73, 3, v73
	s_delay_alu instid0(VALU_DEP_1)
	v_mov_b32_e32 v77, v73
	scratch_load_b64 v[73:74], v77, off offset:-8
	scratch_load_b64 v[75:76], off, off offset:104
	s_wait_loadcnt 0x1
	scratch_store_b64 off, v[73:74], off offset:104
	s_wait_loadcnt 0x0
	scratch_store_b64 v77, v[75:76], off offset:-8
.LBB99_274:
	global_load_b32 v0, v0, s[2:3] offset:48
	s_wait_loadcnt 0x0
	v_cmp_eq_u32_e32 vcc_lo, 13, v0
	s_cbranch_vccnz .LBB99_276
; %bb.275:
	v_lshlrev_b32_e32 v0, 3, v0
	scratch_load_b64 v[73:74], v0, off offset:-8
	scratch_load_b64 v[75:76], off, off offset:96
	s_wait_loadcnt 0x1
	scratch_store_b64 off, v[73:74], off offset:96
	s_wait_loadcnt 0x0
	scratch_store_b64 v0, v[75:76], off offset:-8
.LBB99_276:
	v_mov_b32_e32 v0, 0
	global_load_b32 v73, v0, s[2:3] offset:44
	s_wait_loadcnt 0x0
	v_cmp_eq_u32_e32 vcc_lo, 12, v73
	s_cbranch_vccnz .LBB99_278
; %bb.277:
	v_lshlrev_b32_e32 v73, 3, v73
	s_delay_alu instid0(VALU_DEP_1)
	v_mov_b32_e32 v77, v73
	scratch_load_b64 v[73:74], v77, off offset:-8
	scratch_load_b64 v[75:76], off, off offset:88
	s_wait_loadcnt 0x1
	scratch_store_b64 off, v[73:74], off offset:88
	s_wait_loadcnt 0x0
	scratch_store_b64 v77, v[75:76], off offset:-8
.LBB99_278:
	global_load_b32 v0, v0, s[2:3] offset:40
	s_wait_loadcnt 0x0
	v_cmp_eq_u32_e32 vcc_lo, 11, v0
	s_cbranch_vccnz .LBB99_280
; %bb.279:
	v_lshlrev_b32_e32 v0, 3, v0
	scratch_load_b64 v[73:74], v0, off offset:-8
	scratch_load_b64 v[75:76], off, off offset:80
	s_wait_loadcnt 0x1
	scratch_store_b64 off, v[73:74], off offset:80
	s_wait_loadcnt 0x0
	scratch_store_b64 v0, v[75:76], off offset:-8
.LBB99_280:
	v_mov_b32_e32 v0, 0
	global_load_b32 v73, v0, s[2:3] offset:36
	s_wait_loadcnt 0x0
	v_cmp_eq_u32_e32 vcc_lo, 10, v73
	s_cbranch_vccnz .LBB99_282
; %bb.281:
	v_lshlrev_b32_e32 v73, 3, v73
	s_delay_alu instid0(VALU_DEP_1)
	v_mov_b32_e32 v77, v73
	scratch_load_b64 v[73:74], v77, off offset:-8
	scratch_load_b64 v[75:76], off, off offset:72
	s_wait_loadcnt 0x1
	scratch_store_b64 off, v[73:74], off offset:72
	s_wait_loadcnt 0x0
	scratch_store_b64 v77, v[75:76], off offset:-8
.LBB99_282:
	global_load_b32 v0, v0, s[2:3] offset:32
	s_wait_loadcnt 0x0
	v_cmp_eq_u32_e32 vcc_lo, 9, v0
	s_cbranch_vccnz .LBB99_284
; %bb.283:
	v_lshlrev_b32_e32 v0, 3, v0
	scratch_load_b64 v[73:74], v0, off offset:-8
	scratch_load_b64 v[75:76], off, off offset:64
	s_wait_loadcnt 0x1
	scratch_store_b64 off, v[73:74], off offset:64
	s_wait_loadcnt 0x0
	scratch_store_b64 v0, v[75:76], off offset:-8
.LBB99_284:
	v_mov_b32_e32 v0, 0
	global_load_b32 v73, v0, s[2:3] offset:28
	s_wait_loadcnt 0x0
	v_cmp_eq_u32_e32 vcc_lo, 8, v73
	s_cbranch_vccnz .LBB99_286
; %bb.285:
	v_lshlrev_b32_e32 v73, 3, v73
	s_delay_alu instid0(VALU_DEP_1)
	v_mov_b32_e32 v77, v73
	scratch_load_b64 v[73:74], v77, off offset:-8
	scratch_load_b64 v[75:76], off, off offset:56
	s_wait_loadcnt 0x1
	scratch_store_b64 off, v[73:74], off offset:56
	s_wait_loadcnt 0x0
	scratch_store_b64 v77, v[75:76], off offset:-8
.LBB99_286:
	global_load_b32 v0, v0, s[2:3] offset:24
	s_wait_loadcnt 0x0
	v_cmp_eq_u32_e32 vcc_lo, 7, v0
	s_cbranch_vccnz .LBB99_288
; %bb.287:
	v_lshlrev_b32_e32 v0, 3, v0
	scratch_load_b64 v[73:74], v0, off offset:-8
	scratch_load_b64 v[75:76], off, off offset:48
	s_wait_loadcnt 0x1
	scratch_store_b64 off, v[73:74], off offset:48
	s_wait_loadcnt 0x0
	scratch_store_b64 v0, v[75:76], off offset:-8
.LBB99_288:
	v_mov_b32_e32 v0, 0
	global_load_b32 v73, v0, s[2:3] offset:20
	s_wait_loadcnt 0x0
	v_cmp_eq_u32_e32 vcc_lo, 6, v73
	s_cbranch_vccnz .LBB99_290
; %bb.289:
	v_lshlrev_b32_e32 v73, 3, v73
	s_delay_alu instid0(VALU_DEP_1)
	v_mov_b32_e32 v77, v73
	scratch_load_b64 v[73:74], v77, off offset:-8
	scratch_load_b64 v[75:76], off, off offset:40
	s_wait_loadcnt 0x1
	scratch_store_b64 off, v[73:74], off offset:40
	s_wait_loadcnt 0x0
	scratch_store_b64 v77, v[75:76], off offset:-8
.LBB99_290:
	global_load_b32 v0, v0, s[2:3] offset:16
	s_wait_loadcnt 0x0
	v_cmp_eq_u32_e32 vcc_lo, 5, v0
	s_cbranch_vccnz .LBB99_292
; %bb.291:
	v_lshlrev_b32_e32 v0, 3, v0
	scratch_load_b64 v[73:74], v0, off offset:-8
	scratch_load_b64 v[75:76], off, off offset:32
	s_wait_loadcnt 0x1
	scratch_store_b64 off, v[73:74], off offset:32
	s_wait_loadcnt 0x0
	scratch_store_b64 v0, v[75:76], off offset:-8
.LBB99_292:
	v_mov_b32_e32 v0, 0
	global_load_b32 v73, v0, s[2:3] offset:12
	s_wait_loadcnt 0x0
	v_cmp_eq_u32_e32 vcc_lo, 4, v73
	s_cbranch_vccnz .LBB99_294
; %bb.293:
	v_lshlrev_b32_e32 v73, 3, v73
	s_delay_alu instid0(VALU_DEP_1)
	v_mov_b32_e32 v77, v73
	scratch_load_b64 v[73:74], v77, off offset:-8
	scratch_load_b64 v[75:76], off, off offset:24
	s_wait_loadcnt 0x1
	scratch_store_b64 off, v[73:74], off offset:24
	s_wait_loadcnt 0x0
	scratch_store_b64 v77, v[75:76], off offset:-8
.LBB99_294:
	global_load_b32 v0, v0, s[2:3] offset:8
	s_wait_loadcnt 0x0
	v_cmp_eq_u32_e32 vcc_lo, 3, v0
	s_cbranch_vccnz .LBB99_296
; %bb.295:
	v_lshlrev_b32_e32 v0, 3, v0
	scratch_load_b64 v[73:74], v0, off offset:-8
	scratch_load_b64 v[75:76], off, off offset:16
	s_wait_loadcnt 0x1
	scratch_store_b64 off, v[73:74], off offset:16
	s_wait_loadcnt 0x0
	scratch_store_b64 v0, v[75:76], off offset:-8
.LBB99_296:
	v_mov_b32_e32 v0, 0
	global_load_b32 v73, v0, s[2:3] offset:4
	s_wait_loadcnt 0x0
	v_cmp_eq_u32_e32 vcc_lo, 2, v73
	s_cbranch_vccnz .LBB99_298
; %bb.297:
	v_lshlrev_b32_e32 v73, 3, v73
	s_delay_alu instid0(VALU_DEP_1)
	v_mov_b32_e32 v77, v73
	scratch_load_b64 v[73:74], v77, off offset:-8
	scratch_load_b64 v[75:76], off, off offset:8
	s_wait_loadcnt 0x1
	scratch_store_b64 off, v[73:74], off offset:8
	s_wait_loadcnt 0x0
	scratch_store_b64 v77, v[75:76], off offset:-8
.LBB99_298:
	global_load_b32 v0, v0, s[2:3]
	s_wait_loadcnt 0x0
	v_cmp_eq_u32_e32 vcc_lo, 1, v0
	s_cbranch_vccnz .LBB99_300
; %bb.299:
	v_lshlrev_b32_e32 v0, 3, v0
	scratch_load_b64 v[73:74], v0, off offset:-8
	scratch_load_b64 v[75:76], off, off
	s_wait_loadcnt 0x1
	scratch_store_b64 off, v[73:74], off
	s_wait_loadcnt 0x0
	scratch_store_b64 v0, v[75:76], off offset:-8
.LBB99_300:
	scratch_load_b64 v[73:74], off, off
	s_wait_loadcnt 0x0
	flat_store_b64 v[1:2], v[73:74]
	scratch_load_b64 v[0:1], off, off offset:8
	s_wait_loadcnt 0x0
	flat_store_b64 v[3:4], v[0:1]
	scratch_load_b64 v[0:1], off, off offset:16
	;; [unrolled: 3-line block ×35, first 2 shown]
	s_wait_loadcnt 0x0
	flat_store_b64 v[71:72], v[0:1]
	s_nop 0
	s_sendmsg sendmsg(MSG_DEALLOC_VGPRS)
	s_endpgm
	.section	.rodata,"a",@progbits
	.p2align	6, 0x0
	.amdhsa_kernel _ZN9rocsolver6v33100L18getri_kernel_smallILi36E19rocblas_complex_numIfEPKPS3_EEvT1_iilPiilS8_bb
		.amdhsa_group_segment_fixed_size 580
		.amdhsa_private_segment_fixed_size 304
		.amdhsa_kernarg_size 60
		.amdhsa_user_sgpr_count 2
		.amdhsa_user_sgpr_dispatch_ptr 0
		.amdhsa_user_sgpr_queue_ptr 0
		.amdhsa_user_sgpr_kernarg_segment_ptr 1
		.amdhsa_user_sgpr_dispatch_id 0
		.amdhsa_user_sgpr_private_segment_size 0
		.amdhsa_wavefront_size32 1
		.amdhsa_uses_dynamic_stack 0
		.amdhsa_enable_private_segment 1
		.amdhsa_system_sgpr_workgroup_id_x 1
		.amdhsa_system_sgpr_workgroup_id_y 0
		.amdhsa_system_sgpr_workgroup_id_z 0
		.amdhsa_system_sgpr_workgroup_info 0
		.amdhsa_system_vgpr_workitem_id 0
		.amdhsa_next_free_vgpr 250
		.amdhsa_next_free_sgpr 19
		.amdhsa_reserve_vcc 1
		.amdhsa_float_round_mode_32 0
		.amdhsa_float_round_mode_16_64 0
		.amdhsa_float_denorm_mode_32 3
		.amdhsa_float_denorm_mode_16_64 3
		.amdhsa_fp16_overflow 0
		.amdhsa_workgroup_processor_mode 1
		.amdhsa_memory_ordered 1
		.amdhsa_forward_progress 1
		.amdhsa_inst_pref_size 255
		.amdhsa_round_robin_scheduling 0
		.amdhsa_exception_fp_ieee_invalid_op 0
		.amdhsa_exception_fp_denorm_src 0
		.amdhsa_exception_fp_ieee_div_zero 0
		.amdhsa_exception_fp_ieee_overflow 0
		.amdhsa_exception_fp_ieee_underflow 0
		.amdhsa_exception_fp_ieee_inexact 0
		.amdhsa_exception_int_div_zero 0
	.end_amdhsa_kernel
	.section	.text._ZN9rocsolver6v33100L18getri_kernel_smallILi36E19rocblas_complex_numIfEPKPS3_EEvT1_iilPiilS8_bb,"axG",@progbits,_ZN9rocsolver6v33100L18getri_kernel_smallILi36E19rocblas_complex_numIfEPKPS3_EEvT1_iilPiilS8_bb,comdat
.Lfunc_end99:
	.size	_ZN9rocsolver6v33100L18getri_kernel_smallILi36E19rocblas_complex_numIfEPKPS3_EEvT1_iilPiilS8_bb, .Lfunc_end99-_ZN9rocsolver6v33100L18getri_kernel_smallILi36E19rocblas_complex_numIfEPKPS3_EEvT1_iilPiilS8_bb
                                        ; -- End function
	.set _ZN9rocsolver6v33100L18getri_kernel_smallILi36E19rocblas_complex_numIfEPKPS3_EEvT1_iilPiilS8_bb.num_vgpr, 250
	.set _ZN9rocsolver6v33100L18getri_kernel_smallILi36E19rocblas_complex_numIfEPKPS3_EEvT1_iilPiilS8_bb.num_agpr, 0
	.set _ZN9rocsolver6v33100L18getri_kernel_smallILi36E19rocblas_complex_numIfEPKPS3_EEvT1_iilPiilS8_bb.numbered_sgpr, 19
	.set _ZN9rocsolver6v33100L18getri_kernel_smallILi36E19rocblas_complex_numIfEPKPS3_EEvT1_iilPiilS8_bb.num_named_barrier, 0
	.set _ZN9rocsolver6v33100L18getri_kernel_smallILi36E19rocblas_complex_numIfEPKPS3_EEvT1_iilPiilS8_bb.private_seg_size, 304
	.set _ZN9rocsolver6v33100L18getri_kernel_smallILi36E19rocblas_complex_numIfEPKPS3_EEvT1_iilPiilS8_bb.uses_vcc, 1
	.set _ZN9rocsolver6v33100L18getri_kernel_smallILi36E19rocblas_complex_numIfEPKPS3_EEvT1_iilPiilS8_bb.uses_flat_scratch, 1
	.set _ZN9rocsolver6v33100L18getri_kernel_smallILi36E19rocblas_complex_numIfEPKPS3_EEvT1_iilPiilS8_bb.has_dyn_sized_stack, 0
	.set _ZN9rocsolver6v33100L18getri_kernel_smallILi36E19rocblas_complex_numIfEPKPS3_EEvT1_iilPiilS8_bb.has_recursion, 0
	.set _ZN9rocsolver6v33100L18getri_kernel_smallILi36E19rocblas_complex_numIfEPKPS3_EEvT1_iilPiilS8_bb.has_indirect_call, 0
	.section	.AMDGPU.csdata,"",@progbits
; Kernel info:
; codeLenInByte = 49432
; TotalNumSgprs: 21
; NumVgprs: 250
; ScratchSize: 304
; MemoryBound: 0
; FloatMode: 240
; IeeeMode: 1
; LDSByteSize: 580 bytes/workgroup (compile time only)
; SGPRBlocks: 0
; VGPRBlocks: 31
; NumSGPRsForWavesPerEU: 21
; NumVGPRsForWavesPerEU: 250
; Occupancy: 5
; WaveLimiterHint : 1
; COMPUTE_PGM_RSRC2:SCRATCH_EN: 1
; COMPUTE_PGM_RSRC2:USER_SGPR: 2
; COMPUTE_PGM_RSRC2:TRAP_HANDLER: 0
; COMPUTE_PGM_RSRC2:TGID_X_EN: 1
; COMPUTE_PGM_RSRC2:TGID_Y_EN: 0
; COMPUTE_PGM_RSRC2:TGID_Z_EN: 0
; COMPUTE_PGM_RSRC2:TIDIG_COMP_CNT: 0
	.section	.text._ZN9rocsolver6v33100L18getri_kernel_smallILi37E19rocblas_complex_numIfEPKPS3_EEvT1_iilPiilS8_bb,"axG",@progbits,_ZN9rocsolver6v33100L18getri_kernel_smallILi37E19rocblas_complex_numIfEPKPS3_EEvT1_iilPiilS8_bb,comdat
	.globl	_ZN9rocsolver6v33100L18getri_kernel_smallILi37E19rocblas_complex_numIfEPKPS3_EEvT1_iilPiilS8_bb ; -- Begin function _ZN9rocsolver6v33100L18getri_kernel_smallILi37E19rocblas_complex_numIfEPKPS3_EEvT1_iilPiilS8_bb
	.p2align	8
	.type	_ZN9rocsolver6v33100L18getri_kernel_smallILi37E19rocblas_complex_numIfEPKPS3_EEvT1_iilPiilS8_bb,@function
_ZN9rocsolver6v33100L18getri_kernel_smallILi37E19rocblas_complex_numIfEPKPS3_EEvT1_iilPiilS8_bb: ; @_ZN9rocsolver6v33100L18getri_kernel_smallILi37E19rocblas_complex_numIfEPKPS3_EEvT1_iilPiilS8_bb
; %bb.0:
	s_mov_b32 s2, exec_lo
	v_cmpx_gt_u32_e32 37, v0
	s_cbranch_execz .LBB100_162
; %bb.1:
	s_clause 0x1
	s_load_b32 s13, s[0:1], 0x38
	s_load_b64 s[2:3], s[0:1], 0x0
	s_mov_b32 s8, ttmp9
	s_load_b128 s[4:7], s[0:1], 0x28
	s_wait_kmcnt 0x0
	s_bitcmp1_b32 s13, 8
	s_cselect_b32 s12, -1, 0
	s_ashr_i32 s9, ttmp9, 31
	s_delay_alu instid0(SALU_CYCLE_1) | instskip(NEXT) | instid1(SALU_CYCLE_1)
	s_lshl_b64 s[10:11], s[8:9], 3
	s_add_nc_u64 s[2:3], s[2:3], s[10:11]
	s_load_b64 s[10:11], s[2:3], 0x0
	s_bfe_u32 s2, s13, 0x10008
	s_delay_alu instid0(SALU_CYCLE_1)
	s_cmp_eq_u32 s2, 0
                                        ; implicit-def: $sgpr2_sgpr3
	s_cbranch_scc1 .LBB100_3
; %bb.2:
	s_load_b96 s[16:18], s[0:1], 0x18
	s_mul_u64 s[2:3], s[4:5], s[8:9]
	s_delay_alu instid0(SALU_CYCLE_1)
	s_lshl_b64 s[2:3], s[2:3], 2
	s_wait_kmcnt 0x0
	s_ashr_i32 s5, s18, 31
	s_mov_b32 s4, s18
	s_add_nc_u64 s[2:3], s[16:17], s[2:3]
	s_lshl_b64 s[4:5], s[4:5], 2
	s_delay_alu instid0(SALU_CYCLE_1)
	s_add_nc_u64 s[2:3], s[2:3], s[4:5]
.LBB100_3:
	s_clause 0x1
	s_load_b64 s[4:5], s[0:1], 0x8
	s_load_b32 s13, s[0:1], 0x38
	v_lshlrev_b32_e32 v7, 3, v0
	s_wait_kmcnt 0x0
	s_ashr_i32 s1, s4, 31
	s_mov_b32 s0, s4
	v_add3_u32 v3, s5, s5, v0
	s_lshl_b64 s[0:1], s[0:1], 3
	s_delay_alu instid0(SALU_CYCLE_1)
	s_add_nc_u64 s[0:1], s[10:11], s[0:1]
	s_ashr_i32 s11, s5, 31
	v_add_co_u32 v24, s4, s0, v7
	s_wait_alu 0xf1ff
	v_add_co_ci_u32_e64 v25, null, s1, 0, s4
	s_mov_b32 s10, s5
	v_ashrrev_i32_e32 v4, 31, v3
	s_lshl_b64 s[10:11], s[10:11], 3
	flat_load_b64 v[1:2], v[24:25]
	v_add_co_u32 v26, vcc_lo, v24, s10
	s_delay_alu instid0(VALU_DEP_1) | instskip(SKIP_3) | instid1(VALU_DEP_2)
	v_add_co_ci_u32_e64 v27, null, s11, v25, vcc_lo
	v_lshlrev_b64_e32 v[4:5], 3, v[3:4]
	v_add_nc_u32_e32 v3, s5, v3
	s_bitcmp0_b32 s13, 0
	v_add_co_u32 v28, vcc_lo, s0, v4
	s_wait_alu 0xfffd
	s_delay_alu instid0(VALU_DEP_3) | instskip(SKIP_1) | instid1(VALU_DEP_1)
	v_add_co_ci_u32_e64 v29, null, s1, v5, vcc_lo
	v_ashrrev_i32_e32 v4, 31, v3
	v_lshlrev_b64_e32 v[4:5], 3, v[3:4]
	v_add_nc_u32_e32 v3, s5, v3
	s_delay_alu instid0(VALU_DEP_2) | instskip(SKIP_1) | instid1(VALU_DEP_3)
	v_add_co_u32 v30, vcc_lo, s0, v4
	s_wait_alu 0xfffd
	v_add_co_ci_u32_e64 v31, null, s1, v5, vcc_lo
	s_delay_alu instid0(VALU_DEP_3) | instskip(NEXT) | instid1(VALU_DEP_1)
	v_ashrrev_i32_e32 v4, 31, v3
	v_lshlrev_b64_e32 v[4:5], 3, v[3:4]
	v_add_nc_u32_e32 v3, s5, v3
	s_delay_alu instid0(VALU_DEP_2) | instskip(SKIP_1) | instid1(VALU_DEP_3)
	v_add_co_u32 v32, vcc_lo, s0, v4
	s_wait_alu 0xfffd
	v_add_co_ci_u32_e64 v33, null, s1, v5, vcc_lo
	s_delay_alu instid0(VALU_DEP_3) | instskip(NEXT) | instid1(VALU_DEP_1)
	;; [unrolled: 8-line block ×20, first 2 shown]
	v_ashrrev_i32_e32 v4, 31, v3
	v_lshlrev_b64_e32 v[4:5], 3, v[3:4]
	s_wait_loadcnt_dscnt 0x0
	scratch_store_b64 off, v[1:2], off
	flat_load_b64 v[1:2], v[26:27]
	v_add_nc_u32_e32 v3, s5, v3
	v_add_co_u32 v70, vcc_lo, s0, v4
	s_wait_alu 0xfffd
	v_add_co_ci_u32_e64 v71, null, s1, v5, vcc_lo
	s_delay_alu instid0(VALU_DEP_3) | instskip(NEXT) | instid1(VALU_DEP_1)
	v_ashrrev_i32_e32 v4, 31, v3
	v_lshlrev_b64_e32 v[4:5], 3, v[3:4]
	v_add_nc_u32_e32 v3, s5, v3
	s_delay_alu instid0(VALU_DEP_2) | instskip(SKIP_1) | instid1(VALU_DEP_3)
	v_add_co_u32 v72, vcc_lo, s0, v4
	s_wait_alu 0xfffd
	v_add_co_ci_u32_e64 v73, null, s1, v5, vcc_lo
	s_delay_alu instid0(VALU_DEP_3) | instskip(NEXT) | instid1(VALU_DEP_1)
	v_ashrrev_i32_e32 v4, 31, v3
	v_lshlrev_b64_e32 v[4:5], 3, v[3:4]
	v_add_nc_u32_e32 v3, s5, v3
	s_delay_alu instid0(VALU_DEP_2) | instskip(SKIP_1) | instid1(VALU_DEP_3)
	;; [unrolled: 8-line block ×12, first 2 shown]
	v_add_co_u32 v94, vcc_lo, s0, v4
	s_wait_alu 0xfffd
	v_add_co_ci_u32_e64 v95, null, s1, v5, vcc_lo
	s_delay_alu instid0(VALU_DEP_3) | instskip(NEXT) | instid1(VALU_DEP_1)
	v_ashrrev_i32_e32 v4, 31, v3
	v_lshlrev_b64_e32 v[3:4], 3, v[3:4]
	s_delay_alu instid0(VALU_DEP_1) | instskip(SKIP_1) | instid1(VALU_DEP_2)
	v_add_co_u32 v96, vcc_lo, s0, v3
	s_wait_alu 0xfffd
	v_add_co_ci_u32_e64 v97, null, s1, v4, vcc_lo
	s_mov_b32 s1, -1
	s_wait_loadcnt_dscnt 0x0
	scratch_store_b64 off, v[1:2], off offset:8
	flat_load_b64 v[1:2], v[28:29]
	s_wait_loadcnt_dscnt 0x0
	scratch_store_b64 off, v[1:2], off offset:16
	flat_load_b64 v[1:2], v[30:31]
	;; [unrolled: 3-line block ×35, first 2 shown]
	s_wait_loadcnt_dscnt 0x0
	scratch_store_b64 off, v[1:2], off offset:288
	s_cbranch_scc1 .LBB100_160
; %bb.4:
	v_cmp_eq_u32_e64 s0, 0, v0
	s_and_saveexec_b32 s1, s0
; %bb.5:
	v_mov_b32_e32 v1, 0
	ds_store_b32 v1, v1 offset:296
; %bb.6:
	s_wait_alu 0xfffe
	s_or_b32 exec_lo, exec_lo, s1
	s_wait_storecnt_dscnt 0x0
	s_barrier_signal -1
	s_barrier_wait -1
	global_inv scope:SCOPE_SE
	scratch_load_b64 v[1:2], v7, off
	s_wait_loadcnt 0x0
	v_cmp_eq_f32_e32 vcc_lo, 0, v1
	v_cmp_eq_f32_e64 s1, 0, v2
	s_and_b32 s1, vcc_lo, s1
	s_wait_alu 0xfffe
	s_and_saveexec_b32 s4, s1
	s_cbranch_execz .LBB100_10
; %bb.7:
	v_mov_b32_e32 v1, 0
	s_mov_b32 s5, 0
	ds_load_b32 v2, v1 offset:296
	s_wait_dscnt 0x0
	v_readfirstlane_b32 s1, v2
	v_add_nc_u32_e32 v2, 1, v0
	s_cmp_eq_u32 s1, 0
	s_delay_alu instid0(VALU_DEP_1)
	v_cmp_gt_i32_e32 vcc_lo, s1, v2
	s_cselect_b32 s10, -1, 0
	s_wait_alu 0xfffe
	s_or_b32 s10, s10, vcc_lo
	s_wait_alu 0xfffe
	s_and_b32 exec_lo, exec_lo, s10
	s_cbranch_execz .LBB100_10
; %bb.8:
	v_mov_b32_e32 v3, s1
.LBB100_9:                              ; =>This Inner Loop Header: Depth=1
	ds_cmpstore_rtn_b32 v3, v1, v2, v3 offset:296
	s_wait_dscnt 0x0
	v_cmp_ne_u32_e32 vcc_lo, 0, v3
	v_cmp_le_i32_e64 s1, v3, v2
	s_and_b32 s1, vcc_lo, s1
	s_wait_alu 0xfffe
	s_and_b32 s1, exec_lo, s1
	s_wait_alu 0xfffe
	s_or_b32 s5, s1, s5
	s_wait_alu 0xfffe
	s_and_not1_b32 exec_lo, exec_lo, s5
	s_cbranch_execnz .LBB100_9
.LBB100_10:
	s_wait_alu 0xfffe
	s_or_b32 exec_lo, exec_lo, s4
	v_mov_b32_e32 v1, 0
	s_barrier_signal -1
	s_barrier_wait -1
	global_inv scope:SCOPE_SE
	ds_load_b32 v2, v1 offset:296
	s_and_saveexec_b32 s1, s0
	s_cbranch_execz .LBB100_12
; %bb.11:
	s_lshl_b64 s[4:5], s[8:9], 2
	s_wait_alu 0xfffe
	s_add_nc_u64 s[4:5], s[6:7], s[4:5]
	s_wait_dscnt 0x0
	global_store_b32 v1, v2, s[4:5]
.LBB100_12:
	s_wait_alu 0xfffe
	s_or_b32 exec_lo, exec_lo, s1
	s_wait_dscnt 0x0
	v_cmp_ne_u32_e32 vcc_lo, 0, v2
	s_mov_b32 s1, 0
	s_cbranch_vccnz .LBB100_160
; %bb.13:
	v_mov_b32_e32 v8, v7
                                        ; implicit-def: $vgpr3
                                        ; implicit-def: $vgpr5
	scratch_load_b64 v[1:2], v8, off
	s_wait_loadcnt 0x0
	v_cmp_ngt_f32_e64 s1, |v1|, |v2|
	s_wait_alu 0xfffe
	s_and_saveexec_b32 s4, s1
	s_wait_alu 0xfffe
	s_xor_b32 s1, exec_lo, s4
	s_cbranch_execz .LBB100_15
; %bb.14:
	v_div_scale_f32 v3, null, v2, v2, v1
	v_div_scale_f32 v6, vcc_lo, v1, v2, v1
	s_delay_alu instid0(VALU_DEP_2) | instskip(NEXT) | instid1(TRANS32_DEP_1)
	v_rcp_f32_e32 v4, v3
	v_fma_f32 v5, -v3, v4, 1.0
	s_delay_alu instid0(VALU_DEP_1) | instskip(NEXT) | instid1(VALU_DEP_1)
	v_fmac_f32_e32 v4, v5, v4
	v_mul_f32_e32 v5, v6, v4
	s_delay_alu instid0(VALU_DEP_1) | instskip(NEXT) | instid1(VALU_DEP_1)
	v_fma_f32 v9, -v3, v5, v6
	v_fmac_f32_e32 v5, v9, v4
	s_delay_alu instid0(VALU_DEP_1) | instskip(SKIP_1) | instid1(VALU_DEP_1)
	v_fma_f32 v3, -v3, v5, v6
	s_wait_alu 0xfffd
	v_div_fmas_f32 v3, v3, v4, v5
	s_delay_alu instid0(VALU_DEP_1) | instskip(NEXT) | instid1(VALU_DEP_1)
	v_div_fixup_f32 v3, v3, v2, v1
	v_fmac_f32_e32 v2, v1, v3
	s_delay_alu instid0(VALU_DEP_1) | instskip(NEXT) | instid1(VALU_DEP_1)
	v_div_scale_f32 v1, null, v2, v2, 1.0
	v_rcp_f32_e32 v4, v1
	s_delay_alu instid0(TRANS32_DEP_1) | instskip(NEXT) | instid1(VALU_DEP_1)
	v_fma_f32 v5, -v1, v4, 1.0
	v_fmac_f32_e32 v4, v5, v4
	v_div_scale_f32 v5, vcc_lo, 1.0, v2, 1.0
	s_delay_alu instid0(VALU_DEP_1) | instskip(NEXT) | instid1(VALU_DEP_1)
	v_mul_f32_e32 v6, v5, v4
	v_fma_f32 v9, -v1, v6, v5
	s_delay_alu instid0(VALU_DEP_1) | instskip(NEXT) | instid1(VALU_DEP_1)
	v_fmac_f32_e32 v6, v9, v4
	v_fma_f32 v1, -v1, v6, v5
	s_wait_alu 0xfffd
	s_delay_alu instid0(VALU_DEP_1) | instskip(NEXT) | instid1(VALU_DEP_1)
	v_div_fmas_f32 v1, v1, v4, v6
	v_div_fixup_f32 v1, v1, v2, 1.0
	s_delay_alu instid0(VALU_DEP_1) | instskip(SKIP_1) | instid1(VALU_DEP_2)
	v_mul_f32_e32 v3, v3, v1
	v_xor_b32_e32 v4, 0x80000000, v1
                                        ; implicit-def: $vgpr1_vgpr2
	v_xor_b32_e32 v5, 0x80000000, v3
.LBB100_15:
	s_wait_alu 0xfffe
	s_and_not1_saveexec_b32 s1, s1
	s_cbranch_execz .LBB100_17
; %bb.16:
	v_div_scale_f32 v3, null, v1, v1, v2
	v_div_scale_f32 v6, vcc_lo, v2, v1, v2
	s_delay_alu instid0(VALU_DEP_2) | instskip(NEXT) | instid1(TRANS32_DEP_1)
	v_rcp_f32_e32 v4, v3
	v_fma_f32 v5, -v3, v4, 1.0
	s_delay_alu instid0(VALU_DEP_1) | instskip(NEXT) | instid1(VALU_DEP_1)
	v_fmac_f32_e32 v4, v5, v4
	v_mul_f32_e32 v5, v6, v4
	s_delay_alu instid0(VALU_DEP_1) | instskip(NEXT) | instid1(VALU_DEP_1)
	v_fma_f32 v9, -v3, v5, v6
	v_fmac_f32_e32 v5, v9, v4
	s_delay_alu instid0(VALU_DEP_1) | instskip(SKIP_1) | instid1(VALU_DEP_1)
	v_fma_f32 v3, -v3, v5, v6
	s_wait_alu 0xfffd
	v_div_fmas_f32 v3, v3, v4, v5
	s_delay_alu instid0(VALU_DEP_1) | instskip(NEXT) | instid1(VALU_DEP_1)
	v_div_fixup_f32 v4, v3, v1, v2
	v_fmac_f32_e32 v1, v2, v4
	s_delay_alu instid0(VALU_DEP_1) | instskip(SKIP_1) | instid1(VALU_DEP_2)
	v_div_scale_f32 v2, null, v1, v1, 1.0
	v_div_scale_f32 v6, vcc_lo, 1.0, v1, 1.0
	v_rcp_f32_e32 v3, v2
	s_delay_alu instid0(TRANS32_DEP_1) | instskip(NEXT) | instid1(VALU_DEP_1)
	v_fma_f32 v5, -v2, v3, 1.0
	v_fmac_f32_e32 v3, v5, v3
	s_delay_alu instid0(VALU_DEP_1) | instskip(NEXT) | instid1(VALU_DEP_1)
	v_mul_f32_e32 v5, v6, v3
	v_fma_f32 v9, -v2, v5, v6
	s_delay_alu instid0(VALU_DEP_1) | instskip(NEXT) | instid1(VALU_DEP_1)
	v_fmac_f32_e32 v5, v9, v3
	v_fma_f32 v2, -v2, v5, v6
	s_wait_alu 0xfffd
	s_delay_alu instid0(VALU_DEP_1) | instskip(NEXT) | instid1(VALU_DEP_1)
	v_div_fmas_f32 v2, v2, v3, v5
	v_div_fixup_f32 v3, v2, v1, 1.0
	s_delay_alu instid0(VALU_DEP_1)
	v_xor_b32_e32 v5, 0x80000000, v3
	v_mul_f32_e64 v4, v4, -v3
.LBB100_17:
	s_wait_alu 0xfffe
	s_or_b32 exec_lo, exec_lo, s1
	scratch_store_b64 v8, v[3:4], off
	scratch_load_b64 v[2:3], off, off offset:8
	v_xor_b32_e32 v6, 0x80000000, v4
	v_add_nc_u32_e32 v1, 0x130, v7
	s_wait_loadcnt 0x0
	ds_store_2addr_b64 v7, v[5:6], v[2:3] offset1:38
	s_wait_storecnt_dscnt 0x0
	s_barrier_signal -1
	s_barrier_wait -1
	global_inv scope:SCOPE_SE
	s_and_saveexec_b32 s1, s0
	s_cbranch_execz .LBB100_19
; %bb.18:
	scratch_load_b64 v[2:3], v8, off
	ds_load_b64 v[4:5], v1
	v_mov_b32_e32 v6, 0
	ds_load_b64 v[9:10], v6 offset:8
	s_wait_loadcnt_dscnt 0x1
	v_mul_f32_e32 v6, v4, v3
	v_mul_f32_e32 v3, v5, v3
	s_delay_alu instid0(VALU_DEP_2) | instskip(NEXT) | instid1(VALU_DEP_2)
	v_fmac_f32_e32 v6, v5, v2
	v_fma_f32 v2, v4, v2, -v3
	s_delay_alu instid0(VALU_DEP_2) | instskip(NEXT) | instid1(VALU_DEP_2)
	v_add_f32_e32 v4, 0, v6
	v_add_f32_e32 v2, 0, v2
	s_wait_dscnt 0x0
	s_delay_alu instid0(VALU_DEP_2) | instskip(NEXT) | instid1(VALU_DEP_2)
	v_mul_f32_e32 v5, v4, v10
	v_mul_f32_e32 v3, v2, v10
	s_delay_alu instid0(VALU_DEP_2) | instskip(NEXT) | instid1(VALU_DEP_2)
	v_fma_f32 v2, v2, v9, -v5
	v_fmac_f32_e32 v3, v4, v9
	scratch_store_b64 off, v[2:3], off offset:8
.LBB100_19:
	s_wait_alu 0xfffe
	s_or_b32 exec_lo, exec_lo, s1
	s_wait_loadcnt 0x0
	s_wait_storecnt 0x0
	s_barrier_signal -1
	s_barrier_wait -1
	global_inv scope:SCOPE_SE
	scratch_load_b64 v[2:3], off, off offset:16
	s_mov_b32 s1, exec_lo
	s_wait_loadcnt 0x0
	ds_store_b64 v1, v[2:3]
	s_wait_dscnt 0x0
	s_barrier_signal -1
	s_barrier_wait -1
	global_inv scope:SCOPE_SE
	v_cmpx_gt_u32_e32 2, v0
	s_cbranch_execz .LBB100_23
; %bb.20:
	scratch_load_b64 v[2:3], v8, off
	ds_load_b64 v[4:5], v1
	s_wait_loadcnt_dscnt 0x0
	v_mul_f32_e32 v6, v5, v3
	v_mul_f32_e32 v9, v4, v3
	s_delay_alu instid0(VALU_DEP_2) | instskip(NEXT) | instid1(VALU_DEP_2)
	v_fma_f32 v3, v4, v2, -v6
	v_fmac_f32_e32 v9, v5, v2
	s_delay_alu instid0(VALU_DEP_1)
	v_dual_add_f32 v3, 0, v3 :: v_dual_add_f32 v2, 0, v9
	s_and_saveexec_b32 s4, s0
	s_cbranch_execz .LBB100_22
; %bb.21:
	scratch_load_b64 v[4:5], off, off offset:8
	v_mov_b32_e32 v6, 0
	ds_load_b64 v[9:10], v6 offset:312
	s_wait_loadcnt_dscnt 0x0
	v_mul_f32_e32 v6, v9, v5
	v_mul_f32_e32 v5, v10, v5
	s_delay_alu instid0(VALU_DEP_2) | instskip(NEXT) | instid1(VALU_DEP_2)
	v_fmac_f32_e32 v6, v10, v4
	v_fma_f32 v4, v9, v4, -v5
	s_delay_alu instid0(VALU_DEP_1)
	v_dual_add_f32 v2, v2, v6 :: v_dual_add_f32 v3, v3, v4
.LBB100_22:
	s_wait_alu 0xfffe
	s_or_b32 exec_lo, exec_lo, s4
	v_mov_b32_e32 v4, 0
	ds_load_b64 v[4:5], v4 offset:16
	s_wait_dscnt 0x0
	v_mul_f32_e32 v9, v2, v5
	v_mul_f32_e32 v6, v3, v5
	s_delay_alu instid0(VALU_DEP_2) | instskip(NEXT) | instid1(VALU_DEP_2)
	v_fma_f32 v5, v3, v4, -v9
	v_fmac_f32_e32 v6, v2, v4
	scratch_store_b64 off, v[5:6], off offset:16
.LBB100_23:
	s_wait_alu 0xfffe
	s_or_b32 exec_lo, exec_lo, s1
	s_wait_loadcnt 0x0
	s_wait_storecnt 0x0
	s_barrier_signal -1
	s_barrier_wait -1
	global_inv scope:SCOPE_SE
	scratch_load_b64 v[3:4], off, off offset:24
	v_add_nc_u32_e32 v2, -1, v0
	s_mov_b32 s0, exec_lo
	s_wait_loadcnt 0x0
	ds_store_b64 v1, v[3:4]
	s_wait_dscnt 0x0
	s_barrier_signal -1
	s_barrier_wait -1
	global_inv scope:SCOPE_SE
	v_cmpx_gt_u32_e32 3, v0
	s_cbranch_execz .LBB100_27
; %bb.24:
	v_dual_mov_b32 v3, 0 :: v_dual_add_nc_u32 v4, -1, v0
	v_dual_mov_b32 v6, v7 :: v_dual_add_nc_u32 v5, 0x130, v7
	v_mov_b32_e32 v9, 0
	s_mov_b32 s1, 0
.LBB100_25:                             ; =>This Inner Loop Header: Depth=1
	scratch_load_b64 v[10:11], v6, off
	ds_load_b64 v[12:13], v5
	v_add_nc_u32_e32 v4, 1, v4
	v_add_nc_u32_e32 v5, 8, v5
	s_delay_alu instid0(VALU_DEP_2)
	v_cmp_lt_u32_e32 vcc_lo, 1, v4
	s_wait_alu 0xfffe
	s_or_b32 s1, vcc_lo, s1
	s_wait_loadcnt_dscnt 0x0
	v_mul_f32_e32 v14, v13, v11
	v_mul_f32_e32 v11, v12, v11
	s_delay_alu instid0(VALU_DEP_2) | instskip(NEXT) | instid1(VALU_DEP_2)
	v_fma_f32 v12, v12, v10, -v14
	v_fmac_f32_e32 v11, v13, v10
	s_delay_alu instid0(VALU_DEP_2) | instskip(NEXT) | instid1(VALU_DEP_2)
	v_dual_add_f32 v9, v9, v12 :: v_dual_add_nc_u32 v6, 8, v6
	v_add_f32_e32 v3, v3, v11
	s_wait_alu 0xfffe
	s_and_not1_b32 exec_lo, exec_lo, s1
	s_cbranch_execnz .LBB100_25
; %bb.26:
	s_or_b32 exec_lo, exec_lo, s1
	v_mov_b32_e32 v4, 0
	ds_load_b64 v[4:5], v4 offset:24
	s_wait_dscnt 0x0
	v_mul_f32_e32 v10, v3, v5
	v_mul_f32_e32 v6, v9, v5
	s_delay_alu instid0(VALU_DEP_2) | instskip(NEXT) | instid1(VALU_DEP_2)
	v_fma_f32 v5, v9, v4, -v10
	v_fmac_f32_e32 v6, v3, v4
	scratch_store_b64 off, v[5:6], off offset:24
.LBB100_27:
	s_wait_alu 0xfffe
	s_or_b32 exec_lo, exec_lo, s0
	s_wait_loadcnt 0x0
	s_wait_storecnt 0x0
	s_barrier_signal -1
	s_barrier_wait -1
	global_inv scope:SCOPE_SE
	scratch_load_b64 v[3:4], off, off offset:32
	s_mov_b32 s0, exec_lo
	s_wait_loadcnt 0x0
	ds_store_b64 v1, v[3:4]
	s_wait_dscnt 0x0
	s_barrier_signal -1
	s_barrier_wait -1
	global_inv scope:SCOPE_SE
	v_cmpx_gt_u32_e32 4, v0
	s_cbranch_execz .LBB100_31
; %bb.28:
	v_dual_mov_b32 v3, 0 :: v_dual_add_nc_u32 v4, -1, v0
	v_dual_mov_b32 v6, v7 :: v_dual_add_nc_u32 v5, 0x130, v7
	v_mov_b32_e32 v9, 0
	s_mov_b32 s1, 0
.LBB100_29:                             ; =>This Inner Loop Header: Depth=1
	scratch_load_b64 v[10:11], v6, off
	ds_load_b64 v[12:13], v5
	v_add_nc_u32_e32 v4, 1, v4
	v_add_nc_u32_e32 v5, 8, v5
	s_delay_alu instid0(VALU_DEP_2)
	v_cmp_lt_u32_e32 vcc_lo, 2, v4
	s_wait_alu 0xfffe
	s_or_b32 s1, vcc_lo, s1
	s_wait_loadcnt_dscnt 0x0
	v_mul_f32_e32 v14, v13, v11
	v_mul_f32_e32 v11, v12, v11
	s_delay_alu instid0(VALU_DEP_2) | instskip(NEXT) | instid1(VALU_DEP_2)
	v_fma_f32 v12, v12, v10, -v14
	v_fmac_f32_e32 v11, v13, v10
	s_delay_alu instid0(VALU_DEP_2) | instskip(NEXT) | instid1(VALU_DEP_2)
	v_dual_add_f32 v9, v9, v12 :: v_dual_add_nc_u32 v6, 8, v6
	v_add_f32_e32 v3, v3, v11
	s_wait_alu 0xfffe
	s_and_not1_b32 exec_lo, exec_lo, s1
	s_cbranch_execnz .LBB100_29
; %bb.30:
	s_or_b32 exec_lo, exec_lo, s1
	v_mov_b32_e32 v4, 0
	ds_load_b64 v[4:5], v4 offset:32
	s_wait_dscnt 0x0
	v_mul_f32_e32 v10, v3, v5
	v_mul_f32_e32 v6, v9, v5
	s_delay_alu instid0(VALU_DEP_2) | instskip(NEXT) | instid1(VALU_DEP_2)
	v_fma_f32 v5, v9, v4, -v10
	v_fmac_f32_e32 v6, v3, v4
	scratch_store_b64 off, v[5:6], off offset:32
.LBB100_31:
	s_wait_alu 0xfffe
	s_or_b32 exec_lo, exec_lo, s0
	s_wait_loadcnt 0x0
	s_wait_storecnt 0x0
	s_barrier_signal -1
	s_barrier_wait -1
	global_inv scope:SCOPE_SE
	scratch_load_b64 v[3:4], off, off offset:40
	;; [unrolled: 55-line block ×19, first 2 shown]
	s_mov_b32 s0, exec_lo
	s_wait_loadcnt 0x0
	ds_store_b64 v1, v[3:4]
	s_wait_dscnt 0x0
	s_barrier_signal -1
	s_barrier_wait -1
	global_inv scope:SCOPE_SE
	v_cmpx_gt_u32_e32 22, v0
	s_cbranch_execz .LBB100_103
; %bb.100:
	v_dual_mov_b32 v3, 0 :: v_dual_add_nc_u32 v4, -1, v0
	v_dual_mov_b32 v6, v7 :: v_dual_add_nc_u32 v5, 0x130, v7
	v_mov_b32_e32 v9, 0
	s_mov_b32 s1, 0
.LBB100_101:                            ; =>This Inner Loop Header: Depth=1
	scratch_load_b64 v[10:11], v6, off
	ds_load_b64 v[12:13], v5
	v_add_nc_u32_e32 v4, 1, v4
	v_add_nc_u32_e32 v5, 8, v5
	s_delay_alu instid0(VALU_DEP_2)
	v_cmp_lt_u32_e32 vcc_lo, 20, v4
	s_wait_alu 0xfffe
	s_or_b32 s1, vcc_lo, s1
	s_wait_loadcnt_dscnt 0x0
	v_mul_f32_e32 v14, v13, v11
	v_mul_f32_e32 v11, v12, v11
	s_delay_alu instid0(VALU_DEP_2) | instskip(NEXT) | instid1(VALU_DEP_2)
	v_fma_f32 v12, v12, v10, -v14
	v_fmac_f32_e32 v11, v13, v10
	s_delay_alu instid0(VALU_DEP_2) | instskip(NEXT) | instid1(VALU_DEP_2)
	v_dual_add_f32 v9, v9, v12 :: v_dual_add_nc_u32 v6, 8, v6
	v_add_f32_e32 v3, v3, v11
	s_wait_alu 0xfffe
	s_and_not1_b32 exec_lo, exec_lo, s1
	s_cbranch_execnz .LBB100_101
; %bb.102:
	s_or_b32 exec_lo, exec_lo, s1
	v_mov_b32_e32 v4, 0
	ds_load_b64 v[4:5], v4 offset:176
	s_wait_dscnt 0x0
	v_mul_f32_e32 v10, v3, v5
	v_mul_f32_e32 v6, v9, v5
	s_delay_alu instid0(VALU_DEP_2) | instskip(NEXT) | instid1(VALU_DEP_2)
	v_fma_f32 v5, v9, v4, -v10
	v_fmac_f32_e32 v6, v3, v4
	scratch_store_b64 off, v[5:6], off offset:176
.LBB100_103:
	s_wait_alu 0xfffe
	s_or_b32 exec_lo, exec_lo, s0
	s_wait_loadcnt 0x0
	s_wait_storecnt 0x0
	s_barrier_signal -1
	s_barrier_wait -1
	global_inv scope:SCOPE_SE
	scratch_load_b64 v[3:4], off, off offset:184
	s_mov_b32 s0, exec_lo
	s_wait_loadcnt 0x0
	ds_store_b64 v1, v[3:4]
	s_wait_dscnt 0x0
	s_barrier_signal -1
	s_barrier_wait -1
	global_inv scope:SCOPE_SE
	v_cmpx_gt_u32_e32 23, v0
	s_cbranch_execz .LBB100_107
; %bb.104:
	v_dual_mov_b32 v3, 0 :: v_dual_add_nc_u32 v4, -1, v0
	v_dual_mov_b32 v6, v7 :: v_dual_add_nc_u32 v5, 0x130, v7
	v_mov_b32_e32 v9, 0
	s_mov_b32 s1, 0
.LBB100_105:                            ; =>This Inner Loop Header: Depth=1
	scratch_load_b64 v[10:11], v6, off
	ds_load_b64 v[12:13], v5
	v_add_nc_u32_e32 v4, 1, v4
	v_add_nc_u32_e32 v5, 8, v5
	s_delay_alu instid0(VALU_DEP_2)
	v_cmp_lt_u32_e32 vcc_lo, 21, v4
	s_wait_alu 0xfffe
	s_or_b32 s1, vcc_lo, s1
	s_wait_loadcnt_dscnt 0x0
	v_mul_f32_e32 v14, v13, v11
	v_mul_f32_e32 v11, v12, v11
	s_delay_alu instid0(VALU_DEP_2) | instskip(NEXT) | instid1(VALU_DEP_2)
	v_fma_f32 v12, v12, v10, -v14
	v_fmac_f32_e32 v11, v13, v10
	s_delay_alu instid0(VALU_DEP_2) | instskip(NEXT) | instid1(VALU_DEP_2)
	v_dual_add_f32 v9, v9, v12 :: v_dual_add_nc_u32 v6, 8, v6
	v_add_f32_e32 v3, v3, v11
	s_wait_alu 0xfffe
	s_and_not1_b32 exec_lo, exec_lo, s1
	s_cbranch_execnz .LBB100_105
; %bb.106:
	s_or_b32 exec_lo, exec_lo, s1
	v_mov_b32_e32 v4, 0
	ds_load_b64 v[4:5], v4 offset:184
	s_wait_dscnt 0x0
	v_mul_f32_e32 v10, v3, v5
	v_mul_f32_e32 v6, v9, v5
	s_delay_alu instid0(VALU_DEP_2) | instskip(NEXT) | instid1(VALU_DEP_2)
	v_fma_f32 v5, v9, v4, -v10
	v_fmac_f32_e32 v6, v3, v4
	scratch_store_b64 off, v[5:6], off offset:184
.LBB100_107:
	s_wait_alu 0xfffe
	s_or_b32 exec_lo, exec_lo, s0
	s_wait_loadcnt 0x0
	s_wait_storecnt 0x0
	s_barrier_signal -1
	s_barrier_wait -1
	global_inv scope:SCOPE_SE
	scratch_load_b64 v[3:4], off, off offset:192
	;; [unrolled: 55-line block ×13, first 2 shown]
	s_mov_b32 s0, exec_lo
	s_wait_loadcnt 0x0
	ds_store_b64 v1, v[3:4]
	s_wait_dscnt 0x0
	s_barrier_signal -1
	s_barrier_wait -1
	global_inv scope:SCOPE_SE
	v_cmpx_gt_u32_e32 35, v0
	s_cbranch_execz .LBB100_155
; %bb.152:
	v_dual_mov_b32 v3, 0 :: v_dual_add_nc_u32 v4, -1, v0
	v_dual_mov_b32 v6, v7 :: v_dual_add_nc_u32 v5, 0x130, v7
	v_mov_b32_e32 v7, 0
	s_mov_b32 s1, 0
.LBB100_153:                            ; =>This Inner Loop Header: Depth=1
	scratch_load_b64 v[9:10], v6, off
	ds_load_b64 v[11:12], v5
	v_add_nc_u32_e32 v6, 8, v6
	v_add_nc_u32_e32 v4, 1, v4
	;; [unrolled: 1-line block ×3, first 2 shown]
	s_delay_alu instid0(VALU_DEP_2)
	v_cmp_lt_u32_e32 vcc_lo, 33, v4
	s_wait_alu 0xfffe
	s_or_b32 s1, vcc_lo, s1
	s_wait_loadcnt_dscnt 0x0
	v_mul_f32_e32 v13, v12, v10
	v_mul_f32_e32 v10, v11, v10
	s_delay_alu instid0(VALU_DEP_2) | instskip(NEXT) | instid1(VALU_DEP_1)
	v_fma_f32 v11, v11, v9, -v13
	v_dual_fmac_f32 v10, v12, v9 :: v_dual_add_f32 v7, v7, v11
	s_delay_alu instid0(VALU_DEP_1)
	v_add_f32_e32 v3, v3, v10
	s_wait_alu 0xfffe
	s_and_not1_b32 exec_lo, exec_lo, s1
	s_cbranch_execnz .LBB100_153
; %bb.154:
	s_or_b32 exec_lo, exec_lo, s1
	v_mov_b32_e32 v4, 0
	ds_load_b64 v[4:5], v4 offset:280
	s_wait_dscnt 0x0
	v_mul_f32_e32 v9, v3, v5
	v_mul_f32_e32 v6, v7, v5
	s_delay_alu instid0(VALU_DEP_2) | instskip(NEXT) | instid1(VALU_DEP_2)
	v_fma_f32 v5, v7, v4, -v9
	v_fmac_f32_e32 v6, v3, v4
	scratch_store_b64 off, v[5:6], off offset:280
.LBB100_155:
	s_wait_alu 0xfffe
	s_or_b32 exec_lo, exec_lo, s0
	s_wait_loadcnt 0x0
	s_wait_storecnt 0x0
	s_barrier_signal -1
	s_barrier_wait -1
	global_inv scope:SCOPE_SE
	scratch_load_b64 v[3:4], off, off offset:288
	s_mov_b32 s0, exec_lo
	s_wait_loadcnt 0x0
	ds_store_b64 v1, v[3:4]
	s_wait_dscnt 0x0
	s_barrier_signal -1
	s_barrier_wait -1
	global_inv scope:SCOPE_SE
	v_cmpx_ne_u32_e32 36, v0
	s_cbranch_execz .LBB100_159
; %bb.156:
	v_dual_mov_b32 v3, 0 :: v_dual_mov_b32 v4, 0
	s_mov_b32 s1, 0
.LBB100_157:                            ; =>This Inner Loop Header: Depth=1
	scratch_load_b64 v[5:6], v8, off
	ds_load_b64 v[9:10], v1
	v_add_nc_u32_e32 v2, 1, v2
	v_add_nc_u32_e32 v1, 8, v1
	;; [unrolled: 1-line block ×3, first 2 shown]
	s_delay_alu instid0(VALU_DEP_3)
	v_cmp_lt_u32_e32 vcc_lo, 34, v2
	s_wait_alu 0xfffe
	s_or_b32 s1, vcc_lo, s1
	s_wait_loadcnt_dscnt 0x0
	v_mul_f32_e32 v7, v10, v6
	v_mul_f32_e32 v6, v9, v6
	s_delay_alu instid0(VALU_DEP_2) | instskip(NEXT) | instid1(VALU_DEP_2)
	v_fma_f32 v7, v9, v5, -v7
	v_fmac_f32_e32 v6, v10, v5
	s_delay_alu instid0(VALU_DEP_1)
	v_dual_add_f32 v4, v4, v7 :: v_dual_add_f32 v3, v3, v6
	s_wait_alu 0xfffe
	s_and_not1_b32 exec_lo, exec_lo, s1
	s_cbranch_execnz .LBB100_157
; %bb.158:
	s_or_b32 exec_lo, exec_lo, s1
	v_mov_b32_e32 v1, 0
	ds_load_b64 v[1:2], v1 offset:288
	s_wait_dscnt 0x0
	v_mul_f32_e32 v6, v3, v2
	v_mul_f32_e32 v5, v4, v2
	s_delay_alu instid0(VALU_DEP_2) | instskip(NEXT) | instid1(VALU_DEP_2)
	v_fma_f32 v4, v4, v1, -v6
	v_fmac_f32_e32 v5, v3, v1
	scratch_store_b64 off, v[4:5], off offset:288
.LBB100_159:
	s_wait_alu 0xfffe
	s_or_b32 exec_lo, exec_lo, s0
	s_mov_b32 s1, -1
	s_wait_loadcnt 0x0
	s_wait_storecnt 0x0
	s_barrier_signal -1
	s_barrier_wait -1
	global_inv scope:SCOPE_SE
.LBB100_160:
	s_wait_alu 0xfffe
	s_and_b32 vcc_lo, exec_lo, s1
	s_wait_alu 0xfffe
	s_cbranch_vccz .LBB100_162
; %bb.161:
	v_mov_b32_e32 v1, 0
	s_lshl_b64 s[0:1], s[8:9], 2
	s_wait_alu 0xfffe
	s_add_nc_u64 s[0:1], s[6:7], s[0:1]
	global_load_b32 v1, v1, s[0:1]
	s_wait_loadcnt 0x0
	v_cmp_ne_u32_e32 vcc_lo, 0, v1
	s_cbranch_vccz .LBB100_163
.LBB100_162:
	s_nop 0
	s_sendmsg sendmsg(MSG_DEALLOC_VGPRS)
	s_endpgm
.LBB100_163:
	v_lshl_add_u32 v3, v0, 3, 0x130
	s_mov_b32 s0, exec_lo
	v_cmpx_eq_u32_e32 36, v0
	s_cbranch_execz .LBB100_165
; %bb.164:
	scratch_load_b64 v[1:2], off, off offset:280
	v_mov_b32_e32 v4, 0
	s_delay_alu instid0(VALU_DEP_1)
	v_mov_b32_e32 v5, v4
	scratch_store_b64 off, v[4:5], off offset:280
	s_wait_loadcnt 0x0
	ds_store_b64 v3, v[1:2]
.LBB100_165:
	s_wait_alu 0xfffe
	s_or_b32 exec_lo, exec_lo, s0
	s_wait_storecnt_dscnt 0x0
	s_barrier_signal -1
	s_barrier_wait -1
	global_inv scope:SCOPE_SE
	s_clause 0x1
	scratch_load_b64 v[4:5], off, off offset:288
	scratch_load_b64 v[6:7], off, off offset:280
	v_mov_b32_e32 v1, 0
	s_mov_b32 s0, exec_lo
	ds_load_b64 v[8:9], v1 offset:592
	s_wait_loadcnt_dscnt 0x100
	v_mul_f32_e32 v2, v9, v5
	s_delay_alu instid0(VALU_DEP_1) | instskip(NEXT) | instid1(VALU_DEP_1)
	v_fma_f32 v2, v8, v4, -v2
	v_dual_mul_f32 v5, v8, v5 :: v_dual_add_f32 v2, 0, v2
	s_wait_loadcnt 0x0
	s_delay_alu instid0(VALU_DEP_1) | instskip(NEXT) | instid1(VALU_DEP_1)
	v_dual_fmac_f32 v5, v9, v4 :: v_dual_sub_f32 v4, v6, v2
	v_add_f32_e32 v5, 0, v5
	s_delay_alu instid0(VALU_DEP_1)
	v_sub_f32_e32 v5, v7, v5
	scratch_store_b64 off, v[4:5], off offset:280
	v_cmpx_lt_u32_e32 34, v0
	s_cbranch_execz .LBB100_167
; %bb.166:
	scratch_load_b64 v[4:5], off, off offset:272
	v_mov_b32_e32 v2, v1
	scratch_store_b64 off, v[1:2], off offset:272
	s_wait_loadcnt 0x0
	ds_store_b64 v3, v[4:5]
.LBB100_167:
	s_wait_alu 0xfffe
	s_or_b32 exec_lo, exec_lo, s0
	s_wait_storecnt_dscnt 0x0
	s_barrier_signal -1
	s_barrier_wait -1
	global_inv scope:SCOPE_SE
	s_clause 0x1
	scratch_load_b128 v[4:7], off, off offset:280
	scratch_load_b64 v[12:13], off, off offset:272
	ds_load_2addr_b64 v[8:11], v1 offset0:73 offset1:74
	s_mov_b32 s0, exec_lo
	s_wait_loadcnt_dscnt 0x100
	v_mul_f32_e32 v2, v8, v5
	s_delay_alu instid0(VALU_DEP_1) | instskip(SKIP_2) | instid1(VALU_DEP_1)
	v_fmac_f32_e32 v2, v9, v4
	v_mul_f32_e32 v1, v9, v5
	v_mul_f32_e32 v5, v10, v7
	v_fmac_f32_e32 v5, v11, v6
	s_delay_alu instid0(VALU_DEP_4) | instskip(NEXT) | instid1(VALU_DEP_4)
	v_dual_add_f32 v2, 0, v2 :: v_dual_mul_f32 v7, v11, v7
	v_fma_f32 v1, v8, v4, -v1
	s_delay_alu instid0(VALU_DEP_2) | instskip(NEXT) | instid1(VALU_DEP_3)
	v_add_f32_e32 v2, v2, v5
	v_fma_f32 v4, v10, v6, -v7
	s_wait_loadcnt 0x0
	s_delay_alu instid0(VALU_DEP_2) | instskip(NEXT) | instid1(VALU_DEP_1)
	v_dual_add_f32 v1, 0, v1 :: v_dual_sub_f32 v2, v13, v2
	v_add_f32_e32 v1, v1, v4
	s_delay_alu instid0(VALU_DEP_1)
	v_sub_f32_e32 v1, v12, v1
	scratch_store_b64 off, v[1:2], off offset:272
	v_cmpx_lt_u32_e32 33, v0
	s_cbranch_execz .LBB100_169
; %bb.168:
	scratch_load_b64 v[1:2], off, off offset:264
	v_mov_b32_e32 v4, 0
	s_delay_alu instid0(VALU_DEP_1)
	v_mov_b32_e32 v5, v4
	scratch_store_b64 off, v[4:5], off offset:264
	s_wait_loadcnt 0x0
	ds_store_b64 v3, v[1:2]
.LBB100_169:
	s_wait_alu 0xfffe
	s_or_b32 exec_lo, exec_lo, s0
	s_wait_storecnt_dscnt 0x0
	s_barrier_signal -1
	s_barrier_wait -1
	global_inv scope:SCOPE_SE
	s_clause 0x2
	scratch_load_b128 v[4:7], off, off offset:272
	scratch_load_b64 v[12:13], off, off offset:288
	scratch_load_b64 v[14:15], off, off offset:264
	v_mov_b32_e32 v1, 0
	ds_load_b128 v[8:11], v1 offset:576
	ds_load_b64 v[16:17], v1 offset:592
	s_mov_b32 s0, exec_lo
	s_wait_loadcnt_dscnt 0x201
	v_mul_f32_e32 v2, v9, v5
	v_dual_mul_f32 v5, v8, v5 :: v_dual_mul_f32 v18, v10, v7
	v_mul_f32_e32 v7, v11, v7
	s_wait_loadcnt_dscnt 0x100
	v_mul_f32_e32 v19, v16, v13
	v_fma_f32 v2, v8, v4, -v2
	v_fmac_f32_e32 v5, v9, v4
	v_mul_f32_e32 v4, v17, v13
	v_fmac_f32_e32 v18, v11, v6
	v_fma_f32 v6, v10, v6, -v7
	s_delay_alu instid0(VALU_DEP_4) | instskip(NEXT) | instid1(VALU_DEP_4)
	v_dual_add_f32 v2, 0, v2 :: v_dual_add_f32 v5, 0, v5
	v_fma_f32 v4, v16, v12, -v4
	s_delay_alu instid0(VALU_DEP_2) | instskip(NEXT) | instid1(VALU_DEP_1)
	v_add_f32_e32 v2, v2, v6
	v_dual_add_f32 v5, v5, v18 :: v_dual_add_f32 v2, v2, v4
	s_wait_loadcnt 0x0
	s_delay_alu instid0(VALU_DEP_1) | instskip(NEXT) | instid1(VALU_DEP_1)
	v_dual_fmac_f32 v19, v17, v12 :: v_dual_sub_f32 v4, v14, v2
	v_add_f32_e32 v5, v5, v19
	s_delay_alu instid0(VALU_DEP_1)
	v_sub_f32_e32 v5, v15, v5
	scratch_store_b64 off, v[4:5], off offset:264
	v_cmpx_lt_u32_e32 32, v0
	s_cbranch_execz .LBB100_171
; %bb.170:
	scratch_load_b64 v[4:5], off, off offset:256
	v_mov_b32_e32 v2, v1
	scratch_store_b64 off, v[1:2], off offset:256
	s_wait_loadcnt 0x0
	ds_store_b64 v3, v[4:5]
.LBB100_171:
	s_wait_alu 0xfffe
	s_or_b32 exec_lo, exec_lo, s0
	s_wait_storecnt_dscnt 0x0
	s_barrier_signal -1
	s_barrier_wait -1
	global_inv scope:SCOPE_SE
	s_clause 0x2
	scratch_load_b128 v[4:7], off, off offset:264
	scratch_load_b128 v[8:11], off, off offset:280
	scratch_load_b64 v[20:21], off, off offset:256
	ds_load_2addr_b64 v[12:15], v1 offset0:71 offset1:72
	ds_load_2addr_b64 v[16:19], v1 offset0:73 offset1:74
	s_mov_b32 s0, exec_lo
	s_wait_loadcnt_dscnt 0x201
	v_mul_f32_e32 v2, v13, v5
	s_wait_loadcnt_dscnt 0x100
	v_dual_mul_f32 v22, v16, v9 :: v_dual_mul_f32 v23, v18, v11
	s_delay_alu instid0(VALU_DEP_2) | instskip(SKIP_2) | instid1(VALU_DEP_4)
	v_fma_f32 v2, v12, v4, -v2
	v_mul_f32_e32 v1, v12, v5
	v_mul_f32_e32 v5, v14, v7
	v_dual_mul_f32 v7, v15, v7 :: v_dual_fmac_f32 v22, v17, v8
	s_delay_alu instid0(VALU_DEP_3) | instskip(NEXT) | instid1(VALU_DEP_3)
	v_dual_add_f32 v2, 0, v2 :: v_dual_fmac_f32 v1, v13, v4
	v_dual_mul_f32 v4, v17, v9 :: v_dual_fmac_f32 v5, v15, v6
	s_delay_alu instid0(VALU_DEP_3) | instskip(SKIP_1) | instid1(VALU_DEP_3)
	v_fma_f32 v6, v14, v6, -v7
	v_fmac_f32_e32 v23, v19, v10
	v_fma_f32 v4, v16, v8, -v4
	s_delay_alu instid0(VALU_DEP_3) | instskip(NEXT) | instid1(VALU_DEP_1)
	v_dual_add_f32 v2, v2, v6 :: v_dual_add_f32 v1, 0, v1
	v_dual_add_f32 v2, v2, v4 :: v_dual_mul_f32 v7, v19, v11
	s_delay_alu instid0(VALU_DEP_2) | instskip(NEXT) | instid1(VALU_DEP_2)
	v_add_f32_e32 v1, v1, v5
	v_fma_f32 v5, v18, v10, -v7
	s_delay_alu instid0(VALU_DEP_1) | instskip(SKIP_1) | instid1(VALU_DEP_1)
	v_dual_add_f32 v1, v1, v22 :: v_dual_add_f32 v2, v2, v5
	s_wait_loadcnt 0x0
	v_dual_add_f32 v4, v1, v23 :: v_dual_sub_f32 v1, v20, v2
	s_delay_alu instid0(VALU_DEP_1)
	v_sub_f32_e32 v2, v21, v4
	scratch_store_b64 off, v[1:2], off offset:256
	v_cmpx_lt_u32_e32 31, v0
	s_cbranch_execz .LBB100_173
; %bb.172:
	scratch_load_b64 v[1:2], off, off offset:248
	v_mov_b32_e32 v4, 0
	s_delay_alu instid0(VALU_DEP_1)
	v_mov_b32_e32 v5, v4
	scratch_store_b64 off, v[4:5], off offset:248
	s_wait_loadcnt 0x0
	ds_store_b64 v3, v[1:2]
.LBB100_173:
	s_wait_alu 0xfffe
	s_or_b32 exec_lo, exec_lo, s0
	s_wait_storecnt_dscnt 0x0
	s_barrier_signal -1
	s_barrier_wait -1
	global_inv scope:SCOPE_SE
	s_clause 0x3
	scratch_load_b128 v[4:7], off, off offset:256
	scratch_load_b128 v[8:11], off, off offset:272
	scratch_load_b64 v[20:21], off, off offset:288
	scratch_load_b64 v[22:23], off, off offset:248
	v_mov_b32_e32 v1, 0
	ds_load_b128 v[12:15], v1 offset:560
	ds_load_b128 v[16:19], v1 offset:576
	ds_load_b64 v[98:99], v1 offset:592
	s_mov_b32 s0, exec_lo
	s_wait_loadcnt_dscnt 0x302
	v_mul_f32_e32 v2, v12, v5
	v_dual_mul_f32 v100, v14, v7 :: v_dual_mul_f32 v5, v13, v5
	s_wait_loadcnt_dscnt 0x100
	v_mul_f32_e32 v103, v98, v21
	s_delay_alu instid0(VALU_DEP_3)
	v_dual_mul_f32 v7, v15, v7 :: v_dual_fmac_f32 v2, v13, v4
	v_dual_mul_f32 v101, v16, v9 :: v_dual_mul_f32 v102, v18, v11
	v_fma_f32 v5, v12, v4, -v5
	v_mul_f32_e32 v4, v17, v9
	v_fmac_f32_e32 v100, v15, v6
	v_fma_f32 v6, v14, v6, -v7
	v_dual_add_f32 v2, 0, v2 :: v_dual_mul_f32 v7, v19, v11
	v_add_f32_e32 v5, 0, v5
	v_dual_fmac_f32 v101, v17, v8 :: v_dual_fmac_f32 v102, v19, v10
	s_delay_alu instid0(VALU_DEP_3) | instskip(SKIP_1) | instid1(VALU_DEP_4)
	v_add_f32_e32 v2, v2, v100
	v_fma_f32 v4, v16, v8, -v4
	v_dual_add_f32 v5, v5, v6 :: v_dual_mul_f32 v6, v99, v21
	s_delay_alu instid0(VALU_DEP_3) | instskip(SKIP_1) | instid1(VALU_DEP_2)
	v_dual_fmac_f32 v103, v99, v20 :: v_dual_add_f32 v2, v2, v101
	v_fma_f32 v7, v18, v10, -v7
	v_add_f32_e32 v2, v2, v102
	s_delay_alu instid0(VALU_DEP_1) | instskip(SKIP_2) | instid1(VALU_DEP_2)
	v_add_f32_e32 v2, v2, v103
	v_add_f32_e32 v4, v5, v4
	v_fma_f32 v5, v98, v20, -v6
	v_add_f32_e32 v4, v4, v7
	s_wait_loadcnt 0x0
	s_delay_alu instid0(VALU_DEP_1) | instskip(NEXT) | instid1(VALU_DEP_1)
	v_dual_add_f32 v4, v4, v5 :: v_dual_sub_f32 v5, v23, v2
	v_sub_f32_e32 v4, v22, v4
	scratch_store_b64 off, v[4:5], off offset:248
	v_cmpx_lt_u32_e32 30, v0
	s_cbranch_execz .LBB100_175
; %bb.174:
	scratch_load_b64 v[4:5], off, off offset:240
	v_mov_b32_e32 v2, v1
	scratch_store_b64 off, v[1:2], off offset:240
	s_wait_loadcnt 0x0
	ds_store_b64 v3, v[4:5]
.LBB100_175:
	s_wait_alu 0xfffe
	s_or_b32 exec_lo, exec_lo, s0
	s_wait_storecnt_dscnt 0x0
	s_barrier_signal -1
	s_barrier_wait -1
	global_inv scope:SCOPE_SE
	s_clause 0x3
	scratch_load_b128 v[4:7], off, off offset:248
	scratch_load_b128 v[8:11], off, off offset:264
	;; [unrolled: 1-line block ×3, first 2 shown]
	scratch_load_b64 v[102:103], off, off offset:240
	ds_load_2addr_b64 v[16:19], v1 offset0:69 offset1:70
	ds_load_2addr_b64 v[20:23], v1 offset0:71 offset1:72
	;; [unrolled: 1-line block ×3, first 2 shown]
	s_mov_b32 s0, exec_lo
	s_wait_loadcnt_dscnt 0x302
	v_dual_mul_f32 v1, v16, v5 :: v_dual_mul_f32 v2, v18, v7
	v_mul_f32_e32 v5, v17, v5
	s_wait_loadcnt_dscnt 0x201
	v_dual_mul_f32 v7, v19, v7 :: v_dual_mul_f32 v104, v20, v9
	s_delay_alu instid0(VALU_DEP_3) | instskip(NEXT) | instid1(VALU_DEP_3)
	v_dual_mul_f32 v105, v22, v11 :: v_dual_fmac_f32 v2, v19, v6
	v_fma_f32 v5, v16, v4, -v5
	v_fmac_f32_e32 v1, v17, v4
	v_mul_f32_e32 v4, v21, v9
	v_fma_f32 v6, v18, v6, -v7
	s_wait_loadcnt_dscnt 0x100
	v_dual_mul_f32 v106, v98, v13 :: v_dual_mul_f32 v107, v100, v15
	v_dual_add_f32 v5, 0, v5 :: v_dual_fmac_f32 v104, v21, v8
	v_fma_f32 v4, v20, v8, -v4
	s_delay_alu instid0(VALU_DEP_3) | instskip(NEXT) | instid1(VALU_DEP_3)
	v_dual_fmac_f32 v106, v99, v12 :: v_dual_fmac_f32 v107, v101, v14
	v_add_f32_e32 v5, v5, v6
	v_add_f32_e32 v1, 0, v1
	s_delay_alu instid0(VALU_DEP_2) | instskip(SKIP_1) | instid1(VALU_DEP_1)
	v_dual_fmac_f32 v105, v23, v10 :: v_dual_add_f32 v4, v5, v4
	v_mul_f32_e32 v7, v23, v11
	v_fma_f32 v6, v22, v10, -v7
	s_delay_alu instid0(VALU_DEP_1) | instskip(NEXT) | instid1(VALU_DEP_1)
	v_dual_add_f32 v4, v4, v6 :: v_dual_mul_f32 v5, v101, v15
	v_fma_f32 v5, v100, v14, -v5
	v_dual_add_f32 v1, v1, v2 :: v_dual_mul_f32 v2, v99, v13
	s_delay_alu instid0(VALU_DEP_1) | instskip(NEXT) | instid1(VALU_DEP_1)
	v_fma_f32 v2, v98, v12, -v2
	v_add_f32_e32 v2, v4, v2
	s_delay_alu instid0(VALU_DEP_1) | instskip(NEXT) | instid1(VALU_DEP_1)
	v_dual_add_f32 v2, v2, v5 :: v_dual_add_f32 v1, v1, v104
	v_add_f32_e32 v1, v1, v105
	s_delay_alu instid0(VALU_DEP_1) | instskip(SKIP_1) | instid1(VALU_DEP_1)
	v_add_f32_e32 v1, v1, v106
	s_wait_loadcnt 0x0
	v_dual_add_f32 v4, v1, v107 :: v_dual_sub_f32 v1, v102, v2
	s_delay_alu instid0(VALU_DEP_1)
	v_sub_f32_e32 v2, v103, v4
	scratch_store_b64 off, v[1:2], off offset:240
	v_cmpx_lt_u32_e32 29, v0
	s_cbranch_execz .LBB100_177
; %bb.176:
	scratch_load_b64 v[1:2], off, off offset:232
	v_mov_b32_e32 v4, 0
	s_delay_alu instid0(VALU_DEP_1)
	v_mov_b32_e32 v5, v4
	scratch_store_b64 off, v[4:5], off offset:232
	s_wait_loadcnt 0x0
	ds_store_b64 v3, v[1:2]
.LBB100_177:
	s_wait_alu 0xfffe
	s_or_b32 exec_lo, exec_lo, s0
	s_wait_storecnt_dscnt 0x0
	s_barrier_signal -1
	s_barrier_wait -1
	global_inv scope:SCOPE_SE
	s_clause 0x4
	scratch_load_b128 v[4:7], off, off offset:240
	scratch_load_b128 v[8:11], off, off offset:256
	;; [unrolled: 1-line block ×3, first 2 shown]
	scratch_load_b64 v[102:103], off, off offset:288
	scratch_load_b64 v[104:105], off, off offset:232
	v_mov_b32_e32 v1, 0
	ds_load_b128 v[16:19], v1 offset:544
	ds_load_b128 v[20:23], v1 offset:560
	;; [unrolled: 1-line block ×3, first 2 shown]
	ds_load_b64 v[106:107], v1 offset:592
	s_mov_b32 s0, exec_lo
	s_wait_loadcnt_dscnt 0x403
	v_mul_f32_e32 v2, v16, v5
	s_wait_loadcnt_dscnt 0x302
	v_dual_mul_f32 v110, v22, v11 :: v_dual_mul_f32 v5, v17, v5
	v_dual_mul_f32 v108, v18, v7 :: v_dual_mul_f32 v109, v20, v9
	s_wait_loadcnt_dscnt 0x100
	v_dual_mul_f32 v113, v106, v103 :: v_dual_fmac_f32 v2, v17, v4
	v_mul_f32_e32 v7, v19, v7
	v_fma_f32 v5, v16, v4, -v5
	v_mul_f32_e32 v4, v21, v9
	v_fmac_f32_e32 v108, v19, v6
	v_add_f32_e32 v2, 0, v2
	v_fma_f32 v6, v18, v6, -v7
	v_add_f32_e32 v5, 0, v5
	v_mul_f32_e32 v7, v23, v11
	v_fmac_f32_e32 v109, v21, v8
	v_add_f32_e32 v2, v2, v108
	v_dual_mul_f32 v111, v98, v13 :: v_dual_mul_f32 v112, v100, v15
	v_add_f32_e32 v5, v5, v6
	v_fma_f32 v4, v20, v8, -v4
	v_mul_f32_e32 v6, v99, v13
	v_fmac_f32_e32 v110, v23, v10
	v_dual_add_f32 v2, v2, v109 :: v_dual_fmac_f32 v111, v99, v12
	v_fma_f32 v7, v22, v10, -v7
	v_add_f32_e32 v4, v5, v4
	s_delay_alu instid0(VALU_DEP_3) | instskip(SKIP_2) | instid1(VALU_DEP_4)
	v_dual_mul_f32 v5, v101, v15 :: v_dual_add_f32 v2, v2, v110
	v_fma_f32 v6, v98, v12, -v6
	v_fmac_f32_e32 v112, v101, v14
	v_dual_add_f32 v4, v4, v7 :: v_dual_fmac_f32 v113, v107, v102
	s_delay_alu instid0(VALU_DEP_4) | instskip(SKIP_2) | instid1(VALU_DEP_4)
	v_add_f32_e32 v2, v2, v111
	v_mul_f32_e32 v7, v107, v103
	v_fma_f32 v5, v100, v14, -v5
	v_add_f32_e32 v4, v4, v6
	s_delay_alu instid0(VALU_DEP_4) | instskip(NEXT) | instid1(VALU_DEP_4)
	v_add_f32_e32 v2, v2, v112
	v_fma_f32 v6, v106, v102, -v7
	s_delay_alu instid0(VALU_DEP_2) | instskip(SKIP_1) | instid1(VALU_DEP_1)
	v_add_f32_e32 v2, v2, v113
	s_wait_loadcnt 0x0
	v_dual_add_f32 v4, v4, v5 :: v_dual_sub_f32 v5, v105, v2
	s_delay_alu instid0(VALU_DEP_1) | instskip(NEXT) | instid1(VALU_DEP_1)
	v_add_f32_e32 v4, v4, v6
	v_sub_f32_e32 v4, v104, v4
	scratch_store_b64 off, v[4:5], off offset:232
	v_cmpx_lt_u32_e32 28, v0
	s_cbranch_execz .LBB100_179
; %bb.178:
	scratch_load_b64 v[4:5], off, off offset:224
	v_mov_b32_e32 v2, v1
	scratch_store_b64 off, v[1:2], off offset:224
	s_wait_loadcnt 0x0
	ds_store_b64 v3, v[4:5]
.LBB100_179:
	s_wait_alu 0xfffe
	s_or_b32 exec_lo, exec_lo, s0
	s_wait_storecnt_dscnt 0x0
	s_barrier_signal -1
	s_barrier_wait -1
	global_inv scope:SCOPE_SE
	s_clause 0x4
	scratch_load_b128 v[4:7], off, off offset:232
	scratch_load_b128 v[8:11], off, off offset:248
	;; [unrolled: 1-line block ×4, first 2 shown]
	scratch_load_b64 v[110:111], off, off offset:224
	ds_load_2addr_b64 v[20:23], v1 offset0:67 offset1:68
	ds_load_2addr_b64 v[98:101], v1 offset0:69 offset1:70
	;; [unrolled: 1-line block ×4, first 2 shown]
	s_mov_b32 s0, exec_lo
	s_wait_loadcnt_dscnt 0x403
	v_dual_mul_f32 v1, v20, v5 :: v_dual_mul_f32 v2, v22, v7
	v_mul_f32_e32 v5, v21, v5
	s_wait_loadcnt_dscnt 0x302
	v_dual_mul_f32 v112, v98, v9 :: v_dual_mul_f32 v113, v100, v11
	s_delay_alu instid0(VALU_DEP_3) | instskip(NEXT) | instid1(VALU_DEP_3)
	v_dual_fmac_f32 v1, v21, v4 :: v_dual_fmac_f32 v2, v23, v6
	v_fma_f32 v5, v20, v4, -v5
	v_mul_f32_e32 v4, v99, v9
	s_wait_loadcnt_dscnt 0x201
	v_dual_mul_f32 v114, v102, v13 :: v_dual_mul_f32 v115, v104, v15
	v_add_f32_e32 v1, 0, v1
	v_dual_add_f32 v5, 0, v5 :: v_dual_fmac_f32 v112, v99, v8
	v_fma_f32 v4, v98, v8, -v4
	s_wait_loadcnt_dscnt 0x100
	v_dual_mul_f32 v7, v23, v7 :: v_dual_mul_f32 v116, v106, v17
	v_dual_mul_f32 v117, v108, v19 :: v_dual_fmac_f32 v114, v103, v12
	v_add_f32_e32 v1, v1, v2
	s_delay_alu instid0(VALU_DEP_3) | instskip(SKIP_1) | instid1(VALU_DEP_4)
	v_fma_f32 v6, v22, v6, -v7
	v_dual_mul_f32 v7, v101, v11 :: v_dual_mul_f32 v2, v103, v13
	v_dual_fmac_f32 v116, v107, v16 :: v_dual_fmac_f32 v117, v109, v18
	s_delay_alu instid0(VALU_DEP_3) | instskip(NEXT) | instid1(VALU_DEP_3)
	v_add_f32_e32 v5, v5, v6
	v_fma_f32 v6, v100, v10, -v7
	s_delay_alu instid0(VALU_DEP_4) | instskip(NEXT) | instid1(VALU_DEP_3)
	v_fma_f32 v2, v102, v12, -v2
	v_add_f32_e32 v4, v5, v4
	s_delay_alu instid0(VALU_DEP_1) | instskip(SKIP_1) | instid1(VALU_DEP_2)
	v_dual_add_f32 v1, v1, v112 :: v_dual_add_f32 v4, v4, v6
	v_dual_mul_f32 v5, v105, v15 :: v_dual_mul_f32 v6, v107, v17
	v_add_f32_e32 v2, v4, v2
	s_delay_alu instid0(VALU_DEP_2) | instskip(SKIP_3) | instid1(VALU_DEP_4)
	v_fma_f32 v5, v104, v14, -v5
	v_fmac_f32_e32 v113, v101, v10
	v_mul_f32_e32 v4, v109, v19
	v_fma_f32 v6, v106, v16, -v6
	v_add_f32_e32 v2, v2, v5
	s_delay_alu instid0(VALU_DEP_4) | instskip(NEXT) | instid1(VALU_DEP_4)
	v_add_f32_e32 v1, v1, v113
	v_fma_f32 v4, v108, v18, -v4
	s_delay_alu instid0(VALU_DEP_3) | instskip(SKIP_1) | instid1(VALU_DEP_2)
	v_add_f32_e32 v2, v2, v6
	v_fmac_f32_e32 v115, v105, v14
	v_dual_add_f32 v1, v1, v114 :: v_dual_add_f32 v2, v2, v4
	s_delay_alu instid0(VALU_DEP_1) | instskip(NEXT) | instid1(VALU_DEP_1)
	v_add_f32_e32 v1, v1, v115
	v_add_f32_e32 v1, v1, v116
	s_wait_loadcnt 0x0
	s_delay_alu instid0(VALU_DEP_1) | instskip(NEXT) | instid1(VALU_DEP_1)
	v_dual_add_f32 v4, v1, v117 :: v_dual_sub_f32 v1, v110, v2
	v_sub_f32_e32 v2, v111, v4
	scratch_store_b64 off, v[1:2], off offset:224
	v_cmpx_lt_u32_e32 27, v0
	s_cbranch_execz .LBB100_181
; %bb.180:
	scratch_load_b64 v[1:2], off, off offset:216
	v_mov_b32_e32 v4, 0
	s_delay_alu instid0(VALU_DEP_1)
	v_mov_b32_e32 v5, v4
	scratch_store_b64 off, v[4:5], off offset:216
	s_wait_loadcnt 0x0
	ds_store_b64 v3, v[1:2]
.LBB100_181:
	s_wait_alu 0xfffe
	s_or_b32 exec_lo, exec_lo, s0
	s_wait_storecnt_dscnt 0x0
	s_barrier_signal -1
	s_barrier_wait -1
	global_inv scope:SCOPE_SE
	s_clause 0x5
	scratch_load_b128 v[4:7], off, off offset:224
	scratch_load_b128 v[8:11], off, off offset:240
	;; [unrolled: 1-line block ×4, first 2 shown]
	scratch_load_b64 v[110:111], off, off offset:288
	scratch_load_b64 v[112:113], off, off offset:216
	v_mov_b32_e32 v1, 0
	ds_load_b128 v[20:23], v1 offset:528
	ds_load_b128 v[98:101], v1 offset:544
	;; [unrolled: 1-line block ×4, first 2 shown]
	ds_load_b64 v[114:115], v1 offset:592
	s_mov_b32 s0, exec_lo
	s_wait_loadcnt_dscnt 0x504
	v_mul_f32_e32 v2, v20, v5
	v_dual_mul_f32 v116, v22, v7 :: v_dual_mul_f32 v5, v21, v5
	s_wait_loadcnt_dscnt 0x403
	v_dual_mul_f32 v117, v98, v9 :: v_dual_mul_f32 v118, v100, v11
	s_wait_loadcnt_dscnt 0x100
	v_dual_mul_f32 v123, v114, v111 :: v_dual_fmac_f32 v2, v21, v4
	v_mul_f32_e32 v7, v23, v7
	v_fma_f32 v5, v20, v4, -v5
	v_mul_f32_e32 v4, v99, v9
	v_fmac_f32_e32 v116, v23, v6
	v_add_f32_e32 v2, 0, v2
	v_fma_f32 v6, v22, v6, -v7
	v_add_f32_e32 v5, 0, v5
	v_mul_f32_e32 v7, v101, v11
	v_fma_f32 v4, v98, v8, -v4
	v_dual_fmac_f32 v117, v99, v8 :: v_dual_fmac_f32 v118, v101, v10
	s_delay_alu instid0(VALU_DEP_4) | instskip(SKIP_3) | instid1(VALU_DEP_4)
	v_dual_add_f32 v5, v5, v6 :: v_dual_add_f32 v2, v2, v116
	v_mul_f32_e32 v6, v103, v13
	v_fma_f32 v7, v100, v10, -v7
	v_dual_mul_f32 v119, v102, v13 :: v_dual_mul_f32 v120, v104, v15
	v_dual_add_f32 v4, v5, v4 :: v_dual_mul_f32 v121, v106, v17
	v_mul_f32_e32 v122, v108, v19
	s_delay_alu instid0(VALU_DEP_3) | instskip(SKIP_3) | instid1(VALU_DEP_4)
	v_dual_add_f32 v2, v2, v117 :: v_dual_fmac_f32 v119, v103, v12
	v_mul_f32_e32 v5, v105, v15
	v_fma_f32 v6, v102, v12, -v6
	v_dual_add_f32 v4, v4, v7 :: v_dual_fmac_f32 v121, v107, v16
	v_add_f32_e32 v2, v2, v118
	s_delay_alu instid0(VALU_DEP_4) | instskip(NEXT) | instid1(VALU_DEP_3)
	v_fma_f32 v5, v104, v14, -v5
	v_dual_mul_f32 v7, v107, v17 :: v_dual_add_f32 v4, v4, v6
	v_fmac_f32_e32 v120, v105, v14
	v_dual_mul_f32 v6, v109, v19 :: v_dual_fmac_f32 v123, v115, v110
	s_delay_alu instid0(VALU_DEP_3) | instskip(NEXT) | instid1(VALU_DEP_4)
	v_fma_f32 v7, v106, v16, -v7
	v_dual_add_f32 v4, v4, v5 :: v_dual_mul_f32 v5, v115, v111
	v_add_f32_e32 v2, v2, v119
	v_fmac_f32_e32 v122, v109, v18
	v_fma_f32 v6, v108, v18, -v6
	s_delay_alu instid0(VALU_DEP_4) | instskip(SKIP_2) | instid1(VALU_DEP_3)
	v_add_f32_e32 v4, v4, v7
	v_fma_f32 v5, v114, v110, -v5
	v_add_f32_e32 v2, v2, v120
	v_add_f32_e32 v4, v4, v6
	s_delay_alu instid0(VALU_DEP_2) | instskip(NEXT) | instid1(VALU_DEP_2)
	v_add_f32_e32 v2, v2, v121
	v_add_f32_e32 v4, v4, v5
	s_delay_alu instid0(VALU_DEP_2) | instskip(SKIP_1) | instid1(VALU_DEP_2)
	v_add_f32_e32 v2, v2, v122
	s_wait_loadcnt 0x0
	v_sub_f32_e32 v4, v112, v4
	s_delay_alu instid0(VALU_DEP_2) | instskip(NEXT) | instid1(VALU_DEP_1)
	v_add_f32_e32 v2, v2, v123
	v_sub_f32_e32 v5, v113, v2
	scratch_store_b64 off, v[4:5], off offset:216
	v_cmpx_lt_u32_e32 26, v0
	s_cbranch_execz .LBB100_183
; %bb.182:
	scratch_load_b64 v[4:5], off, off offset:208
	v_mov_b32_e32 v2, v1
	scratch_store_b64 off, v[1:2], off offset:208
	s_wait_loadcnt 0x0
	ds_store_b64 v3, v[4:5]
.LBB100_183:
	s_wait_alu 0xfffe
	s_or_b32 exec_lo, exec_lo, s0
	s_wait_storecnt_dscnt 0x0
	s_barrier_signal -1
	s_barrier_wait -1
	global_inv scope:SCOPE_SE
	s_clause 0x5
	scratch_load_b128 v[4:7], off, off offset:216
	scratch_load_b128 v[8:11], off, off offset:232
	;; [unrolled: 1-line block ×5, first 2 shown]
	scratch_load_b64 v[118:119], off, off offset:208
	ds_load_2addr_b64 v[98:101], v1 offset0:65 offset1:66
	ds_load_2addr_b64 v[102:105], v1 offset0:67 offset1:68
	;; [unrolled: 1-line block ×5, first 2 shown]
	s_mov_b32 s0, exec_lo
	s_wait_loadcnt_dscnt 0x504
	v_dual_mul_f32 v1, v98, v5 :: v_dual_mul_f32 v2, v100, v7
	v_mul_f32_e32 v5, v99, v5
	s_wait_loadcnt_dscnt 0x403
	v_dual_mul_f32 v7, v101, v7 :: v_dual_mul_f32 v120, v102, v9
	s_delay_alu instid0(VALU_DEP_3) | instskip(NEXT) | instid1(VALU_DEP_3)
	v_dual_mul_f32 v121, v104, v11 :: v_dual_fmac_f32 v2, v101, v6
	v_fma_f32 v5, v98, v4, -v5
	v_fmac_f32_e32 v1, v99, v4
	v_mul_f32_e32 v4, v103, v9
	v_fma_f32 v6, v100, v6, -v7
	v_mul_f32_e32 v7, v105, v11
	v_dual_add_f32 v5, 0, v5 :: v_dual_fmac_f32 v120, v103, v8
	s_delay_alu instid0(VALU_DEP_4) | instskip(SKIP_2) | instid1(VALU_DEP_3)
	v_fma_f32 v4, v102, v8, -v4
	s_wait_loadcnt_dscnt 0x302
	v_dual_mul_f32 v122, v106, v13 :: v_dual_mul_f32 v123, v108, v15
	v_add_f32_e32 v5, v5, v6
	v_fma_f32 v6, v104, v10, -v7
	s_wait_loadcnt_dscnt 0x201
	v_dual_mul_f32 v124, v110, v17 :: v_dual_mul_f32 v125, v112, v19
	v_fmac_f32_e32 v122, v107, v12
	v_add_f32_e32 v4, v5, v4
	s_wait_loadcnt_dscnt 0x100
	v_dual_mul_f32 v126, v114, v21 :: v_dual_mul_f32 v127, v116, v23
	v_dual_fmac_f32 v125, v113, v18 :: v_dual_fmac_f32 v124, v111, v16
	s_delay_alu instid0(VALU_DEP_3) | instskip(NEXT) | instid1(VALU_DEP_3)
	v_dual_add_f32 v4, v4, v6 :: v_dual_add_f32 v1, 0, v1
	v_dual_mul_f32 v6, v111, v17 :: v_dual_fmac_f32 v127, v117, v22
	s_delay_alu instid0(VALU_DEP_2) | instskip(SKIP_1) | instid1(VALU_DEP_3)
	v_dual_fmac_f32 v126, v115, v20 :: v_dual_add_f32 v1, v1, v2
	v_mul_f32_e32 v2, v107, v13
	v_fma_f32 v6, v110, v16, -v6
	v_mul_f32_e32 v5, v109, v15
	s_delay_alu instid0(VALU_DEP_3) | instskip(SKIP_1) | instid1(VALU_DEP_3)
	v_fma_f32 v2, v106, v12, -v2
	v_add_f32_e32 v1, v1, v120
	v_fma_f32 v5, v108, v14, -v5
	s_delay_alu instid0(VALU_DEP_3) | instskip(SKIP_2) | instid1(VALU_DEP_3)
	v_add_f32_e32 v2, v4, v2
	v_fmac_f32_e32 v121, v105, v10
	v_mul_f32_e32 v4, v113, v19
	v_add_f32_e32 v2, v2, v5
	s_delay_alu instid0(VALU_DEP_3) | instskip(SKIP_1) | instid1(VALU_DEP_4)
	v_add_f32_e32 v1, v1, v121
	v_mul_f32_e32 v5, v115, v21
	v_fma_f32 v4, v112, v18, -v4
	s_delay_alu instid0(VALU_DEP_4) | instskip(SKIP_3) | instid1(VALU_DEP_4)
	v_add_f32_e32 v2, v2, v6
	v_fmac_f32_e32 v123, v109, v14
	v_mul_f32_e32 v6, v117, v23
	v_fma_f32 v5, v114, v20, -v5
	v_dual_add_f32 v2, v2, v4 :: v_dual_add_f32 v1, v1, v122
	s_delay_alu instid0(VALU_DEP_3) | instskip(NEXT) | instid1(VALU_DEP_2)
	v_fma_f32 v4, v116, v22, -v6
	v_dual_add_f32 v2, v2, v5 :: v_dual_add_f32 v1, v1, v123
	s_delay_alu instid0(VALU_DEP_1) | instskip(NEXT) | instid1(VALU_DEP_2)
	v_add_f32_e32 v2, v2, v4
	v_add_f32_e32 v1, v1, v124
	s_delay_alu instid0(VALU_DEP_1) | instskip(NEXT) | instid1(VALU_DEP_1)
	v_add_f32_e32 v1, v1, v125
	v_add_f32_e32 v1, v1, v126
	s_wait_loadcnt 0x0
	s_delay_alu instid0(VALU_DEP_1) | instskip(NEXT) | instid1(VALU_DEP_1)
	v_dual_add_f32 v4, v1, v127 :: v_dual_sub_f32 v1, v118, v2
	v_sub_f32_e32 v2, v119, v4
	scratch_store_b64 off, v[1:2], off offset:208
	v_cmpx_lt_u32_e32 25, v0
	s_cbranch_execz .LBB100_185
; %bb.184:
	scratch_load_b64 v[1:2], off, off offset:200
	v_mov_b32_e32 v4, 0
	s_delay_alu instid0(VALU_DEP_1)
	v_mov_b32_e32 v5, v4
	scratch_store_b64 off, v[4:5], off offset:200
	s_wait_loadcnt 0x0
	ds_store_b64 v3, v[1:2]
.LBB100_185:
	s_wait_alu 0xfffe
	s_or_b32 exec_lo, exec_lo, s0
	s_wait_storecnt_dscnt 0x0
	s_barrier_signal -1
	s_barrier_wait -1
	global_inv scope:SCOPE_SE
	s_clause 0x6
	scratch_load_b128 v[4:7], off, off offset:208
	scratch_load_b128 v[8:11], off, off offset:224
	;; [unrolled: 1-line block ×5, first 2 shown]
	scratch_load_b64 v[118:119], off, off offset:288
	scratch_load_b64 v[120:121], off, off offset:200
	v_mov_b32_e32 v1, 0
	ds_load_b128 v[98:101], v1 offset:512
	ds_load_b128 v[102:105], v1 offset:528
	;; [unrolled: 1-line block ×5, first 2 shown]
	ds_load_b64 v[122:123], v1 offset:592
	s_mov_b32 s0, exec_lo
	s_wait_loadcnt_dscnt 0x605
	v_mul_f32_e32 v2, v98, v5
	v_dual_mul_f32 v5, v99, v5 :: v_dual_mul_f32 v124, v100, v7
	s_wait_loadcnt_dscnt 0x302
	v_dual_mul_f32 v125, v102, v9 :: v_dual_mul_f32 v130, v112, v19
	v_mul_f32_e32 v7, v101, v7
	s_delay_alu instid0(VALU_DEP_3) | instskip(SKIP_3) | instid1(VALU_DEP_3)
	v_fma_f32 v5, v98, v4, -v5
	s_wait_loadcnt_dscnt 0x100
	v_dual_mul_f32 v133, v122, v119 :: v_dual_fmac_f32 v2, v99, v4
	v_mul_f32_e32 v4, v103, v9
	v_dual_fmac_f32 v124, v101, v6 :: v_dual_add_f32 v5, 0, v5
	v_fma_f32 v6, v100, v6, -v7
	s_delay_alu instid0(VALU_DEP_4) | instskip(NEXT) | instid1(VALU_DEP_4)
	v_dual_add_f32 v2, 0, v2 :: v_dual_mul_f32 v7, v105, v11
	v_fma_f32 v4, v102, v8, -v4
	v_dual_mul_f32 v126, v104, v11 :: v_dual_mul_f32 v127, v106, v13
	s_delay_alu instid0(VALU_DEP_3) | instskip(NEXT) | instid1(VALU_DEP_2)
	v_dual_add_f32 v5, v5, v6 :: v_dual_add_f32 v2, v2, v124
	v_dual_fmac_f32 v125, v103, v8 :: v_dual_fmac_f32 v126, v105, v10
	v_mul_f32_e32 v6, v107, v13
	v_fma_f32 v7, v104, v10, -v7
	s_delay_alu instid0(VALU_DEP_4) | instskip(SKIP_4) | instid1(VALU_DEP_4)
	v_add_f32_e32 v4, v5, v4
	v_dual_mul_f32 v128, v108, v15 :: v_dual_mul_f32 v129, v110, v17
	v_dual_add_f32 v2, v2, v125 :: v_dual_fmac_f32 v127, v107, v12
	v_mul_f32_e32 v5, v109, v15
	v_fma_f32 v6, v106, v12, -v6
	v_dual_add_f32 v4, v4, v7 :: v_dual_fmac_f32 v129, v111, v16
	s_delay_alu instid0(VALU_DEP_4) | instskip(NEXT) | instid1(VALU_DEP_4)
	v_add_f32_e32 v2, v2, v126
	v_fma_f32 v5, v108, v14, -v5
	v_dual_mul_f32 v131, v114, v21 :: v_dual_mul_f32 v132, v116, v23
	s_delay_alu instid0(VALU_DEP_4) | instskip(NEXT) | instid1(VALU_DEP_2)
	v_dual_add_f32 v4, v4, v6 :: v_dual_mul_f32 v7, v111, v17
	v_dual_fmac_f32 v128, v109, v14 :: v_dual_fmac_f32 v131, v115, v20
	v_mul_f32_e32 v6, v113, v19
	s_delay_alu instid0(VALU_DEP_3)
	v_add_f32_e32 v4, v4, v5
	v_dual_mul_f32 v5, v115, v21 :: v_dual_add_f32 v2, v2, v127
	v_fmac_f32_e32 v133, v123, v118
	v_fma_f32 v7, v110, v16, -v7
	v_fmac_f32_e32 v130, v113, v18
	v_fma_f32 v6, v112, v18, -v6
	v_add_f32_e32 v2, v2, v128
	v_fma_f32 v5, v114, v20, -v5
	v_add_f32_e32 v4, v4, v7
	v_mul_f32_e32 v7, v117, v23
	v_fmac_f32_e32 v132, v117, v22
	v_add_f32_e32 v2, v2, v129
	s_delay_alu instid0(VALU_DEP_4) | instskip(SKIP_2) | instid1(VALU_DEP_4)
	v_add_f32_e32 v4, v4, v6
	v_mul_f32_e32 v6, v123, v119
	v_fma_f32 v7, v116, v22, -v7
	v_add_f32_e32 v2, v2, v130
	s_delay_alu instid0(VALU_DEP_4) | instskip(NEXT) | instid1(VALU_DEP_4)
	v_add_f32_e32 v4, v4, v5
	v_fma_f32 v5, v122, v118, -v6
	s_delay_alu instid0(VALU_DEP_3) | instskip(NEXT) | instid1(VALU_DEP_3)
	v_add_f32_e32 v2, v2, v131
	v_add_f32_e32 v4, v4, v7
	s_delay_alu instid0(VALU_DEP_2) | instskip(NEXT) | instid1(VALU_DEP_2)
	v_add_f32_e32 v2, v2, v132
	v_add_f32_e32 v4, v4, v5
	s_delay_alu instid0(VALU_DEP_2) | instskip(SKIP_1) | instid1(VALU_DEP_1)
	v_add_f32_e32 v2, v2, v133
	s_wait_loadcnt 0x0
	v_dual_sub_f32 v4, v120, v4 :: v_dual_sub_f32 v5, v121, v2
	scratch_store_b64 off, v[4:5], off offset:200
	v_cmpx_lt_u32_e32 24, v0
	s_cbranch_execz .LBB100_187
; %bb.186:
	scratch_load_b64 v[4:5], off, off offset:192
	v_mov_b32_e32 v2, v1
	scratch_store_b64 off, v[1:2], off offset:192
	s_wait_loadcnt 0x0
	ds_store_b64 v3, v[4:5]
.LBB100_187:
	s_wait_alu 0xfffe
	s_or_b32 exec_lo, exec_lo, s0
	s_wait_storecnt_dscnt 0x0
	s_barrier_signal -1
	s_barrier_wait -1
	global_inv scope:SCOPE_SE
	s_clause 0x6
	scratch_load_b128 v[4:7], off, off offset:200
	scratch_load_b128 v[8:11], off, off offset:216
	;; [unrolled: 1-line block ×6, first 2 shown]
	scratch_load_b64 v[126:127], off, off offset:192
	ds_load_2addr_b64 v[102:105], v1 offset0:63 offset1:64
	ds_load_2addr_b64 v[106:109], v1 offset0:65 offset1:66
	;; [unrolled: 1-line block ×6, first 2 shown]
	s_mov_b32 s0, exec_lo
	s_wait_loadcnt_dscnt 0x605
	v_dual_mul_f32 v1, v102, v5 :: v_dual_mul_f32 v2, v104, v7
	v_mul_f32_e32 v5, v103, v5
	s_wait_loadcnt_dscnt 0x504
	v_dual_mul_f32 v7, v105, v7 :: v_dual_mul_f32 v128, v106, v9
	v_mul_f32_e32 v129, v108, v11
	s_wait_loadcnt_dscnt 0x100
	v_mul_f32_e32 v136, v122, v99
	v_fma_f32 v5, v102, v4, -v5
	v_dual_mul_f32 v137, v124, v101 :: v_dual_fmac_f32 v2, v105, v6
	v_fmac_f32_e32 v1, v103, v4
	v_mul_f32_e32 v4, v107, v9
	v_fma_f32 v6, v104, v6, -v7
	v_dual_add_f32 v5, 0, v5 :: v_dual_fmac_f32 v128, v107, v8
	v_mul_f32_e32 v7, v109, v11
	s_delay_alu instid0(VALU_DEP_4) | instskip(SKIP_1) | instid1(VALU_DEP_4)
	v_fma_f32 v4, v106, v8, -v4
	v_dual_mul_f32 v130, v110, v13 :: v_dual_mul_f32 v131, v112, v15
	v_add_f32_e32 v5, v5, v6
	s_delay_alu instid0(VALU_DEP_4) | instskip(SKIP_1) | instid1(VALU_DEP_4)
	v_fma_f32 v6, v108, v10, -v7
	v_dual_mul_f32 v132, v114, v17 :: v_dual_mul_f32 v133, v116, v19
	v_fmac_f32_e32 v130, v111, v12
	s_delay_alu instid0(VALU_DEP_4) | instskip(SKIP_1) | instid1(VALU_DEP_4)
	v_add_f32_e32 v4, v5, v4
	v_dual_mul_f32 v134, v118, v21 :: v_dual_mul_f32 v135, v120, v23
	v_fmac_f32_e32 v132, v115, v16
	s_delay_alu instid0(VALU_DEP_3) | instskip(SKIP_4) | instid1(VALU_DEP_4)
	v_dual_fmac_f32 v137, v125, v100 :: v_dual_add_f32 v4, v4, v6
	v_add_f32_e32 v1, 0, v1
	v_mul_f32_e32 v6, v115, v17
	v_fmac_f32_e32 v134, v119, v20
	v_fmac_f32_e32 v136, v123, v98
	v_dual_add_f32 v1, v1, v2 :: v_dual_mul_f32 v2, v111, v13
	s_delay_alu instid0(VALU_DEP_4) | instskip(SKIP_1) | instid1(VALU_DEP_3)
	v_fma_f32 v6, v114, v16, -v6
	v_mul_f32_e32 v5, v113, v15
	v_fma_f32 v2, v110, v12, -v2
	s_delay_alu instid0(VALU_DEP_4) | instskip(NEXT) | instid1(VALU_DEP_3)
	v_add_f32_e32 v1, v1, v128
	v_fma_f32 v5, v112, v14, -v5
	s_delay_alu instid0(VALU_DEP_3) | instskip(SKIP_2) | instid1(VALU_DEP_3)
	v_add_f32_e32 v2, v4, v2
	v_fmac_f32_e32 v129, v109, v10
	v_mul_f32_e32 v4, v117, v19
	v_add_f32_e32 v2, v2, v5
	s_delay_alu instid0(VALU_DEP_3) | instskip(SKIP_1) | instid1(VALU_DEP_4)
	v_add_f32_e32 v1, v1, v129
	v_mul_f32_e32 v5, v119, v21
	v_fma_f32 v4, v116, v18, -v4
	s_delay_alu instid0(VALU_DEP_4)
	v_add_f32_e32 v2, v2, v6
	v_fmac_f32_e32 v131, v113, v14
	v_add_f32_e32 v1, v1, v130
	v_mul_f32_e32 v6, v121, v23
	v_fma_f32 v5, v118, v20, -v5
	v_add_f32_e32 v2, v2, v4
	v_mul_f32_e32 v4, v123, v99
	v_add_f32_e32 v1, v1, v131
	v_fma_f32 v6, v120, v22, -v6
	s_delay_alu instid0(VALU_DEP_4) | instskip(SKIP_1) | instid1(VALU_DEP_4)
	v_add_f32_e32 v2, v2, v5
	v_mul_f32_e32 v5, v125, v101
	v_add_f32_e32 v1, v1, v132
	v_fma_f32 v4, v122, v98, -v4
	s_delay_alu instid0(VALU_DEP_4) | instskip(SKIP_2) | instid1(VALU_DEP_2)
	v_add_f32_e32 v2, v2, v6
	v_fmac_f32_e32 v133, v117, v18
	v_fma_f32 v5, v124, v100, -v5
	v_dual_add_f32 v2, v2, v4 :: v_dual_add_f32 v1, v1, v133
	s_delay_alu instid0(VALU_DEP_1) | instskip(NEXT) | instid1(VALU_DEP_2)
	v_dual_fmac_f32 v135, v121, v22 :: v_dual_add_f32 v2, v2, v5
	v_add_f32_e32 v1, v1, v134
	s_delay_alu instid0(VALU_DEP_1) | instskip(NEXT) | instid1(VALU_DEP_1)
	v_add_f32_e32 v1, v1, v135
	v_add_f32_e32 v1, v1, v136
	s_wait_loadcnt 0x0
	s_delay_alu instid0(VALU_DEP_1) | instskip(NEXT) | instid1(VALU_DEP_1)
	v_dual_add_f32 v4, v1, v137 :: v_dual_sub_f32 v1, v126, v2
	v_sub_f32_e32 v2, v127, v4
	scratch_store_b64 off, v[1:2], off offset:192
	v_cmpx_lt_u32_e32 23, v0
	s_cbranch_execz .LBB100_189
; %bb.188:
	scratch_load_b64 v[1:2], off, off offset:184
	v_mov_b32_e32 v4, 0
	s_delay_alu instid0(VALU_DEP_1)
	v_mov_b32_e32 v5, v4
	scratch_store_b64 off, v[4:5], off offset:184
	s_wait_loadcnt 0x0
	ds_store_b64 v3, v[1:2]
.LBB100_189:
	s_wait_alu 0xfffe
	s_or_b32 exec_lo, exec_lo, s0
	s_wait_storecnt_dscnt 0x0
	s_barrier_signal -1
	s_barrier_wait -1
	global_inv scope:SCOPE_SE
	s_clause 0x7
	scratch_load_b128 v[4:7], off, off offset:192
	scratch_load_b128 v[8:11], off, off offset:208
	;; [unrolled: 1-line block ×6, first 2 shown]
	scratch_load_b64 v[126:127], off, off offset:288
	scratch_load_b64 v[128:129], off, off offset:184
	v_mov_b32_e32 v1, 0
	ds_load_b128 v[102:105], v1 offset:496
	ds_load_b128 v[106:109], v1 offset:512
	;; [unrolled: 1-line block ×6, first 2 shown]
	ds_load_b64 v[130:131], v1 offset:592
	s_mov_b32 s0, exec_lo
	s_wait_loadcnt_dscnt 0x706
	v_mul_f32_e32 v2, v102, v5
	v_dual_mul_f32 v5, v103, v5 :: v_dual_mul_f32 v132, v104, v7
	s_wait_loadcnt_dscnt 0x302
	v_dual_mul_f32 v133, v106, v9 :: v_dual_mul_f32 v140, v120, v23
	v_mul_f32_e32 v7, v105, v7
	s_delay_alu instid0(VALU_DEP_3) | instskip(SKIP_3) | instid1(VALU_DEP_3)
	v_fma_f32 v5, v102, v4, -v5
	s_wait_loadcnt_dscnt 0x100
	v_dual_mul_f32 v143, v130, v127 :: v_dual_fmac_f32 v2, v103, v4
	v_mul_f32_e32 v4, v107, v9
	v_dual_fmac_f32 v132, v105, v6 :: v_dual_add_f32 v5, 0, v5
	v_fma_f32 v6, v104, v6, -v7
	s_delay_alu instid0(VALU_DEP_4) | instskip(NEXT) | instid1(VALU_DEP_4)
	v_dual_add_f32 v2, 0, v2 :: v_dual_mul_f32 v7, v109, v11
	v_fma_f32 v4, v106, v8, -v4
	v_dual_mul_f32 v136, v112, v15 :: v_dual_mul_f32 v137, v114, v17
	s_delay_alu instid0(VALU_DEP_3) | instskip(SKIP_3) | instid1(VALU_DEP_4)
	v_dual_add_f32 v5, v5, v6 :: v_dual_add_f32 v2, v2, v132
	v_mul_f32_e32 v6, v111, v13
	v_fma_f32 v7, v108, v10, -v7
	v_dual_mul_f32 v134, v108, v11 :: v_dual_mul_f32 v135, v110, v13
	v_add_f32_e32 v4, v5, v4
	v_mul_f32_e32 v5, v113, v15
	v_fma_f32 v6, v110, v12, -v6
	s_delay_alu instid0(VALU_DEP_4) | instskip(NEXT) | instid1(VALU_DEP_4)
	v_dual_fmac_f32 v133, v107, v8 :: v_dual_fmac_f32 v134, v109, v10
	v_dual_add_f32 v4, v4, v7 :: v_dual_fmac_f32 v137, v115, v16
	v_mul_f32_e32 v7, v115, v17
	v_fma_f32 v5, v112, v14, -v5
	v_dual_mul_f32 v141, v122, v99 :: v_dual_mul_f32 v142, v124, v101
	s_delay_alu instid0(VALU_DEP_4) | instskip(SKIP_1) | instid1(VALU_DEP_3)
	v_add_f32_e32 v4, v4, v6
	v_dual_add_f32 v2, v2, v133 :: v_dual_fmac_f32 v135, v111, v12
	v_dual_mul_f32 v6, v117, v19 :: v_dual_fmac_f32 v141, v123, v98
	v_fma_f32 v7, v114, v16, -v7
	s_delay_alu instid0(VALU_DEP_4) | instskip(NEXT) | instid1(VALU_DEP_4)
	v_add_f32_e32 v4, v4, v5
	v_dual_add_f32 v2, v2, v134 :: v_dual_mul_f32 v5, v119, v21
	s_delay_alu instid0(VALU_DEP_4) | instskip(SKIP_1) | instid1(VALU_DEP_4)
	v_fma_f32 v6, v116, v18, -v6
	v_dual_mul_f32 v138, v116, v19 :: v_dual_mul_f32 v139, v118, v21
	v_add_f32_e32 v4, v4, v7
	v_fmac_f32_e32 v136, v113, v14
	v_add_f32_e32 v2, v2, v135
	v_fma_f32 v5, v118, v20, -v5
	s_delay_alu instid0(VALU_DEP_4)
	v_dual_fmac_f32 v139, v119, v20 :: v_dual_add_f32 v4, v4, v6
	v_fmac_f32_e32 v138, v117, v18
	v_fmac_f32_e32 v143, v131, v126
	v_mul_f32_e32 v7, v121, v23
	v_mul_f32_e32 v6, v123, v99
	v_add_f32_e32 v4, v4, v5
	v_dual_mul_f32 v5, v125, v101 :: v_dual_add_f32 v2, v2, v136
	v_fmac_f32_e32 v140, v121, v22
	v_fma_f32 v7, v120, v22, -v7
	v_fma_f32 v6, v122, v98, -v6
	v_fmac_f32_e32 v142, v125, v100
	v_add_f32_e32 v2, v2, v137
	v_fma_f32 v5, v124, v100, -v5
	v_add_f32_e32 v4, v4, v7
	s_delay_alu instid0(VALU_DEP_3) | instskip(NEXT) | instid1(VALU_DEP_2)
	v_dual_mul_f32 v7, v131, v127 :: v_dual_add_f32 v2, v2, v138
	v_add_f32_e32 v4, v4, v6
	s_delay_alu instid0(VALU_DEP_2) | instskip(NEXT) | instid1(VALU_DEP_3)
	v_fma_f32 v6, v130, v126, -v7
	v_add_f32_e32 v2, v2, v139
	s_delay_alu instid0(VALU_DEP_3) | instskip(NEXT) | instid1(VALU_DEP_2)
	v_add_f32_e32 v4, v4, v5
	v_add_f32_e32 v2, v2, v140
	s_delay_alu instid0(VALU_DEP_2) | instskip(NEXT) | instid1(VALU_DEP_2)
	v_add_f32_e32 v4, v4, v6
	v_add_f32_e32 v2, v2, v141
	s_wait_loadcnt 0x0
	s_delay_alu instid0(VALU_DEP_2) | instskip(NEXT) | instid1(VALU_DEP_2)
	v_sub_f32_e32 v4, v128, v4
	v_add_f32_e32 v2, v2, v142
	s_delay_alu instid0(VALU_DEP_1) | instskip(NEXT) | instid1(VALU_DEP_1)
	v_add_f32_e32 v2, v2, v143
	v_sub_f32_e32 v5, v129, v2
	scratch_store_b64 off, v[4:5], off offset:184
	v_cmpx_lt_u32_e32 22, v0
	s_cbranch_execz .LBB100_191
; %bb.190:
	scratch_load_b64 v[4:5], off, off offset:176
	v_mov_b32_e32 v2, v1
	scratch_store_b64 off, v[1:2], off offset:176
	s_wait_loadcnt 0x0
	ds_store_b64 v3, v[4:5]
.LBB100_191:
	s_wait_alu 0xfffe
	s_or_b32 exec_lo, exec_lo, s0
	s_wait_storecnt_dscnt 0x0
	s_barrier_signal -1
	s_barrier_wait -1
	global_inv scope:SCOPE_SE
	s_clause 0x7
	scratch_load_b128 v[4:7], off, off offset:184
	scratch_load_b128 v[8:11], off, off offset:200
	;; [unrolled: 1-line block ×7, first 2 shown]
	scratch_load_b64 v[134:135], off, off offset:176
	ds_load_2addr_b64 v[106:109], v1 offset0:61 offset1:62
	ds_load_2addr_b64 v[110:113], v1 offset0:63 offset1:64
	;; [unrolled: 1-line block ×7, first 2 shown]
	s_mov_b32 s0, exec_lo
	s_wait_loadcnt_dscnt 0x706
	v_dual_mul_f32 v1, v106, v5 :: v_dual_mul_f32 v2, v108, v7
	v_mul_f32_e32 v5, v107, v5
	s_wait_loadcnt_dscnt 0x605
	v_dual_mul_f32 v7, v109, v7 :: v_dual_mul_f32 v136, v110, v9
	v_mul_f32_e32 v137, v112, v11
	s_wait_loadcnt_dscnt 0x201
	v_mul_f32_e32 v144, v126, v99
	v_fma_f32 v5, v106, v4, -v5
	s_wait_loadcnt_dscnt 0x100
	v_dual_mul_f32 v147, v132, v105 :: v_dual_fmac_f32 v2, v109, v6
	v_fmac_f32_e32 v1, v107, v4
	v_mul_f32_e32 v4, v111, v9
	v_fma_f32 v6, v108, v6, -v7
	v_dual_add_f32 v5, 0, v5 :: v_dual_fmac_f32 v136, v111, v8
	v_mul_f32_e32 v7, v113, v11
	s_delay_alu instid0(VALU_DEP_4) | instskip(SKIP_1) | instid1(VALU_DEP_4)
	v_fma_f32 v4, v110, v8, -v4
	v_dual_mul_f32 v138, v114, v13 :: v_dual_mul_f32 v139, v116, v15
	v_add_f32_e32 v5, v5, v6
	s_delay_alu instid0(VALU_DEP_4) | instskip(SKIP_2) | instid1(VALU_DEP_4)
	v_fma_f32 v6, v112, v10, -v7
	v_dual_mul_f32 v140, v118, v17 :: v_dual_mul_f32 v141, v120, v19
	v_dual_mul_f32 v142, v122, v21 :: v_dual_mul_f32 v143, v124, v23
	v_add_f32_e32 v4, v5, v4
	s_delay_alu instid0(VALU_DEP_3) | instskip(SKIP_1) | instid1(VALU_DEP_3)
	v_dual_fmac_f32 v138, v115, v12 :: v_dual_fmac_f32 v141, v121, v18
	v_dual_mul_f32 v145, v128, v101 :: v_dual_mul_f32 v146, v130, v103
	v_dual_add_f32 v4, v4, v6 :: v_dual_add_f32 v1, 0, v1
	v_mul_f32_e32 v6, v119, v17
	v_fmac_f32_e32 v140, v119, v16
	v_fmac_f32_e32 v147, v133, v104
	s_delay_alu instid0(VALU_DEP_4) | instskip(SKIP_4) | instid1(VALU_DEP_4)
	v_dual_fmac_f32 v142, v123, v20 :: v_dual_add_f32 v1, v1, v2
	v_mul_f32_e32 v2, v115, v13
	v_fma_f32 v6, v118, v16, -v6
	v_dual_mul_f32 v5, v117, v15 :: v_dual_fmac_f32 v144, v127, v98
	v_fmac_f32_e32 v146, v131, v102
	v_fma_f32 v2, v114, v12, -v2
	v_add_f32_e32 v1, v1, v136
	s_delay_alu instid0(VALU_DEP_4) | instskip(NEXT) | instid1(VALU_DEP_3)
	v_fma_f32 v5, v116, v14, -v5
	v_add_f32_e32 v2, v4, v2
	v_fmac_f32_e32 v137, v113, v10
	v_mul_f32_e32 v4, v121, v19
	s_delay_alu instid0(VALU_DEP_3) | instskip(NEXT) | instid1(VALU_DEP_3)
	v_add_f32_e32 v2, v2, v5
	v_add_f32_e32 v1, v1, v137
	v_mul_f32_e32 v5, v123, v21
	s_delay_alu instid0(VALU_DEP_4) | instskip(NEXT) | instid1(VALU_DEP_4)
	v_fma_f32 v4, v120, v18, -v4
	v_add_f32_e32 v2, v2, v6
	v_fmac_f32_e32 v139, v117, v14
	v_add_f32_e32 v1, v1, v138
	v_mul_f32_e32 v6, v125, v23
	v_fma_f32 v5, v122, v20, -v5
	v_add_f32_e32 v2, v2, v4
	v_mul_f32_e32 v4, v127, v99
	v_add_f32_e32 v1, v1, v139
	v_fma_f32 v6, v124, v22, -v6
	s_delay_alu instid0(VALU_DEP_4) | instskip(SKIP_1) | instid1(VALU_DEP_4)
	v_add_f32_e32 v2, v2, v5
	v_mul_f32_e32 v5, v129, v101
	v_add_f32_e32 v1, v1, v140
	v_fma_f32 v4, v126, v98, -v4
	s_delay_alu instid0(VALU_DEP_4) | instskip(NEXT) | instid1(VALU_DEP_3)
	v_add_f32_e32 v2, v2, v6
	v_dual_mul_f32 v6, v131, v103 :: v_dual_add_f32 v1, v1, v141
	v_fma_f32 v5, v128, v100, -v5
	s_delay_alu instid0(VALU_DEP_3) | instskip(SKIP_1) | instid1(VALU_DEP_4)
	v_dual_add_f32 v2, v2, v4 :: v_dual_fmac_f32 v143, v125, v22
	v_mul_f32_e32 v4, v133, v105
	v_fma_f32 v6, v130, v102, -v6
	s_delay_alu instid0(VALU_DEP_3) | instskip(NEXT) | instid1(VALU_DEP_3)
	v_dual_add_f32 v2, v2, v5 :: v_dual_fmac_f32 v145, v129, v100
	v_fma_f32 v4, v132, v104, -v4
	s_delay_alu instid0(VALU_DEP_2) | instskip(NEXT) | instid1(VALU_DEP_1)
	v_add_f32_e32 v2, v2, v6
	v_dual_add_f32 v1, v1, v142 :: v_dual_add_f32 v2, v2, v4
	s_delay_alu instid0(VALU_DEP_1) | instskip(NEXT) | instid1(VALU_DEP_1)
	v_add_f32_e32 v1, v1, v143
	v_add_f32_e32 v1, v1, v144
	s_delay_alu instid0(VALU_DEP_1) | instskip(NEXT) | instid1(VALU_DEP_1)
	v_add_f32_e32 v1, v1, v145
	v_add_f32_e32 v1, v1, v146
	s_wait_loadcnt 0x0
	s_delay_alu instid0(VALU_DEP_1) | instskip(NEXT) | instid1(VALU_DEP_1)
	v_dual_add_f32 v4, v1, v147 :: v_dual_sub_f32 v1, v134, v2
	v_sub_f32_e32 v2, v135, v4
	scratch_store_b64 off, v[1:2], off offset:176
	v_cmpx_lt_u32_e32 21, v0
	s_cbranch_execz .LBB100_193
; %bb.192:
	scratch_load_b64 v[1:2], off, off offset:168
	v_mov_b32_e32 v4, 0
	s_delay_alu instid0(VALU_DEP_1)
	v_mov_b32_e32 v5, v4
	scratch_store_b64 off, v[4:5], off offset:168
	s_wait_loadcnt 0x0
	ds_store_b64 v3, v[1:2]
.LBB100_193:
	s_wait_alu 0xfffe
	s_or_b32 exec_lo, exec_lo, s0
	s_wait_storecnt_dscnt 0x0
	s_barrier_signal -1
	s_barrier_wait -1
	global_inv scope:SCOPE_SE
	s_clause 0x8
	scratch_load_b128 v[4:7], off, off offset:176
	scratch_load_b128 v[8:11], off, off offset:192
	;; [unrolled: 1-line block ×7, first 2 shown]
	scratch_load_b64 v[134:135], off, off offset:288
	scratch_load_b64 v[136:137], off, off offset:168
	v_mov_b32_e32 v1, 0
	ds_load_b128 v[106:109], v1 offset:480
	ds_load_b128 v[110:113], v1 offset:496
	;; [unrolled: 1-line block ×7, first 2 shown]
	ds_load_b64 v[138:139], v1 offset:592
	s_mov_b32 s0, exec_lo
	s_wait_loadcnt_dscnt 0x807
	v_mul_f32_e32 v2, v106, v5
	v_dual_mul_f32 v5, v107, v5 :: v_dual_mul_f32 v140, v108, v7
	s_wait_loadcnt_dscnt 0x403
	v_dual_mul_f32 v141, v110, v9 :: v_dual_mul_f32 v148, v124, v23
	v_mul_f32_e32 v7, v109, v7
	s_delay_alu instid0(VALU_DEP_3) | instskip(SKIP_3) | instid1(VALU_DEP_3)
	v_fma_f32 v5, v106, v4, -v5
	s_wait_loadcnt_dscnt 0x100
	v_dual_mul_f32 v153, v138, v135 :: v_dual_fmac_f32 v2, v107, v4
	v_mul_f32_e32 v4, v111, v9
	v_dual_fmac_f32 v140, v109, v6 :: v_dual_add_f32 v5, 0, v5
	v_fma_f32 v6, v108, v6, -v7
	s_delay_alu instid0(VALU_DEP_4) | instskip(NEXT) | instid1(VALU_DEP_4)
	v_dual_add_f32 v2, 0, v2 :: v_dual_mul_f32 v7, v113, v11
	v_fma_f32 v4, v110, v8, -v4
	v_dual_mul_f32 v144, v116, v15 :: v_dual_mul_f32 v145, v118, v17
	s_delay_alu instid0(VALU_DEP_3) | instskip(SKIP_3) | instid1(VALU_DEP_4)
	v_dual_add_f32 v5, v5, v6 :: v_dual_add_f32 v2, v2, v140
	v_mul_f32_e32 v6, v115, v13
	v_fma_f32 v7, v112, v10, -v7
	v_dual_mul_f32 v142, v112, v11 :: v_dual_mul_f32 v143, v114, v13
	v_add_f32_e32 v4, v5, v4
	v_mul_f32_e32 v5, v117, v15
	v_fma_f32 v6, v114, v12, -v6
	s_delay_alu instid0(VALU_DEP_4) | instskip(NEXT) | instid1(VALU_DEP_4)
	v_dual_fmac_f32 v141, v111, v8 :: v_dual_fmac_f32 v142, v113, v10
	v_dual_add_f32 v4, v4, v7 :: v_dual_fmac_f32 v145, v119, v16
	v_mul_f32_e32 v7, v119, v17
	v_fma_f32 v5, v116, v14, -v5
	v_dual_mul_f32 v149, v126, v99 :: v_dual_mul_f32 v150, v128, v101
	s_delay_alu instid0(VALU_DEP_4) | instskip(SKIP_1) | instid1(VALU_DEP_3)
	v_add_f32_e32 v4, v4, v6
	v_dual_add_f32 v2, v2, v141 :: v_dual_fmac_f32 v143, v115, v12
	v_dual_mul_f32 v6, v121, v19 :: v_dual_fmac_f32 v149, v127, v98
	v_fma_f32 v7, v118, v16, -v7
	s_delay_alu instid0(VALU_DEP_4) | instskip(NEXT) | instid1(VALU_DEP_4)
	v_add_f32_e32 v4, v4, v5
	v_dual_add_f32 v2, v2, v142 :: v_dual_mul_f32 v5, v123, v21
	s_delay_alu instid0(VALU_DEP_4) | instskip(NEXT) | instid1(VALU_DEP_3)
	v_fma_f32 v6, v120, v18, -v6
	v_dual_fmac_f32 v153, v139, v134 :: v_dual_add_f32 v4, v4, v7
	v_mul_f32_e32 v7, v125, v23
	s_delay_alu instid0(VALU_DEP_4) | instskip(SKIP_1) | instid1(VALU_DEP_4)
	v_fma_f32 v5, v122, v20, -v5
	v_dual_mul_f32 v146, v120, v19 :: v_dual_mul_f32 v147, v122, v21
	v_add_f32_e32 v4, v4, v6
	v_fmac_f32_e32 v144, v117, v14
	v_add_f32_e32 v2, v2, v143
	v_mul_f32_e32 v6, v127, v99
	v_fma_f32 v7, v124, v22, -v7
	v_dual_add_f32 v4, v4, v5 :: v_dual_mul_f32 v151, v130, v103
	v_dual_mul_f32 v152, v132, v105 :: v_dual_fmac_f32 v147, v123, v20
	v_dual_mul_f32 v5, v129, v101 :: v_dual_add_f32 v2, v2, v144
	s_delay_alu instid0(VALU_DEP_3)
	v_fmac_f32_e32 v151, v131, v102
	v_fma_f32 v6, v126, v98, -v6
	v_add_f32_e32 v4, v4, v7
	v_fmac_f32_e32 v146, v121, v18
	v_add_f32_e32 v2, v2, v145
	v_fma_f32 v5, v128, v100, -v5
	v_fmac_f32_e32 v148, v125, v22
	v_dual_add_f32 v4, v4, v6 :: v_dual_mul_f32 v7, v131, v103
	v_fmac_f32_e32 v150, v129, v100
	v_mul_f32_e32 v6, v133, v105
	v_fmac_f32_e32 v152, v133, v104
	s_delay_alu instid0(VALU_DEP_4) | instskip(SKIP_3) | instid1(VALU_DEP_4)
	v_dual_add_f32 v4, v4, v5 :: v_dual_mul_f32 v5, v139, v135
	v_add_f32_e32 v2, v2, v146
	v_fma_f32 v7, v130, v102, -v7
	v_fma_f32 v6, v132, v104, -v6
	;; [unrolled: 1-line block ×3, first 2 shown]
	s_delay_alu instid0(VALU_DEP_4) | instskip(NEXT) | instid1(VALU_DEP_4)
	v_add_f32_e32 v2, v2, v147
	v_add_f32_e32 v4, v4, v7
	s_delay_alu instid0(VALU_DEP_2) | instskip(NEXT) | instid1(VALU_DEP_2)
	v_add_f32_e32 v2, v2, v148
	v_add_f32_e32 v4, v4, v6
	s_delay_alu instid0(VALU_DEP_2) | instskip(NEXT) | instid1(VALU_DEP_2)
	v_add_f32_e32 v2, v2, v149
	v_add_f32_e32 v4, v4, v5
	s_delay_alu instid0(VALU_DEP_2) | instskip(SKIP_1) | instid1(VALU_DEP_2)
	v_add_f32_e32 v2, v2, v150
	s_wait_loadcnt 0x0
	v_sub_f32_e32 v4, v136, v4
	s_delay_alu instid0(VALU_DEP_2) | instskip(NEXT) | instid1(VALU_DEP_1)
	v_add_f32_e32 v2, v2, v151
	v_add_f32_e32 v2, v2, v152
	s_delay_alu instid0(VALU_DEP_1) | instskip(NEXT) | instid1(VALU_DEP_1)
	v_add_f32_e32 v2, v2, v153
	v_sub_f32_e32 v5, v137, v2
	scratch_store_b64 off, v[4:5], off offset:168
	v_cmpx_lt_u32_e32 20, v0
	s_cbranch_execz .LBB100_195
; %bb.194:
	scratch_load_b64 v[4:5], off, off offset:160
	v_mov_b32_e32 v2, v1
	scratch_store_b64 off, v[1:2], off offset:160
	s_wait_loadcnt 0x0
	ds_store_b64 v3, v[4:5]
.LBB100_195:
	s_wait_alu 0xfffe
	s_or_b32 exec_lo, exec_lo, s0
	s_wait_storecnt_dscnt 0x0
	s_barrier_signal -1
	s_barrier_wait -1
	global_inv scope:SCOPE_SE
	s_clause 0x8
	scratch_load_b128 v[4:7], off, off offset:168
	scratch_load_b128 v[8:11], off, off offset:184
	;; [unrolled: 1-line block ×8, first 2 shown]
	scratch_load_b64 v[142:143], off, off offset:160
	ds_load_2addr_b64 v[110:113], v1 offset0:59 offset1:60
	ds_load_2addr_b64 v[114:117], v1 offset0:61 offset1:62
	;; [unrolled: 1-line block ×8, first 2 shown]
	s_mov_b32 s0, exec_lo
	s_wait_loadcnt_dscnt 0x807
	v_dual_mul_f32 v1, v110, v5 :: v_dual_mul_f32 v2, v112, v7
	v_mul_f32_e32 v5, v111, v5
	s_wait_loadcnt_dscnt 0x706
	v_dual_mul_f32 v7, v113, v7 :: v_dual_mul_f32 v144, v114, v9
	v_mul_f32_e32 v145, v116, v11
	s_wait_loadcnt_dscnt 0x201
	v_mul_f32_e32 v154, v134, v103
	v_fma_f32 v5, v110, v4, -v5
	s_wait_loadcnt_dscnt 0x100
	v_dual_mul_f32 v157, v140, v109 :: v_dual_fmac_f32 v2, v113, v6
	v_fmac_f32_e32 v1, v111, v4
	v_mul_f32_e32 v4, v115, v9
	v_fma_f32 v6, v112, v6, -v7
	v_dual_add_f32 v5, 0, v5 :: v_dual_fmac_f32 v144, v115, v8
	v_mul_f32_e32 v7, v117, v11
	s_delay_alu instid0(VALU_DEP_4) | instskip(SKIP_1) | instid1(VALU_DEP_4)
	v_fma_f32 v4, v114, v8, -v4
	v_dual_mul_f32 v146, v118, v13 :: v_dual_mul_f32 v147, v120, v15
	v_add_f32_e32 v5, v5, v6
	s_delay_alu instid0(VALU_DEP_4) | instskip(SKIP_2) | instid1(VALU_DEP_4)
	v_fma_f32 v6, v116, v10, -v7
	v_dual_mul_f32 v148, v122, v17 :: v_dual_mul_f32 v149, v124, v19
	v_dual_mul_f32 v150, v126, v21 :: v_dual_mul_f32 v151, v128, v23
	v_add_f32_e32 v4, v5, v4
	v_dual_mul_f32 v152, v130, v99 :: v_dual_mul_f32 v153, v132, v101
	s_delay_alu instid0(VALU_DEP_4) | instskip(NEXT) | instid1(VALU_DEP_3)
	v_dual_fmac_f32 v146, v119, v12 :: v_dual_fmac_f32 v149, v125, v18
	v_dual_add_f32 v4, v4, v6 :: v_dual_add_f32 v1, 0, v1
	v_mul_f32_e32 v6, v123, v17
	v_dual_fmac_f32 v148, v123, v16 :: v_dual_mul_f32 v155, v136, v105
	s_delay_alu instid0(VALU_DEP_3) | instskip(SKIP_1) | instid1(VALU_DEP_4)
	v_dual_mul_f32 v156, v138, v107 :: v_dual_add_f32 v1, v1, v2
	v_mul_f32_e32 v2, v119, v13
	v_fma_f32 v6, v122, v16, -v6
	v_mul_f32_e32 v5, v121, v15
	v_fmac_f32_e32 v157, v141, v108
	v_fmac_f32_e32 v150, v127, v20
	v_fma_f32 v2, v118, v12, -v2
	v_add_f32_e32 v1, v1, v144
	v_fma_f32 v5, v120, v14, -v5
	v_fmac_f32_e32 v152, v131, v98
	v_fmac_f32_e32 v154, v135, v102
	v_add_f32_e32 v2, v4, v2
	v_fmac_f32_e32 v145, v117, v10
	v_mul_f32_e32 v4, v125, v19
	v_fmac_f32_e32 v156, v139, v106
	s_delay_alu instid0(VALU_DEP_4) | instskip(NEXT) | instid1(VALU_DEP_4)
	v_add_f32_e32 v2, v2, v5
	v_add_f32_e32 v1, v1, v145
	v_mul_f32_e32 v5, v127, v21
	v_fma_f32 v4, v124, v18, -v4
	s_delay_alu instid0(VALU_DEP_4)
	v_add_f32_e32 v2, v2, v6
	v_fmac_f32_e32 v147, v121, v14
	v_add_f32_e32 v1, v1, v146
	v_mul_f32_e32 v6, v129, v23
	v_fma_f32 v5, v126, v20, -v5
	v_add_f32_e32 v2, v2, v4
	v_mul_f32_e32 v4, v131, v99
	v_add_f32_e32 v1, v1, v147
	v_fma_f32 v6, v128, v22, -v6
	s_delay_alu instid0(VALU_DEP_4) | instskip(SKIP_1) | instid1(VALU_DEP_4)
	v_add_f32_e32 v2, v2, v5
	v_mul_f32_e32 v5, v133, v101
	v_add_f32_e32 v1, v1, v148
	v_fma_f32 v4, v130, v98, -v4
	s_delay_alu instid0(VALU_DEP_4) | instskip(NEXT) | instid1(VALU_DEP_3)
	v_add_f32_e32 v2, v2, v6
	v_dual_mul_f32 v6, v135, v103 :: v_dual_add_f32 v1, v1, v149
	v_fma_f32 v5, v132, v100, -v5
	s_delay_alu instid0(VALU_DEP_3) | instskip(SKIP_1) | instid1(VALU_DEP_4)
	v_dual_add_f32 v2, v2, v4 :: v_dual_fmac_f32 v151, v129, v22
	v_mul_f32_e32 v4, v137, v105
	v_fma_f32 v6, v134, v102, -v6
	s_delay_alu instid0(VALU_DEP_3) | instskip(SKIP_1) | instid1(VALU_DEP_4)
	v_dual_add_f32 v2, v2, v5 :: v_dual_fmac_f32 v153, v133, v100
	v_mul_f32_e32 v5, v139, v107
	v_fma_f32 v4, v136, v104, -v4
	s_delay_alu instid0(VALU_DEP_3) | instskip(SKIP_3) | instid1(VALU_DEP_3)
	v_add_f32_e32 v2, v2, v6
	v_add_f32_e32 v1, v1, v150
	v_mul_f32_e32 v6, v141, v109
	v_fma_f32 v5, v138, v106, -v5
	v_dual_add_f32 v2, v2, v4 :: v_dual_add_f32 v1, v1, v151
	v_fmac_f32_e32 v155, v137, v104
	s_delay_alu instid0(VALU_DEP_4) | instskip(NEXT) | instid1(VALU_DEP_3)
	v_fma_f32 v4, v140, v108, -v6
	v_dual_add_f32 v2, v2, v5 :: v_dual_add_f32 v1, v1, v152
	s_delay_alu instid0(VALU_DEP_1) | instskip(NEXT) | instid1(VALU_DEP_1)
	v_dual_add_f32 v2, v2, v4 :: v_dual_add_f32 v1, v1, v153
	v_add_f32_e32 v1, v1, v154
	s_delay_alu instid0(VALU_DEP_1) | instskip(NEXT) | instid1(VALU_DEP_1)
	v_add_f32_e32 v1, v1, v155
	v_add_f32_e32 v1, v1, v156
	s_wait_loadcnt 0x0
	s_delay_alu instid0(VALU_DEP_1) | instskip(NEXT) | instid1(VALU_DEP_1)
	v_dual_add_f32 v4, v1, v157 :: v_dual_sub_f32 v1, v142, v2
	v_sub_f32_e32 v2, v143, v4
	scratch_store_b64 off, v[1:2], off offset:160
	v_cmpx_lt_u32_e32 19, v0
	s_cbranch_execz .LBB100_197
; %bb.196:
	scratch_load_b64 v[1:2], off, off offset:152
	v_mov_b32_e32 v4, 0
	s_delay_alu instid0(VALU_DEP_1)
	v_mov_b32_e32 v5, v4
	scratch_store_b64 off, v[4:5], off offset:152
	s_wait_loadcnt 0x0
	ds_store_b64 v3, v[1:2]
.LBB100_197:
	s_wait_alu 0xfffe
	s_or_b32 exec_lo, exec_lo, s0
	s_wait_storecnt_dscnt 0x0
	s_barrier_signal -1
	s_barrier_wait -1
	global_inv scope:SCOPE_SE
	s_clause 0x9
	scratch_load_b128 v[4:7], off, off offset:160
	scratch_load_b128 v[8:11], off, off offset:176
	;; [unrolled: 1-line block ×8, first 2 shown]
	scratch_load_b64 v[142:143], off, off offset:288
	scratch_load_b64 v[144:145], off, off offset:152
	v_mov_b32_e32 v1, 0
	ds_load_b128 v[110:113], v1 offset:464
	ds_load_b128 v[114:117], v1 offset:480
	;; [unrolled: 1-line block ×8, first 2 shown]
	ds_load_b64 v[146:147], v1 offset:592
	s_mov_b32 s0, exec_lo
	s_wait_loadcnt_dscnt 0x908
	v_mul_f32_e32 v2, v110, v5
	v_dual_mul_f32 v5, v111, v5 :: v_dual_mul_f32 v148, v112, v7
	s_wait_loadcnt_dscnt 0x504
	v_dual_mul_f32 v149, v114, v9 :: v_dual_mul_f32 v156, v128, v23
	v_mul_f32_e32 v7, v113, v7
	s_delay_alu instid0(VALU_DEP_3) | instskip(SKIP_3) | instid1(VALU_DEP_3)
	v_fma_f32 v5, v110, v4, -v5
	s_wait_loadcnt_dscnt 0x100
	v_dual_fmac_f32 v2, v111, v4 :: v_dual_mul_f32 v163, v146, v143
	v_mul_f32_e32 v4, v115, v9
	v_dual_fmac_f32 v148, v113, v6 :: v_dual_add_f32 v5, 0, v5
	v_fma_f32 v6, v112, v6, -v7
	s_delay_alu instid0(VALU_DEP_4) | instskip(NEXT) | instid1(VALU_DEP_4)
	v_dual_add_f32 v2, 0, v2 :: v_dual_mul_f32 v7, v117, v11
	v_fma_f32 v4, v114, v8, -v4
	v_dual_mul_f32 v152, v120, v15 :: v_dual_mul_f32 v153, v122, v17
	s_delay_alu instid0(VALU_DEP_3) | instskip(SKIP_3) | instid1(VALU_DEP_4)
	v_dual_add_f32 v5, v5, v6 :: v_dual_add_f32 v2, v2, v148
	v_mul_f32_e32 v6, v119, v13
	v_fma_f32 v7, v116, v10, -v7
	v_dual_mul_f32 v150, v116, v11 :: v_dual_mul_f32 v151, v118, v13
	v_add_f32_e32 v4, v5, v4
	v_mul_f32_e32 v5, v121, v15
	v_fma_f32 v6, v118, v12, -v6
	s_delay_alu instid0(VALU_DEP_4) | instskip(NEXT) | instid1(VALU_DEP_4)
	v_dual_fmac_f32 v149, v115, v8 :: v_dual_fmac_f32 v150, v117, v10
	v_dual_add_f32 v4, v4, v7 :: v_dual_fmac_f32 v153, v123, v16
	v_mul_f32_e32 v7, v123, v17
	v_fma_f32 v5, v120, v14, -v5
	v_dual_mul_f32 v157, v130, v99 :: v_dual_mul_f32 v158, v132, v101
	s_delay_alu instid0(VALU_DEP_4) | instskip(SKIP_1) | instid1(VALU_DEP_3)
	v_add_f32_e32 v4, v4, v6
	v_dual_add_f32 v2, v2, v149 :: v_dual_fmac_f32 v151, v119, v12
	v_dual_mul_f32 v6, v125, v19 :: v_dual_fmac_f32 v157, v131, v98
	v_fma_f32 v7, v122, v16, -v7
	s_delay_alu instid0(VALU_DEP_4) | instskip(NEXT) | instid1(VALU_DEP_4)
	v_add_f32_e32 v4, v4, v5
	v_dual_add_f32 v2, v2, v150 :: v_dual_mul_f32 v5, v127, v21
	s_delay_alu instid0(VALU_DEP_4) | instskip(SKIP_1) | instid1(VALU_DEP_4)
	v_fma_f32 v6, v124, v18, -v6
	v_dual_mul_f32 v154, v124, v19 :: v_dual_mul_f32 v155, v126, v21
	v_add_f32_e32 v4, v4, v7
	v_mul_f32_e32 v7, v129, v23
	v_fma_f32 v5, v126, v20, -v5
	s_delay_alu instid0(VALU_DEP_4) | instskip(NEXT) | instid1(VALU_DEP_4)
	v_dual_fmac_f32 v152, v121, v14 :: v_dual_fmac_f32 v155, v127, v20
	v_add_f32_e32 v4, v4, v6
	v_add_f32_e32 v2, v2, v151
	v_mul_f32_e32 v6, v131, v99
	v_fma_f32 v7, v128, v22, -v7
	v_dual_mul_f32 v159, v134, v103 :: v_dual_mul_f32 v160, v136, v105
	v_dual_add_f32 v4, v4, v5 :: v_dual_fmac_f32 v163, v147, v142
	v_dual_mul_f32 v5, v133, v101 :: v_dual_add_f32 v2, v2, v152
	s_delay_alu instid0(VALU_DEP_3) | instskip(SKIP_1) | instid1(VALU_DEP_4)
	v_fmac_f32_e32 v159, v135, v102
	v_fma_f32 v6, v130, v98, -v6
	v_add_f32_e32 v4, v4, v7
	v_dual_mul_f32 v161, v138, v107 :: v_dual_mul_f32 v162, v140, v109
	v_fmac_f32_e32 v154, v125, v18
	v_add_f32_e32 v2, v2, v153
	v_fma_f32 v5, v132, v100, -v5
	v_add_f32_e32 v4, v4, v6
	v_fmac_f32_e32 v161, v139, v106
	v_dual_fmac_f32 v156, v129, v22 :: v_dual_mul_f32 v7, v135, v103
	v_fmac_f32_e32 v158, v133, v100
	s_delay_alu instid0(VALU_DEP_4)
	v_dual_add_f32 v4, v4, v5 :: v_dual_mul_f32 v5, v139, v107
	v_add_f32_e32 v2, v2, v154
	v_mul_f32_e32 v6, v137, v105
	v_fma_f32 v7, v134, v102, -v7
	v_fmac_f32_e32 v160, v137, v104
	v_fma_f32 v5, v138, v106, -v5
	v_add_f32_e32 v2, v2, v155
	v_fma_f32 v6, v136, v104, -v6
	v_dual_add_f32 v4, v4, v7 :: v_dual_mul_f32 v7, v141, v109
	v_fmac_f32_e32 v162, v141, v108
	s_delay_alu instid0(VALU_DEP_4) | instskip(NEXT) | instid1(VALU_DEP_3)
	v_add_f32_e32 v2, v2, v156
	v_add_f32_e32 v4, v4, v6
	v_mul_f32_e32 v6, v147, v143
	v_fma_f32 v7, v140, v108, -v7
	s_delay_alu instid0(VALU_DEP_4) | instskip(NEXT) | instid1(VALU_DEP_4)
	v_add_f32_e32 v2, v2, v157
	v_add_f32_e32 v4, v4, v5
	s_delay_alu instid0(VALU_DEP_4) | instskip(NEXT) | instid1(VALU_DEP_3)
	v_fma_f32 v5, v146, v142, -v6
	v_add_f32_e32 v2, v2, v158
	s_delay_alu instid0(VALU_DEP_3) | instskip(NEXT) | instid1(VALU_DEP_2)
	v_add_f32_e32 v4, v4, v7
	v_add_f32_e32 v2, v2, v159
	s_delay_alu instid0(VALU_DEP_2) | instskip(NEXT) | instid1(VALU_DEP_2)
	v_add_f32_e32 v4, v4, v5
	v_add_f32_e32 v2, v2, v160
	s_wait_loadcnt 0x0
	s_delay_alu instid0(VALU_DEP_2) | instskip(NEXT) | instid1(VALU_DEP_2)
	v_sub_f32_e32 v4, v144, v4
	v_add_f32_e32 v2, v2, v161
	s_delay_alu instid0(VALU_DEP_1) | instskip(NEXT) | instid1(VALU_DEP_1)
	v_add_f32_e32 v2, v2, v162
	v_add_f32_e32 v2, v2, v163
	s_delay_alu instid0(VALU_DEP_1)
	v_sub_f32_e32 v5, v145, v2
	scratch_store_b64 off, v[4:5], off offset:152
	v_cmpx_lt_u32_e32 18, v0
	s_cbranch_execz .LBB100_199
; %bb.198:
	scratch_load_b64 v[4:5], off, off offset:144
	v_mov_b32_e32 v2, v1
	scratch_store_b64 off, v[1:2], off offset:144
	s_wait_loadcnt 0x0
	ds_store_b64 v3, v[4:5]
.LBB100_199:
	s_wait_alu 0xfffe
	s_or_b32 exec_lo, exec_lo, s0
	s_wait_storecnt_dscnt 0x0
	s_barrier_signal -1
	s_barrier_wait -1
	global_inv scope:SCOPE_SE
	s_clause 0x9
	scratch_load_b128 v[4:7], off, off offset:152
	scratch_load_b128 v[8:11], off, off offset:168
	;; [unrolled: 1-line block ×9, first 2 shown]
	scratch_load_b64 v[150:151], off, off offset:144
	ds_load_2addr_b64 v[114:117], v1 offset0:57 offset1:58
	ds_load_2addr_b64 v[118:121], v1 offset0:59 offset1:60
	;; [unrolled: 1-line block ×9, first 2 shown]
	s_mov_b32 s0, exec_lo
	s_wait_loadcnt_dscnt 0x908
	v_dual_mul_f32 v1, v114, v5 :: v_dual_mul_f32 v2, v116, v7
	v_mul_f32_e32 v7, v117, v7
	v_mul_f32_e32 v5, v115, v5
	s_wait_loadcnt_dscnt 0x807
	v_dual_mul_f32 v152, v118, v9 :: v_dual_mul_f32 v153, v120, v11
	s_wait_loadcnt_dscnt 0x201
	v_dual_fmac_f32 v1, v115, v4 :: v_dual_mul_f32 v164, v142, v107
	v_fma_f32 v5, v114, v4, -v5
	s_wait_loadcnt_dscnt 0x100
	v_dual_mul_f32 v167, v148, v113 :: v_dual_fmac_f32 v2, v117, v6
	v_mul_f32_e32 v4, v119, v9
	v_fma_f32 v6, v116, v6, -v7
	v_dual_add_f32 v5, 0, v5 :: v_dual_fmac_f32 v152, v119, v8
	v_mul_f32_e32 v7, v121, v11
	s_delay_alu instid0(VALU_DEP_4) | instskip(SKIP_1) | instid1(VALU_DEP_4)
	v_fma_f32 v4, v118, v8, -v4
	v_dual_mul_f32 v154, v122, v13 :: v_dual_mul_f32 v155, v124, v15
	v_add_f32_e32 v5, v5, v6
	s_delay_alu instid0(VALU_DEP_4) | instskip(SKIP_2) | instid1(VALU_DEP_4)
	v_fma_f32 v6, v120, v10, -v7
	v_dual_mul_f32 v156, v126, v17 :: v_dual_mul_f32 v157, v128, v19
	v_dual_mul_f32 v158, v130, v21 :: v_dual_mul_f32 v159, v132, v23
	v_add_f32_e32 v4, v5, v4
	v_dual_mul_f32 v160, v134, v99 :: v_dual_mul_f32 v161, v136, v101
	s_delay_alu instid0(VALU_DEP_4) | instskip(NEXT) | instid1(VALU_DEP_3)
	v_dual_fmac_f32 v154, v123, v12 :: v_dual_fmac_f32 v157, v129, v18
	v_dual_add_f32 v4, v4, v6 :: v_dual_add_f32 v1, 0, v1
	v_mul_f32_e32 v6, v127, v17
	v_fmac_f32_e32 v156, v127, v16
	v_dual_mul_f32 v162, v138, v103 :: v_dual_mul_f32 v163, v140, v105
	s_delay_alu instid0(VALU_DEP_4) | instskip(NEXT) | instid1(VALU_DEP_4)
	v_dual_add_f32 v1, v1, v2 :: v_dual_mul_f32 v2, v123, v13
	v_fma_f32 v6, v126, v16, -v6
	v_mul_f32_e32 v5, v125, v15
	v_dual_mul_f32 v165, v144, v109 :: v_dual_mul_f32 v166, v146, v111
	s_delay_alu instid0(VALU_DEP_4) | instskip(SKIP_1) | instid1(VALU_DEP_4)
	v_fma_f32 v2, v122, v12, -v2
	v_add_f32_e32 v1, v1, v152
	v_fma_f32 v5, v124, v14, -v5
	v_fmac_f32_e32 v167, v149, v112
	v_fmac_f32_e32 v158, v131, v20
	v_add_f32_e32 v2, v4, v2
	v_fmac_f32_e32 v153, v121, v10
	v_mul_f32_e32 v4, v129, v19
	v_fmac_f32_e32 v160, v135, v98
	v_fmac_f32_e32 v162, v139, v102
	v_add_f32_e32 v2, v2, v5
	v_add_f32_e32 v1, v1, v153
	v_mul_f32_e32 v5, v131, v21
	v_fma_f32 v4, v128, v18, -v4
	v_fmac_f32_e32 v164, v143, v106
	v_add_f32_e32 v2, v2, v6
	v_fmac_f32_e32 v155, v125, v14
	v_add_f32_e32 v1, v1, v154
	v_mul_f32_e32 v6, v133, v23
	v_fma_f32 v5, v130, v20, -v5
	v_add_f32_e32 v2, v2, v4
	v_mul_f32_e32 v4, v135, v99
	v_add_f32_e32 v1, v1, v155
	v_fma_f32 v6, v132, v22, -v6
	v_fmac_f32_e32 v166, v147, v110
	v_add_f32_e32 v2, v2, v5
	v_mul_f32_e32 v5, v137, v101
	v_add_f32_e32 v1, v1, v156
	v_fma_f32 v4, v134, v98, -v4
	s_delay_alu instid0(VALU_DEP_4) | instskip(NEXT) | instid1(VALU_DEP_3)
	v_add_f32_e32 v2, v2, v6
	v_dual_mul_f32 v6, v139, v103 :: v_dual_add_f32 v1, v1, v157
	v_fma_f32 v5, v136, v100, -v5
	s_delay_alu instid0(VALU_DEP_3) | instskip(SKIP_1) | instid1(VALU_DEP_4)
	v_dual_add_f32 v2, v2, v4 :: v_dual_fmac_f32 v159, v133, v22
	v_mul_f32_e32 v4, v141, v105
	v_fma_f32 v6, v138, v102, -v6
	s_delay_alu instid0(VALU_DEP_3) | instskip(SKIP_1) | instid1(VALU_DEP_4)
	v_dual_add_f32 v2, v2, v5 :: v_dual_fmac_f32 v161, v137, v100
	v_mul_f32_e32 v5, v143, v107
	v_fma_f32 v4, v140, v104, -v4
	s_delay_alu instid0(VALU_DEP_3) | instskip(SKIP_3) | instid1(VALU_DEP_3)
	v_add_f32_e32 v2, v2, v6
	v_add_f32_e32 v1, v1, v158
	v_mul_f32_e32 v6, v145, v109
	v_fma_f32 v5, v142, v106, -v5
	v_dual_add_f32 v2, v2, v4 :: v_dual_add_f32 v1, v1, v159
	v_dual_fmac_f32 v163, v141, v104 :: v_dual_mul_f32 v4, v147, v111
	s_delay_alu instid0(VALU_DEP_4) | instskip(NEXT) | instid1(VALU_DEP_3)
	v_fma_f32 v6, v144, v108, -v6
	v_dual_add_f32 v2, v2, v5 :: v_dual_add_f32 v1, v1, v160
	v_fmac_f32_e32 v165, v145, v108
	s_delay_alu instid0(VALU_DEP_4) | instskip(NEXT) | instid1(VALU_DEP_3)
	v_fma_f32 v4, v146, v110, -v4
	v_dual_mul_f32 v5, v149, v113 :: v_dual_add_f32 v2, v2, v6
	s_delay_alu instid0(VALU_DEP_4) | instskip(NEXT) | instid1(VALU_DEP_2)
	v_add_f32_e32 v1, v1, v161
	v_fma_f32 v5, v148, v112, -v5
	s_delay_alu instid0(VALU_DEP_2) | instskip(NEXT) | instid1(VALU_DEP_1)
	v_dual_add_f32 v2, v2, v4 :: v_dual_add_f32 v1, v1, v162
	v_dual_add_f32 v2, v2, v5 :: v_dual_add_f32 v1, v1, v163
	s_delay_alu instid0(VALU_DEP_1) | instskip(NEXT) | instid1(VALU_DEP_1)
	v_add_f32_e32 v1, v1, v164
	v_add_f32_e32 v1, v1, v165
	s_delay_alu instid0(VALU_DEP_1) | instskip(SKIP_1) | instid1(VALU_DEP_1)
	v_add_f32_e32 v1, v1, v166
	s_wait_loadcnt 0x0
	v_dual_add_f32 v4, v1, v167 :: v_dual_sub_f32 v1, v150, v2
	s_delay_alu instid0(VALU_DEP_1)
	v_sub_f32_e32 v2, v151, v4
	scratch_store_b64 off, v[1:2], off offset:144
	v_cmpx_lt_u32_e32 17, v0
	s_cbranch_execz .LBB100_201
; %bb.200:
	scratch_load_b64 v[1:2], off, off offset:136
	v_mov_b32_e32 v4, 0
	s_delay_alu instid0(VALU_DEP_1)
	v_mov_b32_e32 v5, v4
	scratch_store_b64 off, v[4:5], off offset:136
	s_wait_loadcnt 0x0
	ds_store_b64 v3, v[1:2]
.LBB100_201:
	s_wait_alu 0xfffe
	s_or_b32 exec_lo, exec_lo, s0
	s_wait_storecnt_dscnt 0x0
	s_barrier_signal -1
	s_barrier_wait -1
	global_inv scope:SCOPE_SE
	s_clause 0xa
	scratch_load_b128 v[4:7], off, off offset:144
	scratch_load_b128 v[8:11], off, off offset:160
	;; [unrolled: 1-line block ×9, first 2 shown]
	scratch_load_b64 v[150:151], off, off offset:288
	scratch_load_b64 v[152:153], off, off offset:136
	v_mov_b32_e32 v1, 0
	ds_load_b128 v[114:117], v1 offset:448
	ds_load_b128 v[118:121], v1 offset:464
	;; [unrolled: 1-line block ×9, first 2 shown]
	ds_load_b64 v[154:155], v1 offset:592
	s_mov_b32 s0, exec_lo
	s_wait_loadcnt_dscnt 0xa09
	v_mul_f32_e32 v2, v114, v5
	v_dual_mul_f32 v5, v115, v5 :: v_dual_mul_f32 v156, v116, v7
	s_wait_loadcnt_dscnt 0x605
	v_dual_mul_f32 v157, v118, v9 :: v_dual_mul_f32 v164, v132, v23
	v_mul_f32_e32 v7, v117, v7
	s_delay_alu instid0(VALU_DEP_3) | instskip(SKIP_3) | instid1(VALU_DEP_3)
	v_fma_f32 v5, v114, v4, -v5
	v_fmac_f32_e32 v2, v115, v4
	s_wait_loadcnt_dscnt 0x100
	v_dual_mul_f32 v4, v119, v9 :: v_dual_mul_f32 v173, v154, v151
	v_dual_fmac_f32 v156, v117, v6 :: v_dual_add_f32 v5, 0, v5
	v_fma_f32 v6, v116, v6, -v7
	v_dual_add_f32 v2, 0, v2 :: v_dual_mul_f32 v7, v121, v11
	s_delay_alu instid0(VALU_DEP_4) | instskip(SKIP_1) | instid1(VALU_DEP_3)
	v_fma_f32 v4, v118, v8, -v4
	v_dual_mul_f32 v160, v124, v15 :: v_dual_mul_f32 v161, v126, v17
	v_dual_add_f32 v5, v5, v6 :: v_dual_add_f32 v2, v2, v156
	v_mul_f32_e32 v6, v123, v13
	v_fma_f32 v7, v120, v10, -v7
	v_dual_mul_f32 v158, v120, v11 :: v_dual_mul_f32 v159, v122, v13
	s_delay_alu instid0(VALU_DEP_4) | instskip(SKIP_2) | instid1(VALU_DEP_4)
	v_add_f32_e32 v4, v5, v4
	v_mul_f32_e32 v5, v125, v15
	v_fma_f32 v6, v122, v12, -v6
	v_dual_fmac_f32 v157, v119, v8 :: v_dual_fmac_f32 v158, v121, v10
	s_delay_alu instid0(VALU_DEP_4) | instskip(SKIP_3) | instid1(VALU_DEP_4)
	v_dual_add_f32 v4, v4, v7 :: v_dual_fmac_f32 v161, v127, v16
	v_mul_f32_e32 v7, v127, v17
	v_fma_f32 v5, v124, v14, -v5
	v_dual_mul_f32 v165, v134, v99 :: v_dual_mul_f32 v166, v136, v101
	v_add_f32_e32 v4, v4, v6
	v_dual_add_f32 v2, v2, v157 :: v_dual_fmac_f32 v159, v123, v12
	s_delay_alu instid0(VALU_DEP_3) | instskip(SKIP_1) | instid1(VALU_DEP_4)
	v_dual_mul_f32 v6, v129, v19 :: v_dual_fmac_f32 v165, v135, v98
	v_fma_f32 v7, v126, v16, -v7
	v_add_f32_e32 v4, v4, v5
	s_delay_alu instid0(VALU_DEP_4) | instskip(NEXT) | instid1(VALU_DEP_4)
	v_dual_add_f32 v2, v2, v158 :: v_dual_mul_f32 v5, v131, v21
	v_fma_f32 v6, v128, v18, -v6
	v_dual_mul_f32 v171, v146, v111 :: v_dual_mul_f32 v172, v148, v113
	s_delay_alu instid0(VALU_DEP_4) | instskip(SKIP_2) | instid1(VALU_DEP_4)
	v_add_f32_e32 v4, v4, v7
	v_mul_f32_e32 v7, v133, v23
	v_fma_f32 v5, v130, v20, -v5
	v_dual_add_f32 v2, v2, v159 :: v_dual_fmac_f32 v171, v147, v110
	s_delay_alu instid0(VALU_DEP_4) | instskip(SKIP_3) | instid1(VALU_DEP_4)
	v_add_f32_e32 v4, v4, v6
	v_mul_f32_e32 v6, v135, v99
	v_fma_f32 v7, v132, v22, -v7
	v_dual_mul_f32 v162, v128, v19 :: v_dual_mul_f32 v163, v130, v21
	v_add_f32_e32 v4, v4, v5
	v_mul_f32_e32 v5, v137, v101
	v_fma_f32 v6, v134, v98, -v6
	s_delay_alu instid0(VALU_DEP_4) | instskip(NEXT) | instid1(VALU_DEP_4)
	v_dual_fmac_f32 v160, v125, v14 :: v_dual_fmac_f32 v163, v131, v20
	v_add_f32_e32 v4, v4, v7
	v_mul_f32_e32 v7, v139, v103
	v_fma_f32 v5, v136, v100, -v5
	v_dual_mul_f32 v167, v138, v103 :: v_dual_mul_f32 v168, v140, v105
	s_delay_alu instid0(VALU_DEP_4) | instskip(SKIP_2) | instid1(VALU_DEP_4)
	v_add_f32_e32 v4, v4, v6
	v_mul_f32_e32 v6, v141, v105
	v_fma_f32 v7, v138, v102, -v7
	v_dual_add_f32 v2, v2, v160 :: v_dual_fmac_f32 v167, v139, v102
	s_delay_alu instid0(VALU_DEP_4) | instskip(SKIP_3) | instid1(VALU_DEP_4)
	v_add_f32_e32 v4, v4, v5
	v_dual_fmac_f32 v162, v129, v18 :: v_dual_mul_f32 v5, v143, v107
	v_fma_f32 v6, v140, v104, -v6
	v_dual_mul_f32 v169, v142, v107 :: v_dual_mul_f32 v170, v144, v109
	v_add_f32_e32 v4, v4, v7
	v_add_f32_e32 v2, v2, v161
	v_mul_f32_e32 v7, v145, v109
	v_fma_f32 v5, v142, v106, -v5
	v_fmac_f32_e32 v169, v143, v106
	v_add_f32_e32 v4, v4, v6
	v_add_f32_e32 v2, v2, v162
	v_fma_f32 v7, v144, v108, -v7
	v_fmac_f32_e32 v164, v133, v22
	s_delay_alu instid0(VALU_DEP_4)
	v_dual_fmac_f32 v173, v155, v150 :: v_dual_add_f32 v4, v4, v5
	v_fmac_f32_e32 v166, v137, v100
	v_fmac_f32_e32 v168, v141, v104
	v_mul_f32_e32 v6, v147, v111
	v_fmac_f32_e32 v170, v145, v108
	v_add_f32_e32 v4, v4, v7
	v_mul_f32_e32 v7, v155, v151
	v_dual_add_f32 v2, v2, v163 :: v_dual_mul_f32 v5, v149, v113
	v_fma_f32 v6, v146, v110, -v6
	v_fmac_f32_e32 v172, v149, v112
	s_delay_alu instid0(VALU_DEP_3) | instskip(NEXT) | instid1(VALU_DEP_4)
	v_add_f32_e32 v2, v2, v164
	v_fma_f32 v5, v148, v112, -v5
	s_delay_alu instid0(VALU_DEP_4) | instskip(SKIP_1) | instid1(VALU_DEP_4)
	v_add_f32_e32 v4, v4, v6
	v_fma_f32 v6, v154, v150, -v7
	v_add_f32_e32 v2, v2, v165
	s_delay_alu instid0(VALU_DEP_3) | instskip(NEXT) | instid1(VALU_DEP_2)
	v_add_f32_e32 v4, v4, v5
	v_add_f32_e32 v2, v2, v166
	s_delay_alu instid0(VALU_DEP_2) | instskip(NEXT) | instid1(VALU_DEP_2)
	v_add_f32_e32 v4, v4, v6
	v_add_f32_e32 v2, v2, v167
	s_wait_loadcnt 0x0
	s_delay_alu instid0(VALU_DEP_2) | instskip(NEXT) | instid1(VALU_DEP_2)
	v_sub_f32_e32 v4, v152, v4
	v_add_f32_e32 v2, v2, v168
	s_delay_alu instid0(VALU_DEP_1) | instskip(NEXT) | instid1(VALU_DEP_1)
	v_add_f32_e32 v2, v2, v169
	v_add_f32_e32 v2, v2, v170
	s_delay_alu instid0(VALU_DEP_1) | instskip(NEXT) | instid1(VALU_DEP_1)
	v_add_f32_e32 v2, v2, v171
	;; [unrolled: 3-line block ×3, first 2 shown]
	v_sub_f32_e32 v5, v153, v2
	scratch_store_b64 off, v[4:5], off offset:136
	v_cmpx_lt_u32_e32 16, v0
	s_cbranch_execz .LBB100_203
; %bb.202:
	scratch_load_b64 v[4:5], off, off offset:128
	v_mov_b32_e32 v2, v1
	scratch_store_b64 off, v[1:2], off offset:128
	s_wait_loadcnt 0x0
	ds_store_b64 v3, v[4:5]
.LBB100_203:
	s_wait_alu 0xfffe
	s_or_b32 exec_lo, exec_lo, s0
	s_wait_storecnt_dscnt 0x0
	s_barrier_signal -1
	s_barrier_wait -1
	global_inv scope:SCOPE_SE
	s_clause 0xa
	scratch_load_b128 v[4:7], off, off offset:136
	scratch_load_b128 v[8:11], off, off offset:152
	;; [unrolled: 1-line block ×10, first 2 shown]
	scratch_load_b64 v[158:159], off, off offset:128
	ds_load_2addr_b64 v[118:121], v1 offset0:55 offset1:56
	ds_load_2addr_b64 v[122:125], v1 offset0:57 offset1:58
	;; [unrolled: 1-line block ×10, first 2 shown]
	s_mov_b32 s0, exec_lo
	s_wait_loadcnt_dscnt 0xa09
	v_dual_mul_f32 v1, v118, v5 :: v_dual_mul_f32 v2, v120, v7
	s_wait_loadcnt_dscnt 0x908
	v_dual_mul_f32 v7, v121, v7 :: v_dual_mul_f32 v160, v122, v9
	v_mul_f32_e32 v161, v124, v11
	v_mul_f32_e32 v5, v119, v5
	v_dual_fmac_f32 v1, v119, v4 :: v_dual_fmac_f32 v2, v121, v6
	s_wait_loadcnt_dscnt 0x100
	v_dual_mul_f32 v174, v150, v111 :: v_dual_mul_f32 v177, v156, v117
	s_delay_alu instid0(VALU_DEP_3) | instskip(SKIP_3) | instid1(VALU_DEP_4)
	v_fma_f32 v5, v118, v4, -v5
	v_mul_f32_e32 v4, v123, v9
	v_fma_f32 v6, v120, v6, -v7
	v_dual_mul_f32 v7, v125, v11 :: v_dual_fmac_f32 v160, v123, v8
	v_add_f32_e32 v5, 0, v5
	s_delay_alu instid0(VALU_DEP_4) | instskip(SKIP_2) | instid1(VALU_DEP_4)
	v_fma_f32 v4, v122, v8, -v4
	v_dual_mul_f32 v162, v126, v13 :: v_dual_mul_f32 v163, v128, v15
	v_dual_mul_f32 v164, v130, v17 :: v_dual_mul_f32 v165, v132, v19
	v_add_f32_e32 v5, v5, v6
	v_fma_f32 v6, v124, v10, -v7
	v_dual_mul_f32 v166, v134, v21 :: v_dual_mul_f32 v167, v136, v23
	v_dual_mul_f32 v168, v138, v99 :: v_dual_mul_f32 v169, v140, v101
	s_delay_alu instid0(VALU_DEP_4) | instskip(SKIP_2) | instid1(VALU_DEP_3)
	v_add_f32_e32 v4, v5, v4
	v_dual_fmac_f32 v165, v133, v18 :: v_dual_fmac_f32 v162, v127, v12
	v_dual_mul_f32 v170, v142, v103 :: v_dual_mul_f32 v171, v144, v105
	v_dual_add_f32 v4, v4, v6 :: v_dual_add_f32 v1, 0, v1
	v_mul_f32_e32 v6, v131, v17
	v_fmac_f32_e32 v164, v131, v16
	v_dual_mul_f32 v172, v146, v107 :: v_dual_mul_f32 v173, v148, v109
	s_delay_alu instid0(VALU_DEP_4) | instskip(NEXT) | instid1(VALU_DEP_4)
	v_dual_add_f32 v1, v1, v2 :: v_dual_mul_f32 v2, v127, v13
	v_fma_f32 v6, v130, v16, -v6
	v_mul_f32_e32 v5, v129, v15
	v_dual_mul_f32 v175, v152, v113 :: v_dual_mul_f32 v176, v154, v115
	s_delay_alu instid0(VALU_DEP_4) | instskip(SKIP_1) | instid1(VALU_DEP_4)
	v_fma_f32 v2, v126, v12, -v2
	v_add_f32_e32 v1, v1, v160
	v_fma_f32 v5, v128, v14, -v5
	v_fmac_f32_e32 v177, v157, v116
	v_fmac_f32_e32 v166, v135, v20
	v_add_f32_e32 v2, v4, v2
	v_fmac_f32_e32 v161, v125, v10
	v_mul_f32_e32 v4, v133, v19
	v_fmac_f32_e32 v168, v139, v98
	v_fmac_f32_e32 v170, v143, v102
	v_add_f32_e32 v2, v2, v5
	v_add_f32_e32 v1, v1, v161
	v_mul_f32_e32 v5, v135, v21
	v_fma_f32 v4, v132, v18, -v4
	v_fmac_f32_e32 v172, v147, v106
	v_add_f32_e32 v2, v2, v6
	v_fmac_f32_e32 v163, v129, v14
	v_add_f32_e32 v1, v1, v162
	v_mul_f32_e32 v6, v137, v23
	v_fma_f32 v5, v134, v20, -v5
	v_add_f32_e32 v2, v2, v4
	v_mul_f32_e32 v4, v139, v99
	v_add_f32_e32 v1, v1, v163
	v_fma_f32 v6, v136, v22, -v6
	v_fmac_f32_e32 v174, v151, v110
	v_add_f32_e32 v2, v2, v5
	v_mul_f32_e32 v5, v141, v101
	v_add_f32_e32 v1, v1, v164
	v_fma_f32 v4, v138, v98, -v4
	v_fmac_f32_e32 v176, v155, v114
	v_add_f32_e32 v2, v2, v6
	s_delay_alu instid0(VALU_DEP_4) | instskip(SKIP_1) | instid1(VALU_DEP_3)
	v_dual_mul_f32 v6, v143, v103 :: v_dual_add_f32 v1, v1, v165
	v_fma_f32 v5, v140, v100, -v5
	v_dual_add_f32 v2, v2, v4 :: v_dual_fmac_f32 v167, v137, v22
	v_mul_f32_e32 v4, v145, v105
	s_delay_alu instid0(VALU_DEP_4) | instskip(NEXT) | instid1(VALU_DEP_3)
	v_fma_f32 v6, v142, v102, -v6
	v_dual_add_f32 v2, v2, v5 :: v_dual_fmac_f32 v169, v141, v100
	v_mul_f32_e32 v5, v147, v107
	s_delay_alu instid0(VALU_DEP_4) | instskip(NEXT) | instid1(VALU_DEP_3)
	v_fma_f32 v4, v144, v104, -v4
	v_add_f32_e32 v2, v2, v6
	v_add_f32_e32 v1, v1, v166
	v_mul_f32_e32 v6, v149, v109
	v_fma_f32 v5, v146, v106, -v5
	s_delay_alu instid0(VALU_DEP_3) | instskip(SKIP_1) | instid1(VALU_DEP_4)
	v_dual_add_f32 v2, v2, v4 :: v_dual_add_f32 v1, v1, v167
	v_dual_fmac_f32 v171, v145, v104 :: v_dual_mul_f32 v4, v151, v111
	v_fma_f32 v6, v148, v108, -v6
	s_delay_alu instid0(VALU_DEP_3) | instskip(SKIP_1) | instid1(VALU_DEP_4)
	v_dual_add_f32 v2, v2, v5 :: v_dual_add_f32 v1, v1, v168
	v_fmac_f32_e32 v173, v149, v108
	v_fma_f32 v4, v150, v110, -v4
	s_delay_alu instid0(VALU_DEP_3) | instskip(SKIP_1) | instid1(VALU_DEP_2)
	v_dual_add_f32 v2, v2, v6 :: v_dual_add_f32 v1, v1, v169
	v_dual_mul_f32 v5, v153, v113 :: v_dual_mul_f32 v6, v155, v115
	v_dual_add_f32 v2, v2, v4 :: v_dual_add_f32 v1, v1, v170
	s_delay_alu instid0(VALU_DEP_2) | instskip(SKIP_3) | instid1(VALU_DEP_4)
	v_fma_f32 v5, v152, v112, -v5
	v_fmac_f32_e32 v175, v153, v112
	v_mul_f32_e32 v4, v157, v117
	v_fma_f32 v6, v154, v114, -v6
	v_dual_add_f32 v1, v1, v171 :: v_dual_add_f32 v2, v2, v5
	s_delay_alu instid0(VALU_DEP_3) | instskip(NEXT) | instid1(VALU_DEP_2)
	v_fma_f32 v4, v156, v116, -v4
	v_dual_add_f32 v1, v1, v172 :: v_dual_add_f32 v2, v2, v6
	s_delay_alu instid0(VALU_DEP_1) | instskip(NEXT) | instid1(VALU_DEP_1)
	v_dual_add_f32 v1, v1, v173 :: v_dual_add_f32 v2, v2, v4
	v_add_f32_e32 v1, v1, v174
	s_delay_alu instid0(VALU_DEP_1) | instskip(NEXT) | instid1(VALU_DEP_1)
	v_add_f32_e32 v1, v1, v175
	v_add_f32_e32 v1, v1, v176
	s_wait_loadcnt 0x0
	s_delay_alu instid0(VALU_DEP_1) | instskip(NEXT) | instid1(VALU_DEP_1)
	v_dual_add_f32 v4, v1, v177 :: v_dual_sub_f32 v1, v158, v2
	v_sub_f32_e32 v2, v159, v4
	scratch_store_b64 off, v[1:2], off offset:128
	v_cmpx_lt_u32_e32 15, v0
	s_cbranch_execz .LBB100_205
; %bb.204:
	scratch_load_b64 v[1:2], off, off offset:120
	v_mov_b32_e32 v4, 0
	s_delay_alu instid0(VALU_DEP_1)
	v_mov_b32_e32 v5, v4
	scratch_store_b64 off, v[4:5], off offset:120
	s_wait_loadcnt 0x0
	ds_store_b64 v3, v[1:2]
.LBB100_205:
	s_wait_alu 0xfffe
	s_or_b32 exec_lo, exec_lo, s0
	s_wait_storecnt_dscnt 0x0
	s_barrier_signal -1
	s_barrier_wait -1
	global_inv scope:SCOPE_SE
	s_clause 0xb
	scratch_load_b128 v[4:7], off, off offset:128
	scratch_load_b128 v[8:11], off, off offset:144
	scratch_load_b128 v[12:15], off, off offset:160
	scratch_load_b128 v[16:19], off, off offset:176
	scratch_load_b128 v[20:23], off, off offset:192
	scratch_load_b128 v[98:101], off, off offset:208
	scratch_load_b128 v[102:105], off, off offset:224
	scratch_load_b128 v[106:109], off, off offset:240
	scratch_load_b128 v[110:113], off, off offset:256
	scratch_load_b128 v[114:117], off, off offset:272
	scratch_load_b64 v[158:159], off, off offset:288
	scratch_load_b64 v[160:161], off, off offset:120
	v_mov_b32_e32 v1, 0
	ds_load_b128 v[118:121], v1 offset:432
	ds_load_b128 v[122:125], v1 offset:448
	;; [unrolled: 1-line block ×10, first 2 shown]
	ds_load_b64 v[162:163], v1 offset:592
	s_mov_b32 s0, exec_lo
	s_wait_loadcnt_dscnt 0xb0a
	v_mul_f32_e32 v2, v118, v5
	v_dual_mul_f32 v5, v119, v5 :: v_dual_mul_f32 v164, v120, v7
	s_wait_loadcnt_dscnt 0x706
	v_dual_mul_f32 v165, v122, v9 :: v_dual_mul_f32 v172, v136, v23
	v_mul_f32_e32 v7, v121, v7
	s_delay_alu instid0(VALU_DEP_3)
	v_fma_f32 v5, v118, v4, -v5
	v_fmac_f32_e32 v2, v119, v4
	v_mul_f32_e32 v4, v123, v9
	s_wait_loadcnt_dscnt 0x100
	v_dual_fmac_f32 v164, v121, v6 :: v_dual_mul_f32 v183, v162, v159
	v_fma_f32 v6, v120, v6, -v7
	v_dual_add_f32 v5, 0, v5 :: v_dual_add_f32 v2, 0, v2
	v_mul_f32_e32 v7, v125, v11
	v_fma_f32 v4, v122, v8, -v4
	v_dual_mul_f32 v168, v128, v15 :: v_dual_mul_f32 v169, v130, v17
	s_delay_alu instid0(VALU_DEP_4) | instskip(SKIP_3) | instid1(VALU_DEP_4)
	v_dual_add_f32 v5, v5, v6 :: v_dual_add_f32 v2, v2, v164
	v_mul_f32_e32 v6, v127, v13
	v_fma_f32 v7, v124, v10, -v7
	v_dual_mul_f32 v166, v124, v11 :: v_dual_mul_f32 v167, v126, v13
	v_add_f32_e32 v4, v5, v4
	v_mul_f32_e32 v5, v129, v15
	v_fma_f32 v6, v126, v12, -v6
	s_delay_alu instid0(VALU_DEP_4) | instskip(NEXT) | instid1(VALU_DEP_4)
	v_dual_fmac_f32 v165, v123, v8 :: v_dual_fmac_f32 v166, v125, v10
	v_dual_add_f32 v4, v4, v7 :: v_dual_fmac_f32 v169, v131, v16
	v_mul_f32_e32 v7, v131, v17
	v_fma_f32 v5, v128, v14, -v5
	v_dual_mul_f32 v173, v138, v99 :: v_dual_mul_f32 v174, v140, v101
	s_delay_alu instid0(VALU_DEP_4) | instskip(SKIP_1) | instid1(VALU_DEP_3)
	v_add_f32_e32 v4, v4, v6
	v_dual_add_f32 v2, v2, v165 :: v_dual_fmac_f32 v167, v127, v12
	v_dual_mul_f32 v6, v133, v19 :: v_dual_fmac_f32 v173, v139, v98
	v_fma_f32 v7, v130, v16, -v7
	s_delay_alu instid0(VALU_DEP_4) | instskip(NEXT) | instid1(VALU_DEP_4)
	v_add_f32_e32 v4, v4, v5
	v_dual_add_f32 v2, v2, v166 :: v_dual_mul_f32 v5, v135, v21
	s_delay_alu instid0(VALU_DEP_4) | instskip(SKIP_1) | instid1(VALU_DEP_4)
	v_fma_f32 v6, v132, v18, -v6
	v_dual_mul_f32 v179, v150, v111 :: v_dual_mul_f32 v180, v152, v113
	v_add_f32_e32 v4, v4, v7
	v_mul_f32_e32 v7, v137, v23
	v_fma_f32 v5, v134, v20, -v5
	s_delay_alu instid0(VALU_DEP_4) | instskip(NEXT) | instid1(VALU_DEP_4)
	v_dual_add_f32 v2, v2, v167 :: v_dual_fmac_f32 v179, v151, v110
	v_add_f32_e32 v4, v4, v6
	v_mul_f32_e32 v6, v139, v99
	v_fma_f32 v7, v136, v22, -v7
	v_dual_fmac_f32 v183, v163, v158 :: v_dual_mul_f32 v170, v132, v19
	v_mul_f32_e32 v171, v134, v21
	v_add_f32_e32 v4, v4, v5
	v_mul_f32_e32 v5, v141, v101
	v_fma_f32 v6, v138, v98, -v6
	s_delay_alu instid0(VALU_DEP_4) | instskip(NEXT) | instid1(VALU_DEP_4)
	v_dual_fmac_f32 v168, v129, v14 :: v_dual_fmac_f32 v171, v135, v20
	v_add_f32_e32 v4, v4, v7
	v_mul_f32_e32 v7, v143, v103
	v_fma_f32 v5, v140, v100, -v5
	v_dual_fmac_f32 v170, v133, v18 :: v_dual_mul_f32 v175, v142, v103
	v_mul_f32_e32 v176, v144, v105
	v_add_f32_e32 v4, v4, v6
	v_mul_f32_e32 v6, v145, v105
	v_fma_f32 v7, v142, v102, -v7
	v_dual_add_f32 v2, v2, v168 :: v_dual_fmac_f32 v175, v143, v102
	s_delay_alu instid0(VALU_DEP_4) | instskip(NEXT) | instid1(VALU_DEP_4)
	v_dual_add_f32 v4, v4, v5 :: v_dual_mul_f32 v5, v147, v107
	v_fma_f32 v6, v144, v104, -v6
	v_dual_mul_f32 v177, v146, v107 :: v_dual_mul_f32 v178, v148, v109
	s_delay_alu instid0(VALU_DEP_3) | instskip(NEXT) | instid1(VALU_DEP_4)
	v_dual_add_f32 v4, v4, v7 :: v_dual_mul_f32 v7, v149, v109
	v_fma_f32 v5, v146, v106, -v5
	s_delay_alu instid0(VALU_DEP_3) | instskip(NEXT) | instid1(VALU_DEP_3)
	v_dual_add_f32 v2, v2, v169 :: v_dual_fmac_f32 v177, v147, v106
	v_add_f32_e32 v4, v4, v6
	v_mul_f32_e32 v6, v151, v111
	v_fma_f32 v7, v148, v108, -v7
	s_delay_alu instid0(VALU_DEP_4)
	v_add_f32_e32 v2, v2, v170
	v_dual_mul_f32 v181, v154, v115 :: v_dual_mul_f32 v182, v156, v117
	v_add_f32_e32 v4, v4, v5
	v_mul_f32_e32 v5, v153, v113
	v_fma_f32 v6, v150, v110, -v6
	v_fmac_f32_e32 v172, v137, v22
	s_delay_alu instid0(VALU_DEP_4)
	v_dual_fmac_f32 v181, v155, v114 :: v_dual_add_f32 v4, v4, v7
	v_mul_f32_e32 v7, v155, v115
	v_add_f32_e32 v2, v2, v171
	v_fma_f32 v5, v152, v112, -v5
	v_fmac_f32_e32 v174, v141, v100
	v_add_f32_e32 v4, v4, v6
	v_fmac_f32_e32 v176, v145, v104
	v_fmac_f32_e32 v178, v149, v108
	;; [unrolled: 1-line block ×3, first 2 shown]
	v_mul_f32_e32 v6, v157, v117
	v_dual_add_f32 v4, v4, v5 :: v_dual_mul_f32 v5, v163, v159
	v_add_f32_e32 v2, v2, v172
	v_fma_f32 v7, v154, v114, -v7
	v_fmac_f32_e32 v182, v157, v116
	v_fma_f32 v6, v156, v116, -v6
	v_fma_f32 v5, v162, v158, -v5
	v_add_f32_e32 v2, v2, v173
	v_add_f32_e32 v4, v4, v7
	s_delay_alu instid0(VALU_DEP_2) | instskip(NEXT) | instid1(VALU_DEP_2)
	v_add_f32_e32 v2, v2, v174
	v_add_f32_e32 v4, v4, v6
	s_delay_alu instid0(VALU_DEP_2) | instskip(NEXT) | instid1(VALU_DEP_2)
	v_add_f32_e32 v2, v2, v175
	v_add_f32_e32 v4, v4, v5
	s_delay_alu instid0(VALU_DEP_2) | instskip(SKIP_1) | instid1(VALU_DEP_2)
	v_add_f32_e32 v2, v2, v176
	s_wait_loadcnt 0x0
	v_sub_f32_e32 v4, v160, v4
	s_delay_alu instid0(VALU_DEP_2) | instskip(NEXT) | instid1(VALU_DEP_1)
	v_add_f32_e32 v2, v2, v177
	v_add_f32_e32 v2, v2, v178
	s_delay_alu instid0(VALU_DEP_1) | instskip(NEXT) | instid1(VALU_DEP_1)
	v_add_f32_e32 v2, v2, v179
	v_add_f32_e32 v2, v2, v180
	s_delay_alu instid0(VALU_DEP_1) | instskip(NEXT) | instid1(VALU_DEP_1)
	;; [unrolled: 3-line block ×3, first 2 shown]
	v_add_f32_e32 v2, v2, v183
	v_sub_f32_e32 v5, v161, v2
	scratch_store_b64 off, v[4:5], off offset:120
	v_cmpx_lt_u32_e32 14, v0
	s_cbranch_execz .LBB100_207
; %bb.206:
	scratch_load_b64 v[4:5], off, off offset:112
	v_mov_b32_e32 v2, v1
	scratch_store_b64 off, v[1:2], off offset:112
	s_wait_loadcnt 0x0
	ds_store_b64 v3, v[4:5]
.LBB100_207:
	s_wait_alu 0xfffe
	s_or_b32 exec_lo, exec_lo, s0
	s_wait_storecnt_dscnt 0x0
	s_barrier_signal -1
	s_barrier_wait -1
	global_inv scope:SCOPE_SE
	s_clause 0xb
	scratch_load_b128 v[4:7], off, off offset:120
	scratch_load_b128 v[8:11], off, off offset:136
	;; [unrolled: 1-line block ×11, first 2 shown]
	scratch_load_b64 v[166:167], off, off offset:112
	ds_load_2addr_b64 v[122:125], v1 offset0:53 offset1:54
	ds_load_2addr_b64 v[126:129], v1 offset0:55 offset1:56
	;; [unrolled: 1-line block ×11, first 2 shown]
	s_mov_b32 s0, exec_lo
	s_wait_loadcnt_dscnt 0xb0a
	v_dual_mul_f32 v1, v122, v5 :: v_dual_mul_f32 v2, v124, v7
	s_wait_loadcnt_dscnt 0xa09
	v_dual_mul_f32 v7, v125, v7 :: v_dual_mul_f32 v168, v126, v9
	v_mul_f32_e32 v169, v128, v11
	v_mul_f32_e32 v5, v123, v5
	v_dual_fmac_f32 v1, v123, v4 :: v_dual_fmac_f32 v2, v125, v6
	s_wait_loadcnt_dscnt 0x908
	v_dual_mul_f32 v170, v130, v13 :: v_dual_mul_f32 v171, v132, v15
	s_wait_loadcnt_dscnt 0x201
	v_mul_f32_e32 v184, v158, v115
	v_fma_f32 v5, v122, v4, -v5
	s_wait_loadcnt_dscnt 0x100
	v_mul_f32_e32 v187, v164, v121
	v_mul_f32_e32 v4, v127, v9
	v_fma_f32 v6, v124, v6, -v7
	v_mul_f32_e32 v7, v129, v11
	v_dual_add_f32 v5, 0, v5 :: v_dual_fmac_f32 v168, v127, v8
	s_delay_alu instid0(VALU_DEP_4) | instskip(SKIP_1) | instid1(VALU_DEP_3)
	v_fma_f32 v4, v126, v8, -v4
	v_dual_mul_f32 v172, v134, v17 :: v_dual_mul_f32 v173, v136, v19
	v_add_f32_e32 v5, v5, v6
	v_fma_f32 v6, v128, v10, -v7
	v_dual_mul_f32 v174, v138, v21 :: v_dual_mul_f32 v175, v140, v23
	v_dual_mul_f32 v176, v142, v99 :: v_dual_mul_f32 v177, v144, v101
	s_delay_alu instid0(VALU_DEP_4) | instskip(SKIP_2) | instid1(VALU_DEP_3)
	v_add_f32_e32 v4, v5, v4
	v_dual_fmac_f32 v173, v137, v18 :: v_dual_mul_f32 v178, v146, v103
	v_dual_mul_f32 v179, v148, v105 :: v_dual_fmac_f32 v170, v131, v12
	v_dual_add_f32 v4, v4, v6 :: v_dual_add_f32 v1, 0, v1
	v_mul_f32_e32 v6, v135, v17
	v_fmac_f32_e32 v172, v135, v16
	v_dual_mul_f32 v180, v150, v107 :: v_dual_mul_f32 v181, v152, v109
	s_delay_alu instid0(VALU_DEP_4) | instskip(NEXT) | instid1(VALU_DEP_4)
	v_dual_add_f32 v1, v1, v2 :: v_dual_mul_f32 v2, v131, v13
	v_fma_f32 v6, v134, v16, -v6
	v_mul_f32_e32 v5, v133, v15
	v_dual_mul_f32 v182, v154, v111 :: v_dual_mul_f32 v183, v156, v113
	s_delay_alu instid0(VALU_DEP_4) | instskip(SKIP_1) | instid1(VALU_DEP_4)
	v_fma_f32 v2, v130, v12, -v2
	v_add_f32_e32 v1, v1, v168
	v_fma_f32 v5, v132, v14, -v5
	v_dual_mul_f32 v185, v160, v117 :: v_dual_mul_f32 v186, v162, v119
	s_delay_alu instid0(VALU_DEP_4) | instskip(SKIP_3) | instid1(VALU_DEP_4)
	v_add_f32_e32 v2, v4, v2
	v_fmac_f32_e32 v169, v129, v10
	v_mul_f32_e32 v4, v137, v19
	v_fmac_f32_e32 v174, v139, v20
	v_dual_fmac_f32 v187, v165, v120 :: v_dual_add_f32 v2, v2, v5
	s_delay_alu instid0(VALU_DEP_4)
	v_add_f32_e32 v1, v1, v169
	v_mul_f32_e32 v5, v139, v21
	v_fma_f32 v4, v136, v18, -v4
	v_fmac_f32_e32 v176, v143, v98
	v_add_f32_e32 v2, v2, v6
	v_fmac_f32_e32 v171, v133, v14
	v_add_f32_e32 v1, v1, v170
	v_mul_f32_e32 v6, v141, v23
	v_fma_f32 v5, v138, v20, -v5
	v_add_f32_e32 v2, v2, v4
	v_mul_f32_e32 v4, v143, v99
	v_add_f32_e32 v1, v1, v171
	v_fma_f32 v6, v140, v22, -v6
	v_fmac_f32_e32 v178, v147, v102
	v_add_f32_e32 v2, v2, v5
	v_mul_f32_e32 v5, v145, v101
	v_add_f32_e32 v1, v1, v172
	v_fma_f32 v4, v142, v98, -v4
	v_fmac_f32_e32 v180, v151, v106
	v_add_f32_e32 v2, v2, v6
	s_delay_alu instid0(VALU_DEP_4) | instskip(SKIP_2) | instid1(VALU_DEP_4)
	v_dual_mul_f32 v6, v147, v103 :: v_dual_add_f32 v1, v1, v173
	v_fma_f32 v5, v144, v100, -v5
	v_fmac_f32_e32 v182, v155, v110
	v_dual_add_f32 v2, v2, v4 :: v_dual_fmac_f32 v175, v141, v22
	v_mul_f32_e32 v4, v149, v105
	v_fma_f32 v6, v146, v102, -v6
	v_fmac_f32_e32 v184, v159, v114
	s_delay_alu instid0(VALU_DEP_4) | instskip(SKIP_3) | instid1(VALU_DEP_4)
	v_dual_add_f32 v2, v2, v5 :: v_dual_fmac_f32 v177, v145, v100
	v_mul_f32_e32 v5, v151, v107
	v_fma_f32 v4, v148, v104, -v4
	v_fmac_f32_e32 v186, v163, v118
	v_add_f32_e32 v2, v2, v6
	v_add_f32_e32 v1, v1, v174
	v_mul_f32_e32 v6, v153, v109
	v_fma_f32 v5, v150, v106, -v5
	s_delay_alu instid0(VALU_DEP_3) | instskip(SKIP_1) | instid1(VALU_DEP_4)
	v_dual_add_f32 v2, v2, v4 :: v_dual_add_f32 v1, v1, v175
	v_dual_fmac_f32 v179, v149, v104 :: v_dual_mul_f32 v4, v155, v111
	v_fma_f32 v6, v152, v108, -v6
	s_delay_alu instid0(VALU_DEP_3) | instskip(SKIP_1) | instid1(VALU_DEP_4)
	v_dual_add_f32 v2, v2, v5 :: v_dual_add_f32 v1, v1, v176
	v_fmac_f32_e32 v181, v153, v108
	v_fma_f32 v4, v154, v110, -v4
	s_delay_alu instid0(VALU_DEP_3) | instskip(SKIP_1) | instid1(VALU_DEP_2)
	v_dual_add_f32 v2, v2, v6 :: v_dual_add_f32 v1, v1, v177
	v_dual_mul_f32 v5, v157, v113 :: v_dual_mul_f32 v6, v159, v115
	v_dual_add_f32 v2, v2, v4 :: v_dual_add_f32 v1, v1, v178
	s_delay_alu instid0(VALU_DEP_2) | instskip(SKIP_3) | instid1(VALU_DEP_4)
	v_fma_f32 v5, v156, v112, -v5
	v_fmac_f32_e32 v183, v157, v112
	v_mul_f32_e32 v4, v161, v117
	v_fma_f32 v6, v158, v114, -v6
	v_dual_add_f32 v1, v1, v179 :: v_dual_add_f32 v2, v2, v5
	v_mul_f32_e32 v5, v163, v119
	s_delay_alu instid0(VALU_DEP_4) | instskip(NEXT) | instid1(VALU_DEP_3)
	v_fma_f32 v4, v160, v116, -v4
	v_dual_add_f32 v1, v1, v180 :: v_dual_add_f32 v2, v2, v6
	v_mul_f32_e32 v6, v165, v121
	s_delay_alu instid0(VALU_DEP_4) | instskip(NEXT) | instid1(VALU_DEP_3)
	v_fma_f32 v5, v162, v118, -v5
	v_dual_add_f32 v1, v1, v181 :: v_dual_add_f32 v2, v2, v4
	v_fmac_f32_e32 v185, v161, v116
	s_delay_alu instid0(VALU_DEP_4) | instskip(NEXT) | instid1(VALU_DEP_3)
	v_fma_f32 v4, v164, v120, -v6
	v_dual_add_f32 v1, v1, v182 :: v_dual_add_f32 v2, v2, v5
	s_delay_alu instid0(VALU_DEP_1) | instskip(NEXT) | instid1(VALU_DEP_1)
	v_dual_add_f32 v1, v1, v183 :: v_dual_add_f32 v2, v2, v4
	v_add_f32_e32 v1, v1, v184
	s_delay_alu instid0(VALU_DEP_1) | instskip(NEXT) | instid1(VALU_DEP_1)
	v_add_f32_e32 v1, v1, v185
	v_add_f32_e32 v1, v1, v186
	s_wait_loadcnt 0x0
	s_delay_alu instid0(VALU_DEP_1) | instskip(NEXT) | instid1(VALU_DEP_1)
	v_dual_add_f32 v4, v1, v187 :: v_dual_sub_f32 v1, v166, v2
	v_sub_f32_e32 v2, v167, v4
	scratch_store_b64 off, v[1:2], off offset:112
	v_cmpx_lt_u32_e32 13, v0
	s_cbranch_execz .LBB100_209
; %bb.208:
	scratch_load_b64 v[1:2], off, off offset:104
	v_mov_b32_e32 v4, 0
	s_delay_alu instid0(VALU_DEP_1)
	v_mov_b32_e32 v5, v4
	scratch_store_b64 off, v[4:5], off offset:104
	s_wait_loadcnt 0x0
	ds_store_b64 v3, v[1:2]
.LBB100_209:
	s_wait_alu 0xfffe
	s_or_b32 exec_lo, exec_lo, s0
	s_wait_storecnt_dscnt 0x0
	s_barrier_signal -1
	s_barrier_wait -1
	global_inv scope:SCOPE_SE
	s_clause 0xc
	scratch_load_b128 v[4:7], off, off offset:112
	scratch_load_b128 v[8:11], off, off offset:128
	;; [unrolled: 1-line block ×11, first 2 shown]
	scratch_load_b64 v[166:167], off, off offset:288
	scratch_load_b64 v[168:169], off, off offset:104
	v_mov_b32_e32 v1, 0
	ds_load_b128 v[122:125], v1 offset:416
	ds_load_b128 v[126:129], v1 offset:432
	ds_load_b128 v[130:133], v1 offset:448
	ds_load_b128 v[134:137], v1 offset:464
	ds_load_b128 v[138:141], v1 offset:480
	ds_load_b128 v[142:145], v1 offset:496
	ds_load_b128 v[146:149], v1 offset:512
	ds_load_b128 v[150:153], v1 offset:528
	ds_load_b128 v[154:157], v1 offset:544
	ds_load_b128 v[158:161], v1 offset:560
	ds_load_b128 v[162:165], v1 offset:576
	ds_load_b64 v[170:171], v1 offset:592
	s_mov_b32 s0, exec_lo
	s_wait_loadcnt_dscnt 0xc0b
	v_mul_f32_e32 v2, v122, v5
	v_dual_mul_f32 v5, v123, v5 :: v_dual_mul_f32 v172, v124, v7
	s_wait_loadcnt_dscnt 0x807
	v_dual_mul_f32 v173, v126, v9 :: v_dual_mul_f32 v180, v140, v23
	v_mul_f32_e32 v7, v125, v7
	s_delay_alu instid0(VALU_DEP_3)
	v_fma_f32 v5, v122, v4, -v5
	v_fmac_f32_e32 v2, v123, v4
	v_mul_f32_e32 v4, v127, v9
	v_fmac_f32_e32 v172, v125, v6
	v_fma_f32 v6, v124, v6, -v7
	s_wait_loadcnt_dscnt 0x100
	v_mul_f32_e32 v193, v170, v167
	v_dual_add_f32 v5, 0, v5 :: v_dual_add_f32 v2, 0, v2
	v_mul_f32_e32 v7, v129, v11
	v_fma_f32 v4, v126, v8, -v4
	v_dual_mul_f32 v176, v132, v15 :: v_dual_mul_f32 v177, v134, v17
	s_delay_alu instid0(VALU_DEP_4) | instskip(SKIP_3) | instid1(VALU_DEP_4)
	v_dual_add_f32 v5, v5, v6 :: v_dual_add_f32 v2, v2, v172
	v_mul_f32_e32 v6, v131, v13
	v_fma_f32 v7, v128, v10, -v7
	v_dual_mul_f32 v174, v128, v11 :: v_dual_mul_f32 v175, v130, v13
	v_add_f32_e32 v4, v5, v4
	v_mul_f32_e32 v5, v133, v15
	v_fma_f32 v6, v130, v12, -v6
	s_delay_alu instid0(VALU_DEP_4) | instskip(NEXT) | instid1(VALU_DEP_4)
	v_dual_fmac_f32 v173, v127, v8 :: v_dual_fmac_f32 v174, v129, v10
	v_dual_add_f32 v4, v4, v7 :: v_dual_fmac_f32 v177, v135, v16
	v_mul_f32_e32 v7, v135, v17
	v_fma_f32 v5, v132, v14, -v5
	v_dual_mul_f32 v181, v142, v99 :: v_dual_mul_f32 v182, v144, v101
	s_delay_alu instid0(VALU_DEP_4) | instskip(SKIP_1) | instid1(VALU_DEP_3)
	v_add_f32_e32 v4, v4, v6
	v_dual_add_f32 v2, v2, v173 :: v_dual_fmac_f32 v175, v131, v12
	v_dual_mul_f32 v6, v137, v19 :: v_dual_fmac_f32 v181, v143, v98
	v_fma_f32 v7, v134, v16, -v7
	s_delay_alu instid0(VALU_DEP_4) | instskip(NEXT) | instid1(VALU_DEP_4)
	v_add_f32_e32 v4, v4, v5
	v_dual_add_f32 v2, v2, v174 :: v_dual_mul_f32 v5, v139, v21
	s_delay_alu instid0(VALU_DEP_4) | instskip(SKIP_1) | instid1(VALU_DEP_4)
	v_fma_f32 v6, v136, v18, -v6
	v_dual_mul_f32 v187, v154, v111 :: v_dual_mul_f32 v188, v156, v113
	v_add_f32_e32 v4, v4, v7
	v_mul_f32_e32 v7, v141, v23
	v_fma_f32 v5, v138, v20, -v5
	v_dual_mul_f32 v191, v162, v119 :: v_dual_mul_f32 v192, v164, v121
	s_delay_alu instid0(VALU_DEP_4) | instskip(SKIP_3) | instid1(VALU_DEP_4)
	v_add_f32_e32 v4, v4, v6
	v_mul_f32_e32 v6, v143, v99
	v_fma_f32 v7, v140, v22, -v7
	v_dual_add_f32 v2, v2, v175 :: v_dual_fmac_f32 v187, v155, v110
	v_add_f32_e32 v4, v4, v5
	v_mul_f32_e32 v5, v145, v101
	v_fma_f32 v6, v142, v98, -v6
	v_dual_fmac_f32 v191, v163, v118 :: v_dual_mul_f32 v178, v136, v19
	s_delay_alu instid0(VALU_DEP_4) | instskip(SKIP_2) | instid1(VALU_DEP_3)
	v_dual_mul_f32 v179, v138, v21 :: v_dual_add_f32 v4, v4, v7
	v_mul_f32_e32 v7, v147, v103
	v_fma_f32 v5, v144, v100, -v5
	v_dual_fmac_f32 v176, v133, v14 :: v_dual_fmac_f32 v179, v139, v20
	s_delay_alu instid0(VALU_DEP_4)
	v_add_f32_e32 v4, v4, v6
	v_mul_f32_e32 v6, v149, v105
	v_fma_f32 v7, v146, v102, -v7
	v_dual_fmac_f32 v178, v137, v18 :: v_dual_mul_f32 v183, v146, v103
	v_mul_f32_e32 v184, v148, v105
	v_dual_add_f32 v4, v4, v5 :: v_dual_mul_f32 v5, v151, v107
	v_fma_f32 v6, v148, v104, -v6
	s_delay_alu instid0(VALU_DEP_4) | instskip(NEXT) | instid1(VALU_DEP_3)
	v_dual_add_f32 v2, v2, v176 :: v_dual_fmac_f32 v183, v147, v102
	v_dual_add_f32 v4, v4, v7 :: v_dual_mul_f32 v7, v153, v109
	s_delay_alu instid0(VALU_DEP_4) | instskip(SKIP_1) | instid1(VALU_DEP_3)
	v_fma_f32 v5, v150, v106, -v5
	v_dual_mul_f32 v185, v150, v107 :: v_dual_mul_f32 v186, v152, v109
	v_add_f32_e32 v4, v4, v6
	v_add_f32_e32 v2, v2, v177
	v_mul_f32_e32 v6, v155, v111
	v_fma_f32 v7, v152, v108, -v7
	s_delay_alu instid0(VALU_DEP_4) | instskip(NEXT) | instid1(VALU_DEP_4)
	v_dual_fmac_f32 v185, v151, v106 :: v_dual_add_f32 v4, v4, v5
	v_dual_add_f32 v2, v2, v178 :: v_dual_mul_f32 v5, v157, v113
	s_delay_alu instid0(VALU_DEP_4) | instskip(SKIP_1) | instid1(VALU_DEP_4)
	v_fma_f32 v6, v154, v110, -v6
	v_dual_mul_f32 v189, v158, v115 :: v_dual_mul_f32 v190, v160, v117
	v_add_f32_e32 v4, v4, v7
	v_dual_fmac_f32 v180, v141, v22 :: v_dual_mul_f32 v7, v159, v115
	s_delay_alu instid0(VALU_DEP_3) | instskip(SKIP_1) | instid1(VALU_DEP_4)
	v_dual_add_f32 v2, v2, v179 :: v_dual_fmac_f32 v189, v159, v114
	v_fma_f32 v5, v156, v112, -v5
	v_add_f32_e32 v4, v4, v6
	v_dual_fmac_f32 v182, v145, v100 :: v_dual_fmac_f32 v193, v171, v166
	v_fmac_f32_e32 v184, v149, v104
	v_fmac_f32_e32 v186, v153, v108
	s_delay_alu instid0(VALU_DEP_4)
	v_dual_add_f32 v4, v4, v5 :: v_dual_mul_f32 v5, v163, v119
	v_add_f32_e32 v2, v2, v180
	v_fmac_f32_e32 v188, v157, v112
	v_mul_f32_e32 v6, v161, v117
	v_fma_f32 v7, v158, v114, -v7
	v_fmac_f32_e32 v190, v161, v116
	v_add_f32_e32 v2, v2, v181
	v_fma_f32 v5, v162, v118, -v5
	v_fma_f32 v6, v160, v116, -v6
	v_dual_add_f32 v4, v4, v7 :: v_dual_mul_f32 v7, v165, v121
	s_delay_alu instid0(VALU_DEP_4) | instskip(SKIP_1) | instid1(VALU_DEP_3)
	v_add_f32_e32 v2, v2, v182
	v_fmac_f32_e32 v192, v165, v120
	v_add_f32_e32 v4, v4, v6
	v_mul_f32_e32 v6, v171, v167
	s_delay_alu instid0(VALU_DEP_4) | instskip(SKIP_1) | instid1(VALU_DEP_4)
	v_add_f32_e32 v2, v2, v183
	v_fma_f32 v7, v164, v120, -v7
	v_add_f32_e32 v4, v4, v5
	s_delay_alu instid0(VALU_DEP_4) | instskip(NEXT) | instid1(VALU_DEP_4)
	v_fma_f32 v5, v170, v166, -v6
	v_add_f32_e32 v2, v2, v184
	s_delay_alu instid0(VALU_DEP_3) | instskip(NEXT) | instid1(VALU_DEP_2)
	v_add_f32_e32 v4, v4, v7
	v_add_f32_e32 v2, v2, v185
	s_delay_alu instid0(VALU_DEP_2) | instskip(NEXT) | instid1(VALU_DEP_2)
	v_add_f32_e32 v4, v4, v5
	v_add_f32_e32 v2, v2, v186
	s_wait_loadcnt 0x0
	s_delay_alu instid0(VALU_DEP_2) | instskip(NEXT) | instid1(VALU_DEP_2)
	v_sub_f32_e32 v4, v168, v4
	v_add_f32_e32 v2, v2, v187
	s_delay_alu instid0(VALU_DEP_1) | instskip(NEXT) | instid1(VALU_DEP_1)
	v_add_f32_e32 v2, v2, v188
	v_add_f32_e32 v2, v2, v189
	s_delay_alu instid0(VALU_DEP_1) | instskip(NEXT) | instid1(VALU_DEP_1)
	v_add_f32_e32 v2, v2, v190
	;; [unrolled: 3-line block ×3, first 2 shown]
	v_add_f32_e32 v2, v2, v193
	s_delay_alu instid0(VALU_DEP_1)
	v_sub_f32_e32 v5, v169, v2
	scratch_store_b64 off, v[4:5], off offset:104
	v_cmpx_lt_u32_e32 12, v0
	s_cbranch_execz .LBB100_211
; %bb.210:
	scratch_load_b64 v[4:5], off, off offset:96
	v_mov_b32_e32 v2, v1
	scratch_store_b64 off, v[1:2], off offset:96
	s_wait_loadcnt 0x0
	ds_store_b64 v3, v[4:5]
.LBB100_211:
	s_wait_alu 0xfffe
	s_or_b32 exec_lo, exec_lo, s0
	s_wait_storecnt_dscnt 0x0
	s_barrier_signal -1
	s_barrier_wait -1
	global_inv scope:SCOPE_SE
	s_clause 0xc
	scratch_load_b128 v[4:7], off, off offset:104
	scratch_load_b128 v[8:11], off, off offset:120
	;; [unrolled: 1-line block ×12, first 2 shown]
	scratch_load_b64 v[174:175], off, off offset:96
	ds_load_2addr_b64 v[126:129], v1 offset0:51 offset1:52
	ds_load_2addr_b64 v[130:133], v1 offset0:53 offset1:54
	;; [unrolled: 1-line block ×12, first 2 shown]
	s_mov_b32 s0, exec_lo
	s_wait_loadcnt_dscnt 0xc0b
	v_dual_mul_f32 v1, v126, v5 :: v_dual_mul_f32 v2, v128, v7
	s_wait_loadcnt_dscnt 0xb0a
	v_dual_mul_f32 v7, v129, v7 :: v_dual_mul_f32 v176, v130, v9
	v_mul_f32_e32 v177, v132, v11
	s_delay_alu instid0(VALU_DEP_3)
	v_fmac_f32_e32 v1, v127, v4
	v_dual_mul_f32 v5, v127, v5 :: v_dual_fmac_f32 v2, v129, v6
	s_wait_loadcnt_dscnt 0xa09
	v_dual_mul_f32 v178, v134, v13 :: v_dual_mul_f32 v179, v136, v15
	s_wait_loadcnt_dscnt 0x201
	v_mul_f32_e32 v194, v166, v119
	v_fma_f32 v5, v126, v4, -v5
	s_wait_loadcnt_dscnt 0x100
	v_mul_f32_e32 v197, v172, v125
	v_mul_f32_e32 v4, v131, v9
	v_fma_f32 v6, v128, v6, -v7
	v_mul_f32_e32 v7, v133, v11
	v_dual_add_f32 v5, 0, v5 :: v_dual_fmac_f32 v176, v131, v8
	s_delay_alu instid0(VALU_DEP_4) | instskip(SKIP_1) | instid1(VALU_DEP_3)
	v_fma_f32 v4, v130, v8, -v4
	v_dual_mul_f32 v180, v138, v17 :: v_dual_mul_f32 v181, v140, v19
	v_add_f32_e32 v5, v5, v6
	v_fma_f32 v6, v132, v10, -v7
	v_dual_mul_f32 v182, v142, v21 :: v_dual_mul_f32 v183, v144, v23
	v_dual_mul_f32 v184, v146, v99 :: v_dual_mul_f32 v185, v148, v101
	s_delay_alu instid0(VALU_DEP_4) | instskip(SKIP_2) | instid1(VALU_DEP_3)
	v_add_f32_e32 v4, v5, v4
	v_dual_fmac_f32 v181, v141, v18 :: v_dual_mul_f32 v186, v150, v103
	v_dual_mul_f32 v187, v152, v105 :: v_dual_fmac_f32 v178, v135, v12
	v_dual_add_f32 v4, v4, v6 :: v_dual_add_f32 v1, 0, v1
	v_mul_f32_e32 v6, v139, v17
	v_dual_mul_f32 v188, v154, v107 :: v_dual_mul_f32 v189, v156, v109
	s_delay_alu instid0(VALU_DEP_3) | instskip(SKIP_1) | instid1(VALU_DEP_4)
	v_dual_fmac_f32 v180, v139, v16 :: v_dual_add_f32 v1, v1, v2
	v_mul_f32_e32 v2, v135, v13
	v_fma_f32 v6, v138, v16, -v6
	v_mul_f32_e32 v5, v137, v15
	v_dual_mul_f32 v190, v158, v111 :: v_dual_mul_f32 v191, v160, v113
	s_delay_alu instid0(VALU_DEP_4) | instskip(SKIP_1) | instid1(VALU_DEP_4)
	v_fma_f32 v2, v134, v12, -v2
	v_add_f32_e32 v1, v1, v176
	v_fma_f32 v5, v136, v14, -v5
	v_dual_mul_f32 v192, v162, v115 :: v_dual_mul_f32 v193, v164, v117
	s_delay_alu instid0(VALU_DEP_4) | instskip(SKIP_3) | instid1(VALU_DEP_4)
	v_add_f32_e32 v2, v4, v2
	v_fmac_f32_e32 v177, v133, v10
	v_mul_f32_e32 v4, v141, v19
	v_fmac_f32_e32 v182, v143, v20
	v_dual_fmac_f32 v193, v165, v116 :: v_dual_add_f32 v2, v2, v5
	s_delay_alu instid0(VALU_DEP_4)
	v_add_f32_e32 v1, v1, v177
	v_mul_f32_e32 v5, v143, v21
	v_fma_f32 v4, v140, v18, -v4
	v_dual_mul_f32 v195, v168, v121 :: v_dual_mul_f32 v196, v170, v123
	v_add_f32_e32 v2, v2, v6
	v_fmac_f32_e32 v179, v137, v14
	v_add_f32_e32 v1, v1, v178
	v_mul_f32_e32 v6, v145, v23
	v_fma_f32 v5, v142, v20, -v5
	v_add_f32_e32 v2, v2, v4
	v_mul_f32_e32 v4, v147, v99
	v_add_f32_e32 v1, v1, v179
	v_fma_f32 v6, v144, v22, -v6
	v_fmac_f32_e32 v184, v147, v98
	v_add_f32_e32 v2, v2, v5
	v_mul_f32_e32 v5, v149, v101
	v_add_f32_e32 v1, v1, v180
	v_fma_f32 v4, v146, v98, -v4
	s_delay_alu instid0(VALU_DEP_4) | instskip(NEXT) | instid1(VALU_DEP_3)
	v_dual_fmac_f32 v197, v173, v124 :: v_dual_add_f32 v2, v2, v6
	v_dual_mul_f32 v6, v151, v103 :: v_dual_add_f32 v1, v1, v181
	v_fma_f32 v5, v148, v100, -v5
	v_fmac_f32_e32 v186, v151, v102
	s_delay_alu instid0(VALU_DEP_4) | instskip(SKIP_3) | instid1(VALU_DEP_4)
	v_dual_add_f32 v2, v2, v4 :: v_dual_fmac_f32 v183, v145, v22
	v_mul_f32_e32 v4, v153, v105
	v_fma_f32 v6, v150, v102, -v6
	v_fmac_f32_e32 v188, v155, v106
	v_dual_add_f32 v2, v2, v5 :: v_dual_fmac_f32 v185, v149, v100
	v_mul_f32_e32 v5, v155, v107
	v_fma_f32 v4, v152, v104, -v4
	v_fmac_f32_e32 v190, v159, v110
	s_delay_alu instid0(VALU_DEP_4) | instskip(SKIP_4) | instid1(VALU_DEP_4)
	v_add_f32_e32 v2, v2, v6
	v_add_f32_e32 v1, v1, v182
	v_mul_f32_e32 v6, v157, v109
	v_fma_f32 v5, v154, v106, -v5
	v_fmac_f32_e32 v192, v163, v114
	v_dual_add_f32 v2, v2, v4 :: v_dual_add_f32 v1, v1, v183
	v_dual_fmac_f32 v187, v153, v104 :: v_dual_mul_f32 v4, v159, v111
	v_fma_f32 v6, v156, v108, -v6
	s_delay_alu instid0(VALU_DEP_3) | instskip(SKIP_1) | instid1(VALU_DEP_4)
	v_dual_add_f32 v2, v2, v5 :: v_dual_add_f32 v1, v1, v184
	v_fmac_f32_e32 v189, v157, v108
	v_fma_f32 v4, v158, v110, -v4
	v_fmac_f32_e32 v194, v167, v118
	s_delay_alu instid0(VALU_DEP_4) | instskip(SKIP_2) | instid1(VALU_DEP_3)
	v_dual_add_f32 v2, v2, v6 :: v_dual_add_f32 v1, v1, v185
	v_dual_mul_f32 v5, v161, v113 :: v_dual_mul_f32 v6, v163, v115
	v_fmac_f32_e32 v196, v171, v122
	v_dual_add_f32 v2, v2, v4 :: v_dual_add_f32 v1, v1, v186
	s_delay_alu instid0(VALU_DEP_3) | instskip(SKIP_3) | instid1(VALU_DEP_4)
	v_fma_f32 v5, v160, v112, -v5
	v_fmac_f32_e32 v191, v161, v112
	v_mul_f32_e32 v4, v165, v117
	v_fma_f32 v6, v162, v114, -v6
	v_dual_add_f32 v1, v1, v187 :: v_dual_add_f32 v2, v2, v5
	v_mul_f32_e32 v5, v167, v119
	s_delay_alu instid0(VALU_DEP_4) | instskip(NEXT) | instid1(VALU_DEP_3)
	v_fma_f32 v4, v164, v116, -v4
	v_dual_add_f32 v1, v1, v188 :: v_dual_add_f32 v2, v2, v6
	v_mul_f32_e32 v6, v169, v121
	s_delay_alu instid0(VALU_DEP_4) | instskip(NEXT) | instid1(VALU_DEP_3)
	;; [unrolled: 4-line block ×3, first 2 shown]
	v_fma_f32 v6, v168, v120, -v6
	v_dual_add_f32 v1, v1, v190 :: v_dual_add_f32 v2, v2, v5
	v_fmac_f32_e32 v195, v169, v120
	s_delay_alu instid0(VALU_DEP_4) | instskip(NEXT) | instid1(VALU_DEP_3)
	v_fma_f32 v4, v170, v122, -v4
	v_dual_add_f32 v1, v1, v191 :: v_dual_add_f32 v2, v2, v6
	s_delay_alu instid0(VALU_DEP_1) | instskip(NEXT) | instid1(VALU_DEP_1)
	v_add_f32_e32 v1, v1, v192
	v_dual_add_f32 v2, v2, v4 :: v_dual_add_f32 v1, v1, v193
	s_delay_alu instid0(VALU_DEP_1) | instskip(NEXT) | instid1(VALU_DEP_1)
	v_add_f32_e32 v1, v1, v194
	v_add_f32_e32 v1, v1, v195
	s_delay_alu instid0(VALU_DEP_1) | instskip(NEXT) | instid1(VALU_DEP_1)
	v_add_f32_e32 v1, v1, v196
	v_add_f32_e32 v4, v1, v197
	v_mul_f32_e32 v5, v173, v125
	s_delay_alu instid0(VALU_DEP_1) | instskip(NEXT) | instid1(VALU_DEP_1)
	v_fma_f32 v5, v172, v124, -v5
	v_add_f32_e32 v2, v2, v5
	s_wait_loadcnt 0x0
	s_delay_alu instid0(VALU_DEP_1)
	v_dual_sub_f32 v1, v174, v2 :: v_dual_sub_f32 v2, v175, v4
	scratch_store_b64 off, v[1:2], off offset:96
	v_cmpx_lt_u32_e32 11, v0
	s_cbranch_execz .LBB100_213
; %bb.212:
	scratch_load_b64 v[1:2], off, off offset:88
	v_mov_b32_e32 v4, 0
	s_delay_alu instid0(VALU_DEP_1)
	v_mov_b32_e32 v5, v4
	scratch_store_b64 off, v[4:5], off offset:88
	s_wait_loadcnt 0x0
	ds_store_b64 v3, v[1:2]
.LBB100_213:
	s_wait_alu 0xfffe
	s_or_b32 exec_lo, exec_lo, s0
	s_wait_storecnt_dscnt 0x0
	s_barrier_signal -1
	s_barrier_wait -1
	global_inv scope:SCOPE_SE
	s_clause 0xd
	scratch_load_b128 v[4:7], off, off offset:96
	scratch_load_b128 v[8:11], off, off offset:112
	;; [unrolled: 1-line block ×12, first 2 shown]
	scratch_load_b64 v[174:175], off, off offset:288
	scratch_load_b64 v[176:177], off, off offset:88
	v_mov_b32_e32 v1, 0
	ds_load_b128 v[126:129], v1 offset:400
	ds_load_b128 v[130:133], v1 offset:416
	;; [unrolled: 1-line block ×12, first 2 shown]
	ds_load_b64 v[178:179], v1 offset:592
	s_mov_b32 s0, exec_lo
	s_wait_loadcnt_dscnt 0xd0c
	v_mul_f32_e32 v2, v126, v5
	v_dual_mul_f32 v5, v127, v5 :: v_dual_mul_f32 v180, v128, v7
	s_wait_loadcnt_dscnt 0x908
	v_dual_mul_f32 v181, v130, v9 :: v_dual_mul_f32 v188, v144, v23
	v_mul_f32_e32 v7, v129, v7
	s_delay_alu instid0(VALU_DEP_3)
	v_fma_f32 v5, v126, v4, -v5
	v_fmac_f32_e32 v180, v129, v6
	v_fmac_f32_e32 v2, v127, v4
	v_mul_f32_e32 v4, v131, v9
	v_fma_f32 v6, v128, v6, -v7
	v_add_f32_e32 v5, 0, v5
	s_wait_loadcnt_dscnt 0x100
	v_dual_mul_f32 v203, v178, v175 :: v_dual_add_f32 v2, 0, v2
	v_mul_f32_e32 v7, v133, v11
	v_fma_f32 v4, v130, v8, -v4
	v_dual_add_f32 v5, v5, v6 :: v_dual_mul_f32 v6, v135, v13
	s_delay_alu instid0(VALU_DEP_4) | instskip(NEXT) | instid1(VALU_DEP_4)
	v_add_f32_e32 v2, v2, v180
	v_fma_f32 v7, v132, v10, -v7
	v_dual_mul_f32 v184, v136, v15 :: v_dual_mul_f32 v185, v138, v17
	s_delay_alu instid0(VALU_DEP_4) | instskip(SKIP_3) | instid1(VALU_DEP_4)
	v_add_f32_e32 v4, v5, v4
	v_mul_f32_e32 v5, v137, v15
	v_fma_f32 v6, v134, v12, -v6
	v_dual_mul_f32 v182, v132, v11 :: v_dual_mul_f32 v183, v134, v13
	v_dual_add_f32 v4, v4, v7 :: v_dual_fmac_f32 v185, v139, v16
	s_delay_alu instid0(VALU_DEP_2) | instskip(SKIP_2) | instid1(VALU_DEP_4)
	v_dual_fmac_f32 v181, v131, v8 :: v_dual_fmac_f32 v182, v133, v10
	v_mul_f32_e32 v7, v139, v17
	v_fma_f32 v5, v136, v14, -v5
	v_dual_add_f32 v4, v4, v6 :: v_dual_mul_f32 v189, v146, v99
	v_mul_f32_e32 v190, v148, v101
	v_dual_add_f32 v2, v2, v181 :: v_dual_fmac_f32 v183, v135, v12
	s_delay_alu instid0(VALU_DEP_3) | instskip(SKIP_2) | instid1(VALU_DEP_4)
	v_dual_mul_f32 v6, v141, v19 :: v_dual_fmac_f32 v189, v147, v98
	v_fma_f32 v7, v138, v16, -v7
	v_add_f32_e32 v4, v4, v5
	v_dual_add_f32 v2, v2, v182 :: v_dual_mul_f32 v5, v143, v21
	s_delay_alu instid0(VALU_DEP_4) | instskip(SKIP_1) | instid1(VALU_DEP_4)
	v_fma_f32 v6, v140, v18, -v6
	v_dual_mul_f32 v195, v158, v111 :: v_dual_mul_f32 v196, v160, v113
	v_add_f32_e32 v4, v4, v7
	v_mul_f32_e32 v7, v145, v23
	v_fma_f32 v5, v142, v20, -v5
	v_dual_mul_f32 v199, v166, v119 :: v_dual_mul_f32 v200, v168, v121
	s_delay_alu instid0(VALU_DEP_4) | instskip(SKIP_3) | instid1(VALU_DEP_4)
	v_add_f32_e32 v4, v4, v6
	v_mul_f32_e32 v6, v147, v99
	v_fma_f32 v7, v144, v22, -v7
	v_dual_add_f32 v2, v2, v183 :: v_dual_fmac_f32 v195, v159, v110
	v_add_f32_e32 v4, v4, v5
	v_mul_f32_e32 v5, v149, v101
	v_fma_f32 v6, v146, v98, -v6
	v_dual_fmac_f32 v199, v167, v118 :: v_dual_mul_f32 v186, v140, v19
	s_delay_alu instid0(VALU_DEP_4) | instskip(SKIP_2) | instid1(VALU_DEP_4)
	v_dual_mul_f32 v187, v142, v21 :: v_dual_add_f32 v4, v4, v7
	v_mul_f32_e32 v7, v151, v103
	v_fma_f32 v5, v148, v100, -v5
	v_fmac_f32_e32 v186, v141, v18
	s_delay_alu instid0(VALU_DEP_4) | instskip(SKIP_4) | instid1(VALU_DEP_4)
	v_dual_fmac_f32 v184, v137, v14 :: v_dual_fmac_f32 v187, v143, v20
	v_add_f32_e32 v4, v4, v6
	v_mul_f32_e32 v6, v153, v105
	v_fma_f32 v7, v150, v102, -v7
	v_dual_mul_f32 v191, v150, v103 :: v_dual_mul_f32 v192, v152, v105
	v_dual_add_f32 v4, v4, v5 :: v_dual_mul_f32 v5, v155, v107
	s_delay_alu instid0(VALU_DEP_4) | instskip(NEXT) | instid1(VALU_DEP_3)
	v_fma_f32 v6, v152, v104, -v6
	v_dual_add_f32 v2, v2, v184 :: v_dual_fmac_f32 v191, v151, v102
	s_delay_alu instid0(VALU_DEP_3) | instskip(NEXT) | instid1(VALU_DEP_4)
	v_dual_add_f32 v4, v4, v7 :: v_dual_mul_f32 v7, v157, v109
	v_fma_f32 v5, v154, v106, -v5
	v_dual_mul_f32 v193, v154, v107 :: v_dual_mul_f32 v194, v156, v109
	s_delay_alu instid0(VALU_DEP_3) | instskip(SKIP_2) | instid1(VALU_DEP_4)
	v_add_f32_e32 v4, v4, v6
	v_mul_f32_e32 v6, v159, v111
	v_fma_f32 v7, v156, v108, -v7
	v_dual_add_f32 v2, v2, v185 :: v_dual_fmac_f32 v193, v155, v106
	s_delay_alu instid0(VALU_DEP_4) | instskip(SKIP_2) | instid1(VALU_DEP_4)
	v_add_f32_e32 v4, v4, v5
	v_mul_f32_e32 v5, v161, v113
	v_fma_f32 v6, v158, v110, -v6
	v_add_f32_e32 v2, v2, v186
	v_dual_mul_f32 v197, v162, v115 :: v_dual_mul_f32 v198, v164, v117
	v_add_f32_e32 v4, v4, v7
	v_mul_f32_e32 v7, v163, v115
	v_fma_f32 v5, v160, v112, -v5
	v_fmac_f32_e32 v188, v145, v22
	v_dual_add_f32 v2, v2, v187 :: v_dual_fmac_f32 v197, v163, v114
	v_add_f32_e32 v4, v4, v6
	v_mul_f32_e32 v6, v165, v117
	v_fma_f32 v7, v162, v114, -v7
	v_dual_mul_f32 v201, v170, v123 :: v_dual_mul_f32 v202, v172, v125
	s_delay_alu instid0(VALU_DEP_4) | instskip(NEXT) | instid1(VALU_DEP_4)
	v_dual_add_f32 v4, v4, v5 :: v_dual_mul_f32 v5, v167, v119
	v_fma_f32 v6, v164, v116, -v6
	v_add_f32_e32 v2, v2, v188
	s_delay_alu instid0(VALU_DEP_4) | instskip(NEXT) | instid1(VALU_DEP_4)
	v_dual_fmac_f32 v190, v149, v100 :: v_dual_fmac_f32 v201, v171, v122
	v_add_f32_e32 v4, v4, v7
	v_fma_f32 v5, v166, v118, -v5
	v_dual_fmac_f32 v203, v179, v174 :: v_dual_fmac_f32 v192, v153, v104
	v_fmac_f32_e32 v194, v157, v108
	s_delay_alu instid0(VALU_DEP_4) | instskip(SKIP_3) | instid1(VALU_DEP_4)
	v_add_f32_e32 v4, v4, v6
	v_fmac_f32_e32 v196, v161, v112
	v_fmac_f32_e32 v198, v165, v116
	v_dual_mul_f32 v7, v169, v121 :: v_dual_mul_f32 v6, v171, v123
	v_add_f32_e32 v4, v4, v5
	v_mul_f32_e32 v5, v173, v125
	v_add_f32_e32 v2, v2, v189
	v_fmac_f32_e32 v200, v169, v120
	v_fma_f32 v7, v168, v120, -v7
	v_fma_f32 v6, v170, v122, -v6
	v_fmac_f32_e32 v202, v173, v124
	v_add_f32_e32 v2, v2, v190
	v_fma_f32 v5, v172, v124, -v5
	v_add_f32_e32 v4, v4, v7
	v_mul_f32_e32 v7, v179, v175
	s_delay_alu instid0(VALU_DEP_4) | instskip(NEXT) | instid1(VALU_DEP_3)
	v_add_f32_e32 v2, v2, v191
	v_add_f32_e32 v4, v4, v6
	s_delay_alu instid0(VALU_DEP_3) | instskip(NEXT) | instid1(VALU_DEP_3)
	v_fma_f32 v6, v178, v174, -v7
	v_add_f32_e32 v2, v2, v192
	s_delay_alu instid0(VALU_DEP_3) | instskip(NEXT) | instid1(VALU_DEP_2)
	v_add_f32_e32 v4, v4, v5
	v_add_f32_e32 v2, v2, v193
	s_delay_alu instid0(VALU_DEP_2) | instskip(NEXT) | instid1(VALU_DEP_2)
	v_add_f32_e32 v4, v4, v6
	v_add_f32_e32 v2, v2, v194
	s_wait_loadcnt 0x0
	s_delay_alu instid0(VALU_DEP_2) | instskip(NEXT) | instid1(VALU_DEP_2)
	v_sub_f32_e32 v4, v176, v4
	v_add_f32_e32 v2, v2, v195
	s_delay_alu instid0(VALU_DEP_1) | instskip(NEXT) | instid1(VALU_DEP_1)
	v_add_f32_e32 v2, v2, v196
	v_add_f32_e32 v2, v2, v197
	s_delay_alu instid0(VALU_DEP_1) | instskip(NEXT) | instid1(VALU_DEP_1)
	v_add_f32_e32 v2, v2, v198
	;; [unrolled: 3-line block ×4, first 2 shown]
	v_add_f32_e32 v2, v2, v203
	s_delay_alu instid0(VALU_DEP_1)
	v_sub_f32_e32 v5, v177, v2
	scratch_store_b64 off, v[4:5], off offset:88
	v_cmpx_lt_u32_e32 10, v0
	s_cbranch_execz .LBB100_215
; %bb.214:
	scratch_load_b64 v[4:5], off, off offset:80
	v_mov_b32_e32 v2, v1
	scratch_store_b64 off, v[1:2], off offset:80
	s_wait_loadcnt 0x0
	ds_store_b64 v3, v[4:5]
.LBB100_215:
	s_wait_alu 0xfffe
	s_or_b32 exec_lo, exec_lo, s0
	s_wait_storecnt_dscnt 0x0
	s_barrier_signal -1
	s_barrier_wait -1
	global_inv scope:SCOPE_SE
	s_clause 0xd
	scratch_load_b128 v[4:7], off, off offset:88
	scratch_load_b128 v[8:11], off, off offset:104
	;; [unrolled: 1-line block ×13, first 2 shown]
	scratch_load_b64 v[182:183], off, off offset:80
	ds_load_2addr_b64 v[130:133], v1 offset0:49 offset1:50
	ds_load_2addr_b64 v[134:137], v1 offset0:51 offset1:52
	ds_load_2addr_b64 v[138:141], v1 offset0:53 offset1:54
	ds_load_2addr_b64 v[142:145], v1 offset0:55 offset1:56
	ds_load_2addr_b64 v[146:149], v1 offset0:57 offset1:58
	ds_load_2addr_b64 v[150:153], v1 offset0:59 offset1:60
	ds_load_2addr_b64 v[154:157], v1 offset0:61 offset1:62
	ds_load_2addr_b64 v[158:161], v1 offset0:63 offset1:64
	ds_load_2addr_b64 v[162:165], v1 offset0:65 offset1:66
	ds_load_2addr_b64 v[166:169], v1 offset0:67 offset1:68
	ds_load_2addr_b64 v[170:173], v1 offset0:69 offset1:70
	ds_load_2addr_b64 v[174:177], v1 offset0:71 offset1:72
	ds_load_2addr_b64 v[178:181], v1 offset0:73 offset1:74
	s_mov_b32 s0, exec_lo
	s_wait_loadcnt_dscnt 0xd0c
	v_dual_mul_f32 v1, v130, v5 :: v_dual_mul_f32 v2, v132, v7
	s_wait_loadcnt_dscnt 0xc0b
	v_dual_mul_f32 v7, v133, v7 :: v_dual_mul_f32 v184, v134, v9
	v_mul_f32_e32 v185, v136, v11
	s_wait_loadcnt_dscnt 0xb0a
	v_dual_fmac_f32 v1, v131, v4 :: v_dual_mul_f32 v186, v138, v13
	v_mul_f32_e32 v187, v140, v15
	v_dual_mul_f32 v5, v131, v5 :: v_dual_fmac_f32 v2, v133, v6
	s_wait_loadcnt_dscnt 0xa09
	v_dual_mul_f32 v188, v142, v17 :: v_dual_mul_f32 v189, v144, v19
	s_wait_loadcnt_dscnt 0x201
	v_mul_f32_e32 v204, v174, v123
	v_fma_f32 v5, v130, v4, -v5
	s_wait_loadcnt_dscnt 0x100
	v_mul_f32_e32 v207, v180, v129
	v_mul_f32_e32 v4, v135, v9
	v_fma_f32 v6, v132, v6, -v7
	v_mul_f32_e32 v7, v137, v11
	v_dual_add_f32 v5, 0, v5 :: v_dual_fmac_f32 v184, v135, v8
	s_delay_alu instid0(VALU_DEP_4) | instskip(SKIP_1) | instid1(VALU_DEP_3)
	v_fma_f32 v4, v134, v8, -v4
	v_dual_mul_f32 v190, v146, v21 :: v_dual_mul_f32 v191, v148, v23
	v_add_f32_e32 v5, v5, v6
	v_fma_f32 v6, v136, v10, -v7
	v_dual_mul_f32 v192, v150, v99 :: v_dual_mul_f32 v193, v152, v101
	v_fmac_f32_e32 v189, v145, v18
	s_delay_alu instid0(VALU_DEP_4) | instskip(SKIP_2) | instid1(VALU_DEP_3)
	v_add_f32_e32 v4, v5, v4
	v_dual_mul_f32 v194, v154, v103 :: v_dual_mul_f32 v195, v156, v105
	v_dual_mul_f32 v196, v158, v107 :: v_dual_mul_f32 v197, v160, v109
	v_dual_add_f32 v4, v4, v6 :: v_dual_add_f32 v1, 0, v1
	v_fmac_f32_e32 v186, v139, v12
	v_mul_f32_e32 v6, v143, v17
	v_fmac_f32_e32 v188, v143, v16
	v_dual_mul_f32 v198, v162, v111 :: v_dual_mul_f32 v199, v164, v113
	v_dual_add_f32 v1, v1, v2 :: v_dual_mul_f32 v2, v139, v13
	s_delay_alu instid0(VALU_DEP_4) | instskip(SKIP_2) | instid1(VALU_DEP_4)
	v_fma_f32 v6, v142, v16, -v6
	v_mul_f32_e32 v5, v141, v15
	v_dual_mul_f32 v200, v166, v115 :: v_dual_mul_f32 v201, v168, v117
	v_fma_f32 v2, v138, v12, -v2
	v_add_f32_e32 v1, v1, v184
	s_delay_alu instid0(VALU_DEP_4) | instskip(SKIP_1) | instid1(VALU_DEP_4)
	v_fma_f32 v5, v140, v14, -v5
	v_dual_mul_f32 v202, v170, v119 :: v_dual_mul_f32 v203, v172, v121
	v_add_f32_e32 v2, v4, v2
	v_fmac_f32_e32 v185, v137, v10
	v_mul_f32_e32 v4, v145, v19
	v_fmac_f32_e32 v190, v147, v20
	s_delay_alu instid0(VALU_DEP_4) | instskip(NEXT) | instid1(VALU_DEP_4)
	v_dual_fmac_f32 v201, v169, v116 :: v_dual_add_f32 v2, v2, v5
	v_add_f32_e32 v1, v1, v185
	v_mul_f32_e32 v5, v147, v21
	v_fma_f32 v4, v144, v18, -v4
	v_dual_mul_f32 v205, v176, v125 :: v_dual_mul_f32 v206, v178, v127
	v_add_f32_e32 v2, v2, v6
	v_fmac_f32_e32 v187, v141, v14
	v_add_f32_e32 v1, v1, v186
	v_mul_f32_e32 v6, v149, v23
	v_fma_f32 v5, v146, v20, -v5
	v_add_f32_e32 v2, v2, v4
	v_mul_f32_e32 v4, v151, v99
	v_add_f32_e32 v1, v1, v187
	v_fma_f32 v6, v148, v22, -v6
	v_fmac_f32_e32 v192, v151, v98
	v_add_f32_e32 v2, v2, v5
	v_mul_f32_e32 v5, v153, v101
	v_add_f32_e32 v1, v1, v188
	v_fma_f32 v4, v150, v98, -v4
	s_delay_alu instid0(VALU_DEP_4) | instskip(NEXT) | instid1(VALU_DEP_3)
	v_dual_fmac_f32 v207, v181, v128 :: v_dual_add_f32 v2, v2, v6
	v_dual_mul_f32 v6, v155, v103 :: v_dual_add_f32 v1, v1, v189
	v_fma_f32 v5, v152, v100, -v5
	v_fmac_f32_e32 v194, v155, v102
	s_delay_alu instid0(VALU_DEP_4) | instskip(SKIP_3) | instid1(VALU_DEP_4)
	v_dual_add_f32 v2, v2, v4 :: v_dual_fmac_f32 v191, v149, v22
	v_mul_f32_e32 v4, v157, v105
	v_fma_f32 v6, v154, v102, -v6
	v_fmac_f32_e32 v196, v159, v106
	v_dual_add_f32 v2, v2, v5 :: v_dual_fmac_f32 v193, v153, v100
	v_mul_f32_e32 v5, v159, v107
	v_fma_f32 v4, v156, v104, -v4
	v_fmac_f32_e32 v198, v163, v110
	s_delay_alu instid0(VALU_DEP_4) | instskip(SKIP_4) | instid1(VALU_DEP_4)
	v_add_f32_e32 v2, v2, v6
	v_add_f32_e32 v1, v1, v190
	v_mul_f32_e32 v6, v161, v109
	v_fma_f32 v5, v158, v106, -v5
	v_fmac_f32_e32 v200, v167, v114
	v_dual_add_f32 v2, v2, v4 :: v_dual_add_f32 v1, v1, v191
	v_dual_fmac_f32 v195, v157, v104 :: v_dual_mul_f32 v4, v163, v111
	v_fma_f32 v6, v160, v108, -v6
	s_delay_alu instid0(VALU_DEP_3) | instskip(SKIP_1) | instid1(VALU_DEP_4)
	v_dual_add_f32 v2, v2, v5 :: v_dual_add_f32 v1, v1, v192
	v_fmac_f32_e32 v197, v161, v108
	v_fma_f32 v4, v162, v110, -v4
	v_fmac_f32_e32 v202, v171, v118
	s_delay_alu instid0(VALU_DEP_4) | instskip(SKIP_2) | instid1(VALU_DEP_3)
	v_dual_add_f32 v2, v2, v6 :: v_dual_add_f32 v1, v1, v193
	v_dual_mul_f32 v5, v165, v113 :: v_dual_mul_f32 v6, v167, v115
	v_fmac_f32_e32 v204, v175, v122
	v_dual_add_f32 v2, v2, v4 :: v_dual_add_f32 v1, v1, v194
	s_delay_alu instid0(VALU_DEP_3) | instskip(SKIP_3) | instid1(VALU_DEP_4)
	v_fma_f32 v5, v164, v112, -v5
	v_fmac_f32_e32 v199, v165, v112
	v_mul_f32_e32 v4, v169, v117
	v_fma_f32 v6, v166, v114, -v6
	v_dual_add_f32 v1, v1, v195 :: v_dual_add_f32 v2, v2, v5
	v_mul_f32_e32 v5, v171, v119
	s_delay_alu instid0(VALU_DEP_4) | instskip(NEXT) | instid1(VALU_DEP_3)
	v_fma_f32 v4, v168, v116, -v4
	v_dual_fmac_f32 v206, v179, v126 :: v_dual_add_f32 v1, v1, v196
	s_delay_alu instid0(VALU_DEP_4) | instskip(SKIP_2) | instid1(VALU_DEP_3)
	v_add_f32_e32 v2, v2, v6
	v_mul_f32_e32 v6, v173, v121
	v_fma_f32 v5, v170, v118, -v5
	v_dual_add_f32 v1, v1, v197 :: v_dual_add_f32 v2, v2, v4
	v_mul_f32_e32 v4, v175, v123
	s_delay_alu instid0(VALU_DEP_4) | instskip(NEXT) | instid1(VALU_DEP_3)
	v_fma_f32 v6, v172, v120, -v6
	v_dual_add_f32 v1, v1, v198 :: v_dual_add_f32 v2, v2, v5
	v_fmac_f32_e32 v203, v173, v120
	s_delay_alu instid0(VALU_DEP_4) | instskip(NEXT) | instid1(VALU_DEP_3)
	v_fma_f32 v4, v174, v122, -v4
	v_dual_add_f32 v1, v1, v199 :: v_dual_add_f32 v2, v2, v6
	v_dual_mul_f32 v5, v177, v125 :: v_dual_mul_f32 v6, v179, v127
	s_delay_alu instid0(VALU_DEP_2) | instskip(NEXT) | instid1(VALU_DEP_3)
	v_add_f32_e32 v1, v1, v200
	v_add_f32_e32 v2, v2, v4
	s_delay_alu instid0(VALU_DEP_3)
	v_fma_f32 v5, v176, v124, -v5
	v_fmac_f32_e32 v205, v177, v124
	v_mul_f32_e32 v4, v181, v129
	v_add_f32_e32 v1, v1, v201
	v_fma_f32 v6, v178, v126, -v6
	v_add_f32_e32 v2, v2, v5
	s_delay_alu instid0(VALU_DEP_4) | instskip(NEXT) | instid1(VALU_DEP_4)
	v_fma_f32 v4, v180, v128, -v4
	v_add_f32_e32 v1, v1, v202
	s_delay_alu instid0(VALU_DEP_1) | instskip(NEXT) | instid1(VALU_DEP_1)
	v_dual_add_f32 v2, v2, v6 :: v_dual_add_f32 v1, v1, v203
	v_add_f32_e32 v2, v2, v4
	s_delay_alu instid0(VALU_DEP_2) | instskip(NEXT) | instid1(VALU_DEP_1)
	v_add_f32_e32 v1, v1, v204
	v_add_f32_e32 v1, v1, v205
	s_delay_alu instid0(VALU_DEP_1) | instskip(SKIP_1) | instid1(VALU_DEP_1)
	v_add_f32_e32 v1, v1, v206
	s_wait_loadcnt 0x0
	v_dual_add_f32 v4, v1, v207 :: v_dual_sub_f32 v1, v182, v2
	s_delay_alu instid0(VALU_DEP_1)
	v_sub_f32_e32 v2, v183, v4
	scratch_store_b64 off, v[1:2], off offset:80
	v_cmpx_lt_u32_e32 9, v0
	s_cbranch_execz .LBB100_217
; %bb.216:
	scratch_load_b64 v[1:2], off, off offset:72
	v_mov_b32_e32 v4, 0
	s_delay_alu instid0(VALU_DEP_1)
	v_mov_b32_e32 v5, v4
	scratch_store_b64 off, v[4:5], off offset:72
	s_wait_loadcnt 0x0
	ds_store_b64 v3, v[1:2]
.LBB100_217:
	s_wait_alu 0xfffe
	s_or_b32 exec_lo, exec_lo, s0
	s_wait_storecnt_dscnt 0x0
	s_barrier_signal -1
	s_barrier_wait -1
	global_inv scope:SCOPE_SE
	s_clause 0xe
	scratch_load_b128 v[4:7], off, off offset:80
	scratch_load_b128 v[8:11], off, off offset:96
	;; [unrolled: 1-line block ×13, first 2 shown]
	scratch_load_b64 v[182:183], off, off offset:288
	scratch_load_b64 v[184:185], off, off offset:72
	v_mov_b32_e32 v1, 0
	ds_load_b128 v[130:133], v1 offset:384
	ds_load_b128 v[134:137], v1 offset:400
	;; [unrolled: 1-line block ×13, first 2 shown]
	ds_load_b64 v[186:187], v1 offset:592
	s_mov_b32 s0, exec_lo
	s_wait_loadcnt_dscnt 0xe0d
	v_mul_f32_e32 v2, v130, v5
	v_dual_mul_f32 v5, v131, v5 :: v_dual_mul_f32 v188, v132, v7
	s_wait_loadcnt_dscnt 0xa09
	v_dual_mul_f32 v189, v134, v9 :: v_dual_mul_f32 v196, v148, v23
	v_mul_f32_e32 v7, v133, v7
	s_delay_alu instid0(VALU_DEP_3)
	v_fma_f32 v5, v130, v4, -v5
	v_fmac_f32_e32 v188, v133, v6
	v_dual_mul_f32 v192, v140, v15 :: v_dual_mul_f32 v193, v142, v17
	v_fmac_f32_e32 v2, v131, v4
	v_mul_f32_e32 v4, v135, v9
	v_fma_f32 v6, v132, v6, -v7
	s_wait_loadcnt_dscnt 0x100
	v_mul_f32_e32 v213, v186, v183
	v_dual_add_f32 v5, 0, v5 :: v_dual_add_f32 v2, 0, v2
	v_mul_f32_e32 v7, v137, v11
	v_fma_f32 v4, v134, v8, -v4
	v_dual_mul_f32 v190, v136, v11 :: v_dual_mul_f32 v191, v138, v13
	s_delay_alu instid0(VALU_DEP_4) | instskip(SKIP_2) | instid1(VALU_DEP_4)
	v_dual_add_f32 v5, v5, v6 :: v_dual_add_f32 v2, v2, v188
	v_mul_f32_e32 v6, v139, v13
	v_fma_f32 v7, v136, v10, -v7
	v_dual_fmac_f32 v189, v135, v8 :: v_dual_fmac_f32 v190, v137, v10
	s_delay_alu instid0(VALU_DEP_4)
	v_add_f32_e32 v4, v5, v4
	v_mul_f32_e32 v5, v141, v15
	v_fma_f32 v6, v138, v12, -v6
	v_fmac_f32_e32 v193, v143, v16
	v_dual_mul_f32 v197, v150, v99 :: v_dual_mul_f32 v198, v152, v101
	v_dual_add_f32 v4, v4, v7 :: v_dual_mul_f32 v7, v143, v17
	v_fma_f32 v5, v140, v14, -v5
	v_dual_add_f32 v2, v2, v189 :: v_dual_fmac_f32 v191, v139, v12
	s_delay_alu instid0(VALU_DEP_3) | instskip(SKIP_2) | instid1(VALU_DEP_4)
	v_add_f32_e32 v4, v4, v6
	v_dual_mul_f32 v6, v145, v19 :: v_dual_fmac_f32 v197, v151, v98
	v_fma_f32 v7, v142, v16, -v7
	v_add_f32_e32 v2, v2, v190
	s_delay_alu instid0(VALU_DEP_4) | instskip(SKIP_3) | instid1(VALU_DEP_4)
	v_add_f32_e32 v4, v4, v5
	v_mul_f32_e32 v5, v147, v21
	v_fma_f32 v6, v144, v18, -v6
	v_dual_mul_f32 v203, v162, v111 :: v_dual_mul_f32 v204, v164, v113
	v_add_f32_e32 v4, v4, v7
	v_mul_f32_e32 v7, v149, v23
	v_fma_f32 v5, v146, v20, -v5
	v_dual_mul_f32 v207, v170, v119 :: v_dual_mul_f32 v208, v172, v121
	s_delay_alu instid0(VALU_DEP_4) | instskip(SKIP_3) | instid1(VALU_DEP_4)
	v_add_f32_e32 v4, v4, v6
	v_mul_f32_e32 v6, v151, v99
	v_fma_f32 v7, v148, v22, -v7
	v_dual_add_f32 v2, v2, v191 :: v_dual_fmac_f32 v203, v163, v110
	v_add_f32_e32 v4, v4, v5
	v_mul_f32_e32 v5, v153, v101
	v_fma_f32 v6, v150, v98, -v6
	v_dual_fmac_f32 v207, v171, v118 :: v_dual_mul_f32 v194, v144, v19
	s_delay_alu instid0(VALU_DEP_4) | instskip(SKIP_2) | instid1(VALU_DEP_4)
	v_dual_mul_f32 v195, v146, v21 :: v_dual_add_f32 v4, v4, v7
	v_mul_f32_e32 v7, v155, v103
	v_fma_f32 v5, v152, v100, -v5
	v_fmac_f32_e32 v194, v145, v18
	v_fmac_f32_e32 v213, v187, v182
	v_add_f32_e32 v4, v4, v6
	v_mul_f32_e32 v6, v157, v105
	v_fma_f32 v7, v154, v102, -v7
	v_dual_fmac_f32 v192, v141, v14 :: v_dual_fmac_f32 v195, v147, v20
	s_delay_alu instid0(VALU_DEP_4) | instskip(NEXT) | instid1(VALU_DEP_4)
	v_dual_add_f32 v4, v4, v5 :: v_dual_mul_f32 v5, v159, v107
	v_fma_f32 v6, v156, v104, -v6
	v_dual_mul_f32 v199, v154, v103 :: v_dual_mul_f32 v200, v156, v105
	s_delay_alu instid0(VALU_DEP_3) | instskip(NEXT) | instid1(VALU_DEP_4)
	v_dual_add_f32 v4, v4, v7 :: v_dual_mul_f32 v7, v161, v109
	v_fma_f32 v5, v158, v106, -v5
	s_delay_alu instid0(VALU_DEP_3) | instskip(NEXT) | instid1(VALU_DEP_3)
	v_dual_add_f32 v2, v2, v192 :: v_dual_fmac_f32 v199, v155, v102
	v_add_f32_e32 v4, v4, v6
	v_mul_f32_e32 v6, v163, v111
	v_fma_f32 v7, v160, v108, -v7
	v_dual_mul_f32 v201, v158, v107 :: v_dual_mul_f32 v202, v160, v109
	s_delay_alu instid0(VALU_DEP_4) | instskip(SKIP_3) | instid1(VALU_DEP_4)
	v_add_f32_e32 v4, v4, v5
	v_add_f32_e32 v2, v2, v193
	v_mul_f32_e32 v5, v165, v113
	v_fma_f32 v6, v162, v110, -v6
	v_dual_fmac_f32 v201, v159, v106 :: v_dual_add_f32 v4, v4, v7
	s_delay_alu instid0(VALU_DEP_4) | instskip(NEXT) | instid1(VALU_DEP_4)
	v_dual_add_f32 v2, v2, v194 :: v_dual_mul_f32 v7, v167, v115
	v_fma_f32 v5, v164, v112, -v5
	v_dual_mul_f32 v205, v166, v115 :: v_dual_mul_f32 v206, v168, v117
	s_delay_alu instid0(VALU_DEP_4)
	v_add_f32_e32 v4, v4, v6
	v_mul_f32_e32 v6, v169, v117
	v_fma_f32 v7, v166, v114, -v7
	v_fmac_f32_e32 v196, v149, v22
	v_dual_add_f32 v2, v2, v195 :: v_dual_fmac_f32 v205, v167, v114
	v_dual_add_f32 v4, v4, v5 :: v_dual_mul_f32 v5, v171, v119
	v_fma_f32 v6, v168, v116, -v6
	s_delay_alu instid0(VALU_DEP_3) | instskip(SKIP_1) | instid1(VALU_DEP_4)
	v_add_f32_e32 v2, v2, v196
	v_dual_mul_f32 v209, v174, v123 :: v_dual_mul_f32 v210, v176, v125
	v_add_f32_e32 v4, v4, v7
	v_fma_f32 v5, v170, v118, -v5
	v_dual_mul_f32 v211, v178, v127 :: v_dual_mul_f32 v212, v180, v129
	s_delay_alu instid0(VALU_DEP_4) | instskip(NEXT) | instid1(VALU_DEP_4)
	v_dual_fmac_f32 v198, v153, v100 :: v_dual_fmac_f32 v209, v175, v122
	v_add_f32_e32 v4, v4, v6
	s_delay_alu instid0(VALU_DEP_3) | instskip(SKIP_2) | instid1(VALU_DEP_4)
	v_dual_fmac_f32 v211, v179, v126 :: v_dual_fmac_f32 v200, v157, v104
	v_fmac_f32_e32 v202, v161, v108
	v_fmac_f32_e32 v204, v165, v112
	v_add_f32_e32 v4, v4, v5
	v_mul_f32_e32 v5, v177, v125
	v_add_f32_e32 v2, v2, v197
	v_fmac_f32_e32 v206, v169, v116
	v_dual_mul_f32 v7, v173, v121 :: v_dual_mul_f32 v6, v175, v123
	v_fmac_f32_e32 v208, v173, v120
	s_delay_alu instid0(VALU_DEP_4) | instskip(SKIP_1) | instid1(VALU_DEP_4)
	v_add_f32_e32 v2, v2, v198
	v_fmac_f32_e32 v210, v177, v124
	v_fma_f32 v7, v172, v120, -v7
	v_fma_f32 v6, v174, v122, -v6
	;; [unrolled: 1-line block ×3, first 2 shown]
	v_add_f32_e32 v2, v2, v199
	v_fmac_f32_e32 v212, v181, v128
	v_add_f32_e32 v4, v4, v7
	s_delay_alu instid0(VALU_DEP_3) | instskip(NEXT) | instid1(VALU_DEP_2)
	v_dual_mul_f32 v7, v179, v127 :: v_dual_add_f32 v2, v2, v200
	v_add_f32_e32 v4, v4, v6
	v_mul_f32_e32 v6, v181, v129
	s_delay_alu instid0(VALU_DEP_3) | instskip(NEXT) | instid1(VALU_DEP_4)
	v_fma_f32 v7, v178, v126, -v7
	v_add_f32_e32 v2, v2, v201
	s_delay_alu instid0(VALU_DEP_4) | instskip(NEXT) | instid1(VALU_DEP_4)
	v_dual_add_f32 v4, v4, v5 :: v_dual_mul_f32 v5, v187, v183
	v_fma_f32 v6, v180, v128, -v6
	s_delay_alu instid0(VALU_DEP_3) | instskip(NEXT) | instid1(VALU_DEP_3)
	v_add_f32_e32 v2, v2, v202
	v_add_f32_e32 v4, v4, v7
	s_delay_alu instid0(VALU_DEP_4) | instskip(NEXT) | instid1(VALU_DEP_3)
	v_fma_f32 v5, v186, v182, -v5
	v_add_f32_e32 v2, v2, v203
	s_delay_alu instid0(VALU_DEP_3) | instskip(NEXT) | instid1(VALU_DEP_2)
	v_add_f32_e32 v4, v4, v6
	v_add_f32_e32 v2, v2, v204
	s_delay_alu instid0(VALU_DEP_2) | instskip(NEXT) | instid1(VALU_DEP_2)
	v_add_f32_e32 v4, v4, v5
	v_add_f32_e32 v2, v2, v205
	s_wait_loadcnt 0x0
	s_delay_alu instid0(VALU_DEP_2) | instskip(NEXT) | instid1(VALU_DEP_2)
	v_sub_f32_e32 v4, v184, v4
	v_add_f32_e32 v2, v2, v206
	s_delay_alu instid0(VALU_DEP_1) | instskip(NEXT) | instid1(VALU_DEP_1)
	v_add_f32_e32 v2, v2, v207
	v_add_f32_e32 v2, v2, v208
	s_delay_alu instid0(VALU_DEP_1) | instskip(NEXT) | instid1(VALU_DEP_1)
	v_add_f32_e32 v2, v2, v209
	;; [unrolled: 3-line block ×4, first 2 shown]
	v_sub_f32_e32 v5, v185, v2
	scratch_store_b64 off, v[4:5], off offset:72
	v_cmpx_lt_u32_e32 8, v0
	s_cbranch_execz .LBB100_219
; %bb.218:
	scratch_load_b64 v[4:5], off, off offset:64
	v_mov_b32_e32 v2, v1
	scratch_store_b64 off, v[1:2], off offset:64
	s_wait_loadcnt 0x0
	ds_store_b64 v3, v[4:5]
.LBB100_219:
	s_wait_alu 0xfffe
	s_or_b32 exec_lo, exec_lo, s0
	s_wait_storecnt_dscnt 0x0
	s_barrier_signal -1
	s_barrier_wait -1
	global_inv scope:SCOPE_SE
	s_clause 0xe
	scratch_load_b128 v[4:7], off, off offset:72
	scratch_load_b128 v[8:11], off, off offset:88
	;; [unrolled: 1-line block ×14, first 2 shown]
	scratch_load_b64 v[190:191], off, off offset:64
	ds_load_2addr_b64 v[134:137], v1 offset0:47 offset1:48
	ds_load_2addr_b64 v[138:141], v1 offset0:49 offset1:50
	;; [unrolled: 1-line block ×14, first 2 shown]
	s_mov_b32 s0, exec_lo
	s_wait_loadcnt_dscnt 0xe0d
	v_dual_mul_f32 v1, v134, v5 :: v_dual_mul_f32 v2, v136, v7
	s_wait_loadcnt_dscnt 0xd0c
	v_dual_mul_f32 v7, v137, v7 :: v_dual_mul_f32 v192, v138, v9
	v_mul_f32_e32 v193, v140, v11
	s_wait_loadcnt_dscnt 0xc0b
	v_dual_fmac_f32 v1, v135, v4 :: v_dual_mul_f32 v194, v142, v13
	v_mul_f32_e32 v195, v144, v15
	v_dual_mul_f32 v5, v135, v5 :: v_dual_fmac_f32 v2, v137, v6
	s_wait_loadcnt_dscnt 0xb0a
	v_dual_mul_f32 v196, v146, v17 :: v_dual_mul_f32 v197, v148, v19
	s_wait_loadcnt_dscnt 0x201
	v_mul_f32_e32 v214, v182, v127
	v_fma_f32 v5, v134, v4, -v5
	s_wait_loadcnt_dscnt 0x100
	v_mul_f32_e32 v217, v188, v133
	v_mul_f32_e32 v4, v139, v9
	v_fma_f32 v6, v136, v6, -v7
	v_mul_f32_e32 v7, v141, v11
	v_dual_add_f32 v5, 0, v5 :: v_dual_fmac_f32 v192, v139, v8
	s_delay_alu instid0(VALU_DEP_4) | instskip(SKIP_1) | instid1(VALU_DEP_3)
	v_fma_f32 v4, v138, v8, -v4
	v_dual_mul_f32 v198, v150, v21 :: v_dual_mul_f32 v199, v152, v23
	v_add_f32_e32 v5, v5, v6
	v_fma_f32 v6, v140, v10, -v7
	v_dual_mul_f32 v200, v154, v99 :: v_dual_mul_f32 v201, v156, v101
	v_fmac_f32_e32 v197, v149, v18
	s_delay_alu instid0(VALU_DEP_4) | instskip(SKIP_2) | instid1(VALU_DEP_3)
	v_add_f32_e32 v4, v5, v4
	v_dual_mul_f32 v202, v158, v103 :: v_dual_mul_f32 v203, v160, v105
	v_dual_mul_f32 v204, v162, v107 :: v_dual_mul_f32 v205, v164, v109
	v_dual_add_f32 v4, v4, v6 :: v_dual_add_f32 v1, 0, v1
	v_fmac_f32_e32 v194, v143, v12
	v_mul_f32_e32 v6, v147, v17
	v_dual_mul_f32 v206, v166, v111 :: v_dual_mul_f32 v207, v168, v113
	s_delay_alu instid0(VALU_DEP_4) | instskip(SKIP_1) | instid1(VALU_DEP_4)
	v_dual_add_f32 v1, v1, v2 :: v_dual_fmac_f32 v196, v147, v16
	v_mul_f32_e32 v2, v143, v13
	v_fma_f32 v6, v146, v16, -v6
	v_mul_f32_e32 v5, v145, v15
	v_dual_mul_f32 v208, v170, v115 :: v_dual_mul_f32 v209, v172, v117
	s_delay_alu instid0(VALU_DEP_4) | instskip(SKIP_1) | instid1(VALU_DEP_4)
	v_fma_f32 v2, v142, v12, -v2
	v_add_f32_e32 v1, v1, v192
	v_fma_f32 v5, v144, v14, -v5
	v_dual_mul_f32 v210, v174, v119 :: v_dual_mul_f32 v211, v176, v121
	s_delay_alu instid0(VALU_DEP_4) | instskip(SKIP_3) | instid1(VALU_DEP_4)
	v_add_f32_e32 v2, v4, v2
	v_fmac_f32_e32 v193, v141, v10
	v_mul_f32_e32 v4, v149, v19
	v_fmac_f32_e32 v198, v151, v20
	v_dual_fmac_f32 v209, v173, v116 :: v_dual_add_f32 v2, v2, v5
	s_delay_alu instid0(VALU_DEP_4)
	v_add_f32_e32 v1, v1, v193
	v_mul_f32_e32 v5, v151, v21
	v_fma_f32 v4, v148, v18, -v4
	v_dual_mul_f32 v212, v178, v123 :: v_dual_mul_f32 v213, v180, v125
	v_add_f32_e32 v2, v2, v6
	v_fmac_f32_e32 v195, v145, v14
	v_add_f32_e32 v1, v1, v194
	v_mul_f32_e32 v6, v153, v23
	v_fma_f32 v5, v150, v20, -v5
	v_add_f32_e32 v2, v2, v4
	v_mul_f32_e32 v4, v155, v99
	v_add_f32_e32 v1, v1, v195
	v_fma_f32 v6, v152, v22, -v6
	v_fmac_f32_e32 v200, v155, v98
	v_add_f32_e32 v2, v2, v5
	v_mul_f32_e32 v5, v157, v101
	v_add_f32_e32 v1, v1, v196
	v_fma_f32 v4, v154, v98, -v4
	v_dual_mul_f32 v215, v184, v129 :: v_dual_mul_f32 v216, v186, v131
	v_add_f32_e32 v2, v2, v6
	s_delay_alu instid0(VALU_DEP_4) | instskip(SKIP_2) | instid1(VALU_DEP_4)
	v_dual_mul_f32 v6, v159, v103 :: v_dual_add_f32 v1, v1, v197
	v_fma_f32 v5, v156, v100, -v5
	v_fmac_f32_e32 v217, v189, v132
	v_dual_add_f32 v2, v2, v4 :: v_dual_fmac_f32 v199, v153, v22
	v_mul_f32_e32 v4, v161, v105
	v_fma_f32 v6, v158, v102, -v6
	v_fmac_f32_e32 v202, v159, v102
	s_delay_alu instid0(VALU_DEP_4) | instskip(SKIP_3) | instid1(VALU_DEP_4)
	v_dual_add_f32 v2, v2, v5 :: v_dual_fmac_f32 v201, v157, v100
	v_mul_f32_e32 v5, v163, v107
	v_fma_f32 v4, v160, v104, -v4
	v_fmac_f32_e32 v204, v163, v106
	v_add_f32_e32 v2, v2, v6
	v_add_f32_e32 v1, v1, v198
	v_mul_f32_e32 v6, v165, v109
	v_fma_f32 v5, v162, v106, -v5
	v_fmac_f32_e32 v206, v167, v110
	s_delay_alu instid0(VALU_DEP_4) | instskip(SKIP_2) | instid1(VALU_DEP_3)
	v_dual_add_f32 v2, v2, v4 :: v_dual_add_f32 v1, v1, v199
	v_dual_fmac_f32 v203, v161, v104 :: v_dual_mul_f32 v4, v167, v111
	v_fma_f32 v6, v164, v108, -v6
	v_dual_add_f32 v2, v2, v5 :: v_dual_add_f32 v1, v1, v200
	v_fmac_f32_e32 v205, v165, v108
	s_delay_alu instid0(VALU_DEP_4) | instskip(SKIP_1) | instid1(VALU_DEP_4)
	v_fma_f32 v4, v166, v110, -v4
	v_fmac_f32_e32 v208, v171, v114
	v_dual_add_f32 v2, v2, v6 :: v_dual_add_f32 v1, v1, v201
	v_dual_mul_f32 v5, v169, v113 :: v_dual_mul_f32 v6, v171, v115
	v_fmac_f32_e32 v210, v175, v118
	s_delay_alu instid0(VALU_DEP_3) | instskip(NEXT) | instid1(VALU_DEP_3)
	v_dual_add_f32 v2, v2, v4 :: v_dual_add_f32 v1, v1, v202
	v_fma_f32 v5, v168, v112, -v5
	v_fmac_f32_e32 v207, v169, v112
	v_mul_f32_e32 v4, v173, v117
	v_fma_f32 v6, v170, v114, -v6
	s_delay_alu instid0(VALU_DEP_4) | instskip(SKIP_1) | instid1(VALU_DEP_4)
	v_dual_add_f32 v1, v1, v203 :: v_dual_add_f32 v2, v2, v5
	v_mul_f32_e32 v5, v175, v119
	v_fma_f32 v4, v172, v116, -v4
	s_delay_alu instid0(VALU_DEP_3) | instskip(NEXT) | instid1(VALU_DEP_4)
	v_dual_fmac_f32 v212, v179, v122 :: v_dual_add_f32 v1, v1, v204
	v_add_f32_e32 v2, v2, v6
	v_mul_f32_e32 v6, v177, v121
	v_fma_f32 v5, v174, v118, -v5
	s_delay_alu instid0(VALU_DEP_4) | instskip(NEXT) | instid1(VALU_DEP_4)
	v_dual_fmac_f32 v214, v183, v126 :: v_dual_add_f32 v1, v1, v205
	v_add_f32_e32 v2, v2, v4
	v_mul_f32_e32 v4, v179, v123
	v_fma_f32 v6, v176, v120, -v6
	v_fmac_f32_e32 v216, v187, v130
	s_delay_alu instid0(VALU_DEP_4) | instskip(SKIP_2) | instid1(VALU_DEP_3)
	v_dual_add_f32 v1, v1, v206 :: v_dual_add_f32 v2, v2, v5
	v_fmac_f32_e32 v211, v177, v120
	v_fma_f32 v4, v178, v122, -v4
	v_dual_add_f32 v1, v1, v207 :: v_dual_add_f32 v2, v2, v6
	v_dual_mul_f32 v5, v181, v125 :: v_dual_mul_f32 v6, v183, v127
	s_delay_alu instid0(VALU_DEP_2) | instskip(NEXT) | instid1(VALU_DEP_3)
	v_add_f32_e32 v1, v1, v208
	v_add_f32_e32 v2, v2, v4
	s_delay_alu instid0(VALU_DEP_3)
	v_fma_f32 v5, v180, v124, -v5
	v_fmac_f32_e32 v213, v181, v124
	v_mul_f32_e32 v4, v185, v129
	v_add_f32_e32 v1, v1, v209
	v_fma_f32 v6, v182, v126, -v6
	v_dual_add_f32 v2, v2, v5 :: v_dual_mul_f32 v5, v187, v131
	s_delay_alu instid0(VALU_DEP_4) | instskip(NEXT) | instid1(VALU_DEP_4)
	v_fma_f32 v4, v184, v128, -v4
	v_add_f32_e32 v1, v1, v210
	s_delay_alu instid0(VALU_DEP_3) | instskip(SKIP_2) | instid1(VALU_DEP_3)
	v_add_f32_e32 v2, v2, v6
	v_mul_f32_e32 v6, v189, v133
	v_fma_f32 v5, v186, v130, -v5
	v_dual_add_f32 v1, v1, v211 :: v_dual_add_f32 v2, v2, v4
	v_fmac_f32_e32 v215, v185, v128
	s_delay_alu instid0(VALU_DEP_4) | instskip(NEXT) | instid1(VALU_DEP_3)
	v_fma_f32 v4, v188, v132, -v6
	v_dual_add_f32 v1, v1, v212 :: v_dual_add_f32 v2, v2, v5
	s_delay_alu instid0(VALU_DEP_1) | instskip(NEXT) | instid1(VALU_DEP_1)
	v_dual_add_f32 v1, v1, v213 :: v_dual_add_f32 v2, v2, v4
	v_add_f32_e32 v1, v1, v214
	s_delay_alu instid0(VALU_DEP_1) | instskip(NEXT) | instid1(VALU_DEP_1)
	v_add_f32_e32 v1, v1, v215
	v_add_f32_e32 v1, v1, v216
	s_wait_loadcnt 0x0
	s_delay_alu instid0(VALU_DEP_1) | instskip(NEXT) | instid1(VALU_DEP_1)
	v_dual_add_f32 v4, v1, v217 :: v_dual_sub_f32 v1, v190, v2
	v_sub_f32_e32 v2, v191, v4
	scratch_store_b64 off, v[1:2], off offset:64
	v_cmpx_lt_u32_e32 7, v0
	s_cbranch_execz .LBB100_221
; %bb.220:
	scratch_load_b64 v[1:2], off, off offset:56
	v_mov_b32_e32 v4, 0
	s_delay_alu instid0(VALU_DEP_1)
	v_mov_b32_e32 v5, v4
	scratch_store_b64 off, v[4:5], off offset:56
	s_wait_loadcnt 0x0
	ds_store_b64 v3, v[1:2]
.LBB100_221:
	s_wait_alu 0xfffe
	s_or_b32 exec_lo, exec_lo, s0
	s_wait_storecnt_dscnt 0x0
	s_barrier_signal -1
	s_barrier_wait -1
	global_inv scope:SCOPE_SE
	s_clause 0xf
	scratch_load_b128 v[4:7], off, off offset:64
	scratch_load_b128 v[8:11], off, off offset:80
	;; [unrolled: 1-line block ×14, first 2 shown]
	scratch_load_b64 v[190:191], off, off offset:288
	scratch_load_b64 v[192:193], off, off offset:56
	v_mov_b32_e32 v1, 0
	ds_load_b128 v[134:137], v1 offset:368
	ds_load_b128 v[138:141], v1 offset:384
	;; [unrolled: 1-line block ×14, first 2 shown]
	ds_load_b64 v[194:195], v1 offset:592
	s_mov_b32 s0, exec_lo
	s_wait_loadcnt_dscnt 0xf0e
	v_mul_f32_e32 v2, v134, v5
	v_dual_mul_f32 v5, v135, v5 :: v_dual_mul_f32 v196, v136, v7
	s_wait_loadcnt_dscnt 0xb0a
	v_dual_mul_f32 v197, v138, v9 :: v_dual_mul_f32 v204, v152, v23
	v_mul_f32_e32 v7, v137, v7
	s_delay_alu instid0(VALU_DEP_3)
	v_fma_f32 v5, v134, v4, -v5
	v_fmac_f32_e32 v196, v137, v6
	v_dual_mul_f32 v200, v144, v15 :: v_dual_mul_f32 v201, v146, v17
	v_fmac_f32_e32 v2, v135, v4
	v_mul_f32_e32 v4, v139, v9
	v_fma_f32 v6, v136, v6, -v7
	v_add_f32_e32 v5, 0, v5
	s_wait_loadcnt_dscnt 0x100
	v_dual_mul_f32 v223, v194, v191 :: v_dual_add_f32 v2, 0, v2
	v_mul_f32_e32 v7, v141, v11
	v_fma_f32 v4, v138, v8, -v4
	v_dual_add_f32 v5, v5, v6 :: v_dual_mul_f32 v6, v143, v13
	s_delay_alu instid0(VALU_DEP_4) | instskip(NEXT) | instid1(VALU_DEP_4)
	v_add_f32_e32 v2, v2, v196
	v_fma_f32 v7, v140, v10, -v7
	v_dual_mul_f32 v198, v140, v11 :: v_dual_mul_f32 v199, v142, v13
	s_delay_alu instid0(VALU_DEP_4) | instskip(SKIP_2) | instid1(VALU_DEP_4)
	v_add_f32_e32 v4, v5, v4
	v_mul_f32_e32 v5, v145, v15
	v_fma_f32 v6, v142, v12, -v6
	v_dual_fmac_f32 v197, v139, v8 :: v_dual_fmac_f32 v198, v141, v10
	s_delay_alu instid0(VALU_DEP_4) | instskip(SKIP_3) | instid1(VALU_DEP_4)
	v_dual_add_f32 v4, v4, v7 :: v_dual_fmac_f32 v201, v147, v16
	v_mul_f32_e32 v7, v147, v17
	v_fma_f32 v5, v144, v14, -v5
	v_dual_mul_f32 v205, v154, v99 :: v_dual_mul_f32 v206, v156, v101
	v_add_f32_e32 v4, v4, v6
	v_dual_add_f32 v2, v2, v197 :: v_dual_fmac_f32 v199, v143, v12
	s_delay_alu instid0(VALU_DEP_3) | instskip(SKIP_1) | instid1(VALU_DEP_4)
	v_dual_mul_f32 v6, v149, v19 :: v_dual_fmac_f32 v205, v155, v98
	v_fma_f32 v7, v146, v16, -v7
	v_add_f32_e32 v4, v4, v5
	s_delay_alu instid0(VALU_DEP_4) | instskip(NEXT) | instid1(VALU_DEP_4)
	v_dual_add_f32 v2, v2, v198 :: v_dual_mul_f32 v5, v151, v21
	v_fma_f32 v6, v148, v18, -v6
	v_dual_mul_f32 v211, v166, v111 :: v_dual_mul_f32 v212, v168, v113
	s_delay_alu instid0(VALU_DEP_4) | instskip(SKIP_3) | instid1(VALU_DEP_4)
	v_add_f32_e32 v4, v4, v7
	v_mul_f32_e32 v7, v153, v23
	v_fma_f32 v5, v150, v20, -v5
	v_dual_mul_f32 v215, v174, v119 :: v_dual_mul_f32 v216, v176, v121
	v_add_f32_e32 v4, v4, v6
	v_mul_f32_e32 v6, v155, v99
	v_fma_f32 v7, v152, v22, -v7
	v_dual_add_f32 v2, v2, v199 :: v_dual_fmac_f32 v211, v167, v110
	s_delay_alu instid0(VALU_DEP_4) | instskip(SKIP_3) | instid1(VALU_DEP_4)
	v_add_f32_e32 v4, v4, v5
	v_mul_f32_e32 v5, v157, v101
	v_fma_f32 v6, v154, v98, -v6
	v_dual_fmac_f32 v215, v175, v118 :: v_dual_mul_f32 v202, v148, v19
	v_dual_mul_f32 v203, v150, v21 :: v_dual_add_f32 v4, v4, v7
	v_mul_f32_e32 v7, v159, v103
	v_fma_f32 v5, v156, v100, -v5
	v_dual_mul_f32 v221, v186, v131 :: v_dual_mul_f32 v222, v188, v133
	s_delay_alu instid0(VALU_DEP_4) | instskip(SKIP_3) | instid1(VALU_DEP_4)
	v_add_f32_e32 v4, v4, v6
	v_mul_f32_e32 v6, v161, v105
	v_fma_f32 v7, v158, v102, -v7
	v_fmac_f32_e32 v202, v149, v18
	v_dual_fmac_f32 v221, v187, v130 :: v_dual_add_f32 v4, v4, v5
	v_mul_f32_e32 v5, v163, v107
	v_fma_f32 v6, v160, v104, -v6
	v_dual_fmac_f32 v200, v145, v14 :: v_dual_fmac_f32 v203, v151, v20
	s_delay_alu instid0(VALU_DEP_4) | instskip(NEXT) | instid1(VALU_DEP_4)
	v_dual_add_f32 v4, v4, v7 :: v_dual_mul_f32 v7, v165, v109
	v_fma_f32 v5, v162, v106, -v5
	v_dual_mul_f32 v207, v158, v103 :: v_dual_mul_f32 v208, v160, v105
	s_delay_alu instid0(VALU_DEP_3)
	v_add_f32_e32 v4, v4, v6
	v_add_f32_e32 v2, v2, v200
	v_mul_f32_e32 v6, v167, v111
	v_fma_f32 v7, v164, v108, -v7
	v_dual_mul_f32 v209, v162, v107 :: v_dual_mul_f32 v210, v164, v109
	v_dual_add_f32 v4, v4, v5 :: v_dual_fmac_f32 v207, v159, v102
	s_delay_alu instid0(VALU_DEP_2) | instskip(SKIP_2) | instid1(VALU_DEP_4)
	v_dual_add_f32 v2, v2, v201 :: v_dual_fmac_f32 v209, v163, v106
	v_mul_f32_e32 v5, v169, v113
	v_fma_f32 v6, v166, v110, -v6
	v_add_f32_e32 v4, v4, v7
	s_delay_alu instid0(VALU_DEP_4) | instskip(NEXT) | instid1(VALU_DEP_4)
	v_dual_add_f32 v2, v2, v202 :: v_dual_mul_f32 v7, v171, v115
	v_fma_f32 v5, v168, v112, -v5
	v_fmac_f32_e32 v204, v153, v22
	s_delay_alu instid0(VALU_DEP_4) | instskip(SKIP_3) | instid1(VALU_DEP_4)
	v_add_f32_e32 v4, v4, v6
	v_mul_f32_e32 v6, v173, v117
	v_fma_f32 v7, v170, v114, -v7
	v_dual_mul_f32 v213, v170, v115 :: v_dual_mul_f32 v214, v172, v117
	v_dual_add_f32 v4, v4, v5 :: v_dual_mul_f32 v5, v175, v119
	s_delay_alu instid0(VALU_DEP_4) | instskip(NEXT) | instid1(VALU_DEP_3)
	v_fma_f32 v6, v172, v116, -v6
	v_dual_add_f32 v2, v2, v203 :: v_dual_fmac_f32 v213, v171, v114
	s_delay_alu instid0(VALU_DEP_3) | instskip(NEXT) | instid1(VALU_DEP_4)
	v_dual_add_f32 v4, v4, v7 :: v_dual_mul_f32 v7, v177, v121
	v_fma_f32 v5, v174, v118, -v5
	s_delay_alu instid0(VALU_DEP_3) | instskip(SKIP_1) | instid1(VALU_DEP_4)
	v_add_f32_e32 v2, v2, v204
	v_dual_mul_f32 v217, v178, v123 :: v_dual_mul_f32 v218, v180, v125
	v_add_f32_e32 v4, v4, v6
	v_mul_f32_e32 v6, v179, v123
	v_fma_f32 v7, v176, v120, -v7
	v_dual_mul_f32 v219, v182, v127 :: v_dual_mul_f32 v220, v184, v129
	s_delay_alu instid0(VALU_DEP_4) | instskip(SKIP_3) | instid1(VALU_DEP_4)
	v_add_f32_e32 v4, v4, v5
	v_mul_f32_e32 v5, v181, v125
	v_fma_f32 v6, v178, v122, -v6
	v_dual_fmac_f32 v206, v157, v100 :: v_dual_fmac_f32 v217, v179, v122
	v_add_f32_e32 v4, v4, v7
	v_dual_add_f32 v2, v2, v205 :: v_dual_fmac_f32 v219, v183, v126
	v_mul_f32_e32 v7, v183, v127
	v_fma_f32 v5, v180, v124, -v5
	s_delay_alu instid0(VALU_DEP_4) | instskip(NEXT) | instid1(VALU_DEP_4)
	v_add_f32_e32 v4, v4, v6
	v_add_f32_e32 v2, v2, v206
	v_dual_fmac_f32 v208, v161, v104 :: v_dual_fmac_f32 v223, v195, v190
	v_fma_f32 v7, v182, v126, -v7
	s_delay_alu instid0(VALU_DEP_4)
	v_add_f32_e32 v4, v4, v5
	v_fmac_f32_e32 v210, v165, v108
	v_fmac_f32_e32 v212, v169, v112
	;; [unrolled: 1-line block ×4, first 2 shown]
	v_dual_add_f32 v4, v4, v7 :: v_dual_mul_f32 v7, v189, v133
	v_add_f32_e32 v2, v2, v207
	v_fmac_f32_e32 v218, v181, v124
	v_dual_mul_f32 v6, v185, v129 :: v_dual_mul_f32 v5, v187, v131
	v_fmac_f32_e32 v220, v185, v128
	s_delay_alu instid0(VALU_DEP_4) | instskip(SKIP_1) | instid1(VALU_DEP_4)
	v_add_f32_e32 v2, v2, v208
	v_fmac_f32_e32 v222, v189, v132
	v_fma_f32 v6, v184, v128, -v6
	v_fma_f32 v5, v186, v130, -v5
	;; [unrolled: 1-line block ×3, first 2 shown]
	v_add_f32_e32 v2, v2, v209
	s_delay_alu instid0(VALU_DEP_4) | instskip(SKIP_1) | instid1(VALU_DEP_3)
	v_add_f32_e32 v4, v4, v6
	v_mul_f32_e32 v6, v195, v191
	v_add_f32_e32 v2, v2, v210
	s_delay_alu instid0(VALU_DEP_3) | instskip(NEXT) | instid1(VALU_DEP_3)
	v_add_f32_e32 v4, v4, v5
	v_fma_f32 v5, v194, v190, -v6
	s_delay_alu instid0(VALU_DEP_3) | instskip(NEXT) | instid1(VALU_DEP_3)
	v_add_f32_e32 v2, v2, v211
	v_add_f32_e32 v4, v4, v7
	s_delay_alu instid0(VALU_DEP_2) | instskip(NEXT) | instid1(VALU_DEP_2)
	v_add_f32_e32 v2, v2, v212
	v_add_f32_e32 v4, v4, v5
	s_delay_alu instid0(VALU_DEP_2) | instskip(SKIP_1) | instid1(VALU_DEP_2)
	v_add_f32_e32 v2, v2, v213
	s_wait_loadcnt 0x0
	v_sub_f32_e32 v4, v192, v4
	s_delay_alu instid0(VALU_DEP_2) | instskip(NEXT) | instid1(VALU_DEP_1)
	v_add_f32_e32 v2, v2, v214
	v_add_f32_e32 v2, v2, v215
	s_delay_alu instid0(VALU_DEP_1) | instskip(NEXT) | instid1(VALU_DEP_1)
	v_add_f32_e32 v2, v2, v216
	v_add_f32_e32 v2, v2, v217
	s_delay_alu instid0(VALU_DEP_1) | instskip(NEXT) | instid1(VALU_DEP_1)
	;; [unrolled: 3-line block ×4, first 2 shown]
	v_add_f32_e32 v2, v2, v222
	v_add_f32_e32 v2, v2, v223
	s_delay_alu instid0(VALU_DEP_1)
	v_sub_f32_e32 v5, v193, v2
	scratch_store_b64 off, v[4:5], off offset:56
	v_cmpx_lt_u32_e32 6, v0
	s_cbranch_execz .LBB100_223
; %bb.222:
	scratch_load_b64 v[4:5], off, off offset:48
	v_mov_b32_e32 v2, v1
	scratch_store_b64 off, v[1:2], off offset:48
	s_wait_loadcnt 0x0
	ds_store_b64 v3, v[4:5]
.LBB100_223:
	s_wait_alu 0xfffe
	s_or_b32 exec_lo, exec_lo, s0
	s_wait_storecnt_dscnt 0x0
	s_barrier_signal -1
	s_barrier_wait -1
	global_inv scope:SCOPE_SE
	s_clause 0xf
	scratch_load_b128 v[4:7], off, off offset:56
	scratch_load_b128 v[8:11], off, off offset:72
	;; [unrolled: 1-line block ×15, first 2 shown]
	scratch_load_b64 v[198:199], off, off offset:48
	ds_load_2addr_b64 v[138:141], v1 offset0:45 offset1:46
	ds_load_2addr_b64 v[142:145], v1 offset0:47 offset1:48
	;; [unrolled: 1-line block ×15, first 2 shown]
	s_mov_b32 s0, exec_lo
	s_wait_loadcnt_dscnt 0xf0e
	v_dual_mul_f32 v1, v138, v5 :: v_dual_mul_f32 v2, v140, v7
	s_wait_loadcnt_dscnt 0xe0d
	v_dual_mul_f32 v7, v141, v7 :: v_dual_mul_f32 v200, v142, v9
	v_mul_f32_e32 v201, v144, v11
	s_wait_loadcnt_dscnt 0xd0c
	v_dual_fmac_f32 v1, v139, v4 :: v_dual_mul_f32 v202, v146, v13
	s_wait_loadcnt_dscnt 0xc0b
	v_dual_mul_f32 v203, v148, v15 :: v_dual_mul_f32 v204, v150, v17
	v_mul_f32_e32 v205, v152, v19
	v_dual_mul_f32 v5, v139, v5 :: v_dual_fmac_f32 v2, v141, v6
	s_wait_loadcnt_dscnt 0xb0a
	v_dual_mul_f32 v206, v154, v21 :: v_dual_mul_f32 v207, v156, v23
	s_wait_loadcnt_dscnt 0x201
	v_mul_f32_e32 v224, v190, v131
	v_fma_f32 v5, v138, v4, -v5
	s_wait_loadcnt_dscnt 0x100
	v_mul_f32_e32 v227, v196, v137
	v_mul_f32_e32 v4, v143, v9
	v_fma_f32 v6, v140, v6, -v7
	v_mul_f32_e32 v7, v145, v11
	v_dual_add_f32 v5, 0, v5 :: v_dual_fmac_f32 v200, v143, v8
	s_delay_alu instid0(VALU_DEP_4) | instskip(SKIP_1) | instid1(VALU_DEP_3)
	v_fma_f32 v4, v142, v8, -v4
	v_dual_mul_f32 v208, v158, v99 :: v_dual_mul_f32 v209, v160, v101
	v_add_f32_e32 v5, v5, v6
	v_fma_f32 v6, v144, v10, -v7
	v_dual_fmac_f32 v205, v153, v18 :: v_dual_mul_f32 v210, v162, v103
	s_delay_alu instid0(VALU_DEP_3) | instskip(SKIP_2) | instid1(VALU_DEP_3)
	v_dual_mul_f32 v211, v164, v105 :: v_dual_add_f32 v4, v5, v4
	v_dual_mul_f32 v212, v166, v107 :: v_dual_mul_f32 v213, v168, v109
	v_dual_mul_f32 v214, v170, v111 :: v_dual_mul_f32 v215, v172, v113
	v_dual_add_f32 v4, v4, v6 :: v_dual_add_f32 v1, 0, v1
	v_fmac_f32_e32 v202, v147, v12
	v_mul_f32_e32 v6, v151, v17
	v_fmac_f32_e32 v204, v151, v16
	v_dual_mul_f32 v216, v174, v115 :: v_dual_mul_f32 v217, v176, v117
	v_dual_add_f32 v1, v1, v2 :: v_dual_mul_f32 v2, v147, v13
	s_delay_alu instid0(VALU_DEP_4) | instskip(SKIP_2) | instid1(VALU_DEP_4)
	v_fma_f32 v6, v150, v16, -v6
	v_mul_f32_e32 v5, v149, v15
	v_dual_mul_f32 v218, v178, v119 :: v_dual_mul_f32 v219, v180, v121
	v_fma_f32 v2, v146, v12, -v2
	v_add_f32_e32 v1, v1, v200
	s_delay_alu instid0(VALU_DEP_4)
	v_fma_f32 v5, v148, v14, -v5
	v_dual_fmac_f32 v217, v177, v116 :: v_dual_mul_f32 v220, v182, v123
	v_mul_f32_e32 v221, v184, v125
	v_add_f32_e32 v2, v4, v2
	v_fmac_f32_e32 v201, v145, v10
	v_mul_f32_e32 v4, v153, v19
	v_fmac_f32_e32 v206, v155, v20
	v_dual_mul_f32 v222, v186, v127 :: v_dual_mul_f32 v223, v188, v129
	v_add_f32_e32 v2, v2, v5
	v_add_f32_e32 v1, v1, v201
	v_mul_f32_e32 v5, v155, v21
	v_fma_f32 v4, v152, v18, -v4
	s_delay_alu instid0(VALU_DEP_4)
	v_dual_fmac_f32 v223, v189, v128 :: v_dual_add_f32 v2, v2, v6
	v_fmac_f32_e32 v203, v149, v14
	v_add_f32_e32 v1, v1, v202
	v_mul_f32_e32 v6, v157, v23
	v_fma_f32 v5, v154, v20, -v5
	v_add_f32_e32 v2, v2, v4
	v_mul_f32_e32 v4, v159, v99
	v_add_f32_e32 v1, v1, v203
	v_fma_f32 v6, v156, v22, -v6
	v_fmac_f32_e32 v208, v159, v98
	v_add_f32_e32 v2, v2, v5
	v_mul_f32_e32 v5, v161, v101
	v_add_f32_e32 v1, v1, v204
	v_fma_f32 v4, v158, v98, -v4
	v_dual_mul_f32 v225, v192, v133 :: v_dual_mul_f32 v226, v194, v135
	v_add_f32_e32 v2, v2, v6
	s_delay_alu instid0(VALU_DEP_4) | instskip(SKIP_1) | instid1(VALU_DEP_4)
	v_dual_mul_f32 v6, v163, v103 :: v_dual_add_f32 v1, v1, v205
	v_fma_f32 v5, v160, v100, -v5
	v_dual_fmac_f32 v225, v193, v132 :: v_dual_fmac_f32 v226, v195, v134
	s_delay_alu instid0(VALU_DEP_4) | instskip(SKIP_3) | instid1(VALU_DEP_4)
	v_dual_add_f32 v2, v2, v4 :: v_dual_fmac_f32 v207, v157, v22
	v_mul_f32_e32 v4, v165, v105
	v_fma_f32 v6, v162, v102, -v6
	v_fmac_f32_e32 v210, v163, v102
	v_dual_add_f32 v2, v2, v5 :: v_dual_fmac_f32 v209, v161, v100
	v_mul_f32_e32 v5, v167, v107
	v_fma_f32 v4, v164, v104, -v4
	v_fmac_f32_e32 v212, v167, v106
	s_delay_alu instid0(VALU_DEP_4) | instskip(SKIP_4) | instid1(VALU_DEP_4)
	v_add_f32_e32 v2, v2, v6
	v_add_f32_e32 v1, v1, v206
	v_mul_f32_e32 v6, v169, v109
	v_fma_f32 v5, v166, v106, -v5
	v_fmac_f32_e32 v214, v171, v110
	v_dual_add_f32 v2, v2, v4 :: v_dual_add_f32 v1, v1, v207
	v_dual_fmac_f32 v211, v165, v104 :: v_dual_mul_f32 v4, v171, v111
	v_fma_f32 v6, v168, v108, -v6
	s_delay_alu instid0(VALU_DEP_3) | instskip(SKIP_1) | instid1(VALU_DEP_4)
	v_dual_add_f32 v2, v2, v5 :: v_dual_add_f32 v1, v1, v208
	v_fmac_f32_e32 v213, v169, v108
	v_fma_f32 v4, v170, v110, -v4
	v_fmac_f32_e32 v216, v175, v114
	s_delay_alu instid0(VALU_DEP_4) | instskip(SKIP_2) | instid1(VALU_DEP_3)
	v_dual_add_f32 v2, v2, v6 :: v_dual_add_f32 v1, v1, v209
	v_dual_mul_f32 v5, v173, v113 :: v_dual_mul_f32 v6, v175, v115
	v_fmac_f32_e32 v218, v179, v118
	v_dual_add_f32 v2, v2, v4 :: v_dual_add_f32 v1, v1, v210
	s_delay_alu instid0(VALU_DEP_3) | instskip(SKIP_3) | instid1(VALU_DEP_4)
	v_fma_f32 v5, v172, v112, -v5
	v_fmac_f32_e32 v215, v173, v112
	v_mul_f32_e32 v4, v177, v117
	v_fma_f32 v6, v174, v114, -v6
	v_dual_add_f32 v1, v1, v211 :: v_dual_add_f32 v2, v2, v5
	v_mul_f32_e32 v5, v179, v119
	s_delay_alu instid0(VALU_DEP_4) | instskip(NEXT) | instid1(VALU_DEP_3)
	v_fma_f32 v4, v176, v116, -v4
	v_dual_fmac_f32 v220, v183, v122 :: v_dual_add_f32 v1, v1, v212
	s_delay_alu instid0(VALU_DEP_4) | instskip(SKIP_2) | instid1(VALU_DEP_4)
	v_add_f32_e32 v2, v2, v6
	v_mul_f32_e32 v6, v181, v121
	v_fma_f32 v5, v178, v118, -v5
	v_dual_fmac_f32 v222, v187, v126 :: v_dual_add_f32 v1, v1, v213
	s_delay_alu instid0(VALU_DEP_4) | instskip(SKIP_3) | instid1(VALU_DEP_4)
	v_add_f32_e32 v2, v2, v4
	v_mul_f32_e32 v4, v183, v123
	v_fma_f32 v6, v180, v120, -v6
	v_fmac_f32_e32 v224, v191, v130
	v_dual_add_f32 v1, v1, v214 :: v_dual_add_f32 v2, v2, v5
	v_fmac_f32_e32 v219, v181, v120
	v_fma_f32 v4, v182, v122, -v4
	s_delay_alu instid0(VALU_DEP_3) | instskip(SKIP_1) | instid1(VALU_DEP_2)
	v_dual_add_f32 v1, v1, v215 :: v_dual_add_f32 v2, v2, v6
	v_dual_mul_f32 v5, v185, v125 :: v_dual_mul_f32 v6, v187, v127
	v_add_f32_e32 v1, v1, v216
	s_delay_alu instid0(VALU_DEP_3) | instskip(NEXT) | instid1(VALU_DEP_3)
	v_add_f32_e32 v2, v2, v4
	v_fma_f32 v5, v184, v124, -v5
	v_fmac_f32_e32 v221, v185, v124
	v_fma_f32 v6, v186, v126, -v6
	v_add_f32_e32 v1, v1, v217
	v_mul_f32_e32 v4, v189, v129
	v_dual_add_f32 v2, v2, v5 :: v_dual_mul_f32 v5, v191, v131
	s_delay_alu instid0(VALU_DEP_3) | instskip(NEXT) | instid1(VALU_DEP_3)
	v_add_f32_e32 v1, v1, v218
	v_fma_f32 v4, v188, v128, -v4
	s_delay_alu instid0(VALU_DEP_3) | instskip(SKIP_2) | instid1(VALU_DEP_3)
	v_add_f32_e32 v2, v2, v6
	v_mul_f32_e32 v6, v193, v133
	v_fma_f32 v5, v190, v130, -v5
	v_dual_add_f32 v1, v1, v219 :: v_dual_add_f32 v2, v2, v4
	v_mul_f32_e32 v4, v195, v135
	s_delay_alu instid0(VALU_DEP_4) | instskip(NEXT) | instid1(VALU_DEP_3)
	v_fma_f32 v6, v192, v132, -v6
	v_dual_add_f32 v1, v1, v220 :: v_dual_add_f32 v2, v2, v5
	s_delay_alu instid0(VALU_DEP_3) | instskip(NEXT) | instid1(VALU_DEP_2)
	v_fma_f32 v4, v194, v134, -v4
	v_dual_add_f32 v1, v1, v221 :: v_dual_add_f32 v2, v2, v6
	v_mul_f32_e32 v5, v197, v137
	s_delay_alu instid0(VALU_DEP_2) | instskip(NEXT) | instid1(VALU_DEP_2)
	v_dual_add_f32 v1, v1, v222 :: v_dual_add_f32 v2, v2, v4
	v_fma_f32 v5, v196, v136, -v5
	v_fmac_f32_e32 v227, v197, v136
	s_delay_alu instid0(VALU_DEP_2) | instskip(NEXT) | instid1(VALU_DEP_1)
	v_dual_add_f32 v1, v1, v223 :: v_dual_add_f32 v2, v2, v5
	v_add_f32_e32 v1, v1, v224
	s_delay_alu instid0(VALU_DEP_1) | instskip(NEXT) | instid1(VALU_DEP_1)
	v_add_f32_e32 v1, v1, v225
	v_add_f32_e32 v1, v1, v226
	s_wait_loadcnt 0x0
	s_delay_alu instid0(VALU_DEP_1) | instskip(NEXT) | instid1(VALU_DEP_1)
	v_dual_add_f32 v4, v1, v227 :: v_dual_sub_f32 v1, v198, v2
	v_sub_f32_e32 v2, v199, v4
	scratch_store_b64 off, v[1:2], off offset:48
	v_cmpx_lt_u32_e32 5, v0
	s_cbranch_execz .LBB100_225
; %bb.224:
	scratch_load_b64 v[1:2], off, off offset:40
	v_mov_b32_e32 v4, 0
	s_delay_alu instid0(VALU_DEP_1)
	v_mov_b32_e32 v5, v4
	scratch_store_b64 off, v[4:5], off offset:40
	s_wait_loadcnt 0x0
	ds_store_b64 v3, v[1:2]
.LBB100_225:
	s_wait_alu 0xfffe
	s_or_b32 exec_lo, exec_lo, s0
	s_wait_storecnt_dscnt 0x0
	s_barrier_signal -1
	s_barrier_wait -1
	global_inv scope:SCOPE_SE
	s_clause 0x10
	scratch_load_b128 v[4:7], off, off offset:48
	scratch_load_b128 v[8:11], off, off offset:64
	;; [unrolled: 1-line block ×15, first 2 shown]
	scratch_load_b64 v[198:199], off, off offset:288
	scratch_load_b64 v[200:201], off, off offset:40
	v_mov_b32_e32 v1, 0
	ds_load_b128 v[138:141], v1 offset:352
	ds_load_b128 v[142:145], v1 offset:368
	ds_load_b128 v[146:149], v1 offset:384
	ds_load_b128 v[150:153], v1 offset:400
	ds_load_b128 v[154:157], v1 offset:416
	ds_load_b128 v[158:161], v1 offset:432
	ds_load_b128 v[162:165], v1 offset:448
	ds_load_b128 v[166:169], v1 offset:464
	ds_load_b128 v[170:173], v1 offset:480
	ds_load_b128 v[174:177], v1 offset:496
	ds_load_b128 v[178:181], v1 offset:512
	ds_load_b128 v[182:185], v1 offset:528
	ds_load_b128 v[186:189], v1 offset:544
	ds_load_b128 v[190:193], v1 offset:560
	ds_load_b128 v[194:197], v1 offset:576
	ds_load_b64 v[202:203], v1 offset:592
	s_mov_b32 s0, exec_lo
	s_wait_loadcnt_dscnt 0x100f
	v_mul_f32_e32 v2, v138, v5
	v_dual_mul_f32 v5, v139, v5 :: v_dual_mul_f32 v204, v140, v7
	s_wait_loadcnt_dscnt 0xc0b
	v_dual_mul_f32 v205, v142, v9 :: v_dual_mul_f32 v212, v156, v23
	v_mul_f32_e32 v7, v141, v7
	s_delay_alu instid0(VALU_DEP_3)
	v_fma_f32 v5, v138, v4, -v5
	v_fmac_f32_e32 v204, v141, v6
	v_dual_mul_f32 v208, v148, v15 :: v_dual_mul_f32 v209, v150, v17
	v_dual_mul_f32 v206, v144, v11 :: v_dual_mul_f32 v207, v146, v13
	v_fmac_f32_e32 v2, v139, v4
	v_mul_f32_e32 v4, v143, v9
	v_fma_f32 v6, v140, v6, -v7
	s_wait_loadcnt_dscnt 0x100
	v_mul_f32_e32 v233, v202, v199
	v_dual_add_f32 v5, 0, v5 :: v_dual_add_f32 v2, 0, v2
	v_mul_f32_e32 v7, v145, v11
	v_fma_f32 v4, v142, v8, -v4
	v_dual_fmac_f32 v205, v143, v8 :: v_dual_fmac_f32 v206, v145, v10
	s_delay_alu instid0(VALU_DEP_4) | instskip(SKIP_3) | instid1(VALU_DEP_4)
	v_dual_add_f32 v5, v5, v6 :: v_dual_add_f32 v2, v2, v204
	v_mul_f32_e32 v6, v147, v13
	v_fma_f32 v7, v144, v10, -v7
	v_fmac_f32_e32 v209, v151, v16
	v_add_f32_e32 v4, v5, v4
	v_mul_f32_e32 v5, v149, v15
	v_fma_f32 v6, v146, v12, -v6
	v_dual_mul_f32 v213, v158, v99 :: v_dual_mul_f32 v214, v160, v101
	s_delay_alu instid0(VALU_DEP_4) | instskip(NEXT) | instid1(VALU_DEP_4)
	v_dual_add_f32 v4, v4, v7 :: v_dual_mul_f32 v7, v151, v17
	v_fma_f32 v5, v148, v14, -v5
	v_dual_add_f32 v2, v2, v205 :: v_dual_fmac_f32 v207, v147, v12
	s_delay_alu instid0(VALU_DEP_3) | instskip(SKIP_2) | instid1(VALU_DEP_4)
	v_add_f32_e32 v4, v4, v6
	v_dual_mul_f32 v6, v153, v19 :: v_dual_fmac_f32 v213, v159, v98
	v_fma_f32 v7, v150, v16, -v7
	v_add_f32_e32 v2, v2, v206
	s_delay_alu instid0(VALU_DEP_4) | instskip(SKIP_3) | instid1(VALU_DEP_4)
	v_add_f32_e32 v4, v4, v5
	v_mul_f32_e32 v5, v155, v21
	v_fma_f32 v6, v152, v18, -v6
	v_dual_mul_f32 v219, v170, v111 :: v_dual_mul_f32 v220, v172, v113
	v_add_f32_e32 v4, v4, v7
	v_mul_f32_e32 v7, v157, v23
	v_fma_f32 v5, v154, v20, -v5
	v_dual_mul_f32 v223, v178, v119 :: v_dual_mul_f32 v224, v180, v121
	s_delay_alu instid0(VALU_DEP_4) | instskip(SKIP_3) | instid1(VALU_DEP_4)
	v_add_f32_e32 v4, v4, v6
	v_mul_f32_e32 v6, v159, v99
	v_fma_f32 v7, v156, v22, -v7
	v_dual_add_f32 v2, v2, v207 :: v_dual_fmac_f32 v219, v171, v110
	v_add_f32_e32 v4, v4, v5
	v_mul_f32_e32 v5, v161, v101
	v_fma_f32 v6, v158, v98, -v6
	v_dual_fmac_f32 v223, v179, v118 :: v_dual_mul_f32 v210, v152, v19
	s_delay_alu instid0(VALU_DEP_4) | instskip(SKIP_3) | instid1(VALU_DEP_4)
	v_dual_mul_f32 v211, v154, v21 :: v_dual_add_f32 v4, v4, v7
	v_mul_f32_e32 v7, v163, v103
	v_fma_f32 v5, v160, v100, -v5
	v_dual_mul_f32 v229, v190, v131 :: v_dual_mul_f32 v230, v192, v133
	v_add_f32_e32 v4, v4, v6
	v_mul_f32_e32 v6, v165, v105
	v_fma_f32 v7, v162, v102, -v7
	v_fmac_f32_e32 v210, v153, v18
	s_delay_alu instid0(VALU_DEP_4) | instskip(SKIP_3) | instid1(VALU_DEP_4)
	v_dual_fmac_f32 v229, v191, v130 :: v_dual_add_f32 v4, v4, v5
	v_mul_f32_e32 v5, v167, v107
	v_fma_f32 v6, v164, v104, -v6
	v_dual_fmac_f32 v208, v149, v14 :: v_dual_fmac_f32 v211, v155, v20
	v_dual_add_f32 v4, v4, v7 :: v_dual_mul_f32 v7, v169, v109
	s_delay_alu instid0(VALU_DEP_4) | instskip(SKIP_1) | instid1(VALU_DEP_3)
	v_fma_f32 v5, v166, v106, -v5
	v_dual_mul_f32 v215, v162, v103 :: v_dual_mul_f32 v216, v164, v105
	v_add_f32_e32 v4, v4, v6
	v_add_f32_e32 v2, v2, v208
	v_mul_f32_e32 v6, v171, v111
	v_fma_f32 v7, v168, v108, -v7
	v_dual_mul_f32 v217, v166, v107 :: v_dual_mul_f32 v218, v168, v109
	v_dual_add_f32 v4, v4, v5 :: v_dual_fmac_f32 v215, v163, v102
	s_delay_alu instid0(VALU_DEP_2) | instskip(SKIP_2) | instid1(VALU_DEP_4)
	v_dual_add_f32 v2, v2, v209 :: v_dual_fmac_f32 v217, v167, v106
	v_mul_f32_e32 v5, v173, v113
	v_fma_f32 v6, v170, v110, -v6
	v_add_f32_e32 v4, v4, v7
	s_delay_alu instid0(VALU_DEP_4) | instskip(NEXT) | instid1(VALU_DEP_4)
	v_dual_add_f32 v2, v2, v210 :: v_dual_mul_f32 v7, v175, v115
	v_fma_f32 v5, v172, v112, -v5
	v_fmac_f32_e32 v212, v157, v22
	s_delay_alu instid0(VALU_DEP_4) | instskip(SKIP_3) | instid1(VALU_DEP_4)
	v_add_f32_e32 v4, v4, v6
	v_mul_f32_e32 v6, v177, v117
	v_fma_f32 v7, v174, v114, -v7
	v_dual_mul_f32 v221, v174, v115 :: v_dual_mul_f32 v222, v176, v117
	v_dual_add_f32 v4, v4, v5 :: v_dual_mul_f32 v5, v179, v119
	s_delay_alu instid0(VALU_DEP_4) | instskip(NEXT) | instid1(VALU_DEP_3)
	v_fma_f32 v6, v176, v116, -v6
	v_dual_add_f32 v2, v2, v211 :: v_dual_fmac_f32 v221, v175, v114
	s_delay_alu instid0(VALU_DEP_3) | instskip(NEXT) | instid1(VALU_DEP_4)
	v_dual_add_f32 v4, v4, v7 :: v_dual_mul_f32 v7, v181, v121
	v_fma_f32 v5, v178, v118, -v5
	s_delay_alu instid0(VALU_DEP_3) | instskip(SKIP_1) | instid1(VALU_DEP_4)
	v_add_f32_e32 v2, v2, v212
	v_dual_mul_f32 v225, v182, v123 :: v_dual_mul_f32 v226, v184, v125
	v_add_f32_e32 v4, v4, v6
	v_mul_f32_e32 v6, v183, v123
	v_fma_f32 v7, v180, v120, -v7
	v_dual_mul_f32 v227, v186, v127 :: v_dual_mul_f32 v228, v188, v129
	s_delay_alu instid0(VALU_DEP_4) | instskip(SKIP_3) | instid1(VALU_DEP_4)
	v_add_f32_e32 v4, v4, v5
	v_mul_f32_e32 v5, v185, v125
	v_fma_f32 v6, v182, v122, -v6
	v_dual_fmac_f32 v214, v161, v100 :: v_dual_fmac_f32 v225, v183, v122
	v_add_f32_e32 v4, v4, v7
	v_dual_add_f32 v2, v2, v213 :: v_dual_fmac_f32 v227, v187, v126
	v_mul_f32_e32 v7, v187, v127
	v_fma_f32 v5, v184, v124, -v5
	s_delay_alu instid0(VALU_DEP_4) | instskip(NEXT) | instid1(VALU_DEP_4)
	v_add_f32_e32 v4, v4, v6
	v_add_f32_e32 v2, v2, v214
	v_dual_mul_f32 v231, v194, v135 :: v_dual_mul_f32 v232, v196, v137
	v_fma_f32 v7, v186, v126, -v7
	s_delay_alu instid0(VALU_DEP_4) | instskip(NEXT) | instid1(VALU_DEP_3)
	v_add_f32_e32 v4, v4, v5
	v_dual_fmac_f32 v216, v165, v104 :: v_dual_fmac_f32 v231, v195, v134
	v_dual_fmac_f32 v233, v203, v198 :: v_dual_fmac_f32 v218, v169, v108
	s_delay_alu instid0(VALU_DEP_3)
	v_dual_add_f32 v4, v4, v7 :: v_dual_mul_f32 v7, v193, v133
	v_add_f32_e32 v2, v2, v215
	v_fmac_f32_e32 v220, v173, v112
	v_fmac_f32_e32 v222, v177, v116
	;; [unrolled: 1-line block ×4, first 2 shown]
	v_add_f32_e32 v2, v2, v216
	v_dual_mul_f32 v6, v189, v129 :: v_dual_mul_f32 v5, v191, v131
	v_fmac_f32_e32 v228, v189, v128
	v_fmac_f32_e32 v230, v193, v132
	s_delay_alu instid0(VALU_DEP_4) | instskip(NEXT) | instid1(VALU_DEP_4)
	v_add_f32_e32 v2, v2, v217
	v_fma_f32 v6, v188, v128, -v6
	v_fma_f32 v5, v190, v130, -v5
	;; [unrolled: 1-line block ×3, first 2 shown]
	v_fmac_f32_e32 v232, v197, v136
	v_add_f32_e32 v2, v2, v218
	v_add_f32_e32 v4, v4, v6
	v_mul_f32_e32 v6, v195, v135
	s_delay_alu instid0(VALU_DEP_3) | instskip(NEXT) | instid1(VALU_DEP_3)
	v_add_f32_e32 v2, v2, v219
	v_add_f32_e32 v4, v4, v5
	v_mul_f32_e32 v5, v197, v137
	s_delay_alu instid0(VALU_DEP_4) | instskip(NEXT) | instid1(VALU_DEP_4)
	v_fma_f32 v6, v194, v134, -v6
	v_add_f32_e32 v2, v2, v220
	s_delay_alu instid0(VALU_DEP_4) | instskip(SKIP_2) | instid1(VALU_DEP_4)
	v_add_f32_e32 v4, v4, v7
	v_mul_f32_e32 v7, v203, v199
	v_fma_f32 v5, v196, v136, -v5
	v_add_f32_e32 v2, v2, v221
	s_delay_alu instid0(VALU_DEP_4) | instskip(NEXT) | instid1(VALU_DEP_4)
	v_add_f32_e32 v4, v4, v6
	v_fma_f32 v6, v202, v198, -v7
	s_delay_alu instid0(VALU_DEP_3) | instskip(NEXT) | instid1(VALU_DEP_3)
	v_add_f32_e32 v2, v2, v222
	v_add_f32_e32 v4, v4, v5
	s_delay_alu instid0(VALU_DEP_2) | instskip(NEXT) | instid1(VALU_DEP_2)
	v_add_f32_e32 v2, v2, v223
	v_add_f32_e32 v4, v4, v6
	s_delay_alu instid0(VALU_DEP_2) | instskip(SKIP_1) | instid1(VALU_DEP_2)
	v_add_f32_e32 v2, v2, v224
	s_wait_loadcnt 0x0
	v_sub_f32_e32 v4, v200, v4
	s_delay_alu instid0(VALU_DEP_2) | instskip(NEXT) | instid1(VALU_DEP_1)
	v_add_f32_e32 v2, v2, v225
	v_add_f32_e32 v2, v2, v226
	s_delay_alu instid0(VALU_DEP_1) | instskip(NEXT) | instid1(VALU_DEP_1)
	v_add_f32_e32 v2, v2, v227
	v_add_f32_e32 v2, v2, v228
	s_delay_alu instid0(VALU_DEP_1) | instskip(NEXT) | instid1(VALU_DEP_1)
	;; [unrolled: 3-line block ×4, first 2 shown]
	v_add_f32_e32 v2, v2, v233
	v_sub_f32_e32 v5, v201, v2
	scratch_store_b64 off, v[4:5], off offset:40
	v_cmpx_lt_u32_e32 4, v0
	s_cbranch_execz .LBB100_227
; %bb.226:
	scratch_load_b64 v[4:5], off, off offset:32
	v_mov_b32_e32 v2, v1
	scratch_store_b64 off, v[1:2], off offset:32
	s_wait_loadcnt 0x0
	ds_store_b64 v3, v[4:5]
.LBB100_227:
	s_wait_alu 0xfffe
	s_or_b32 exec_lo, exec_lo, s0
	s_wait_storecnt_dscnt 0x0
	s_barrier_signal -1
	s_barrier_wait -1
	global_inv scope:SCOPE_SE
	s_clause 0x10
	scratch_load_b128 v[4:7], off, off offset:40
	scratch_load_b128 v[8:11], off, off offset:56
	;; [unrolled: 1-line block ×16, first 2 shown]
	scratch_load_b64 v[206:207], off, off offset:32
	ds_load_2addr_b64 v[142:145], v1 offset0:43 offset1:44
	ds_load_2addr_b64 v[146:149], v1 offset0:45 offset1:46
	;; [unrolled: 1-line block ×16, first 2 shown]
	s_mov_b32 s0, exec_lo
	s_wait_loadcnt_dscnt 0x100f
	v_dual_mul_f32 v1, v142, v5 :: v_dual_mul_f32 v2, v144, v7
	s_wait_loadcnt_dscnt 0xf0e
	v_dual_mul_f32 v7, v145, v7 :: v_dual_mul_f32 v208, v146, v9
	v_mul_f32_e32 v209, v148, v11
	s_wait_loadcnt_dscnt 0xe0d
	v_dual_fmac_f32 v1, v143, v4 :: v_dual_mul_f32 v210, v150, v13
	s_wait_loadcnt_dscnt 0xd0c
	v_dual_mul_f32 v211, v152, v15 :: v_dual_mul_f32 v212, v154, v17
	v_mul_f32_e32 v213, v156, v19
	v_dual_mul_f32 v5, v143, v5 :: v_dual_fmac_f32 v2, v145, v6
	s_wait_loadcnt_dscnt 0xc0b
	v_dual_mul_f32 v214, v158, v21 :: v_dual_mul_f32 v215, v160, v23
	s_wait_loadcnt_dscnt 0x201
	v_mul_f32_e32 v234, v198, v135
	v_fma_f32 v5, v142, v4, -v5
	s_wait_loadcnt_dscnt 0x100
	v_mul_f32_e32 v237, v204, v141
	v_mul_f32_e32 v4, v147, v9
	v_fma_f32 v6, v144, v6, -v7
	v_mul_f32_e32 v7, v149, v11
	v_dual_add_f32 v5, 0, v5 :: v_dual_fmac_f32 v208, v147, v8
	s_delay_alu instid0(VALU_DEP_4) | instskip(SKIP_1) | instid1(VALU_DEP_3)
	v_fma_f32 v4, v146, v8, -v4
	v_dual_mul_f32 v216, v162, v99 :: v_dual_mul_f32 v217, v164, v101
	v_add_f32_e32 v5, v5, v6
	v_fma_f32 v6, v148, v10, -v7
	v_dual_fmac_f32 v213, v157, v18 :: v_dual_mul_f32 v218, v166, v103
	s_delay_alu instid0(VALU_DEP_3) | instskip(SKIP_2) | instid1(VALU_DEP_3)
	v_dual_mul_f32 v219, v168, v105 :: v_dual_add_f32 v4, v5, v4
	v_dual_mul_f32 v220, v170, v107 :: v_dual_mul_f32 v221, v172, v109
	v_dual_mul_f32 v222, v174, v111 :: v_dual_mul_f32 v223, v176, v113
	v_dual_add_f32 v4, v4, v6 :: v_dual_add_f32 v1, 0, v1
	v_fmac_f32_e32 v210, v151, v12
	v_mul_f32_e32 v6, v155, v17
	v_dual_mul_f32 v224, v178, v115 :: v_dual_mul_f32 v225, v180, v117
	s_delay_alu instid0(VALU_DEP_4) | instskip(SKIP_1) | instid1(VALU_DEP_4)
	v_dual_add_f32 v1, v1, v2 :: v_dual_fmac_f32 v212, v155, v16
	v_mul_f32_e32 v2, v151, v13
	v_fma_f32 v6, v154, v16, -v6
	v_mul_f32_e32 v5, v153, v15
	v_dual_mul_f32 v226, v182, v119 :: v_dual_mul_f32 v227, v184, v121
	s_delay_alu instid0(VALU_DEP_4) | instskip(SKIP_1) | instid1(VALU_DEP_4)
	v_fma_f32 v2, v150, v12, -v2
	v_add_f32_e32 v1, v1, v208
	v_fma_f32 v5, v152, v14, -v5
	v_dual_fmac_f32 v225, v181, v116 :: v_dual_mul_f32 v228, v186, v123
	v_mul_f32_e32 v229, v188, v125
	v_add_f32_e32 v2, v4, v2
	v_fmac_f32_e32 v209, v149, v10
	v_mul_f32_e32 v4, v157, v19
	v_fmac_f32_e32 v214, v159, v20
	v_dual_mul_f32 v230, v190, v127 :: v_dual_mul_f32 v231, v192, v129
	v_add_f32_e32 v2, v2, v5
	v_add_f32_e32 v1, v1, v209
	v_mul_f32_e32 v5, v159, v21
	v_fma_f32 v4, v156, v18, -v4
	v_dual_mul_f32 v232, v194, v131 :: v_dual_mul_f32 v233, v196, v133
	v_add_f32_e32 v2, v2, v6
	v_fmac_f32_e32 v211, v153, v14
	v_add_f32_e32 v1, v1, v210
	v_mul_f32_e32 v6, v161, v23
	v_fma_f32 v5, v158, v20, -v5
	v_add_f32_e32 v2, v2, v4
	v_mul_f32_e32 v4, v163, v99
	v_add_f32_e32 v1, v1, v211
	v_fma_f32 v6, v160, v22, -v6
	v_fmac_f32_e32 v216, v163, v98
	v_add_f32_e32 v2, v2, v5
	v_mul_f32_e32 v5, v165, v101
	v_add_f32_e32 v1, v1, v212
	v_fma_f32 v4, v162, v98, -v4
	s_delay_alu instid0(VALU_DEP_4) | instskip(NEXT) | instid1(VALU_DEP_3)
	v_dual_fmac_f32 v231, v193, v128 :: v_dual_add_f32 v2, v2, v6
	v_dual_mul_f32 v6, v167, v103 :: v_dual_add_f32 v1, v1, v213
	v_fma_f32 v5, v164, v100, -v5
	v_dual_fmac_f32 v233, v197, v132 :: v_dual_fmac_f32 v234, v199, v134
	s_delay_alu instid0(VALU_DEP_4) | instskip(SKIP_3) | instid1(VALU_DEP_4)
	v_dual_add_f32 v2, v2, v4 :: v_dual_fmac_f32 v215, v161, v22
	v_mul_f32_e32 v4, v169, v105
	v_fma_f32 v6, v166, v102, -v6
	v_dual_mul_f32 v235, v200, v137 :: v_dual_mul_f32 v236, v202, v139
	v_dual_add_f32 v2, v2, v5 :: v_dual_fmac_f32 v217, v165, v100
	v_mul_f32_e32 v5, v171, v107
	v_fma_f32 v4, v168, v104, -v4
	v_fmac_f32_e32 v218, v167, v102
	s_delay_alu instid0(VALU_DEP_4) | instskip(SKIP_4) | instid1(VALU_DEP_4)
	v_add_f32_e32 v2, v2, v6
	v_add_f32_e32 v1, v1, v214
	v_mul_f32_e32 v6, v173, v109
	v_fmac_f32_e32 v220, v171, v106
	v_fma_f32 v5, v170, v106, -v5
	v_dual_add_f32 v2, v2, v4 :: v_dual_add_f32 v1, v1, v215
	v_dual_fmac_f32 v219, v169, v104 :: v_dual_mul_f32 v4, v175, v111
	v_fma_f32 v6, v172, v108, -v6
	s_delay_alu instid0(VALU_DEP_3) | instskip(SKIP_1) | instid1(VALU_DEP_4)
	v_dual_add_f32 v2, v2, v5 :: v_dual_add_f32 v1, v1, v216
	v_fmac_f32_e32 v221, v173, v108
	v_fma_f32 v4, v174, v110, -v4
	v_dual_fmac_f32 v235, v201, v136 :: v_dual_fmac_f32 v236, v203, v138
	s_delay_alu instid0(VALU_DEP_4) | instskip(SKIP_2) | instid1(VALU_DEP_3)
	v_dual_add_f32 v1, v1, v217 :: v_dual_add_f32 v2, v2, v6
	v_dual_mul_f32 v5, v177, v113 :: v_dual_mul_f32 v6, v179, v115
	v_fmac_f32_e32 v222, v175, v110
	v_dual_add_f32 v1, v1, v218 :: v_dual_add_f32 v2, v2, v4
	s_delay_alu instid0(VALU_DEP_3) | instskip(SKIP_2) | instid1(VALU_DEP_4)
	v_fma_f32 v5, v176, v112, -v5
	v_fmac_f32_e32 v223, v177, v112
	v_mul_f32_e32 v4, v181, v117
	v_dual_add_f32 v1, v1, v219 :: v_dual_fmac_f32 v224, v179, v114
	v_fma_f32 v6, v178, v114, -v6
	v_add_f32_e32 v2, v2, v5
	s_delay_alu instid0(VALU_DEP_4) | instskip(NEXT) | instid1(VALU_DEP_4)
	v_fma_f32 v4, v180, v116, -v4
	v_add_f32_e32 v1, v1, v220
	v_mul_f32_e32 v5, v183, v119
	s_delay_alu instid0(VALU_DEP_4) | instskip(SKIP_1) | instid1(VALU_DEP_4)
	v_dual_fmac_f32 v237, v205, v140 :: v_dual_add_f32 v2, v2, v6
	v_mul_f32_e32 v6, v185, v121
	v_dual_add_f32 v1, v1, v221 :: v_dual_fmac_f32 v226, v183, v118
	s_delay_alu instid0(VALU_DEP_4) | instskip(NEXT) | instid1(VALU_DEP_4)
	v_fma_f32 v5, v182, v118, -v5
	v_add_f32_e32 v2, v2, v4
	s_delay_alu instid0(VALU_DEP_3) | instskip(SKIP_2) | instid1(VALU_DEP_4)
	v_dual_mul_f32 v4, v187, v123 :: v_dual_add_f32 v1, v1, v222
	v_fma_f32 v6, v184, v120, -v6
	v_fmac_f32_e32 v228, v187, v122
	v_dual_add_f32 v2, v2, v5 :: v_dual_fmac_f32 v227, v185, v120
	s_delay_alu instid0(VALU_DEP_4) | instskip(SKIP_2) | instid1(VALU_DEP_4)
	v_add_f32_e32 v1, v1, v223
	v_fma_f32 v4, v186, v122, -v4
	v_fmac_f32_e32 v230, v191, v126
	v_dual_add_f32 v2, v2, v6 :: v_dual_mul_f32 v5, v189, v125
	s_delay_alu instid0(VALU_DEP_4) | instskip(SKIP_1) | instid1(VALU_DEP_3)
	v_dual_add_f32 v1, v1, v224 :: v_dual_mul_f32 v6, v191, v127
	v_fmac_f32_e32 v232, v195, v130
	v_add_f32_e32 v2, v2, v4
	s_delay_alu instid0(VALU_DEP_4) | instskip(NEXT) | instid1(VALU_DEP_4)
	v_fma_f32 v5, v188, v124, -v5
	v_add_f32_e32 v1, v1, v225
	v_fmac_f32_e32 v229, v189, v124
	v_fma_f32 v6, v190, v126, -v6
	v_mul_f32_e32 v4, v193, v129
	s_delay_alu instid0(VALU_DEP_4) | instskip(SKIP_1) | instid1(VALU_DEP_3)
	v_dual_add_f32 v2, v2, v5 :: v_dual_add_f32 v1, v1, v226
	v_mul_f32_e32 v5, v195, v131
	v_fma_f32 v4, v192, v128, -v4
	s_delay_alu instid0(VALU_DEP_3) | instskip(SKIP_1) | instid1(VALU_DEP_4)
	v_dual_add_f32 v2, v2, v6 :: v_dual_add_f32 v1, v1, v227
	v_mul_f32_e32 v6, v197, v133
	v_fma_f32 v5, v194, v130, -v5
	s_delay_alu instid0(VALU_DEP_3) | instskip(NEXT) | instid1(VALU_DEP_4)
	v_add_f32_e32 v2, v2, v4
	v_dual_add_f32 v1, v1, v228 :: v_dual_mul_f32 v4, v199, v135
	s_delay_alu instid0(VALU_DEP_4) | instskip(NEXT) | instid1(VALU_DEP_3)
	v_fma_f32 v6, v196, v132, -v6
	v_add_f32_e32 v2, v2, v5
	s_delay_alu instid0(VALU_DEP_3) | instskip(SKIP_2) | instid1(VALU_DEP_4)
	v_add_f32_e32 v1, v1, v229
	v_mul_f32_e32 v5, v201, v137
	v_fma_f32 v4, v198, v134, -v4
	v_add_f32_e32 v2, v2, v6
	s_delay_alu instid0(VALU_DEP_4) | instskip(NEXT) | instid1(VALU_DEP_4)
	v_dual_add_f32 v1, v1, v230 :: v_dual_mul_f32 v6, v203, v139
	v_fma_f32 v5, v200, v136, -v5
	s_delay_alu instid0(VALU_DEP_2) | instskip(SKIP_1) | instid1(VALU_DEP_4)
	v_dual_add_f32 v2, v2, v4 :: v_dual_add_f32 v1, v1, v231
	v_mul_f32_e32 v4, v205, v141
	v_fma_f32 v6, v202, v138, -v6
	s_delay_alu instid0(VALU_DEP_3) | instskip(NEXT) | instid1(VALU_DEP_3)
	v_dual_add_f32 v2, v2, v5 :: v_dual_add_f32 v1, v1, v232
	v_fma_f32 v4, v204, v140, -v4
	s_delay_alu instid0(VALU_DEP_2) | instskip(NEXT) | instid1(VALU_DEP_1)
	v_dual_add_f32 v2, v2, v6 :: v_dual_add_f32 v1, v1, v233
	v_dual_add_f32 v2, v2, v4 :: v_dual_add_f32 v1, v1, v234
	s_delay_alu instid0(VALU_DEP_1) | instskip(NEXT) | instid1(VALU_DEP_1)
	v_add_f32_e32 v1, v1, v235
	v_add_f32_e32 v1, v1, v236
	s_wait_loadcnt 0x0
	s_delay_alu instid0(VALU_DEP_1) | instskip(NEXT) | instid1(VALU_DEP_1)
	v_dual_add_f32 v4, v1, v237 :: v_dual_sub_f32 v1, v206, v2
	v_sub_f32_e32 v2, v207, v4
	scratch_store_b64 off, v[1:2], off offset:32
	v_cmpx_lt_u32_e32 3, v0
	s_cbranch_execz .LBB100_229
; %bb.228:
	scratch_load_b64 v[1:2], off, off offset:24
	v_mov_b32_e32 v4, 0
	s_delay_alu instid0(VALU_DEP_1)
	v_mov_b32_e32 v5, v4
	scratch_store_b64 off, v[4:5], off offset:24
	s_wait_loadcnt 0x0
	ds_store_b64 v3, v[1:2]
.LBB100_229:
	s_wait_alu 0xfffe
	s_or_b32 exec_lo, exec_lo, s0
	s_wait_storecnt_dscnt 0x0
	s_barrier_signal -1
	s_barrier_wait -1
	global_inv scope:SCOPE_SE
	s_clause 0x11
	scratch_load_b128 v[4:7], off, off offset:32
	scratch_load_b128 v[8:11], off, off offset:48
	;; [unrolled: 1-line block ×16, first 2 shown]
	scratch_load_b64 v[206:207], off, off offset:288
	scratch_load_b64 v[208:209], off, off offset:24
	v_mov_b32_e32 v1, 0
	ds_load_b128 v[142:145], v1 offset:336
	ds_load_b128 v[146:149], v1 offset:352
	;; [unrolled: 1-line block ×16, first 2 shown]
	ds_load_b64 v[210:211], v1 offset:592
	s_mov_b32 s0, exec_lo
	s_wait_loadcnt_dscnt 0x1110
	v_mul_f32_e32 v2, v142, v5
	v_dual_mul_f32 v5, v143, v5 :: v_dual_mul_f32 v212, v144, v7
	s_wait_loadcnt_dscnt 0xd0c
	v_dual_mul_f32 v213, v146, v9 :: v_dual_mul_f32 v220, v160, v23
	v_mul_f32_e32 v7, v145, v7
	s_delay_alu instid0(VALU_DEP_3)
	v_fma_f32 v5, v142, v4, -v5
	v_fmac_f32_e32 v212, v145, v6
	v_dual_mul_f32 v216, v152, v15 :: v_dual_mul_f32 v217, v154, v17
	v_dual_mul_f32 v214, v148, v11 :: v_dual_mul_f32 v215, v150, v13
	v_fmac_f32_e32 v2, v143, v4
	v_mul_f32_e32 v4, v147, v9
	v_fma_f32 v6, v144, v6, -v7
	v_add_f32_e32 v5, 0, v5
	s_wait_loadcnt_dscnt 0x100
	v_dual_mul_f32 v243, v210, v207 :: v_dual_add_f32 v2, 0, v2
	v_mul_f32_e32 v7, v149, v11
	v_fma_f32 v4, v146, v8, -v4
	v_dual_add_f32 v5, v5, v6 :: v_dual_mul_f32 v6, v151, v13
	s_delay_alu instid0(VALU_DEP_4) | instskip(NEXT) | instid1(VALU_DEP_4)
	v_add_f32_e32 v2, v2, v212
	v_fma_f32 v7, v148, v10, -v7
	v_dual_fmac_f32 v213, v147, v8 :: v_dual_fmac_f32 v214, v149, v10
	s_delay_alu instid0(VALU_DEP_4)
	v_add_f32_e32 v4, v5, v4
	v_mul_f32_e32 v5, v153, v15
	v_fma_f32 v6, v150, v12, -v6
	v_fmac_f32_e32 v217, v155, v16
	v_dual_mul_f32 v221, v162, v99 :: v_dual_mul_f32 v222, v164, v101
	v_dual_add_f32 v4, v4, v7 :: v_dual_mul_f32 v7, v155, v17
	v_fma_f32 v5, v152, v14, -v5
	v_dual_add_f32 v2, v2, v213 :: v_dual_fmac_f32 v215, v151, v12
	s_delay_alu instid0(VALU_DEP_3) | instskip(SKIP_2) | instid1(VALU_DEP_4)
	v_add_f32_e32 v4, v4, v6
	v_dual_mul_f32 v6, v157, v19 :: v_dual_fmac_f32 v221, v163, v98
	v_fma_f32 v7, v154, v16, -v7
	v_add_f32_e32 v2, v2, v214
	s_delay_alu instid0(VALU_DEP_4) | instskip(SKIP_3) | instid1(VALU_DEP_4)
	v_add_f32_e32 v4, v4, v5
	v_mul_f32_e32 v5, v159, v21
	v_fma_f32 v6, v156, v18, -v6
	v_dual_mul_f32 v227, v174, v111 :: v_dual_mul_f32 v228, v176, v113
	v_add_f32_e32 v4, v4, v7
	v_mul_f32_e32 v7, v161, v23
	v_fma_f32 v5, v158, v20, -v5
	v_dual_mul_f32 v231, v182, v119 :: v_dual_mul_f32 v232, v184, v121
	s_delay_alu instid0(VALU_DEP_4) | instskip(SKIP_3) | instid1(VALU_DEP_4)
	v_add_f32_e32 v4, v4, v6
	v_mul_f32_e32 v6, v163, v99
	v_fma_f32 v7, v160, v22, -v7
	v_dual_add_f32 v2, v2, v215 :: v_dual_fmac_f32 v227, v175, v110
	v_add_f32_e32 v4, v4, v5
	v_mul_f32_e32 v5, v165, v101
	v_fma_f32 v6, v162, v98, -v6
	v_dual_fmac_f32 v231, v183, v118 :: v_dual_mul_f32 v218, v156, v19
	s_delay_alu instid0(VALU_DEP_4) | instskip(SKIP_3) | instid1(VALU_DEP_4)
	v_dual_mul_f32 v219, v158, v21 :: v_dual_add_f32 v4, v4, v7
	v_mul_f32_e32 v7, v167, v103
	v_fma_f32 v5, v164, v100, -v5
	v_dual_mul_f32 v237, v194, v131 :: v_dual_mul_f32 v238, v196, v133
	v_add_f32_e32 v4, v4, v6
	v_mul_f32_e32 v6, v169, v105
	v_fma_f32 v7, v166, v102, -v7
	v_fmac_f32_e32 v218, v157, v18
	s_delay_alu instid0(VALU_DEP_4) | instskip(SKIP_3) | instid1(VALU_DEP_4)
	v_dual_fmac_f32 v237, v195, v130 :: v_dual_add_f32 v4, v4, v5
	v_mul_f32_e32 v5, v171, v107
	v_fma_f32 v6, v168, v104, -v6
	v_dual_fmac_f32 v216, v153, v14 :: v_dual_fmac_f32 v219, v159, v20
	v_dual_add_f32 v4, v4, v7 :: v_dual_mul_f32 v7, v173, v109
	s_delay_alu instid0(VALU_DEP_4) | instskip(SKIP_1) | instid1(VALU_DEP_3)
	v_fma_f32 v5, v170, v106, -v5
	v_dual_mul_f32 v223, v166, v103 :: v_dual_mul_f32 v224, v168, v105
	v_add_f32_e32 v4, v4, v6
	v_add_f32_e32 v2, v2, v216
	v_mul_f32_e32 v6, v175, v111
	v_fma_f32 v7, v172, v108, -v7
	v_dual_mul_f32 v225, v170, v107 :: v_dual_mul_f32 v226, v172, v109
	v_dual_add_f32 v4, v4, v5 :: v_dual_fmac_f32 v223, v167, v102
	s_delay_alu instid0(VALU_DEP_2) | instskip(SKIP_2) | instid1(VALU_DEP_4)
	v_dual_add_f32 v2, v2, v217 :: v_dual_fmac_f32 v225, v171, v106
	v_mul_f32_e32 v5, v177, v113
	v_fma_f32 v6, v174, v110, -v6
	v_add_f32_e32 v4, v4, v7
	s_delay_alu instid0(VALU_DEP_4) | instskip(NEXT) | instid1(VALU_DEP_4)
	v_dual_add_f32 v2, v2, v218 :: v_dual_mul_f32 v7, v179, v115
	v_fma_f32 v5, v176, v112, -v5
	v_fmac_f32_e32 v220, v161, v22
	s_delay_alu instid0(VALU_DEP_4) | instskip(SKIP_3) | instid1(VALU_DEP_4)
	v_add_f32_e32 v4, v4, v6
	v_mul_f32_e32 v6, v181, v117
	v_fma_f32 v7, v178, v114, -v7
	v_dual_mul_f32 v229, v178, v115 :: v_dual_mul_f32 v230, v180, v117
	v_dual_add_f32 v4, v4, v5 :: v_dual_mul_f32 v5, v183, v119
	s_delay_alu instid0(VALU_DEP_4) | instskip(NEXT) | instid1(VALU_DEP_3)
	v_fma_f32 v6, v180, v116, -v6
	v_dual_add_f32 v2, v2, v219 :: v_dual_fmac_f32 v229, v179, v114
	s_delay_alu instid0(VALU_DEP_3) | instskip(NEXT) | instid1(VALU_DEP_4)
	v_dual_add_f32 v4, v4, v7 :: v_dual_mul_f32 v7, v185, v121
	v_fma_f32 v5, v182, v118, -v5
	s_delay_alu instid0(VALU_DEP_3) | instskip(SKIP_1) | instid1(VALU_DEP_4)
	v_add_f32_e32 v2, v2, v220
	v_dual_mul_f32 v233, v186, v123 :: v_dual_mul_f32 v234, v188, v125
	v_add_f32_e32 v4, v4, v6
	v_mul_f32_e32 v6, v187, v123
	v_fma_f32 v7, v184, v120, -v7
	v_dual_mul_f32 v235, v190, v127 :: v_dual_mul_f32 v236, v192, v129
	s_delay_alu instid0(VALU_DEP_4) | instskip(SKIP_3) | instid1(VALU_DEP_4)
	v_add_f32_e32 v4, v4, v5
	v_mul_f32_e32 v5, v189, v125
	v_fma_f32 v6, v186, v122, -v6
	v_dual_fmac_f32 v222, v165, v100 :: v_dual_fmac_f32 v233, v187, v122
	v_add_f32_e32 v4, v4, v7
	v_mul_f32_e32 v7, v191, v127
	v_fma_f32 v5, v188, v124, -v5
	v_dual_add_f32 v2, v2, v221 :: v_dual_fmac_f32 v235, v191, v126
	s_delay_alu instid0(VALU_DEP_4) | instskip(SKIP_2) | instid1(VALU_DEP_4)
	v_add_f32_e32 v4, v4, v6
	v_mul_f32_e32 v6, v193, v129
	v_fma_f32 v7, v190, v126, -v7
	v_add_f32_e32 v2, v2, v222
	v_dual_mul_f32 v239, v198, v135 :: v_dual_mul_f32 v240, v200, v137
	v_dual_add_f32 v4, v4, v5 :: v_dual_mul_f32 v5, v195, v131
	v_fma_f32 v6, v192, v128, -v6
	v_dual_mul_f32 v241, v202, v139 :: v_dual_mul_f32 v242, v204, v141
	s_delay_alu instid0(VALU_DEP_3) | instskip(NEXT) | instid1(VALU_DEP_4)
	v_dual_add_f32 v4, v4, v7 :: v_dual_mul_f32 v7, v197, v133
	v_fma_f32 v5, v194, v130, -v5
	v_dual_fmac_f32 v224, v169, v104 :: v_dual_fmac_f32 v239, v199, v134
	s_delay_alu instid0(VALU_DEP_3) | instskip(SKIP_3) | instid1(VALU_DEP_4)
	v_add_f32_e32 v4, v4, v6
	v_mul_f32_e32 v6, v199, v135
	v_fma_f32 v7, v196, v132, -v7
	v_dual_add_f32 v2, v2, v223 :: v_dual_fmac_f32 v241, v203, v138
	v_add_f32_e32 v4, v4, v5
	v_mul_f32_e32 v5, v201, v137
	v_fma_f32 v6, v198, v134, -v6
	s_delay_alu instid0(VALU_DEP_4)
	v_add_f32_e32 v2, v2, v224
	v_dual_fmac_f32 v226, v173, v108 :: v_dual_fmac_f32 v243, v211, v206
	v_add_f32_e32 v4, v4, v7
	v_fma_f32 v5, v200, v136, -v5
	v_fmac_f32_e32 v228, v177, v112
	v_fmac_f32_e32 v230, v181, v116
	;; [unrolled: 1-line block ×3, first 2 shown]
	v_add_f32_e32 v4, v4, v6
	v_fmac_f32_e32 v234, v189, v124
	v_fmac_f32_e32 v236, v193, v128
	v_dual_fmac_f32 v238, v197, v132 :: v_dual_mul_f32 v7, v203, v139
	s_delay_alu instid0(VALU_DEP_4)
	v_dual_add_f32 v4, v4, v5 :: v_dual_mul_f32 v5, v211, v207
	v_add_f32_e32 v2, v2, v225
	v_fmac_f32_e32 v240, v201, v136
	v_mul_f32_e32 v6, v205, v141
	v_fma_f32 v7, v202, v138, -v7
	v_fmac_f32_e32 v242, v205, v140
	v_add_f32_e32 v2, v2, v226
	v_fma_f32 v5, v210, v206, -v5
	v_fma_f32 v6, v204, v140, -v6
	v_add_f32_e32 v4, v4, v7
	s_delay_alu instid0(VALU_DEP_4) | instskip(NEXT) | instid1(VALU_DEP_2)
	v_add_f32_e32 v2, v2, v227
	v_add_f32_e32 v4, v4, v6
	s_delay_alu instid0(VALU_DEP_2) | instskip(NEXT) | instid1(VALU_DEP_2)
	v_add_f32_e32 v2, v2, v228
	v_add_f32_e32 v4, v4, v5
	s_delay_alu instid0(VALU_DEP_2) | instskip(SKIP_1) | instid1(VALU_DEP_2)
	v_add_f32_e32 v2, v2, v229
	s_wait_loadcnt 0x0
	v_sub_f32_e32 v4, v208, v4
	s_delay_alu instid0(VALU_DEP_2) | instskip(NEXT) | instid1(VALU_DEP_1)
	v_add_f32_e32 v2, v2, v230
	v_add_f32_e32 v2, v2, v231
	s_delay_alu instid0(VALU_DEP_1) | instskip(NEXT) | instid1(VALU_DEP_1)
	v_add_f32_e32 v2, v2, v232
	v_add_f32_e32 v2, v2, v233
	s_delay_alu instid0(VALU_DEP_1) | instskip(NEXT) | instid1(VALU_DEP_1)
	;; [unrolled: 3-line block ×6, first 2 shown]
	v_add_f32_e32 v2, v2, v242
	v_add_f32_e32 v2, v2, v243
	s_delay_alu instid0(VALU_DEP_1)
	v_sub_f32_e32 v5, v209, v2
	scratch_store_b64 off, v[4:5], off offset:24
	v_cmpx_lt_u32_e32 2, v0
	s_cbranch_execz .LBB100_231
; %bb.230:
	scratch_load_b64 v[4:5], off, off offset:16
	v_mov_b32_e32 v2, v1
	scratch_store_b64 off, v[1:2], off offset:16
	s_wait_loadcnt 0x0
	ds_store_b64 v3, v[4:5]
.LBB100_231:
	s_wait_alu 0xfffe
	s_or_b32 exec_lo, exec_lo, s0
	s_wait_storecnt_dscnt 0x0
	s_barrier_signal -1
	s_barrier_wait -1
	global_inv scope:SCOPE_SE
	s_clause 0x11
	scratch_load_b128 v[4:7], off, off offset:24
	scratch_load_b128 v[8:11], off, off offset:40
	;; [unrolled: 1-line block ×17, first 2 shown]
	scratch_load_b64 v[214:215], off, off offset:16
	ds_load_2addr_b64 v[146:149], v1 offset0:41 offset1:42
	ds_load_2addr_b64 v[150:153], v1 offset0:43 offset1:44
	;; [unrolled: 1-line block ×17, first 2 shown]
	s_mov_b32 s0, exec_lo
	s_wait_loadcnt_dscnt 0x1110
	v_dual_mul_f32 v1, v146, v5 :: v_dual_mul_f32 v2, v148, v7
	s_wait_loadcnt_dscnt 0x100f
	v_dual_mul_f32 v7, v149, v7 :: v_dual_mul_f32 v216, v150, v9
	v_mul_f32_e32 v217, v152, v11
	s_wait_loadcnt_dscnt 0xf0e
	v_dual_fmac_f32 v1, v147, v4 :: v_dual_mul_f32 v218, v154, v13
	s_wait_loadcnt_dscnt 0xe0d
	v_dual_mul_f32 v219, v156, v15 :: v_dual_mul_f32 v220, v158, v17
	s_wait_loadcnt_dscnt 0xd0c
	v_dual_mul_f32 v221, v160, v19 :: v_dual_mul_f32 v222, v162, v21
	v_mul_f32_e32 v223, v164, v23
	v_dual_mul_f32 v5, v147, v5 :: v_dual_fmac_f32 v2, v149, v6
	s_wait_loadcnt_dscnt 0xc0b
	v_dual_mul_f32 v224, v166, v99 :: v_dual_mul_f32 v225, v168, v101
	s_wait_loadcnt_dscnt 0x201
	v_mul_f32_e32 v244, v206, v139
	v_fma_f32 v5, v146, v4, -v5
	s_wait_loadcnt_dscnt 0x100
	v_mul_f32_e32 v247, v212, v145
	v_mul_f32_e32 v4, v151, v9
	v_fma_f32 v6, v148, v6, -v7
	v_mul_f32_e32 v7, v153, v11
	v_dual_add_f32 v5, 0, v5 :: v_dual_fmac_f32 v216, v151, v8
	s_delay_alu instid0(VALU_DEP_4) | instskip(SKIP_2) | instid1(VALU_DEP_4)
	v_fma_f32 v4, v150, v8, -v4
	v_dual_fmac_f32 v221, v161, v18 :: v_dual_mul_f32 v226, v170, v103
	v_mul_f32_e32 v227, v172, v105
	v_add_f32_e32 v5, v5, v6
	v_fma_f32 v6, v152, v10, -v7
	v_dual_mul_f32 v228, v174, v107 :: v_dual_mul_f32 v229, v176, v109
	v_dual_mul_f32 v230, v178, v111 :: v_dual_mul_f32 v231, v180, v113
	s_delay_alu instid0(VALU_DEP_4) | instskip(SKIP_3) | instid1(VALU_DEP_4)
	v_add_f32_e32 v4, v5, v4
	v_dual_mul_f32 v232, v182, v115 :: v_dual_mul_f32 v233, v184, v117
	v_fmac_f32_e32 v218, v155, v12
	v_dual_mul_f32 v234, v186, v119 :: v_dual_mul_f32 v235, v188, v121
	v_dual_add_f32 v4, v4, v6 :: v_dual_add_f32 v1, 0, v1
	v_mul_f32_e32 v6, v159, v17
	v_fmac_f32_e32 v220, v159, v16
	v_dual_fmac_f32 v233, v185, v116 :: v_dual_mul_f32 v236, v190, v123
	v_mul_f32_e32 v237, v192, v125
	v_dual_add_f32 v1, v1, v2 :: v_dual_mul_f32 v2, v155, v13
	v_fma_f32 v6, v158, v16, -v6
	v_mul_f32_e32 v5, v157, v15
	v_dual_mul_f32 v238, v194, v127 :: v_dual_mul_f32 v239, v196, v129
	s_delay_alu instid0(VALU_DEP_4) | instskip(SKIP_1) | instid1(VALU_DEP_4)
	v_fma_f32 v2, v154, v12, -v2
	v_add_f32_e32 v1, v1, v216
	v_fma_f32 v5, v156, v14, -v5
	v_fmac_f32_e32 v222, v163, v20
	v_dual_mul_f32 v240, v198, v131 :: v_dual_mul_f32 v241, v200, v133
	v_add_f32_e32 v2, v4, v2
	v_fmac_f32_e32 v217, v153, v10
	v_mul_f32_e32 v4, v161, v19
	v_dual_fmac_f32 v239, v197, v128 :: v_dual_mul_f32 v242, v202, v135
	v_mul_f32_e32 v243, v204, v137
	v_add_f32_e32 v2, v2, v5
	v_add_f32_e32 v1, v1, v217
	v_mul_f32_e32 v5, v163, v21
	v_fma_f32 v4, v160, v18, -v4
	v_dual_fmac_f32 v241, v201, v132 :: v_dual_fmac_f32 v242, v203, v134
	v_add_f32_e32 v2, v2, v6
	v_fmac_f32_e32 v219, v157, v14
	v_add_f32_e32 v1, v1, v218
	v_mul_f32_e32 v6, v165, v23
	v_fma_f32 v5, v162, v20, -v5
	v_add_f32_e32 v2, v2, v4
	v_mul_f32_e32 v4, v167, v99
	v_add_f32_e32 v1, v1, v219
	v_fma_f32 v6, v164, v22, -v6
	v_fmac_f32_e32 v224, v167, v98
	v_add_f32_e32 v2, v2, v5
	v_mul_f32_e32 v5, v169, v101
	v_add_f32_e32 v1, v1, v220
	v_fma_f32 v4, v166, v98, -v4
	v_dual_fmac_f32 v243, v205, v136 :: v_dual_fmac_f32 v244, v207, v138
	v_add_f32_e32 v2, v2, v6
	s_delay_alu instid0(VALU_DEP_4) | instskip(SKIP_2) | instid1(VALU_DEP_4)
	v_dual_mul_f32 v6, v171, v103 :: v_dual_add_f32 v1, v1, v221
	v_fma_f32 v5, v168, v100, -v5
	v_dual_mul_f32 v245, v208, v141 :: v_dual_mul_f32 v246, v210, v143
	v_dual_add_f32 v2, v2, v4 :: v_dual_fmac_f32 v223, v165, v22
	v_mul_f32_e32 v4, v173, v105
	v_fma_f32 v6, v170, v102, -v6
	v_fmac_f32_e32 v226, v171, v102
	s_delay_alu instid0(VALU_DEP_4) | instskip(SKIP_3) | instid1(VALU_DEP_4)
	v_dual_add_f32 v2, v2, v5 :: v_dual_fmac_f32 v225, v169, v100
	v_mul_f32_e32 v5, v175, v107
	v_fma_f32 v4, v172, v104, -v4
	v_fmac_f32_e32 v228, v175, v106
	v_add_f32_e32 v2, v2, v6
	v_add_f32_e32 v1, v1, v222
	v_mul_f32_e32 v6, v177, v109
	v_fma_f32 v5, v174, v106, -v5
	v_dual_fmac_f32 v245, v209, v140 :: v_dual_fmac_f32 v246, v211, v142
	s_delay_alu instid0(VALU_DEP_4) | instskip(SKIP_2) | instid1(VALU_DEP_3)
	v_dual_add_f32 v2, v2, v4 :: v_dual_add_f32 v1, v1, v223
	v_dual_fmac_f32 v227, v173, v104 :: v_dual_mul_f32 v4, v179, v111
	v_fma_f32 v6, v176, v108, -v6
	v_dual_add_f32 v2, v2, v5 :: v_dual_add_f32 v1, v1, v224
	v_fmac_f32_e32 v229, v177, v108
	s_delay_alu instid0(VALU_DEP_4) | instskip(SKIP_1) | instid1(VALU_DEP_4)
	v_fma_f32 v4, v178, v110, -v4
	v_fmac_f32_e32 v230, v179, v110
	v_dual_add_f32 v2, v2, v6 :: v_dual_add_f32 v1, v1, v225
	v_dual_mul_f32 v5, v181, v113 :: v_dual_mul_f32 v6, v183, v115
	v_fmac_f32_e32 v232, v183, v114
	s_delay_alu instid0(VALU_DEP_3) | instskip(NEXT) | instid1(VALU_DEP_3)
	v_dual_add_f32 v2, v2, v4 :: v_dual_add_f32 v1, v1, v226
	v_fma_f32 v5, v180, v112, -v5
	v_fmac_f32_e32 v231, v181, v112
	v_mul_f32_e32 v4, v185, v117
	v_fma_f32 v6, v182, v114, -v6
	s_delay_alu instid0(VALU_DEP_4) | instskip(SKIP_1) | instid1(VALU_DEP_4)
	v_dual_add_f32 v1, v1, v227 :: v_dual_add_f32 v2, v2, v5
	v_mul_f32_e32 v5, v187, v119
	v_fma_f32 v4, v184, v116, -v4
	v_fmac_f32_e32 v247, v213, v144
	s_delay_alu instid0(VALU_DEP_4) | instskip(SKIP_3) | instid1(VALU_DEP_4)
	v_dual_add_f32 v1, v1, v228 :: v_dual_add_f32 v2, v2, v6
	v_mul_f32_e32 v6, v189, v121
	v_fmac_f32_e32 v234, v187, v118
	v_fma_f32 v5, v186, v118, -v5
	v_dual_add_f32 v1, v1, v229 :: v_dual_add_f32 v2, v2, v4
	v_mul_f32_e32 v4, v191, v123
	v_fma_f32 v6, v188, v120, -v6
	v_fmac_f32_e32 v236, v191, v122
	s_delay_alu instid0(VALU_DEP_4) | instskip(SKIP_2) | instid1(VALU_DEP_3)
	v_dual_add_f32 v1, v1, v230 :: v_dual_add_f32 v2, v2, v5
	v_fmac_f32_e32 v235, v189, v120
	v_fma_f32 v4, v190, v122, -v4
	v_dual_fmac_f32 v238, v195, v126 :: v_dual_add_f32 v1, v1, v231
	s_delay_alu instid0(VALU_DEP_4) | instskip(SKIP_1) | instid1(VALU_DEP_3)
	v_dual_add_f32 v2, v2, v6 :: v_dual_mul_f32 v5, v193, v125
	v_mul_f32_e32 v6, v195, v127
	v_dual_fmac_f32 v240, v199, v130 :: v_dual_add_f32 v1, v1, v232
	s_delay_alu instid0(VALU_DEP_3) | instskip(NEXT) | instid1(VALU_DEP_4)
	v_add_f32_e32 v2, v2, v4
	v_fma_f32 v5, v192, v124, -v5
	v_fmac_f32_e32 v237, v193, v124
	v_mul_f32_e32 v4, v197, v129
	v_add_f32_e32 v1, v1, v233
	v_fma_f32 v6, v194, v126, -v6
	v_dual_add_f32 v2, v2, v5 :: v_dual_mul_f32 v5, v199, v131
	s_delay_alu instid0(VALU_DEP_4) | instskip(NEXT) | instid1(VALU_DEP_4)
	v_fma_f32 v4, v196, v128, -v4
	v_add_f32_e32 v1, v1, v234
	s_delay_alu instid0(VALU_DEP_3) | instskip(SKIP_2) | instid1(VALU_DEP_3)
	v_add_f32_e32 v2, v2, v6
	v_mul_f32_e32 v6, v201, v133
	v_fma_f32 v5, v198, v130, -v5
	v_dual_add_f32 v1, v1, v235 :: v_dual_add_f32 v2, v2, v4
	v_mul_f32_e32 v4, v203, v135
	s_delay_alu instid0(VALU_DEP_4) | instskip(NEXT) | instid1(VALU_DEP_3)
	v_fma_f32 v6, v200, v132, -v6
	v_dual_add_f32 v1, v1, v236 :: v_dual_add_f32 v2, v2, v5
	v_mul_f32_e32 v5, v205, v137
	s_delay_alu instid0(VALU_DEP_4) | instskip(NEXT) | instid1(VALU_DEP_3)
	;; [unrolled: 4-line block ×5, first 2 shown]
	v_fma_f32 v4, v208, v140, -v4
	v_dual_add_f32 v1, v1, v240 :: v_dual_add_f32 v2, v2, v6
	s_delay_alu instid0(VALU_DEP_3) | instskip(SKIP_1) | instid1(VALU_DEP_3)
	v_fma_f32 v5, v210, v142, -v5
	v_mul_f32_e32 v6, v213, v145
	v_dual_add_f32 v1, v1, v241 :: v_dual_add_f32 v2, v2, v4
	s_delay_alu instid0(VALU_DEP_2) | instskip(NEXT) | instid1(VALU_DEP_2)
	v_fma_f32 v4, v212, v144, -v6
	v_dual_add_f32 v1, v1, v242 :: v_dual_add_f32 v2, v2, v5
	s_delay_alu instid0(VALU_DEP_1) | instskip(NEXT) | instid1(VALU_DEP_1)
	v_dual_add_f32 v1, v1, v243 :: v_dual_add_f32 v2, v2, v4
	v_add_f32_e32 v1, v1, v244
	s_delay_alu instid0(VALU_DEP_1) | instskip(NEXT) | instid1(VALU_DEP_1)
	v_add_f32_e32 v1, v1, v245
	v_add_f32_e32 v1, v1, v246
	s_wait_loadcnt 0x0
	s_delay_alu instid0(VALU_DEP_1) | instskip(NEXT) | instid1(VALU_DEP_1)
	v_dual_add_f32 v4, v1, v247 :: v_dual_sub_f32 v1, v214, v2
	v_sub_f32_e32 v2, v215, v4
	scratch_store_b64 off, v[1:2], off offset:16
	v_cmpx_lt_u32_e32 1, v0
	s_cbranch_execz .LBB100_233
; %bb.232:
	scratch_load_b64 v[1:2], off, off offset:8
	v_mov_b32_e32 v4, 0
	s_delay_alu instid0(VALU_DEP_1)
	v_mov_b32_e32 v5, v4
	scratch_store_b64 off, v[4:5], off offset:8
	s_wait_loadcnt 0x0
	ds_store_b64 v3, v[1:2]
.LBB100_233:
	s_wait_alu 0xfffe
	s_or_b32 exec_lo, exec_lo, s0
	s_wait_storecnt_dscnt 0x0
	s_barrier_signal -1
	s_barrier_wait -1
	global_inv scope:SCOPE_SE
	s_clause 0x12
	scratch_load_b128 v[4:7], off, off offset:16
	scratch_load_b128 v[8:11], off, off offset:32
	;; [unrolled: 1-line block ×17, first 2 shown]
	scratch_load_b64 v[1:2], off, off offset:288
	scratch_load_b64 v[215:216], off, off offset:8
	v_mov_b32_e32 v98, 0
	ds_load_b128 v[147:150], v98 offset:320
	ds_load_b128 v[151:154], v98 offset:336
	ds_load_b128 v[155:158], v98 offset:352
	ds_load_b128 v[159:162], v98 offset:368
	ds_load_b128 v[163:166], v98 offset:384
	ds_load_b128 v[167:170], v98 offset:400
	ds_load_b128 v[171:174], v98 offset:416
	ds_load_b128 v[175:178], v98 offset:432
	ds_load_b128 v[179:182], v98 offset:448
	ds_load_b128 v[183:186], v98 offset:464
	ds_load_b128 v[187:190], v98 offset:480
	ds_load_b128 v[191:194], v98 offset:496
	ds_load_b128 v[195:198], v98 offset:512
	ds_load_b128 v[199:202], v98 offset:528
	ds_load_b128 v[203:206], v98 offset:544
	ds_load_b128 v[207:210], v98 offset:560
	ds_load_b128 v[211:214], v98 offset:576
	ds_load_b64 v[217:218], v98 offset:592
	s_mov_b32 s0, exec_lo
	s_wait_loadcnt_dscnt 0x1211
	v_dual_mul_f32 v219, v147, v5 :: v_dual_mul_f32 v220, v149, v7
	s_wait_loadcnt_dscnt 0x1110
	v_dual_mul_f32 v221, v151, v9 :: v_dual_mul_f32 v222, v153, v11
	s_wait_loadcnt_dscnt 0x100f
	v_mul_f32_e32 v223, v155, v13
	v_dual_fmac_f32 v219, v148, v4 :: v_dual_fmac_f32 v220, v150, v6
	s_wait_loadcnt_dscnt 0xf0e
	v_dual_mul_f32 v224, v157, v15 :: v_dual_mul_f32 v225, v159, v17
	v_dual_fmac_f32 v221, v152, v8 :: v_dual_mul_f32 v226, v161, v19
	s_wait_loadcnt_dscnt 0xe0d
	v_mul_f32_e32 v227, v163, v21
	v_mul_f32_e32 v5, v148, v5
	v_fmac_f32_e32 v223, v156, v12
	s_wait_loadcnt_dscnt 0x302
	v_dual_fmac_f32 v225, v160, v16 :: v_dual_mul_f32 v250, v209, v142
	v_fmac_f32_e32 v226, v162, v18
	s_wait_loadcnt_dscnt 0x100
	v_mul_f32_e32 v253, v217, v2
	v_fma_f32 v5, v147, v4, -v5
	v_mul_f32_e32 v4, v152, v9
	v_dual_mul_f32 v228, v165, v23 :: v_dual_mul_f32 v229, v167, v100
	v_dual_fmac_f32 v227, v164, v20 :: v_dual_mul_f32 v230, v169, v102
	v_mul_f32_e32 v231, v171, v104
	s_delay_alu instid0(VALU_DEP_4) | instskip(SKIP_4) | instid1(VALU_DEP_4)
	v_fma_f32 v4, v151, v8, -v4
	v_mul_f32_e32 v7, v150, v7
	v_fmac_f32_e32 v222, v154, v10
	v_dual_mul_f32 v232, v173, v106 :: v_dual_mul_f32 v233, v175, v108
	v_fmac_f32_e32 v229, v168, v99
	v_fma_f32 v6, v149, v6, -v7
	v_add_f32_e32 v7, 0, v219
	v_dual_add_f32 v5, 0, v5 :: v_dual_fmac_f32 v224, v158, v14
	v_dual_fmac_f32 v232, v174, v105 :: v_dual_fmac_f32 v231, v172, v103
	v_dual_mul_f32 v234, v177, v110 :: v_dual_mul_f32 v235, v179, v112
	s_delay_alu instid0(VALU_DEP_3) | instskip(SKIP_1) | instid1(VALU_DEP_3)
	v_dual_add_f32 v5, v5, v6 :: v_dual_add_f32 v6, v7, v220
	v_mul_f32_e32 v7, v156, v13
	v_dual_fmac_f32 v233, v176, v107 :: v_dual_fmac_f32 v234, v178, v109
	s_delay_alu instid0(VALU_DEP_3) | instskip(NEXT) | instid1(VALU_DEP_3)
	v_dual_add_f32 v4, v5, v4 :: v_dual_mul_f32 v9, v154, v11
	v_fma_f32 v7, v155, v12, -v7
	v_dual_mul_f32 v236, v181, v114 :: v_dual_mul_f32 v237, v183, v116
	v_fmac_f32_e32 v235, v180, v111
	s_delay_alu instid0(VALU_DEP_4) | instskip(SKIP_1) | instid1(VALU_DEP_4)
	v_fma_f32 v8, v153, v10, -v9
	v_dual_mul_f32 v238, v185, v118 :: v_dual_mul_f32 v239, v187, v120
	v_dual_fmac_f32 v236, v182, v113 :: v_dual_fmac_f32 v237, v184, v115
	s_delay_alu instid0(VALU_DEP_3) | instskip(SKIP_3) | instid1(VALU_DEP_4)
	v_dual_add_f32 v4, v4, v8 :: v_dual_add_f32 v5, v6, v221
	v_mul_f32_e32 v6, v158, v15
	v_mul_f32_e32 v8, v160, v17
	v_fmac_f32_e32 v238, v186, v117
	v_dual_add_f32 v4, v4, v7 :: v_dual_add_f32 v5, v5, v222
	s_delay_alu instid0(VALU_DEP_4) | instskip(SKIP_3) | instid1(VALU_DEP_4)
	v_fma_f32 v6, v157, v14, -v6
	v_mul_f32_e32 v7, v162, v19
	v_fma_f32 v8, v159, v16, -v8
	v_dual_mul_f32 v240, v189, v122 :: v_dual_mul_f32 v241, v191, v124
	v_add_f32_e32 v4, v4, v6
	v_dual_mul_f32 v6, v164, v21 :: v_dual_add_f32 v5, v5, v223
	v_fma_f32 v7, v161, v18, -v7
	v_fmac_f32_e32 v228, v166, v22
	s_delay_alu instid0(VALU_DEP_4) | instskip(NEXT) | instid1(VALU_DEP_4)
	v_add_f32_e32 v4, v4, v8
	v_dual_mul_f32 v8, v166, v23 :: v_dual_add_f32 v5, v5, v224
	v_fma_f32 v6, v163, v20, -v6
	v_fmac_f32_e32 v230, v170, v101
	s_delay_alu instid0(VALU_DEP_4) | instskip(NEXT) | instid1(VALU_DEP_4)
	v_add_f32_e32 v4, v4, v7
	v_fma_f32 v8, v165, v22, -v8
	v_add_f32_e32 v5, v5, v225
	v_dual_mul_f32 v7, v168, v100 :: v_dual_mul_f32 v242, v193, v126
	s_delay_alu instid0(VALU_DEP_4) | instskip(NEXT) | instid1(VALU_DEP_3)
	v_dual_mul_f32 v243, v195, v128 :: v_dual_add_f32 v4, v4, v6
	v_add_f32_e32 v5, v5, v226
	v_mul_f32_e32 v6, v170, v102
	s_delay_alu instid0(VALU_DEP_4) | instskip(SKIP_1) | instid1(VALU_DEP_4)
	v_fma_f32 v7, v167, v99, -v7
	v_dual_fmac_f32 v241, v192, v123 :: v_dual_fmac_f32 v242, v194, v125
	v_dual_add_f32 v4, v4, v8 :: v_dual_add_f32 v5, v5, v227
	s_delay_alu instid0(VALU_DEP_4) | instskip(SKIP_1) | instid1(VALU_DEP_3)
	v_fma_f32 v6, v169, v101, -v6
	v_dual_mul_f32 v244, v197, v130 :: v_dual_mul_f32 v245, v199, v132
	v_dual_add_f32 v4, v4, v7 :: v_dual_add_f32 v5, v5, v228
	v_dual_mul_f32 v8, v172, v104 :: v_dual_mul_f32 v7, v174, v106
	s_delay_alu instid0(VALU_DEP_3) | instskip(NEXT) | instid1(VALU_DEP_3)
	v_dual_fmac_f32 v243, v196, v127 :: v_dual_fmac_f32 v244, v198, v129
	v_add_f32_e32 v5, v5, v229
	s_delay_alu instid0(VALU_DEP_3) | instskip(SKIP_2) | instid1(VALU_DEP_4)
	v_fma_f32 v8, v171, v103, -v8
	v_dual_mul_f32 v246, v201, v134 :: v_dual_mul_f32 v247, v203, v136
	v_fmac_f32_e32 v245, v200, v131
	v_add_f32_e32 v5, v5, v230
	v_add_f32_e32 v4, v4, v6
	v_mul_f32_e32 v6, v176, v108
	v_fma_f32 v7, v173, v105, -v7
	v_dual_mul_f32 v248, v205, v138 :: v_dual_mul_f32 v249, v207, v140
	s_delay_alu instid0(VALU_DEP_4) | instskip(SKIP_3) | instid1(VALU_DEP_4)
	v_add_f32_e32 v4, v4, v8
	v_dual_mul_f32 v8, v178, v110 :: v_dual_add_f32 v5, v5, v231
	v_fma_f32 v6, v175, v107, -v6
	v_fmac_f32_e32 v246, v202, v133
	v_add_f32_e32 v4, v4, v7
	v_mul_f32_e32 v7, v180, v112
	v_add_f32_e32 v5, v5, v232
	v_fma_f32 v8, v177, v109, -v8
	v_dual_fmac_f32 v247, v204, v135 :: v_dual_fmac_f32 v248, v206, v137
	s_delay_alu instid0(VALU_DEP_3) | instskip(SKIP_3) | instid1(VALU_DEP_4)
	v_dual_add_f32 v4, v4, v6 :: v_dual_add_f32 v5, v5, v233
	v_mul_f32_e32 v6, v182, v114
	v_fma_f32 v7, v179, v111, -v7
	v_fmac_f32_e32 v239, v188, v119
	v_dual_add_f32 v4, v4, v8 :: v_dual_add_f32 v5, v5, v234
	v_mul_f32_e32 v8, v184, v116
	v_fma_f32 v6, v181, v113, -v6
	v_dual_fmac_f32 v249, v208, v139 :: v_dual_fmac_f32 v250, v210, v141
	s_delay_alu instid0(VALU_DEP_4) | instskip(SKIP_3) | instid1(VALU_DEP_3)
	v_dual_add_f32 v4, v4, v7 :: v_dual_mul_f32 v7, v186, v118
	v_add_f32_e32 v5, v5, v235
	v_fma_f32 v8, v183, v115, -v8
	v_dual_mul_f32 v251, v211, v144 :: v_dual_mul_f32 v252, v213, v146
	v_dual_add_f32 v4, v4, v6 :: v_dual_add_f32 v5, v5, v236
	v_mul_f32_e32 v6, v188, v120
	v_fma_f32 v7, v185, v117, -v7
	s_delay_alu instid0(VALU_DEP_4) | instskip(NEXT) | instid1(VALU_DEP_4)
	v_dual_fmac_f32 v251, v212, v143 :: v_dual_mul_f32 v2, v218, v2
	v_dual_add_f32 v5, v5, v237 :: v_dual_add_f32 v4, v4, v8
	v_mul_f32_e32 v8, v190, v122
	v_fma_f32 v6, v187, v119, -v6
	s_delay_alu instid0(VALU_DEP_3) | instskip(SKIP_1) | instid1(VALU_DEP_4)
	v_dual_fmac_f32 v252, v214, v145 :: v_dual_add_f32 v5, v5, v238
	v_fmac_f32_e32 v240, v190, v121
	v_fma_f32 v8, v189, v121, -v8
	v_fmac_f32_e32 v253, v218, v1
	v_fma_f32 v1, v217, v1, -v2
	v_add_f32_e32 v5, v5, v239
	v_add_f32_e32 v4, v4, v7
	v_mul_f32_e32 v7, v192, v124
	s_delay_alu instid0(VALU_DEP_2) | instskip(SKIP_1) | instid1(VALU_DEP_3)
	v_dual_add_f32 v5, v5, v240 :: v_dual_add_f32 v4, v4, v6
	v_mul_f32_e32 v6, v194, v126
	v_fma_f32 v7, v191, v123, -v7
	s_delay_alu instid0(VALU_DEP_3) | instskip(SKIP_1) | instid1(VALU_DEP_4)
	v_dual_add_f32 v5, v5, v241 :: v_dual_add_f32 v4, v4, v8
	v_mul_f32_e32 v8, v196, v128
	v_fma_f32 v6, v193, v125, -v6
	s_delay_alu instid0(VALU_DEP_3) | instskip(NEXT) | instid1(VALU_DEP_3)
	v_add_f32_e32 v5, v5, v242
	v_fma_f32 v8, v195, v127, -v8
	s_delay_alu instid0(VALU_DEP_2) | instskip(SKIP_1) | instid1(VALU_DEP_1)
	v_add_f32_e32 v5, v5, v243
	v_dual_add_f32 v4, v4, v7 :: v_dual_mul_f32 v7, v198, v130
	v_dual_add_f32 v5, v5, v244 :: v_dual_add_f32 v4, v4, v6
	s_delay_alu instid0(VALU_DEP_2) | instskip(NEXT) | instid1(VALU_DEP_2)
	v_fma_f32 v7, v197, v129, -v7
	v_dual_add_f32 v5, v5, v245 :: v_dual_mul_f32 v6, v200, v132
	s_delay_alu instid0(VALU_DEP_1) | instskip(SKIP_1) | instid1(VALU_DEP_3)
	v_dual_add_f32 v5, v5, v246 :: v_dual_add_f32 v4, v4, v8
	v_mul_f32_e32 v8, v202, v134
	v_fma_f32 v6, v199, v131, -v6
	s_delay_alu instid0(VALU_DEP_3) | instskip(NEXT) | instid1(VALU_DEP_4)
	v_add_f32_e32 v5, v5, v247
	v_add_f32_e32 v4, v4, v7
	v_mul_f32_e32 v7, v204, v136
	v_fma_f32 v8, v201, v133, -v8
	s_delay_alu instid0(VALU_DEP_3) | instskip(SKIP_1) | instid1(VALU_DEP_4)
	v_dual_add_f32 v5, v5, v248 :: v_dual_add_f32 v4, v4, v6
	v_mul_f32_e32 v6, v206, v138
	v_fma_f32 v7, v203, v135, -v7
	s_delay_alu instid0(VALU_DEP_3) | instskip(SKIP_1) | instid1(VALU_DEP_4)
	v_dual_add_f32 v5, v5, v249 :: v_dual_add_f32 v4, v4, v8
	;; [unrolled: 4-line block ×4, first 2 shown]
	v_mul_f32_e32 v6, v212, v144
	v_fma_f32 v7, v209, v141, -v7
	s_delay_alu instid0(VALU_DEP_3) | instskip(SKIP_1) | instid1(VALU_DEP_4)
	v_add_f32_e32 v4, v4, v8
	v_mul_f32_e32 v8, v214, v146
	v_fma_f32 v6, v211, v143, -v6
	s_delay_alu instid0(VALU_DEP_3) | instskip(NEXT) | instid1(VALU_DEP_3)
	v_add_f32_e32 v4, v4, v7
	v_fma_f32 v7, v213, v145, -v8
	s_delay_alu instid0(VALU_DEP_2) | instskip(NEXT) | instid1(VALU_DEP_1)
	v_add_f32_e32 v4, v4, v6
	v_add_f32_e32 v2, v4, v7
	s_delay_alu instid0(VALU_DEP_1) | instskip(NEXT) | instid1(VALU_DEP_1)
	v_dual_add_f32 v4, v5, v252 :: v_dual_add_f32 v1, v2, v1
	v_add_f32_e32 v2, v4, v253
	s_wait_loadcnt 0x0
	s_delay_alu instid0(VALU_DEP_1)
	v_dual_sub_f32 v1, v215, v1 :: v_dual_sub_f32 v2, v216, v2
	scratch_store_b64 off, v[1:2], off offset:8
	v_cmpx_ne_u32_e32 0, v0
	s_cbranch_execz .LBB100_235
; %bb.234:
	scratch_load_b64 v[0:1], off, off
	v_mov_b32_e32 v99, v98
	scratch_store_b64 off, v[98:99], off
	s_wait_loadcnt 0x0
	ds_store_b64 v3, v[0:1]
.LBB100_235:
	s_wait_alu 0xfffe
	s_or_b32 exec_lo, exec_lo, s0
	s_wait_storecnt_dscnt 0x0
	s_barrier_signal -1
	s_barrier_wait -1
	global_inv scope:SCOPE_SE
	s_clause 0x6
	scratch_load_b128 v[0:3], off, off offset:8
	scratch_load_b128 v[4:7], off, off offset:24
	;; [unrolled: 1-line block ×7, first 2 shown]
	ds_load_2addr_b64 v[103:106], v98 offset0:39 offset1:40
	ds_load_2addr_b64 v[107:110], v98 offset0:41 offset1:42
	scratch_load_b64 v[111:112], off, off
	s_and_b32 vcc_lo, exec_lo, s12
	s_wait_loadcnt_dscnt 0x701
	v_mul_f32_e32 v113, v104, v1
	v_dual_mul_f32 v114, v103, v1 :: v_dual_mul_f32 v115, v105, v3
	s_delay_alu instid0(VALU_DEP_1) | instskip(NEXT) | instid1(VALU_DEP_2)
	v_dual_mul_f32 v1, v106, v3 :: v_dual_fmac_f32 v114, v104, v0
	v_fmac_f32_e32 v115, v106, v2
	s_delay_alu instid0(VALU_DEP_2)
	v_fma_f32 v104, v105, v2, -v1
	s_wait_loadcnt_dscnt 0x600
	v_mul_f32_e32 v106, v109, v7
	v_fma_f32 v103, v103, v0, -v113
	ds_load_2addr_b64 v[0:3], v98 offset0:43 offset1:44
	v_mul_f32_e32 v105, v107, v5
	v_mul_f32_e32 v5, v108, v5
	;; [unrolled: 1-line block ×3, first 2 shown]
	s_delay_alu instid0(VALU_DEP_3) | instskip(NEXT) | instid1(VALU_DEP_3)
	v_dual_fmac_f32 v106, v110, v6 :: v_dual_fmac_f32 v105, v108, v4
	v_fma_f32 v107, v107, v4, -v5
	s_delay_alu instid0(VALU_DEP_3)
	v_fma_f32 v108, v109, v6, -v7
	ds_load_2addr_b64 v[4:7], v98 offset0:45 offset1:46
	s_wait_loadcnt_dscnt 0x501
	v_mul_f32_e32 v109, v0, v9
	v_dual_mul_f32 v9, v1, v9 :: v_dual_mul_f32 v110, v2, v11
	v_mul_f32_e32 v11, v3, v11
	s_delay_alu instid0(VALU_DEP_3) | instskip(NEXT) | instid1(VALU_DEP_3)
	v_fmac_f32_e32 v109, v1, v8
	v_fma_f32 v113, v0, v8, -v9
	s_delay_alu instid0(VALU_DEP_4) | instskip(NEXT) | instid1(VALU_DEP_4)
	v_fmac_f32_e32 v110, v3, v10
	v_fma_f32 v116, v2, v10, -v11
	ds_load_2addr_b64 v[0:3], v98 offset0:47 offset1:48
	s_wait_loadcnt_dscnt 0x401
	v_mul_f32_e32 v117, v4, v13
	v_dual_mul_f32 v8, v5, v13 :: v_dual_mul_f32 v13, v6, v15
	v_mul_f32_e32 v9, v7, v15
	s_delay_alu instid0(VALU_DEP_3) | instskip(NEXT) | instid1(VALU_DEP_3)
	v_fmac_f32_e32 v117, v5, v12
	v_fma_f32 v12, v4, v12, -v8
	s_delay_alu instid0(VALU_DEP_4) | instskip(NEXT) | instid1(VALU_DEP_4)
	v_fmac_f32_e32 v13, v7, v14
	;; [unrolled: 11-line block ×4, first 2 shown]
	v_fma_f32 v22, v6, v22, -v9
	ds_load_2addr_b64 v[4:7], v98 offset0:53 offset1:54
	s_wait_loadcnt_dscnt 0x101
	v_mul_f32_e32 v23, v0, v100
	v_mul_f32_e32 v8, v1, v100
	;; [unrolled: 1-line block ×4, first 2 shown]
	s_delay_alu instid0(VALU_DEP_4) | instskip(NEXT) | instid1(VALU_DEP_4)
	v_fmac_f32_e32 v23, v1, v99
	v_fma_f32 v99, v0, v99, -v8
	s_delay_alu instid0(VALU_DEP_4) | instskip(NEXT) | instid1(VALU_DEP_4)
	v_fmac_f32_e32 v100, v3, v101
	v_fma_f32 v101, v2, v101, -v9
	s_clause 0x1
	scratch_load_b128 v[0:3], off, off offset:120
	scratch_load_b128 v[8:11], off, off offset:136
	s_wait_loadcnt_dscnt 0x100
	v_mul_f32_e32 v102, v4, v1
	v_mul_f32_e32 v1, v5, v1
	s_delay_alu instid0(VALU_DEP_2) | instskip(NEXT) | instid1(VALU_DEP_2)
	v_dual_mul_f32 v119, v6, v3 :: v_dual_fmac_f32 v102, v5, v0
	v_fma_f32 v118, v4, v0, -v1
	v_mul_f32_e32 v0, v7, v3
	s_delay_alu instid0(VALU_DEP_3) | instskip(NEXT) | instid1(VALU_DEP_2)
	v_fmac_f32_e32 v119, v7, v2
	v_fma_f32 v120, v6, v2, -v0
	ds_load_2addr_b64 v[0:3], v98 offset0:55 offset1:56
	ds_load_2addr_b64 v[4:7], v98 offset0:57 offset1:58
	s_wait_loadcnt_dscnt 0x1
	v_mul_f32_e32 v121, v0, v9
	v_mul_f32_e32 v123, v2, v11
	s_delay_alu instid0(VALU_DEP_2) | instskip(SKIP_1) | instid1(VALU_DEP_3)
	v_fmac_f32_e32 v121, v1, v8
	v_mul_f32_e32 v1, v1, v9
	v_fmac_f32_e32 v123, v3, v10
	s_delay_alu instid0(VALU_DEP_2) | instskip(SKIP_1) | instid1(VALU_DEP_1)
	v_fma_f32 v122, v0, v8, -v1
	v_mul_f32_e32 v0, v3, v11
	v_fma_f32 v124, v2, v10, -v0
	s_clause 0x1
	scratch_load_b128 v[0:3], off, off offset:152
	scratch_load_b128 v[8:11], off, off offset:168
	s_wait_loadcnt_dscnt 0x100
	v_mul_f32_e32 v125, v4, v1
	s_delay_alu instid0(VALU_DEP_1) | instskip(SKIP_1) | instid1(VALU_DEP_1)
	v_fmac_f32_e32 v125, v5, v0
	v_mul_f32_e32 v127, v6, v3
	v_fmac_f32_e32 v127, v7, v2
	v_mul_f32_e32 v1, v5, v1
	s_delay_alu instid0(VALU_DEP_1) | instskip(SKIP_1) | instid1(VALU_DEP_1)
	v_fma_f32 v126, v4, v0, -v1
	v_mul_f32_e32 v0, v7, v3
	v_fma_f32 v128, v6, v2, -v0
	ds_load_2addr_b64 v[0:3], v98 offset0:59 offset1:60
	ds_load_2addr_b64 v[4:7], v98 offset0:61 offset1:62
	s_wait_loadcnt_dscnt 0x1
	v_mul_f32_e32 v129, v0, v9
	s_delay_alu instid0(VALU_DEP_1) | instskip(SKIP_2) | instid1(VALU_DEP_2)
	v_fmac_f32_e32 v129, v1, v8
	v_mul_f32_e32 v1, v1, v9
	v_mul_f32_e32 v131, v2, v11
	v_fma_f32 v130, v0, v8, -v1
	v_mul_f32_e32 v0, v3, v11
	s_delay_alu instid0(VALU_DEP_3) | instskip(NEXT) | instid1(VALU_DEP_2)
	v_fmac_f32_e32 v131, v3, v10
	v_fma_f32 v132, v2, v10, -v0
	s_clause 0x1
	scratch_load_b128 v[0:3], off, off offset:184
	scratch_load_b128 v[8:11], off, off offset:200
	s_wait_loadcnt_dscnt 0x100
	v_mul_f32_e32 v135, v6, v3
	s_delay_alu instid0(VALU_DEP_1) | instskip(SKIP_2) | instid1(VALU_DEP_2)
	v_fmac_f32_e32 v135, v7, v2
	v_mul_f32_e32 v133, v4, v1
	v_mul_f32_e32 v1, v5, v1
	v_fmac_f32_e32 v133, v5, v0
	s_delay_alu instid0(VALU_DEP_2) | instskip(SKIP_1) | instid1(VALU_DEP_1)
	v_fma_f32 v134, v4, v0, -v1
	v_dual_mul_f32 v0, v7, v3 :: v_dual_add_f32 v1, 0, v114
	v_fma_f32 v136, v6, v2, -v0
	v_add_f32_e32 v0, 0, v103
	s_delay_alu instid0(VALU_DEP_1) | instskip(NEXT) | instid1(VALU_DEP_1)
	v_dual_add_f32 v1, v1, v115 :: v_dual_add_f32 v0, v0, v104
	v_dual_add_f32 v1, v1, v105 :: v_dual_add_f32 v0, v0, v107
	s_delay_alu instid0(VALU_DEP_1) | instskip(NEXT) | instid1(VALU_DEP_1)
	v_dual_add_f32 v1, v1, v106 :: v_dual_add_f32 v0, v0, v108
	v_add_f32_e32 v1, v1, v109
	s_delay_alu instid0(VALU_DEP_1) | instskip(NEXT) | instid1(VALU_DEP_1)
	v_dual_add_f32 v0, v0, v113 :: v_dual_add_f32 v1, v1, v110
	v_dual_add_f32 v0, v0, v116 :: v_dual_add_f32 v1, v1, v117
	s_delay_alu instid0(VALU_DEP_1) | instskip(NEXT) | instid1(VALU_DEP_1)
	v_dual_add_f32 v0, v0, v12 :: v_dual_add_f32 v1, v1, v13
	v_dual_add_f32 v0, v0, v14 :: v_dual_add_f32 v1, v1, v15
	;; [unrolled: 3-line block ×3, first 2 shown]
	ds_load_2addr_b64 v[0:3], v98 offset0:63 offset1:64
	v_dual_add_f32 v12, v4, v20 :: v_dual_add_f32 v13, v13, v21
	scratch_load_b128 v[4:7], off, off offset:216
	v_add_f32_e32 v12, v12, v22
	v_add_f32_e32 v16, v13, v23
	s_delay_alu instid0(VALU_DEP_2) | instskip(NEXT) | instid1(VALU_DEP_2)
	v_add_f32_e32 v12, v12, v99
	v_add_f32_e32 v16, v16, v100
	s_delay_alu instid0(VALU_DEP_2) | instskip(NEXT) | instid1(VALU_DEP_2)
	v_add_f32_e32 v17, v12, v101
	v_add_f32_e32 v16, v16, v102
	ds_load_2addr_b64 v[12:15], v98 offset0:65 offset1:66
	s_wait_loadcnt_dscnt 0x101
	v_dual_mul_f32 v108, v2, v11 :: v_dual_add_f32 v17, v17, v118
	v_add_f32_e32 v16, v16, v119
	s_delay_alu instid0(VALU_DEP_2) | instskip(NEXT) | instid1(VALU_DEP_1)
	v_dual_fmac_f32 v108, v3, v10 :: v_dual_add_f32 v17, v17, v120
	v_dual_add_f32 v16, v16, v121 :: v_dual_add_f32 v17, v17, v122
	s_delay_alu instid0(VALU_DEP_1) | instskip(NEXT) | instid1(VALU_DEP_1)
	v_dual_add_f32 v21, v16, v123 :: v_dual_add_f32 v20, v17, v124
	v_add_f32_e32 v100, v21, v125
	scratch_load_b128 v[16:19], off, off offset:264
	v_add_f32_e32 v99, v20, v126
	scratch_load_b128 v[20:23], off, off offset:280
	v_mul_f32_e32 v107, v0, v9
	v_mul_f32_e32 v9, v1, v9
	;; [unrolled: 1-line block ×3, first 2 shown]
	v_add_f32_e32 v99, v99, v128
	s_delay_alu instid0(VALU_DEP_4) | instskip(NEXT) | instid1(VALU_DEP_4)
	v_fmac_f32_e32 v107, v1, v8
	v_fma_f32 v103, v0, v8, -v9
	s_delay_alu instid0(VALU_DEP_4)
	v_fma_f32 v109, v2, v10, -v11
	s_clause 0x1
	scratch_load_b128 v[0:3], off, off offset:232
	scratch_load_b128 v[8:11], off, off offset:248
	s_wait_loadcnt_dscnt 0x400
	v_dual_add_f32 v99, v99, v130 :: v_dual_mul_f32 v110, v12, v5
	v_dual_add_f32 v100, v100, v127 :: v_dual_mul_f32 v5, v13, v5
	v_mul_f32_e32 v113, v14, v7
	s_delay_alu instid0(VALU_DEP_3) | instskip(NEXT) | instid1(VALU_DEP_3)
	v_dual_mul_f32 v7, v15, v7 :: v_dual_fmac_f32 v110, v13, v4
	v_add_f32_e32 v100, v100, v129
	s_delay_alu instid0(VALU_DEP_4)
	v_fma_f32 v114, v12, v4, -v5
	v_add_f32_e32 v12, v99, v132
	v_fmac_f32_e32 v113, v15, v6
	v_fma_f32 v115, v14, v6, -v7
	v_add_f32_e32 v99, v100, v131
	ds_load_2addr_b64 v[4:7], v98 offset0:67 offset1:68
	v_add_f32_e32 v100, v12, v134
	ds_load_2addr_b64 v[12:15], v98 offset0:69 offset1:70
	v_dual_add_f32 v99, v99, v133 :: v_dual_add_f32 v104, v100, v136
	s_delay_alu instid0(VALU_DEP_1) | instskip(SKIP_4) | instid1(VALU_DEP_1)
	v_add_f32_e32 v116, v99, v135
	ds_load_2addr_b64 v[99:102], v98 offset0:71 offset1:72
	v_add_f32_e32 v117, v104, v103
	ds_load_2addr_b64 v[103:106], v98 offset0:73 offset1:74
	v_dual_add_f32 v98, v116, v107 :: v_dual_add_f32 v109, v117, v109
	v_add_f32_e32 v98, v98, v108
	s_delay_alu instid0(VALU_DEP_2) | instskip(SKIP_1) | instid1(VALU_DEP_2)
	v_add_f32_e32 v108, v109, v114
	s_wait_loadcnt_dscnt 0x103
	v_dual_add_f32 v98, v98, v110 :: v_dual_mul_f32 v107, v4, v1
	v_dual_mul_f32 v1, v5, v1 :: v_dual_mul_f32 v116, v6, v3
	v_mul_f32_e32 v3, v7, v3
	s_wait_loadcnt_dscnt 0x2
	v_mul_f32_e32 v109, v12, v9
	v_fmac_f32_e32 v107, v5, v0
	v_fma_f32 v0, v4, v0, -v1
	v_dual_add_f32 v4, v108, v115 :: v_dual_add_f32 v5, v98, v113
	v_fmac_f32_e32 v116, v7, v2
	v_fma_f32 v1, v6, v2, -v3
	s_delay_alu instid0(VALU_DEP_3) | instskip(NEXT) | instid1(VALU_DEP_4)
	v_dual_mul_f32 v7, v13, v9 :: v_dual_add_f32 v0, v4, v0
	v_add_f32_e32 v4, v5, v107
	v_mul_f32_e32 v110, v14, v11
	v_mul_f32_e32 v5, v15, v11
	v_fmac_f32_e32 v109, v13, v8
	v_fma_f32 v7, v12, v8, -v7
	v_add_f32_e32 v0, v0, v1
	s_wait_dscnt 0x1
	v_dual_add_f32 v1, v4, v116 :: v_dual_mul_f32 v2, v99, v17
	v_mul_f32_e32 v4, v100, v17
	v_fmac_f32_e32 v110, v15, v10
	v_fma_f32 v5, v14, v10, -v5
	s_delay_alu instid0(VALU_DEP_4) | instskip(SKIP_3) | instid1(VALU_DEP_4)
	v_dual_add_f32 v0, v0, v7 :: v_dual_add_f32 v1, v1, v109
	v_mul_f32_e32 v3, v101, v19
	v_dual_mul_f32 v7, v102, v19 :: v_dual_fmac_f32 v2, v100, v16
	v_fma_f32 v4, v99, v16, -v4
	v_dual_add_f32 v0, v0, v5 :: v_dual_add_f32 v1, v1, v110
	s_wait_dscnt 0x0
	v_mul_f32_e32 v6, v103, v21
	v_mul_f32_e32 v5, v104, v21
	v_fmac_f32_e32 v3, v102, v18
	v_fma_f32 v7, v101, v18, -v7
	v_dual_add_f32 v0, v0, v4 :: v_dual_add_f32 v1, v1, v2
	v_mul_f32_e32 v9, v105, v23
	v_mul_f32_e32 v2, v106, v23
	v_fmac_f32_e32 v6, v104, v20
	v_fma_f32 v4, v103, v20, -v5
	v_add_f32_e32 v0, v0, v7
	v_add_f32_e32 v1, v1, v3
	v_fmac_f32_e32 v9, v106, v22
	v_fma_f32 v2, v105, v22, -v2
	s_delay_alu instid0(VALU_DEP_3) | instskip(NEXT) | instid1(VALU_DEP_1)
	v_dual_add_f32 v0, v0, v4 :: v_dual_add_f32 v1, v1, v6
	v_dual_add_f32 v0, v0, v2 :: v_dual_add_f32 v1, v1, v9
	s_delay_alu instid0(VALU_DEP_1)
	v_dual_sub_f32 v0, v111, v0 :: v_dual_sub_f32 v1, v112, v1
	scratch_store_b64 off, v[0:1], off
	s_wait_alu 0xfffe
	s_cbranch_vccz .LBB100_308
; %bb.236:
	v_mov_b32_e32 v0, 0
	global_load_b32 v1, v0, s[2:3] offset:140
	s_wait_loadcnt 0x0
	v_cmp_ne_u32_e32 vcc_lo, 36, v1
	s_cbranch_vccz .LBB100_238
; %bb.237:
	v_lshlrev_b32_e32 v1, 3, v1
	s_delay_alu instid0(VALU_DEP_1)
	v_mov_b32_e32 v5, v1
	scratch_load_b64 v[1:2], v5, off offset:-8
	scratch_load_b64 v[3:4], off, off offset:280
	s_wait_loadcnt 0x1
	scratch_store_b64 off, v[1:2], off offset:280
	s_wait_loadcnt 0x0
	scratch_store_b64 v5, v[3:4], off offset:-8
.LBB100_238:
	global_load_b32 v0, v0, s[2:3] offset:136
	s_wait_loadcnt 0x0
	v_cmp_eq_u32_e32 vcc_lo, 35, v0
	s_cbranch_vccnz .LBB100_240
; %bb.239:
	v_lshlrev_b32_e32 v0, 3, v0
	s_delay_alu instid0(VALU_DEP_1)
	v_mov_b32_e32 v4, v0
	scratch_load_b64 v[0:1], v4, off offset:-8
	scratch_load_b64 v[2:3], off, off offset:272
	s_wait_loadcnt 0x1
	scratch_store_b64 off, v[0:1], off offset:272
	s_wait_loadcnt 0x0
	scratch_store_b64 v4, v[2:3], off offset:-8
.LBB100_240:
	v_mov_b32_e32 v0, 0
	global_load_b32 v1, v0, s[2:3] offset:132
	s_wait_loadcnt 0x0
	v_cmp_eq_u32_e32 vcc_lo, 34, v1
	s_cbranch_vccnz .LBB100_242
; %bb.241:
	v_lshlrev_b32_e32 v1, 3, v1
	s_delay_alu instid0(VALU_DEP_1)
	v_mov_b32_e32 v5, v1
	scratch_load_b64 v[1:2], v5, off offset:-8
	scratch_load_b64 v[3:4], off, off offset:264
	s_wait_loadcnt 0x1
	scratch_store_b64 off, v[1:2], off offset:264
	s_wait_loadcnt 0x0
	scratch_store_b64 v5, v[3:4], off offset:-8
.LBB100_242:
	global_load_b32 v0, v0, s[2:3] offset:128
	s_wait_loadcnt 0x0
	v_cmp_eq_u32_e32 vcc_lo, 33, v0
	s_cbranch_vccnz .LBB100_244
; %bb.243:
	v_lshlrev_b32_e32 v0, 3, v0
	s_delay_alu instid0(VALU_DEP_1)
	v_mov_b32_e32 v4, v0
	scratch_load_b64 v[0:1], v4, off offset:-8
	scratch_load_b64 v[2:3], off, off offset:256
	s_wait_loadcnt 0x1
	scratch_store_b64 off, v[0:1], off offset:256
	s_wait_loadcnt 0x0
	scratch_store_b64 v4, v[2:3], off offset:-8
.LBB100_244:
	v_mov_b32_e32 v0, 0
	global_load_b32 v1, v0, s[2:3] offset:124
	s_wait_loadcnt 0x0
	v_cmp_eq_u32_e32 vcc_lo, 32, v1
	s_cbranch_vccnz .LBB100_246
; %bb.245:
	v_lshlrev_b32_e32 v1, 3, v1
	s_delay_alu instid0(VALU_DEP_1)
	v_mov_b32_e32 v5, v1
	scratch_load_b64 v[1:2], v5, off offset:-8
	scratch_load_b64 v[3:4], off, off offset:248
	s_wait_loadcnt 0x1
	scratch_store_b64 off, v[1:2], off offset:248
	s_wait_loadcnt 0x0
	scratch_store_b64 v5, v[3:4], off offset:-8
.LBB100_246:
	;; [unrolled: 31-line block ×17, first 2 shown]
	global_load_b32 v0, v0, s[2:3]
	s_wait_loadcnt 0x0
	v_cmp_eq_u32_e32 vcc_lo, 1, v0
	s_cbranch_vccnz .LBB100_308
; %bb.307:
	v_lshlrev_b32_e32 v0, 3, v0
	s_delay_alu instid0(VALU_DEP_1)
	v_mov_b32_e32 v4, v0
	scratch_load_b64 v[0:1], v4, off offset:-8
	scratch_load_b64 v[2:3], off, off
	s_wait_loadcnt 0x1
	scratch_store_b64 off, v[0:1], off
	s_wait_loadcnt 0x0
	scratch_store_b64 v4, v[2:3], off offset:-8
.LBB100_308:
	scratch_load_b64 v[0:1], off, off
	s_wait_loadcnt 0x0
	flat_store_b64 v[24:25], v[0:1]
	scratch_load_b64 v[0:1], off, off offset:8
	s_wait_loadcnt 0x0
	flat_store_b64 v[26:27], v[0:1]
	scratch_load_b64 v[0:1], off, off offset:16
	;; [unrolled: 3-line block ×36, first 2 shown]
	s_wait_loadcnt 0x0
	flat_store_b64 v[96:97], v[0:1]
	s_nop 0
	s_sendmsg sendmsg(MSG_DEALLOC_VGPRS)
	s_endpgm
	.section	.rodata,"a",@progbits
	.p2align	6, 0x0
	.amdhsa_kernel _ZN9rocsolver6v33100L18getri_kernel_smallILi37E19rocblas_complex_numIfEPKPS3_EEvT1_iilPiilS8_bb
		.amdhsa_group_segment_fixed_size 600
		.amdhsa_private_segment_fixed_size 304
		.amdhsa_kernarg_size 60
		.amdhsa_user_sgpr_count 2
		.amdhsa_user_sgpr_dispatch_ptr 0
		.amdhsa_user_sgpr_queue_ptr 0
		.amdhsa_user_sgpr_kernarg_segment_ptr 1
		.amdhsa_user_sgpr_dispatch_id 0
		.amdhsa_user_sgpr_private_segment_size 0
		.amdhsa_wavefront_size32 1
		.amdhsa_uses_dynamic_stack 0
		.amdhsa_enable_private_segment 1
		.amdhsa_system_sgpr_workgroup_id_x 1
		.amdhsa_system_sgpr_workgroup_id_y 0
		.amdhsa_system_sgpr_workgroup_id_z 0
		.amdhsa_system_sgpr_workgroup_info 0
		.amdhsa_system_vgpr_workitem_id 0
		.amdhsa_next_free_vgpr 254
		.amdhsa_next_free_sgpr 19
		.amdhsa_reserve_vcc 1
		.amdhsa_float_round_mode_32 0
		.amdhsa_float_round_mode_16_64 0
		.amdhsa_float_denorm_mode_32 3
		.amdhsa_float_denorm_mode_16_64 3
		.amdhsa_fp16_overflow 0
		.amdhsa_workgroup_processor_mode 1
		.amdhsa_memory_ordered 1
		.amdhsa_forward_progress 1
		.amdhsa_inst_pref_size 255
		.amdhsa_round_robin_scheduling 0
		.amdhsa_exception_fp_ieee_invalid_op 0
		.amdhsa_exception_fp_denorm_src 0
		.amdhsa_exception_fp_ieee_div_zero 0
		.amdhsa_exception_fp_ieee_overflow 0
		.amdhsa_exception_fp_ieee_underflow 0
		.amdhsa_exception_fp_ieee_inexact 0
		.amdhsa_exception_int_div_zero 0
	.end_amdhsa_kernel
	.section	.text._ZN9rocsolver6v33100L18getri_kernel_smallILi37E19rocblas_complex_numIfEPKPS3_EEvT1_iilPiilS8_bb,"axG",@progbits,_ZN9rocsolver6v33100L18getri_kernel_smallILi37E19rocblas_complex_numIfEPKPS3_EEvT1_iilPiilS8_bb,comdat
.Lfunc_end100:
	.size	_ZN9rocsolver6v33100L18getri_kernel_smallILi37E19rocblas_complex_numIfEPKPS3_EEvT1_iilPiilS8_bb, .Lfunc_end100-_ZN9rocsolver6v33100L18getri_kernel_smallILi37E19rocblas_complex_numIfEPKPS3_EEvT1_iilPiilS8_bb
                                        ; -- End function
	.set _ZN9rocsolver6v33100L18getri_kernel_smallILi37E19rocblas_complex_numIfEPKPS3_EEvT1_iilPiilS8_bb.num_vgpr, 254
	.set _ZN9rocsolver6v33100L18getri_kernel_smallILi37E19rocblas_complex_numIfEPKPS3_EEvT1_iilPiilS8_bb.num_agpr, 0
	.set _ZN9rocsolver6v33100L18getri_kernel_smallILi37E19rocblas_complex_numIfEPKPS3_EEvT1_iilPiilS8_bb.numbered_sgpr, 19
	.set _ZN9rocsolver6v33100L18getri_kernel_smallILi37E19rocblas_complex_numIfEPKPS3_EEvT1_iilPiilS8_bb.num_named_barrier, 0
	.set _ZN9rocsolver6v33100L18getri_kernel_smallILi37E19rocblas_complex_numIfEPKPS3_EEvT1_iilPiilS8_bb.private_seg_size, 304
	.set _ZN9rocsolver6v33100L18getri_kernel_smallILi37E19rocblas_complex_numIfEPKPS3_EEvT1_iilPiilS8_bb.uses_vcc, 1
	.set _ZN9rocsolver6v33100L18getri_kernel_smallILi37E19rocblas_complex_numIfEPKPS3_EEvT1_iilPiilS8_bb.uses_flat_scratch, 1
	.set _ZN9rocsolver6v33100L18getri_kernel_smallILi37E19rocblas_complex_numIfEPKPS3_EEvT1_iilPiilS8_bb.has_dyn_sized_stack, 0
	.set _ZN9rocsolver6v33100L18getri_kernel_smallILi37E19rocblas_complex_numIfEPKPS3_EEvT1_iilPiilS8_bb.has_recursion, 0
	.set _ZN9rocsolver6v33100L18getri_kernel_smallILi37E19rocblas_complex_numIfEPKPS3_EEvT1_iilPiilS8_bb.has_indirect_call, 0
	.section	.AMDGPU.csdata,"",@progbits
; Kernel info:
; codeLenInByte = 51484
; TotalNumSgprs: 21
; NumVgprs: 254
; ScratchSize: 304
; MemoryBound: 0
; FloatMode: 240
; IeeeMode: 1
; LDSByteSize: 600 bytes/workgroup (compile time only)
; SGPRBlocks: 0
; VGPRBlocks: 31
; NumSGPRsForWavesPerEU: 21
; NumVGPRsForWavesPerEU: 254
; Occupancy: 5
; WaveLimiterHint : 1
; COMPUTE_PGM_RSRC2:SCRATCH_EN: 1
; COMPUTE_PGM_RSRC2:USER_SGPR: 2
; COMPUTE_PGM_RSRC2:TRAP_HANDLER: 0
; COMPUTE_PGM_RSRC2:TGID_X_EN: 1
; COMPUTE_PGM_RSRC2:TGID_Y_EN: 0
; COMPUTE_PGM_RSRC2:TGID_Z_EN: 0
; COMPUTE_PGM_RSRC2:TIDIG_COMP_CNT: 0
	.section	.text._ZN9rocsolver6v33100L18getri_kernel_smallILi38E19rocblas_complex_numIfEPKPS3_EEvT1_iilPiilS8_bb,"axG",@progbits,_ZN9rocsolver6v33100L18getri_kernel_smallILi38E19rocblas_complex_numIfEPKPS3_EEvT1_iilPiilS8_bb,comdat
	.globl	_ZN9rocsolver6v33100L18getri_kernel_smallILi38E19rocblas_complex_numIfEPKPS3_EEvT1_iilPiilS8_bb ; -- Begin function _ZN9rocsolver6v33100L18getri_kernel_smallILi38E19rocblas_complex_numIfEPKPS3_EEvT1_iilPiilS8_bb
	.p2align	8
	.type	_ZN9rocsolver6v33100L18getri_kernel_smallILi38E19rocblas_complex_numIfEPKPS3_EEvT1_iilPiilS8_bb,@function
_ZN9rocsolver6v33100L18getri_kernel_smallILi38E19rocblas_complex_numIfEPKPS3_EEvT1_iilPiilS8_bb: ; @_ZN9rocsolver6v33100L18getri_kernel_smallILi38E19rocblas_complex_numIfEPKPS3_EEvT1_iilPiilS8_bb
; %bb.0:
	s_mov_b32 s2, exec_lo
	v_cmpx_gt_u32_e32 38, v0
	s_cbranch_execz .LBB101_166
; %bb.1:
	s_clause 0x1
	s_load_b32 s13, s[0:1], 0x38
	s_load_b64 s[2:3], s[0:1], 0x0
	s_mov_b32 s8, ttmp9
	s_load_b128 s[4:7], s[0:1], 0x28
	s_wait_kmcnt 0x0
	s_bitcmp1_b32 s13, 8
	s_cselect_b32 s12, -1, 0
	s_ashr_i32 s9, ttmp9, 31
	s_delay_alu instid0(SALU_CYCLE_1) | instskip(NEXT) | instid1(SALU_CYCLE_1)
	s_lshl_b64 s[10:11], s[8:9], 3
	s_add_nc_u64 s[2:3], s[2:3], s[10:11]
	s_load_b64 s[10:11], s[2:3], 0x0
	s_bfe_u32 s2, s13, 0x10008
	s_delay_alu instid0(SALU_CYCLE_1)
	s_cmp_eq_u32 s2, 0
                                        ; implicit-def: $sgpr2_sgpr3
	s_cbranch_scc1 .LBB101_3
; %bb.2:
	s_load_b96 s[16:18], s[0:1], 0x18
	s_mul_u64 s[2:3], s[4:5], s[8:9]
	s_delay_alu instid0(SALU_CYCLE_1)
	s_lshl_b64 s[2:3], s[2:3], 2
	s_wait_kmcnt 0x0
	s_ashr_i32 s5, s18, 31
	s_mov_b32 s4, s18
	s_add_nc_u64 s[2:3], s[16:17], s[2:3]
	s_lshl_b64 s[4:5], s[4:5], 2
	s_delay_alu instid0(SALU_CYCLE_1)
	s_add_nc_u64 s[2:3], s[2:3], s[4:5]
.LBB101_3:
	s_clause 0x1
	s_load_b64 s[4:5], s[0:1], 0x8
	s_load_b32 s13, s[0:1], 0x38
	v_lshlrev_b32_e32 v7, 3, v0
	s_wait_kmcnt 0x0
	s_ashr_i32 s1, s4, 31
	s_mov_b32 s0, s4
	v_add3_u32 v3, s5, s5, v0
	s_lshl_b64 s[0:1], s[0:1], 3
	s_delay_alu instid0(SALU_CYCLE_1)
	s_add_nc_u64 s[0:1], s[10:11], s[0:1]
	s_ashr_i32 s11, s5, 31
	v_add_co_u32 v28, s4, s0, v7
	s_wait_alu 0xf1ff
	v_add_co_ci_u32_e64 v29, null, s1, 0, s4
	s_mov_b32 s10, s5
	v_ashrrev_i32_e32 v4, 31, v3
	s_lshl_b64 s[10:11], s[10:11], 3
	flat_load_b64 v[1:2], v[28:29]
	v_add_co_u32 v30, vcc_lo, v28, s10
	s_delay_alu instid0(VALU_DEP_1) | instskip(SKIP_3) | instid1(VALU_DEP_2)
	v_add_co_ci_u32_e64 v31, null, s11, v29, vcc_lo
	v_lshlrev_b64_e32 v[4:5], 3, v[3:4]
	v_add_nc_u32_e32 v3, s5, v3
	s_bitcmp0_b32 s13, 0
	v_add_co_u32 v32, vcc_lo, s0, v4
	s_wait_alu 0xfffd
	s_delay_alu instid0(VALU_DEP_3) | instskip(SKIP_1) | instid1(VALU_DEP_1)
	v_add_co_ci_u32_e64 v33, null, s1, v5, vcc_lo
	v_ashrrev_i32_e32 v4, 31, v3
	v_lshlrev_b64_e32 v[4:5], 3, v[3:4]
	v_add_nc_u32_e32 v3, s5, v3
	s_delay_alu instid0(VALU_DEP_2) | instskip(SKIP_1) | instid1(VALU_DEP_3)
	v_add_co_u32 v34, vcc_lo, s0, v4
	s_wait_alu 0xfffd
	v_add_co_ci_u32_e64 v35, null, s1, v5, vcc_lo
	s_delay_alu instid0(VALU_DEP_3) | instskip(NEXT) | instid1(VALU_DEP_1)
	v_ashrrev_i32_e32 v4, 31, v3
	v_lshlrev_b64_e32 v[4:5], 3, v[3:4]
	v_add_nc_u32_e32 v3, s5, v3
	s_delay_alu instid0(VALU_DEP_2) | instskip(SKIP_1) | instid1(VALU_DEP_3)
	v_add_co_u32 v36, vcc_lo, s0, v4
	s_wait_alu 0xfffd
	v_add_co_ci_u32_e64 v37, null, s1, v5, vcc_lo
	s_delay_alu instid0(VALU_DEP_3) | instskip(NEXT) | instid1(VALU_DEP_1)
	;; [unrolled: 8-line block ×20, first 2 shown]
	v_ashrrev_i32_e32 v4, 31, v3
	v_lshlrev_b64_e32 v[4:5], 3, v[3:4]
	s_wait_loadcnt_dscnt 0x0
	scratch_store_b64 off, v[1:2], off
	flat_load_b64 v[1:2], v[30:31]
	v_add_nc_u32_e32 v3, s5, v3
	v_add_co_u32 v74, vcc_lo, s0, v4
	s_wait_alu 0xfffd
	v_add_co_ci_u32_e64 v75, null, s1, v5, vcc_lo
	s_delay_alu instid0(VALU_DEP_3) | instskip(NEXT) | instid1(VALU_DEP_1)
	v_ashrrev_i32_e32 v4, 31, v3
	v_lshlrev_b64_e32 v[4:5], 3, v[3:4]
	v_add_nc_u32_e32 v3, s5, v3
	s_delay_alu instid0(VALU_DEP_2) | instskip(SKIP_1) | instid1(VALU_DEP_3)
	v_add_co_u32 v76, vcc_lo, s0, v4
	s_wait_alu 0xfffd
	v_add_co_ci_u32_e64 v77, null, s1, v5, vcc_lo
	s_delay_alu instid0(VALU_DEP_3) | instskip(NEXT) | instid1(VALU_DEP_1)
	v_ashrrev_i32_e32 v4, 31, v3
	v_lshlrev_b64_e32 v[4:5], 3, v[3:4]
	v_add_nc_u32_e32 v3, s5, v3
	s_delay_alu instid0(VALU_DEP_2) | instskip(SKIP_1) | instid1(VALU_DEP_3)
	;; [unrolled: 8-line block ×13, first 2 shown]
	v_add_co_u32 v100, vcc_lo, s0, v4
	s_wait_alu 0xfffd
	v_add_co_ci_u32_e64 v101, null, s1, v5, vcc_lo
	s_delay_alu instid0(VALU_DEP_3) | instskip(NEXT) | instid1(VALU_DEP_1)
	v_ashrrev_i32_e32 v4, 31, v3
	v_lshlrev_b64_e32 v[3:4], 3, v[3:4]
	s_delay_alu instid0(VALU_DEP_1) | instskip(SKIP_1) | instid1(VALU_DEP_2)
	v_add_co_u32 v102, vcc_lo, s0, v3
	s_wait_alu 0xfffd
	v_add_co_ci_u32_e64 v103, null, s1, v4, vcc_lo
	s_mov_b32 s1, -1
	s_wait_loadcnt_dscnt 0x0
	scratch_store_b64 off, v[1:2], off offset:8
	flat_load_b64 v[1:2], v[32:33]
	s_wait_loadcnt_dscnt 0x0
	scratch_store_b64 off, v[1:2], off offset:16
	flat_load_b64 v[1:2], v[34:35]
	;; [unrolled: 3-line block ×36, first 2 shown]
	s_wait_loadcnt_dscnt 0x0
	scratch_store_b64 off, v[1:2], off offset:296
	s_cbranch_scc1 .LBB101_164
; %bb.4:
	v_cmp_eq_u32_e64 s0, 0, v0
	s_and_saveexec_b32 s1, s0
; %bb.5:
	v_mov_b32_e32 v1, 0
	ds_store_b32 v1, v1 offset:608
; %bb.6:
	s_wait_alu 0xfffe
	s_or_b32 exec_lo, exec_lo, s1
	s_wait_storecnt_dscnt 0x0
	s_barrier_signal -1
	s_barrier_wait -1
	global_inv scope:SCOPE_SE
	scratch_load_b64 v[1:2], v7, off
	s_wait_loadcnt 0x0
	v_cmp_eq_f32_e32 vcc_lo, 0, v1
	v_cmp_eq_f32_e64 s1, 0, v2
	s_and_b32 s1, vcc_lo, s1
	s_wait_alu 0xfffe
	s_and_saveexec_b32 s4, s1
	s_cbranch_execz .LBB101_10
; %bb.7:
	v_mov_b32_e32 v1, 0
	s_mov_b32 s5, 0
	ds_load_b32 v2, v1 offset:608
	s_wait_dscnt 0x0
	v_readfirstlane_b32 s1, v2
	v_add_nc_u32_e32 v2, 1, v0
	s_cmp_eq_u32 s1, 0
	s_delay_alu instid0(VALU_DEP_1)
	v_cmp_gt_i32_e32 vcc_lo, s1, v2
	s_cselect_b32 s10, -1, 0
	s_wait_alu 0xfffe
	s_or_b32 s10, s10, vcc_lo
	s_wait_alu 0xfffe
	s_and_b32 exec_lo, exec_lo, s10
	s_cbranch_execz .LBB101_10
; %bb.8:
	v_mov_b32_e32 v3, s1
.LBB101_9:                              ; =>This Inner Loop Header: Depth=1
	ds_cmpstore_rtn_b32 v3, v1, v2, v3 offset:608
	s_wait_dscnt 0x0
	v_cmp_ne_u32_e32 vcc_lo, 0, v3
	v_cmp_le_i32_e64 s1, v3, v2
	s_and_b32 s1, vcc_lo, s1
	s_wait_alu 0xfffe
	s_and_b32 s1, exec_lo, s1
	s_wait_alu 0xfffe
	s_or_b32 s5, s1, s5
	s_wait_alu 0xfffe
	s_and_not1_b32 exec_lo, exec_lo, s5
	s_cbranch_execnz .LBB101_9
.LBB101_10:
	s_wait_alu 0xfffe
	s_or_b32 exec_lo, exec_lo, s4
	v_mov_b32_e32 v1, 0
	s_barrier_signal -1
	s_barrier_wait -1
	global_inv scope:SCOPE_SE
	ds_load_b32 v2, v1 offset:608
	s_and_saveexec_b32 s1, s0
	s_cbranch_execz .LBB101_12
; %bb.11:
	s_lshl_b64 s[4:5], s[8:9], 2
	s_wait_alu 0xfffe
	s_add_nc_u64 s[4:5], s[6:7], s[4:5]
	s_wait_dscnt 0x0
	global_store_b32 v1, v2, s[4:5]
.LBB101_12:
	s_wait_alu 0xfffe
	s_or_b32 exec_lo, exec_lo, s1
	s_wait_dscnt 0x0
	v_cmp_ne_u32_e32 vcc_lo, 0, v2
	s_mov_b32 s1, 0
	s_cbranch_vccnz .LBB101_164
; %bb.13:
	v_mov_b32_e32 v8, v7
                                        ; implicit-def: $vgpr3
                                        ; implicit-def: $vgpr5
	scratch_load_b64 v[1:2], v8, off
	s_wait_loadcnt 0x0
	v_cmp_ngt_f32_e64 s1, |v1|, |v2|
	s_wait_alu 0xfffe
	s_and_saveexec_b32 s4, s1
	s_wait_alu 0xfffe
	s_xor_b32 s1, exec_lo, s4
	s_cbranch_execz .LBB101_15
; %bb.14:
	v_div_scale_f32 v3, null, v2, v2, v1
	v_div_scale_f32 v6, vcc_lo, v1, v2, v1
	s_delay_alu instid0(VALU_DEP_2) | instskip(NEXT) | instid1(TRANS32_DEP_1)
	v_rcp_f32_e32 v4, v3
	v_fma_f32 v5, -v3, v4, 1.0
	s_delay_alu instid0(VALU_DEP_1) | instskip(NEXT) | instid1(VALU_DEP_1)
	v_fmac_f32_e32 v4, v5, v4
	v_mul_f32_e32 v5, v6, v4
	s_delay_alu instid0(VALU_DEP_1) | instskip(NEXT) | instid1(VALU_DEP_1)
	v_fma_f32 v9, -v3, v5, v6
	v_fmac_f32_e32 v5, v9, v4
	s_delay_alu instid0(VALU_DEP_1) | instskip(SKIP_1) | instid1(VALU_DEP_1)
	v_fma_f32 v3, -v3, v5, v6
	s_wait_alu 0xfffd
	v_div_fmas_f32 v3, v3, v4, v5
	s_delay_alu instid0(VALU_DEP_1) | instskip(NEXT) | instid1(VALU_DEP_1)
	v_div_fixup_f32 v3, v3, v2, v1
	v_fmac_f32_e32 v2, v1, v3
	s_delay_alu instid0(VALU_DEP_1) | instskip(NEXT) | instid1(VALU_DEP_1)
	v_div_scale_f32 v1, null, v2, v2, 1.0
	v_rcp_f32_e32 v4, v1
	s_delay_alu instid0(TRANS32_DEP_1) | instskip(NEXT) | instid1(VALU_DEP_1)
	v_fma_f32 v5, -v1, v4, 1.0
	v_fmac_f32_e32 v4, v5, v4
	v_div_scale_f32 v5, vcc_lo, 1.0, v2, 1.0
	s_delay_alu instid0(VALU_DEP_1) | instskip(NEXT) | instid1(VALU_DEP_1)
	v_mul_f32_e32 v6, v5, v4
	v_fma_f32 v9, -v1, v6, v5
	s_delay_alu instid0(VALU_DEP_1) | instskip(NEXT) | instid1(VALU_DEP_1)
	v_fmac_f32_e32 v6, v9, v4
	v_fma_f32 v1, -v1, v6, v5
	s_wait_alu 0xfffd
	s_delay_alu instid0(VALU_DEP_1) | instskip(NEXT) | instid1(VALU_DEP_1)
	v_div_fmas_f32 v1, v1, v4, v6
	v_div_fixup_f32 v1, v1, v2, 1.0
	s_delay_alu instid0(VALU_DEP_1) | instskip(SKIP_1) | instid1(VALU_DEP_2)
	v_mul_f32_e32 v3, v3, v1
	v_xor_b32_e32 v4, 0x80000000, v1
                                        ; implicit-def: $vgpr1_vgpr2
	v_xor_b32_e32 v5, 0x80000000, v3
.LBB101_15:
	s_wait_alu 0xfffe
	s_and_not1_saveexec_b32 s1, s1
	s_cbranch_execz .LBB101_17
; %bb.16:
	v_div_scale_f32 v3, null, v1, v1, v2
	v_div_scale_f32 v6, vcc_lo, v2, v1, v2
	s_delay_alu instid0(VALU_DEP_2) | instskip(NEXT) | instid1(TRANS32_DEP_1)
	v_rcp_f32_e32 v4, v3
	v_fma_f32 v5, -v3, v4, 1.0
	s_delay_alu instid0(VALU_DEP_1) | instskip(NEXT) | instid1(VALU_DEP_1)
	v_fmac_f32_e32 v4, v5, v4
	v_mul_f32_e32 v5, v6, v4
	s_delay_alu instid0(VALU_DEP_1) | instskip(NEXT) | instid1(VALU_DEP_1)
	v_fma_f32 v9, -v3, v5, v6
	v_fmac_f32_e32 v5, v9, v4
	s_delay_alu instid0(VALU_DEP_1) | instskip(SKIP_1) | instid1(VALU_DEP_1)
	v_fma_f32 v3, -v3, v5, v6
	s_wait_alu 0xfffd
	v_div_fmas_f32 v3, v3, v4, v5
	s_delay_alu instid0(VALU_DEP_1) | instskip(NEXT) | instid1(VALU_DEP_1)
	v_div_fixup_f32 v4, v3, v1, v2
	v_fmac_f32_e32 v1, v2, v4
	s_delay_alu instid0(VALU_DEP_1) | instskip(SKIP_1) | instid1(VALU_DEP_2)
	v_div_scale_f32 v2, null, v1, v1, 1.0
	v_div_scale_f32 v6, vcc_lo, 1.0, v1, 1.0
	v_rcp_f32_e32 v3, v2
	s_delay_alu instid0(TRANS32_DEP_1) | instskip(NEXT) | instid1(VALU_DEP_1)
	v_fma_f32 v5, -v2, v3, 1.0
	v_fmac_f32_e32 v3, v5, v3
	s_delay_alu instid0(VALU_DEP_1) | instskip(NEXT) | instid1(VALU_DEP_1)
	v_mul_f32_e32 v5, v6, v3
	v_fma_f32 v9, -v2, v5, v6
	s_delay_alu instid0(VALU_DEP_1) | instskip(NEXT) | instid1(VALU_DEP_1)
	v_fmac_f32_e32 v5, v9, v3
	v_fma_f32 v2, -v2, v5, v6
	s_wait_alu 0xfffd
	s_delay_alu instid0(VALU_DEP_1) | instskip(NEXT) | instid1(VALU_DEP_1)
	v_div_fmas_f32 v2, v2, v3, v5
	v_div_fixup_f32 v3, v2, v1, 1.0
	s_delay_alu instid0(VALU_DEP_1)
	v_xor_b32_e32 v5, 0x80000000, v3
	v_mul_f32_e64 v4, v4, -v3
.LBB101_17:
	s_wait_alu 0xfffe
	s_or_b32 exec_lo, exec_lo, s1
	scratch_store_b64 v8, v[3:4], off
	scratch_load_b64 v[2:3], off, off offset:8
	v_xor_b32_e32 v6, 0x80000000, v4
	v_add_nc_u32_e32 v1, 0x130, v7
	s_wait_loadcnt 0x0
	ds_store_2addr_b64 v7, v[5:6], v[2:3] offset1:38
	s_wait_storecnt_dscnt 0x0
	s_barrier_signal -1
	s_barrier_wait -1
	global_inv scope:SCOPE_SE
	s_and_saveexec_b32 s1, s0
	s_cbranch_execz .LBB101_19
; %bb.18:
	scratch_load_b64 v[2:3], v8, off
	ds_load_b64 v[4:5], v1
	v_mov_b32_e32 v6, 0
	ds_load_b64 v[9:10], v6 offset:8
	s_wait_loadcnt_dscnt 0x1
	v_mul_f32_e32 v6, v4, v3
	v_mul_f32_e32 v3, v5, v3
	s_delay_alu instid0(VALU_DEP_2) | instskip(NEXT) | instid1(VALU_DEP_2)
	v_fmac_f32_e32 v6, v5, v2
	v_fma_f32 v2, v4, v2, -v3
	s_delay_alu instid0(VALU_DEP_2) | instskip(NEXT) | instid1(VALU_DEP_2)
	v_add_f32_e32 v4, 0, v6
	v_add_f32_e32 v2, 0, v2
	s_wait_dscnt 0x0
	s_delay_alu instid0(VALU_DEP_2) | instskip(NEXT) | instid1(VALU_DEP_2)
	v_mul_f32_e32 v5, v4, v10
	v_mul_f32_e32 v3, v2, v10
	s_delay_alu instid0(VALU_DEP_2) | instskip(NEXT) | instid1(VALU_DEP_2)
	v_fma_f32 v2, v2, v9, -v5
	v_fmac_f32_e32 v3, v4, v9
	scratch_store_b64 off, v[2:3], off offset:8
.LBB101_19:
	s_wait_alu 0xfffe
	s_or_b32 exec_lo, exec_lo, s1
	s_wait_loadcnt 0x0
	s_wait_storecnt 0x0
	s_barrier_signal -1
	s_barrier_wait -1
	global_inv scope:SCOPE_SE
	scratch_load_b64 v[2:3], off, off offset:16
	s_mov_b32 s1, exec_lo
	s_wait_loadcnt 0x0
	ds_store_b64 v1, v[2:3]
	s_wait_dscnt 0x0
	s_barrier_signal -1
	s_barrier_wait -1
	global_inv scope:SCOPE_SE
	v_cmpx_gt_u32_e32 2, v0
	s_cbranch_execz .LBB101_23
; %bb.20:
	scratch_load_b64 v[2:3], v8, off
	ds_load_b64 v[4:5], v1
	s_wait_loadcnt_dscnt 0x0
	v_mul_f32_e32 v6, v5, v3
	v_mul_f32_e32 v9, v4, v3
	s_delay_alu instid0(VALU_DEP_2) | instskip(NEXT) | instid1(VALU_DEP_2)
	v_fma_f32 v3, v4, v2, -v6
	v_fmac_f32_e32 v9, v5, v2
	s_delay_alu instid0(VALU_DEP_1)
	v_dual_add_f32 v3, 0, v3 :: v_dual_add_f32 v2, 0, v9
	s_and_saveexec_b32 s4, s0
	s_cbranch_execz .LBB101_22
; %bb.21:
	scratch_load_b64 v[4:5], off, off offset:8
	v_mov_b32_e32 v6, 0
	ds_load_b64 v[9:10], v6 offset:312
	s_wait_loadcnt_dscnt 0x0
	v_mul_f32_e32 v6, v9, v5
	v_mul_f32_e32 v5, v10, v5
	s_delay_alu instid0(VALU_DEP_2) | instskip(NEXT) | instid1(VALU_DEP_2)
	v_fmac_f32_e32 v6, v10, v4
	v_fma_f32 v4, v9, v4, -v5
	s_delay_alu instid0(VALU_DEP_1)
	v_dual_add_f32 v2, v2, v6 :: v_dual_add_f32 v3, v3, v4
.LBB101_22:
	s_wait_alu 0xfffe
	s_or_b32 exec_lo, exec_lo, s4
	v_mov_b32_e32 v4, 0
	ds_load_b64 v[4:5], v4 offset:16
	s_wait_dscnt 0x0
	v_mul_f32_e32 v9, v2, v5
	v_mul_f32_e32 v6, v3, v5
	s_delay_alu instid0(VALU_DEP_2) | instskip(NEXT) | instid1(VALU_DEP_2)
	v_fma_f32 v5, v3, v4, -v9
	v_fmac_f32_e32 v6, v2, v4
	scratch_store_b64 off, v[5:6], off offset:16
.LBB101_23:
	s_wait_alu 0xfffe
	s_or_b32 exec_lo, exec_lo, s1
	s_wait_loadcnt 0x0
	s_wait_storecnt 0x0
	s_barrier_signal -1
	s_barrier_wait -1
	global_inv scope:SCOPE_SE
	scratch_load_b64 v[3:4], off, off offset:24
	v_add_nc_u32_e32 v2, -1, v0
	s_mov_b32 s0, exec_lo
	s_wait_loadcnt 0x0
	ds_store_b64 v1, v[3:4]
	s_wait_dscnt 0x0
	s_barrier_signal -1
	s_barrier_wait -1
	global_inv scope:SCOPE_SE
	v_cmpx_gt_u32_e32 3, v0
	s_cbranch_execz .LBB101_27
; %bb.24:
	v_dual_mov_b32 v3, 0 :: v_dual_add_nc_u32 v4, -1, v0
	v_dual_mov_b32 v6, v7 :: v_dual_add_nc_u32 v5, 0x130, v7
	v_mov_b32_e32 v9, 0
	s_mov_b32 s1, 0
.LBB101_25:                             ; =>This Inner Loop Header: Depth=1
	scratch_load_b64 v[10:11], v6, off
	ds_load_b64 v[12:13], v5
	v_add_nc_u32_e32 v4, 1, v4
	v_add_nc_u32_e32 v5, 8, v5
	s_delay_alu instid0(VALU_DEP_2)
	v_cmp_lt_u32_e32 vcc_lo, 1, v4
	s_wait_alu 0xfffe
	s_or_b32 s1, vcc_lo, s1
	s_wait_loadcnt_dscnt 0x0
	v_mul_f32_e32 v14, v13, v11
	v_mul_f32_e32 v11, v12, v11
	s_delay_alu instid0(VALU_DEP_2) | instskip(NEXT) | instid1(VALU_DEP_2)
	v_fma_f32 v12, v12, v10, -v14
	v_fmac_f32_e32 v11, v13, v10
	s_delay_alu instid0(VALU_DEP_2) | instskip(NEXT) | instid1(VALU_DEP_2)
	v_dual_add_f32 v9, v9, v12 :: v_dual_add_nc_u32 v6, 8, v6
	v_add_f32_e32 v3, v3, v11
	s_wait_alu 0xfffe
	s_and_not1_b32 exec_lo, exec_lo, s1
	s_cbranch_execnz .LBB101_25
; %bb.26:
	s_or_b32 exec_lo, exec_lo, s1
	v_mov_b32_e32 v4, 0
	ds_load_b64 v[4:5], v4 offset:24
	s_wait_dscnt 0x0
	v_mul_f32_e32 v10, v3, v5
	v_mul_f32_e32 v6, v9, v5
	s_delay_alu instid0(VALU_DEP_2) | instskip(NEXT) | instid1(VALU_DEP_2)
	v_fma_f32 v5, v9, v4, -v10
	v_fmac_f32_e32 v6, v3, v4
	scratch_store_b64 off, v[5:6], off offset:24
.LBB101_27:
	s_wait_alu 0xfffe
	s_or_b32 exec_lo, exec_lo, s0
	s_wait_loadcnt 0x0
	s_wait_storecnt 0x0
	s_barrier_signal -1
	s_barrier_wait -1
	global_inv scope:SCOPE_SE
	scratch_load_b64 v[3:4], off, off offset:32
	s_mov_b32 s0, exec_lo
	s_wait_loadcnt 0x0
	ds_store_b64 v1, v[3:4]
	s_wait_dscnt 0x0
	s_barrier_signal -1
	s_barrier_wait -1
	global_inv scope:SCOPE_SE
	v_cmpx_gt_u32_e32 4, v0
	s_cbranch_execz .LBB101_31
; %bb.28:
	v_dual_mov_b32 v3, 0 :: v_dual_add_nc_u32 v4, -1, v0
	v_dual_mov_b32 v6, v7 :: v_dual_add_nc_u32 v5, 0x130, v7
	v_mov_b32_e32 v9, 0
	s_mov_b32 s1, 0
.LBB101_29:                             ; =>This Inner Loop Header: Depth=1
	scratch_load_b64 v[10:11], v6, off
	ds_load_b64 v[12:13], v5
	v_add_nc_u32_e32 v4, 1, v4
	v_add_nc_u32_e32 v5, 8, v5
	s_delay_alu instid0(VALU_DEP_2)
	v_cmp_lt_u32_e32 vcc_lo, 2, v4
	s_wait_alu 0xfffe
	s_or_b32 s1, vcc_lo, s1
	s_wait_loadcnt_dscnt 0x0
	v_mul_f32_e32 v14, v13, v11
	v_mul_f32_e32 v11, v12, v11
	s_delay_alu instid0(VALU_DEP_2) | instskip(NEXT) | instid1(VALU_DEP_2)
	v_fma_f32 v12, v12, v10, -v14
	v_fmac_f32_e32 v11, v13, v10
	s_delay_alu instid0(VALU_DEP_2) | instskip(NEXT) | instid1(VALU_DEP_2)
	v_dual_add_f32 v9, v9, v12 :: v_dual_add_nc_u32 v6, 8, v6
	v_add_f32_e32 v3, v3, v11
	s_wait_alu 0xfffe
	s_and_not1_b32 exec_lo, exec_lo, s1
	s_cbranch_execnz .LBB101_29
; %bb.30:
	s_or_b32 exec_lo, exec_lo, s1
	v_mov_b32_e32 v4, 0
	ds_load_b64 v[4:5], v4 offset:32
	s_wait_dscnt 0x0
	v_mul_f32_e32 v10, v3, v5
	v_mul_f32_e32 v6, v9, v5
	s_delay_alu instid0(VALU_DEP_2) | instskip(NEXT) | instid1(VALU_DEP_2)
	v_fma_f32 v5, v9, v4, -v10
	v_fmac_f32_e32 v6, v3, v4
	scratch_store_b64 off, v[5:6], off offset:32
.LBB101_31:
	s_wait_alu 0xfffe
	s_or_b32 exec_lo, exec_lo, s0
	s_wait_loadcnt 0x0
	s_wait_storecnt 0x0
	s_barrier_signal -1
	s_barrier_wait -1
	global_inv scope:SCOPE_SE
	scratch_load_b64 v[3:4], off, off offset:40
	;; [unrolled: 55-line block ×19, first 2 shown]
	s_mov_b32 s0, exec_lo
	s_wait_loadcnt 0x0
	ds_store_b64 v1, v[3:4]
	s_wait_dscnt 0x0
	s_barrier_signal -1
	s_barrier_wait -1
	global_inv scope:SCOPE_SE
	v_cmpx_gt_u32_e32 22, v0
	s_cbranch_execz .LBB101_103
; %bb.100:
	v_dual_mov_b32 v3, 0 :: v_dual_add_nc_u32 v4, -1, v0
	v_dual_mov_b32 v6, v7 :: v_dual_add_nc_u32 v5, 0x130, v7
	v_mov_b32_e32 v9, 0
	s_mov_b32 s1, 0
.LBB101_101:                            ; =>This Inner Loop Header: Depth=1
	scratch_load_b64 v[10:11], v6, off
	ds_load_b64 v[12:13], v5
	v_add_nc_u32_e32 v4, 1, v4
	v_add_nc_u32_e32 v5, 8, v5
	s_delay_alu instid0(VALU_DEP_2)
	v_cmp_lt_u32_e32 vcc_lo, 20, v4
	s_wait_alu 0xfffe
	s_or_b32 s1, vcc_lo, s1
	s_wait_loadcnt_dscnt 0x0
	v_mul_f32_e32 v14, v13, v11
	v_mul_f32_e32 v11, v12, v11
	s_delay_alu instid0(VALU_DEP_2) | instskip(NEXT) | instid1(VALU_DEP_2)
	v_fma_f32 v12, v12, v10, -v14
	v_fmac_f32_e32 v11, v13, v10
	s_delay_alu instid0(VALU_DEP_2) | instskip(NEXT) | instid1(VALU_DEP_2)
	v_dual_add_f32 v9, v9, v12 :: v_dual_add_nc_u32 v6, 8, v6
	v_add_f32_e32 v3, v3, v11
	s_wait_alu 0xfffe
	s_and_not1_b32 exec_lo, exec_lo, s1
	s_cbranch_execnz .LBB101_101
; %bb.102:
	s_or_b32 exec_lo, exec_lo, s1
	v_mov_b32_e32 v4, 0
	ds_load_b64 v[4:5], v4 offset:176
	s_wait_dscnt 0x0
	v_mul_f32_e32 v10, v3, v5
	v_mul_f32_e32 v6, v9, v5
	s_delay_alu instid0(VALU_DEP_2) | instskip(NEXT) | instid1(VALU_DEP_2)
	v_fma_f32 v5, v9, v4, -v10
	v_fmac_f32_e32 v6, v3, v4
	scratch_store_b64 off, v[5:6], off offset:176
.LBB101_103:
	s_wait_alu 0xfffe
	s_or_b32 exec_lo, exec_lo, s0
	s_wait_loadcnt 0x0
	s_wait_storecnt 0x0
	s_barrier_signal -1
	s_barrier_wait -1
	global_inv scope:SCOPE_SE
	scratch_load_b64 v[3:4], off, off offset:184
	s_mov_b32 s0, exec_lo
	s_wait_loadcnt 0x0
	ds_store_b64 v1, v[3:4]
	s_wait_dscnt 0x0
	s_barrier_signal -1
	s_barrier_wait -1
	global_inv scope:SCOPE_SE
	v_cmpx_gt_u32_e32 23, v0
	s_cbranch_execz .LBB101_107
; %bb.104:
	v_dual_mov_b32 v3, 0 :: v_dual_add_nc_u32 v4, -1, v0
	v_dual_mov_b32 v6, v7 :: v_dual_add_nc_u32 v5, 0x130, v7
	v_mov_b32_e32 v9, 0
	s_mov_b32 s1, 0
.LBB101_105:                            ; =>This Inner Loop Header: Depth=1
	scratch_load_b64 v[10:11], v6, off
	ds_load_b64 v[12:13], v5
	v_add_nc_u32_e32 v4, 1, v4
	v_add_nc_u32_e32 v5, 8, v5
	s_delay_alu instid0(VALU_DEP_2)
	v_cmp_lt_u32_e32 vcc_lo, 21, v4
	s_wait_alu 0xfffe
	s_or_b32 s1, vcc_lo, s1
	s_wait_loadcnt_dscnt 0x0
	v_mul_f32_e32 v14, v13, v11
	v_mul_f32_e32 v11, v12, v11
	s_delay_alu instid0(VALU_DEP_2) | instskip(NEXT) | instid1(VALU_DEP_2)
	v_fma_f32 v12, v12, v10, -v14
	v_fmac_f32_e32 v11, v13, v10
	s_delay_alu instid0(VALU_DEP_2) | instskip(NEXT) | instid1(VALU_DEP_2)
	v_dual_add_f32 v9, v9, v12 :: v_dual_add_nc_u32 v6, 8, v6
	v_add_f32_e32 v3, v3, v11
	s_wait_alu 0xfffe
	s_and_not1_b32 exec_lo, exec_lo, s1
	s_cbranch_execnz .LBB101_105
; %bb.106:
	s_or_b32 exec_lo, exec_lo, s1
	v_mov_b32_e32 v4, 0
	ds_load_b64 v[4:5], v4 offset:184
	s_wait_dscnt 0x0
	v_mul_f32_e32 v10, v3, v5
	v_mul_f32_e32 v6, v9, v5
	s_delay_alu instid0(VALU_DEP_2) | instskip(NEXT) | instid1(VALU_DEP_2)
	v_fma_f32 v5, v9, v4, -v10
	v_fmac_f32_e32 v6, v3, v4
	scratch_store_b64 off, v[5:6], off offset:184
.LBB101_107:
	s_wait_alu 0xfffe
	s_or_b32 exec_lo, exec_lo, s0
	s_wait_loadcnt 0x0
	s_wait_storecnt 0x0
	s_barrier_signal -1
	s_barrier_wait -1
	global_inv scope:SCOPE_SE
	scratch_load_b64 v[3:4], off, off offset:192
	s_mov_b32 s0, exec_lo
	s_wait_loadcnt 0x0
	ds_store_b64 v1, v[3:4]
	s_wait_dscnt 0x0
	s_barrier_signal -1
	s_barrier_wait -1
	global_inv scope:SCOPE_SE
	v_cmpx_gt_u32_e32 24, v0
	s_cbranch_execz .LBB101_111
; %bb.108:
	v_dual_mov_b32 v3, 0 :: v_dual_add_nc_u32 v4, -1, v0
	v_dual_mov_b32 v6, v7 :: v_dual_add_nc_u32 v5, 0x130, v7
	v_mov_b32_e32 v9, 0
	s_mov_b32 s1, 0
.LBB101_109:                            ; =>This Inner Loop Header: Depth=1
	scratch_load_b64 v[10:11], v6, off
	ds_load_b64 v[12:13], v5
	v_add_nc_u32_e32 v4, 1, v4
	v_add_nc_u32_e32 v5, 8, v5
	s_delay_alu instid0(VALU_DEP_2)
	v_cmp_lt_u32_e32 vcc_lo, 22, v4
	s_wait_alu 0xfffe
	s_or_b32 s1, vcc_lo, s1
	s_wait_loadcnt_dscnt 0x0
	v_mul_f32_e32 v14, v13, v11
	v_mul_f32_e32 v11, v12, v11
	s_delay_alu instid0(VALU_DEP_2) | instskip(NEXT) | instid1(VALU_DEP_2)
	v_fma_f32 v12, v12, v10, -v14
	v_fmac_f32_e32 v11, v13, v10
	s_delay_alu instid0(VALU_DEP_2) | instskip(NEXT) | instid1(VALU_DEP_2)
	v_dual_add_f32 v9, v9, v12 :: v_dual_add_nc_u32 v6, 8, v6
	v_add_f32_e32 v3, v3, v11
	s_wait_alu 0xfffe
	s_and_not1_b32 exec_lo, exec_lo, s1
	s_cbranch_execnz .LBB101_109
; %bb.110:
	s_or_b32 exec_lo, exec_lo, s1
	v_mov_b32_e32 v4, 0
	ds_load_b64 v[4:5], v4 offset:192
	s_wait_dscnt 0x0
	v_mul_f32_e32 v10, v3, v5
	v_mul_f32_e32 v6, v9, v5
	s_delay_alu instid0(VALU_DEP_2) | instskip(NEXT) | instid1(VALU_DEP_2)
	v_fma_f32 v5, v9, v4, -v10
	v_fmac_f32_e32 v6, v3, v4
	scratch_store_b64 off, v[5:6], off offset:192
.LBB101_111:
	s_wait_alu 0xfffe
	s_or_b32 exec_lo, exec_lo, s0
	s_wait_loadcnt 0x0
	s_wait_storecnt 0x0
	s_barrier_signal -1
	s_barrier_wait -1
	global_inv scope:SCOPE_SE
	scratch_load_b64 v[3:4], off, off offset:200
	s_mov_b32 s0, exec_lo
	s_wait_loadcnt 0x0
	ds_store_b64 v1, v[3:4]
	s_wait_dscnt 0x0
	s_barrier_signal -1
	s_barrier_wait -1
	global_inv scope:SCOPE_SE
	v_cmpx_gt_u32_e32 25, v0
	s_cbranch_execz .LBB101_115
; %bb.112:
	v_dual_mov_b32 v3, 0 :: v_dual_add_nc_u32 v4, -1, v0
	v_dual_mov_b32 v6, v7 :: v_dual_add_nc_u32 v5, 0x130, v7
	v_mov_b32_e32 v9, 0
	s_mov_b32 s1, 0
.LBB101_113:                            ; =>This Inner Loop Header: Depth=1
	scratch_load_b64 v[10:11], v6, off
	ds_load_b64 v[12:13], v5
	v_add_nc_u32_e32 v4, 1, v4
	v_add_nc_u32_e32 v5, 8, v5
	s_delay_alu instid0(VALU_DEP_2)
	v_cmp_lt_u32_e32 vcc_lo, 23, v4
	s_wait_alu 0xfffe
	s_or_b32 s1, vcc_lo, s1
	s_wait_loadcnt_dscnt 0x0
	v_mul_f32_e32 v14, v13, v11
	v_mul_f32_e32 v11, v12, v11
	s_delay_alu instid0(VALU_DEP_2) | instskip(NEXT) | instid1(VALU_DEP_2)
	v_fma_f32 v12, v12, v10, -v14
	v_fmac_f32_e32 v11, v13, v10
	s_delay_alu instid0(VALU_DEP_2) | instskip(NEXT) | instid1(VALU_DEP_2)
	v_dual_add_f32 v9, v9, v12 :: v_dual_add_nc_u32 v6, 8, v6
	v_add_f32_e32 v3, v3, v11
	s_wait_alu 0xfffe
	s_and_not1_b32 exec_lo, exec_lo, s1
	s_cbranch_execnz .LBB101_113
; %bb.114:
	s_or_b32 exec_lo, exec_lo, s1
	v_mov_b32_e32 v4, 0
	ds_load_b64 v[4:5], v4 offset:200
	s_wait_dscnt 0x0
	v_mul_f32_e32 v10, v3, v5
	v_mul_f32_e32 v6, v9, v5
	s_delay_alu instid0(VALU_DEP_2) | instskip(NEXT) | instid1(VALU_DEP_2)
	v_fma_f32 v5, v9, v4, -v10
	v_fmac_f32_e32 v6, v3, v4
	scratch_store_b64 off, v[5:6], off offset:200
.LBB101_115:
	s_wait_alu 0xfffe
	s_or_b32 exec_lo, exec_lo, s0
	s_wait_loadcnt 0x0
	s_wait_storecnt 0x0
	s_barrier_signal -1
	s_barrier_wait -1
	global_inv scope:SCOPE_SE
	scratch_load_b64 v[3:4], off, off offset:208
	s_mov_b32 s0, exec_lo
	s_wait_loadcnt 0x0
	ds_store_b64 v1, v[3:4]
	s_wait_dscnt 0x0
	s_barrier_signal -1
	s_barrier_wait -1
	global_inv scope:SCOPE_SE
	v_cmpx_gt_u32_e32 26, v0
	s_cbranch_execz .LBB101_119
; %bb.116:
	v_dual_mov_b32 v3, 0 :: v_dual_add_nc_u32 v4, -1, v0
	v_dual_mov_b32 v6, v7 :: v_dual_add_nc_u32 v5, 0x130, v7
	v_mov_b32_e32 v9, 0
	s_mov_b32 s1, 0
.LBB101_117:                            ; =>This Inner Loop Header: Depth=1
	scratch_load_b64 v[10:11], v6, off
	ds_load_b64 v[12:13], v5
	v_add_nc_u32_e32 v4, 1, v4
	v_add_nc_u32_e32 v5, 8, v5
	s_delay_alu instid0(VALU_DEP_2)
	v_cmp_lt_u32_e32 vcc_lo, 24, v4
	s_wait_alu 0xfffe
	s_or_b32 s1, vcc_lo, s1
	s_wait_loadcnt_dscnt 0x0
	v_mul_f32_e32 v14, v13, v11
	v_mul_f32_e32 v11, v12, v11
	s_delay_alu instid0(VALU_DEP_2) | instskip(NEXT) | instid1(VALU_DEP_2)
	v_fma_f32 v12, v12, v10, -v14
	v_fmac_f32_e32 v11, v13, v10
	s_delay_alu instid0(VALU_DEP_2) | instskip(NEXT) | instid1(VALU_DEP_2)
	v_dual_add_f32 v9, v9, v12 :: v_dual_add_nc_u32 v6, 8, v6
	v_add_f32_e32 v3, v3, v11
	s_wait_alu 0xfffe
	s_and_not1_b32 exec_lo, exec_lo, s1
	s_cbranch_execnz .LBB101_117
; %bb.118:
	s_or_b32 exec_lo, exec_lo, s1
	v_mov_b32_e32 v4, 0
	ds_load_b64 v[4:5], v4 offset:208
	s_wait_dscnt 0x0
	v_mul_f32_e32 v10, v3, v5
	v_mul_f32_e32 v6, v9, v5
	s_delay_alu instid0(VALU_DEP_2) | instskip(NEXT) | instid1(VALU_DEP_2)
	v_fma_f32 v5, v9, v4, -v10
	v_fmac_f32_e32 v6, v3, v4
	scratch_store_b64 off, v[5:6], off offset:208
.LBB101_119:
	s_wait_alu 0xfffe
	s_or_b32 exec_lo, exec_lo, s0
	s_wait_loadcnt 0x0
	s_wait_storecnt 0x0
	s_barrier_signal -1
	s_barrier_wait -1
	global_inv scope:SCOPE_SE
	scratch_load_b64 v[3:4], off, off offset:216
	s_mov_b32 s0, exec_lo
	s_wait_loadcnt 0x0
	ds_store_b64 v1, v[3:4]
	s_wait_dscnt 0x0
	s_barrier_signal -1
	s_barrier_wait -1
	global_inv scope:SCOPE_SE
	v_cmpx_gt_u32_e32 27, v0
	s_cbranch_execz .LBB101_123
; %bb.120:
	v_dual_mov_b32 v3, 0 :: v_dual_add_nc_u32 v4, -1, v0
	v_dual_mov_b32 v6, v7 :: v_dual_add_nc_u32 v5, 0x130, v7
	v_mov_b32_e32 v9, 0
	s_mov_b32 s1, 0
.LBB101_121:                            ; =>This Inner Loop Header: Depth=1
	scratch_load_b64 v[10:11], v6, off
	ds_load_b64 v[12:13], v5
	v_add_nc_u32_e32 v4, 1, v4
	v_add_nc_u32_e32 v5, 8, v5
	s_delay_alu instid0(VALU_DEP_2)
	v_cmp_lt_u32_e32 vcc_lo, 25, v4
	s_wait_alu 0xfffe
	s_or_b32 s1, vcc_lo, s1
	s_wait_loadcnt_dscnt 0x0
	v_mul_f32_e32 v14, v13, v11
	v_mul_f32_e32 v11, v12, v11
	s_delay_alu instid0(VALU_DEP_2) | instskip(NEXT) | instid1(VALU_DEP_2)
	v_fma_f32 v12, v12, v10, -v14
	v_fmac_f32_e32 v11, v13, v10
	s_delay_alu instid0(VALU_DEP_2) | instskip(NEXT) | instid1(VALU_DEP_2)
	v_dual_add_f32 v9, v9, v12 :: v_dual_add_nc_u32 v6, 8, v6
	v_add_f32_e32 v3, v3, v11
	s_wait_alu 0xfffe
	s_and_not1_b32 exec_lo, exec_lo, s1
	s_cbranch_execnz .LBB101_121
; %bb.122:
	s_or_b32 exec_lo, exec_lo, s1
	v_mov_b32_e32 v4, 0
	ds_load_b64 v[4:5], v4 offset:216
	s_wait_dscnt 0x0
	v_mul_f32_e32 v10, v3, v5
	v_mul_f32_e32 v6, v9, v5
	s_delay_alu instid0(VALU_DEP_2) | instskip(NEXT) | instid1(VALU_DEP_2)
	v_fma_f32 v5, v9, v4, -v10
	v_fmac_f32_e32 v6, v3, v4
	scratch_store_b64 off, v[5:6], off offset:216
.LBB101_123:
	s_wait_alu 0xfffe
	s_or_b32 exec_lo, exec_lo, s0
	s_wait_loadcnt 0x0
	s_wait_storecnt 0x0
	s_barrier_signal -1
	s_barrier_wait -1
	global_inv scope:SCOPE_SE
	scratch_load_b64 v[3:4], off, off offset:224
	s_mov_b32 s0, exec_lo
	s_wait_loadcnt 0x0
	ds_store_b64 v1, v[3:4]
	s_wait_dscnt 0x0
	s_barrier_signal -1
	s_barrier_wait -1
	global_inv scope:SCOPE_SE
	v_cmpx_gt_u32_e32 28, v0
	s_cbranch_execz .LBB101_127
; %bb.124:
	v_dual_mov_b32 v3, 0 :: v_dual_add_nc_u32 v4, -1, v0
	v_dual_mov_b32 v6, v7 :: v_dual_add_nc_u32 v5, 0x130, v7
	v_mov_b32_e32 v9, 0
	s_mov_b32 s1, 0
.LBB101_125:                            ; =>This Inner Loop Header: Depth=1
	scratch_load_b64 v[10:11], v6, off
	ds_load_b64 v[12:13], v5
	v_add_nc_u32_e32 v4, 1, v4
	v_add_nc_u32_e32 v5, 8, v5
	s_delay_alu instid0(VALU_DEP_2)
	v_cmp_lt_u32_e32 vcc_lo, 26, v4
	s_wait_alu 0xfffe
	s_or_b32 s1, vcc_lo, s1
	s_wait_loadcnt_dscnt 0x0
	v_mul_f32_e32 v14, v13, v11
	v_mul_f32_e32 v11, v12, v11
	s_delay_alu instid0(VALU_DEP_2) | instskip(NEXT) | instid1(VALU_DEP_2)
	v_fma_f32 v12, v12, v10, -v14
	v_fmac_f32_e32 v11, v13, v10
	s_delay_alu instid0(VALU_DEP_2) | instskip(NEXT) | instid1(VALU_DEP_2)
	v_dual_add_f32 v9, v9, v12 :: v_dual_add_nc_u32 v6, 8, v6
	v_add_f32_e32 v3, v3, v11
	s_wait_alu 0xfffe
	s_and_not1_b32 exec_lo, exec_lo, s1
	s_cbranch_execnz .LBB101_125
; %bb.126:
	s_or_b32 exec_lo, exec_lo, s1
	v_mov_b32_e32 v4, 0
	ds_load_b64 v[4:5], v4 offset:224
	s_wait_dscnt 0x0
	v_mul_f32_e32 v10, v3, v5
	v_mul_f32_e32 v6, v9, v5
	s_delay_alu instid0(VALU_DEP_2) | instskip(NEXT) | instid1(VALU_DEP_2)
	v_fma_f32 v5, v9, v4, -v10
	v_fmac_f32_e32 v6, v3, v4
	scratch_store_b64 off, v[5:6], off offset:224
.LBB101_127:
	s_wait_alu 0xfffe
	s_or_b32 exec_lo, exec_lo, s0
	s_wait_loadcnt 0x0
	s_wait_storecnt 0x0
	s_barrier_signal -1
	s_barrier_wait -1
	global_inv scope:SCOPE_SE
	scratch_load_b64 v[3:4], off, off offset:232
	s_mov_b32 s0, exec_lo
	s_wait_loadcnt 0x0
	ds_store_b64 v1, v[3:4]
	s_wait_dscnt 0x0
	s_barrier_signal -1
	s_barrier_wait -1
	global_inv scope:SCOPE_SE
	v_cmpx_gt_u32_e32 29, v0
	s_cbranch_execz .LBB101_131
; %bb.128:
	v_dual_mov_b32 v3, 0 :: v_dual_add_nc_u32 v4, -1, v0
	v_dual_mov_b32 v6, v7 :: v_dual_add_nc_u32 v5, 0x130, v7
	v_mov_b32_e32 v9, 0
	s_mov_b32 s1, 0
.LBB101_129:                            ; =>This Inner Loop Header: Depth=1
	scratch_load_b64 v[10:11], v6, off
	ds_load_b64 v[12:13], v5
	v_add_nc_u32_e32 v4, 1, v4
	v_add_nc_u32_e32 v5, 8, v5
	s_delay_alu instid0(VALU_DEP_2)
	v_cmp_lt_u32_e32 vcc_lo, 27, v4
	s_wait_alu 0xfffe
	s_or_b32 s1, vcc_lo, s1
	s_wait_loadcnt_dscnt 0x0
	v_mul_f32_e32 v14, v13, v11
	v_mul_f32_e32 v11, v12, v11
	s_delay_alu instid0(VALU_DEP_2) | instskip(NEXT) | instid1(VALU_DEP_2)
	v_fma_f32 v12, v12, v10, -v14
	v_fmac_f32_e32 v11, v13, v10
	s_delay_alu instid0(VALU_DEP_2) | instskip(NEXT) | instid1(VALU_DEP_2)
	v_dual_add_f32 v9, v9, v12 :: v_dual_add_nc_u32 v6, 8, v6
	v_add_f32_e32 v3, v3, v11
	s_wait_alu 0xfffe
	s_and_not1_b32 exec_lo, exec_lo, s1
	s_cbranch_execnz .LBB101_129
; %bb.130:
	s_or_b32 exec_lo, exec_lo, s1
	v_mov_b32_e32 v4, 0
	ds_load_b64 v[4:5], v4 offset:232
	s_wait_dscnt 0x0
	v_mul_f32_e32 v10, v3, v5
	v_mul_f32_e32 v6, v9, v5
	s_delay_alu instid0(VALU_DEP_2) | instskip(NEXT) | instid1(VALU_DEP_2)
	v_fma_f32 v5, v9, v4, -v10
	v_fmac_f32_e32 v6, v3, v4
	scratch_store_b64 off, v[5:6], off offset:232
.LBB101_131:
	s_wait_alu 0xfffe
	s_or_b32 exec_lo, exec_lo, s0
	s_wait_loadcnt 0x0
	s_wait_storecnt 0x0
	s_barrier_signal -1
	s_barrier_wait -1
	global_inv scope:SCOPE_SE
	scratch_load_b64 v[3:4], off, off offset:240
	s_mov_b32 s0, exec_lo
	s_wait_loadcnt 0x0
	ds_store_b64 v1, v[3:4]
	s_wait_dscnt 0x0
	s_barrier_signal -1
	s_barrier_wait -1
	global_inv scope:SCOPE_SE
	v_cmpx_gt_u32_e32 30, v0
	s_cbranch_execz .LBB101_135
; %bb.132:
	v_dual_mov_b32 v3, 0 :: v_dual_add_nc_u32 v4, -1, v0
	v_dual_mov_b32 v6, v7 :: v_dual_add_nc_u32 v5, 0x130, v7
	v_mov_b32_e32 v9, 0
	s_mov_b32 s1, 0
.LBB101_133:                            ; =>This Inner Loop Header: Depth=1
	scratch_load_b64 v[10:11], v6, off
	ds_load_b64 v[12:13], v5
	v_add_nc_u32_e32 v4, 1, v4
	v_add_nc_u32_e32 v5, 8, v5
	s_delay_alu instid0(VALU_DEP_2)
	v_cmp_lt_u32_e32 vcc_lo, 28, v4
	s_wait_alu 0xfffe
	s_or_b32 s1, vcc_lo, s1
	s_wait_loadcnt_dscnt 0x0
	v_mul_f32_e32 v14, v13, v11
	v_mul_f32_e32 v11, v12, v11
	s_delay_alu instid0(VALU_DEP_2) | instskip(NEXT) | instid1(VALU_DEP_2)
	v_fma_f32 v12, v12, v10, -v14
	v_fmac_f32_e32 v11, v13, v10
	s_delay_alu instid0(VALU_DEP_2) | instskip(NEXT) | instid1(VALU_DEP_2)
	v_dual_add_f32 v9, v9, v12 :: v_dual_add_nc_u32 v6, 8, v6
	v_add_f32_e32 v3, v3, v11
	s_wait_alu 0xfffe
	s_and_not1_b32 exec_lo, exec_lo, s1
	s_cbranch_execnz .LBB101_133
; %bb.134:
	s_or_b32 exec_lo, exec_lo, s1
	v_mov_b32_e32 v4, 0
	ds_load_b64 v[4:5], v4 offset:240
	s_wait_dscnt 0x0
	v_mul_f32_e32 v10, v3, v5
	v_mul_f32_e32 v6, v9, v5
	s_delay_alu instid0(VALU_DEP_2) | instskip(NEXT) | instid1(VALU_DEP_2)
	v_fma_f32 v5, v9, v4, -v10
	v_fmac_f32_e32 v6, v3, v4
	scratch_store_b64 off, v[5:6], off offset:240
.LBB101_135:
	s_wait_alu 0xfffe
	s_or_b32 exec_lo, exec_lo, s0
	s_wait_loadcnt 0x0
	s_wait_storecnt 0x0
	s_barrier_signal -1
	s_barrier_wait -1
	global_inv scope:SCOPE_SE
	scratch_load_b64 v[3:4], off, off offset:248
	s_mov_b32 s0, exec_lo
	s_wait_loadcnt 0x0
	ds_store_b64 v1, v[3:4]
	s_wait_dscnt 0x0
	s_barrier_signal -1
	s_barrier_wait -1
	global_inv scope:SCOPE_SE
	v_cmpx_gt_u32_e32 31, v0
	s_cbranch_execz .LBB101_139
; %bb.136:
	v_dual_mov_b32 v3, 0 :: v_dual_add_nc_u32 v4, -1, v0
	v_dual_mov_b32 v6, v7 :: v_dual_add_nc_u32 v5, 0x130, v7
	v_mov_b32_e32 v9, 0
	s_mov_b32 s1, 0
.LBB101_137:                            ; =>This Inner Loop Header: Depth=1
	scratch_load_b64 v[10:11], v6, off
	ds_load_b64 v[12:13], v5
	v_add_nc_u32_e32 v4, 1, v4
	v_add_nc_u32_e32 v5, 8, v5
	s_delay_alu instid0(VALU_DEP_2)
	v_cmp_lt_u32_e32 vcc_lo, 29, v4
	s_wait_alu 0xfffe
	s_or_b32 s1, vcc_lo, s1
	s_wait_loadcnt_dscnt 0x0
	v_mul_f32_e32 v14, v13, v11
	v_mul_f32_e32 v11, v12, v11
	s_delay_alu instid0(VALU_DEP_2) | instskip(NEXT) | instid1(VALU_DEP_2)
	v_fma_f32 v12, v12, v10, -v14
	v_fmac_f32_e32 v11, v13, v10
	s_delay_alu instid0(VALU_DEP_2) | instskip(NEXT) | instid1(VALU_DEP_2)
	v_dual_add_f32 v9, v9, v12 :: v_dual_add_nc_u32 v6, 8, v6
	v_add_f32_e32 v3, v3, v11
	s_wait_alu 0xfffe
	s_and_not1_b32 exec_lo, exec_lo, s1
	s_cbranch_execnz .LBB101_137
; %bb.138:
	s_or_b32 exec_lo, exec_lo, s1
	v_mov_b32_e32 v4, 0
	ds_load_b64 v[4:5], v4 offset:248
	s_wait_dscnt 0x0
	v_mul_f32_e32 v10, v3, v5
	v_mul_f32_e32 v6, v9, v5
	s_delay_alu instid0(VALU_DEP_2) | instskip(NEXT) | instid1(VALU_DEP_2)
	v_fma_f32 v5, v9, v4, -v10
	v_fmac_f32_e32 v6, v3, v4
	scratch_store_b64 off, v[5:6], off offset:248
.LBB101_139:
	s_wait_alu 0xfffe
	s_or_b32 exec_lo, exec_lo, s0
	s_wait_loadcnt 0x0
	s_wait_storecnt 0x0
	s_barrier_signal -1
	s_barrier_wait -1
	global_inv scope:SCOPE_SE
	scratch_load_b64 v[3:4], off, off offset:256
	s_mov_b32 s0, exec_lo
	s_wait_loadcnt 0x0
	ds_store_b64 v1, v[3:4]
	s_wait_dscnt 0x0
	s_barrier_signal -1
	s_barrier_wait -1
	global_inv scope:SCOPE_SE
	v_cmpx_gt_u32_e32 32, v0
	s_cbranch_execz .LBB101_143
; %bb.140:
	v_dual_mov_b32 v3, 0 :: v_dual_add_nc_u32 v4, -1, v0
	v_dual_mov_b32 v6, v7 :: v_dual_add_nc_u32 v5, 0x130, v7
	v_mov_b32_e32 v9, 0
	s_mov_b32 s1, 0
.LBB101_141:                            ; =>This Inner Loop Header: Depth=1
	scratch_load_b64 v[10:11], v6, off
	ds_load_b64 v[12:13], v5
	v_add_nc_u32_e32 v4, 1, v4
	v_add_nc_u32_e32 v5, 8, v5
	s_delay_alu instid0(VALU_DEP_2)
	v_cmp_lt_u32_e32 vcc_lo, 30, v4
	s_wait_alu 0xfffe
	s_or_b32 s1, vcc_lo, s1
	s_wait_loadcnt_dscnt 0x0
	v_mul_f32_e32 v14, v13, v11
	v_mul_f32_e32 v11, v12, v11
	s_delay_alu instid0(VALU_DEP_2) | instskip(NEXT) | instid1(VALU_DEP_2)
	v_fma_f32 v12, v12, v10, -v14
	v_fmac_f32_e32 v11, v13, v10
	s_delay_alu instid0(VALU_DEP_2) | instskip(NEXT) | instid1(VALU_DEP_2)
	v_dual_add_f32 v9, v9, v12 :: v_dual_add_nc_u32 v6, 8, v6
	v_add_f32_e32 v3, v3, v11
	s_wait_alu 0xfffe
	s_and_not1_b32 exec_lo, exec_lo, s1
	s_cbranch_execnz .LBB101_141
; %bb.142:
	s_or_b32 exec_lo, exec_lo, s1
	v_mov_b32_e32 v4, 0
	ds_load_b64 v[4:5], v4 offset:256
	s_wait_dscnt 0x0
	v_mul_f32_e32 v10, v3, v5
	v_mul_f32_e32 v6, v9, v5
	s_delay_alu instid0(VALU_DEP_2) | instskip(NEXT) | instid1(VALU_DEP_2)
	v_fma_f32 v5, v9, v4, -v10
	v_fmac_f32_e32 v6, v3, v4
	scratch_store_b64 off, v[5:6], off offset:256
.LBB101_143:
	s_wait_alu 0xfffe
	s_or_b32 exec_lo, exec_lo, s0
	s_wait_loadcnt 0x0
	s_wait_storecnt 0x0
	s_barrier_signal -1
	s_barrier_wait -1
	global_inv scope:SCOPE_SE
	scratch_load_b64 v[3:4], off, off offset:264
	s_mov_b32 s0, exec_lo
	s_wait_loadcnt 0x0
	ds_store_b64 v1, v[3:4]
	s_wait_dscnt 0x0
	s_barrier_signal -1
	s_barrier_wait -1
	global_inv scope:SCOPE_SE
	v_cmpx_gt_u32_e32 33, v0
	s_cbranch_execz .LBB101_147
; %bb.144:
	v_dual_mov_b32 v3, 0 :: v_dual_add_nc_u32 v4, -1, v0
	v_dual_mov_b32 v6, v7 :: v_dual_add_nc_u32 v5, 0x130, v7
	v_mov_b32_e32 v9, 0
	s_mov_b32 s1, 0
.LBB101_145:                            ; =>This Inner Loop Header: Depth=1
	scratch_load_b64 v[10:11], v6, off
	ds_load_b64 v[12:13], v5
	v_add_nc_u32_e32 v4, 1, v4
	v_add_nc_u32_e32 v5, 8, v5
	s_delay_alu instid0(VALU_DEP_2)
	v_cmp_lt_u32_e32 vcc_lo, 31, v4
	s_wait_alu 0xfffe
	s_or_b32 s1, vcc_lo, s1
	s_wait_loadcnt_dscnt 0x0
	v_mul_f32_e32 v14, v13, v11
	v_mul_f32_e32 v11, v12, v11
	s_delay_alu instid0(VALU_DEP_2) | instskip(NEXT) | instid1(VALU_DEP_2)
	v_fma_f32 v12, v12, v10, -v14
	v_fmac_f32_e32 v11, v13, v10
	s_delay_alu instid0(VALU_DEP_2) | instskip(NEXT) | instid1(VALU_DEP_2)
	v_dual_add_f32 v9, v9, v12 :: v_dual_add_nc_u32 v6, 8, v6
	v_add_f32_e32 v3, v3, v11
	s_wait_alu 0xfffe
	s_and_not1_b32 exec_lo, exec_lo, s1
	s_cbranch_execnz .LBB101_145
; %bb.146:
	s_or_b32 exec_lo, exec_lo, s1
	v_mov_b32_e32 v4, 0
	ds_load_b64 v[4:5], v4 offset:264
	s_wait_dscnt 0x0
	v_mul_f32_e32 v10, v3, v5
	v_mul_f32_e32 v6, v9, v5
	s_delay_alu instid0(VALU_DEP_2) | instskip(NEXT) | instid1(VALU_DEP_2)
	v_fma_f32 v5, v9, v4, -v10
	v_fmac_f32_e32 v6, v3, v4
	scratch_store_b64 off, v[5:6], off offset:264
.LBB101_147:
	s_wait_alu 0xfffe
	s_or_b32 exec_lo, exec_lo, s0
	s_wait_loadcnt 0x0
	s_wait_storecnt 0x0
	s_barrier_signal -1
	s_barrier_wait -1
	global_inv scope:SCOPE_SE
	scratch_load_b64 v[3:4], off, off offset:272
	s_mov_b32 s0, exec_lo
	s_wait_loadcnt 0x0
	ds_store_b64 v1, v[3:4]
	s_wait_dscnt 0x0
	s_barrier_signal -1
	s_barrier_wait -1
	global_inv scope:SCOPE_SE
	v_cmpx_gt_u32_e32 34, v0
	s_cbranch_execz .LBB101_151
; %bb.148:
	v_dual_mov_b32 v3, 0 :: v_dual_add_nc_u32 v4, -1, v0
	v_dual_mov_b32 v6, v7 :: v_dual_add_nc_u32 v5, 0x130, v7
	v_mov_b32_e32 v9, 0
	s_mov_b32 s1, 0
.LBB101_149:                            ; =>This Inner Loop Header: Depth=1
	scratch_load_b64 v[10:11], v6, off
	ds_load_b64 v[12:13], v5
	v_add_nc_u32_e32 v4, 1, v4
	v_add_nc_u32_e32 v5, 8, v5
	s_delay_alu instid0(VALU_DEP_2)
	v_cmp_lt_u32_e32 vcc_lo, 32, v4
	s_wait_alu 0xfffe
	s_or_b32 s1, vcc_lo, s1
	s_wait_loadcnt_dscnt 0x0
	v_mul_f32_e32 v14, v13, v11
	v_mul_f32_e32 v11, v12, v11
	s_delay_alu instid0(VALU_DEP_2) | instskip(NEXT) | instid1(VALU_DEP_2)
	v_fma_f32 v12, v12, v10, -v14
	v_fmac_f32_e32 v11, v13, v10
	s_delay_alu instid0(VALU_DEP_2) | instskip(NEXT) | instid1(VALU_DEP_2)
	v_dual_add_f32 v9, v9, v12 :: v_dual_add_nc_u32 v6, 8, v6
	v_add_f32_e32 v3, v3, v11
	s_wait_alu 0xfffe
	s_and_not1_b32 exec_lo, exec_lo, s1
	s_cbranch_execnz .LBB101_149
; %bb.150:
	s_or_b32 exec_lo, exec_lo, s1
	v_mov_b32_e32 v4, 0
	ds_load_b64 v[4:5], v4 offset:272
	s_wait_dscnt 0x0
	v_mul_f32_e32 v10, v3, v5
	v_mul_f32_e32 v6, v9, v5
	s_delay_alu instid0(VALU_DEP_2) | instskip(NEXT) | instid1(VALU_DEP_2)
	v_fma_f32 v5, v9, v4, -v10
	v_fmac_f32_e32 v6, v3, v4
	scratch_store_b64 off, v[5:6], off offset:272
.LBB101_151:
	s_wait_alu 0xfffe
	s_or_b32 exec_lo, exec_lo, s0
	s_wait_loadcnt 0x0
	s_wait_storecnt 0x0
	s_barrier_signal -1
	s_barrier_wait -1
	global_inv scope:SCOPE_SE
	scratch_load_b64 v[3:4], off, off offset:280
	s_mov_b32 s0, exec_lo
	s_wait_loadcnt 0x0
	ds_store_b64 v1, v[3:4]
	s_wait_dscnt 0x0
	s_barrier_signal -1
	s_barrier_wait -1
	global_inv scope:SCOPE_SE
	v_cmpx_gt_u32_e32 35, v0
	s_cbranch_execz .LBB101_155
; %bb.152:
	v_dual_mov_b32 v3, 0 :: v_dual_add_nc_u32 v4, -1, v0
	v_dual_mov_b32 v6, v7 :: v_dual_add_nc_u32 v5, 0x130, v7
	v_mov_b32_e32 v9, 0
	s_mov_b32 s1, 0
.LBB101_153:                            ; =>This Inner Loop Header: Depth=1
	scratch_load_b64 v[10:11], v6, off
	ds_load_b64 v[12:13], v5
	v_add_nc_u32_e32 v4, 1, v4
	v_add_nc_u32_e32 v5, 8, v5
	s_delay_alu instid0(VALU_DEP_2)
	v_cmp_lt_u32_e32 vcc_lo, 33, v4
	s_wait_alu 0xfffe
	s_or_b32 s1, vcc_lo, s1
	s_wait_loadcnt_dscnt 0x0
	v_mul_f32_e32 v14, v13, v11
	v_mul_f32_e32 v11, v12, v11
	s_delay_alu instid0(VALU_DEP_2) | instskip(NEXT) | instid1(VALU_DEP_2)
	v_fma_f32 v12, v12, v10, -v14
	v_fmac_f32_e32 v11, v13, v10
	s_delay_alu instid0(VALU_DEP_2) | instskip(NEXT) | instid1(VALU_DEP_2)
	v_dual_add_f32 v9, v9, v12 :: v_dual_add_nc_u32 v6, 8, v6
	v_add_f32_e32 v3, v3, v11
	s_wait_alu 0xfffe
	s_and_not1_b32 exec_lo, exec_lo, s1
	s_cbranch_execnz .LBB101_153
; %bb.154:
	s_or_b32 exec_lo, exec_lo, s1
	v_mov_b32_e32 v4, 0
	ds_load_b64 v[4:5], v4 offset:280
	s_wait_dscnt 0x0
	v_mul_f32_e32 v10, v3, v5
	v_mul_f32_e32 v6, v9, v5
	s_delay_alu instid0(VALU_DEP_2) | instskip(NEXT) | instid1(VALU_DEP_2)
	v_fma_f32 v5, v9, v4, -v10
	v_fmac_f32_e32 v6, v3, v4
	scratch_store_b64 off, v[5:6], off offset:280
.LBB101_155:
	s_wait_alu 0xfffe
	s_or_b32 exec_lo, exec_lo, s0
	s_wait_loadcnt 0x0
	s_wait_storecnt 0x0
	s_barrier_signal -1
	s_barrier_wait -1
	global_inv scope:SCOPE_SE
	scratch_load_b64 v[3:4], off, off offset:288
	s_mov_b32 s0, exec_lo
	s_wait_loadcnt 0x0
	ds_store_b64 v1, v[3:4]
	s_wait_dscnt 0x0
	s_barrier_signal -1
	s_barrier_wait -1
	global_inv scope:SCOPE_SE
	v_cmpx_gt_u32_e32 36, v0
	s_cbranch_execz .LBB101_159
; %bb.156:
	v_dual_mov_b32 v3, 0 :: v_dual_add_nc_u32 v4, -1, v0
	v_dual_mov_b32 v6, v7 :: v_dual_add_nc_u32 v5, 0x130, v7
	v_mov_b32_e32 v7, 0
	s_mov_b32 s1, 0
.LBB101_157:                            ; =>This Inner Loop Header: Depth=1
	scratch_load_b64 v[9:10], v6, off
	ds_load_b64 v[11:12], v5
	v_add_nc_u32_e32 v6, 8, v6
	v_add_nc_u32_e32 v4, 1, v4
	v_add_nc_u32_e32 v5, 8, v5
	s_delay_alu instid0(VALU_DEP_2)
	v_cmp_lt_u32_e32 vcc_lo, 34, v4
	s_wait_alu 0xfffe
	s_or_b32 s1, vcc_lo, s1
	s_wait_loadcnt_dscnt 0x0
	v_mul_f32_e32 v13, v12, v10
	v_mul_f32_e32 v10, v11, v10
	s_delay_alu instid0(VALU_DEP_2) | instskip(NEXT) | instid1(VALU_DEP_1)
	v_fma_f32 v11, v11, v9, -v13
	v_dual_fmac_f32 v10, v12, v9 :: v_dual_add_f32 v7, v7, v11
	s_delay_alu instid0(VALU_DEP_1)
	v_add_f32_e32 v3, v3, v10
	s_wait_alu 0xfffe
	s_and_not1_b32 exec_lo, exec_lo, s1
	s_cbranch_execnz .LBB101_157
; %bb.158:
	s_or_b32 exec_lo, exec_lo, s1
	v_mov_b32_e32 v4, 0
	ds_load_b64 v[4:5], v4 offset:288
	s_wait_dscnt 0x0
	v_mul_f32_e32 v9, v3, v5
	v_mul_f32_e32 v6, v7, v5
	s_delay_alu instid0(VALU_DEP_2) | instskip(NEXT) | instid1(VALU_DEP_2)
	v_fma_f32 v5, v7, v4, -v9
	v_fmac_f32_e32 v6, v3, v4
	scratch_store_b64 off, v[5:6], off offset:288
.LBB101_159:
	s_wait_alu 0xfffe
	s_or_b32 exec_lo, exec_lo, s0
	s_wait_loadcnt 0x0
	s_wait_storecnt 0x0
	s_barrier_signal -1
	s_barrier_wait -1
	global_inv scope:SCOPE_SE
	scratch_load_b64 v[3:4], off, off offset:296
	s_mov_b32 s0, exec_lo
	s_wait_loadcnt 0x0
	ds_store_b64 v1, v[3:4]
	s_wait_dscnt 0x0
	s_barrier_signal -1
	s_barrier_wait -1
	global_inv scope:SCOPE_SE
	v_cmpx_ne_u32_e32 37, v0
	s_cbranch_execz .LBB101_163
; %bb.160:
	v_dual_mov_b32 v3, 0 :: v_dual_mov_b32 v4, 0
	s_mov_b32 s1, 0
.LBB101_161:                            ; =>This Inner Loop Header: Depth=1
	scratch_load_b64 v[5:6], v8, off
	ds_load_b64 v[9:10], v1
	v_add_nc_u32_e32 v2, 1, v2
	v_add_nc_u32_e32 v1, 8, v1
	;; [unrolled: 1-line block ×3, first 2 shown]
	s_delay_alu instid0(VALU_DEP_3)
	v_cmp_lt_u32_e32 vcc_lo, 35, v2
	s_wait_alu 0xfffe
	s_or_b32 s1, vcc_lo, s1
	s_wait_loadcnt_dscnt 0x0
	v_mul_f32_e32 v7, v10, v6
	v_mul_f32_e32 v6, v9, v6
	s_delay_alu instid0(VALU_DEP_2) | instskip(NEXT) | instid1(VALU_DEP_2)
	v_fma_f32 v7, v9, v5, -v7
	v_fmac_f32_e32 v6, v10, v5
	s_delay_alu instid0(VALU_DEP_1)
	v_dual_add_f32 v4, v4, v7 :: v_dual_add_f32 v3, v3, v6
	s_wait_alu 0xfffe
	s_and_not1_b32 exec_lo, exec_lo, s1
	s_cbranch_execnz .LBB101_161
; %bb.162:
	s_or_b32 exec_lo, exec_lo, s1
	v_mov_b32_e32 v1, 0
	ds_load_b64 v[1:2], v1 offset:296
	s_wait_dscnt 0x0
	v_mul_f32_e32 v6, v3, v2
	v_mul_f32_e32 v5, v4, v2
	s_delay_alu instid0(VALU_DEP_2) | instskip(NEXT) | instid1(VALU_DEP_2)
	v_fma_f32 v4, v4, v1, -v6
	v_fmac_f32_e32 v5, v3, v1
	scratch_store_b64 off, v[4:5], off offset:296
.LBB101_163:
	s_wait_alu 0xfffe
	s_or_b32 exec_lo, exec_lo, s0
	s_mov_b32 s1, -1
	s_wait_loadcnt 0x0
	s_wait_storecnt 0x0
	s_barrier_signal -1
	s_barrier_wait -1
	global_inv scope:SCOPE_SE
.LBB101_164:
	s_wait_alu 0xfffe
	s_and_b32 vcc_lo, exec_lo, s1
	s_wait_alu 0xfffe
	s_cbranch_vccz .LBB101_166
; %bb.165:
	v_mov_b32_e32 v1, 0
	s_lshl_b64 s[0:1], s[8:9], 2
	s_wait_alu 0xfffe
	s_add_nc_u64 s[0:1], s[6:7], s[0:1]
	global_load_b32 v1, v1, s[0:1]
	s_wait_loadcnt 0x0
	v_cmp_ne_u32_e32 vcc_lo, 0, v1
	s_cbranch_vccz .LBB101_167
.LBB101_166:
	s_nop 0
	s_sendmsg sendmsg(MSG_DEALLOC_VGPRS)
	s_endpgm
.LBB101_167:
	v_lshl_add_u32 v23, v0, 3, 0x130
	s_mov_b32 s0, exec_lo
	v_cmpx_eq_u32_e32 37, v0
	s_cbranch_execz .LBB101_169
; %bb.168:
	scratch_load_b64 v[1:2], off, off offset:288
	v_mov_b32_e32 v3, 0
	s_delay_alu instid0(VALU_DEP_1)
	v_mov_b32_e32 v4, v3
	scratch_store_b64 off, v[3:4], off offset:288
	s_wait_loadcnt 0x0
	ds_store_b64 v23, v[1:2]
.LBB101_169:
	s_wait_alu 0xfffe
	s_or_b32 exec_lo, exec_lo, s0
	s_wait_storecnt_dscnt 0x0
	s_barrier_signal -1
	s_barrier_wait -1
	global_inv scope:SCOPE_SE
	s_clause 0x1
	scratch_load_b64 v[2:3], off, off offset:296
	scratch_load_b64 v[4:5], off, off offset:288
	v_mov_b32_e32 v1, 0
	s_mov_b32 s0, exec_lo
	ds_load_b64 v[6:7], v1 offset:600
	s_wait_loadcnt_dscnt 0x100
	v_mul_f32_e32 v8, v7, v3
	v_mul_f32_e32 v3, v6, v3
	s_delay_alu instid0(VALU_DEP_2) | instskip(NEXT) | instid1(VALU_DEP_2)
	v_fma_f32 v6, v6, v2, -v8
	v_fmac_f32_e32 v3, v7, v2
	s_delay_alu instid0(VALU_DEP_1) | instskip(SKIP_1) | instid1(VALU_DEP_1)
	v_dual_add_f32 v2, 0, v6 :: v_dual_add_f32 v3, 0, v3
	s_wait_loadcnt 0x0
	v_dual_sub_f32 v2, v4, v2 :: v_dual_sub_f32 v3, v5, v3
	scratch_store_b64 off, v[2:3], off offset:288
	v_cmpx_lt_u32_e32 35, v0
	s_cbranch_execz .LBB101_171
; %bb.170:
	scratch_load_b64 v[3:4], off, off offset:280
	v_mov_b32_e32 v2, v1
	scratch_store_b64 off, v[1:2], off offset:280
	s_wait_loadcnt 0x0
	ds_store_b64 v23, v[3:4]
.LBB101_171:
	s_wait_alu 0xfffe
	s_or_b32 exec_lo, exec_lo, s0
	s_wait_storecnt_dscnt 0x0
	s_barrier_signal -1
	s_barrier_wait -1
	global_inv scope:SCOPE_SE
	s_clause 0x1
	scratch_load_b128 v[2:5], off, off offset:288
	scratch_load_b64 v[10:11], off, off offset:280
	ds_load_b128 v[6:9], v1 offset:592
	s_mov_b32 s0, exec_lo
	s_wait_loadcnt_dscnt 0x100
	v_dual_mul_f32 v1, v7, v3 :: v_dual_mul_f32 v12, v8, v5
	v_mul_f32_e32 v3, v6, v3
	s_delay_alu instid0(VALU_DEP_2) | instskip(NEXT) | instid1(VALU_DEP_2)
	v_fma_f32 v1, v6, v2, -v1
	v_dual_fmac_f32 v12, v9, v4 :: v_dual_fmac_f32 v3, v7, v2
	s_delay_alu instid0(VALU_DEP_2) | instskip(NEXT) | instid1(VALU_DEP_2)
	v_add_f32_e32 v1, 0, v1
	v_add_f32_e32 v3, 0, v3
	v_mul_f32_e32 v5, v9, v5
	s_delay_alu instid0(VALU_DEP_1) | instskip(NEXT) | instid1(VALU_DEP_1)
	v_fma_f32 v2, v8, v4, -v5
	v_dual_add_f32 v1, v1, v2 :: v_dual_add_f32 v2, v3, v12
	s_wait_loadcnt 0x0
	s_delay_alu instid0(VALU_DEP_1)
	v_dual_sub_f32 v1, v10, v1 :: v_dual_sub_f32 v2, v11, v2
	scratch_store_b64 off, v[1:2], off offset:280
	v_cmpx_lt_u32_e32 34, v0
	s_cbranch_execz .LBB101_173
; %bb.172:
	scratch_load_b64 v[1:2], off, off offset:272
	v_mov_b32_e32 v3, 0
	s_delay_alu instid0(VALU_DEP_1)
	v_mov_b32_e32 v4, v3
	scratch_store_b64 off, v[3:4], off offset:272
	s_wait_loadcnt 0x0
	ds_store_b64 v23, v[1:2]
.LBB101_173:
	s_wait_alu 0xfffe
	s_or_b32 exec_lo, exec_lo, s0
	s_wait_storecnt_dscnt 0x0
	s_barrier_signal -1
	s_barrier_wait -1
	global_inv scope:SCOPE_SE
	s_clause 0x2
	scratch_load_b128 v[2:5], off, off offset:280
	scratch_load_b64 v[10:11], off, off offset:296
	scratch_load_b64 v[12:13], off, off offset:272
	v_mov_b32_e32 v1, 0
	ds_load_2addr_b64 v[6:9], v1 offset0:73 offset1:74
	ds_load_b64 v[14:15], v1 offset:600
	s_mov_b32 s0, exec_lo
	s_wait_loadcnt_dscnt 0x201
	v_dual_mul_f32 v16, v7, v3 :: v_dual_mul_f32 v17, v8, v5
	s_wait_loadcnt_dscnt 0x100
	v_mul_f32_e32 v18, v14, v11
	v_mul_f32_e32 v3, v6, v3
	;; [unrolled: 1-line block ×3, first 2 shown]
	v_fma_f32 v6, v6, v2, -v16
	s_delay_alu instid0(VALU_DEP_4) | instskip(NEXT) | instid1(VALU_DEP_4)
	v_fmac_f32_e32 v18, v15, v10
	v_fmac_f32_e32 v3, v7, v2
	v_mul_f32_e32 v2, v15, v11
	s_delay_alu instid0(VALU_DEP_1) | instskip(SKIP_3) | instid1(VALU_DEP_1)
	v_fma_f32 v2, v14, v10, -v2
	v_fmac_f32_e32 v17, v9, v4
	v_fma_f32 v4, v8, v4, -v5
	v_add_f32_e32 v5, 0, v6
	v_add_f32_e32 v4, v5, v4
	s_delay_alu instid0(VALU_DEP_1) | instskip(SKIP_1) | instid1(VALU_DEP_1)
	v_dual_add_f32 v2, v4, v2 :: v_dual_add_f32 v3, 0, v3
	s_wait_loadcnt 0x0
	v_dual_sub_f32 v2, v12, v2 :: v_dual_add_f32 v3, v3, v17
	s_delay_alu instid0(VALU_DEP_1) | instskip(NEXT) | instid1(VALU_DEP_1)
	v_add_f32_e32 v3, v3, v18
	v_sub_f32_e32 v3, v13, v3
	scratch_store_b64 off, v[2:3], off offset:272
	v_cmpx_lt_u32_e32 33, v0
	s_cbranch_execz .LBB101_175
; %bb.174:
	scratch_load_b64 v[3:4], off, off offset:264
	v_mov_b32_e32 v2, v1
	scratch_store_b64 off, v[1:2], off offset:264
	s_wait_loadcnt 0x0
	ds_store_b64 v23, v[3:4]
.LBB101_175:
	s_wait_alu 0xfffe
	s_or_b32 exec_lo, exec_lo, s0
	s_wait_storecnt_dscnt 0x0
	s_barrier_signal -1
	s_barrier_wait -1
	global_inv scope:SCOPE_SE
	s_clause 0x2
	scratch_load_b128 v[2:5], off, off offset:272
	scratch_load_b128 v[6:9], off, off offset:288
	scratch_load_b64 v[18:19], off, off offset:264
	ds_load_b128 v[10:13], v1 offset:576
	ds_load_b128 v[14:17], v1 offset:592
	s_mov_b32 s0, exec_lo
	s_wait_loadcnt_dscnt 0x201
	v_dual_mul_f32 v1, v10, v3 :: v_dual_mul_f32 v20, v12, v5
	s_wait_loadcnt_dscnt 0x100
	v_dual_mul_f32 v3, v11, v3 :: v_dual_mul_f32 v22, v16, v9
	v_mul_f32_e32 v5, v13, v5
	s_delay_alu instid0(VALU_DEP_3) | instskip(NEXT) | instid1(VALU_DEP_3)
	v_dual_mul_f32 v21, v14, v7 :: v_dual_fmac_f32 v20, v13, v4
	v_fma_f32 v3, v10, v2, -v3
	s_delay_alu instid0(VALU_DEP_4) | instskip(SKIP_2) | instid1(VALU_DEP_4)
	v_dual_fmac_f32 v1, v11, v2 :: v_dual_fmac_f32 v22, v17, v8
	v_mul_f32_e32 v2, v15, v7
	v_fma_f32 v4, v12, v4, -v5
	v_add_f32_e32 v3, 0, v3
	v_fmac_f32_e32 v21, v15, v6
	s_delay_alu instid0(VALU_DEP_4) | instskip(NEXT) | instid1(VALU_DEP_3)
	v_fma_f32 v2, v14, v6, -v2
	v_add_f32_e32 v3, v3, v4
	s_delay_alu instid0(VALU_DEP_1) | instskip(NEXT) | instid1(VALU_DEP_1)
	v_dual_add_f32 v1, 0, v1 :: v_dual_add_f32 v2, v3, v2
	v_add_f32_e32 v1, v1, v20
	s_delay_alu instid0(VALU_DEP_1) | instskip(NEXT) | instid1(VALU_DEP_1)
	v_add_f32_e32 v1, v1, v21
	v_add_f32_e32 v3, v1, v22
	v_mul_f32_e32 v5, v17, v9
	s_delay_alu instid0(VALU_DEP_1) | instskip(NEXT) | instid1(VALU_DEP_1)
	v_fma_f32 v4, v16, v8, -v5
	v_add_f32_e32 v2, v2, v4
	s_wait_loadcnt 0x0
	s_delay_alu instid0(VALU_DEP_1)
	v_dual_sub_f32 v1, v18, v2 :: v_dual_sub_f32 v2, v19, v3
	scratch_store_b64 off, v[1:2], off offset:264
	v_cmpx_lt_u32_e32 32, v0
	s_cbranch_execz .LBB101_177
; %bb.176:
	scratch_load_b64 v[1:2], off, off offset:256
	v_mov_b32_e32 v3, 0
	s_delay_alu instid0(VALU_DEP_1)
	v_mov_b32_e32 v4, v3
	scratch_store_b64 off, v[3:4], off offset:256
	s_wait_loadcnt 0x0
	ds_store_b64 v23, v[1:2]
.LBB101_177:
	s_wait_alu 0xfffe
	s_or_b32 exec_lo, exec_lo, s0
	s_wait_storecnt_dscnt 0x0
	s_barrier_signal -1
	s_barrier_wait -1
	global_inv scope:SCOPE_SE
	s_clause 0x3
	scratch_load_b128 v[2:5], off, off offset:264
	scratch_load_b128 v[6:9], off, off offset:280
	scratch_load_b64 v[18:19], off, off offset:296
	scratch_load_b64 v[20:21], off, off offset:256
	v_mov_b32_e32 v1, 0
	ds_load_2addr_b64 v[10:13], v1 offset0:71 offset1:72
	ds_load_2addr_b64 v[14:17], v1 offset0:73 offset1:74
	ds_load_b64 v[24:25], v1 offset:600
	s_mov_b32 s0, exec_lo
	s_wait_loadcnt_dscnt 0x302
	v_mul_f32_e32 v22, v10, v3
	v_dual_mul_f32 v26, v12, v5 :: v_dual_mul_f32 v3, v11, v3
	s_wait_loadcnt_dscnt 0x100
	v_mul_f32_e32 v105, v24, v19
	s_delay_alu instid0(VALU_DEP_3)
	v_dual_mul_f32 v5, v13, v5 :: v_dual_fmac_f32 v22, v11, v2
	v_dual_mul_f32 v27, v14, v7 :: v_dual_mul_f32 v104, v16, v9
	v_fma_f32 v3, v10, v2, -v3
	v_mul_f32_e32 v2, v15, v7
	v_fmac_f32_e32 v26, v13, v4
	v_fma_f32 v4, v12, v4, -v5
	v_dual_add_f32 v5, 0, v22 :: v_dual_fmac_f32 v104, v17, v8
	v_add_f32_e32 v3, 0, v3
	v_fma_f32 v2, v14, v6, -v2
	v_fmac_f32_e32 v27, v15, v6
	v_fmac_f32_e32 v105, v25, v18
	s_delay_alu instid0(VALU_DEP_4) | instskip(NEXT) | instid1(VALU_DEP_1)
	v_dual_add_f32 v3, v3, v4 :: v_dual_add_f32 v4, v5, v26
	v_dual_mul_f32 v7, v17, v9 :: v_dual_add_f32 v2, v3, v2
	s_delay_alu instid0(VALU_DEP_2) | instskip(NEXT) | instid1(VALU_DEP_2)
	v_add_f32_e32 v3, v4, v27
	v_fma_f32 v6, v16, v8, -v7
	s_delay_alu instid0(VALU_DEP_1) | instskip(NEXT) | instid1(VALU_DEP_1)
	v_dual_mul_f32 v5, v25, v19 :: v_dual_add_f32 v2, v2, v6
	v_fma_f32 v4, v24, v18, -v5
	s_delay_alu instid0(VALU_DEP_1) | instskip(SKIP_1) | instid1(VALU_DEP_1)
	v_add_f32_e32 v2, v2, v4
	s_wait_loadcnt 0x0
	v_dual_add_f32 v3, v3, v104 :: v_dual_sub_f32 v2, v20, v2
	s_delay_alu instid0(VALU_DEP_1) | instskip(NEXT) | instid1(VALU_DEP_1)
	v_add_f32_e32 v3, v3, v105
	v_sub_f32_e32 v3, v21, v3
	scratch_store_b64 off, v[2:3], off offset:256
	v_cmpx_lt_u32_e32 31, v0
	s_cbranch_execz .LBB101_179
; %bb.178:
	scratch_load_b64 v[3:4], off, off offset:248
	v_mov_b32_e32 v2, v1
	scratch_store_b64 off, v[1:2], off offset:248
	s_wait_loadcnt 0x0
	ds_store_b64 v23, v[3:4]
.LBB101_179:
	s_wait_alu 0xfffe
	s_or_b32 exec_lo, exec_lo, s0
	s_wait_storecnt_dscnt 0x0
	s_barrier_signal -1
	s_barrier_wait -1
	global_inv scope:SCOPE_SE
	s_clause 0x3
	scratch_load_b128 v[2:5], off, off offset:256
	scratch_load_b128 v[6:9], off, off offset:272
	;; [unrolled: 1-line block ×3, first 2 shown]
	scratch_load_b64 v[104:105], off, off offset:248
	ds_load_b128 v[14:17], v1 offset:560
	ds_load_b128 v[18:21], v1 offset:576
	;; [unrolled: 1-line block ×3, first 2 shown]
	s_mov_b32 s0, exec_lo
	s_wait_loadcnt_dscnt 0x302
	v_dual_mul_f32 v1, v14, v3 :: v_dual_mul_f32 v22, v16, v5
	v_mul_f32_e32 v3, v15, v3
	s_wait_loadcnt_dscnt 0x201
	v_dual_mul_f32 v5, v17, v5 :: v_dual_mul_f32 v106, v18, v7
	s_delay_alu instid0(VALU_DEP_3) | instskip(NEXT) | instid1(VALU_DEP_3)
	v_dual_mul_f32 v107, v20, v9 :: v_dual_fmac_f32 v22, v17, v4
	v_fma_f32 v3, v14, v2, -v3
	v_fmac_f32_e32 v1, v15, v2
	v_mul_f32_e32 v2, v19, v7
	v_fma_f32 v4, v16, v4, -v5
	s_wait_loadcnt_dscnt 0x100
	v_dual_mul_f32 v108, v24, v11 :: v_dual_mul_f32 v109, v26, v13
	v_dual_add_f32 v3, 0, v3 :: v_dual_fmac_f32 v106, v19, v6
	v_fma_f32 v2, v18, v6, -v2
	s_delay_alu instid0(VALU_DEP_3) | instskip(NEXT) | instid1(VALU_DEP_3)
	v_dual_fmac_f32 v108, v25, v10 :: v_dual_fmac_f32 v109, v27, v12
	v_dual_add_f32 v3, v3, v4 :: v_dual_mul_f32 v4, v25, v11
	s_delay_alu instid0(VALU_DEP_1) | instskip(NEXT) | instid1(VALU_DEP_2)
	v_dual_add_f32 v1, 0, v1 :: v_dual_add_f32 v2, v3, v2
	v_fma_f32 v4, v24, v10, -v4
	v_mul_f32_e32 v5, v21, v9
	v_mul_f32_e32 v3, v27, v13
	s_delay_alu instid0(VALU_DEP_2) | instskip(SKIP_1) | instid1(VALU_DEP_3)
	v_fma_f32 v5, v20, v8, -v5
	v_add_f32_e32 v1, v1, v22
	v_fma_f32 v3, v26, v12, -v3
	s_delay_alu instid0(VALU_DEP_2) | instskip(NEXT) | instid1(VALU_DEP_1)
	v_dual_add_f32 v2, v2, v5 :: v_dual_add_f32 v1, v1, v106
	v_add_f32_e32 v2, v2, v4
	s_delay_alu instid0(VALU_DEP_1) | instskip(NEXT) | instid1(VALU_DEP_1)
	v_dual_fmac_f32 v107, v21, v8 :: v_dual_add_f32 v2, v2, v3
	v_add_f32_e32 v1, v1, v107
	s_delay_alu instid0(VALU_DEP_1) | instskip(NEXT) | instid1(VALU_DEP_1)
	v_add_f32_e32 v1, v1, v108
	v_add_f32_e32 v3, v1, v109
	s_wait_loadcnt 0x0
	s_delay_alu instid0(VALU_DEP_1)
	v_dual_sub_f32 v1, v104, v2 :: v_dual_sub_f32 v2, v105, v3
	scratch_store_b64 off, v[1:2], off offset:248
	v_cmpx_lt_u32_e32 30, v0
	s_cbranch_execz .LBB101_181
; %bb.180:
	scratch_load_b64 v[1:2], off, off offset:240
	v_mov_b32_e32 v3, 0
	s_delay_alu instid0(VALU_DEP_1)
	v_mov_b32_e32 v4, v3
	scratch_store_b64 off, v[3:4], off offset:240
	s_wait_loadcnt 0x0
	ds_store_b64 v23, v[1:2]
.LBB101_181:
	s_wait_alu 0xfffe
	s_or_b32 exec_lo, exec_lo, s0
	s_wait_storecnt_dscnt 0x0
	s_barrier_signal -1
	s_barrier_wait -1
	global_inv scope:SCOPE_SE
	s_clause 0x4
	scratch_load_b128 v[2:5], off, off offset:248
	scratch_load_b128 v[6:9], off, off offset:264
	;; [unrolled: 1-line block ×3, first 2 shown]
	scratch_load_b64 v[104:105], off, off offset:296
	scratch_load_b64 v[106:107], off, off offset:240
	v_mov_b32_e32 v1, 0
	ds_load_2addr_b64 v[14:17], v1 offset0:69 offset1:70
	ds_load_2addr_b64 v[18:21], v1 offset0:71 offset1:72
	;; [unrolled: 1-line block ×3, first 2 shown]
	ds_load_b64 v[108:109], v1 offset:600
	s_mov_b32 s0, exec_lo
	s_wait_loadcnt_dscnt 0x403
	v_mul_f32_e32 v22, v14, v3
	s_wait_loadcnt_dscnt 0x302
	v_dual_mul_f32 v112, v20, v9 :: v_dual_mul_f32 v3, v15, v3
	v_dual_mul_f32 v110, v16, v5 :: v_dual_mul_f32 v111, v18, v7
	s_wait_loadcnt_dscnt 0x100
	v_dual_mul_f32 v115, v108, v105 :: v_dual_fmac_f32 v22, v15, v2
	v_mul_f32_e32 v5, v17, v5
	v_fma_f32 v3, v14, v2, -v3
	v_mul_f32_e32 v2, v19, v7
	v_fmac_f32_e32 v110, v17, v4
	v_fmac_f32_e32 v112, v21, v8
	v_fma_f32 v4, v16, v4, -v5
	v_add_f32_e32 v3, 0, v3
	v_add_f32_e32 v5, 0, v22
	v_fma_f32 v2, v18, v6, -v2
	v_fmac_f32_e32 v111, v19, v6
	v_dual_mul_f32 v113, v24, v11 :: v_dual_mul_f32 v114, v26, v13
	s_delay_alu instid0(VALU_DEP_4) | instskip(SKIP_1) | instid1(VALU_DEP_3)
	v_dual_add_f32 v3, v3, v4 :: v_dual_add_f32 v4, v5, v110
	v_mul_f32_e32 v7, v21, v9
	v_dual_mul_f32 v5, v25, v11 :: v_dual_fmac_f32 v114, v27, v12
	s_delay_alu instid0(VALU_DEP_3) | instskip(NEXT) | instid1(VALU_DEP_3)
	v_add_f32_e32 v2, v3, v2
	v_fma_f32 v6, v20, v8, -v7
	s_delay_alu instid0(VALU_DEP_1) | instskip(SKIP_3) | instid1(VALU_DEP_3)
	v_add_f32_e32 v2, v2, v6
	v_dual_mul_f32 v6, v109, v105 :: v_dual_add_f32 v3, v4, v111
	v_mul_f32_e32 v4, v27, v13
	v_fma_f32 v5, v24, v10, -v5
	v_add_f32_e32 v3, v3, v112
	s_delay_alu instid0(VALU_DEP_2) | instskip(NEXT) | instid1(VALU_DEP_4)
	v_dual_fmac_f32 v113, v25, v10 :: v_dual_add_f32 v2, v2, v5
	v_fma_f32 v4, v26, v12, -v4
	v_fma_f32 v5, v108, v104, -v6
	s_delay_alu instid0(VALU_DEP_2) | instskip(SKIP_1) | instid1(VALU_DEP_2)
	v_dual_add_f32 v3, v3, v113 :: v_dual_add_f32 v2, v2, v4
	v_fmac_f32_e32 v115, v109, v104
	v_dual_add_f32 v3, v3, v114 :: v_dual_add_f32 v2, v2, v5
	s_wait_loadcnt 0x0
	s_delay_alu instid0(VALU_DEP_1) | instskip(NEXT) | instid1(VALU_DEP_1)
	v_dual_add_f32 v3, v3, v115 :: v_dual_sub_f32 v2, v106, v2
	v_sub_f32_e32 v3, v107, v3
	scratch_store_b64 off, v[2:3], off offset:240
	v_cmpx_lt_u32_e32 29, v0
	s_cbranch_execz .LBB101_183
; %bb.182:
	scratch_load_b64 v[3:4], off, off offset:232
	v_mov_b32_e32 v2, v1
	scratch_store_b64 off, v[1:2], off offset:232
	s_wait_loadcnt 0x0
	ds_store_b64 v23, v[3:4]
.LBB101_183:
	s_wait_alu 0xfffe
	s_or_b32 exec_lo, exec_lo, s0
	s_wait_storecnt_dscnt 0x0
	s_barrier_signal -1
	s_barrier_wait -1
	global_inv scope:SCOPE_SE
	s_clause 0x4
	scratch_load_b128 v[2:5], off, off offset:240
	scratch_load_b128 v[6:9], off, off offset:256
	;; [unrolled: 1-line block ×4, first 2 shown]
	scratch_load_b64 v[112:113], off, off offset:232
	ds_load_b128 v[18:21], v1 offset:544
	ds_load_b128 v[24:27], v1 offset:560
	;; [unrolled: 1-line block ×4, first 2 shown]
	s_mov_b32 s0, exec_lo
	s_wait_loadcnt_dscnt 0x403
	v_dual_mul_f32 v1, v18, v3 :: v_dual_mul_f32 v22, v20, v5
	v_mul_f32_e32 v3, v19, v3
	s_wait_loadcnt_dscnt 0x302
	v_dual_mul_f32 v114, v24, v7 :: v_dual_mul_f32 v115, v26, v9
	s_delay_alu instid0(VALU_DEP_3) | instskip(NEXT) | instid1(VALU_DEP_3)
	v_dual_fmac_f32 v1, v19, v2 :: v_dual_fmac_f32 v22, v21, v4
	v_fma_f32 v3, v18, v2, -v3
	v_mul_f32_e32 v2, v25, v7
	s_wait_loadcnt_dscnt 0x201
	v_dual_mul_f32 v116, v104, v11 :: v_dual_mul_f32 v117, v106, v13
	s_delay_alu instid0(VALU_DEP_3) | instskip(NEXT) | instid1(VALU_DEP_3)
	v_dual_fmac_f32 v114, v25, v6 :: v_dual_add_f32 v3, 0, v3
	v_fma_f32 v2, v24, v6, -v2
	v_mul_f32_e32 v5, v21, v5
	s_delay_alu instid0(VALU_DEP_4) | instskip(SKIP_2) | instid1(VALU_DEP_3)
	v_dual_fmac_f32 v116, v105, v10 :: v_dual_add_f32 v1, 0, v1
	s_wait_loadcnt_dscnt 0x100
	v_dual_mul_f32 v118, v108, v15 :: v_dual_mul_f32 v119, v110, v17
	v_fma_f32 v4, v20, v4, -v5
	v_mul_f32_e32 v5, v27, v9
	s_delay_alu instid0(VALU_DEP_3) | instskip(NEXT) | instid1(VALU_DEP_4)
	v_dual_fmac_f32 v115, v27, v8 :: v_dual_fmac_f32 v118, v109, v14
	v_fmac_f32_e32 v119, v111, v16
	s_delay_alu instid0(VALU_DEP_3) | instskip(SKIP_1) | instid1(VALU_DEP_1)
	v_fma_f32 v5, v26, v8, -v5
	v_dual_add_f32 v3, v3, v4 :: v_dual_mul_f32 v4, v105, v11
	v_add_f32_e32 v2, v3, v2
	v_mul_f32_e32 v3, v107, v13
	s_delay_alu instid0(VALU_DEP_3) | instskip(NEXT) | instid1(VALU_DEP_3)
	v_fma_f32 v4, v104, v10, -v4
	v_dual_add_f32 v2, v2, v5 :: v_dual_add_f32 v1, v1, v22
	v_mul_f32_e32 v5, v109, v15
	s_delay_alu instid0(VALU_DEP_4) | instskip(NEXT) | instid1(VALU_DEP_3)
	v_fma_f32 v3, v106, v12, -v3
	v_dual_add_f32 v2, v2, v4 :: v_dual_add_f32 v1, v1, v114
	v_mul_f32_e32 v4, v111, v17
	v_fmac_f32_e32 v117, v107, v12
	v_fma_f32 v5, v108, v14, -v5
	s_delay_alu instid0(VALU_DEP_4) | instskip(SKIP_2) | instid1(VALU_DEP_2)
	v_add_f32_e32 v2, v2, v3
	v_add_f32_e32 v1, v1, v115
	v_fma_f32 v3, v110, v16, -v4
	v_dual_add_f32 v2, v2, v5 :: v_dual_add_f32 v1, v1, v116
	s_delay_alu instid0(VALU_DEP_1) | instskip(NEXT) | instid1(VALU_DEP_1)
	v_dual_add_f32 v2, v2, v3 :: v_dual_add_f32 v1, v1, v117
	v_add_f32_e32 v1, v1, v118
	s_delay_alu instid0(VALU_DEP_1) | instskip(SKIP_1) | instid1(VALU_DEP_1)
	v_add_f32_e32 v3, v1, v119
	s_wait_loadcnt 0x0
	v_dual_sub_f32 v1, v112, v2 :: v_dual_sub_f32 v2, v113, v3
	scratch_store_b64 off, v[1:2], off offset:232
	v_cmpx_lt_u32_e32 28, v0
	s_cbranch_execz .LBB101_185
; %bb.184:
	scratch_load_b64 v[1:2], off, off offset:224
	v_mov_b32_e32 v3, 0
	s_delay_alu instid0(VALU_DEP_1)
	v_mov_b32_e32 v4, v3
	scratch_store_b64 off, v[3:4], off offset:224
	s_wait_loadcnt 0x0
	ds_store_b64 v23, v[1:2]
.LBB101_185:
	s_wait_alu 0xfffe
	s_or_b32 exec_lo, exec_lo, s0
	s_wait_storecnt_dscnt 0x0
	s_barrier_signal -1
	s_barrier_wait -1
	global_inv scope:SCOPE_SE
	s_clause 0x5
	scratch_load_b128 v[2:5], off, off offset:232
	scratch_load_b128 v[6:9], off, off offset:248
	scratch_load_b128 v[10:13], off, off offset:264
	scratch_load_b128 v[14:17], off, off offset:280
	scratch_load_b64 v[112:113], off, off offset:296
	scratch_load_b64 v[114:115], off, off offset:224
	v_mov_b32_e32 v1, 0
	ds_load_2addr_b64 v[18:21], v1 offset0:67 offset1:68
	ds_load_2addr_b64 v[24:27], v1 offset0:69 offset1:70
	;; [unrolled: 1-line block ×4, first 2 shown]
	ds_load_b64 v[116:117], v1 offset:600
	s_mov_b32 s0, exec_lo
	s_wait_loadcnt_dscnt 0x504
	v_mul_f32_e32 v22, v18, v3
	v_dual_mul_f32 v118, v20, v5 :: v_dual_mul_f32 v3, v19, v3
	s_wait_loadcnt_dscnt 0x403
	v_dual_mul_f32 v119, v24, v7 :: v_dual_mul_f32 v120, v26, v9
	v_mul_f32_e32 v5, v21, v5
	s_wait_loadcnt_dscnt 0x100
	v_dual_mul_f32 v125, v116, v113 :: v_dual_fmac_f32 v22, v19, v2
	v_fma_f32 v3, v18, v2, -v3
	v_mul_f32_e32 v2, v25, v7
	v_fmac_f32_e32 v118, v21, v4
	v_fmac_f32_e32 v120, v27, v8
	v_fma_f32 v4, v20, v4, -v5
	v_add_f32_e32 v3, 0, v3
	v_add_f32_e32 v5, 0, v22
	v_mul_f32_e32 v7, v27, v9
	v_fma_f32 v2, v24, v6, -v2
	v_fmac_f32_e32 v119, v25, v6
	s_delay_alu instid0(VALU_DEP_4) | instskip(SKIP_3) | instid1(VALU_DEP_4)
	v_dual_add_f32 v3, v3, v4 :: v_dual_add_f32 v4, v5, v118
	v_mul_f32_e32 v5, v105, v11
	v_fma_f32 v6, v26, v8, -v7
	v_dual_mul_f32 v121, v104, v11 :: v_dual_mul_f32 v122, v106, v13
	v_dual_add_f32 v2, v3, v2 :: v_dual_add_f32 v3, v4, v119
	v_mul_f32_e32 v4, v107, v13
	v_fma_f32 v5, v104, v10, -v5
	s_delay_alu instid0(VALU_DEP_4) | instskip(NEXT) | instid1(VALU_DEP_4)
	v_fmac_f32_e32 v122, v107, v12
	v_add_f32_e32 v2, v2, v6
	v_fmac_f32_e32 v121, v105, v10
	v_dual_add_f32 v3, v3, v120 :: v_dual_mul_f32 v6, v109, v15
	v_fma_f32 v4, v106, v12, -v4
	s_delay_alu instid0(VALU_DEP_4) | instskip(SKIP_1) | instid1(VALU_DEP_4)
	v_dual_add_f32 v2, v2, v5 :: v_dual_mul_f32 v123, v108, v15
	v_mul_f32_e32 v124, v110, v17
	v_add_f32_e32 v3, v3, v121
	v_fma_f32 v6, v108, v14, -v6
	s_delay_alu instid0(VALU_DEP_4) | instskip(NEXT) | instid1(VALU_DEP_4)
	v_dual_add_f32 v2, v2, v4 :: v_dual_mul_f32 v5, v111, v17
	v_dual_fmac_f32 v123, v109, v14 :: v_dual_fmac_f32 v124, v111, v16
	s_delay_alu instid0(VALU_DEP_4) | instskip(NEXT) | instid1(VALU_DEP_3)
	v_dual_add_f32 v3, v3, v122 :: v_dual_mul_f32 v4, v117, v113
	v_add_f32_e32 v2, v2, v6
	s_delay_alu instid0(VALU_DEP_4) | instskip(NEXT) | instid1(VALU_DEP_3)
	v_fma_f32 v5, v110, v16, -v5
	v_add_f32_e32 v3, v3, v123
	s_delay_alu instid0(VALU_DEP_4) | instskip(NEXT) | instid1(VALU_DEP_2)
	v_fma_f32 v4, v116, v112, -v4
	v_dual_add_f32 v2, v2, v5 :: v_dual_add_f32 v3, v3, v124
	s_delay_alu instid0(VALU_DEP_1) | instskip(SKIP_1) | instid1(VALU_DEP_1)
	v_add_f32_e32 v2, v2, v4
	s_wait_loadcnt 0x0
	v_dual_fmac_f32 v125, v117, v112 :: v_dual_sub_f32 v2, v114, v2
	s_delay_alu instid0(VALU_DEP_1) | instskip(NEXT) | instid1(VALU_DEP_1)
	v_add_f32_e32 v3, v3, v125
	v_sub_f32_e32 v3, v115, v3
	scratch_store_b64 off, v[2:3], off offset:224
	v_cmpx_lt_u32_e32 27, v0
	s_cbranch_execz .LBB101_187
; %bb.186:
	scratch_load_b64 v[3:4], off, off offset:216
	v_mov_b32_e32 v2, v1
	scratch_store_b64 off, v[1:2], off offset:216
	s_wait_loadcnt 0x0
	ds_store_b64 v23, v[3:4]
.LBB101_187:
	s_wait_alu 0xfffe
	s_or_b32 exec_lo, exec_lo, s0
	s_wait_storecnt_dscnt 0x0
	s_barrier_signal -1
	s_barrier_wait -1
	global_inv scope:SCOPE_SE
	s_clause 0x5
	scratch_load_b128 v[2:5], off, off offset:224
	scratch_load_b128 v[6:9], off, off offset:240
	;; [unrolled: 1-line block ×5, first 2 shown]
	scratch_load_b64 v[120:121], off, off offset:216
	ds_load_b128 v[24:27], v1 offset:528
	ds_load_b128 v[104:107], v1 offset:544
	ds_load_b128 v[108:111], v1 offset:560
	ds_load_b128 v[112:115], v1 offset:576
	ds_load_b128 v[116:119], v1 offset:592
	s_mov_b32 s0, exec_lo
	s_wait_loadcnt_dscnt 0x504
	v_dual_mul_f32 v1, v24, v3 :: v_dual_mul_f32 v22, v26, v5
	v_mul_f32_e32 v3, v25, v3
	s_wait_loadcnt_dscnt 0x403
	v_dual_mul_f32 v5, v27, v5 :: v_dual_mul_f32 v122, v104, v7
	s_delay_alu instid0(VALU_DEP_3) | instskip(NEXT) | instid1(VALU_DEP_3)
	v_dual_mul_f32 v123, v106, v9 :: v_dual_fmac_f32 v22, v27, v4
	v_fma_f32 v3, v24, v2, -v3
	v_fmac_f32_e32 v1, v25, v2
	v_mul_f32_e32 v2, v105, v7
	v_fma_f32 v4, v26, v4, -v5
	s_wait_loadcnt_dscnt 0x302
	v_dual_mul_f32 v124, v108, v11 :: v_dual_mul_f32 v125, v110, v13
	v_dual_add_f32 v3, 0, v3 :: v_dual_fmac_f32 v122, v105, v6
	s_wait_loadcnt_dscnt 0x201
	v_dual_mul_f32 v126, v112, v15 :: v_dual_mul_f32 v127, v114, v17
	s_delay_alu instid0(VALU_DEP_3) | instskip(SKIP_1) | instid1(VALU_DEP_3)
	v_dual_mul_f32 v5, v107, v9 :: v_dual_fmac_f32 v124, v109, v10
	v_fma_f32 v2, v104, v6, -v2
	v_dual_add_f32 v3, v3, v4 :: v_dual_fmac_f32 v126, v113, v14
	s_delay_alu instid0(VALU_DEP_3)
	v_fma_f32 v5, v106, v8, -v5
	v_mul_f32_e32 v4, v109, v11
	s_wait_loadcnt_dscnt 0x100
	v_dual_mul_f32 v128, v116, v19 :: v_dual_mul_f32 v129, v118, v21
	v_add_f32_e32 v2, v3, v2
	v_mul_f32_e32 v3, v111, v13
	v_fma_f32 v4, v108, v10, -v4
	s_delay_alu instid0(VALU_DEP_4) | instskip(NEXT) | instid1(VALU_DEP_4)
	v_dual_fmac_f32 v128, v117, v18 :: v_dual_fmac_f32 v127, v115, v16
	v_add_f32_e32 v2, v2, v5
	v_add_f32_e32 v1, 0, v1
	v_fma_f32 v3, v110, v12, -v3
	v_fmac_f32_e32 v129, v119, v20
	s_delay_alu instid0(VALU_DEP_3) | instskip(SKIP_1) | instid1(VALU_DEP_2)
	v_dual_add_f32 v2, v2, v4 :: v_dual_add_f32 v1, v1, v22
	v_mul_f32_e32 v4, v115, v17
	v_dual_fmac_f32 v123, v107, v8 :: v_dual_add_f32 v2, v2, v3
	s_delay_alu instid0(VALU_DEP_3) | instskip(NEXT) | instid1(VALU_DEP_3)
	v_add_f32_e32 v1, v1, v122
	v_fma_f32 v4, v114, v16, -v4
	v_mul_f32_e32 v5, v113, v15
	v_mul_f32_e32 v3, v117, v19
	s_delay_alu instid0(VALU_DEP_4) | instskip(NEXT) | instid1(VALU_DEP_3)
	v_add_f32_e32 v1, v1, v123
	v_fma_f32 v5, v112, v14, -v5
	v_fmac_f32_e32 v125, v111, v12
	s_delay_alu instid0(VALU_DEP_4) | instskip(NEXT) | instid1(VALU_DEP_3)
	v_fma_f32 v3, v116, v18, -v3
	v_add_f32_e32 v2, v2, v5
	s_delay_alu instid0(VALU_DEP_1) | instskip(SKIP_1) | instid1(VALU_DEP_2)
	v_dual_mul_f32 v5, v119, v21 :: v_dual_add_f32 v2, v2, v4
	v_add_f32_e32 v1, v1, v124
	v_fma_f32 v4, v118, v20, -v5
	s_delay_alu instid0(VALU_DEP_2) | instskip(NEXT) | instid1(VALU_DEP_1)
	v_dual_add_f32 v2, v2, v3 :: v_dual_add_f32 v1, v1, v125
	v_dual_add_f32 v2, v2, v4 :: v_dual_add_f32 v1, v1, v126
	s_delay_alu instid0(VALU_DEP_1) | instskip(NEXT) | instid1(VALU_DEP_1)
	v_add_f32_e32 v1, v1, v127
	v_add_f32_e32 v1, v1, v128
	s_delay_alu instid0(VALU_DEP_1) | instskip(SKIP_1) | instid1(VALU_DEP_1)
	v_add_f32_e32 v3, v1, v129
	s_wait_loadcnt 0x0
	v_dual_sub_f32 v1, v120, v2 :: v_dual_sub_f32 v2, v121, v3
	scratch_store_b64 off, v[1:2], off offset:216
	v_cmpx_lt_u32_e32 26, v0
	s_cbranch_execz .LBB101_189
; %bb.188:
	scratch_load_b64 v[1:2], off, off offset:208
	v_mov_b32_e32 v3, 0
	s_delay_alu instid0(VALU_DEP_1)
	v_mov_b32_e32 v4, v3
	scratch_store_b64 off, v[3:4], off offset:208
	s_wait_loadcnt 0x0
	ds_store_b64 v23, v[1:2]
.LBB101_189:
	s_wait_alu 0xfffe
	s_or_b32 exec_lo, exec_lo, s0
	s_wait_storecnt_dscnt 0x0
	s_barrier_signal -1
	s_barrier_wait -1
	global_inv scope:SCOPE_SE
	s_clause 0x6
	scratch_load_b128 v[2:5], off, off offset:216
	scratch_load_b128 v[6:9], off, off offset:232
	;; [unrolled: 1-line block ×5, first 2 shown]
	scratch_load_b64 v[120:121], off, off offset:296
	scratch_load_b64 v[122:123], off, off offset:208
	v_mov_b32_e32 v1, 0
	ds_load_2addr_b64 v[24:27], v1 offset0:65 offset1:66
	ds_load_2addr_b64 v[104:107], v1 offset0:67 offset1:68
	;; [unrolled: 1-line block ×5, first 2 shown]
	ds_load_b64 v[124:125], v1 offset:600
	s_mov_b32 s0, exec_lo
	s_wait_loadcnt_dscnt 0x605
	v_mul_f32_e32 v22, v24, v3
	v_dual_mul_f32 v3, v25, v3 :: v_dual_mul_f32 v126, v26, v5
	s_wait_loadcnt_dscnt 0x302
	v_dual_mul_f32 v127, v104, v7 :: v_dual_mul_f32 v132, v114, v17
	v_mul_f32_e32 v5, v27, v5
	s_delay_alu instid0(VALU_DEP_3)
	v_fma_f32 v3, v24, v2, -v3
	v_dual_mul_f32 v128, v106, v9 :: v_dual_mul_f32 v129, v108, v11
	s_wait_loadcnt_dscnt 0x100
	v_dual_mul_f32 v135, v124, v121 :: v_dual_fmac_f32 v22, v25, v2
	v_mul_f32_e32 v2, v105, v7
	v_dual_fmac_f32 v126, v27, v4 :: v_dual_add_f32 v3, 0, v3
	v_fma_f32 v4, v26, v4, -v5
	s_delay_alu instid0(VALU_DEP_4) | instskip(SKIP_2) | instid1(VALU_DEP_4)
	v_dual_add_f32 v5, 0, v22 :: v_dual_fmac_f32 v128, v107, v8
	v_mul_f32_e32 v7, v107, v9
	v_fma_f32 v2, v104, v6, -v2
	v_add_f32_e32 v3, v3, v4
	v_fmac_f32_e32 v127, v105, v6
	v_add_f32_e32 v4, v5, v126
	v_mul_f32_e32 v5, v109, v11
	v_fma_f32 v6, v106, v8, -v7
	v_add_f32_e32 v2, v3, v2
	v_dual_mul_f32 v130, v110, v13 :: v_dual_mul_f32 v131, v112, v15
	v_dual_add_f32 v3, v4, v127 :: v_dual_mul_f32 v4, v111, v13
	v_fma_f32 v5, v108, v10, -v5
	s_delay_alu instid0(VALU_DEP_4)
	v_add_f32_e32 v2, v2, v6
	v_fmac_f32_e32 v129, v109, v10
	v_mul_f32_e32 v6, v113, v15
	v_fmac_f32_e32 v130, v111, v12
	v_add_f32_e32 v3, v3, v128
	v_fma_f32 v4, v110, v12, -v4
	v_add_f32_e32 v2, v2, v5
	v_mul_f32_e32 v5, v115, v17
	v_fma_f32 v6, v112, v14, -v6
	v_add_f32_e32 v3, v3, v129
	v_dual_fmac_f32 v131, v113, v14 :: v_dual_fmac_f32 v132, v115, v16
	v_add_f32_e32 v2, v2, v4
	v_mul_f32_e32 v4, v117, v19
	v_fma_f32 v5, v114, v16, -v5
	v_dual_mul_f32 v133, v116, v19 :: v_dual_mul_f32 v134, v118, v21
	s_delay_alu instid0(VALU_DEP_4) | instskip(SKIP_1) | instid1(VALU_DEP_3)
	v_add_f32_e32 v2, v2, v6
	v_add_f32_e32 v3, v3, v130
	v_dual_mul_f32 v6, v119, v21 :: v_dual_fmac_f32 v133, v117, v18
	v_fma_f32 v4, v116, v18, -v4
	s_delay_alu instid0(VALU_DEP_3) | instskip(SKIP_1) | instid1(VALU_DEP_4)
	v_dual_add_f32 v2, v2, v5 :: v_dual_add_f32 v3, v3, v131
	v_dual_mul_f32 v5, v125, v121 :: v_dual_fmac_f32 v134, v119, v20
	v_fma_f32 v6, v118, v20, -v6
	s_delay_alu instid0(VALU_DEP_3) | instskip(NEXT) | instid1(VALU_DEP_4)
	v_add_f32_e32 v2, v2, v4
	v_add_f32_e32 v3, v3, v132
	s_delay_alu instid0(VALU_DEP_4) | instskip(NEXT) | instid1(VALU_DEP_2)
	v_fma_f32 v4, v124, v120, -v5
	v_dual_add_f32 v2, v2, v6 :: v_dual_add_f32 v3, v3, v133
	s_delay_alu instid0(VALU_DEP_1) | instskip(SKIP_1) | instid1(VALU_DEP_1)
	v_dual_add_f32 v2, v2, v4 :: v_dual_add_f32 v3, v3, v134
	s_wait_loadcnt 0x0
	v_dual_fmac_f32 v135, v125, v120 :: v_dual_sub_f32 v2, v122, v2
	s_delay_alu instid0(VALU_DEP_1) | instskip(NEXT) | instid1(VALU_DEP_1)
	v_add_f32_e32 v3, v3, v135
	v_sub_f32_e32 v3, v123, v3
	scratch_store_b64 off, v[2:3], off offset:208
	v_cmpx_lt_u32_e32 25, v0
	s_cbranch_execz .LBB101_191
; %bb.190:
	scratch_load_b64 v[3:4], off, off offset:200
	v_mov_b32_e32 v2, v1
	scratch_store_b64 off, v[1:2], off offset:200
	s_wait_loadcnt 0x0
	ds_store_b64 v23, v[3:4]
.LBB101_191:
	s_wait_alu 0xfffe
	s_or_b32 exec_lo, exec_lo, s0
	s_wait_storecnt_dscnt 0x0
	s_barrier_signal -1
	s_barrier_wait -1
	global_inv scope:SCOPE_SE
	s_clause 0x6
	scratch_load_b128 v[2:5], off, off offset:208
	scratch_load_b128 v[6:9], off, off offset:224
	;; [unrolled: 1-line block ×6, first 2 shown]
	scratch_load_b64 v[128:129], off, off offset:200
	ds_load_b128 v[104:107], v1 offset:512
	ds_load_b128 v[108:111], v1 offset:528
	;; [unrolled: 1-line block ×6, first 2 shown]
	s_mov_b32 s0, exec_lo
	s_wait_loadcnt_dscnt 0x605
	v_dual_mul_f32 v1, v104, v3 :: v_dual_mul_f32 v22, v106, v5
	v_mul_f32_e32 v3, v105, v3
	s_wait_loadcnt_dscnt 0x504
	v_dual_mul_f32 v5, v107, v5 :: v_dual_mul_f32 v130, v108, v7
	v_mul_f32_e32 v131, v110, v9
	s_wait_loadcnt_dscnt 0x100
	v_mul_f32_e32 v138, v124, v25
	v_fma_f32 v3, v104, v2, -v3
	v_dual_mul_f32 v139, v126, v27 :: v_dual_fmac_f32 v22, v107, v4
	v_fmac_f32_e32 v1, v105, v2
	v_mul_f32_e32 v2, v109, v7
	v_fma_f32 v4, v106, v4, -v5
	v_dual_add_f32 v3, 0, v3 :: v_dual_fmac_f32 v130, v109, v6
	v_dual_mul_f32 v132, v112, v11 :: v_dual_mul_f32 v133, v114, v13
	v_dual_mul_f32 v134, v116, v15 :: v_dual_mul_f32 v135, v118, v17
	s_delay_alu instid0(VALU_DEP_2) | instskip(SKIP_1) | instid1(VALU_DEP_3)
	v_dual_mul_f32 v5, v111, v9 :: v_dual_fmac_f32 v132, v113, v10
	v_fma_f32 v2, v108, v6, -v2
	v_dual_add_f32 v3, v3, v4 :: v_dual_fmac_f32 v134, v117, v14
	s_delay_alu instid0(VALU_DEP_3) | instskip(SKIP_2) | instid1(VALU_DEP_4)
	v_fma_f32 v5, v110, v8, -v5
	v_mul_f32_e32 v4, v113, v11
	v_dual_mul_f32 v136, v120, v19 :: v_dual_mul_f32 v137, v122, v21
	v_add_f32_e32 v2, v3, v2
	v_mul_f32_e32 v3, v115, v13
	s_delay_alu instid0(VALU_DEP_4) | instskip(NEXT) | instid1(VALU_DEP_4)
	v_fma_f32 v4, v112, v10, -v4
	v_dual_fmac_f32 v136, v121, v18 :: v_dual_fmac_f32 v135, v119, v16
	s_delay_alu instid0(VALU_DEP_4) | instskip(SKIP_3) | instid1(VALU_DEP_4)
	v_add_f32_e32 v2, v2, v5
	v_add_f32_e32 v1, 0, v1
	v_fma_f32 v3, v114, v12, -v3
	v_fmac_f32_e32 v137, v123, v20
	v_dual_fmac_f32 v139, v127, v26 :: v_dual_add_f32 v2, v2, v4
	s_delay_alu instid0(VALU_DEP_4) | instskip(SKIP_2) | instid1(VALU_DEP_3)
	v_dual_add_f32 v1, v1, v22 :: v_dual_mul_f32 v4, v119, v17
	v_fmac_f32_e32 v131, v111, v8
	v_fmac_f32_e32 v138, v125, v24
	v_dual_add_f32 v2, v2, v3 :: v_dual_add_f32 v1, v1, v130
	s_delay_alu instid0(VALU_DEP_4) | instskip(SKIP_1) | instid1(VALU_DEP_3)
	v_fma_f32 v4, v118, v16, -v4
	v_mul_f32_e32 v5, v117, v15
	v_add_f32_e32 v1, v1, v131
	s_delay_alu instid0(VALU_DEP_2) | instskip(NEXT) | instid1(VALU_DEP_1)
	v_fma_f32 v5, v116, v14, -v5
	v_dual_fmac_f32 v133, v115, v12 :: v_dual_add_f32 v2, v2, v5
	s_delay_alu instid0(VALU_DEP_1) | instskip(NEXT) | instid1(VALU_DEP_1)
	v_dual_mul_f32 v5, v123, v21 :: v_dual_add_f32 v2, v2, v4
	v_fma_f32 v5, v122, v20, -v5
	v_mul_f32_e32 v3, v121, v19
	v_mul_f32_e32 v4, v125, v25
	s_delay_alu instid0(VALU_DEP_2) | instskip(SKIP_1) | instid1(VALU_DEP_3)
	v_fma_f32 v3, v120, v18, -v3
	v_add_f32_e32 v1, v1, v132
	v_fma_f32 v4, v124, v24, -v4
	s_delay_alu instid0(VALU_DEP_3) | instskip(NEXT) | instid1(VALU_DEP_1)
	v_add_f32_e32 v2, v2, v3
	v_dual_mul_f32 v3, v127, v27 :: v_dual_add_f32 v2, v2, v5
	s_delay_alu instid0(VALU_DEP_4) | instskip(NEXT) | instid1(VALU_DEP_2)
	v_add_f32_e32 v1, v1, v133
	v_fma_f32 v3, v126, v26, -v3
	s_delay_alu instid0(VALU_DEP_2) | instskip(NEXT) | instid1(VALU_DEP_1)
	v_dual_add_f32 v2, v2, v4 :: v_dual_add_f32 v1, v1, v134
	v_add_f32_e32 v2, v2, v3
	s_delay_alu instid0(VALU_DEP_2) | instskip(NEXT) | instid1(VALU_DEP_1)
	v_add_f32_e32 v1, v1, v135
	v_add_f32_e32 v1, v1, v136
	s_delay_alu instid0(VALU_DEP_1) | instskip(NEXT) | instid1(VALU_DEP_1)
	v_add_f32_e32 v1, v1, v137
	v_add_f32_e32 v1, v1, v138
	s_delay_alu instid0(VALU_DEP_1) | instskip(SKIP_1) | instid1(VALU_DEP_1)
	v_add_f32_e32 v3, v1, v139
	s_wait_loadcnt 0x0
	v_dual_sub_f32 v1, v128, v2 :: v_dual_sub_f32 v2, v129, v3
	scratch_store_b64 off, v[1:2], off offset:200
	v_cmpx_lt_u32_e32 24, v0
	s_cbranch_execz .LBB101_193
; %bb.192:
	scratch_load_b64 v[1:2], off, off offset:192
	v_mov_b32_e32 v3, 0
	s_delay_alu instid0(VALU_DEP_1)
	v_mov_b32_e32 v4, v3
	scratch_store_b64 off, v[3:4], off offset:192
	s_wait_loadcnt 0x0
	ds_store_b64 v23, v[1:2]
.LBB101_193:
	s_wait_alu 0xfffe
	s_or_b32 exec_lo, exec_lo, s0
	s_wait_storecnt_dscnt 0x0
	s_barrier_signal -1
	s_barrier_wait -1
	global_inv scope:SCOPE_SE
	s_clause 0x7
	scratch_load_b128 v[2:5], off, off offset:200
	scratch_load_b128 v[6:9], off, off offset:216
	;; [unrolled: 1-line block ×6, first 2 shown]
	scratch_load_b64 v[128:129], off, off offset:296
	scratch_load_b64 v[130:131], off, off offset:192
	v_mov_b32_e32 v1, 0
	ds_load_2addr_b64 v[104:107], v1 offset0:63 offset1:64
	ds_load_2addr_b64 v[108:111], v1 offset0:65 offset1:66
	;; [unrolled: 1-line block ×6, first 2 shown]
	ds_load_b64 v[132:133], v1 offset:600
	s_mov_b32 s0, exec_lo
	s_wait_loadcnt_dscnt 0x706
	v_mul_f32_e32 v22, v104, v3
	v_dual_mul_f32 v3, v105, v3 :: v_dual_mul_f32 v134, v106, v5
	s_wait_loadcnt_dscnt 0x302
	v_dual_mul_f32 v135, v108, v7 :: v_dual_mul_f32 v142, v122, v21
	v_mul_f32_e32 v5, v107, v5
	s_delay_alu instid0(VALU_DEP_3)
	v_fma_f32 v3, v104, v2, -v3
	v_dual_mul_f32 v136, v110, v9 :: v_dual_mul_f32 v137, v112, v11
	s_wait_loadcnt_dscnt 0x100
	v_dual_mul_f32 v145, v132, v129 :: v_dual_fmac_f32 v22, v105, v2
	v_mul_f32_e32 v2, v109, v7
	v_dual_fmac_f32 v134, v107, v4 :: v_dual_add_f32 v3, 0, v3
	v_fma_f32 v4, v106, v4, -v5
	s_delay_alu instid0(VALU_DEP_4) | instskip(SKIP_2) | instid1(VALU_DEP_4)
	v_dual_add_f32 v5, 0, v22 :: v_dual_fmac_f32 v136, v111, v8
	v_mul_f32_e32 v7, v111, v9
	v_fma_f32 v2, v108, v6, -v2
	v_add_f32_e32 v3, v3, v4
	v_fmac_f32_e32 v135, v109, v6
	v_add_f32_e32 v4, v5, v134
	v_mul_f32_e32 v5, v113, v11
	v_fma_f32 v6, v110, v8, -v7
	v_add_f32_e32 v2, v3, v2
	v_dual_mul_f32 v138, v114, v13 :: v_dual_mul_f32 v139, v116, v15
	v_dual_add_f32 v3, v4, v135 :: v_dual_mul_f32 v4, v115, v13
	v_fma_f32 v5, v112, v10, -v5
	s_delay_alu instid0(VALU_DEP_4)
	v_add_f32_e32 v2, v2, v6
	v_fmac_f32_e32 v137, v113, v10
	v_mul_f32_e32 v6, v117, v15
	v_fmac_f32_e32 v138, v115, v12
	v_add_f32_e32 v3, v3, v136
	v_fma_f32 v4, v114, v12, -v4
	v_add_f32_e32 v2, v2, v5
	v_dual_mul_f32 v140, v118, v17 :: v_dual_mul_f32 v141, v120, v19
	s_delay_alu instid0(VALU_DEP_4)
	v_add_f32_e32 v3, v3, v137
	v_mul_f32_e32 v5, v119, v17
	v_fma_f32 v6, v116, v14, -v6
	v_dual_add_f32 v2, v2, v4 :: v_dual_fmac_f32 v139, v117, v14
	v_fmac_f32_e32 v140, v119, v16
	v_mul_f32_e32 v4, v121, v19
	v_fma_f32 v5, v118, v16, -v5
	s_delay_alu instid0(VALU_DEP_4) | instskip(SKIP_3) | instid1(VALU_DEP_3)
	v_add_f32_e32 v2, v2, v6
	v_add_f32_e32 v3, v3, v138
	v_dual_mul_f32 v6, v123, v21 :: v_dual_fmac_f32 v141, v121, v18
	v_fma_f32 v4, v120, v18, -v4
	v_dual_add_f32 v2, v2, v5 :: v_dual_add_f32 v3, v3, v139
	s_delay_alu instid0(VALU_DEP_3) | instskip(SKIP_1) | instid1(VALU_DEP_3)
	v_fma_f32 v6, v122, v20, -v6
	v_dual_mul_f32 v143, v124, v25 :: v_dual_mul_f32 v144, v126, v27
	v_add_f32_e32 v2, v2, v4
	s_delay_alu instid0(VALU_DEP_4) | instskip(SKIP_1) | instid1(VALU_DEP_4)
	v_add_f32_e32 v3, v3, v140
	v_dual_mul_f32 v5, v125, v25 :: v_dual_fmac_f32 v142, v123, v20
	v_dual_mul_f32 v4, v127, v27 :: v_dual_fmac_f32 v143, v125, v24
	s_delay_alu instid0(VALU_DEP_3) | instskip(NEXT) | instid1(VALU_DEP_3)
	v_dual_add_f32 v2, v2, v6 :: v_dual_add_f32 v3, v3, v141
	v_fma_f32 v5, v124, v24, -v5
	v_mul_f32_e32 v6, v133, v129
	v_dual_fmac_f32 v144, v127, v26 :: v_dual_fmac_f32 v145, v133, v128
	s_delay_alu instid0(VALU_DEP_4) | instskip(SKIP_3) | instid1(VALU_DEP_4)
	v_add_f32_e32 v3, v3, v142
	v_fma_f32 v4, v126, v26, -v4
	v_add_f32_e32 v2, v2, v5
	v_fma_f32 v5, v132, v128, -v6
	v_add_f32_e32 v3, v3, v143
	s_delay_alu instid0(VALU_DEP_1) | instskip(NEXT) | instid1(VALU_DEP_1)
	v_add_f32_e32 v3, v3, v144
	v_dual_add_f32 v2, v2, v4 :: v_dual_add_f32 v3, v3, v145
	s_wait_loadcnt 0x0
	s_delay_alu instid0(VALU_DEP_1) | instskip(NEXT) | instid1(VALU_DEP_1)
	v_dual_add_f32 v2, v2, v5 :: v_dual_sub_f32 v3, v131, v3
	v_sub_f32_e32 v2, v130, v2
	scratch_store_b64 off, v[2:3], off offset:192
	v_cmpx_lt_u32_e32 23, v0
	s_cbranch_execz .LBB101_195
; %bb.194:
	scratch_load_b64 v[3:4], off, off offset:184
	v_mov_b32_e32 v2, v1
	scratch_store_b64 off, v[1:2], off offset:184
	s_wait_loadcnt 0x0
	ds_store_b64 v23, v[3:4]
.LBB101_195:
	s_wait_alu 0xfffe
	s_or_b32 exec_lo, exec_lo, s0
	s_wait_storecnt_dscnt 0x0
	s_barrier_signal -1
	s_barrier_wait -1
	global_inv scope:SCOPE_SE
	s_clause 0x7
	scratch_load_b128 v[2:5], off, off offset:192
	scratch_load_b128 v[6:9], off, off offset:208
	;; [unrolled: 1-line block ×7, first 2 shown]
	scratch_load_b64 v[136:137], off, off offset:184
	ds_load_b128 v[108:111], v1 offset:496
	ds_load_b128 v[112:115], v1 offset:512
	;; [unrolled: 1-line block ×7, first 2 shown]
	s_mov_b32 s0, exec_lo
	s_wait_loadcnt_dscnt 0x706
	v_dual_mul_f32 v1, v108, v3 :: v_dual_mul_f32 v22, v110, v5
	v_mul_f32_e32 v3, v109, v3
	s_wait_loadcnt_dscnt 0x605
	v_dual_mul_f32 v5, v111, v5 :: v_dual_mul_f32 v138, v112, v7
	v_mul_f32_e32 v139, v114, v9
	s_wait_loadcnt_dscnt 0x201
	v_mul_f32_e32 v146, v128, v25
	v_fma_f32 v3, v108, v2, -v3
	s_wait_loadcnt_dscnt 0x100
	v_dual_mul_f32 v149, v134, v107 :: v_dual_fmac_f32 v22, v111, v4
	v_fmac_f32_e32 v1, v109, v2
	v_mul_f32_e32 v2, v113, v7
	v_fma_f32 v4, v110, v4, -v5
	v_dual_add_f32 v3, 0, v3 :: v_dual_fmac_f32 v138, v113, v6
	v_dual_mul_f32 v140, v116, v11 :: v_dual_mul_f32 v141, v118, v13
	v_dual_mul_f32 v142, v120, v15 :: v_dual_mul_f32 v143, v122, v17
	s_delay_alu instid0(VALU_DEP_2) | instskip(SKIP_1) | instid1(VALU_DEP_3)
	v_dual_mul_f32 v5, v115, v9 :: v_dual_fmac_f32 v140, v117, v10
	v_fma_f32 v2, v112, v6, -v2
	v_dual_add_f32 v3, v3, v4 :: v_dual_fmac_f32 v142, v121, v14
	s_delay_alu instid0(VALU_DEP_3) | instskip(SKIP_1) | instid1(VALU_DEP_3)
	v_fma_f32 v5, v114, v8, -v5
	v_dual_mul_f32 v144, v124, v19 :: v_dual_mul_f32 v145, v126, v21
	v_add_f32_e32 v2, v3, v2
	v_dual_mul_f32 v4, v117, v11 :: v_dual_mul_f32 v3, v119, v13
	s_delay_alu instid0(VALU_DEP_3) | instskip(NEXT) | instid1(VALU_DEP_3)
	v_dual_fmac_f32 v144, v125, v18 :: v_dual_fmac_f32 v143, v123, v16
	v_add_f32_e32 v2, v2, v5
	v_add_f32_e32 v1, 0, v1
	s_delay_alu instid0(VALU_DEP_4) | instskip(SKIP_2) | instid1(VALU_DEP_3)
	v_fma_f32 v4, v116, v10, -v4
	v_fma_f32 v3, v118, v12, -v3
	v_dual_mul_f32 v147, v130, v27 :: v_dual_mul_f32 v148, v132, v105
	v_dual_add_f32 v1, v1, v22 :: v_dual_add_f32 v2, v2, v4
	v_mul_f32_e32 v4, v123, v17
	v_fmac_f32_e32 v139, v115, v8
	s_delay_alu instid0(VALU_DEP_4) | instskip(NEXT) | instid1(VALU_DEP_4)
	v_fmac_f32_e32 v147, v131, v26
	v_dual_add_f32 v1, v1, v138 :: v_dual_add_f32 v2, v2, v3
	s_delay_alu instid0(VALU_DEP_4) | instskip(SKIP_2) | instid1(VALU_DEP_4)
	v_fma_f32 v4, v122, v16, -v4
	v_mul_f32_e32 v5, v121, v15
	v_fmac_f32_e32 v149, v135, v106
	v_add_f32_e32 v1, v1, v139
	v_fmac_f32_e32 v146, v129, v24
	v_fmac_f32_e32 v148, v133, v104
	v_fma_f32 v5, v120, v14, -v5
	s_delay_alu instid0(VALU_DEP_1) | instskip(NEXT) | instid1(VALU_DEP_1)
	v_dual_fmac_f32 v141, v119, v12 :: v_dual_add_f32 v2, v2, v5
	v_dual_mul_f32 v5, v127, v21 :: v_dual_add_f32 v2, v2, v4
	s_delay_alu instid0(VALU_DEP_1) | instskip(SKIP_2) | instid1(VALU_DEP_2)
	v_fma_f32 v5, v126, v20, -v5
	v_mul_f32_e32 v3, v125, v19
	v_mul_f32_e32 v4, v129, v25
	v_fma_f32 v3, v124, v18, -v3
	v_add_f32_e32 v1, v1, v140
	s_delay_alu instid0(VALU_DEP_3) | instskip(NEXT) | instid1(VALU_DEP_3)
	v_fma_f32 v4, v128, v24, -v4
	v_add_f32_e32 v2, v2, v3
	s_delay_alu instid0(VALU_DEP_1) | instskip(NEXT) | instid1(VALU_DEP_4)
	v_dual_mul_f32 v3, v131, v27 :: v_dual_add_f32 v2, v2, v5
	v_add_f32_e32 v1, v1, v141
	v_mul_f32_e32 v5, v133, v105
	s_delay_alu instid0(VALU_DEP_3) | instskip(NEXT) | instid1(VALU_DEP_3)
	v_fma_f32 v3, v130, v26, -v3
	v_dual_add_f32 v2, v2, v4 :: v_dual_add_f32 v1, v1, v142
	v_mul_f32_e32 v4, v135, v107
	v_fmac_f32_e32 v145, v127, v20
	v_fma_f32 v5, v132, v104, -v5
	s_delay_alu instid0(VALU_DEP_4) | instskip(SKIP_2) | instid1(VALU_DEP_2)
	v_add_f32_e32 v2, v2, v3
	v_add_f32_e32 v1, v1, v143
	v_fma_f32 v3, v134, v106, -v4
	v_dual_add_f32 v2, v2, v5 :: v_dual_add_f32 v1, v1, v144
	s_delay_alu instid0(VALU_DEP_1) | instskip(NEXT) | instid1(VALU_DEP_1)
	v_dual_add_f32 v2, v2, v3 :: v_dual_add_f32 v1, v1, v145
	v_add_f32_e32 v1, v1, v146
	s_delay_alu instid0(VALU_DEP_1) | instskip(NEXT) | instid1(VALU_DEP_1)
	v_add_f32_e32 v1, v1, v147
	v_add_f32_e32 v1, v1, v148
	s_delay_alu instid0(VALU_DEP_1) | instskip(SKIP_1) | instid1(VALU_DEP_1)
	v_add_f32_e32 v3, v1, v149
	s_wait_loadcnt 0x0
	v_dual_sub_f32 v1, v136, v2 :: v_dual_sub_f32 v2, v137, v3
	scratch_store_b64 off, v[1:2], off offset:184
	v_cmpx_lt_u32_e32 22, v0
	s_cbranch_execz .LBB101_197
; %bb.196:
	scratch_load_b64 v[1:2], off, off offset:176
	v_mov_b32_e32 v3, 0
	s_delay_alu instid0(VALU_DEP_1)
	v_mov_b32_e32 v4, v3
	scratch_store_b64 off, v[3:4], off offset:176
	s_wait_loadcnt 0x0
	ds_store_b64 v23, v[1:2]
.LBB101_197:
	s_wait_alu 0xfffe
	s_or_b32 exec_lo, exec_lo, s0
	s_wait_storecnt_dscnt 0x0
	s_barrier_signal -1
	s_barrier_wait -1
	global_inv scope:SCOPE_SE
	s_clause 0x8
	scratch_load_b128 v[2:5], off, off offset:184
	scratch_load_b128 v[6:9], off, off offset:200
	;; [unrolled: 1-line block ×7, first 2 shown]
	scratch_load_b64 v[136:137], off, off offset:296
	scratch_load_b64 v[138:139], off, off offset:176
	v_mov_b32_e32 v1, 0
	ds_load_2addr_b64 v[108:111], v1 offset0:61 offset1:62
	ds_load_2addr_b64 v[112:115], v1 offset0:63 offset1:64
	;; [unrolled: 1-line block ×7, first 2 shown]
	ds_load_b64 v[140:141], v1 offset:600
	s_mov_b32 s0, exec_lo
	s_wait_loadcnt_dscnt 0x807
	v_mul_f32_e32 v22, v108, v3
	v_dual_mul_f32 v3, v109, v3 :: v_dual_mul_f32 v142, v110, v5
	s_wait_loadcnt_dscnt 0x403
	v_dual_mul_f32 v143, v112, v7 :: v_dual_mul_f32 v150, v126, v21
	v_mul_f32_e32 v5, v111, v5
	s_delay_alu instid0(VALU_DEP_3)
	v_fma_f32 v3, v108, v2, -v3
	v_dual_mul_f32 v144, v114, v9 :: v_dual_mul_f32 v145, v116, v11
	s_wait_loadcnt_dscnt 0x100
	v_dual_mul_f32 v155, v140, v137 :: v_dual_fmac_f32 v22, v109, v2
	v_mul_f32_e32 v2, v113, v7
	v_dual_fmac_f32 v142, v111, v4 :: v_dual_add_f32 v3, 0, v3
	v_fma_f32 v4, v110, v4, -v5
	s_delay_alu instid0(VALU_DEP_4) | instskip(SKIP_2) | instid1(VALU_DEP_4)
	v_dual_add_f32 v5, 0, v22 :: v_dual_fmac_f32 v144, v115, v8
	v_mul_f32_e32 v7, v115, v9
	v_fma_f32 v2, v112, v6, -v2
	v_add_f32_e32 v3, v3, v4
	v_fmac_f32_e32 v143, v113, v6
	v_add_f32_e32 v4, v5, v142
	v_mul_f32_e32 v5, v117, v11
	v_fma_f32 v6, v114, v8, -v7
	v_add_f32_e32 v2, v3, v2
	v_dual_mul_f32 v146, v118, v13 :: v_dual_mul_f32 v147, v120, v15
	v_dual_add_f32 v3, v4, v143 :: v_dual_mul_f32 v4, v119, v13
	v_fma_f32 v5, v116, v10, -v5
	s_delay_alu instid0(VALU_DEP_4)
	v_add_f32_e32 v2, v2, v6
	v_fmac_f32_e32 v145, v117, v10
	v_mul_f32_e32 v6, v121, v15
	v_fmac_f32_e32 v146, v119, v12
	v_add_f32_e32 v3, v3, v144
	v_fma_f32 v4, v118, v12, -v4
	v_add_f32_e32 v2, v2, v5
	v_dual_mul_f32 v148, v122, v17 :: v_dual_mul_f32 v149, v124, v19
	s_delay_alu instid0(VALU_DEP_4)
	v_add_f32_e32 v3, v3, v145
	v_mul_f32_e32 v5, v123, v17
	v_fma_f32 v6, v120, v14, -v6
	v_dual_add_f32 v2, v2, v4 :: v_dual_fmac_f32 v147, v121, v14
	v_fmac_f32_e32 v148, v123, v16
	v_mul_f32_e32 v4, v125, v19
	v_fma_f32 v5, v122, v16, -v5
	s_delay_alu instid0(VALU_DEP_4) | instskip(SKIP_3) | instid1(VALU_DEP_3)
	v_add_f32_e32 v2, v2, v6
	v_add_f32_e32 v3, v3, v146
	v_dual_mul_f32 v6, v127, v21 :: v_dual_fmac_f32 v149, v125, v18
	v_fma_f32 v4, v124, v18, -v4
	v_dual_add_f32 v2, v2, v5 :: v_dual_add_f32 v3, v3, v147
	s_delay_alu instid0(VALU_DEP_3) | instskip(SKIP_1) | instid1(VALU_DEP_3)
	v_fma_f32 v6, v126, v20, -v6
	v_dual_mul_f32 v151, v128, v25 :: v_dual_mul_f32 v152, v130, v27
	v_add_f32_e32 v2, v2, v4
	s_delay_alu instid0(VALU_DEP_4) | instskip(SKIP_1) | instid1(VALU_DEP_4)
	v_add_f32_e32 v3, v3, v148
	v_dual_mul_f32 v5, v129, v25 :: v_dual_fmac_f32 v150, v127, v20
	v_dual_mul_f32 v4, v131, v27 :: v_dual_fmac_f32 v151, v129, v24
	s_delay_alu instid0(VALU_DEP_3) | instskip(NEXT) | instid1(VALU_DEP_3)
	v_dual_add_f32 v2, v2, v6 :: v_dual_add_f32 v3, v3, v149
	v_fma_f32 v5, v128, v24, -v5
	v_dual_mul_f32 v153, v132, v105 :: v_dual_mul_f32 v154, v134, v107
	s_delay_alu instid0(VALU_DEP_3) | instskip(NEXT) | instid1(VALU_DEP_2)
	v_dual_mul_f32 v6, v133, v105 :: v_dual_add_f32 v3, v3, v150
	v_dual_fmac_f32 v152, v131, v26 :: v_dual_fmac_f32 v153, v133, v104
	v_fma_f32 v4, v130, v26, -v4
	s_delay_alu instid0(VALU_DEP_3) | instskip(SKIP_3) | instid1(VALU_DEP_4)
	v_dual_add_f32 v2, v2, v5 :: v_dual_add_f32 v3, v3, v151
	v_mul_f32_e32 v5, v135, v107
	v_fma_f32 v6, v132, v104, -v6
	v_dual_fmac_f32 v154, v135, v106 :: v_dual_fmac_f32 v155, v141, v136
	v_add_f32_e32 v2, v2, v4
	v_dual_add_f32 v3, v3, v152 :: v_dual_mul_f32 v4, v141, v137
	v_fma_f32 v5, v134, v106, -v5
	s_delay_alu instid0(VALU_DEP_2) | instskip(NEXT) | instid1(VALU_DEP_3)
	v_dual_add_f32 v2, v2, v6 :: v_dual_add_f32 v3, v3, v153
	v_fma_f32 v4, v140, v136, -v4
	s_delay_alu instid0(VALU_DEP_2) | instskip(NEXT) | instid1(VALU_DEP_1)
	v_dual_add_f32 v2, v2, v5 :: v_dual_add_f32 v3, v3, v154
	v_dual_add_f32 v2, v2, v4 :: v_dual_add_f32 v3, v3, v155
	s_wait_loadcnt 0x0
	s_delay_alu instid0(VALU_DEP_1)
	v_dual_sub_f32 v2, v138, v2 :: v_dual_sub_f32 v3, v139, v3
	scratch_store_b64 off, v[2:3], off offset:176
	v_cmpx_lt_u32_e32 21, v0
	s_cbranch_execz .LBB101_199
; %bb.198:
	scratch_load_b64 v[3:4], off, off offset:168
	v_mov_b32_e32 v2, v1
	scratch_store_b64 off, v[1:2], off offset:168
	s_wait_loadcnt 0x0
	ds_store_b64 v23, v[3:4]
.LBB101_199:
	s_wait_alu 0xfffe
	s_or_b32 exec_lo, exec_lo, s0
	s_wait_storecnt_dscnt 0x0
	s_barrier_signal -1
	s_barrier_wait -1
	global_inv scope:SCOPE_SE
	s_clause 0x8
	scratch_load_b128 v[2:5], off, off offset:176
	scratch_load_b128 v[6:9], off, off offset:192
	;; [unrolled: 1-line block ×8, first 2 shown]
	scratch_load_b64 v[144:145], off, off offset:168
	ds_load_b128 v[112:115], v1 offset:480
	ds_load_b128 v[116:119], v1 offset:496
	;; [unrolled: 1-line block ×8, first 2 shown]
	s_mov_b32 s0, exec_lo
	s_wait_loadcnt_dscnt 0x807
	v_dual_mul_f32 v1, v112, v3 :: v_dual_mul_f32 v22, v114, v5
	v_mul_f32_e32 v3, v113, v3
	s_wait_loadcnt_dscnt 0x706
	v_dual_mul_f32 v5, v115, v5 :: v_dual_mul_f32 v146, v116, v7
	v_mul_f32_e32 v147, v118, v9
	s_wait_loadcnt_dscnt 0x201
	v_mul_f32_e32 v156, v136, v105
	v_fma_f32 v3, v112, v2, -v3
	s_wait_loadcnt_dscnt 0x100
	v_dual_mul_f32 v159, v142, v111 :: v_dual_fmac_f32 v22, v115, v4
	v_fmac_f32_e32 v1, v113, v2
	v_mul_f32_e32 v2, v117, v7
	v_fma_f32 v4, v114, v4, -v5
	v_dual_add_f32 v3, 0, v3 :: v_dual_fmac_f32 v146, v117, v6
	v_dual_mul_f32 v148, v120, v11 :: v_dual_mul_f32 v149, v122, v13
	v_dual_mul_f32 v150, v124, v15 :: v_dual_mul_f32 v151, v126, v17
	s_delay_alu instid0(VALU_DEP_2) | instskip(SKIP_1) | instid1(VALU_DEP_3)
	v_dual_mul_f32 v5, v119, v9 :: v_dual_fmac_f32 v148, v121, v10
	v_fma_f32 v2, v116, v6, -v2
	v_dual_add_f32 v3, v3, v4 :: v_dual_fmac_f32 v150, v125, v14
	s_delay_alu instid0(VALU_DEP_3) | instskip(SKIP_1) | instid1(VALU_DEP_3)
	v_fma_f32 v5, v118, v8, -v5
	v_dual_mul_f32 v152, v128, v19 :: v_dual_mul_f32 v153, v130, v21
	v_add_f32_e32 v2, v3, v2
	v_dual_mul_f32 v4, v121, v11 :: v_dual_mul_f32 v3, v123, v13
	s_delay_alu instid0(VALU_DEP_3) | instskip(SKIP_1) | instid1(VALU_DEP_4)
	v_fmac_f32_e32 v152, v129, v18
	v_dual_mul_f32 v154, v132, v25 :: v_dual_mul_f32 v155, v134, v27
	v_add_f32_e32 v2, v2, v5
	v_add_f32_e32 v1, 0, v1
	v_fma_f32 v4, v120, v10, -v4
	v_fma_f32 v3, v122, v12, -v3
	v_fmac_f32_e32 v151, v127, v16
	v_dual_mul_f32 v157, v138, v107 :: v_dual_mul_f32 v158, v140, v109
	s_delay_alu instid0(VALU_DEP_4) | instskip(SKIP_2) | instid1(VALU_DEP_4)
	v_dual_add_f32 v1, v1, v22 :: v_dual_add_f32 v2, v2, v4
	v_mul_f32_e32 v4, v127, v17
	v_fmac_f32_e32 v147, v119, v8
	v_dual_fmac_f32 v155, v135, v26 :: v_dual_fmac_f32 v158, v141, v108
	s_delay_alu instid0(VALU_DEP_4) | instskip(NEXT) | instid1(VALU_DEP_4)
	v_add_f32_e32 v1, v1, v146
	v_fma_f32 v4, v126, v16, -v4
	v_mul_f32_e32 v5, v125, v15
	v_dual_add_f32 v2, v2, v3 :: v_dual_fmac_f32 v157, v139, v106
	s_delay_alu instid0(VALU_DEP_4) | instskip(SKIP_1) | instid1(VALU_DEP_4)
	v_add_f32_e32 v1, v1, v147
	v_fmac_f32_e32 v154, v133, v24
	v_fma_f32 v5, v124, v14, -v5
	v_fmac_f32_e32 v149, v123, v12
	v_dual_fmac_f32 v159, v143, v110 :: v_dual_fmac_f32 v156, v137, v104
	s_delay_alu instid0(VALU_DEP_3) | instskip(NEXT) | instid1(VALU_DEP_1)
	v_add_f32_e32 v2, v2, v5
	v_dual_mul_f32 v5, v131, v21 :: v_dual_add_f32 v2, v2, v4
	s_delay_alu instid0(VALU_DEP_1) | instskip(SKIP_2) | instid1(VALU_DEP_2)
	v_fma_f32 v5, v130, v20, -v5
	v_mul_f32_e32 v3, v129, v19
	v_mul_f32_e32 v4, v133, v25
	v_fma_f32 v3, v128, v18, -v3
	v_add_f32_e32 v1, v1, v148
	s_delay_alu instid0(VALU_DEP_3) | instskip(NEXT) | instid1(VALU_DEP_3)
	v_fma_f32 v4, v132, v24, -v4
	v_add_f32_e32 v2, v2, v3
	s_delay_alu instid0(VALU_DEP_1) | instskip(NEXT) | instid1(VALU_DEP_4)
	v_dual_mul_f32 v3, v135, v27 :: v_dual_add_f32 v2, v2, v5
	v_add_f32_e32 v1, v1, v149
	s_delay_alu instid0(VALU_DEP_2) | instskip(NEXT) | instid1(VALU_DEP_2)
	v_fma_f32 v3, v134, v26, -v3
	v_dual_add_f32 v2, v2, v4 :: v_dual_add_f32 v1, v1, v150
	v_mul_f32_e32 v4, v139, v107
	s_delay_alu instid0(VALU_DEP_2) | instskip(SKIP_1) | instid1(VALU_DEP_3)
	v_dual_fmac_f32 v153, v131, v20 :: v_dual_add_f32 v2, v2, v3
	v_mul_f32_e32 v3, v141, v109
	v_fma_f32 v4, v138, v106, -v4
	v_mul_f32_e32 v5, v137, v105
	s_delay_alu instid0(VALU_DEP_3) | instskip(NEXT) | instid1(VALU_DEP_2)
	v_fma_f32 v3, v140, v108, -v3
	v_fma_f32 v5, v136, v104, -v5
	s_delay_alu instid0(VALU_DEP_1) | instskip(NEXT) | instid1(VALU_DEP_1)
	v_dual_add_f32 v1, v1, v151 :: v_dual_add_f32 v2, v2, v5
	v_dual_mul_f32 v5, v143, v111 :: v_dual_add_f32 v2, v2, v4
	s_delay_alu instid0(VALU_DEP_2) | instskip(NEXT) | instid1(VALU_DEP_2)
	v_add_f32_e32 v1, v1, v152
	v_fma_f32 v4, v142, v110, -v5
	s_delay_alu instid0(VALU_DEP_2) | instskip(NEXT) | instid1(VALU_DEP_1)
	v_dual_add_f32 v2, v2, v3 :: v_dual_add_f32 v1, v1, v153
	v_dual_add_f32 v2, v2, v4 :: v_dual_add_f32 v1, v1, v154
	s_delay_alu instid0(VALU_DEP_1) | instskip(NEXT) | instid1(VALU_DEP_1)
	v_add_f32_e32 v1, v1, v155
	v_add_f32_e32 v1, v1, v156
	s_delay_alu instid0(VALU_DEP_1) | instskip(NEXT) | instid1(VALU_DEP_1)
	v_add_f32_e32 v1, v1, v157
	v_add_f32_e32 v1, v1, v158
	s_delay_alu instid0(VALU_DEP_1) | instskip(SKIP_1) | instid1(VALU_DEP_1)
	v_add_f32_e32 v3, v1, v159
	s_wait_loadcnt 0x0
	v_dual_sub_f32 v1, v144, v2 :: v_dual_sub_f32 v2, v145, v3
	scratch_store_b64 off, v[1:2], off offset:168
	v_cmpx_lt_u32_e32 20, v0
	s_cbranch_execz .LBB101_201
; %bb.200:
	scratch_load_b64 v[1:2], off, off offset:160
	v_mov_b32_e32 v3, 0
	s_delay_alu instid0(VALU_DEP_1)
	v_mov_b32_e32 v4, v3
	scratch_store_b64 off, v[3:4], off offset:160
	s_wait_loadcnt 0x0
	ds_store_b64 v23, v[1:2]
.LBB101_201:
	s_wait_alu 0xfffe
	s_or_b32 exec_lo, exec_lo, s0
	s_wait_storecnt_dscnt 0x0
	s_barrier_signal -1
	s_barrier_wait -1
	global_inv scope:SCOPE_SE
	s_clause 0x9
	scratch_load_b128 v[2:5], off, off offset:168
	scratch_load_b128 v[6:9], off, off offset:184
	;; [unrolled: 1-line block ×8, first 2 shown]
	scratch_load_b64 v[144:145], off, off offset:296
	scratch_load_b64 v[146:147], off, off offset:160
	v_mov_b32_e32 v1, 0
	ds_load_2addr_b64 v[112:115], v1 offset0:59 offset1:60
	ds_load_2addr_b64 v[116:119], v1 offset0:61 offset1:62
	;; [unrolled: 1-line block ×8, first 2 shown]
	ds_load_b64 v[148:149], v1 offset:600
	s_mov_b32 s0, exec_lo
	s_wait_loadcnt_dscnt 0x908
	v_mul_f32_e32 v22, v112, v3
	v_dual_mul_f32 v3, v113, v3 :: v_dual_mul_f32 v150, v114, v5
	s_wait_loadcnt_dscnt 0x504
	v_dual_mul_f32 v151, v116, v7 :: v_dual_mul_f32 v158, v130, v21
	v_mul_f32_e32 v5, v115, v5
	s_delay_alu instid0(VALU_DEP_3)
	v_fma_f32 v3, v112, v2, -v3
	v_dual_mul_f32 v152, v118, v9 :: v_dual_mul_f32 v153, v120, v11
	s_wait_loadcnt_dscnt 0x100
	v_dual_mul_f32 v165, v148, v145 :: v_dual_fmac_f32 v22, v113, v2
	v_mul_f32_e32 v2, v117, v7
	v_dual_fmac_f32 v150, v115, v4 :: v_dual_add_f32 v3, 0, v3
	v_fma_f32 v4, v114, v4, -v5
	s_delay_alu instid0(VALU_DEP_4) | instskip(SKIP_2) | instid1(VALU_DEP_4)
	v_dual_add_f32 v5, 0, v22 :: v_dual_fmac_f32 v152, v119, v8
	v_mul_f32_e32 v7, v119, v9
	v_fma_f32 v2, v116, v6, -v2
	v_add_f32_e32 v3, v3, v4
	v_fmac_f32_e32 v151, v117, v6
	v_add_f32_e32 v4, v5, v150
	v_mul_f32_e32 v5, v121, v11
	v_fma_f32 v6, v118, v8, -v7
	v_add_f32_e32 v2, v3, v2
	v_dual_mul_f32 v154, v122, v13 :: v_dual_mul_f32 v155, v124, v15
	v_dual_add_f32 v3, v4, v151 :: v_dual_mul_f32 v4, v123, v13
	v_fma_f32 v5, v120, v10, -v5
	s_delay_alu instid0(VALU_DEP_4)
	v_add_f32_e32 v2, v2, v6
	v_fmac_f32_e32 v153, v121, v10
	v_mul_f32_e32 v6, v125, v15
	v_fmac_f32_e32 v154, v123, v12
	v_add_f32_e32 v3, v3, v152
	v_fma_f32 v4, v122, v12, -v4
	v_add_f32_e32 v2, v2, v5
	v_dual_mul_f32 v156, v126, v17 :: v_dual_mul_f32 v157, v128, v19
	s_delay_alu instid0(VALU_DEP_4)
	v_add_f32_e32 v3, v3, v153
	v_mul_f32_e32 v5, v127, v17
	v_fma_f32 v6, v124, v14, -v6
	v_dual_add_f32 v2, v2, v4 :: v_dual_fmac_f32 v155, v125, v14
	v_fmac_f32_e32 v156, v127, v16
	v_mul_f32_e32 v4, v129, v19
	v_fma_f32 v5, v126, v16, -v5
	s_delay_alu instid0(VALU_DEP_4) | instskip(SKIP_3) | instid1(VALU_DEP_3)
	v_add_f32_e32 v2, v2, v6
	v_add_f32_e32 v3, v3, v154
	v_dual_mul_f32 v6, v131, v21 :: v_dual_fmac_f32 v157, v129, v18
	v_fma_f32 v4, v128, v18, -v4
	v_dual_add_f32 v2, v2, v5 :: v_dual_add_f32 v3, v3, v155
	s_delay_alu instid0(VALU_DEP_3) | instskip(SKIP_1) | instid1(VALU_DEP_3)
	v_fma_f32 v6, v130, v20, -v6
	v_dual_mul_f32 v159, v132, v25 :: v_dual_mul_f32 v160, v134, v27
	v_add_f32_e32 v2, v2, v4
	s_delay_alu instid0(VALU_DEP_4) | instskip(SKIP_1) | instid1(VALU_DEP_4)
	v_add_f32_e32 v3, v3, v156
	v_dual_mul_f32 v5, v133, v25 :: v_dual_fmac_f32 v158, v131, v20
	v_dual_mul_f32 v4, v135, v27 :: v_dual_fmac_f32 v159, v133, v24
	s_delay_alu instid0(VALU_DEP_3) | instskip(NEXT) | instid1(VALU_DEP_3)
	v_dual_add_f32 v2, v2, v6 :: v_dual_add_f32 v3, v3, v157
	v_fma_f32 v5, v132, v24, -v5
	v_dual_mul_f32 v161, v136, v105 :: v_dual_mul_f32 v162, v138, v107
	s_delay_alu instid0(VALU_DEP_3) | instskip(NEXT) | instid1(VALU_DEP_2)
	v_dual_mul_f32 v6, v137, v105 :: v_dual_add_f32 v3, v3, v158
	v_dual_fmac_f32 v160, v135, v26 :: v_dual_fmac_f32 v161, v137, v104
	v_fma_f32 v4, v134, v26, -v4
	s_delay_alu instid0(VALU_DEP_3) | instskip(SKIP_3) | instid1(VALU_DEP_4)
	v_dual_add_f32 v2, v2, v5 :: v_dual_add_f32 v3, v3, v159
	v_mul_f32_e32 v5, v139, v107
	v_fma_f32 v6, v136, v104, -v6
	v_dual_mul_f32 v163, v140, v109 :: v_dual_mul_f32 v164, v142, v111
	v_add_f32_e32 v2, v2, v4
	v_dual_add_f32 v3, v3, v160 :: v_dual_mul_f32 v4, v141, v109
	s_delay_alu instid0(VALU_DEP_3) | instskip(SKIP_1) | instid1(VALU_DEP_3)
	v_dual_fmac_f32 v162, v139, v106 :: v_dual_fmac_f32 v163, v141, v108
	v_fma_f32 v5, v138, v106, -v5
	v_dual_add_f32 v2, v2, v6 :: v_dual_add_f32 v3, v3, v161
	v_mul_f32_e32 v6, v143, v111
	v_fma_f32 v4, v140, v108, -v4
	v_dual_fmac_f32 v164, v143, v110 :: v_dual_fmac_f32 v165, v149, v144
	s_delay_alu instid0(VALU_DEP_4) | instskip(SKIP_2) | instid1(VALU_DEP_3)
	v_dual_add_f32 v2, v2, v5 :: v_dual_add_f32 v3, v3, v162
	v_mul_f32_e32 v5, v149, v145
	v_fma_f32 v6, v142, v110, -v6
	v_dual_add_f32 v2, v2, v4 :: v_dual_add_f32 v3, v3, v163
	s_delay_alu instid0(VALU_DEP_3) | instskip(NEXT) | instid1(VALU_DEP_2)
	v_fma_f32 v4, v148, v144, -v5
	v_dual_add_f32 v2, v2, v6 :: v_dual_add_f32 v3, v3, v164
	s_delay_alu instid0(VALU_DEP_1) | instskip(SKIP_1) | instid1(VALU_DEP_1)
	v_dual_add_f32 v2, v2, v4 :: v_dual_add_f32 v3, v3, v165
	s_wait_loadcnt 0x0
	v_dual_sub_f32 v2, v146, v2 :: v_dual_sub_f32 v3, v147, v3
	scratch_store_b64 off, v[2:3], off offset:160
	v_cmpx_lt_u32_e32 19, v0
	s_cbranch_execz .LBB101_203
; %bb.202:
	scratch_load_b64 v[3:4], off, off offset:152
	v_mov_b32_e32 v2, v1
	scratch_store_b64 off, v[1:2], off offset:152
	s_wait_loadcnt 0x0
	ds_store_b64 v23, v[3:4]
.LBB101_203:
	s_wait_alu 0xfffe
	s_or_b32 exec_lo, exec_lo, s0
	s_wait_storecnt_dscnt 0x0
	s_barrier_signal -1
	s_barrier_wait -1
	global_inv scope:SCOPE_SE
	s_clause 0x9
	scratch_load_b128 v[2:5], off, off offset:160
	scratch_load_b128 v[6:9], off, off offset:176
	;; [unrolled: 1-line block ×9, first 2 shown]
	scratch_load_b64 v[152:153], off, off offset:152
	ds_load_b128 v[116:119], v1 offset:464
	ds_load_b128 v[120:123], v1 offset:480
	;; [unrolled: 1-line block ×9, first 2 shown]
	s_mov_b32 s0, exec_lo
	s_wait_loadcnt_dscnt 0x908
	v_dual_mul_f32 v1, v116, v3 :: v_dual_mul_f32 v22, v118, v5
	v_mul_f32_e32 v5, v119, v5
	v_mul_f32_e32 v3, v117, v3
	s_wait_loadcnt_dscnt 0x807
	v_dual_mul_f32 v154, v120, v7 :: v_dual_mul_f32 v155, v122, v9
	s_wait_loadcnt_dscnt 0x201
	v_dual_fmac_f32 v1, v117, v2 :: v_dual_mul_f32 v166, v144, v109
	v_fma_f32 v3, v116, v2, -v3
	s_wait_loadcnt_dscnt 0x100
	v_dual_mul_f32 v169, v150, v115 :: v_dual_fmac_f32 v22, v119, v4
	v_mul_f32_e32 v2, v121, v7
	v_fma_f32 v4, v118, v4, -v5
	v_dual_add_f32 v3, 0, v3 :: v_dual_fmac_f32 v154, v121, v6
	v_dual_mul_f32 v156, v124, v11 :: v_dual_mul_f32 v157, v126, v13
	v_dual_mul_f32 v158, v128, v15 :: v_dual_mul_f32 v159, v130, v17
	s_delay_alu instid0(VALU_DEP_2) | instskip(SKIP_1) | instid1(VALU_DEP_3)
	v_dual_mul_f32 v5, v123, v9 :: v_dual_fmac_f32 v156, v125, v10
	v_fma_f32 v2, v120, v6, -v2
	v_dual_add_f32 v3, v3, v4 :: v_dual_fmac_f32 v158, v129, v14
	s_delay_alu instid0(VALU_DEP_3) | instskip(SKIP_1) | instid1(VALU_DEP_3)
	v_fma_f32 v5, v122, v8, -v5
	v_dual_mul_f32 v160, v132, v19 :: v_dual_mul_f32 v161, v134, v21
	v_add_f32_e32 v2, v3, v2
	v_dual_mul_f32 v4, v125, v11 :: v_dual_mul_f32 v3, v127, v13
	s_delay_alu instid0(VALU_DEP_3) | instskip(SKIP_1) | instid1(VALU_DEP_4)
	v_fmac_f32_e32 v160, v133, v18
	v_dual_mul_f32 v162, v136, v25 :: v_dual_mul_f32 v163, v138, v27
	v_add_f32_e32 v2, v2, v5
	v_add_f32_e32 v1, 0, v1
	v_fma_f32 v4, v124, v10, -v4
	v_fma_f32 v3, v126, v12, -v3
	v_dual_fmac_f32 v159, v131, v16 :: v_dual_mul_f32 v164, v140, v105
	v_mul_f32_e32 v165, v142, v107
	s_delay_alu instid0(VALU_DEP_4) | instskip(SKIP_3) | instid1(VALU_DEP_4)
	v_dual_add_f32 v1, v1, v22 :: v_dual_add_f32 v2, v2, v4
	v_mul_f32_e32 v4, v131, v17
	v_fmac_f32_e32 v155, v123, v8
	v_dual_mul_f32 v167, v146, v111 :: v_dual_mul_f32 v168, v148, v113
	v_add_f32_e32 v1, v1, v154
	s_delay_alu instid0(VALU_DEP_4) | instskip(SKIP_2) | instid1(VALU_DEP_4)
	v_fma_f32 v4, v130, v16, -v4
	v_mul_f32_e32 v5, v129, v15
	v_dual_add_f32 v2, v2, v3 :: v_dual_fmac_f32 v165, v143, v106
	v_add_f32_e32 v1, v1, v155
	v_dual_fmac_f32 v163, v139, v26 :: v_dual_fmac_f32 v166, v145, v108
	s_delay_alu instid0(VALU_DEP_4) | instskip(SKIP_3) | instid1(VALU_DEP_4)
	v_fma_f32 v5, v128, v14, -v5
	v_fmac_f32_e32 v157, v127, v12
	v_dual_fmac_f32 v162, v137, v24 :: v_dual_fmac_f32 v169, v151, v114
	v_fmac_f32_e32 v164, v141, v104
	v_add_f32_e32 v2, v2, v5
	v_dual_mul_f32 v5, v135, v21 :: v_dual_fmac_f32 v168, v149, v112
	s_delay_alu instid0(VALU_DEP_2) | instskip(NEXT) | instid1(VALU_DEP_2)
	v_add_f32_e32 v2, v2, v4
	v_fma_f32 v5, v134, v20, -v5
	v_mul_f32_e32 v3, v133, v19
	v_mul_f32_e32 v4, v137, v25
	s_delay_alu instid0(VALU_DEP_2) | instskip(SKIP_1) | instid1(VALU_DEP_3)
	v_fma_f32 v3, v132, v18, -v3
	v_add_f32_e32 v1, v1, v156
	v_fma_f32 v4, v136, v24, -v4
	s_delay_alu instid0(VALU_DEP_3) | instskip(NEXT) | instid1(VALU_DEP_1)
	v_add_f32_e32 v2, v2, v3
	v_dual_mul_f32 v3, v139, v27 :: v_dual_add_f32 v2, v2, v5
	s_delay_alu instid0(VALU_DEP_4) | instskip(NEXT) | instid1(VALU_DEP_2)
	v_add_f32_e32 v1, v1, v157
	v_fma_f32 v3, v138, v26, -v3
	s_delay_alu instid0(VALU_DEP_2) | instskip(SKIP_1) | instid1(VALU_DEP_2)
	v_dual_add_f32 v2, v2, v4 :: v_dual_add_f32 v1, v1, v158
	v_mul_f32_e32 v4, v143, v107
	v_dual_fmac_f32 v161, v135, v20 :: v_dual_add_f32 v2, v2, v3
	v_mul_f32_e32 v3, v145, v109
	s_delay_alu instid0(VALU_DEP_3) | instskip(SKIP_1) | instid1(VALU_DEP_3)
	v_fma_f32 v4, v142, v106, -v4
	v_mul_f32_e32 v5, v141, v105
	v_fma_f32 v3, v144, v108, -v3
	s_delay_alu instid0(VALU_DEP_2) | instskip(NEXT) | instid1(VALU_DEP_1)
	v_fma_f32 v5, v140, v104, -v5
	v_dual_add_f32 v1, v1, v159 :: v_dual_add_f32 v2, v2, v5
	s_delay_alu instid0(VALU_DEP_1) | instskip(NEXT) | instid1(VALU_DEP_2)
	v_dual_mul_f32 v5, v147, v111 :: v_dual_add_f32 v2, v2, v4
	v_add_f32_e32 v1, v1, v160
	v_mul_f32_e32 v4, v149, v113
	s_delay_alu instid0(VALU_DEP_3) | instskip(NEXT) | instid1(VALU_DEP_4)
	v_fma_f32 v5, v146, v110, -v5
	v_dual_add_f32 v2, v2, v3 :: v_dual_fmac_f32 v167, v147, v110
	v_mul_f32_e32 v3, v151, v115
	s_delay_alu instid0(VALU_DEP_4) | instskip(NEXT) | instid1(VALU_DEP_3)
	v_fma_f32 v4, v148, v112, -v4
	v_add_f32_e32 v2, v2, v5
	v_add_f32_e32 v1, v1, v161
	s_delay_alu instid0(VALU_DEP_4) | instskip(NEXT) | instid1(VALU_DEP_2)
	v_fma_f32 v3, v150, v114, -v3
	v_dual_add_f32 v2, v2, v4 :: v_dual_add_f32 v1, v1, v162
	s_delay_alu instid0(VALU_DEP_1) | instskip(NEXT) | instid1(VALU_DEP_2)
	v_add_f32_e32 v2, v2, v3
	v_add_f32_e32 v1, v1, v163
	s_delay_alu instid0(VALU_DEP_1) | instskip(NEXT) | instid1(VALU_DEP_1)
	v_add_f32_e32 v1, v1, v164
	v_add_f32_e32 v1, v1, v165
	s_delay_alu instid0(VALU_DEP_1) | instskip(NEXT) | instid1(VALU_DEP_1)
	;; [unrolled: 3-line block ×3, first 2 shown]
	v_add_f32_e32 v1, v1, v168
	v_add_f32_e32 v3, v1, v169
	s_wait_loadcnt 0x0
	s_delay_alu instid0(VALU_DEP_1)
	v_dual_sub_f32 v1, v152, v2 :: v_dual_sub_f32 v2, v153, v3
	scratch_store_b64 off, v[1:2], off offset:152
	v_cmpx_lt_u32_e32 18, v0
	s_cbranch_execz .LBB101_205
; %bb.204:
	scratch_load_b64 v[1:2], off, off offset:144
	v_mov_b32_e32 v3, 0
	s_delay_alu instid0(VALU_DEP_1)
	v_mov_b32_e32 v4, v3
	scratch_store_b64 off, v[3:4], off offset:144
	s_wait_loadcnt 0x0
	ds_store_b64 v23, v[1:2]
.LBB101_205:
	s_wait_alu 0xfffe
	s_or_b32 exec_lo, exec_lo, s0
	s_wait_storecnt_dscnt 0x0
	s_barrier_signal -1
	s_barrier_wait -1
	global_inv scope:SCOPE_SE
	s_clause 0xa
	scratch_load_b128 v[2:5], off, off offset:152
	scratch_load_b128 v[6:9], off, off offset:168
	;; [unrolled: 1-line block ×9, first 2 shown]
	scratch_load_b64 v[152:153], off, off offset:296
	scratch_load_b64 v[154:155], off, off offset:144
	v_mov_b32_e32 v1, 0
	ds_load_2addr_b64 v[116:119], v1 offset0:57 offset1:58
	ds_load_2addr_b64 v[120:123], v1 offset0:59 offset1:60
	ds_load_2addr_b64 v[124:127], v1 offset0:61 offset1:62
	ds_load_2addr_b64 v[128:131], v1 offset0:63 offset1:64
	ds_load_2addr_b64 v[132:135], v1 offset0:65 offset1:66
	ds_load_2addr_b64 v[136:139], v1 offset0:67 offset1:68
	ds_load_2addr_b64 v[140:143], v1 offset0:69 offset1:70
	ds_load_2addr_b64 v[144:147], v1 offset0:71 offset1:72
	ds_load_2addr_b64 v[148:151], v1 offset0:73 offset1:74
	ds_load_b64 v[156:157], v1 offset:600
	s_mov_b32 s0, exec_lo
	s_wait_loadcnt_dscnt 0xa09
	v_mul_f32_e32 v22, v116, v3
	v_dual_mul_f32 v3, v117, v3 :: v_dual_mul_f32 v158, v118, v5
	s_wait_loadcnt_dscnt 0x605
	v_dual_mul_f32 v159, v120, v7 :: v_dual_mul_f32 v166, v134, v21
	v_mul_f32_e32 v5, v119, v5
	s_delay_alu instid0(VALU_DEP_3)
	v_fma_f32 v3, v116, v2, -v3
	v_dual_mul_f32 v160, v122, v9 :: v_dual_mul_f32 v161, v124, v11
	s_wait_loadcnt_dscnt 0x100
	v_dual_mul_f32 v175, v156, v153 :: v_dual_fmac_f32 v22, v117, v2
	v_mul_f32_e32 v2, v121, v7
	v_dual_fmac_f32 v158, v119, v4 :: v_dual_add_f32 v3, 0, v3
	v_fma_f32 v4, v118, v4, -v5
	s_delay_alu instid0(VALU_DEP_4) | instskip(SKIP_2) | instid1(VALU_DEP_4)
	v_dual_add_f32 v5, 0, v22 :: v_dual_fmac_f32 v160, v123, v8
	v_mul_f32_e32 v7, v123, v9
	v_fma_f32 v2, v120, v6, -v2
	v_add_f32_e32 v3, v3, v4
	v_fmac_f32_e32 v159, v121, v6
	v_add_f32_e32 v4, v5, v158
	v_mul_f32_e32 v5, v125, v11
	v_fma_f32 v6, v122, v8, -v7
	v_add_f32_e32 v2, v3, v2
	v_dual_mul_f32 v162, v126, v13 :: v_dual_mul_f32 v163, v128, v15
	v_dual_add_f32 v3, v4, v159 :: v_dual_mul_f32 v4, v127, v13
	v_fma_f32 v5, v124, v10, -v5
	s_delay_alu instid0(VALU_DEP_4)
	v_add_f32_e32 v2, v2, v6
	v_fmac_f32_e32 v161, v125, v10
	v_mul_f32_e32 v6, v129, v15
	v_fmac_f32_e32 v162, v127, v12
	v_add_f32_e32 v3, v3, v160
	v_fma_f32 v4, v126, v12, -v4
	v_add_f32_e32 v2, v2, v5
	v_dual_mul_f32 v164, v130, v17 :: v_dual_mul_f32 v165, v132, v19
	s_delay_alu instid0(VALU_DEP_4)
	v_add_f32_e32 v3, v3, v161
	v_mul_f32_e32 v5, v131, v17
	v_fma_f32 v6, v128, v14, -v6
	v_dual_add_f32 v2, v2, v4 :: v_dual_fmac_f32 v163, v129, v14
	v_fmac_f32_e32 v164, v131, v16
	v_mul_f32_e32 v4, v133, v19
	v_fma_f32 v5, v130, v16, -v5
	s_delay_alu instid0(VALU_DEP_4) | instskip(SKIP_3) | instid1(VALU_DEP_3)
	v_add_f32_e32 v2, v2, v6
	v_add_f32_e32 v3, v3, v162
	v_dual_mul_f32 v6, v135, v21 :: v_dual_fmac_f32 v165, v133, v18
	v_fma_f32 v4, v132, v18, -v4
	v_dual_add_f32 v2, v2, v5 :: v_dual_add_f32 v3, v3, v163
	s_delay_alu instid0(VALU_DEP_3) | instskip(SKIP_1) | instid1(VALU_DEP_3)
	v_fma_f32 v6, v134, v20, -v6
	v_dual_mul_f32 v167, v136, v25 :: v_dual_mul_f32 v168, v138, v27
	v_add_f32_e32 v2, v2, v4
	s_delay_alu instid0(VALU_DEP_4) | instskip(SKIP_1) | instid1(VALU_DEP_4)
	v_add_f32_e32 v3, v3, v164
	v_dual_mul_f32 v5, v137, v25 :: v_dual_fmac_f32 v166, v135, v20
	v_dual_mul_f32 v4, v139, v27 :: v_dual_fmac_f32 v167, v137, v24
	s_delay_alu instid0(VALU_DEP_3) | instskip(NEXT) | instid1(VALU_DEP_3)
	v_dual_add_f32 v2, v2, v6 :: v_dual_add_f32 v3, v3, v165
	v_fma_f32 v5, v136, v24, -v5
	v_dual_mul_f32 v169, v140, v105 :: v_dual_mul_f32 v170, v142, v107
	s_delay_alu instid0(VALU_DEP_3) | instskip(NEXT) | instid1(VALU_DEP_2)
	v_dual_mul_f32 v6, v141, v105 :: v_dual_add_f32 v3, v3, v166
	v_dual_fmac_f32 v168, v139, v26 :: v_dual_fmac_f32 v169, v141, v104
	v_fma_f32 v4, v138, v26, -v4
	s_delay_alu instid0(VALU_DEP_3) | instskip(SKIP_3) | instid1(VALU_DEP_4)
	v_dual_add_f32 v2, v2, v5 :: v_dual_add_f32 v3, v3, v167
	v_mul_f32_e32 v5, v143, v107
	v_fma_f32 v6, v140, v104, -v6
	v_dual_mul_f32 v171, v144, v109 :: v_dual_mul_f32 v172, v146, v111
	v_add_f32_e32 v2, v2, v4
	v_dual_add_f32 v3, v3, v168 :: v_dual_mul_f32 v4, v145, v109
	s_delay_alu instid0(VALU_DEP_3) | instskip(SKIP_1) | instid1(VALU_DEP_3)
	v_dual_fmac_f32 v170, v143, v106 :: v_dual_fmac_f32 v171, v145, v108
	v_fma_f32 v5, v142, v106, -v5
	v_dual_add_f32 v2, v2, v6 :: v_dual_add_f32 v3, v3, v169
	v_mul_f32_e32 v6, v147, v111
	v_fma_f32 v4, v144, v108, -v4
	v_dual_mul_f32 v173, v148, v113 :: v_dual_mul_f32 v174, v150, v115
	s_delay_alu instid0(VALU_DEP_4) | instskip(SKIP_1) | instid1(VALU_DEP_3)
	v_dual_add_f32 v2, v2, v5 :: v_dual_add_f32 v3, v3, v170
	v_dual_mul_f32 v5, v149, v113 :: v_dual_fmac_f32 v172, v147, v110
	v_fmac_f32_e32 v173, v149, v112
	v_fma_f32 v6, v146, v110, -v6
	s_delay_alu instid0(VALU_DEP_4) | instskip(SKIP_2) | instid1(VALU_DEP_3)
	v_dual_add_f32 v2, v2, v4 :: v_dual_add_f32 v3, v3, v171
	v_dual_mul_f32 v4, v151, v115 :: v_dual_fmac_f32 v175, v157, v152
	v_fma_f32 v5, v148, v112, -v5
	v_dual_add_f32 v2, v2, v6 :: v_dual_add_f32 v3, v3, v172
	v_fmac_f32_e32 v174, v151, v114
	s_delay_alu instid0(VALU_DEP_4) | instskip(NEXT) | instid1(VALU_DEP_3)
	v_fma_f32 v4, v150, v114, -v4
	v_add_f32_e32 v3, v3, v173
	s_delay_alu instid0(VALU_DEP_1) | instskip(SKIP_1) | instid1(VALU_DEP_2)
	v_dual_mul_f32 v6, v157, v153 :: v_dual_add_f32 v3, v3, v174
	v_add_f32_e32 v2, v2, v5
	v_fma_f32 v5, v156, v152, -v6
	s_delay_alu instid0(VALU_DEP_2) | instskip(SKIP_1) | instid1(VALU_DEP_1)
	v_dual_add_f32 v3, v3, v175 :: v_dual_add_f32 v2, v2, v4
	s_wait_loadcnt 0x0
	v_dual_sub_f32 v3, v155, v3 :: v_dual_add_f32 v2, v2, v5
	s_delay_alu instid0(VALU_DEP_1)
	v_sub_f32_e32 v2, v154, v2
	scratch_store_b64 off, v[2:3], off offset:144
	v_cmpx_lt_u32_e32 17, v0
	s_cbranch_execz .LBB101_207
; %bb.206:
	scratch_load_b64 v[3:4], off, off offset:136
	v_mov_b32_e32 v2, v1
	scratch_store_b64 off, v[1:2], off offset:136
	s_wait_loadcnt 0x0
	ds_store_b64 v23, v[3:4]
.LBB101_207:
	s_wait_alu 0xfffe
	s_or_b32 exec_lo, exec_lo, s0
	s_wait_storecnt_dscnt 0x0
	s_barrier_signal -1
	s_barrier_wait -1
	global_inv scope:SCOPE_SE
	s_clause 0xa
	scratch_load_b128 v[2:5], off, off offset:144
	scratch_load_b128 v[6:9], off, off offset:160
	;; [unrolled: 1-line block ×10, first 2 shown]
	scratch_load_b64 v[160:161], off, off offset:136
	ds_load_b128 v[120:123], v1 offset:448
	ds_load_b128 v[124:127], v1 offset:464
	;; [unrolled: 1-line block ×10, first 2 shown]
	s_mov_b32 s0, exec_lo
	s_wait_loadcnt_dscnt 0xa09
	v_dual_mul_f32 v1, v120, v3 :: v_dual_mul_f32 v22, v122, v5
	s_wait_loadcnt_dscnt 0x908
	v_dual_mul_f32 v5, v123, v5 :: v_dual_mul_f32 v162, v124, v7
	v_mul_f32_e32 v163, v126, v9
	v_mul_f32_e32 v3, v121, v3
	v_dual_fmac_f32 v1, v121, v2 :: v_dual_fmac_f32 v22, v123, v4
	s_wait_loadcnt_dscnt 0x100
	v_dual_mul_f32 v176, v152, v113 :: v_dual_mul_f32 v179, v158, v119
	s_delay_alu instid0(VALU_DEP_3) | instskip(SKIP_3) | instid1(VALU_DEP_4)
	v_fma_f32 v3, v120, v2, -v3
	v_mul_f32_e32 v2, v125, v7
	v_fma_f32 v4, v122, v4, -v5
	v_dual_mul_f32 v164, v128, v11 :: v_dual_mul_f32 v165, v130, v13
	v_dual_add_f32 v3, 0, v3 :: v_dual_fmac_f32 v162, v125, v6
	v_dual_mul_f32 v166, v132, v15 :: v_dual_mul_f32 v167, v134, v17
	s_delay_alu instid0(VALU_DEP_3) | instskip(SKIP_1) | instid1(VALU_DEP_3)
	v_dual_mul_f32 v5, v127, v9 :: v_dual_fmac_f32 v164, v129, v10
	v_fma_f32 v2, v124, v6, -v2
	v_dual_add_f32 v3, v3, v4 :: v_dual_fmac_f32 v166, v133, v14
	s_delay_alu instid0(VALU_DEP_3) | instskip(SKIP_1) | instid1(VALU_DEP_3)
	v_fma_f32 v5, v126, v8, -v5
	v_dual_mul_f32 v168, v136, v19 :: v_dual_mul_f32 v169, v138, v21
	v_add_f32_e32 v2, v3, v2
	v_dual_mul_f32 v3, v131, v13 :: v_dual_mul_f32 v4, v129, v11
	s_delay_alu instid0(VALU_DEP_3) | instskip(SKIP_1) | instid1(VALU_DEP_4)
	v_fmac_f32_e32 v168, v137, v18
	v_dual_mul_f32 v170, v140, v25 :: v_dual_mul_f32 v171, v142, v27
	v_add_f32_e32 v2, v2, v5
	v_add_f32_e32 v1, 0, v1
	v_fma_f32 v4, v128, v10, -v4
	v_fma_f32 v3, v130, v12, -v3
	v_dual_fmac_f32 v167, v135, v16 :: v_dual_mul_f32 v172, v144, v105
	v_mul_f32_e32 v173, v146, v107
	s_delay_alu instid0(VALU_DEP_4) | instskip(SKIP_3) | instid1(VALU_DEP_4)
	v_dual_add_f32 v1, v1, v22 :: v_dual_add_f32 v2, v2, v4
	v_mul_f32_e32 v4, v135, v17
	v_dual_fmac_f32 v163, v127, v8 :: v_dual_mul_f32 v174, v148, v109
	v_mul_f32_e32 v175, v150, v111
	v_add_f32_e32 v1, v1, v162
	s_delay_alu instid0(VALU_DEP_4) | instskip(SKIP_2) | instid1(VALU_DEP_4)
	v_fma_f32 v4, v134, v16, -v4
	v_mul_f32_e32 v5, v133, v15
	v_dual_add_f32 v2, v2, v3 :: v_dual_fmac_f32 v173, v147, v106
	v_add_f32_e32 v1, v1, v163
	v_dual_mul_f32 v177, v154, v115 :: v_dual_mul_f32 v178, v156, v117
	s_delay_alu instid0(VALU_DEP_4) | instskip(SKIP_3) | instid1(VALU_DEP_4)
	v_fma_f32 v5, v132, v14, -v5
	v_fmac_f32_e32 v165, v131, v12
	v_dual_fmac_f32 v170, v141, v24 :: v_dual_fmac_f32 v171, v143, v26
	v_fmac_f32_e32 v174, v149, v108
	v_add_f32_e32 v2, v2, v5
	v_mul_f32_e32 v5, v139, v21
	v_fmac_f32_e32 v177, v155, v114
	v_dual_fmac_f32 v179, v159, v118 :: v_dual_fmac_f32 v172, v145, v104
	s_delay_alu instid0(VALU_DEP_4) | instskip(NEXT) | instid1(VALU_DEP_4)
	v_add_f32_e32 v2, v2, v4
	v_fma_f32 v5, v138, v20, -v5
	v_mul_f32_e32 v3, v137, v19
	v_mul_f32_e32 v4, v141, v25
	v_fmac_f32_e32 v176, v153, v112
	v_fmac_f32_e32 v178, v157, v116
	s_delay_alu instid0(VALU_DEP_4) | instskip(SKIP_2) | instid1(VALU_DEP_3)
	v_fma_f32 v3, v136, v18, -v3
	v_add_f32_e32 v1, v1, v164
	v_fma_f32 v4, v140, v24, -v4
	v_add_f32_e32 v2, v2, v3
	s_delay_alu instid0(VALU_DEP_1) | instskip(NEXT) | instid1(VALU_DEP_4)
	v_dual_mul_f32 v3, v143, v27 :: v_dual_add_f32 v2, v2, v5
	v_add_f32_e32 v1, v1, v165
	s_delay_alu instid0(VALU_DEP_2) | instskip(NEXT) | instid1(VALU_DEP_2)
	v_fma_f32 v3, v142, v26, -v3
	v_dual_add_f32 v2, v2, v4 :: v_dual_add_f32 v1, v1, v166
	v_mul_f32_e32 v4, v147, v107
	s_delay_alu instid0(VALU_DEP_2) | instskip(SKIP_1) | instid1(VALU_DEP_3)
	v_dual_fmac_f32 v169, v139, v20 :: v_dual_add_f32 v2, v2, v3
	v_mul_f32_e32 v3, v149, v109
	v_fma_f32 v4, v146, v106, -v4
	v_mul_f32_e32 v5, v145, v105
	s_delay_alu instid0(VALU_DEP_3) | instskip(NEXT) | instid1(VALU_DEP_2)
	v_fma_f32 v3, v148, v108, -v3
	v_fma_f32 v5, v144, v104, -v5
	s_delay_alu instid0(VALU_DEP_1) | instskip(NEXT) | instid1(VALU_DEP_1)
	v_dual_add_f32 v1, v1, v167 :: v_dual_add_f32 v2, v2, v5
	v_dual_mul_f32 v5, v151, v111 :: v_dual_add_f32 v2, v2, v4
	s_delay_alu instid0(VALU_DEP_2) | instskip(SKIP_1) | instid1(VALU_DEP_3)
	v_add_f32_e32 v1, v1, v168
	v_mul_f32_e32 v4, v153, v113
	v_fma_f32 v5, v150, v110, -v5
	s_delay_alu instid0(VALU_DEP_4) | instskip(SKIP_1) | instid1(VALU_DEP_4)
	v_dual_add_f32 v2, v2, v3 :: v_dual_fmac_f32 v175, v151, v110
	v_mul_f32_e32 v3, v155, v115
	v_fma_f32 v4, v152, v112, -v4
	s_delay_alu instid0(VALU_DEP_3) | instskip(SKIP_1) | instid1(VALU_DEP_4)
	v_add_f32_e32 v2, v2, v5
	v_add_f32_e32 v1, v1, v169
	v_fma_f32 v3, v154, v114, -v3
	s_delay_alu instid0(VALU_DEP_2) | instskip(SKIP_1) | instid1(VALU_DEP_2)
	v_dual_add_f32 v2, v2, v4 :: v_dual_add_f32 v1, v1, v170
	v_dual_mul_f32 v4, v159, v119 :: v_dual_mul_f32 v5, v157, v117
	v_add_f32_e32 v2, v2, v3
	s_delay_alu instid0(VALU_DEP_2) | instskip(NEXT) | instid1(VALU_DEP_3)
	v_fma_f32 v3, v158, v118, -v4
	v_fma_f32 v5, v156, v116, -v5
	s_delay_alu instid0(VALU_DEP_1) | instskip(NEXT) | instid1(VALU_DEP_1)
	v_dual_add_f32 v1, v1, v171 :: v_dual_add_f32 v2, v2, v5
	v_dual_add_f32 v1, v1, v172 :: v_dual_add_f32 v2, v2, v3
	s_delay_alu instid0(VALU_DEP_1) | instskip(NEXT) | instid1(VALU_DEP_1)
	v_add_f32_e32 v1, v1, v173
	v_add_f32_e32 v1, v1, v174
	s_delay_alu instid0(VALU_DEP_1) | instskip(NEXT) | instid1(VALU_DEP_1)
	v_add_f32_e32 v1, v1, v175
	v_add_f32_e32 v1, v1, v176
	;; [unrolled: 3-line block ×3, first 2 shown]
	s_delay_alu instid0(VALU_DEP_1) | instskip(SKIP_1) | instid1(VALU_DEP_1)
	v_add_f32_e32 v3, v1, v179
	s_wait_loadcnt 0x0
	v_dual_sub_f32 v1, v160, v2 :: v_dual_sub_f32 v2, v161, v3
	scratch_store_b64 off, v[1:2], off offset:136
	v_cmpx_lt_u32_e32 16, v0
	s_cbranch_execz .LBB101_209
; %bb.208:
	scratch_load_b64 v[1:2], off, off offset:128
	v_mov_b32_e32 v3, 0
	s_delay_alu instid0(VALU_DEP_1)
	v_mov_b32_e32 v4, v3
	scratch_store_b64 off, v[3:4], off offset:128
	s_wait_loadcnt 0x0
	ds_store_b64 v23, v[1:2]
.LBB101_209:
	s_wait_alu 0xfffe
	s_or_b32 exec_lo, exec_lo, s0
	s_wait_storecnt_dscnt 0x0
	s_barrier_signal -1
	s_barrier_wait -1
	global_inv scope:SCOPE_SE
	s_clause 0xb
	scratch_load_b128 v[2:5], off, off offset:136
	scratch_load_b128 v[6:9], off, off offset:152
	;; [unrolled: 1-line block ×10, first 2 shown]
	scratch_load_b64 v[160:161], off, off offset:296
	scratch_load_b64 v[162:163], off, off offset:128
	v_mov_b32_e32 v1, 0
	ds_load_2addr_b64 v[120:123], v1 offset0:55 offset1:56
	ds_load_2addr_b64 v[124:127], v1 offset0:57 offset1:58
	;; [unrolled: 1-line block ×10, first 2 shown]
	ds_load_b64 v[164:165], v1 offset:600
	s_mov_b32 s0, exec_lo
	s_wait_loadcnt_dscnt 0xb0a
	v_mul_f32_e32 v22, v120, v3
	v_dual_mul_f32 v3, v121, v3 :: v_dual_mul_f32 v166, v122, v5
	s_wait_loadcnt_dscnt 0x706
	v_dual_mul_f32 v167, v124, v7 :: v_dual_mul_f32 v174, v138, v21
	v_mul_f32_e32 v5, v123, v5
	s_delay_alu instid0(VALU_DEP_3)
	v_fma_f32 v3, v120, v2, -v3
	v_dual_mul_f32 v168, v126, v9 :: v_dual_mul_f32 v169, v128, v11
	s_wait_loadcnt_dscnt 0x100
	v_dual_fmac_f32 v22, v121, v2 :: v_dual_mul_f32 v185, v164, v161
	v_mul_f32_e32 v2, v125, v7
	v_dual_fmac_f32 v166, v123, v4 :: v_dual_add_f32 v3, 0, v3
	v_fma_f32 v4, v122, v4, -v5
	s_delay_alu instid0(VALU_DEP_4) | instskip(SKIP_2) | instid1(VALU_DEP_4)
	v_dual_add_f32 v5, 0, v22 :: v_dual_fmac_f32 v168, v127, v8
	v_mul_f32_e32 v7, v127, v9
	v_fma_f32 v2, v124, v6, -v2
	v_add_f32_e32 v3, v3, v4
	v_fmac_f32_e32 v167, v125, v6
	v_add_f32_e32 v4, v5, v166
	v_mul_f32_e32 v5, v129, v11
	v_fma_f32 v6, v126, v8, -v7
	v_add_f32_e32 v2, v3, v2
	v_dual_mul_f32 v170, v130, v13 :: v_dual_mul_f32 v171, v132, v15
	v_dual_add_f32 v3, v4, v167 :: v_dual_mul_f32 v4, v131, v13
	v_fma_f32 v5, v128, v10, -v5
	s_delay_alu instid0(VALU_DEP_4)
	v_add_f32_e32 v2, v2, v6
	v_fmac_f32_e32 v169, v129, v10
	v_mul_f32_e32 v6, v133, v15
	v_fmac_f32_e32 v170, v131, v12
	v_add_f32_e32 v3, v3, v168
	v_fma_f32 v4, v130, v12, -v4
	v_add_f32_e32 v2, v2, v5
	v_dual_mul_f32 v172, v134, v17 :: v_dual_mul_f32 v173, v136, v19
	s_delay_alu instid0(VALU_DEP_4)
	v_add_f32_e32 v3, v3, v169
	v_mul_f32_e32 v5, v135, v17
	v_fma_f32 v6, v132, v14, -v6
	v_dual_add_f32 v2, v2, v4 :: v_dual_fmac_f32 v171, v133, v14
	v_fmac_f32_e32 v172, v135, v16
	v_mul_f32_e32 v4, v137, v19
	v_fma_f32 v5, v134, v16, -v5
	s_delay_alu instid0(VALU_DEP_4) | instskip(SKIP_3) | instid1(VALU_DEP_3)
	v_add_f32_e32 v2, v2, v6
	v_add_f32_e32 v3, v3, v170
	v_dual_mul_f32 v6, v139, v21 :: v_dual_fmac_f32 v173, v137, v18
	v_fma_f32 v4, v136, v18, -v4
	v_dual_add_f32 v2, v2, v5 :: v_dual_add_f32 v3, v3, v171
	s_delay_alu instid0(VALU_DEP_3) | instskip(SKIP_1) | instid1(VALU_DEP_3)
	v_fma_f32 v6, v138, v20, -v6
	v_dual_mul_f32 v175, v140, v25 :: v_dual_mul_f32 v176, v142, v27
	v_add_f32_e32 v2, v2, v4
	s_delay_alu instid0(VALU_DEP_4) | instskip(SKIP_1) | instid1(VALU_DEP_4)
	v_add_f32_e32 v3, v3, v172
	v_dual_mul_f32 v5, v141, v25 :: v_dual_fmac_f32 v174, v139, v20
	v_dual_mul_f32 v4, v143, v27 :: v_dual_fmac_f32 v175, v141, v24
	s_delay_alu instid0(VALU_DEP_3) | instskip(NEXT) | instid1(VALU_DEP_3)
	v_dual_add_f32 v2, v2, v6 :: v_dual_add_f32 v3, v3, v173
	v_fma_f32 v5, v140, v24, -v5
	v_dual_mul_f32 v177, v144, v105 :: v_dual_mul_f32 v178, v146, v107
	s_delay_alu instid0(VALU_DEP_3) | instskip(NEXT) | instid1(VALU_DEP_2)
	v_dual_mul_f32 v6, v145, v105 :: v_dual_add_f32 v3, v3, v174
	v_dual_fmac_f32 v176, v143, v26 :: v_dual_fmac_f32 v177, v145, v104
	v_fma_f32 v4, v142, v26, -v4
	s_delay_alu instid0(VALU_DEP_3) | instskip(SKIP_3) | instid1(VALU_DEP_4)
	v_dual_add_f32 v2, v2, v5 :: v_dual_add_f32 v3, v3, v175
	v_mul_f32_e32 v5, v147, v107
	v_fma_f32 v6, v144, v104, -v6
	v_dual_mul_f32 v179, v148, v109 :: v_dual_mul_f32 v180, v150, v111
	v_add_f32_e32 v2, v2, v4
	v_dual_add_f32 v3, v3, v176 :: v_dual_mul_f32 v4, v149, v109
	s_delay_alu instid0(VALU_DEP_3) | instskip(SKIP_1) | instid1(VALU_DEP_3)
	v_dual_fmac_f32 v178, v147, v106 :: v_dual_fmac_f32 v179, v149, v108
	v_fma_f32 v5, v146, v106, -v5
	v_dual_add_f32 v2, v2, v6 :: v_dual_add_f32 v3, v3, v177
	v_mul_f32_e32 v6, v151, v111
	v_fma_f32 v4, v148, v108, -v4
	v_dual_mul_f32 v181, v152, v113 :: v_dual_mul_f32 v182, v154, v115
	s_delay_alu instid0(VALU_DEP_4) | instskip(SKIP_1) | instid1(VALU_DEP_3)
	v_dual_add_f32 v2, v2, v5 :: v_dual_add_f32 v3, v3, v178
	v_dual_mul_f32 v5, v153, v113 :: v_dual_fmac_f32 v180, v151, v110
	v_fmac_f32_e32 v181, v153, v112
	v_fma_f32 v6, v150, v110, -v6
	s_delay_alu instid0(VALU_DEP_4) | instskip(SKIP_2) | instid1(VALU_DEP_3)
	v_dual_add_f32 v2, v2, v4 :: v_dual_add_f32 v3, v3, v179
	v_dual_mul_f32 v183, v156, v117 :: v_dual_mul_f32 v184, v158, v119
	v_mul_f32_e32 v4, v155, v115
	v_dual_add_f32 v2, v2, v6 :: v_dual_add_f32 v3, v3, v180
	v_fma_f32 v5, v152, v112, -v5
	v_dual_fmac_f32 v182, v155, v114 :: v_dual_fmac_f32 v185, v165, v160
	v_fmac_f32_e32 v183, v157, v116
	v_fma_f32 v4, v154, v114, -v4
	v_add_f32_e32 v3, v3, v181
	v_mul_f32_e32 v6, v157, v117
	v_dual_add_f32 v2, v2, v5 :: v_dual_mul_f32 v5, v159, v119
	v_fmac_f32_e32 v184, v159, v118
	s_delay_alu instid0(VALU_DEP_4) | instskip(NEXT) | instid1(VALU_DEP_4)
	v_add_f32_e32 v3, v3, v182
	v_fma_f32 v6, v156, v116, -v6
	s_delay_alu instid0(VALU_DEP_4) | instskip(SKIP_2) | instid1(VALU_DEP_3)
	v_add_f32_e32 v2, v2, v4
	v_mul_f32_e32 v4, v165, v161
	v_fma_f32 v5, v158, v118, -v5
	v_dual_add_f32 v3, v3, v183 :: v_dual_add_f32 v2, v2, v6
	s_delay_alu instid0(VALU_DEP_3) | instskip(NEXT) | instid1(VALU_DEP_2)
	v_fma_f32 v4, v164, v160, -v4
	v_add_f32_e32 v3, v3, v184
	s_delay_alu instid0(VALU_DEP_1) | instskip(SKIP_1) | instid1(VALU_DEP_1)
	v_add_f32_e32 v3, v3, v185
	s_wait_loadcnt 0x0
	v_dual_add_f32 v2, v2, v5 :: v_dual_sub_f32 v3, v163, v3
	s_delay_alu instid0(VALU_DEP_1) | instskip(NEXT) | instid1(VALU_DEP_1)
	v_add_f32_e32 v2, v2, v4
	v_sub_f32_e32 v2, v162, v2
	scratch_store_b64 off, v[2:3], off offset:128
	v_cmpx_lt_u32_e32 15, v0
	s_cbranch_execz .LBB101_211
; %bb.210:
	scratch_load_b64 v[3:4], off, off offset:120
	v_mov_b32_e32 v2, v1
	scratch_store_b64 off, v[1:2], off offset:120
	s_wait_loadcnt 0x0
	ds_store_b64 v23, v[3:4]
.LBB101_211:
	s_wait_alu 0xfffe
	s_or_b32 exec_lo, exec_lo, s0
	s_wait_storecnt_dscnt 0x0
	s_barrier_signal -1
	s_barrier_wait -1
	global_inv scope:SCOPE_SE
	s_clause 0xb
	scratch_load_b128 v[2:5], off, off offset:128
	scratch_load_b128 v[6:9], off, off offset:144
	;; [unrolled: 1-line block ×11, first 2 shown]
	scratch_load_b64 v[168:169], off, off offset:120
	ds_load_b128 v[124:127], v1 offset:432
	ds_load_b128 v[128:131], v1 offset:448
	;; [unrolled: 1-line block ×11, first 2 shown]
	s_mov_b32 s0, exec_lo
	s_wait_loadcnt_dscnt 0xb0a
	v_dual_mul_f32 v1, v124, v3 :: v_dual_mul_f32 v22, v126, v5
	s_wait_loadcnt_dscnt 0xa09
	v_dual_mul_f32 v5, v127, v5 :: v_dual_mul_f32 v170, v128, v7
	v_mul_f32_e32 v171, v130, v9
	v_mul_f32_e32 v3, v125, v3
	v_dual_fmac_f32 v1, v125, v2 :: v_dual_fmac_f32 v22, v127, v4
	s_wait_loadcnt_dscnt 0x908
	v_dual_mul_f32 v172, v132, v11 :: v_dual_mul_f32 v173, v134, v13
	s_wait_loadcnt_dscnt 0x201
	v_mul_f32_e32 v186, v160, v117
	v_fma_f32 v3, v124, v2, -v3
	s_wait_loadcnt_dscnt 0x100
	v_mul_f32_e32 v189, v166, v123
	v_mul_f32_e32 v2, v129, v7
	v_fma_f32 v4, v126, v4, -v5
	v_dual_mul_f32 v174, v136, v15 :: v_dual_mul_f32 v175, v138, v17
	v_dual_add_f32 v3, 0, v3 :: v_dual_fmac_f32 v170, v129, v6
	v_dual_mul_f32 v5, v131, v9 :: v_dual_fmac_f32 v172, v133, v10
	v_fma_f32 v2, v128, v6, -v2
	s_delay_alu instid0(VALU_DEP_3) | instskip(NEXT) | instid1(VALU_DEP_3)
	v_dual_add_f32 v3, v3, v4 :: v_dual_fmac_f32 v174, v137, v14
	v_fma_f32 v5, v130, v8, -v5
	v_dual_mul_f32 v176, v140, v19 :: v_dual_mul_f32 v177, v142, v21
	s_delay_alu instid0(VALU_DEP_3) | instskip(SKIP_3) | instid1(VALU_DEP_4)
	v_add_f32_e32 v2, v3, v2
	v_mul_f32_e32 v3, v135, v13
	v_dual_mul_f32 v178, v144, v25 :: v_dual_mul_f32 v179, v146, v27
	v_mul_f32_e32 v4, v133, v11
	v_add_f32_e32 v2, v2, v5
	v_dual_add_f32 v1, 0, v1 :: v_dual_fmac_f32 v176, v141, v18
	v_fma_f32 v3, v134, v12, -v3
	s_delay_alu instid0(VALU_DEP_4) | instskip(SKIP_1) | instid1(VALU_DEP_4)
	v_fma_f32 v4, v132, v10, -v4
	v_fmac_f32_e32 v175, v139, v16
	v_dual_add_f32 v1, v1, v22 :: v_dual_mul_f32 v180, v148, v105
	v_mul_f32_e32 v181, v150, v107
	s_delay_alu instid0(VALU_DEP_4) | instskip(NEXT) | instid1(VALU_DEP_3)
	v_add_f32_e32 v2, v2, v4
	v_dual_mul_f32 v4, v139, v17 :: v_dual_add_f32 v1, v1, v170
	v_dual_fmac_f32 v171, v131, v8 :: v_dual_mul_f32 v184, v156, v113
	v_mul_f32_e32 v185, v158, v115
	s_delay_alu instid0(VALU_DEP_3) | instskip(SKIP_4) | instid1(VALU_DEP_4)
	v_fma_f32 v4, v138, v16, -v4
	v_mul_f32_e32 v5, v137, v15
	v_add_f32_e32 v2, v2, v3
	v_dual_add_f32 v1, v1, v171 :: v_dual_mul_f32 v182, v152, v109
	v_mul_f32_e32 v183, v154, v111
	v_fma_f32 v5, v136, v14, -v5
	v_fmac_f32_e32 v173, v135, v12
	v_dual_fmac_f32 v178, v145, v24 :: v_dual_fmac_f32 v181, v151, v106
	v_dual_fmac_f32 v179, v147, v26 :: v_dual_fmac_f32 v182, v153, v108
	s_delay_alu instid0(VALU_DEP_4) | instskip(SKIP_2) | instid1(VALU_DEP_3)
	v_add_f32_e32 v2, v2, v5
	v_mul_f32_e32 v5, v143, v21
	v_dual_mul_f32 v187, v162, v119 :: v_dual_mul_f32 v188, v164, v121
	v_dual_fmac_f32 v185, v159, v114 :: v_dual_add_f32 v2, v2, v4
	s_delay_alu instid0(VALU_DEP_3) | instskip(SKIP_4) | instid1(VALU_DEP_4)
	v_fma_f32 v5, v142, v20, -v5
	v_mul_f32_e32 v3, v141, v19
	v_mul_f32_e32 v4, v145, v25
	v_dual_fmac_f32 v188, v165, v120 :: v_dual_fmac_f32 v187, v163, v118
	v_fmac_f32_e32 v180, v149, v104
	v_fma_f32 v3, v140, v18, -v3
	v_add_f32_e32 v1, v1, v172
	v_fma_f32 v4, v144, v24, -v4
	v_dual_fmac_f32 v189, v167, v122 :: v_dual_fmac_f32 v184, v157, v112
	s_delay_alu instid0(VALU_DEP_4) | instskip(SKIP_1) | instid1(VALU_DEP_2)
	v_add_f32_e32 v2, v2, v3
	v_dual_mul_f32 v3, v147, v27 :: v_dual_fmac_f32 v186, v161, v116
	v_add_f32_e32 v2, v2, v5
	v_add_f32_e32 v1, v1, v173
	s_delay_alu instid0(VALU_DEP_3) | instskip(NEXT) | instid1(VALU_DEP_2)
	v_fma_f32 v3, v146, v26, -v3
	v_dual_add_f32 v2, v2, v4 :: v_dual_add_f32 v1, v1, v174
	v_mul_f32_e32 v4, v151, v107
	s_delay_alu instid0(VALU_DEP_2) | instskip(SKIP_1) | instid1(VALU_DEP_3)
	v_dual_fmac_f32 v177, v143, v20 :: v_dual_add_f32 v2, v2, v3
	v_mul_f32_e32 v3, v153, v109
	v_fma_f32 v4, v150, v106, -v4
	v_mul_f32_e32 v5, v149, v105
	s_delay_alu instid0(VALU_DEP_3) | instskip(NEXT) | instid1(VALU_DEP_2)
	v_fma_f32 v3, v152, v108, -v3
	v_fma_f32 v5, v148, v104, -v5
	s_delay_alu instid0(VALU_DEP_1) | instskip(NEXT) | instid1(VALU_DEP_1)
	v_dual_add_f32 v1, v1, v175 :: v_dual_add_f32 v2, v2, v5
	v_dual_mul_f32 v5, v155, v111 :: v_dual_add_f32 v2, v2, v4
	s_delay_alu instid0(VALU_DEP_2) | instskip(SKIP_1) | instid1(VALU_DEP_3)
	v_add_f32_e32 v1, v1, v176
	v_mul_f32_e32 v4, v157, v113
	v_fma_f32 v5, v154, v110, -v5
	s_delay_alu instid0(VALU_DEP_4) | instskip(SKIP_1) | instid1(VALU_DEP_4)
	v_dual_add_f32 v2, v2, v3 :: v_dual_fmac_f32 v183, v155, v110
	v_mul_f32_e32 v3, v159, v115
	v_fma_f32 v4, v156, v112, -v4
	s_delay_alu instid0(VALU_DEP_3) | instskip(SKIP_1) | instid1(VALU_DEP_4)
	v_add_f32_e32 v2, v2, v5
	v_add_f32_e32 v1, v1, v177
	v_fma_f32 v3, v158, v114, -v3
	s_delay_alu instid0(VALU_DEP_3) | instskip(NEXT) | instid1(VALU_DEP_3)
	v_dual_add_f32 v2, v2, v4 :: v_dual_mul_f32 v5, v161, v117
	v_dual_add_f32 v1, v1, v178 :: v_dual_mul_f32 v4, v163, v119
	s_delay_alu instid0(VALU_DEP_2) | instskip(NEXT) | instid1(VALU_DEP_3)
	v_add_f32_e32 v2, v2, v3
	v_fma_f32 v5, v160, v116, -v5
	s_delay_alu instid0(VALU_DEP_3) | instskip(SKIP_2) | instid1(VALU_DEP_4)
	v_add_f32_e32 v1, v1, v179
	v_mul_f32_e32 v3, v165, v121
	v_fma_f32 v4, v162, v118, -v4
	v_dual_add_f32 v2, v2, v5 :: v_dual_mul_f32 v5, v167, v123
	s_delay_alu instid0(VALU_DEP_3) | instskip(NEXT) | instid1(VALU_DEP_2)
	v_fma_f32 v3, v164, v120, -v3
	v_add_f32_e32 v2, v2, v4
	v_add_f32_e32 v1, v1, v180
	s_delay_alu instid0(VALU_DEP_4) | instskip(NEXT) | instid1(VALU_DEP_2)
	v_fma_f32 v4, v166, v122, -v5
	v_dual_add_f32 v2, v2, v3 :: v_dual_add_f32 v1, v1, v181
	s_delay_alu instid0(VALU_DEP_1) | instskip(NEXT) | instid1(VALU_DEP_1)
	v_dual_add_f32 v2, v2, v4 :: v_dual_add_f32 v1, v1, v182
	v_add_f32_e32 v1, v1, v183
	s_delay_alu instid0(VALU_DEP_1) | instskip(NEXT) | instid1(VALU_DEP_1)
	v_add_f32_e32 v1, v1, v184
	v_add_f32_e32 v1, v1, v185
	s_delay_alu instid0(VALU_DEP_1) | instskip(NEXT) | instid1(VALU_DEP_1)
	v_add_f32_e32 v1, v1, v186
	;; [unrolled: 3-line block ×3, first 2 shown]
	v_add_f32_e32 v3, v1, v189
	s_wait_loadcnt 0x0
	s_delay_alu instid0(VALU_DEP_1)
	v_dual_sub_f32 v1, v168, v2 :: v_dual_sub_f32 v2, v169, v3
	scratch_store_b64 off, v[1:2], off offset:120
	v_cmpx_lt_u32_e32 14, v0
	s_cbranch_execz .LBB101_213
; %bb.212:
	scratch_load_b64 v[1:2], off, off offset:112
	v_mov_b32_e32 v3, 0
	s_delay_alu instid0(VALU_DEP_1)
	v_mov_b32_e32 v4, v3
	scratch_store_b64 off, v[3:4], off offset:112
	s_wait_loadcnt 0x0
	ds_store_b64 v23, v[1:2]
.LBB101_213:
	s_wait_alu 0xfffe
	s_or_b32 exec_lo, exec_lo, s0
	s_wait_storecnt_dscnt 0x0
	s_barrier_signal -1
	s_barrier_wait -1
	global_inv scope:SCOPE_SE
	s_clause 0xc
	scratch_load_b128 v[2:5], off, off offset:120
	scratch_load_b128 v[6:9], off, off offset:136
	;; [unrolled: 1-line block ×11, first 2 shown]
	scratch_load_b64 v[168:169], off, off offset:296
	scratch_load_b64 v[170:171], off, off offset:112
	v_mov_b32_e32 v1, 0
	ds_load_2addr_b64 v[124:127], v1 offset0:53 offset1:54
	ds_load_2addr_b64 v[128:131], v1 offset0:55 offset1:56
	;; [unrolled: 1-line block ×11, first 2 shown]
	ds_load_b64 v[172:173], v1 offset:600
	s_mov_b32 s0, exec_lo
	s_wait_loadcnt_dscnt 0xc0b
	v_mul_f32_e32 v22, v124, v3
	v_dual_mul_f32 v3, v125, v3 :: v_dual_mul_f32 v174, v126, v5
	s_wait_loadcnt_dscnt 0x807
	v_dual_mul_f32 v175, v128, v7 :: v_dual_mul_f32 v182, v142, v21
	v_mul_f32_e32 v5, v127, v5
	s_delay_alu instid0(VALU_DEP_3)
	v_fma_f32 v3, v124, v2, -v3
	v_dual_mul_f32 v176, v130, v9 :: v_dual_mul_f32 v177, v132, v11
	v_fmac_f32_e32 v22, v125, v2
	s_wait_loadcnt_dscnt 0x100
	v_dual_mul_f32 v2, v129, v7 :: v_dual_mul_f32 v195, v172, v169
	v_dual_fmac_f32 v174, v127, v4 :: v_dual_add_f32 v3, 0, v3
	v_fma_f32 v4, v126, v4, -v5
	v_dual_add_f32 v5, 0, v22 :: v_dual_fmac_f32 v176, v131, v8
	v_mul_f32_e32 v7, v131, v9
	v_fma_f32 v2, v128, v6, -v2
	s_delay_alu instid0(VALU_DEP_4)
	v_add_f32_e32 v3, v3, v4
	v_fmac_f32_e32 v175, v129, v6
	v_add_f32_e32 v4, v5, v174
	v_mul_f32_e32 v5, v133, v11
	v_fma_f32 v6, v130, v8, -v7
	v_add_f32_e32 v2, v3, v2
	v_dual_mul_f32 v178, v134, v13 :: v_dual_mul_f32 v179, v136, v15
	v_dual_add_f32 v3, v4, v175 :: v_dual_mul_f32 v4, v135, v13
	v_fma_f32 v5, v132, v10, -v5
	s_delay_alu instid0(VALU_DEP_4)
	v_add_f32_e32 v2, v2, v6
	v_fmac_f32_e32 v177, v133, v10
	v_mul_f32_e32 v6, v137, v15
	v_fmac_f32_e32 v178, v135, v12
	v_add_f32_e32 v3, v3, v176
	v_fma_f32 v4, v134, v12, -v4
	v_add_f32_e32 v2, v2, v5
	v_dual_mul_f32 v180, v138, v17 :: v_dual_mul_f32 v181, v140, v19
	s_delay_alu instid0(VALU_DEP_4)
	v_add_f32_e32 v3, v3, v177
	v_mul_f32_e32 v5, v139, v17
	v_fma_f32 v6, v136, v14, -v6
	v_dual_add_f32 v2, v2, v4 :: v_dual_fmac_f32 v179, v137, v14
	v_fmac_f32_e32 v180, v139, v16
	v_mul_f32_e32 v4, v141, v19
	v_fma_f32 v5, v138, v16, -v5
	s_delay_alu instid0(VALU_DEP_4) | instskip(SKIP_3) | instid1(VALU_DEP_3)
	v_add_f32_e32 v2, v2, v6
	v_add_f32_e32 v3, v3, v178
	v_dual_mul_f32 v6, v143, v21 :: v_dual_fmac_f32 v181, v141, v18
	v_fma_f32 v4, v140, v18, -v4
	v_dual_add_f32 v2, v2, v5 :: v_dual_add_f32 v3, v3, v179
	s_delay_alu instid0(VALU_DEP_3) | instskip(SKIP_1) | instid1(VALU_DEP_3)
	v_fma_f32 v6, v142, v20, -v6
	v_dual_mul_f32 v183, v144, v25 :: v_dual_mul_f32 v184, v146, v27
	v_add_f32_e32 v2, v2, v4
	s_delay_alu instid0(VALU_DEP_4) | instskip(SKIP_1) | instid1(VALU_DEP_4)
	v_add_f32_e32 v3, v3, v180
	v_dual_mul_f32 v5, v145, v25 :: v_dual_fmac_f32 v182, v143, v20
	v_dual_mul_f32 v4, v147, v27 :: v_dual_fmac_f32 v183, v145, v24
	s_delay_alu instid0(VALU_DEP_3) | instskip(NEXT) | instid1(VALU_DEP_3)
	v_dual_add_f32 v2, v2, v6 :: v_dual_add_f32 v3, v3, v181
	v_fma_f32 v5, v144, v24, -v5
	v_dual_mul_f32 v185, v148, v105 :: v_dual_mul_f32 v186, v150, v107
	s_delay_alu instid0(VALU_DEP_3) | instskip(NEXT) | instid1(VALU_DEP_2)
	v_dual_mul_f32 v6, v149, v105 :: v_dual_add_f32 v3, v3, v182
	v_dual_fmac_f32 v184, v147, v26 :: v_dual_fmac_f32 v185, v149, v104
	v_fma_f32 v4, v146, v26, -v4
	s_delay_alu instid0(VALU_DEP_3) | instskip(SKIP_3) | instid1(VALU_DEP_4)
	v_dual_add_f32 v2, v2, v5 :: v_dual_add_f32 v3, v3, v183
	v_mul_f32_e32 v5, v151, v107
	v_fma_f32 v6, v148, v104, -v6
	v_dual_mul_f32 v187, v152, v109 :: v_dual_mul_f32 v188, v154, v111
	v_add_f32_e32 v2, v2, v4
	v_dual_add_f32 v3, v3, v184 :: v_dual_mul_f32 v4, v153, v109
	s_delay_alu instid0(VALU_DEP_3) | instskip(SKIP_1) | instid1(VALU_DEP_3)
	v_dual_fmac_f32 v186, v151, v106 :: v_dual_fmac_f32 v187, v153, v108
	v_fma_f32 v5, v150, v106, -v5
	v_dual_add_f32 v2, v2, v6 :: v_dual_add_f32 v3, v3, v185
	v_mul_f32_e32 v6, v155, v111
	v_fma_f32 v4, v152, v108, -v4
	v_dual_mul_f32 v189, v156, v113 :: v_dual_mul_f32 v190, v158, v115
	s_delay_alu instid0(VALU_DEP_4) | instskip(SKIP_1) | instid1(VALU_DEP_3)
	v_dual_add_f32 v2, v2, v5 :: v_dual_add_f32 v3, v3, v186
	v_dual_mul_f32 v5, v157, v113 :: v_dual_fmac_f32 v188, v155, v110
	v_fmac_f32_e32 v189, v157, v112
	v_fma_f32 v6, v154, v110, -v6
	s_delay_alu instid0(VALU_DEP_4) | instskip(SKIP_2) | instid1(VALU_DEP_2)
	v_dual_add_f32 v2, v2, v4 :: v_dual_add_f32 v3, v3, v187
	v_dual_mul_f32 v191, v160, v117 :: v_dual_mul_f32 v192, v162, v119
	v_dual_mul_f32 v193, v164, v121 :: v_dual_mul_f32 v194, v166, v123
	v_dual_mul_f32 v4, v159, v115 :: v_dual_fmac_f32 v191, v161, v116
	v_fma_f32 v5, v156, v112, -v5
	v_dual_add_f32 v2, v2, v6 :: v_dual_add_f32 v3, v3, v188
	v_mul_f32_e32 v6, v161, v117
	v_dual_fmac_f32 v190, v159, v114 :: v_dual_fmac_f32 v193, v165, v120
	v_fma_f32 v4, v158, v114, -v4
	s_delay_alu instid0(VALU_DEP_4) | instskip(SKIP_3) | instid1(VALU_DEP_3)
	v_add_f32_e32 v3, v3, v189
	v_dual_add_f32 v2, v2, v5 :: v_dual_mul_f32 v5, v163, v119
	v_fma_f32 v6, v160, v116, -v6
	v_fmac_f32_e32 v192, v163, v118
	v_dual_add_f32 v3, v3, v190 :: v_dual_add_f32 v2, v2, v4
	v_mul_f32_e32 v4, v165, v121
	v_fma_f32 v5, v162, v118, -v5
	v_fmac_f32_e32 v194, v167, v122
	s_delay_alu instid0(VALU_DEP_4) | instskip(SKIP_2) | instid1(VALU_DEP_3)
	v_dual_add_f32 v3, v3, v191 :: v_dual_add_f32 v2, v2, v6
	v_dual_mul_f32 v6, v167, v123 :: v_dual_fmac_f32 v195, v173, v168
	v_fma_f32 v4, v164, v120, -v4
	v_add_f32_e32 v2, v2, v5
	v_mul_f32_e32 v5, v173, v169
	v_add_f32_e32 v3, v3, v192
	v_fma_f32 v6, v166, v122, -v6
	s_delay_alu instid0(VALU_DEP_2) | instskip(NEXT) | instid1(VALU_DEP_1)
	v_add_f32_e32 v3, v3, v193
	v_dual_add_f32 v3, v3, v194 :: v_dual_add_f32 v2, v2, v4
	v_fma_f32 v4, v172, v168, -v5
	s_delay_alu instid0(VALU_DEP_2) | instskip(SKIP_1) | instid1(VALU_DEP_1)
	v_dual_add_f32 v3, v3, v195 :: v_dual_add_f32 v2, v2, v6
	s_wait_loadcnt 0x0
	v_dual_sub_f32 v3, v171, v3 :: v_dual_add_f32 v2, v2, v4
	s_delay_alu instid0(VALU_DEP_1)
	v_sub_f32_e32 v2, v170, v2
	scratch_store_b64 off, v[2:3], off offset:112
	v_cmpx_lt_u32_e32 13, v0
	s_cbranch_execz .LBB101_215
; %bb.214:
	scratch_load_b64 v[3:4], off, off offset:104
	v_mov_b32_e32 v2, v1
	scratch_store_b64 off, v[1:2], off offset:104
	s_wait_loadcnt 0x0
	ds_store_b64 v23, v[3:4]
.LBB101_215:
	s_wait_alu 0xfffe
	s_or_b32 exec_lo, exec_lo, s0
	s_wait_storecnt_dscnt 0x0
	s_barrier_signal -1
	s_barrier_wait -1
	global_inv scope:SCOPE_SE
	s_clause 0xc
	scratch_load_b128 v[2:5], off, off offset:112
	scratch_load_b128 v[6:9], off, off offset:128
	;; [unrolled: 1-line block ×12, first 2 shown]
	scratch_load_b64 v[176:177], off, off offset:104
	ds_load_b128 v[128:131], v1 offset:416
	ds_load_b128 v[132:135], v1 offset:432
	;; [unrolled: 1-line block ×12, first 2 shown]
	s_mov_b32 s0, exec_lo
	s_wait_loadcnt_dscnt 0xc0b
	v_dual_mul_f32 v1, v128, v3 :: v_dual_mul_f32 v22, v130, v5
	s_wait_loadcnt_dscnt 0xb0a
	v_dual_mul_f32 v5, v131, v5 :: v_dual_mul_f32 v178, v132, v7
	v_mul_f32_e32 v179, v134, v9
	s_delay_alu instid0(VALU_DEP_3)
	v_fmac_f32_e32 v1, v129, v2
	v_dual_mul_f32 v3, v129, v3 :: v_dual_fmac_f32 v22, v131, v4
	s_wait_loadcnt_dscnt 0xa09
	v_dual_mul_f32 v180, v136, v11 :: v_dual_mul_f32 v181, v138, v13
	s_wait_loadcnt_dscnt 0x201
	v_mul_f32_e32 v196, v168, v121
	v_fma_f32 v3, v128, v2, -v3
	s_wait_loadcnt_dscnt 0x100
	v_mul_f32_e32 v199, v174, v127
	v_mul_f32_e32 v2, v133, v7
	v_fma_f32 v4, v130, v4, -v5
	v_dual_mul_f32 v182, v140, v15 :: v_dual_mul_f32 v183, v142, v17
	v_dual_add_f32 v3, 0, v3 :: v_dual_fmac_f32 v178, v133, v6
	v_dual_mul_f32 v5, v135, v9 :: v_dual_fmac_f32 v180, v137, v10
	v_fma_f32 v2, v132, v6, -v2
	s_delay_alu instid0(VALU_DEP_3) | instskip(NEXT) | instid1(VALU_DEP_3)
	v_dual_add_f32 v3, v3, v4 :: v_dual_fmac_f32 v182, v141, v14
	v_fma_f32 v5, v134, v8, -v5
	v_dual_mul_f32 v184, v144, v19 :: v_dual_mul_f32 v185, v146, v21
	s_delay_alu instid0(VALU_DEP_3) | instskip(SKIP_3) | instid1(VALU_DEP_4)
	v_add_f32_e32 v2, v3, v2
	v_mul_f32_e32 v3, v139, v13
	v_dual_mul_f32 v186, v148, v25 :: v_dual_mul_f32 v187, v150, v27
	v_mul_f32_e32 v4, v137, v11
	v_add_f32_e32 v2, v2, v5
	v_dual_add_f32 v1, 0, v1 :: v_dual_fmac_f32 v184, v145, v18
	v_fma_f32 v3, v138, v12, -v3
	s_delay_alu instid0(VALU_DEP_4) | instskip(SKIP_1) | instid1(VALU_DEP_4)
	v_fma_f32 v4, v136, v10, -v4
	v_fmac_f32_e32 v183, v143, v16
	v_dual_add_f32 v1, v1, v22 :: v_dual_mul_f32 v188, v152, v105
	v_mul_f32_e32 v189, v154, v107
	s_delay_alu instid0(VALU_DEP_4) | instskip(NEXT) | instid1(VALU_DEP_3)
	v_add_f32_e32 v2, v2, v4
	v_dual_mul_f32 v4, v143, v17 :: v_dual_add_f32 v1, v1, v178
	v_dual_fmac_f32 v179, v135, v8 :: v_dual_mul_f32 v192, v160, v113
	v_mul_f32_e32 v193, v162, v115
	s_delay_alu instid0(VALU_DEP_3) | instskip(SKIP_4) | instid1(VALU_DEP_4)
	v_fma_f32 v4, v142, v16, -v4
	v_mul_f32_e32 v5, v141, v15
	v_add_f32_e32 v2, v2, v3
	v_dual_add_f32 v1, v1, v179 :: v_dual_mul_f32 v190, v156, v109
	v_mul_f32_e32 v191, v158, v111
	v_fma_f32 v5, v140, v14, -v5
	v_fmac_f32_e32 v181, v139, v12
	v_dual_fmac_f32 v189, v155, v106 :: v_dual_fmac_f32 v186, v149, v24
	v_dual_mul_f32 v194, v164, v117 :: v_dual_mul_f32 v195, v166, v119
	s_delay_alu instid0(VALU_DEP_4) | instskip(SKIP_3) | instid1(VALU_DEP_3)
	v_add_f32_e32 v2, v2, v5
	v_mul_f32_e32 v5, v147, v21
	v_dual_fmac_f32 v187, v151, v26 :: v_dual_fmac_f32 v190, v157, v108
	v_dual_mul_f32 v197, v170, v123 :: v_dual_mul_f32 v198, v172, v125
	v_fma_f32 v5, v146, v20, -v5
	v_dual_mul_f32 v3, v145, v19 :: v_dual_add_f32 v2, v2, v4
	v_dual_mul_f32 v4, v149, v25 :: v_dual_fmac_f32 v195, v167, v118
	v_dual_fmac_f32 v193, v163, v114 :: v_dual_fmac_f32 v196, v169, v120
	s_delay_alu instid0(VALU_DEP_3) | instskip(SKIP_1) | instid1(VALU_DEP_4)
	v_fma_f32 v3, v144, v18, -v3
	v_add_f32_e32 v1, v1, v180
	v_fma_f32 v4, v148, v24, -v4
	v_dual_fmac_f32 v188, v153, v104 :: v_dual_fmac_f32 v199, v175, v126
	s_delay_alu instid0(VALU_DEP_4) | instskip(SKIP_3) | instid1(VALU_DEP_4)
	v_add_f32_e32 v2, v2, v3
	v_dual_mul_f32 v3, v151, v27 :: v_dual_fmac_f32 v192, v161, v112
	v_fmac_f32_e32 v194, v165, v116
	v_fmac_f32_e32 v198, v173, v124
	v_add_f32_e32 v2, v2, v5
	v_add_f32_e32 v1, v1, v181
	v_fma_f32 v3, v150, v26, -v3
	s_delay_alu instid0(VALU_DEP_2) | instskip(SKIP_1) | instid1(VALU_DEP_2)
	v_dual_add_f32 v2, v2, v4 :: v_dual_add_f32 v1, v1, v182
	v_mul_f32_e32 v4, v155, v107
	v_dual_fmac_f32 v185, v147, v20 :: v_dual_add_f32 v2, v2, v3
	v_mul_f32_e32 v3, v157, v109
	s_delay_alu instid0(VALU_DEP_3) | instskip(SKIP_1) | instid1(VALU_DEP_3)
	v_fma_f32 v4, v154, v106, -v4
	v_mul_f32_e32 v5, v153, v105
	v_fma_f32 v3, v156, v108, -v3
	s_delay_alu instid0(VALU_DEP_2) | instskip(NEXT) | instid1(VALU_DEP_1)
	v_fma_f32 v5, v152, v104, -v5
	v_dual_add_f32 v1, v1, v183 :: v_dual_add_f32 v2, v2, v5
	s_delay_alu instid0(VALU_DEP_1) | instskip(NEXT) | instid1(VALU_DEP_2)
	v_dual_mul_f32 v5, v159, v111 :: v_dual_add_f32 v2, v2, v4
	v_add_f32_e32 v1, v1, v184
	v_mul_f32_e32 v4, v161, v113
	s_delay_alu instid0(VALU_DEP_3) | instskip(NEXT) | instid1(VALU_DEP_4)
	v_fma_f32 v5, v158, v110, -v5
	v_dual_add_f32 v2, v2, v3 :: v_dual_fmac_f32 v191, v159, v110
	v_mul_f32_e32 v3, v163, v115
	s_delay_alu instid0(VALU_DEP_4) | instskip(NEXT) | instid1(VALU_DEP_3)
	v_fma_f32 v4, v160, v112, -v4
	v_add_f32_e32 v2, v2, v5
	v_add_f32_e32 v1, v1, v185
	s_delay_alu instid0(VALU_DEP_4) | instskip(NEXT) | instid1(VALU_DEP_3)
	v_fma_f32 v3, v162, v114, -v3
	v_dual_add_f32 v2, v2, v4 :: v_dual_mul_f32 v5, v165, v117
	s_delay_alu instid0(VALU_DEP_3) | instskip(NEXT) | instid1(VALU_DEP_2)
	v_dual_add_f32 v1, v1, v186 :: v_dual_mul_f32 v4, v167, v119
	v_add_f32_e32 v2, v2, v3
	s_delay_alu instid0(VALU_DEP_3) | instskip(NEXT) | instid1(VALU_DEP_3)
	v_fma_f32 v5, v164, v116, -v5
	v_add_f32_e32 v1, v1, v187
	v_mul_f32_e32 v3, v169, v121
	v_fma_f32 v4, v166, v118, -v4
	s_delay_alu instid0(VALU_DEP_4) | instskip(NEXT) | instid1(VALU_DEP_3)
	v_dual_add_f32 v2, v2, v5 :: v_dual_mul_f32 v5, v171, v123
	v_fma_f32 v3, v168, v120, -v3
	s_delay_alu instid0(VALU_DEP_2) | instskip(SKIP_3) | instid1(VALU_DEP_4)
	v_add_f32_e32 v2, v2, v4
	v_add_f32_e32 v1, v1, v188
	v_mul_f32_e32 v4, v173, v125
	v_fma_f32 v5, v170, v122, -v5
	v_dual_add_f32 v2, v2, v3 :: v_dual_fmac_f32 v197, v171, v122
	v_mul_f32_e32 v3, v175, v127
	s_delay_alu instid0(VALU_DEP_4) | instskip(NEXT) | instid1(VALU_DEP_3)
	v_fma_f32 v4, v172, v124, -v4
	v_add_f32_e32 v2, v2, v5
	v_add_f32_e32 v1, v1, v189
	s_delay_alu instid0(VALU_DEP_4) | instskip(NEXT) | instid1(VALU_DEP_2)
	v_fma_f32 v3, v174, v126, -v3
	v_dual_add_f32 v2, v2, v4 :: v_dual_add_f32 v1, v1, v190
	s_delay_alu instid0(VALU_DEP_1) | instskip(NEXT) | instid1(VALU_DEP_2)
	v_add_f32_e32 v2, v2, v3
	v_add_f32_e32 v1, v1, v191
	s_delay_alu instid0(VALU_DEP_1) | instskip(NEXT) | instid1(VALU_DEP_1)
	v_add_f32_e32 v1, v1, v192
	v_add_f32_e32 v1, v1, v193
	s_delay_alu instid0(VALU_DEP_1) | instskip(NEXT) | instid1(VALU_DEP_1)
	;; [unrolled: 3-line block ×4, first 2 shown]
	v_add_f32_e32 v1, v1, v198
	v_add_f32_e32 v3, v1, v199
	s_wait_loadcnt 0x0
	s_delay_alu instid0(VALU_DEP_1)
	v_dual_sub_f32 v1, v176, v2 :: v_dual_sub_f32 v2, v177, v3
	scratch_store_b64 off, v[1:2], off offset:104
	v_cmpx_lt_u32_e32 12, v0
	s_cbranch_execz .LBB101_217
; %bb.216:
	scratch_load_b64 v[1:2], off, off offset:96
	v_mov_b32_e32 v3, 0
	s_delay_alu instid0(VALU_DEP_1)
	v_mov_b32_e32 v4, v3
	scratch_store_b64 off, v[3:4], off offset:96
	s_wait_loadcnt 0x0
	ds_store_b64 v23, v[1:2]
.LBB101_217:
	s_wait_alu 0xfffe
	s_or_b32 exec_lo, exec_lo, s0
	s_wait_storecnt_dscnt 0x0
	s_barrier_signal -1
	s_barrier_wait -1
	global_inv scope:SCOPE_SE
	s_clause 0xd
	scratch_load_b128 v[2:5], off, off offset:104
	scratch_load_b128 v[6:9], off, off offset:120
	;; [unrolled: 1-line block ×12, first 2 shown]
	scratch_load_b64 v[176:177], off, off offset:296
	scratch_load_b64 v[178:179], off, off offset:96
	v_mov_b32_e32 v1, 0
	ds_load_2addr_b64 v[128:131], v1 offset0:51 offset1:52
	ds_load_2addr_b64 v[132:135], v1 offset0:53 offset1:54
	;; [unrolled: 1-line block ×12, first 2 shown]
	ds_load_b64 v[180:181], v1 offset:600
	s_mov_b32 s0, exec_lo
	s_wait_loadcnt_dscnt 0xd0c
	v_mul_f32_e32 v22, v128, v3
	v_dual_mul_f32 v3, v129, v3 :: v_dual_mul_f32 v182, v130, v5
	s_wait_loadcnt_dscnt 0x908
	v_dual_mul_f32 v183, v132, v7 :: v_dual_mul_f32 v190, v146, v21
	v_mul_f32_e32 v5, v131, v5
	s_delay_alu instid0(VALU_DEP_3) | instskip(SKIP_3) | instid1(VALU_DEP_4)
	v_fma_f32 v3, v128, v2, -v3
	v_dual_mul_f32 v184, v134, v9 :: v_dual_mul_f32 v185, v136, v11
	v_fmac_f32_e32 v22, v129, v2
	v_mul_f32_e32 v2, v133, v7
	v_dual_fmac_f32 v182, v131, v4 :: v_dual_add_f32 v3, 0, v3
	s_wait_loadcnt_dscnt 0x100
	v_mul_f32_e32 v205, v180, v177
	v_fma_f32 v4, v130, v4, -v5
	v_dual_add_f32 v5, 0, v22 :: v_dual_fmac_f32 v184, v135, v8
	v_mul_f32_e32 v7, v135, v9
	v_fma_f32 v2, v132, v6, -v2
	s_delay_alu instid0(VALU_DEP_4)
	v_add_f32_e32 v3, v3, v4
	v_fmac_f32_e32 v183, v133, v6
	v_add_f32_e32 v4, v5, v182
	v_mul_f32_e32 v5, v137, v11
	v_fma_f32 v6, v134, v8, -v7
	v_add_f32_e32 v2, v3, v2
	v_dual_mul_f32 v186, v138, v13 :: v_dual_mul_f32 v187, v140, v15
	v_dual_add_f32 v3, v4, v183 :: v_dual_mul_f32 v4, v139, v13
	v_fma_f32 v5, v136, v10, -v5
	s_delay_alu instid0(VALU_DEP_4)
	v_add_f32_e32 v2, v2, v6
	v_fmac_f32_e32 v185, v137, v10
	v_mul_f32_e32 v6, v141, v15
	v_fmac_f32_e32 v186, v139, v12
	v_add_f32_e32 v3, v3, v184
	v_fma_f32 v4, v138, v12, -v4
	v_add_f32_e32 v2, v2, v5
	v_dual_mul_f32 v188, v142, v17 :: v_dual_mul_f32 v189, v144, v19
	s_delay_alu instid0(VALU_DEP_4)
	v_add_f32_e32 v3, v3, v185
	v_mul_f32_e32 v5, v143, v17
	v_fma_f32 v6, v140, v14, -v6
	v_dual_add_f32 v2, v2, v4 :: v_dual_fmac_f32 v187, v141, v14
	v_fmac_f32_e32 v188, v143, v16
	v_mul_f32_e32 v4, v145, v19
	v_fma_f32 v5, v142, v16, -v5
	s_delay_alu instid0(VALU_DEP_4) | instskip(SKIP_3) | instid1(VALU_DEP_3)
	v_add_f32_e32 v2, v2, v6
	v_add_f32_e32 v3, v3, v186
	v_dual_mul_f32 v6, v147, v21 :: v_dual_fmac_f32 v189, v145, v18
	v_fma_f32 v4, v144, v18, -v4
	v_dual_add_f32 v2, v2, v5 :: v_dual_add_f32 v3, v3, v187
	s_delay_alu instid0(VALU_DEP_3) | instskip(SKIP_1) | instid1(VALU_DEP_3)
	v_fma_f32 v6, v146, v20, -v6
	v_dual_mul_f32 v191, v148, v25 :: v_dual_mul_f32 v192, v150, v27
	v_add_f32_e32 v2, v2, v4
	s_delay_alu instid0(VALU_DEP_4) | instskip(SKIP_1) | instid1(VALU_DEP_4)
	v_add_f32_e32 v3, v3, v188
	v_dual_mul_f32 v5, v149, v25 :: v_dual_fmac_f32 v190, v147, v20
	v_dual_mul_f32 v4, v151, v27 :: v_dual_fmac_f32 v191, v149, v24
	s_delay_alu instid0(VALU_DEP_3) | instskip(NEXT) | instid1(VALU_DEP_3)
	v_dual_add_f32 v2, v2, v6 :: v_dual_add_f32 v3, v3, v189
	v_fma_f32 v5, v148, v24, -v5
	v_dual_mul_f32 v193, v152, v105 :: v_dual_mul_f32 v194, v154, v107
	s_delay_alu instid0(VALU_DEP_3) | instskip(NEXT) | instid1(VALU_DEP_2)
	v_dual_mul_f32 v6, v153, v105 :: v_dual_add_f32 v3, v3, v190
	v_dual_fmac_f32 v192, v151, v26 :: v_dual_fmac_f32 v193, v153, v104
	v_fma_f32 v4, v150, v26, -v4
	s_delay_alu instid0(VALU_DEP_3) | instskip(SKIP_3) | instid1(VALU_DEP_4)
	v_dual_add_f32 v2, v2, v5 :: v_dual_add_f32 v3, v3, v191
	v_mul_f32_e32 v5, v155, v107
	v_fma_f32 v6, v152, v104, -v6
	v_dual_mul_f32 v195, v156, v109 :: v_dual_mul_f32 v196, v158, v111
	v_add_f32_e32 v2, v2, v4
	v_dual_add_f32 v3, v3, v192 :: v_dual_mul_f32 v4, v157, v109
	s_delay_alu instid0(VALU_DEP_3) | instskip(SKIP_1) | instid1(VALU_DEP_3)
	v_dual_fmac_f32 v194, v155, v106 :: v_dual_fmac_f32 v195, v157, v108
	v_fma_f32 v5, v154, v106, -v5
	v_dual_add_f32 v2, v2, v6 :: v_dual_add_f32 v3, v3, v193
	v_mul_f32_e32 v6, v159, v111
	v_fma_f32 v4, v156, v108, -v4
	v_dual_mul_f32 v197, v160, v113 :: v_dual_mul_f32 v198, v162, v115
	s_delay_alu instid0(VALU_DEP_4) | instskip(SKIP_1) | instid1(VALU_DEP_3)
	v_dual_add_f32 v2, v2, v5 :: v_dual_add_f32 v3, v3, v194
	v_dual_mul_f32 v5, v161, v113 :: v_dual_fmac_f32 v196, v159, v110
	v_fmac_f32_e32 v197, v161, v112
	v_fma_f32 v6, v158, v110, -v6
	s_delay_alu instid0(VALU_DEP_4) | instskip(SKIP_2) | instid1(VALU_DEP_2)
	v_dual_add_f32 v2, v2, v4 :: v_dual_add_f32 v3, v3, v195
	v_dual_mul_f32 v199, v164, v117 :: v_dual_mul_f32 v200, v166, v119
	v_dual_mul_f32 v201, v168, v121 :: v_dual_mul_f32 v202, v170, v123
	v_dual_mul_f32 v4, v163, v115 :: v_dual_fmac_f32 v199, v165, v116
	v_fma_f32 v5, v160, v112, -v5
	v_dual_add_f32 v2, v2, v6 :: v_dual_add_f32 v3, v3, v196
	v_mul_f32_e32 v6, v165, v117
	v_dual_fmac_f32 v198, v163, v114 :: v_dual_fmac_f32 v201, v169, v120
	v_fma_f32 v4, v162, v114, -v4
	s_delay_alu instid0(VALU_DEP_4) | instskip(SKIP_3) | instid1(VALU_DEP_3)
	v_add_f32_e32 v3, v3, v197
	v_dual_add_f32 v2, v2, v5 :: v_dual_mul_f32 v5, v167, v119
	v_fma_f32 v6, v164, v116, -v6
	v_fmac_f32_e32 v200, v167, v118
	v_dual_add_f32 v3, v3, v198 :: v_dual_add_f32 v2, v2, v4
	v_mul_f32_e32 v4, v169, v121
	v_fma_f32 v5, v166, v118, -v5
	v_dual_mul_f32 v203, v172, v125 :: v_dual_mul_f32 v204, v174, v127
	s_delay_alu instid0(VALU_DEP_4) | instskip(NEXT) | instid1(VALU_DEP_2)
	v_dual_add_f32 v3, v3, v199 :: v_dual_add_f32 v2, v2, v6
	v_dual_mul_f32 v6, v171, v123 :: v_dual_fmac_f32 v203, v173, v124
	v_dual_fmac_f32 v202, v171, v122 :: v_dual_fmac_f32 v205, v181, v176
	s_delay_alu instid0(VALU_DEP_3)
	v_add_f32_e32 v2, v2, v5
	v_mul_f32_e32 v5, v173, v125
	v_add_f32_e32 v3, v3, v200
	v_fma_f32 v6, v170, v122, -v6
	v_fma_f32 v4, v168, v120, -v4
	v_fmac_f32_e32 v204, v175, v126
	v_fma_f32 v5, v172, v124, -v5
	v_add_f32_e32 v3, v3, v201
	s_delay_alu instid0(VALU_DEP_1) | instskip(SKIP_1) | instid1(VALU_DEP_2)
	v_dual_add_f32 v3, v3, v202 :: v_dual_add_f32 v2, v2, v4
	v_mul_f32_e32 v4, v175, v127
	v_dual_add_f32 v3, v3, v203 :: v_dual_add_f32 v2, v2, v6
	v_mul_f32_e32 v6, v181, v177
	s_delay_alu instid0(VALU_DEP_3) | instskip(NEXT) | instid1(VALU_DEP_3)
	v_fma_f32 v4, v174, v126, -v4
	v_add_f32_e32 v3, v3, v204
	s_delay_alu instid0(VALU_DEP_1) | instskip(SKIP_3) | instid1(VALU_DEP_2)
	v_add_f32_e32 v3, v3, v205
	v_add_f32_e32 v2, v2, v5
	v_fma_f32 v5, v180, v176, -v6
	s_wait_loadcnt 0x0
	v_dual_sub_f32 v3, v179, v3 :: v_dual_add_f32 v2, v2, v4
	s_delay_alu instid0(VALU_DEP_1) | instskip(NEXT) | instid1(VALU_DEP_1)
	v_add_f32_e32 v2, v2, v5
	v_sub_f32_e32 v2, v178, v2
	scratch_store_b64 off, v[2:3], off offset:96
	v_cmpx_lt_u32_e32 11, v0
	s_cbranch_execz .LBB101_219
; %bb.218:
	scratch_load_b64 v[3:4], off, off offset:88
	v_mov_b32_e32 v2, v1
	scratch_store_b64 off, v[1:2], off offset:88
	s_wait_loadcnt 0x0
	ds_store_b64 v23, v[3:4]
.LBB101_219:
	s_wait_alu 0xfffe
	s_or_b32 exec_lo, exec_lo, s0
	s_wait_storecnt_dscnt 0x0
	s_barrier_signal -1
	s_barrier_wait -1
	global_inv scope:SCOPE_SE
	s_clause 0xd
	scratch_load_b128 v[2:5], off, off offset:96
	scratch_load_b128 v[6:9], off, off offset:112
	;; [unrolled: 1-line block ×13, first 2 shown]
	scratch_load_b64 v[184:185], off, off offset:88
	ds_load_b128 v[132:135], v1 offset:400
	ds_load_b128 v[136:139], v1 offset:416
	;; [unrolled: 1-line block ×13, first 2 shown]
	s_mov_b32 s0, exec_lo
	s_wait_loadcnt_dscnt 0xd0c
	v_dual_mul_f32 v1, v132, v3 :: v_dual_mul_f32 v22, v134, v5
	s_wait_loadcnt_dscnt 0xc0b
	v_dual_mul_f32 v5, v135, v5 :: v_dual_mul_f32 v186, v136, v7
	v_mul_f32_e32 v187, v138, v9
	s_wait_loadcnt_dscnt 0xb0a
	v_dual_fmac_f32 v1, v133, v2 :: v_dual_mul_f32 v188, v140, v11
	v_mul_f32_e32 v189, v142, v13
	v_dual_mul_f32 v3, v133, v3 :: v_dual_fmac_f32 v22, v135, v4
	s_wait_loadcnt_dscnt 0xa09
	v_dual_mul_f32 v190, v144, v15 :: v_dual_mul_f32 v191, v146, v17
	s_wait_loadcnt_dscnt 0x201
	v_mul_f32_e32 v206, v176, v125
	v_fma_f32 v3, v132, v2, -v3
	s_wait_loadcnt_dscnt 0x100
	v_mul_f32_e32 v209, v182, v131
	v_mul_f32_e32 v2, v137, v7
	v_fma_f32 v4, v134, v4, -v5
	v_dual_mul_f32 v5, v139, v9 :: v_dual_fmac_f32 v188, v141, v10
	v_dual_add_f32 v3, 0, v3 :: v_dual_fmac_f32 v186, v137, v6
	s_delay_alu instid0(VALU_DEP_4) | instskip(NEXT) | instid1(VALU_DEP_3)
	v_fma_f32 v2, v136, v6, -v2
	v_fma_f32 v5, v138, v8, -v5
	s_delay_alu instid0(VALU_DEP_3) | instskip(SKIP_2) | instid1(VALU_DEP_3)
	v_dual_fmac_f32 v190, v145, v14 :: v_dual_add_f32 v3, v3, v4
	v_dual_mul_f32 v192, v148, v19 :: v_dual_mul_f32 v193, v150, v21
	v_dual_mul_f32 v194, v152, v25 :: v_dual_mul_f32 v195, v154, v27
	v_add_f32_e32 v2, v3, v2
	s_delay_alu instid0(VALU_DEP_3) | instskip(SKIP_1) | instid1(VALU_DEP_3)
	v_dual_mul_f32 v3, v143, v13 :: v_dual_fmac_f32 v192, v149, v18
	v_dual_mul_f32 v4, v141, v11 :: v_dual_fmac_f32 v191, v147, v16
	v_add_f32_e32 v2, v2, v5
	v_add_f32_e32 v1, 0, v1
	s_delay_alu instid0(VALU_DEP_4) | instskip(NEXT) | instid1(VALU_DEP_4)
	v_fma_f32 v3, v142, v12, -v3
	v_fma_f32 v4, v140, v10, -v4
	v_dual_mul_f32 v196, v156, v105 :: v_dual_mul_f32 v197, v158, v107
	s_delay_alu instid0(VALU_DEP_4) | instskip(SKIP_1) | instid1(VALU_DEP_4)
	v_dual_add_f32 v1, v1, v22 :: v_dual_mul_f32 v200, v164, v113
	v_mul_f32_e32 v201, v166, v115
	v_add_f32_e32 v2, v2, v4
	s_delay_alu instid0(VALU_DEP_3) | instskip(SKIP_2) | instid1(VALU_DEP_3)
	v_dual_mul_f32 v4, v147, v17 :: v_dual_add_f32 v1, v1, v186
	v_dual_fmac_f32 v187, v139, v8 :: v_dual_mul_f32 v198, v160, v109
	v_mul_f32_e32 v199, v162, v111
	v_fma_f32 v4, v146, v16, -v4
	v_mul_f32_e32 v5, v145, v15
	v_add_f32_e32 v2, v2, v3
	v_add_f32_e32 v1, v1, v187
	v_dual_fmac_f32 v197, v159, v106 :: v_dual_mul_f32 v202, v168, v117
	v_mul_f32_e32 v203, v170, v119
	v_fma_f32 v5, v144, v14, -v5
	v_fmac_f32_e32 v189, v143, v12
	v_dual_fmac_f32 v194, v153, v24 :: v_dual_fmac_f32 v195, v155, v26
	v_fmac_f32_e32 v198, v161, v108
	s_delay_alu instid0(VALU_DEP_4) | instskip(SKIP_2) | instid1(VALU_DEP_3)
	v_add_f32_e32 v2, v2, v5
	v_mul_f32_e32 v5, v151, v21
	v_dual_mul_f32 v204, v172, v121 :: v_dual_mul_f32 v205, v174, v123
	v_dual_fmac_f32 v203, v171, v118 :: v_dual_add_f32 v2, v2, v4
	s_delay_alu instid0(VALU_DEP_3) | instskip(SKIP_4) | instid1(VALU_DEP_4)
	v_fma_f32 v5, v150, v20, -v5
	v_mul_f32_e32 v3, v149, v19
	v_dual_mul_f32 v4, v153, v25 :: v_dual_mul_f32 v207, v178, v127
	v_mul_f32_e32 v208, v180, v129
	v_fmac_f32_e32 v196, v157, v104
	v_fma_f32 v3, v148, v18, -v3
	v_add_f32_e32 v1, v1, v188
	v_fma_f32 v4, v152, v24, -v4
	v_dual_fmac_f32 v201, v167, v114 :: v_dual_fmac_f32 v204, v173, v120
	s_delay_alu instid0(VALU_DEP_4) | instskip(SKIP_3) | instid1(VALU_DEP_4)
	v_add_f32_e32 v2, v2, v3
	v_mul_f32_e32 v3, v155, v27
	v_fmac_f32_e32 v207, v179, v126
	v_dual_fmac_f32 v209, v183, v130 :: v_dual_fmac_f32 v200, v165, v112
	v_add_f32_e32 v2, v2, v5
	v_add_f32_e32 v1, v1, v189
	v_fma_f32 v3, v154, v26, -v3
	v_fmac_f32_e32 v202, v169, v116
	v_fmac_f32_e32 v206, v177, v124
	s_delay_alu instid0(VALU_DEP_4) | instskip(SKIP_3) | instid1(VALU_DEP_4)
	v_dual_add_f32 v2, v2, v4 :: v_dual_add_f32 v1, v1, v190
	v_mul_f32_e32 v4, v159, v107
	v_fmac_f32_e32 v193, v151, v20
	v_fmac_f32_e32 v208, v181, v128
	v_dual_add_f32 v2, v2, v3 :: v_dual_mul_f32 v3, v161, v109
	s_delay_alu instid0(VALU_DEP_4) | instskip(SKIP_1) | instid1(VALU_DEP_3)
	v_fma_f32 v4, v158, v106, -v4
	v_mul_f32_e32 v5, v157, v105
	v_fma_f32 v3, v160, v108, -v3
	s_delay_alu instid0(VALU_DEP_2) | instskip(NEXT) | instid1(VALU_DEP_1)
	v_fma_f32 v5, v156, v104, -v5
	v_dual_add_f32 v1, v1, v191 :: v_dual_add_f32 v2, v2, v5
	s_delay_alu instid0(VALU_DEP_1) | instskip(NEXT) | instid1(VALU_DEP_2)
	v_dual_mul_f32 v5, v163, v111 :: v_dual_add_f32 v2, v2, v4
	v_add_f32_e32 v1, v1, v192
	v_mul_f32_e32 v4, v165, v113
	s_delay_alu instid0(VALU_DEP_3) | instskip(NEXT) | instid1(VALU_DEP_4)
	v_fma_f32 v5, v162, v110, -v5
	v_dual_add_f32 v2, v2, v3 :: v_dual_fmac_f32 v199, v163, v110
	v_mul_f32_e32 v3, v167, v115
	s_delay_alu instid0(VALU_DEP_4) | instskip(NEXT) | instid1(VALU_DEP_3)
	v_fma_f32 v4, v164, v112, -v4
	v_add_f32_e32 v2, v2, v5
	v_add_f32_e32 v1, v1, v193
	s_delay_alu instid0(VALU_DEP_4) | instskip(NEXT) | instid1(VALU_DEP_3)
	v_fma_f32 v3, v166, v114, -v3
	v_dual_add_f32 v2, v2, v4 :: v_dual_mul_f32 v5, v169, v117
	s_delay_alu instid0(VALU_DEP_3) | instskip(NEXT) | instid1(VALU_DEP_2)
	v_dual_add_f32 v1, v1, v194 :: v_dual_mul_f32 v4, v171, v119
	v_add_f32_e32 v2, v2, v3
	s_delay_alu instid0(VALU_DEP_3) | instskip(NEXT) | instid1(VALU_DEP_3)
	v_fma_f32 v5, v168, v116, -v5
	v_add_f32_e32 v1, v1, v195
	v_mul_f32_e32 v3, v173, v121
	v_fma_f32 v4, v170, v118, -v4
	s_delay_alu instid0(VALU_DEP_4) | instskip(NEXT) | instid1(VALU_DEP_3)
	v_dual_add_f32 v2, v2, v5 :: v_dual_mul_f32 v5, v175, v123
	v_fma_f32 v3, v172, v120, -v3
	s_delay_alu instid0(VALU_DEP_2) | instskip(SKIP_3) | instid1(VALU_DEP_4)
	v_add_f32_e32 v2, v2, v4
	v_add_f32_e32 v1, v1, v196
	v_mul_f32_e32 v4, v177, v125
	v_fma_f32 v5, v174, v122, -v5
	v_dual_add_f32 v2, v2, v3 :: v_dual_fmac_f32 v205, v175, v122
	v_mul_f32_e32 v3, v179, v127
	s_delay_alu instid0(VALU_DEP_4) | instskip(NEXT) | instid1(VALU_DEP_3)
	v_fma_f32 v4, v176, v124, -v4
	v_add_f32_e32 v2, v2, v5
	v_add_f32_e32 v1, v1, v197
	s_delay_alu instid0(VALU_DEP_4) | instskip(NEXT) | instid1(VALU_DEP_2)
	v_fma_f32 v3, v178, v126, -v3
	v_dual_add_f32 v2, v2, v4 :: v_dual_add_f32 v1, v1, v198
	v_dual_mul_f32 v4, v183, v131 :: v_dual_mul_f32 v5, v181, v129
	s_delay_alu instid0(VALU_DEP_2) | instskip(NEXT) | instid1(VALU_DEP_2)
	v_add_f32_e32 v2, v2, v3
	v_fma_f32 v3, v182, v130, -v4
	s_delay_alu instid0(VALU_DEP_3) | instskip(NEXT) | instid1(VALU_DEP_1)
	v_fma_f32 v5, v180, v128, -v5
	v_dual_add_f32 v1, v1, v199 :: v_dual_add_f32 v2, v2, v5
	s_delay_alu instid0(VALU_DEP_1) | instskip(NEXT) | instid1(VALU_DEP_1)
	v_dual_add_f32 v1, v1, v200 :: v_dual_add_f32 v2, v2, v3
	v_add_f32_e32 v1, v1, v201
	s_delay_alu instid0(VALU_DEP_1) | instskip(NEXT) | instid1(VALU_DEP_1)
	v_add_f32_e32 v1, v1, v202
	v_add_f32_e32 v1, v1, v203
	s_delay_alu instid0(VALU_DEP_1) | instskip(NEXT) | instid1(VALU_DEP_1)
	v_add_f32_e32 v1, v1, v204
	;; [unrolled: 3-line block ×4, first 2 shown]
	v_add_f32_e32 v3, v1, v209
	s_wait_loadcnt 0x0
	s_delay_alu instid0(VALU_DEP_1)
	v_dual_sub_f32 v1, v184, v2 :: v_dual_sub_f32 v2, v185, v3
	scratch_store_b64 off, v[1:2], off offset:88
	v_cmpx_lt_u32_e32 10, v0
	s_cbranch_execz .LBB101_221
; %bb.220:
	scratch_load_b64 v[1:2], off, off offset:80
	v_mov_b32_e32 v3, 0
	s_delay_alu instid0(VALU_DEP_1)
	v_mov_b32_e32 v4, v3
	scratch_store_b64 off, v[3:4], off offset:80
	s_wait_loadcnt 0x0
	ds_store_b64 v23, v[1:2]
.LBB101_221:
	s_wait_alu 0xfffe
	s_or_b32 exec_lo, exec_lo, s0
	s_wait_storecnt_dscnt 0x0
	s_barrier_signal -1
	s_barrier_wait -1
	global_inv scope:SCOPE_SE
	s_clause 0xe
	scratch_load_b128 v[2:5], off, off offset:88
	scratch_load_b128 v[6:9], off, off offset:104
	;; [unrolled: 1-line block ×13, first 2 shown]
	scratch_load_b64 v[184:185], off, off offset:296
	scratch_load_b64 v[186:187], off, off offset:80
	v_mov_b32_e32 v1, 0
	ds_load_2addr_b64 v[132:135], v1 offset0:49 offset1:50
	ds_load_2addr_b64 v[136:139], v1 offset0:51 offset1:52
	;; [unrolled: 1-line block ×13, first 2 shown]
	ds_load_b64 v[188:189], v1 offset:600
	s_mov_b32 s0, exec_lo
	s_wait_loadcnt_dscnt 0xe0d
	v_mul_f32_e32 v22, v132, v3
	v_dual_mul_f32 v3, v133, v3 :: v_dual_mul_f32 v190, v134, v5
	s_wait_loadcnt_dscnt 0xa09
	v_dual_mul_f32 v191, v136, v7 :: v_dual_mul_f32 v198, v150, v21
	v_mul_f32_e32 v5, v135, v5
	s_delay_alu instid0(VALU_DEP_3) | instskip(SKIP_3) | instid1(VALU_DEP_4)
	v_fma_f32 v3, v132, v2, -v3
	v_dual_mul_f32 v192, v138, v9 :: v_dual_mul_f32 v193, v140, v11
	v_fmac_f32_e32 v22, v133, v2
	v_mul_f32_e32 v2, v137, v7
	v_dual_fmac_f32 v190, v135, v4 :: v_dual_add_f32 v3, 0, v3
	s_wait_loadcnt_dscnt 0x100
	v_mul_f32_e32 v215, v188, v185
	v_fma_f32 v4, v134, v4, -v5
	v_dual_add_f32 v5, 0, v22 :: v_dual_fmac_f32 v192, v139, v8
	v_mul_f32_e32 v7, v139, v9
	v_fma_f32 v2, v136, v6, -v2
	s_delay_alu instid0(VALU_DEP_4)
	v_add_f32_e32 v3, v3, v4
	v_fmac_f32_e32 v191, v137, v6
	v_add_f32_e32 v4, v5, v190
	v_mul_f32_e32 v5, v141, v11
	v_fma_f32 v6, v138, v8, -v7
	v_add_f32_e32 v2, v3, v2
	v_dual_mul_f32 v194, v142, v13 :: v_dual_mul_f32 v195, v144, v15
	v_dual_add_f32 v3, v4, v191 :: v_dual_mul_f32 v4, v143, v13
	v_fma_f32 v5, v140, v10, -v5
	s_delay_alu instid0(VALU_DEP_4)
	v_add_f32_e32 v2, v2, v6
	v_fmac_f32_e32 v193, v141, v10
	v_mul_f32_e32 v6, v145, v15
	v_fmac_f32_e32 v194, v143, v12
	v_add_f32_e32 v3, v3, v192
	v_fma_f32 v4, v142, v12, -v4
	v_add_f32_e32 v2, v2, v5
	v_dual_mul_f32 v196, v146, v17 :: v_dual_mul_f32 v197, v148, v19
	s_delay_alu instid0(VALU_DEP_4)
	v_add_f32_e32 v3, v3, v193
	v_mul_f32_e32 v5, v147, v17
	v_fma_f32 v6, v144, v14, -v6
	v_dual_add_f32 v2, v2, v4 :: v_dual_fmac_f32 v195, v145, v14
	v_fmac_f32_e32 v196, v147, v16
	v_mul_f32_e32 v4, v149, v19
	v_fma_f32 v5, v146, v16, -v5
	s_delay_alu instid0(VALU_DEP_4) | instskip(SKIP_3) | instid1(VALU_DEP_3)
	v_add_f32_e32 v2, v2, v6
	v_add_f32_e32 v3, v3, v194
	v_dual_mul_f32 v6, v151, v21 :: v_dual_fmac_f32 v197, v149, v18
	v_fma_f32 v4, v148, v18, -v4
	v_dual_add_f32 v2, v2, v5 :: v_dual_add_f32 v3, v3, v195
	s_delay_alu instid0(VALU_DEP_3) | instskip(SKIP_1) | instid1(VALU_DEP_3)
	v_fma_f32 v6, v150, v20, -v6
	v_dual_mul_f32 v199, v152, v25 :: v_dual_mul_f32 v200, v154, v27
	v_add_f32_e32 v2, v2, v4
	s_delay_alu instid0(VALU_DEP_4) | instskip(SKIP_1) | instid1(VALU_DEP_4)
	v_add_f32_e32 v3, v3, v196
	v_dual_mul_f32 v5, v153, v25 :: v_dual_fmac_f32 v198, v151, v20
	v_dual_mul_f32 v4, v155, v27 :: v_dual_fmac_f32 v199, v153, v24
	s_delay_alu instid0(VALU_DEP_3) | instskip(NEXT) | instid1(VALU_DEP_3)
	v_dual_add_f32 v2, v2, v6 :: v_dual_add_f32 v3, v3, v197
	v_fma_f32 v5, v152, v24, -v5
	v_dual_mul_f32 v201, v156, v105 :: v_dual_mul_f32 v202, v158, v107
	s_delay_alu instid0(VALU_DEP_3) | instskip(NEXT) | instid1(VALU_DEP_2)
	v_dual_mul_f32 v6, v157, v105 :: v_dual_add_f32 v3, v3, v198
	v_dual_fmac_f32 v200, v155, v26 :: v_dual_fmac_f32 v201, v157, v104
	v_fma_f32 v4, v154, v26, -v4
	s_delay_alu instid0(VALU_DEP_3) | instskip(SKIP_3) | instid1(VALU_DEP_4)
	v_dual_add_f32 v2, v2, v5 :: v_dual_add_f32 v3, v3, v199
	v_mul_f32_e32 v5, v159, v107
	v_fma_f32 v6, v156, v104, -v6
	v_dual_mul_f32 v203, v160, v109 :: v_dual_mul_f32 v204, v162, v111
	v_add_f32_e32 v2, v2, v4
	v_dual_add_f32 v3, v3, v200 :: v_dual_mul_f32 v4, v161, v109
	s_delay_alu instid0(VALU_DEP_3) | instskip(SKIP_1) | instid1(VALU_DEP_3)
	v_dual_fmac_f32 v202, v159, v106 :: v_dual_fmac_f32 v203, v161, v108
	v_fma_f32 v5, v158, v106, -v5
	v_dual_add_f32 v2, v2, v6 :: v_dual_add_f32 v3, v3, v201
	v_mul_f32_e32 v6, v163, v111
	v_fma_f32 v4, v160, v108, -v4
	v_dual_mul_f32 v205, v164, v113 :: v_dual_mul_f32 v206, v166, v115
	s_delay_alu instid0(VALU_DEP_4) | instskip(SKIP_1) | instid1(VALU_DEP_3)
	v_dual_add_f32 v2, v2, v5 :: v_dual_add_f32 v3, v3, v202
	v_dual_mul_f32 v5, v165, v113 :: v_dual_fmac_f32 v204, v163, v110
	v_fmac_f32_e32 v205, v165, v112
	v_fma_f32 v6, v162, v110, -v6
	s_delay_alu instid0(VALU_DEP_4) | instskip(SKIP_2) | instid1(VALU_DEP_2)
	v_dual_add_f32 v2, v2, v4 :: v_dual_add_f32 v3, v3, v203
	v_dual_mul_f32 v207, v168, v117 :: v_dual_mul_f32 v208, v170, v119
	v_dual_mul_f32 v209, v172, v121 :: v_dual_mul_f32 v210, v174, v123
	v_dual_mul_f32 v4, v167, v115 :: v_dual_fmac_f32 v207, v169, v116
	v_fma_f32 v5, v164, v112, -v5
	v_dual_add_f32 v2, v2, v6 :: v_dual_add_f32 v3, v3, v204
	v_mul_f32_e32 v6, v169, v117
	v_dual_fmac_f32 v206, v167, v114 :: v_dual_fmac_f32 v209, v173, v120
	v_fma_f32 v4, v166, v114, -v4
	s_delay_alu instid0(VALU_DEP_4) | instskip(SKIP_3) | instid1(VALU_DEP_3)
	v_add_f32_e32 v3, v3, v205
	v_dual_add_f32 v2, v2, v5 :: v_dual_mul_f32 v5, v171, v119
	v_fma_f32 v6, v168, v116, -v6
	v_dual_mul_f32 v213, v180, v129 :: v_dual_mul_f32 v214, v182, v131
	v_dual_add_f32 v3, v3, v206 :: v_dual_add_f32 v2, v2, v4
	v_mul_f32_e32 v4, v173, v121
	v_fmac_f32_e32 v208, v171, v118
	v_fma_f32 v5, v170, v118, -v5
	s_delay_alu instid0(VALU_DEP_4) | instskip(SKIP_3) | instid1(VALU_DEP_4)
	v_dual_add_f32 v3, v3, v207 :: v_dual_add_f32 v2, v2, v6
	v_dual_mul_f32 v211, v176, v125 :: v_dual_mul_f32 v212, v178, v127
	v_mul_f32_e32 v6, v175, v123
	v_dual_fmac_f32 v210, v175, v122 :: v_dual_fmac_f32 v213, v181, v128
	v_add_f32_e32 v2, v2, v5
	v_mul_f32_e32 v5, v177, v125
	v_add_f32_e32 v3, v3, v208
	v_fma_f32 v4, v172, v120, -v4
	v_fmac_f32_e32 v211, v177, v124
	v_fma_f32 v6, v174, v122, -v6
	v_fma_f32 v5, v176, v124, -v5
	v_add_f32_e32 v3, v3, v209
	v_dual_fmac_f32 v212, v179, v126 :: v_dual_fmac_f32 v215, v189, v184
	v_fmac_f32_e32 v214, v183, v130
	s_delay_alu instid0(VALU_DEP_3) | instskip(SKIP_1) | instid1(VALU_DEP_2)
	v_dual_add_f32 v3, v3, v210 :: v_dual_add_f32 v2, v2, v4
	v_mul_f32_e32 v4, v179, v127
	v_dual_add_f32 v3, v3, v211 :: v_dual_add_f32 v2, v2, v6
	v_mul_f32_e32 v6, v181, v129
	s_delay_alu instid0(VALU_DEP_3) | instskip(NEXT) | instid1(VALU_DEP_3)
	v_fma_f32 v4, v178, v126, -v4
	v_dual_add_f32 v3, v3, v212 :: v_dual_add_f32 v2, v2, v5
	v_mul_f32_e32 v5, v183, v131
	s_delay_alu instid0(VALU_DEP_4) | instskip(NEXT) | instid1(VALU_DEP_3)
	v_fma_f32 v6, v180, v128, -v6
	v_dual_add_f32 v3, v3, v213 :: v_dual_add_f32 v2, v2, v4
	v_mul_f32_e32 v4, v189, v185
	s_delay_alu instid0(VALU_DEP_4) | instskip(NEXT) | instid1(VALU_DEP_3)
	v_fma_f32 v5, v182, v130, -v5
	v_add_f32_e32 v3, v3, v214
	s_delay_alu instid0(VALU_DEP_4) | instskip(NEXT) | instid1(VALU_DEP_4)
	v_add_f32_e32 v2, v2, v6
	v_fma_f32 v4, v188, v184, -v4
	s_delay_alu instid0(VALU_DEP_2) | instskip(SKIP_1) | instid1(VALU_DEP_1)
	v_dual_add_f32 v3, v3, v215 :: v_dual_add_f32 v2, v2, v5
	s_wait_loadcnt 0x0
	v_dual_sub_f32 v3, v187, v3 :: v_dual_add_f32 v2, v2, v4
	s_delay_alu instid0(VALU_DEP_1)
	v_sub_f32_e32 v2, v186, v2
	scratch_store_b64 off, v[2:3], off offset:80
	v_cmpx_lt_u32_e32 9, v0
	s_cbranch_execz .LBB101_223
; %bb.222:
	scratch_load_b64 v[3:4], off, off offset:72
	v_mov_b32_e32 v2, v1
	scratch_store_b64 off, v[1:2], off offset:72
	s_wait_loadcnt 0x0
	ds_store_b64 v23, v[3:4]
.LBB101_223:
	s_wait_alu 0xfffe
	s_or_b32 exec_lo, exec_lo, s0
	s_wait_storecnt_dscnt 0x0
	s_barrier_signal -1
	s_barrier_wait -1
	global_inv scope:SCOPE_SE
	s_clause 0xe
	scratch_load_b128 v[2:5], off, off offset:80
	scratch_load_b128 v[6:9], off, off offset:96
	;; [unrolled: 1-line block ×14, first 2 shown]
	scratch_load_b64 v[192:193], off, off offset:72
	ds_load_b128 v[136:139], v1 offset:384
	ds_load_b128 v[140:143], v1 offset:400
	;; [unrolled: 1-line block ×14, first 2 shown]
	s_mov_b32 s0, exec_lo
	s_wait_loadcnt_dscnt 0xe0d
	v_dual_mul_f32 v1, v136, v3 :: v_dual_mul_f32 v22, v138, v5
	s_wait_loadcnt_dscnt 0xd0c
	v_dual_mul_f32 v5, v139, v5 :: v_dual_mul_f32 v194, v140, v7
	v_mul_f32_e32 v195, v142, v9
	s_wait_loadcnt_dscnt 0xc0b
	v_dual_fmac_f32 v1, v137, v2 :: v_dual_mul_f32 v196, v144, v11
	v_mul_f32_e32 v197, v146, v13
	v_dual_mul_f32 v3, v137, v3 :: v_dual_fmac_f32 v22, v139, v4
	s_wait_loadcnt_dscnt 0xb0a
	v_dual_mul_f32 v198, v148, v15 :: v_dual_mul_f32 v199, v150, v17
	s_wait_loadcnt_dscnt 0x201
	v_mul_f32_e32 v216, v184, v129
	v_fma_f32 v3, v136, v2, -v3
	s_wait_loadcnt_dscnt 0x100
	v_mul_f32_e32 v219, v190, v135
	v_mul_f32_e32 v2, v141, v7
	v_fma_f32 v4, v138, v4, -v5
	v_dual_mul_f32 v5, v143, v9 :: v_dual_fmac_f32 v196, v145, v10
	v_dual_add_f32 v3, 0, v3 :: v_dual_fmac_f32 v194, v141, v6
	s_delay_alu instid0(VALU_DEP_4) | instskip(NEXT) | instid1(VALU_DEP_3)
	v_fma_f32 v2, v140, v6, -v2
	v_fma_f32 v5, v142, v8, -v5
	s_delay_alu instid0(VALU_DEP_3) | instskip(SKIP_2) | instid1(VALU_DEP_3)
	v_dual_fmac_f32 v198, v149, v14 :: v_dual_add_f32 v3, v3, v4
	v_dual_mul_f32 v200, v152, v19 :: v_dual_mul_f32 v201, v154, v21
	v_dual_mul_f32 v202, v156, v25 :: v_dual_mul_f32 v203, v158, v27
	v_add_f32_e32 v2, v3, v2
	s_delay_alu instid0(VALU_DEP_3) | instskip(SKIP_1) | instid1(VALU_DEP_3)
	v_dual_mul_f32 v3, v147, v13 :: v_dual_fmac_f32 v200, v153, v18
	v_dual_fmac_f32 v199, v151, v16 :: v_dual_mul_f32 v4, v145, v11
	v_add_f32_e32 v2, v2, v5
	v_add_f32_e32 v1, 0, v1
	s_delay_alu instid0(VALU_DEP_4) | instskip(SKIP_2) | instid1(VALU_DEP_4)
	v_fma_f32 v3, v146, v12, -v3
	v_dual_mul_f32 v204, v160, v105 :: v_dual_mul_f32 v205, v162, v107
	v_fma_f32 v4, v144, v10, -v4
	v_dual_add_f32 v1, v1, v22 :: v_dual_mul_f32 v208, v168, v113
	v_dual_mul_f32 v209, v170, v115 :: v_dual_mul_f32 v206, v164, v109
	v_mul_f32_e32 v207, v166, v111
	s_delay_alu instid0(VALU_DEP_3) | instskip(SKIP_2) | instid1(VALU_DEP_3)
	v_dual_add_f32 v2, v2, v4 :: v_dual_add_f32 v1, v1, v194
	v_mul_f32_e32 v4, v151, v17
	v_fmac_f32_e32 v195, v143, v8
	v_dual_fmac_f32 v205, v163, v106 :: v_dual_add_f32 v2, v2, v3
	v_dual_mul_f32 v210, v172, v117 :: v_dual_mul_f32 v211, v174, v119
	s_delay_alu instid0(VALU_DEP_4) | instskip(SKIP_4) | instid1(VALU_DEP_4)
	v_fma_f32 v4, v150, v16, -v4
	v_mul_f32_e32 v5, v149, v15
	v_add_f32_e32 v1, v1, v195
	v_dual_fmac_f32 v203, v159, v26 :: v_dual_fmac_f32 v206, v165, v108
	v_fmac_f32_e32 v202, v157, v24
	v_fma_f32 v5, v148, v14, -v5
	v_dual_fmac_f32 v197, v147, v12 :: v_dual_mul_f32 v214, v180, v125
	v_dual_mul_f32 v215, v182, v127 :: v_dual_mul_f32 v212, v176, v121
	v_mul_f32_e32 v213, v178, v123
	s_delay_alu instid0(VALU_DEP_4) | instskip(SKIP_3) | instid1(VALU_DEP_4)
	v_add_f32_e32 v2, v2, v5
	v_mul_f32_e32 v5, v155, v21
	v_fmac_f32_e32 v211, v175, v118
	v_dual_fmac_f32 v209, v171, v114 :: v_dual_fmac_f32 v212, v177, v120
	v_add_f32_e32 v2, v2, v4
	s_delay_alu instid0(VALU_DEP_4) | instskip(SKIP_4) | instid1(VALU_DEP_4)
	v_fma_f32 v5, v154, v20, -v5
	v_mul_f32_e32 v3, v153, v19
	v_mul_f32_e32 v4, v157, v25
	v_dual_fmac_f32 v204, v161, v104 :: v_dual_mul_f32 v217, v186, v131
	v_mul_f32_e32 v218, v188, v133
	v_fma_f32 v3, v152, v18, -v3
	v_add_f32_e32 v1, v1, v196
	v_fma_f32 v4, v156, v24, -v4
	s_delay_alu instid0(VALU_DEP_4) | instskip(NEXT) | instid1(VALU_DEP_4)
	v_dual_fmac_f32 v215, v183, v126 :: v_dual_fmac_f32 v218, v189, v132
	v_add_f32_e32 v2, v2, v3
	v_mul_f32_e32 v3, v159, v27
	v_fmac_f32_e32 v217, v187, v130
	v_dual_fmac_f32 v219, v191, v134 :: v_dual_fmac_f32 v208, v169, v112
	s_delay_alu instid0(VALU_DEP_4) | instskip(SKIP_4) | instid1(VALU_DEP_4)
	v_add_f32_e32 v2, v2, v5
	v_add_f32_e32 v1, v1, v197
	v_fma_f32 v3, v158, v26, -v3
	v_fmac_f32_e32 v210, v173, v116
	v_fmac_f32_e32 v214, v181, v124
	v_dual_add_f32 v2, v2, v4 :: v_dual_add_f32 v1, v1, v198
	v_mul_f32_e32 v4, v163, v107
	v_fmac_f32_e32 v201, v155, v20
	v_fmac_f32_e32 v216, v185, v128
	s_delay_alu instid0(VALU_DEP_4) | instskip(NEXT) | instid1(VALU_DEP_4)
	v_dual_add_f32 v2, v2, v3 :: v_dual_mul_f32 v3, v165, v109
	v_fma_f32 v4, v162, v106, -v4
	v_mul_f32_e32 v5, v161, v105
	s_delay_alu instid0(VALU_DEP_3) | instskip(NEXT) | instid1(VALU_DEP_2)
	v_fma_f32 v3, v164, v108, -v3
	v_fma_f32 v5, v160, v104, -v5
	s_delay_alu instid0(VALU_DEP_1) | instskip(NEXT) | instid1(VALU_DEP_1)
	v_dual_add_f32 v1, v1, v199 :: v_dual_add_f32 v2, v2, v5
	v_dual_mul_f32 v5, v167, v111 :: v_dual_add_f32 v2, v2, v4
	s_delay_alu instid0(VALU_DEP_2) | instskip(SKIP_1) | instid1(VALU_DEP_3)
	v_add_f32_e32 v1, v1, v200
	v_mul_f32_e32 v4, v169, v113
	v_fma_f32 v5, v166, v110, -v5
	s_delay_alu instid0(VALU_DEP_4) | instskip(SKIP_1) | instid1(VALU_DEP_4)
	v_dual_add_f32 v2, v2, v3 :: v_dual_fmac_f32 v207, v167, v110
	v_mul_f32_e32 v3, v171, v115
	v_fma_f32 v4, v168, v112, -v4
	s_delay_alu instid0(VALU_DEP_3) | instskip(SKIP_1) | instid1(VALU_DEP_4)
	v_add_f32_e32 v2, v2, v5
	v_add_f32_e32 v1, v1, v201
	v_fma_f32 v3, v170, v114, -v3
	s_delay_alu instid0(VALU_DEP_3) | instskip(NEXT) | instid1(VALU_DEP_3)
	v_dual_add_f32 v2, v2, v4 :: v_dual_mul_f32 v5, v173, v117
	v_dual_add_f32 v1, v1, v202 :: v_dual_mul_f32 v4, v175, v119
	s_delay_alu instid0(VALU_DEP_2) | instskip(NEXT) | instid1(VALU_DEP_3)
	v_add_f32_e32 v2, v2, v3
	v_fma_f32 v5, v172, v116, -v5
	s_delay_alu instid0(VALU_DEP_3) | instskip(SKIP_2) | instid1(VALU_DEP_4)
	v_add_f32_e32 v1, v1, v203
	v_mul_f32_e32 v3, v177, v121
	v_fma_f32 v4, v174, v118, -v4
	v_dual_add_f32 v2, v2, v5 :: v_dual_mul_f32 v5, v179, v123
	s_delay_alu instid0(VALU_DEP_3) | instskip(NEXT) | instid1(VALU_DEP_2)
	v_fma_f32 v3, v176, v120, -v3
	v_add_f32_e32 v2, v2, v4
	v_add_f32_e32 v1, v1, v204
	v_mul_f32_e32 v4, v181, v125
	v_fma_f32 v5, v178, v122, -v5
	s_delay_alu instid0(VALU_DEP_4) | instskip(SKIP_1) | instid1(VALU_DEP_4)
	v_dual_add_f32 v2, v2, v3 :: v_dual_fmac_f32 v213, v179, v122
	v_mul_f32_e32 v3, v183, v127
	v_fma_f32 v4, v180, v124, -v4
	s_delay_alu instid0(VALU_DEP_3) | instskip(SKIP_1) | instid1(VALU_DEP_4)
	v_add_f32_e32 v2, v2, v5
	v_add_f32_e32 v1, v1, v205
	v_fma_f32 v3, v182, v126, -v3
	s_delay_alu instid0(VALU_DEP_3) | instskip(NEXT) | instid1(VALU_DEP_3)
	v_dual_add_f32 v2, v2, v4 :: v_dual_mul_f32 v5, v185, v129
	v_dual_add_f32 v1, v1, v206 :: v_dual_mul_f32 v4, v187, v131
	s_delay_alu instid0(VALU_DEP_2) | instskip(NEXT) | instid1(VALU_DEP_3)
	v_add_f32_e32 v2, v2, v3
	v_fma_f32 v5, v184, v128, -v5
	s_delay_alu instid0(VALU_DEP_3) | instskip(SKIP_2) | instid1(VALU_DEP_4)
	v_add_f32_e32 v1, v1, v207
	v_mul_f32_e32 v3, v189, v133
	v_fma_f32 v4, v186, v130, -v4
	v_dual_add_f32 v2, v2, v5 :: v_dual_mul_f32 v5, v191, v135
	s_delay_alu instid0(VALU_DEP_3) | instskip(NEXT) | instid1(VALU_DEP_2)
	v_fma_f32 v3, v188, v132, -v3
	v_add_f32_e32 v2, v2, v4
	v_add_f32_e32 v1, v1, v208
	s_delay_alu instid0(VALU_DEP_4) | instskip(NEXT) | instid1(VALU_DEP_2)
	v_fma_f32 v4, v190, v134, -v5
	v_dual_add_f32 v2, v2, v3 :: v_dual_add_f32 v1, v1, v209
	s_delay_alu instid0(VALU_DEP_1) | instskip(NEXT) | instid1(VALU_DEP_1)
	v_dual_add_f32 v2, v2, v4 :: v_dual_add_f32 v1, v1, v210
	v_add_f32_e32 v1, v1, v211
	s_delay_alu instid0(VALU_DEP_1) | instskip(NEXT) | instid1(VALU_DEP_1)
	v_add_f32_e32 v1, v1, v212
	v_add_f32_e32 v1, v1, v213
	s_delay_alu instid0(VALU_DEP_1) | instskip(NEXT) | instid1(VALU_DEP_1)
	v_add_f32_e32 v1, v1, v214
	;; [unrolled: 3-line block ×4, first 2 shown]
	v_add_f32_e32 v3, v1, v219
	s_wait_loadcnt 0x0
	s_delay_alu instid0(VALU_DEP_1)
	v_dual_sub_f32 v1, v192, v2 :: v_dual_sub_f32 v2, v193, v3
	scratch_store_b64 off, v[1:2], off offset:72
	v_cmpx_lt_u32_e32 8, v0
	s_cbranch_execz .LBB101_225
; %bb.224:
	scratch_load_b64 v[1:2], off, off offset:64
	v_mov_b32_e32 v3, 0
	s_delay_alu instid0(VALU_DEP_1)
	v_mov_b32_e32 v4, v3
	scratch_store_b64 off, v[3:4], off offset:64
	s_wait_loadcnt 0x0
	ds_store_b64 v23, v[1:2]
.LBB101_225:
	s_wait_alu 0xfffe
	s_or_b32 exec_lo, exec_lo, s0
	s_wait_storecnt_dscnt 0x0
	s_barrier_signal -1
	s_barrier_wait -1
	global_inv scope:SCOPE_SE
	s_clause 0xf
	scratch_load_b128 v[2:5], off, off offset:72
	scratch_load_b128 v[6:9], off, off offset:88
	;; [unrolled: 1-line block ×14, first 2 shown]
	scratch_load_b64 v[192:193], off, off offset:296
	scratch_load_b64 v[194:195], off, off offset:64
	v_mov_b32_e32 v1, 0
	ds_load_2addr_b64 v[136:139], v1 offset0:47 offset1:48
	ds_load_2addr_b64 v[140:143], v1 offset0:49 offset1:50
	ds_load_2addr_b64 v[144:147], v1 offset0:51 offset1:52
	ds_load_2addr_b64 v[148:151], v1 offset0:53 offset1:54
	ds_load_2addr_b64 v[152:155], v1 offset0:55 offset1:56
	ds_load_2addr_b64 v[156:159], v1 offset0:57 offset1:58
	ds_load_2addr_b64 v[160:163], v1 offset0:59 offset1:60
	ds_load_2addr_b64 v[164:167], v1 offset0:61 offset1:62
	ds_load_2addr_b64 v[168:171], v1 offset0:63 offset1:64
	ds_load_2addr_b64 v[172:175], v1 offset0:65 offset1:66
	ds_load_2addr_b64 v[176:179], v1 offset0:67 offset1:68
	ds_load_2addr_b64 v[180:183], v1 offset0:69 offset1:70
	ds_load_2addr_b64 v[184:187], v1 offset0:71 offset1:72
	ds_load_2addr_b64 v[188:191], v1 offset0:73 offset1:74
	ds_load_b64 v[196:197], v1 offset:600
	s_mov_b32 s0, exec_lo
	s_wait_loadcnt_dscnt 0xf0e
	v_mul_f32_e32 v22, v136, v3
	v_dual_mul_f32 v3, v137, v3 :: v_dual_mul_f32 v198, v138, v5
	s_wait_loadcnt_dscnt 0xb0a
	v_dual_mul_f32 v199, v140, v7 :: v_dual_mul_f32 v206, v154, v21
	v_mul_f32_e32 v5, v139, v5
	s_delay_alu instid0(VALU_DEP_3)
	v_fma_f32 v3, v136, v2, -v3
	v_dual_mul_f32 v200, v142, v9 :: v_dual_mul_f32 v201, v144, v11
	v_fmac_f32_e32 v198, v139, v4
	v_fmac_f32_e32 v22, v137, v2
	v_mul_f32_e32 v2, v141, v7
	v_fma_f32 v4, v138, v4, -v5
	v_add_f32_e32 v3, 0, v3
	s_wait_loadcnt_dscnt 0x100
	v_mul_f32_e32 v225, v196, v193
	v_dual_add_f32 v5, 0, v22 :: v_dual_fmac_f32 v200, v143, v8
	v_mul_f32_e32 v7, v143, v9
	v_fma_f32 v2, v140, v6, -v2
	v_add_f32_e32 v3, v3, v4
	v_fmac_f32_e32 v199, v141, v6
	v_add_f32_e32 v4, v5, v198
	v_mul_f32_e32 v5, v145, v11
	v_fma_f32 v6, v142, v8, -v7
	v_add_f32_e32 v2, v3, v2
	v_dual_mul_f32 v202, v146, v13 :: v_dual_mul_f32 v203, v148, v15
	v_dual_add_f32 v3, v4, v199 :: v_dual_mul_f32 v4, v147, v13
	v_fma_f32 v5, v144, v10, -v5
	s_delay_alu instid0(VALU_DEP_4)
	v_add_f32_e32 v2, v2, v6
	v_fmac_f32_e32 v201, v145, v10
	v_mul_f32_e32 v6, v149, v15
	v_fmac_f32_e32 v202, v147, v12
	v_add_f32_e32 v3, v3, v200
	v_fma_f32 v4, v146, v12, -v4
	v_add_f32_e32 v2, v2, v5
	v_dual_mul_f32 v204, v150, v17 :: v_dual_mul_f32 v205, v152, v19
	s_delay_alu instid0(VALU_DEP_4)
	v_add_f32_e32 v3, v3, v201
	v_mul_f32_e32 v5, v151, v17
	v_fma_f32 v6, v148, v14, -v6
	v_dual_add_f32 v2, v2, v4 :: v_dual_fmac_f32 v203, v149, v14
	v_fmac_f32_e32 v204, v151, v16
	v_mul_f32_e32 v4, v153, v19
	v_fma_f32 v5, v150, v16, -v5
	s_delay_alu instid0(VALU_DEP_4) | instskip(SKIP_3) | instid1(VALU_DEP_3)
	v_add_f32_e32 v2, v2, v6
	v_add_f32_e32 v3, v3, v202
	v_dual_mul_f32 v6, v155, v21 :: v_dual_fmac_f32 v205, v153, v18
	v_fma_f32 v4, v152, v18, -v4
	v_dual_add_f32 v2, v2, v5 :: v_dual_add_f32 v3, v3, v203
	s_delay_alu instid0(VALU_DEP_3) | instskip(SKIP_1) | instid1(VALU_DEP_3)
	v_fma_f32 v6, v154, v20, -v6
	v_dual_mul_f32 v207, v156, v25 :: v_dual_mul_f32 v208, v158, v27
	v_add_f32_e32 v2, v2, v4
	s_delay_alu instid0(VALU_DEP_4) | instskip(SKIP_1) | instid1(VALU_DEP_4)
	v_add_f32_e32 v3, v3, v204
	v_dual_mul_f32 v5, v157, v25 :: v_dual_fmac_f32 v206, v155, v20
	v_dual_mul_f32 v4, v159, v27 :: v_dual_fmac_f32 v207, v157, v24
	s_delay_alu instid0(VALU_DEP_3) | instskip(NEXT) | instid1(VALU_DEP_3)
	v_dual_add_f32 v2, v2, v6 :: v_dual_add_f32 v3, v3, v205
	v_fma_f32 v5, v156, v24, -v5
	v_dual_mul_f32 v209, v160, v105 :: v_dual_mul_f32 v210, v162, v107
	s_delay_alu instid0(VALU_DEP_3) | instskip(NEXT) | instid1(VALU_DEP_2)
	v_dual_mul_f32 v6, v161, v105 :: v_dual_add_f32 v3, v3, v206
	v_dual_fmac_f32 v208, v159, v26 :: v_dual_fmac_f32 v209, v161, v104
	v_fma_f32 v4, v158, v26, -v4
	s_delay_alu instid0(VALU_DEP_3) | instskip(SKIP_3) | instid1(VALU_DEP_4)
	v_dual_add_f32 v2, v2, v5 :: v_dual_add_f32 v3, v3, v207
	v_mul_f32_e32 v5, v163, v107
	v_fma_f32 v6, v160, v104, -v6
	v_dual_mul_f32 v211, v164, v109 :: v_dual_mul_f32 v212, v166, v111
	v_add_f32_e32 v2, v2, v4
	v_dual_add_f32 v3, v3, v208 :: v_dual_mul_f32 v4, v165, v109
	s_delay_alu instid0(VALU_DEP_3) | instskip(SKIP_1) | instid1(VALU_DEP_3)
	v_dual_fmac_f32 v210, v163, v106 :: v_dual_fmac_f32 v211, v165, v108
	v_fma_f32 v5, v162, v106, -v5
	v_dual_add_f32 v2, v2, v6 :: v_dual_add_f32 v3, v3, v209
	v_mul_f32_e32 v6, v167, v111
	v_fma_f32 v4, v164, v108, -v4
	v_dual_mul_f32 v213, v168, v113 :: v_dual_mul_f32 v214, v170, v115
	s_delay_alu instid0(VALU_DEP_4) | instskip(SKIP_1) | instid1(VALU_DEP_3)
	v_dual_add_f32 v2, v2, v5 :: v_dual_add_f32 v3, v3, v210
	v_dual_mul_f32 v5, v169, v113 :: v_dual_fmac_f32 v212, v167, v110
	v_fmac_f32_e32 v213, v169, v112
	v_fma_f32 v6, v166, v110, -v6
	s_delay_alu instid0(VALU_DEP_4) | instskip(SKIP_2) | instid1(VALU_DEP_2)
	v_dual_add_f32 v2, v2, v4 :: v_dual_add_f32 v3, v3, v211
	v_dual_mul_f32 v215, v172, v117 :: v_dual_mul_f32 v216, v174, v119
	v_dual_mul_f32 v217, v176, v121 :: v_dual_mul_f32 v218, v178, v123
	v_dual_mul_f32 v4, v171, v115 :: v_dual_fmac_f32 v215, v173, v116
	v_fma_f32 v5, v168, v112, -v5
	v_dual_add_f32 v2, v2, v6 :: v_dual_add_f32 v3, v3, v212
	v_mul_f32_e32 v6, v173, v117
	v_dual_fmac_f32 v214, v171, v114 :: v_dual_fmac_f32 v217, v177, v120
	v_fma_f32 v4, v170, v114, -v4
	s_delay_alu instid0(VALU_DEP_4) | instskip(SKIP_3) | instid1(VALU_DEP_3)
	v_add_f32_e32 v3, v3, v213
	v_dual_add_f32 v2, v2, v5 :: v_dual_mul_f32 v5, v175, v119
	v_fma_f32 v6, v172, v116, -v6
	v_dual_mul_f32 v221, v184, v129 :: v_dual_mul_f32 v222, v186, v131
	v_dual_add_f32 v3, v3, v214 :: v_dual_add_f32 v2, v2, v4
	v_mul_f32_e32 v4, v177, v121
	v_fmac_f32_e32 v216, v175, v118
	v_fma_f32 v5, v174, v118, -v5
	s_delay_alu instid0(VALU_DEP_4) | instskip(SKIP_3) | instid1(VALU_DEP_4)
	v_dual_add_f32 v3, v3, v215 :: v_dual_add_f32 v2, v2, v6
	v_dual_mul_f32 v219, v180, v125 :: v_dual_mul_f32 v220, v182, v127
	v_mul_f32_e32 v6, v179, v123
	v_dual_fmac_f32 v218, v179, v122 :: v_dual_fmac_f32 v221, v185, v128
	v_add_f32_e32 v2, v2, v5
	v_mul_f32_e32 v5, v181, v125
	v_add_f32_e32 v3, v3, v216
	v_fma_f32 v4, v176, v120, -v4
	v_fmac_f32_e32 v219, v181, v124
	v_fma_f32 v6, v178, v122, -v6
	v_dual_mul_f32 v223, v188, v133 :: v_dual_mul_f32 v224, v190, v135
	v_add_f32_e32 v3, v3, v217
	v_fma_f32 v5, v180, v124, -v5
	s_delay_alu instid0(VALU_DEP_3) | instskip(NEXT) | instid1(VALU_DEP_4)
	v_dual_fmac_f32 v220, v183, v126 :: v_dual_fmac_f32 v223, v189, v132
	v_fmac_f32_e32 v224, v191, v134
	s_delay_alu instid0(VALU_DEP_4) | instskip(SKIP_2) | instid1(VALU_DEP_3)
	v_dual_add_f32 v3, v3, v218 :: v_dual_add_f32 v2, v2, v4
	v_mul_f32_e32 v4, v183, v127
	v_dual_fmac_f32 v222, v187, v130 :: v_dual_fmac_f32 v225, v197, v192
	v_dual_add_f32 v3, v3, v219 :: v_dual_add_f32 v2, v2, v6
	v_mul_f32_e32 v6, v185, v129
	s_delay_alu instid0(VALU_DEP_4) | instskip(NEXT) | instid1(VALU_DEP_3)
	v_fma_f32 v4, v182, v126, -v4
	v_dual_add_f32 v2, v2, v5 :: v_dual_mul_f32 v5, v187, v131
	s_delay_alu instid0(VALU_DEP_3) | instskip(NEXT) | instid1(VALU_DEP_2)
	v_fma_f32 v6, v184, v128, -v6
	v_add_f32_e32 v2, v2, v4
	s_delay_alu instid0(VALU_DEP_3) | instskip(NEXT) | instid1(VALU_DEP_2)
	v_fma_f32 v5, v186, v130, -v5
	v_add_f32_e32 v2, v2, v6
	v_mul_f32_e32 v6, v191, v135
	s_delay_alu instid0(VALU_DEP_2) | instskip(SKIP_2) | instid1(VALU_DEP_4)
	v_add_f32_e32 v2, v2, v5
	v_mul_f32_e32 v5, v197, v193
	v_add_f32_e32 v3, v3, v220
	v_fma_f32 v6, v190, v134, -v6
	s_delay_alu instid0(VALU_DEP_2) | instskip(NEXT) | instid1(VALU_DEP_1)
	v_add_f32_e32 v3, v3, v221
	v_dual_mul_f32 v4, v189, v133 :: v_dual_add_f32 v3, v3, v222
	s_delay_alu instid0(VALU_DEP_1) | instskip(NEXT) | instid1(VALU_DEP_2)
	v_fma_f32 v4, v188, v132, -v4
	v_add_f32_e32 v3, v3, v223
	s_delay_alu instid0(VALU_DEP_1) | instskip(NEXT) | instid1(VALU_DEP_3)
	v_add_f32_e32 v3, v3, v224
	v_add_f32_e32 v2, v2, v4
	v_fma_f32 v4, v196, v192, -v5
	s_delay_alu instid0(VALU_DEP_2) | instskip(SKIP_1) | instid1(VALU_DEP_1)
	v_dual_add_f32 v3, v3, v225 :: v_dual_add_f32 v2, v2, v6
	s_wait_loadcnt 0x0
	v_dual_sub_f32 v3, v195, v3 :: v_dual_add_f32 v2, v2, v4
	s_delay_alu instid0(VALU_DEP_1)
	v_sub_f32_e32 v2, v194, v2
	scratch_store_b64 off, v[2:3], off offset:64
	v_cmpx_lt_u32_e32 7, v0
	s_cbranch_execz .LBB101_227
; %bb.226:
	scratch_load_b64 v[3:4], off, off offset:56
	v_mov_b32_e32 v2, v1
	scratch_store_b64 off, v[1:2], off offset:56
	s_wait_loadcnt 0x0
	ds_store_b64 v23, v[3:4]
.LBB101_227:
	s_wait_alu 0xfffe
	s_or_b32 exec_lo, exec_lo, s0
	s_wait_storecnt_dscnt 0x0
	s_barrier_signal -1
	s_barrier_wait -1
	global_inv scope:SCOPE_SE
	s_clause 0xf
	scratch_load_b128 v[2:5], off, off offset:64
	scratch_load_b128 v[6:9], off, off offset:80
	;; [unrolled: 1-line block ×15, first 2 shown]
	scratch_load_b64 v[200:201], off, off offset:56
	ds_load_b128 v[140:143], v1 offset:368
	ds_load_b128 v[144:147], v1 offset:384
	ds_load_b128 v[148:151], v1 offset:400
	ds_load_b128 v[152:155], v1 offset:416
	ds_load_b128 v[156:159], v1 offset:432
	ds_load_b128 v[160:163], v1 offset:448
	ds_load_b128 v[164:167], v1 offset:464
	ds_load_b128 v[168:171], v1 offset:480
	ds_load_b128 v[172:175], v1 offset:496
	ds_load_b128 v[176:179], v1 offset:512
	ds_load_b128 v[180:183], v1 offset:528
	ds_load_b128 v[184:187], v1 offset:544
	ds_load_b128 v[188:191], v1 offset:560
	ds_load_b128 v[192:195], v1 offset:576
	ds_load_b128 v[196:199], v1 offset:592
	s_mov_b32 s0, exec_lo
	s_wait_loadcnt_dscnt 0xf0e
	v_dual_mul_f32 v1, v140, v3 :: v_dual_mul_f32 v22, v142, v5
	s_wait_loadcnt_dscnt 0xe0d
	v_dual_mul_f32 v5, v143, v5 :: v_dual_mul_f32 v202, v144, v7
	v_mul_f32_e32 v203, v146, v9
	s_wait_loadcnt_dscnt 0xd0c
	v_dual_fmac_f32 v1, v141, v2 :: v_dual_mul_f32 v204, v148, v11
	s_wait_loadcnt_dscnt 0xc0b
	v_dual_mul_f32 v205, v150, v13 :: v_dual_mul_f32 v206, v152, v15
	v_mul_f32_e32 v207, v154, v17
	v_dual_mul_f32 v3, v141, v3 :: v_dual_fmac_f32 v22, v143, v4
	s_wait_loadcnt_dscnt 0xb0a
	v_dual_mul_f32 v208, v156, v19 :: v_dual_mul_f32 v209, v158, v21
	s_wait_loadcnt_dscnt 0x201
	v_mul_f32_e32 v226, v192, v133
	v_fma_f32 v3, v140, v2, -v3
	s_wait_loadcnt_dscnt 0x100
	v_mul_f32_e32 v229, v198, v139
	v_mul_f32_e32 v2, v145, v7
	v_fma_f32 v4, v142, v4, -v5
	v_dual_mul_f32 v5, v147, v9 :: v_dual_fmac_f32 v204, v149, v10
	v_dual_add_f32 v3, 0, v3 :: v_dual_fmac_f32 v202, v145, v6
	s_delay_alu instid0(VALU_DEP_4) | instskip(NEXT) | instid1(VALU_DEP_3)
	v_fma_f32 v2, v144, v6, -v2
	v_fma_f32 v5, v146, v8, -v5
	s_delay_alu instid0(VALU_DEP_3) | instskip(SKIP_2) | instid1(VALU_DEP_3)
	v_dual_fmac_f32 v206, v153, v14 :: v_dual_add_f32 v3, v3, v4
	v_dual_mul_f32 v210, v160, v25 :: v_dual_mul_f32 v211, v162, v27
	v_dual_fmac_f32 v208, v157, v18 :: v_dual_fmac_f32 v207, v155, v16
	v_add_f32_e32 v2, v3, v2
	v_mul_f32_e32 v3, v151, v13
	v_dual_mul_f32 v212, v164, v105 :: v_dual_mul_f32 v213, v166, v107
	v_mul_f32_e32 v4, v149, v11
	s_delay_alu instid0(VALU_DEP_4) | instskip(SKIP_4) | instid1(VALU_DEP_4)
	v_add_f32_e32 v2, v2, v5
	v_add_f32_e32 v1, 0, v1
	v_fma_f32 v3, v150, v12, -v3
	v_dual_mul_f32 v216, v172, v113 :: v_dual_mul_f32 v217, v174, v115
	v_fma_f32 v4, v148, v10, -v4
	v_dual_add_f32 v1, v1, v22 :: v_dual_mul_f32 v214, v168, v109
	v_mul_f32_e32 v215, v170, v111
	s_delay_alu instid0(VALU_DEP_3) | instskip(NEXT) | instid1(VALU_DEP_3)
	v_dual_fmac_f32 v213, v167, v106 :: v_dual_add_f32 v2, v2, v4
	v_dual_add_f32 v1, v1, v202 :: v_dual_mul_f32 v4, v155, v17
	v_dual_fmac_f32 v203, v147, v8 :: v_dual_mul_f32 v218, v176, v117
	v_mul_f32_e32 v219, v178, v119
	s_delay_alu instid0(VALU_DEP_4) | instskip(NEXT) | instid1(VALU_DEP_4)
	v_add_f32_e32 v2, v2, v3
	v_fma_f32 v4, v154, v16, -v4
	v_mul_f32_e32 v5, v153, v15
	v_add_f32_e32 v1, v1, v203
	v_dual_fmac_f32 v211, v163, v26 :: v_dual_fmac_f32 v214, v169, v108
	v_dual_mul_f32 v222, v184, v125 :: v_dual_mul_f32 v223, v186, v127
	s_delay_alu instid0(VALU_DEP_4) | instskip(SKIP_3) | instid1(VALU_DEP_4)
	v_fma_f32 v5, v152, v14, -v5
	v_fmac_f32_e32 v205, v151, v12
	v_fmac_f32_e32 v210, v161, v24
	v_dual_mul_f32 v220, v180, v121 :: v_dual_mul_f32 v221, v182, v123
	v_add_f32_e32 v2, v2, v5
	v_mul_f32_e32 v5, v159, v21
	v_dual_fmac_f32 v219, v179, v118 :: v_dual_mul_f32 v224, v188, v129
	v_mul_f32_e32 v225, v190, v131
	s_delay_alu instid0(VALU_DEP_4) | instskip(NEXT) | instid1(VALU_DEP_4)
	v_add_f32_e32 v2, v2, v4
	v_fma_f32 v5, v158, v20, -v5
	v_mul_f32_e32 v3, v157, v19
	v_mul_f32_e32 v4, v161, v25
	v_dual_fmac_f32 v212, v165, v104 :: v_dual_mul_f32 v227, v194, v135
	v_mul_f32_e32 v228, v196, v137
	s_delay_alu instid0(VALU_DEP_4) | instskip(SKIP_3) | instid1(VALU_DEP_4)
	v_fma_f32 v3, v156, v18, -v3
	v_add_f32_e32 v1, v1, v204
	v_fma_f32 v4, v160, v24, -v4
	v_dual_fmac_f32 v217, v175, v114 :: v_dual_fmac_f32 v220, v181, v120
	v_add_f32_e32 v2, v2, v3
	v_mul_f32_e32 v3, v163, v27
	v_fmac_f32_e32 v225, v191, v130
	v_dual_fmac_f32 v223, v187, v126 :: v_dual_fmac_f32 v226, v193, v132
	s_delay_alu instid0(VALU_DEP_4) | instskip(SKIP_3) | instid1(VALU_DEP_3)
	v_add_f32_e32 v2, v2, v5
	v_add_f32_e32 v1, v1, v205
	v_fma_f32 v3, v162, v26, -v3
	v_dual_fmac_f32 v229, v199, v138 :: v_dual_fmac_f32 v216, v173, v112
	v_dual_add_f32 v2, v2, v4 :: v_dual_add_f32 v1, v1, v206
	v_mul_f32_e32 v4, v167, v107
	v_fmac_f32_e32 v209, v159, v20
	v_fmac_f32_e32 v218, v177, v116
	s_delay_alu instid0(VALU_DEP_4) | instskip(NEXT) | instid1(VALU_DEP_4)
	v_dual_add_f32 v2, v2, v3 :: v_dual_mul_f32 v3, v169, v109
	v_fma_f32 v4, v166, v106, -v4
	v_mul_f32_e32 v5, v165, v105
	v_fmac_f32_e32 v222, v185, v124
	v_fmac_f32_e32 v224, v189, v128
	v_fma_f32 v3, v168, v108, -v3
	v_fmac_f32_e32 v228, v197, v136
	v_fma_f32 v5, v164, v104, -v5
	s_delay_alu instid0(VALU_DEP_1) | instskip(NEXT) | instid1(VALU_DEP_1)
	v_dual_add_f32 v1, v1, v207 :: v_dual_add_f32 v2, v2, v5
	v_dual_mul_f32 v5, v171, v111 :: v_dual_add_f32 v2, v2, v4
	s_delay_alu instid0(VALU_DEP_2) | instskip(SKIP_1) | instid1(VALU_DEP_3)
	v_add_f32_e32 v1, v1, v208
	v_mul_f32_e32 v4, v173, v113
	v_fma_f32 v5, v170, v110, -v5
	s_delay_alu instid0(VALU_DEP_4) | instskip(SKIP_1) | instid1(VALU_DEP_4)
	v_dual_add_f32 v2, v2, v3 :: v_dual_fmac_f32 v215, v171, v110
	v_mul_f32_e32 v3, v175, v115
	v_fma_f32 v4, v172, v112, -v4
	s_delay_alu instid0(VALU_DEP_3) | instskip(SKIP_1) | instid1(VALU_DEP_4)
	v_add_f32_e32 v2, v2, v5
	v_add_f32_e32 v1, v1, v209
	v_fma_f32 v3, v174, v114, -v3
	s_delay_alu instid0(VALU_DEP_3) | instskip(NEXT) | instid1(VALU_DEP_3)
	v_dual_add_f32 v2, v2, v4 :: v_dual_mul_f32 v5, v177, v117
	v_dual_add_f32 v1, v1, v210 :: v_dual_mul_f32 v4, v179, v119
	s_delay_alu instid0(VALU_DEP_2) | instskip(NEXT) | instid1(VALU_DEP_3)
	v_add_f32_e32 v2, v2, v3
	v_fma_f32 v5, v176, v116, -v5
	s_delay_alu instid0(VALU_DEP_3) | instskip(SKIP_2) | instid1(VALU_DEP_4)
	v_add_f32_e32 v1, v1, v211
	v_mul_f32_e32 v3, v181, v121
	v_fma_f32 v4, v178, v118, -v4
	v_dual_add_f32 v2, v2, v5 :: v_dual_mul_f32 v5, v183, v123
	s_delay_alu instid0(VALU_DEP_3) | instskip(NEXT) | instid1(VALU_DEP_2)
	v_fma_f32 v3, v180, v120, -v3
	v_add_f32_e32 v2, v2, v4
	v_add_f32_e32 v1, v1, v212
	v_mul_f32_e32 v4, v185, v125
	v_fma_f32 v5, v182, v122, -v5
	s_delay_alu instid0(VALU_DEP_4) | instskip(SKIP_1) | instid1(VALU_DEP_4)
	v_dual_add_f32 v2, v2, v3 :: v_dual_fmac_f32 v221, v183, v122
	v_mul_f32_e32 v3, v187, v127
	v_fma_f32 v4, v184, v124, -v4
	s_delay_alu instid0(VALU_DEP_3) | instskip(SKIP_1) | instid1(VALU_DEP_4)
	v_add_f32_e32 v2, v2, v5
	v_add_f32_e32 v1, v1, v213
	v_fma_f32 v3, v186, v126, -v3
	s_delay_alu instid0(VALU_DEP_3) | instskip(NEXT) | instid1(VALU_DEP_3)
	v_dual_add_f32 v2, v2, v4 :: v_dual_mul_f32 v5, v189, v129
	v_dual_add_f32 v1, v1, v214 :: v_dual_mul_f32 v4, v191, v131
	s_delay_alu instid0(VALU_DEP_2) | instskip(NEXT) | instid1(VALU_DEP_3)
	v_add_f32_e32 v2, v2, v3
	v_fma_f32 v5, v188, v128, -v5
	s_delay_alu instid0(VALU_DEP_3) | instskip(SKIP_2) | instid1(VALU_DEP_4)
	v_add_f32_e32 v1, v1, v215
	v_mul_f32_e32 v3, v193, v133
	v_fma_f32 v4, v190, v130, -v4
	v_dual_add_f32 v2, v2, v5 :: v_dual_mul_f32 v5, v195, v135
	s_delay_alu instid0(VALU_DEP_3) | instskip(NEXT) | instid1(VALU_DEP_2)
	v_fma_f32 v3, v192, v132, -v3
	v_add_f32_e32 v2, v2, v4
	v_add_f32_e32 v1, v1, v216
	v_mul_f32_e32 v4, v197, v137
	v_fma_f32 v5, v194, v134, -v5
	s_delay_alu instid0(VALU_DEP_4) | instskip(SKIP_1) | instid1(VALU_DEP_4)
	v_dual_add_f32 v2, v2, v3 :: v_dual_fmac_f32 v227, v195, v134
	v_mul_f32_e32 v3, v199, v139
	v_fma_f32 v4, v196, v136, -v4
	s_delay_alu instid0(VALU_DEP_3) | instskip(SKIP_1) | instid1(VALU_DEP_4)
	v_add_f32_e32 v2, v2, v5
	v_add_f32_e32 v1, v1, v217
	v_fma_f32 v3, v198, v138, -v3
	s_delay_alu instid0(VALU_DEP_2) | instskip(NEXT) | instid1(VALU_DEP_1)
	v_dual_add_f32 v2, v2, v4 :: v_dual_add_f32 v1, v1, v218
	v_add_f32_e32 v2, v2, v3
	s_delay_alu instid0(VALU_DEP_2) | instskip(NEXT) | instid1(VALU_DEP_1)
	v_add_f32_e32 v1, v1, v219
	v_add_f32_e32 v1, v1, v220
	s_delay_alu instid0(VALU_DEP_1) | instskip(NEXT) | instid1(VALU_DEP_1)
	v_add_f32_e32 v1, v1, v221
	v_add_f32_e32 v1, v1, v222
	s_delay_alu instid0(VALU_DEP_1) | instskip(NEXT) | instid1(VALU_DEP_1)
	;; [unrolled: 3-line block ×4, first 2 shown]
	v_add_f32_e32 v1, v1, v227
	v_add_f32_e32 v1, v1, v228
	s_delay_alu instid0(VALU_DEP_1) | instskip(SKIP_1) | instid1(VALU_DEP_1)
	v_add_f32_e32 v3, v1, v229
	s_wait_loadcnt 0x0
	v_dual_sub_f32 v1, v200, v2 :: v_dual_sub_f32 v2, v201, v3
	scratch_store_b64 off, v[1:2], off offset:56
	v_cmpx_lt_u32_e32 6, v0
	s_cbranch_execz .LBB101_229
; %bb.228:
	scratch_load_b64 v[1:2], off, off offset:48
	v_mov_b32_e32 v3, 0
	s_delay_alu instid0(VALU_DEP_1)
	v_mov_b32_e32 v4, v3
	scratch_store_b64 off, v[3:4], off offset:48
	s_wait_loadcnt 0x0
	ds_store_b64 v23, v[1:2]
.LBB101_229:
	s_wait_alu 0xfffe
	s_or_b32 exec_lo, exec_lo, s0
	s_wait_storecnt_dscnt 0x0
	s_barrier_signal -1
	s_barrier_wait -1
	global_inv scope:SCOPE_SE
	s_clause 0x10
	scratch_load_b128 v[2:5], off, off offset:56
	scratch_load_b128 v[6:9], off, off offset:72
	;; [unrolled: 1-line block ×15, first 2 shown]
	scratch_load_b64 v[200:201], off, off offset:296
	scratch_load_b64 v[202:203], off, off offset:48
	v_mov_b32_e32 v1, 0
	ds_load_2addr_b64 v[140:143], v1 offset0:45 offset1:46
	ds_load_2addr_b64 v[144:147], v1 offset0:47 offset1:48
	;; [unrolled: 1-line block ×15, first 2 shown]
	ds_load_b64 v[204:205], v1 offset:600
	s_mov_b32 s0, exec_lo
	s_wait_loadcnt_dscnt 0x100f
	v_mul_f32_e32 v22, v140, v3
	v_dual_mul_f32 v3, v141, v3 :: v_dual_mul_f32 v206, v142, v5
	s_wait_loadcnt_dscnt 0xc0b
	v_dual_mul_f32 v207, v144, v7 :: v_dual_mul_f32 v214, v158, v21
	v_mul_f32_e32 v5, v143, v5
	s_delay_alu instid0(VALU_DEP_3) | instskip(SKIP_1) | instid1(VALU_DEP_4)
	v_fma_f32 v3, v140, v2, -v3
	v_dual_mul_f32 v208, v146, v9 :: v_dual_mul_f32 v209, v148, v11
	v_dual_fmac_f32 v206, v143, v4 :: v_dual_fmac_f32 v207, v145, v6
	v_fmac_f32_e32 v22, v141, v2
	v_mul_f32_e32 v2, v145, v7
	v_fma_f32 v4, v142, v4, -v5
	v_add_f32_e32 v3, 0, v3
	s_wait_loadcnt_dscnt 0x100
	v_mul_f32_e32 v235, v204, v201
	v_dual_add_f32 v5, 0, v22 :: v_dual_fmac_f32 v208, v147, v8
	v_mul_f32_e32 v7, v147, v9
	v_fma_f32 v2, v144, v6, -v2
	s_delay_alu instid0(VALU_DEP_3) | instskip(SKIP_1) | instid1(VALU_DEP_4)
	v_dual_add_f32 v3, v3, v4 :: v_dual_add_f32 v4, v5, v206
	v_mul_f32_e32 v5, v149, v11
	v_fma_f32 v6, v146, v8, -v7
	v_dual_mul_f32 v210, v150, v13 :: v_dual_mul_f32 v211, v152, v15
	s_delay_alu instid0(VALU_DEP_4) | instskip(SKIP_2) | instid1(VALU_DEP_4)
	v_dual_add_f32 v2, v3, v2 :: v_dual_add_f32 v3, v4, v207
	v_mul_f32_e32 v4, v151, v13
	v_fma_f32 v5, v148, v10, -v5
	v_fmac_f32_e32 v210, v151, v12
	s_delay_alu instid0(VALU_DEP_4) | instskip(SKIP_3) | instid1(VALU_DEP_4)
	v_add_f32_e32 v2, v2, v6
	v_fmac_f32_e32 v209, v149, v10
	v_dual_add_f32 v3, v3, v208 :: v_dual_mul_f32 v6, v153, v15
	v_fma_f32 v4, v150, v12, -v4
	v_add_f32_e32 v2, v2, v5
	v_dual_mul_f32 v212, v154, v17 :: v_dual_mul_f32 v213, v156, v19
	s_delay_alu instid0(VALU_DEP_4)
	v_add_f32_e32 v3, v3, v209
	v_mul_f32_e32 v5, v155, v17
	v_fma_f32 v6, v152, v14, -v6
	v_dual_add_f32 v2, v2, v4 :: v_dual_fmac_f32 v211, v153, v14
	v_fmac_f32_e32 v212, v155, v16
	v_mul_f32_e32 v4, v157, v19
	v_fma_f32 v5, v154, v16, -v5
	s_delay_alu instid0(VALU_DEP_4) | instskip(SKIP_3) | instid1(VALU_DEP_3)
	v_add_f32_e32 v2, v2, v6
	v_add_f32_e32 v3, v3, v210
	v_dual_mul_f32 v6, v159, v21 :: v_dual_fmac_f32 v213, v157, v18
	v_fma_f32 v4, v156, v18, -v4
	v_dual_add_f32 v2, v2, v5 :: v_dual_add_f32 v3, v3, v211
	s_delay_alu instid0(VALU_DEP_3) | instskip(SKIP_1) | instid1(VALU_DEP_3)
	v_fma_f32 v6, v158, v20, -v6
	v_dual_mul_f32 v215, v160, v25 :: v_dual_mul_f32 v216, v162, v27
	v_add_f32_e32 v2, v2, v4
	s_delay_alu instid0(VALU_DEP_4) | instskip(SKIP_1) | instid1(VALU_DEP_4)
	v_add_f32_e32 v3, v3, v212
	v_dual_mul_f32 v5, v161, v25 :: v_dual_fmac_f32 v214, v159, v20
	v_dual_mul_f32 v4, v163, v27 :: v_dual_fmac_f32 v215, v161, v24
	s_delay_alu instid0(VALU_DEP_3) | instskip(NEXT) | instid1(VALU_DEP_3)
	v_dual_add_f32 v2, v2, v6 :: v_dual_add_f32 v3, v3, v213
	v_fma_f32 v5, v160, v24, -v5
	v_dual_mul_f32 v217, v164, v105 :: v_dual_mul_f32 v218, v166, v107
	s_delay_alu instid0(VALU_DEP_3) | instskip(NEXT) | instid1(VALU_DEP_2)
	v_dual_mul_f32 v6, v165, v105 :: v_dual_add_f32 v3, v3, v214
	v_dual_fmac_f32 v216, v163, v26 :: v_dual_fmac_f32 v217, v165, v104
	v_fma_f32 v4, v162, v26, -v4
	s_delay_alu instid0(VALU_DEP_3) | instskip(SKIP_3) | instid1(VALU_DEP_4)
	v_dual_add_f32 v2, v2, v5 :: v_dual_add_f32 v3, v3, v215
	v_mul_f32_e32 v5, v167, v107
	v_fma_f32 v6, v164, v104, -v6
	v_dual_mul_f32 v219, v168, v109 :: v_dual_mul_f32 v220, v170, v111
	v_add_f32_e32 v2, v2, v4
	v_dual_add_f32 v3, v3, v216 :: v_dual_mul_f32 v4, v169, v109
	s_delay_alu instid0(VALU_DEP_3) | instskip(SKIP_1) | instid1(VALU_DEP_3)
	v_dual_fmac_f32 v218, v167, v106 :: v_dual_fmac_f32 v219, v169, v108
	v_fma_f32 v5, v166, v106, -v5
	v_dual_add_f32 v2, v2, v6 :: v_dual_add_f32 v3, v3, v217
	v_mul_f32_e32 v6, v171, v111
	v_fma_f32 v4, v168, v108, -v4
	v_dual_mul_f32 v221, v172, v113 :: v_dual_mul_f32 v222, v174, v115
	s_delay_alu instid0(VALU_DEP_4) | instskip(SKIP_1) | instid1(VALU_DEP_3)
	v_dual_add_f32 v2, v2, v5 :: v_dual_add_f32 v3, v3, v218
	v_dual_mul_f32 v5, v173, v113 :: v_dual_fmac_f32 v220, v171, v110
	v_fmac_f32_e32 v221, v173, v112
	v_fma_f32 v6, v170, v110, -v6
	s_delay_alu instid0(VALU_DEP_4) | instskip(SKIP_2) | instid1(VALU_DEP_2)
	v_dual_add_f32 v2, v2, v4 :: v_dual_add_f32 v3, v3, v219
	v_dual_mul_f32 v223, v176, v117 :: v_dual_mul_f32 v224, v178, v119
	v_dual_mul_f32 v225, v180, v121 :: v_dual_mul_f32 v226, v182, v123
	v_dual_mul_f32 v4, v175, v115 :: v_dual_fmac_f32 v223, v177, v116
	v_fma_f32 v5, v172, v112, -v5
	v_dual_add_f32 v2, v2, v6 :: v_dual_add_f32 v3, v3, v220
	v_mul_f32_e32 v6, v177, v117
	v_dual_fmac_f32 v222, v175, v114 :: v_dual_fmac_f32 v225, v181, v120
	v_fma_f32 v4, v174, v114, -v4
	s_delay_alu instid0(VALU_DEP_4) | instskip(SKIP_3) | instid1(VALU_DEP_3)
	v_add_f32_e32 v3, v3, v221
	v_dual_add_f32 v2, v2, v5 :: v_dual_mul_f32 v5, v179, v119
	v_fma_f32 v6, v176, v116, -v6
	v_dual_mul_f32 v229, v188, v129 :: v_dual_mul_f32 v230, v190, v131
	v_dual_add_f32 v3, v3, v222 :: v_dual_add_f32 v2, v2, v4
	v_mul_f32_e32 v4, v181, v121
	v_fmac_f32_e32 v224, v179, v118
	v_fma_f32 v5, v178, v118, -v5
	s_delay_alu instid0(VALU_DEP_4) | instskip(SKIP_3) | instid1(VALU_DEP_4)
	v_dual_add_f32 v3, v3, v223 :: v_dual_add_f32 v2, v2, v6
	v_dual_mul_f32 v227, v184, v125 :: v_dual_mul_f32 v228, v186, v127
	v_mul_f32_e32 v6, v183, v123
	v_dual_fmac_f32 v226, v183, v122 :: v_dual_fmac_f32 v229, v189, v128
	v_add_f32_e32 v2, v2, v5
	v_mul_f32_e32 v5, v185, v125
	v_add_f32_e32 v3, v3, v224
	v_fma_f32 v4, v180, v120, -v4
	v_fmac_f32_e32 v227, v185, v124
	v_fma_f32 v6, v182, v122, -v6
	v_dual_mul_f32 v231, v192, v133 :: v_dual_mul_f32 v232, v194, v135
	v_add_f32_e32 v3, v3, v225
	v_fma_f32 v5, v184, v124, -v5
	s_delay_alu instid0(VALU_DEP_3) | instskip(NEXT) | instid1(VALU_DEP_4)
	v_dual_fmac_f32 v228, v187, v126 :: v_dual_fmac_f32 v231, v193, v132
	v_fmac_f32_e32 v232, v195, v134
	s_delay_alu instid0(VALU_DEP_4) | instskip(SKIP_2) | instid1(VALU_DEP_3)
	v_dual_add_f32 v3, v3, v226 :: v_dual_add_f32 v2, v2, v4
	v_dual_mul_f32 v4, v187, v127 :: v_dual_mul_f32 v233, v196, v137
	v_mul_f32_e32 v234, v198, v139
	v_dual_add_f32 v3, v3, v227 :: v_dual_add_f32 v2, v2, v6
	v_mul_f32_e32 v6, v189, v129
	s_delay_alu instid0(VALU_DEP_4) | instskip(SKIP_1) | instid1(VALU_DEP_4)
	v_fma_f32 v4, v186, v126, -v4
	v_dual_fmac_f32 v230, v191, v130 :: v_dual_fmac_f32 v233, v197, v136
	v_dual_add_f32 v2, v2, v5 :: v_dual_mul_f32 v5, v191, v131
	s_delay_alu instid0(VALU_DEP_4) | instskip(SKIP_1) | instid1(VALU_DEP_3)
	v_fma_f32 v6, v188, v128, -v6
	v_dual_fmac_f32 v234, v199, v138 :: v_dual_fmac_f32 v235, v205, v200
	v_add_f32_e32 v2, v2, v4
	s_delay_alu instid0(VALU_DEP_4) | instskip(NEXT) | instid1(VALU_DEP_2)
	v_fma_f32 v5, v190, v130, -v5
	v_add_f32_e32 v2, v2, v6
	v_mul_f32_e32 v6, v195, v135
	s_delay_alu instid0(VALU_DEP_2) | instskip(SKIP_2) | instid1(VALU_DEP_4)
	v_add_f32_e32 v2, v2, v5
	v_mul_f32_e32 v5, v197, v137
	v_add_f32_e32 v3, v3, v228
	v_fma_f32 v6, v194, v134, -v6
	s_delay_alu instid0(VALU_DEP_3) | instskip(NEXT) | instid1(VALU_DEP_3)
	v_fma_f32 v5, v196, v136, -v5
	v_add_f32_e32 v3, v3, v229
	s_delay_alu instid0(VALU_DEP_1) | instskip(NEXT) | instid1(VALU_DEP_1)
	v_dual_mul_f32 v4, v193, v133 :: v_dual_add_f32 v3, v3, v230
	v_fma_f32 v4, v192, v132, -v4
	s_delay_alu instid0(VALU_DEP_2) | instskip(NEXT) | instid1(VALU_DEP_1)
	v_add_f32_e32 v3, v3, v231
	v_add_f32_e32 v3, v3, v232
	s_delay_alu instid0(VALU_DEP_3) | instskip(SKIP_1) | instid1(VALU_DEP_3)
	v_add_f32_e32 v2, v2, v4
	v_mul_f32_e32 v4, v199, v139
	v_add_f32_e32 v3, v3, v233
	s_delay_alu instid0(VALU_DEP_2) | instskip(NEXT) | instid1(VALU_DEP_2)
	v_fma_f32 v4, v198, v138, -v4
	v_add_f32_e32 v3, v3, v234
	s_delay_alu instid0(VALU_DEP_1) | instskip(SKIP_2) | instid1(VALU_DEP_2)
	v_dual_add_f32 v2, v2, v6 :: v_dual_add_f32 v3, v3, v235
	v_mul_f32_e32 v6, v205, v201
	s_wait_loadcnt 0x0
	v_dual_add_f32 v2, v2, v5 :: v_dual_sub_f32 v3, v203, v3
	s_delay_alu instid0(VALU_DEP_2) | instskip(NEXT) | instid1(VALU_DEP_2)
	v_fma_f32 v5, v204, v200, -v6
	v_add_f32_e32 v2, v2, v4
	s_delay_alu instid0(VALU_DEP_1) | instskip(NEXT) | instid1(VALU_DEP_1)
	v_add_f32_e32 v2, v2, v5
	v_sub_f32_e32 v2, v202, v2
	scratch_store_b64 off, v[2:3], off offset:48
	v_cmpx_lt_u32_e32 5, v0
	s_cbranch_execz .LBB101_231
; %bb.230:
	scratch_load_b64 v[3:4], off, off offset:40
	v_mov_b32_e32 v2, v1
	scratch_store_b64 off, v[1:2], off offset:40
	s_wait_loadcnt 0x0
	ds_store_b64 v23, v[3:4]
.LBB101_231:
	s_wait_alu 0xfffe
	s_or_b32 exec_lo, exec_lo, s0
	s_wait_storecnt_dscnt 0x0
	s_barrier_signal -1
	s_barrier_wait -1
	global_inv scope:SCOPE_SE
	s_clause 0x10
	scratch_load_b128 v[2:5], off, off offset:48
	scratch_load_b128 v[6:9], off, off offset:64
	;; [unrolled: 1-line block ×16, first 2 shown]
	scratch_load_b64 v[208:209], off, off offset:40
	ds_load_b128 v[144:147], v1 offset:352
	ds_load_b128 v[148:151], v1 offset:368
	;; [unrolled: 1-line block ×16, first 2 shown]
	s_mov_b32 s0, exec_lo
	s_wait_loadcnt_dscnt 0x100f
	v_dual_mul_f32 v1, v144, v3 :: v_dual_mul_f32 v22, v146, v5
	s_wait_loadcnt_dscnt 0xf0e
	v_dual_mul_f32 v5, v147, v5 :: v_dual_mul_f32 v210, v148, v7
	v_mul_f32_e32 v211, v150, v9
	s_wait_loadcnt_dscnt 0xe0d
	v_dual_fmac_f32 v1, v145, v2 :: v_dual_mul_f32 v212, v152, v11
	s_wait_loadcnt_dscnt 0xd0c
	v_dual_mul_f32 v213, v154, v13 :: v_dual_mul_f32 v214, v156, v15
	v_mul_f32_e32 v215, v158, v17
	v_dual_mul_f32 v3, v145, v3 :: v_dual_fmac_f32 v22, v147, v4
	s_wait_loadcnt_dscnt 0xc0b
	v_dual_mul_f32 v216, v160, v19 :: v_dual_mul_f32 v217, v162, v21
	s_wait_loadcnt_dscnt 0x201
	v_mul_f32_e32 v236, v200, v137
	v_fma_f32 v3, v144, v2, -v3
	s_wait_loadcnt_dscnt 0x100
	v_mul_f32_e32 v239, v206, v143
	v_mul_f32_e32 v2, v149, v7
	v_fma_f32 v4, v146, v4, -v5
	v_dual_mul_f32 v5, v151, v9 :: v_dual_fmac_f32 v212, v153, v10
	v_dual_add_f32 v3, 0, v3 :: v_dual_fmac_f32 v210, v149, v6
	s_delay_alu instid0(VALU_DEP_4) | instskip(NEXT) | instid1(VALU_DEP_3)
	v_fma_f32 v2, v148, v6, -v2
	v_fma_f32 v5, v150, v8, -v5
	s_delay_alu instid0(VALU_DEP_3) | instskip(SKIP_2) | instid1(VALU_DEP_3)
	v_dual_fmac_f32 v214, v157, v14 :: v_dual_add_f32 v3, v3, v4
	v_dual_mul_f32 v218, v164, v25 :: v_dual_mul_f32 v219, v166, v27
	v_dual_fmac_f32 v215, v159, v16 :: v_dual_fmac_f32 v216, v161, v18
	v_add_f32_e32 v2, v3, v2
	v_mul_f32_e32 v3, v155, v13
	v_dual_mul_f32 v220, v168, v105 :: v_dual_mul_f32 v221, v170, v107
	v_mul_f32_e32 v4, v153, v11
	s_delay_alu instid0(VALU_DEP_4) | instskip(SKIP_4) | instid1(VALU_DEP_4)
	v_add_f32_e32 v2, v2, v5
	v_add_f32_e32 v1, 0, v1
	v_fma_f32 v3, v154, v12, -v3
	v_dual_mul_f32 v224, v176, v113 :: v_dual_mul_f32 v225, v178, v115
	v_fma_f32 v4, v152, v10, -v4
	v_dual_add_f32 v1, v1, v22 :: v_dual_mul_f32 v222, v172, v109
	v_mul_f32_e32 v223, v174, v111
	s_delay_alu instid0(VALU_DEP_3) | instskip(NEXT) | instid1(VALU_DEP_3)
	v_dual_fmac_f32 v221, v171, v106 :: v_dual_add_f32 v2, v2, v4
	v_dual_add_f32 v1, v1, v210 :: v_dual_mul_f32 v4, v159, v17
	v_dual_fmac_f32 v211, v151, v8 :: v_dual_mul_f32 v226, v180, v117
	v_mul_f32_e32 v227, v182, v119
	s_delay_alu instid0(VALU_DEP_4) | instskip(NEXT) | instid1(VALU_DEP_4)
	v_add_f32_e32 v2, v2, v3
	v_fma_f32 v4, v158, v16, -v4
	v_mul_f32_e32 v5, v157, v15
	v_add_f32_e32 v1, v1, v211
	v_dual_fmac_f32 v219, v167, v26 :: v_dual_fmac_f32 v222, v173, v108
	v_dual_mul_f32 v230, v188, v125 :: v_dual_mul_f32 v231, v190, v127
	s_delay_alu instid0(VALU_DEP_4) | instskip(SKIP_3) | instid1(VALU_DEP_4)
	v_fma_f32 v5, v156, v14, -v5
	v_fmac_f32_e32 v213, v155, v12
	v_fmac_f32_e32 v218, v165, v24
	v_dual_mul_f32 v228, v184, v121 :: v_dual_mul_f32 v229, v186, v123
	v_add_f32_e32 v2, v2, v5
	v_mul_f32_e32 v5, v163, v21
	v_dual_fmac_f32 v227, v183, v118 :: v_dual_mul_f32 v232, v192, v129
	v_mul_f32_e32 v233, v194, v131
	s_delay_alu instid0(VALU_DEP_4) | instskip(NEXT) | instid1(VALU_DEP_4)
	v_add_f32_e32 v2, v2, v4
	v_fma_f32 v5, v162, v20, -v5
	v_mul_f32_e32 v3, v161, v19
	v_mul_f32_e32 v4, v165, v25
	v_dual_mul_f32 v234, v196, v133 :: v_dual_mul_f32 v235, v198, v135
	v_fmac_f32_e32 v220, v169, v104
	s_delay_alu instid0(VALU_DEP_4) | instskip(SKIP_3) | instid1(VALU_DEP_4)
	v_fma_f32 v3, v160, v18, -v3
	v_add_f32_e32 v1, v1, v212
	v_fma_f32 v4, v164, v24, -v4
	v_dual_fmac_f32 v225, v179, v114 :: v_dual_fmac_f32 v228, v185, v120
	v_add_f32_e32 v2, v2, v3
	v_mul_f32_e32 v3, v167, v27
	v_fmac_f32_e32 v233, v195, v130
	v_dual_mul_f32 v237, v202, v139 :: v_dual_mul_f32 v238, v204, v141
	s_delay_alu instid0(VALU_DEP_4) | instskip(SKIP_3) | instid1(VALU_DEP_3)
	v_add_f32_e32 v2, v2, v5
	v_add_f32_e32 v1, v1, v213
	v_fma_f32 v3, v166, v26, -v3
	v_dual_fmac_f32 v231, v191, v126 :: v_dual_fmac_f32 v234, v197, v132
	v_dual_add_f32 v2, v2, v4 :: v_dual_add_f32 v1, v1, v214
	v_mul_f32_e32 v4, v171, v107
	v_fmac_f32_e32 v217, v163, v20
	s_delay_alu instid0(VALU_DEP_3) | instskip(SKIP_1) | instid1(VALU_DEP_4)
	v_dual_fmac_f32 v237, v203, v138 :: v_dual_add_f32 v2, v2, v3
	v_mul_f32_e32 v3, v173, v109
	v_fma_f32 v4, v170, v106, -v4
	v_mul_f32_e32 v5, v169, v105
	v_dual_fmac_f32 v224, v177, v112 :: v_dual_fmac_f32 v239, v207, v142
	s_delay_alu instid0(VALU_DEP_4) | instskip(SKIP_1) | instid1(VALU_DEP_4)
	v_fma_f32 v3, v172, v108, -v3
	v_fmac_f32_e32 v226, v181, v116
	v_fma_f32 v5, v168, v104, -v5
	v_add_f32_e32 v1, v1, v215
	v_fmac_f32_e32 v230, v189, v124
	v_fmac_f32_e32 v232, v193, v128
	;; [unrolled: 1-line block ×3, first 2 shown]
	v_dual_add_f32 v2, v2, v5 :: v_dual_mul_f32 v5, v175, v111
	v_fmac_f32_e32 v238, v205, v140
	s_delay_alu instid0(VALU_DEP_2) | instskip(SKIP_3) | instid1(VALU_DEP_4)
	v_add_f32_e32 v2, v2, v4
	v_add_f32_e32 v1, v1, v216
	v_mul_f32_e32 v4, v177, v113
	v_fma_f32 v5, v174, v110, -v5
	v_dual_add_f32 v2, v2, v3 :: v_dual_fmac_f32 v223, v175, v110
	v_mul_f32_e32 v3, v179, v115
	s_delay_alu instid0(VALU_DEP_4) | instskip(NEXT) | instid1(VALU_DEP_3)
	v_fma_f32 v4, v176, v112, -v4
	v_add_f32_e32 v2, v2, v5
	v_add_f32_e32 v1, v1, v217
	s_delay_alu instid0(VALU_DEP_4) | instskip(NEXT) | instid1(VALU_DEP_3)
	v_fma_f32 v3, v178, v114, -v3
	v_dual_add_f32 v2, v2, v4 :: v_dual_mul_f32 v5, v181, v117
	s_delay_alu instid0(VALU_DEP_3) | instskip(NEXT) | instid1(VALU_DEP_2)
	v_dual_add_f32 v1, v1, v218 :: v_dual_mul_f32 v4, v183, v119
	v_add_f32_e32 v2, v2, v3
	s_delay_alu instid0(VALU_DEP_3) | instskip(NEXT) | instid1(VALU_DEP_3)
	v_fma_f32 v5, v180, v116, -v5
	v_add_f32_e32 v1, v1, v219
	v_mul_f32_e32 v3, v185, v121
	v_fma_f32 v4, v182, v118, -v4
	s_delay_alu instid0(VALU_DEP_4) | instskip(NEXT) | instid1(VALU_DEP_3)
	v_dual_add_f32 v2, v2, v5 :: v_dual_mul_f32 v5, v187, v123
	v_fma_f32 v3, v184, v120, -v3
	s_delay_alu instid0(VALU_DEP_2) | instskip(SKIP_3) | instid1(VALU_DEP_4)
	v_add_f32_e32 v2, v2, v4
	v_add_f32_e32 v1, v1, v220
	v_mul_f32_e32 v4, v189, v125
	v_fma_f32 v5, v186, v122, -v5
	v_dual_add_f32 v2, v2, v3 :: v_dual_fmac_f32 v229, v187, v122
	v_mul_f32_e32 v3, v191, v127
	s_delay_alu instid0(VALU_DEP_4) | instskip(NEXT) | instid1(VALU_DEP_3)
	v_fma_f32 v4, v188, v124, -v4
	v_add_f32_e32 v2, v2, v5
	v_add_f32_e32 v1, v1, v221
	s_delay_alu instid0(VALU_DEP_4) | instskip(NEXT) | instid1(VALU_DEP_3)
	v_fma_f32 v3, v190, v126, -v3
	v_dual_add_f32 v2, v2, v4 :: v_dual_mul_f32 v5, v193, v129
	s_delay_alu instid0(VALU_DEP_3) | instskip(NEXT) | instid1(VALU_DEP_2)
	v_dual_add_f32 v1, v1, v222 :: v_dual_mul_f32 v4, v195, v131
	v_add_f32_e32 v2, v2, v3
	s_delay_alu instid0(VALU_DEP_3) | instskip(NEXT) | instid1(VALU_DEP_3)
	v_fma_f32 v5, v192, v128, -v5
	v_add_f32_e32 v1, v1, v223
	v_mul_f32_e32 v3, v197, v133
	v_fma_f32 v4, v194, v130, -v4
	s_delay_alu instid0(VALU_DEP_4) | instskip(NEXT) | instid1(VALU_DEP_3)
	v_dual_add_f32 v2, v2, v5 :: v_dual_mul_f32 v5, v199, v135
	v_fma_f32 v3, v196, v132, -v3
	s_delay_alu instid0(VALU_DEP_2) | instskip(SKIP_3) | instid1(VALU_DEP_4)
	v_add_f32_e32 v2, v2, v4
	v_add_f32_e32 v1, v1, v224
	v_mul_f32_e32 v4, v201, v137
	v_fma_f32 v5, v198, v134, -v5
	v_dual_add_f32 v2, v2, v3 :: v_dual_fmac_f32 v235, v199, v134
	v_mul_f32_e32 v3, v203, v139
	s_delay_alu instid0(VALU_DEP_4) | instskip(NEXT) | instid1(VALU_DEP_3)
	v_fma_f32 v4, v200, v136, -v4
	v_add_f32_e32 v2, v2, v5
	v_add_f32_e32 v1, v1, v225
	s_delay_alu instid0(VALU_DEP_4) | instskip(NEXT) | instid1(VALU_DEP_2)
	v_fma_f32 v3, v202, v138, -v3
	v_dual_add_f32 v2, v2, v4 :: v_dual_add_f32 v1, v1, v226
	v_dual_mul_f32 v4, v207, v143 :: v_dual_mul_f32 v5, v205, v141
	s_delay_alu instid0(VALU_DEP_2) | instskip(NEXT) | instid1(VALU_DEP_2)
	v_add_f32_e32 v2, v2, v3
	v_fma_f32 v3, v206, v142, -v4
	s_delay_alu instid0(VALU_DEP_3) | instskip(NEXT) | instid1(VALU_DEP_1)
	v_fma_f32 v5, v204, v140, -v5
	v_dual_add_f32 v1, v1, v227 :: v_dual_add_f32 v2, v2, v5
	s_delay_alu instid0(VALU_DEP_1) | instskip(NEXT) | instid1(VALU_DEP_1)
	v_dual_add_f32 v1, v1, v228 :: v_dual_add_f32 v2, v2, v3
	v_add_f32_e32 v1, v1, v229
	s_delay_alu instid0(VALU_DEP_1) | instskip(NEXT) | instid1(VALU_DEP_1)
	v_add_f32_e32 v1, v1, v230
	v_add_f32_e32 v1, v1, v231
	s_delay_alu instid0(VALU_DEP_1) | instskip(NEXT) | instid1(VALU_DEP_1)
	v_add_f32_e32 v1, v1, v232
	;; [unrolled: 3-line block ×5, first 2 shown]
	v_add_f32_e32 v3, v1, v239
	s_wait_loadcnt 0x0
	s_delay_alu instid0(VALU_DEP_1)
	v_dual_sub_f32 v1, v208, v2 :: v_dual_sub_f32 v2, v209, v3
	scratch_store_b64 off, v[1:2], off offset:40
	v_cmpx_lt_u32_e32 4, v0
	s_cbranch_execz .LBB101_233
; %bb.232:
	scratch_load_b64 v[1:2], off, off offset:32
	v_mov_b32_e32 v3, 0
	s_delay_alu instid0(VALU_DEP_1)
	v_mov_b32_e32 v4, v3
	scratch_store_b64 off, v[3:4], off offset:32
	s_wait_loadcnt 0x0
	ds_store_b64 v23, v[1:2]
.LBB101_233:
	s_wait_alu 0xfffe
	s_or_b32 exec_lo, exec_lo, s0
	s_wait_storecnt_dscnt 0x0
	s_barrier_signal -1
	s_barrier_wait -1
	global_inv scope:SCOPE_SE
	s_clause 0x11
	scratch_load_b128 v[2:5], off, off offset:40
	scratch_load_b128 v[6:9], off, off offset:56
	;; [unrolled: 1-line block ×16, first 2 shown]
	scratch_load_b64 v[208:209], off, off offset:296
	scratch_load_b64 v[210:211], off, off offset:32
	v_mov_b32_e32 v1, 0
	ds_load_2addr_b64 v[144:147], v1 offset0:43 offset1:44
	ds_load_2addr_b64 v[148:151], v1 offset0:45 offset1:46
	;; [unrolled: 1-line block ×16, first 2 shown]
	ds_load_b64 v[212:213], v1 offset:600
	s_mov_b32 s0, exec_lo
	s_wait_loadcnt_dscnt 0x1110
	v_mul_f32_e32 v22, v144, v3
	v_dual_mul_f32 v3, v145, v3 :: v_dual_mul_f32 v214, v146, v5
	s_wait_loadcnt_dscnt 0xd0c
	v_dual_mul_f32 v215, v148, v7 :: v_dual_mul_f32 v222, v162, v21
	v_mul_f32_e32 v5, v147, v5
	s_delay_alu instid0(VALU_DEP_3) | instskip(SKIP_1) | instid1(VALU_DEP_4)
	v_fma_f32 v3, v144, v2, -v3
	v_dual_mul_f32 v216, v150, v9 :: v_dual_mul_f32 v217, v152, v11
	v_dual_fmac_f32 v214, v147, v4 :: v_dual_fmac_f32 v215, v149, v6
	s_delay_alu instid0(VALU_DEP_3)
	v_dual_add_f32 v3, 0, v3 :: v_dual_fmac_f32 v22, v145, v2
	v_mul_f32_e32 v2, v149, v7
	v_fma_f32 v4, v146, v4, -v5
	v_dual_mul_f32 v218, v154, v13 :: v_dual_mul_f32 v219, v156, v15
	s_wait_loadcnt_dscnt 0x100
	v_mul_f32_e32 v245, v212, v209
	v_dual_add_f32 v5, 0, v22 :: v_dual_fmac_f32 v216, v151, v8
	v_mul_f32_e32 v7, v151, v9
	v_fma_f32 v2, v148, v6, -v2
	s_delay_alu instid0(VALU_DEP_3) | instskip(SKIP_1) | instid1(VALU_DEP_4)
	v_dual_add_f32 v3, v3, v4 :: v_dual_add_f32 v4, v5, v214
	v_mul_f32_e32 v5, v153, v11
	v_fma_f32 v6, v150, v8, -v7
	v_dual_mul_f32 v220, v158, v17 :: v_dual_mul_f32 v221, v160, v19
	s_delay_alu instid0(VALU_DEP_4) | instskip(SKIP_3) | instid1(VALU_DEP_4)
	v_dual_add_f32 v2, v3, v2 :: v_dual_add_f32 v3, v4, v215
	v_fmac_f32_e32 v218, v155, v12
	v_mul_f32_e32 v4, v155, v13
	v_fma_f32 v5, v152, v10, -v5
	v_add_f32_e32 v2, v2, v6
	v_fmac_f32_e32 v217, v153, v10
	v_dual_add_f32 v3, v3, v216 :: v_dual_mul_f32 v6, v157, v15
	v_fma_f32 v4, v154, v12, -v4
	s_delay_alu instid0(VALU_DEP_4) | instskip(SKIP_1) | instid1(VALU_DEP_4)
	v_add_f32_e32 v2, v2, v5
	v_mul_f32_e32 v5, v159, v17
	v_add_f32_e32 v3, v3, v217
	v_fma_f32 v6, v156, v14, -v6
	v_dual_fmac_f32 v219, v157, v14 :: v_dual_fmac_f32 v220, v159, v16
	v_add_f32_e32 v2, v2, v4
	v_mul_f32_e32 v4, v161, v19
	v_fma_f32 v5, v158, v16, -v5
	v_fmac_f32_e32 v221, v161, v18
	v_dual_mul_f32 v223, v164, v25 :: v_dual_mul_f32 v224, v166, v27
	v_add_f32_e32 v2, v2, v6
	v_add_f32_e32 v3, v3, v218
	v_mul_f32_e32 v6, v163, v21
	v_fma_f32 v4, v160, v18, -v4
	v_fmac_f32_e32 v222, v163, v20
	s_delay_alu instid0(VALU_DEP_4) | instskip(NEXT) | instid1(VALU_DEP_4)
	v_dual_add_f32 v2, v2, v5 :: v_dual_add_f32 v3, v3, v219
	v_fma_f32 v6, v162, v20, -v6
	v_mul_f32_e32 v5, v165, v25
	v_fmac_f32_e32 v223, v165, v24
	s_delay_alu instid0(VALU_DEP_4) | instskip(SKIP_4) | instid1(VALU_DEP_4)
	v_add_f32_e32 v2, v2, v4
	v_add_f32_e32 v3, v3, v220
	v_mul_f32_e32 v4, v167, v27
	v_fma_f32 v5, v164, v24, -v5
	v_dual_mul_f32 v225, v168, v105 :: v_dual_mul_f32 v226, v170, v107
	v_dual_add_f32 v2, v2, v6 :: v_dual_add_f32 v3, v3, v221
	v_mul_f32_e32 v6, v169, v105
	s_delay_alu instid0(VALU_DEP_3) | instskip(SKIP_1) | instid1(VALU_DEP_4)
	v_dual_fmac_f32 v224, v167, v26 :: v_dual_fmac_f32 v225, v169, v104
	v_fma_f32 v4, v166, v26, -v4
	v_dual_add_f32 v3, v3, v222 :: v_dual_add_f32 v2, v2, v5
	s_delay_alu instid0(VALU_DEP_4) | instskip(SKIP_1) | instid1(VALU_DEP_3)
	v_fma_f32 v6, v168, v104, -v6
	v_dual_mul_f32 v227, v172, v109 :: v_dual_mul_f32 v228, v174, v111
	v_add_f32_e32 v3, v3, v223
	s_delay_alu instid0(VALU_DEP_4) | instskip(SKIP_1) | instid1(VALU_DEP_4)
	v_dual_mul_f32 v5, v171, v107 :: v_dual_add_f32 v2, v2, v4
	v_mul_f32_e32 v4, v173, v109
	v_dual_fmac_f32 v226, v171, v106 :: v_dual_fmac_f32 v227, v173, v108
	s_delay_alu instid0(VALU_DEP_4) | instskip(NEXT) | instid1(VALU_DEP_4)
	v_add_f32_e32 v3, v3, v224
	v_fma_f32 v5, v170, v106, -v5
	v_add_f32_e32 v2, v2, v6
	v_mul_f32_e32 v6, v175, v111
	v_fma_f32 v4, v172, v108, -v4
	v_add_f32_e32 v3, v3, v225
	v_dual_mul_f32 v229, v176, v113 :: v_dual_mul_f32 v230, v178, v115
	v_add_f32_e32 v2, v2, v5
	v_mul_f32_e32 v5, v177, v113
	s_delay_alu instid0(VALU_DEP_4) | instskip(NEXT) | instid1(VALU_DEP_4)
	v_add_f32_e32 v3, v3, v226
	v_dual_fmac_f32 v228, v175, v110 :: v_dual_fmac_f32 v229, v177, v112
	v_fma_f32 v6, v174, v110, -v6
	s_delay_alu instid0(VALU_DEP_3) | instskip(SKIP_2) | instid1(VALU_DEP_2)
	v_dual_add_f32 v2, v2, v4 :: v_dual_add_f32 v3, v3, v227
	v_dual_mul_f32 v231, v180, v117 :: v_dual_mul_f32 v232, v182, v119
	v_dual_mul_f32 v233, v184, v121 :: v_dual_mul_f32 v234, v186, v123
	v_dual_mul_f32 v4, v179, v115 :: v_dual_fmac_f32 v231, v181, v116
	v_fma_f32 v5, v176, v112, -v5
	v_dual_add_f32 v2, v2, v6 :: v_dual_add_f32 v3, v3, v228
	v_mul_f32_e32 v6, v181, v117
	v_dual_fmac_f32 v230, v179, v114 :: v_dual_fmac_f32 v233, v185, v120
	v_fma_f32 v4, v178, v114, -v4
	s_delay_alu instid0(VALU_DEP_4) | instskip(SKIP_3) | instid1(VALU_DEP_3)
	v_add_f32_e32 v3, v3, v229
	v_dual_add_f32 v2, v2, v5 :: v_dual_mul_f32 v5, v183, v119
	v_fma_f32 v6, v180, v116, -v6
	v_dual_mul_f32 v237, v192, v129 :: v_dual_mul_f32 v238, v194, v131
	v_dual_add_f32 v3, v3, v230 :: v_dual_add_f32 v2, v2, v4
	v_mul_f32_e32 v4, v185, v121
	v_fmac_f32_e32 v232, v183, v118
	v_fma_f32 v5, v182, v118, -v5
	s_delay_alu instid0(VALU_DEP_4) | instskip(SKIP_3) | instid1(VALU_DEP_4)
	v_dual_add_f32 v3, v3, v231 :: v_dual_add_f32 v2, v2, v6
	v_dual_mul_f32 v235, v188, v125 :: v_dual_mul_f32 v236, v190, v127
	v_mul_f32_e32 v6, v187, v123
	v_dual_fmac_f32 v234, v187, v122 :: v_dual_fmac_f32 v237, v193, v128
	v_add_f32_e32 v2, v2, v5
	v_mul_f32_e32 v5, v189, v125
	v_add_f32_e32 v3, v3, v232
	v_fma_f32 v4, v184, v120, -v4
	v_fmac_f32_e32 v235, v189, v124
	v_fma_f32 v6, v186, v122, -v6
	v_dual_mul_f32 v239, v196, v133 :: v_dual_mul_f32 v240, v198, v135
	v_add_f32_e32 v3, v3, v233
	v_fma_f32 v5, v188, v124, -v5
	s_delay_alu instid0(VALU_DEP_3) | instskip(NEXT) | instid1(VALU_DEP_4)
	v_dual_fmac_f32 v236, v191, v126 :: v_dual_fmac_f32 v239, v197, v132
	v_dual_fmac_f32 v240, v199, v134 :: v_dual_fmac_f32 v245, v213, v208
	s_delay_alu instid0(VALU_DEP_4) | instskip(SKIP_2) | instid1(VALU_DEP_3)
	v_dual_add_f32 v3, v3, v234 :: v_dual_add_f32 v2, v2, v4
	v_dual_mul_f32 v4, v191, v127 :: v_dual_mul_f32 v241, v200, v137
	v_mul_f32_e32 v242, v202, v139
	v_dual_add_f32 v3, v3, v235 :: v_dual_add_f32 v2, v2, v6
	v_mul_f32_e32 v6, v193, v129
	s_delay_alu instid0(VALU_DEP_4) | instskip(SKIP_1) | instid1(VALU_DEP_4)
	v_fma_f32 v4, v190, v126, -v4
	v_dual_fmac_f32 v238, v195, v130 :: v_dual_fmac_f32 v241, v201, v136
	v_dual_add_f32 v2, v2, v5 :: v_dual_mul_f32 v5, v195, v131
	s_delay_alu instid0(VALU_DEP_4) | instskip(SKIP_1) | instid1(VALU_DEP_3)
	v_fma_f32 v6, v192, v128, -v6
	v_dual_mul_f32 v243, v204, v141 :: v_dual_mul_f32 v244, v206, v143
	v_add_f32_e32 v2, v2, v4
	s_delay_alu instid0(VALU_DEP_4) | instskip(NEXT) | instid1(VALU_DEP_3)
	v_fma_f32 v5, v194, v130, -v5
	v_dual_fmac_f32 v242, v203, v138 :: v_dual_fmac_f32 v243, v205, v140
	s_delay_alu instid0(VALU_DEP_4) | instskip(NEXT) | instid1(VALU_DEP_4)
	v_fmac_f32_e32 v244, v207, v142
	v_add_f32_e32 v2, v2, v6
	v_mul_f32_e32 v6, v199, v135
	s_delay_alu instid0(VALU_DEP_2) | instskip(SKIP_2) | instid1(VALU_DEP_4)
	v_add_f32_e32 v2, v2, v5
	v_mul_f32_e32 v5, v201, v137
	v_add_f32_e32 v3, v3, v236
	v_fma_f32 v6, v198, v134, -v6
	s_delay_alu instid0(VALU_DEP_3) | instskip(NEXT) | instid1(VALU_DEP_3)
	v_fma_f32 v5, v200, v136, -v5
	v_add_f32_e32 v3, v3, v237
	s_delay_alu instid0(VALU_DEP_1) | instskip(NEXT) | instid1(VALU_DEP_1)
	v_dual_mul_f32 v4, v197, v133 :: v_dual_add_f32 v3, v3, v238
	v_fma_f32 v4, v196, v132, -v4
	s_delay_alu instid0(VALU_DEP_2) | instskip(NEXT) | instid1(VALU_DEP_1)
	v_add_f32_e32 v3, v3, v239
	v_add_f32_e32 v3, v3, v240
	s_delay_alu instid0(VALU_DEP_3) | instskip(SKIP_1) | instid1(VALU_DEP_2)
	v_add_f32_e32 v2, v2, v4
	v_mul_f32_e32 v4, v203, v139
	v_dual_add_f32 v3, v3, v241 :: v_dual_add_f32 v2, v2, v6
	v_mul_f32_e32 v6, v205, v141
	s_delay_alu instid0(VALU_DEP_3) | instskip(NEXT) | instid1(VALU_DEP_3)
	v_fma_f32 v4, v202, v138, -v4
	v_dual_add_f32 v3, v3, v242 :: v_dual_add_f32 v2, v2, v5
	v_mul_f32_e32 v5, v207, v143
	s_delay_alu instid0(VALU_DEP_4) | instskip(NEXT) | instid1(VALU_DEP_3)
	v_fma_f32 v6, v204, v140, -v6
	v_add_f32_e32 v3, v3, v243
	s_delay_alu instid0(VALU_DEP_3) | instskip(NEXT) | instid1(VALU_DEP_2)
	v_fma_f32 v5, v206, v142, -v5
	v_add_f32_e32 v3, v3, v244
	s_delay_alu instid0(VALU_DEP_1) | instskip(SKIP_2) | instid1(VALU_DEP_2)
	v_dual_add_f32 v2, v2, v4 :: v_dual_add_f32 v3, v3, v245
	v_mul_f32_e32 v4, v213, v209
	s_wait_loadcnt 0x0
	v_dual_add_f32 v2, v2, v6 :: v_dual_sub_f32 v3, v211, v3
	s_delay_alu instid0(VALU_DEP_2) | instskip(NEXT) | instid1(VALU_DEP_2)
	v_fma_f32 v4, v212, v208, -v4
	v_add_f32_e32 v2, v2, v5
	s_delay_alu instid0(VALU_DEP_1) | instskip(NEXT) | instid1(VALU_DEP_1)
	v_add_f32_e32 v2, v2, v4
	v_sub_f32_e32 v2, v210, v2
	scratch_store_b64 off, v[2:3], off offset:32
	v_cmpx_lt_u32_e32 3, v0
	s_cbranch_execz .LBB101_235
; %bb.234:
	scratch_load_b64 v[3:4], off, off offset:24
	v_mov_b32_e32 v2, v1
	scratch_store_b64 off, v[1:2], off offset:24
	s_wait_loadcnt 0x0
	ds_store_b64 v23, v[3:4]
.LBB101_235:
	s_wait_alu 0xfffe
	s_or_b32 exec_lo, exec_lo, s0
	s_wait_storecnt_dscnt 0x0
	s_barrier_signal -1
	s_barrier_wait -1
	global_inv scope:SCOPE_SE
	s_clause 0x11
	scratch_load_b128 v[2:5], off, off offset:32
	scratch_load_b128 v[6:9], off, off offset:48
	;; [unrolled: 1-line block ×17, first 2 shown]
	scratch_load_b64 v[216:217], off, off offset:24
	ds_load_b128 v[148:151], v1 offset:336
	ds_load_b128 v[152:155], v1 offset:352
	;; [unrolled: 1-line block ×17, first 2 shown]
	s_mov_b32 s0, exec_lo
	s_wait_loadcnt_dscnt 0x1110
	v_dual_mul_f32 v1, v148, v3 :: v_dual_mul_f32 v22, v150, v5
	s_wait_loadcnt_dscnt 0x100f
	v_dual_mul_f32 v5, v151, v5 :: v_dual_mul_f32 v218, v152, v7
	v_mul_f32_e32 v219, v154, v9
	s_wait_loadcnt_dscnt 0xf0e
	v_dual_fmac_f32 v1, v149, v2 :: v_dual_mul_f32 v220, v156, v11
	s_wait_loadcnt_dscnt 0xe0d
	v_dual_mul_f32 v221, v158, v13 :: v_dual_mul_f32 v222, v160, v15
	s_wait_loadcnt_dscnt 0xd0c
	v_dual_mul_f32 v223, v162, v17 :: v_dual_mul_f32 v224, v164, v19
	v_mul_f32_e32 v225, v166, v21
	v_dual_mul_f32 v3, v149, v3 :: v_dual_fmac_f32 v22, v151, v4
	s_wait_loadcnt_dscnt 0xc0b
	v_dual_mul_f32 v226, v168, v25 :: v_dual_mul_f32 v227, v170, v27
	s_wait_loadcnt_dscnt 0x201
	v_mul_f32_e32 v246, v208, v141
	v_fma_f32 v3, v148, v2, -v3
	s_wait_loadcnt_dscnt 0x100
	v_mul_f32_e32 v249, v214, v147
	v_mul_f32_e32 v2, v153, v7
	v_fma_f32 v4, v150, v4, -v5
	v_dual_mul_f32 v5, v155, v9 :: v_dual_fmac_f32 v220, v157, v10
	v_dual_add_f32 v3, 0, v3 :: v_dual_fmac_f32 v218, v153, v6
	s_delay_alu instid0(VALU_DEP_4) | instskip(NEXT) | instid1(VALU_DEP_3)
	v_fma_f32 v2, v152, v6, -v2
	v_fma_f32 v5, v154, v8, -v5
	s_delay_alu instid0(VALU_DEP_3) | instskip(SKIP_2) | instid1(VALU_DEP_3)
	v_dual_fmac_f32 v222, v161, v14 :: v_dual_add_f32 v3, v3, v4
	v_dual_fmac_f32 v223, v163, v16 :: v_dual_mul_f32 v228, v172, v105
	v_dual_mul_f32 v229, v174, v107 :: v_dual_fmac_f32 v224, v165, v18
	v_add_f32_e32 v2, v3, v2
	v_mul_f32_e32 v3, v159, v13
	v_dual_mul_f32 v232, v180, v113 :: v_dual_mul_f32 v233, v182, v115
	v_mul_f32_e32 v4, v157, v11
	s_delay_alu instid0(VALU_DEP_4) | instskip(SKIP_4) | instid1(VALU_DEP_4)
	v_add_f32_e32 v2, v2, v5
	v_add_f32_e32 v1, 0, v1
	v_fma_f32 v3, v158, v12, -v3
	v_dual_mul_f32 v230, v176, v109 :: v_dual_mul_f32 v231, v178, v111
	v_fma_f32 v4, v156, v10, -v4
	v_add_f32_e32 v1, v1, v22
	v_dual_fmac_f32 v229, v175, v106 :: v_dual_mul_f32 v234, v184, v117
	v_mul_f32_e32 v235, v186, v119
	s_delay_alu instid0(VALU_DEP_3) | instskip(SKIP_3) | instid1(VALU_DEP_4)
	v_dual_add_f32 v2, v2, v4 :: v_dual_add_f32 v1, v1, v218
	v_mul_f32_e32 v4, v163, v17
	v_fmac_f32_e32 v219, v155, v8
	v_dual_fmac_f32 v227, v171, v26 :: v_dual_fmac_f32 v230, v177, v108
	v_add_f32_e32 v2, v2, v3
	s_delay_alu instid0(VALU_DEP_4) | instskip(SKIP_4) | instid1(VALU_DEP_4)
	v_fma_f32 v4, v162, v16, -v4
	v_mul_f32_e32 v5, v161, v15
	v_dual_add_f32 v1, v1, v219 :: v_dual_mul_f32 v238, v192, v125
	v_dual_mul_f32 v239, v194, v127 :: v_dual_mul_f32 v236, v188, v121
	v_mul_f32_e32 v237, v190, v123
	v_fma_f32 v5, v160, v14, -v5
	v_fmac_f32_e32 v221, v159, v12
	v_dual_fmac_f32 v226, v169, v24 :: v_dual_fmac_f32 v235, v187, v118
	v_dual_mul_f32 v240, v196, v129 :: v_dual_mul_f32 v241, v198, v131
	s_delay_alu instid0(VALU_DEP_4) | instskip(SKIP_3) | instid1(VALU_DEP_3)
	v_add_f32_e32 v2, v2, v5
	v_mul_f32_e32 v5, v167, v21
	v_dual_mul_f32 v244, v204, v137 :: v_dual_mul_f32 v245, v206, v139
	v_dual_mul_f32 v242, v200, v133 :: v_dual_mul_f32 v243, v202, v135
	v_fma_f32 v5, v166, v20, -v5
	v_dual_mul_f32 v3, v165, v19 :: v_dual_add_f32 v2, v2, v4
	v_mul_f32_e32 v4, v169, v25
	v_dual_fmac_f32 v228, v173, v104 :: v_dual_fmac_f32 v241, v199, v130
	s_delay_alu instid0(VALU_DEP_3) | instskip(SKIP_1) | instid1(VALU_DEP_4)
	v_fma_f32 v3, v164, v18, -v3
	v_add_f32_e32 v1, v1, v220
	v_fma_f32 v4, v168, v24, -v4
	v_dual_fmac_f32 v233, v183, v114 :: v_dual_fmac_f32 v236, v189, v120
	s_delay_alu instid0(VALU_DEP_4) | instskip(SKIP_3) | instid1(VALU_DEP_4)
	v_add_f32_e32 v2, v2, v3
	v_mul_f32_e32 v3, v171, v27
	v_dual_fmac_f32 v239, v195, v126 :: v_dual_fmac_f32 v242, v201, v132
	v_dual_mul_f32 v247, v210, v143 :: v_dual_mul_f32 v248, v212, v145
	v_add_f32_e32 v2, v2, v5
	v_add_f32_e32 v1, v1, v221
	v_fma_f32 v3, v170, v26, -v3
	s_delay_alu instid0(VALU_DEP_4) | instskip(NEXT) | instid1(VALU_DEP_3)
	v_dual_fmac_f32 v245, v207, v138 :: v_dual_fmac_f32 v248, v213, v144
	v_dual_add_f32 v2, v2, v4 :: v_dual_add_f32 v1, v1, v222
	v_mul_f32_e32 v4, v175, v107
	v_fmac_f32_e32 v225, v167, v20
	s_delay_alu instid0(VALU_DEP_3) | instskip(SKIP_1) | instid1(VALU_DEP_4)
	v_dual_fmac_f32 v247, v211, v142 :: v_dual_add_f32 v2, v2, v3
	v_mul_f32_e32 v3, v177, v109
	v_fma_f32 v4, v174, v106, -v4
	v_mul_f32_e32 v5, v173, v105
	v_dual_fmac_f32 v232, v181, v112 :: v_dual_fmac_f32 v249, v215, v146
	s_delay_alu instid0(VALU_DEP_4) | instskip(SKIP_1) | instid1(VALU_DEP_4)
	v_fma_f32 v3, v176, v108, -v3
	v_fmac_f32_e32 v234, v185, v116
	v_fma_f32 v5, v172, v104, -v5
	v_add_f32_e32 v1, v1, v223
	v_fmac_f32_e32 v238, v193, v124
	v_fmac_f32_e32 v240, v197, v128
	;; [unrolled: 1-line block ×3, first 2 shown]
	v_dual_add_f32 v2, v2, v5 :: v_dual_mul_f32 v5, v179, v111
	v_fmac_f32_e32 v246, v209, v140
	s_delay_alu instid0(VALU_DEP_2) | instskip(SKIP_3) | instid1(VALU_DEP_4)
	v_add_f32_e32 v2, v2, v4
	v_add_f32_e32 v1, v1, v224
	v_mul_f32_e32 v4, v181, v113
	v_fma_f32 v5, v178, v110, -v5
	v_dual_add_f32 v2, v2, v3 :: v_dual_fmac_f32 v231, v179, v110
	v_mul_f32_e32 v3, v183, v115
	s_delay_alu instid0(VALU_DEP_4) | instskip(NEXT) | instid1(VALU_DEP_3)
	v_fma_f32 v4, v180, v112, -v4
	v_add_f32_e32 v2, v2, v5
	v_add_f32_e32 v1, v1, v225
	s_delay_alu instid0(VALU_DEP_4) | instskip(NEXT) | instid1(VALU_DEP_3)
	v_fma_f32 v3, v182, v114, -v3
	v_dual_add_f32 v2, v2, v4 :: v_dual_mul_f32 v5, v185, v117
	s_delay_alu instid0(VALU_DEP_3) | instskip(NEXT) | instid1(VALU_DEP_2)
	v_dual_add_f32 v1, v1, v226 :: v_dual_mul_f32 v4, v187, v119
	v_add_f32_e32 v2, v2, v3
	s_delay_alu instid0(VALU_DEP_3) | instskip(NEXT) | instid1(VALU_DEP_3)
	v_fma_f32 v5, v184, v116, -v5
	v_add_f32_e32 v1, v1, v227
	v_mul_f32_e32 v3, v189, v121
	v_fma_f32 v4, v186, v118, -v4
	s_delay_alu instid0(VALU_DEP_4) | instskip(NEXT) | instid1(VALU_DEP_3)
	v_dual_add_f32 v2, v2, v5 :: v_dual_mul_f32 v5, v191, v123
	v_fma_f32 v3, v188, v120, -v3
	s_delay_alu instid0(VALU_DEP_2) | instskip(SKIP_3) | instid1(VALU_DEP_4)
	v_add_f32_e32 v2, v2, v4
	v_add_f32_e32 v1, v1, v228
	v_mul_f32_e32 v4, v193, v125
	v_fma_f32 v5, v190, v122, -v5
	v_dual_add_f32 v2, v2, v3 :: v_dual_fmac_f32 v237, v191, v122
	v_mul_f32_e32 v3, v195, v127
	s_delay_alu instid0(VALU_DEP_4) | instskip(NEXT) | instid1(VALU_DEP_3)
	v_fma_f32 v4, v192, v124, -v4
	v_add_f32_e32 v2, v2, v5
	v_add_f32_e32 v1, v1, v229
	s_delay_alu instid0(VALU_DEP_4) | instskip(NEXT) | instid1(VALU_DEP_3)
	v_fma_f32 v3, v194, v126, -v3
	v_dual_add_f32 v2, v2, v4 :: v_dual_mul_f32 v5, v197, v129
	s_delay_alu instid0(VALU_DEP_3) | instskip(NEXT) | instid1(VALU_DEP_2)
	v_dual_add_f32 v1, v1, v230 :: v_dual_mul_f32 v4, v199, v131
	v_add_f32_e32 v2, v2, v3
	s_delay_alu instid0(VALU_DEP_3) | instskip(NEXT) | instid1(VALU_DEP_3)
	v_fma_f32 v5, v196, v128, -v5
	v_add_f32_e32 v1, v1, v231
	v_mul_f32_e32 v3, v201, v133
	v_fma_f32 v4, v198, v130, -v4
	s_delay_alu instid0(VALU_DEP_4) | instskip(NEXT) | instid1(VALU_DEP_3)
	v_dual_add_f32 v2, v2, v5 :: v_dual_mul_f32 v5, v203, v135
	v_fma_f32 v3, v200, v132, -v3
	;; [unrolled: 25-line block ×3, first 2 shown]
	s_delay_alu instid0(VALU_DEP_2) | instskip(SKIP_1) | instid1(VALU_DEP_4)
	v_add_f32_e32 v2, v2, v4
	v_add_f32_e32 v1, v1, v236
	v_fma_f32 v4, v214, v146, -v5
	s_delay_alu instid0(VALU_DEP_2) | instskip(NEXT) | instid1(VALU_DEP_1)
	v_dual_add_f32 v2, v2, v3 :: v_dual_add_f32 v1, v1, v237
	v_dual_add_f32 v2, v2, v4 :: v_dual_add_f32 v1, v1, v238
	s_delay_alu instid0(VALU_DEP_1) | instskip(NEXT) | instid1(VALU_DEP_1)
	v_add_f32_e32 v1, v1, v239
	v_add_f32_e32 v1, v1, v240
	s_delay_alu instid0(VALU_DEP_1) | instskip(NEXT) | instid1(VALU_DEP_1)
	v_add_f32_e32 v1, v1, v241
	v_add_f32_e32 v1, v1, v242
	;; [unrolled: 3-line block ×5, first 2 shown]
	s_delay_alu instid0(VALU_DEP_1) | instskip(SKIP_1) | instid1(VALU_DEP_1)
	v_add_f32_e32 v3, v1, v249
	s_wait_loadcnt 0x0
	v_dual_sub_f32 v1, v216, v2 :: v_dual_sub_f32 v2, v217, v3
	scratch_store_b64 off, v[1:2], off offset:24
	v_cmpx_lt_u32_e32 2, v0
	s_cbranch_execz .LBB101_237
; %bb.236:
	scratch_load_b64 v[1:2], off, off offset:16
	v_mov_b32_e32 v3, 0
	s_delay_alu instid0(VALU_DEP_1)
	v_mov_b32_e32 v4, v3
	scratch_store_b64 off, v[3:4], off offset:16
	s_wait_loadcnt 0x0
	ds_store_b64 v23, v[1:2]
.LBB101_237:
	s_wait_alu 0xfffe
	s_or_b32 exec_lo, exec_lo, s0
	s_wait_storecnt_dscnt 0x0
	s_barrier_signal -1
	s_barrier_wait -1
	global_inv scope:SCOPE_SE
	s_clause 0x4
	scratch_load_b128 v[5:8], off, off offset:24
	scratch_load_b128 v[1:4], off, off offset:40
	;; [unrolled: 1-line block ×5, first 2 shown]
	v_mov_b32_e32 v21, 0
	ds_load_2addr_b64 v[24:27], v21 offset0:41 offset1:42
	ds_load_2addr_b64 v[104:107], v21 offset0:43 offset1:44
	;; [unrolled: 1-line block ×3, first 2 shown]
	scratch_load_b64 v[112:113], off, off offset:16
	s_mov_b32 s0, exec_lo
	s_wait_loadcnt_dscnt 0x502
	v_mul_f32_e32 v22, v25, v6
	v_dual_mul_f32 v114, v24, v6 :: v_dual_mul_f32 v115, v26, v8
	v_mul_f32_e32 v6, v27, v8
	s_delay_alu instid0(VALU_DEP_3) | instskip(NEXT) | instid1(VALU_DEP_3)
	v_fma_f32 v22, v24, v5, -v22
	v_dual_fmac_f32 v114, v25, v5 :: v_dual_fmac_f32 v115, v27, v7
	s_wait_loadcnt_dscnt 0x401
	v_mul_f32_e32 v25, v104, v2
	v_fma_f32 v24, v26, v7, -v6
	ds_load_2addr_b64 v[5:8], v21 offset0:47 offset1:48
	s_wait_loadcnt_dscnt 0x301
	v_dual_mul_f32 v26, v106, v4 :: v_dual_mul_f32 v27, v108, v10
	v_dual_mul_f32 v4, v107, v4 :: v_dual_fmac_f32 v25, v105, v1
	v_mul_f32_e32 v10, v109, v10
	s_delay_alu instid0(VALU_DEP_3)
	v_dual_mul_f32 v116, v110, v12 :: v_dual_fmac_f32 v27, v109, v9
	v_mul_f32_e32 v12, v111, v12
	v_mul_f32_e32 v2, v105, v2
	v_fmac_f32_e32 v26, v107, v3
	v_fma_f32 v105, v106, v3, -v4
	v_fma_f32 v106, v108, v9, -v10
	v_fmac_f32_e32 v116, v111, v11
	v_fma_f32 v107, v110, v11, -v12
	ds_load_2addr_b64 v[9:12], v21 offset0:49 offset1:50
	s_wait_loadcnt_dscnt 0x201
	v_mul_f32_e32 v109, v7, v16
	v_fma_f32 v104, v104, v1, -v2
	scratch_load_b128 v[1:4], off, off offset:104
	v_mul_f32_e32 v108, v5, v14
	v_mul_f32_e32 v14, v6, v14
	;; [unrolled: 1-line block ×3, first 2 shown]
	s_delay_alu instid0(VALU_DEP_3) | instskip(NEXT) | instid1(VALU_DEP_3)
	v_dual_fmac_f32 v109, v8, v15 :: v_dual_fmac_f32 v108, v6, v13
	v_fma_f32 v13, v5, v13, -v14
	s_delay_alu instid0(VALU_DEP_3)
	v_fma_f32 v14, v7, v15, -v16
	ds_load_2addr_b64 v[5:8], v21 offset0:51 offset1:52
	s_wait_loadcnt_dscnt 0x201
	v_mul_f32_e32 v15, v9, v18
	v_mul_f32_e32 v16, v10, v18
	;; [unrolled: 1-line block ×3, first 2 shown]
	s_delay_alu instid0(VALU_DEP_3) | instskip(NEXT) | instid1(VALU_DEP_3)
	v_dual_mul_f32 v20, v12, v20 :: v_dual_fmac_f32 v15, v10, v17
	v_fma_f32 v16, v9, v17, -v16
	s_delay_alu instid0(VALU_DEP_3) | instskip(NEXT) | instid1(VALU_DEP_3)
	v_fmac_f32_e32 v18, v12, v19
	v_fma_f32 v17, v11, v19, -v20
	scratch_load_b128 v[9:12], off, off offset:120
	s_wait_loadcnt_dscnt 0x100
	v_mul_f32_e32 v19, v5, v2
	v_mul_f32_e32 v2, v6, v2
	;; [unrolled: 1-line block ×3, first 2 shown]
	s_delay_alu instid0(VALU_DEP_3) | instskip(NEXT) | instid1(VALU_DEP_3)
	v_dual_mul_f32 v4, v8, v4 :: v_dual_fmac_f32 v19, v6, v1
	v_fma_f32 v110, v5, v1, -v2
	s_delay_alu instid0(VALU_DEP_3) | instskip(NEXT) | instid1(VALU_DEP_3)
	v_fmac_f32_e32 v20, v8, v3
	v_fma_f32 v111, v7, v3, -v4
	ds_load_2addr_b64 v[1:4], v21 offset0:53 offset1:54
	ds_load_2addr_b64 v[5:8], v21 offset0:55 offset1:56
	s_wait_loadcnt_dscnt 0x1
	v_mul_f32_e32 v117, v1, v10
	v_mul_f32_e32 v10, v2, v10
	s_delay_alu instid0(VALU_DEP_2) | instskip(NEXT) | instid1(VALU_DEP_2)
	v_dual_mul_f32 v118, v3, v12 :: v_dual_fmac_f32 v117, v2, v9
	v_fma_f32 v119, v1, v9, -v10
	v_mul_f32_e32 v1, v4, v12
	s_delay_alu instid0(VALU_DEP_3) | instskip(NEXT) | instid1(VALU_DEP_2)
	v_fmac_f32_e32 v118, v4, v11
	v_fma_f32 v120, v3, v11, -v1
	s_clause 0x1
	scratch_load_b128 v[1:4], off, off offset:136
	scratch_load_b128 v[9:12], off, off offset:152
	s_wait_loadcnt_dscnt 0x100
	v_mul_f32_e32 v121, v5, v2
	v_dual_mul_f32 v2, v6, v2 :: v_dual_mul_f32 v123, v7, v4
	s_delay_alu instid0(VALU_DEP_2) | instskip(NEXT) | instid1(VALU_DEP_2)
	v_fmac_f32_e32 v121, v6, v1
	v_fma_f32 v122, v5, v1, -v2
	v_mul_f32_e32 v1, v8, v4
	s_delay_alu instid0(VALU_DEP_4) | instskip(NEXT) | instid1(VALU_DEP_2)
	v_fmac_f32_e32 v123, v8, v3
	v_fma_f32 v124, v7, v3, -v1
	ds_load_2addr_b64 v[1:4], v21 offset0:57 offset1:58
	ds_load_2addr_b64 v[5:8], v21 offset0:59 offset1:60
	s_wait_loadcnt_dscnt 0x1
	v_mul_f32_e32 v125, v1, v10
	v_mul_f32_e32 v127, v3, v12
	s_delay_alu instid0(VALU_DEP_2) | instskip(NEXT) | instid1(VALU_DEP_2)
	v_fmac_f32_e32 v125, v2, v9
	v_dual_mul_f32 v2, v2, v10 :: v_dual_fmac_f32 v127, v4, v11
	s_delay_alu instid0(VALU_DEP_1) | instskip(SKIP_1) | instid1(VALU_DEP_1)
	v_fma_f32 v126, v1, v9, -v2
	v_mul_f32_e32 v1, v4, v12
	v_fma_f32 v128, v3, v11, -v1
	s_clause 0x1
	scratch_load_b128 v[1:4], off, off offset:168
	scratch_load_b128 v[9:12], off, off offset:184
	s_wait_loadcnt_dscnt 0x100
	v_mul_f32_e32 v129, v5, v2
	v_dual_mul_f32 v131, v7, v4 :: v_dual_mul_f32 v2, v6, v2
	s_delay_alu instid0(VALU_DEP_2) | instskip(NEXT) | instid1(VALU_DEP_2)
	v_fmac_f32_e32 v129, v6, v1
	v_fmac_f32_e32 v131, v8, v3
	s_delay_alu instid0(VALU_DEP_3) | instskip(SKIP_1) | instid1(VALU_DEP_1)
	v_fma_f32 v130, v5, v1, -v2
	v_mul_f32_e32 v1, v8, v4
	v_fma_f32 v132, v7, v3, -v1
	ds_load_2addr_b64 v[1:4], v21 offset0:61 offset1:62
	ds_load_2addr_b64 v[5:8], v21 offset0:63 offset1:64
	s_wait_loadcnt_dscnt 0x1
	v_mul_f32_e32 v133, v1, v10
	v_mul_f32_e32 v135, v3, v12
	s_delay_alu instid0(VALU_DEP_2) | instskip(NEXT) | instid1(VALU_DEP_2)
	v_fmac_f32_e32 v133, v2, v9
	v_dual_mul_f32 v2, v2, v10 :: v_dual_fmac_f32 v135, v4, v11
	s_delay_alu instid0(VALU_DEP_1) | instskip(SKIP_1) | instid1(VALU_DEP_1)
	v_fma_f32 v134, v1, v9, -v2
	v_mul_f32_e32 v1, v4, v12
	v_fma_f32 v136, v3, v11, -v1
	s_clause 0x1
	scratch_load_b128 v[1:4], off, off offset:200
	scratch_load_b128 v[9:12], off, off offset:216
	s_wait_loadcnt_dscnt 0x100
	v_mul_f32_e32 v137, v5, v2
	v_mul_f32_e32 v2, v6, v2
	s_delay_alu instid0(VALU_DEP_1) | instskip(SKIP_1) | instid1(VALU_DEP_1)
	v_fma_f32 v138, v5, v1, -v2
	v_add_f32_e32 v2, 0, v114
	v_add_f32_e32 v2, v2, v115
	s_delay_alu instid0(VALU_DEP_1) | instskip(NEXT) | instid1(VALU_DEP_1)
	v_add_f32_e32 v2, v2, v25
	v_add_f32_e32 v2, v2, v26
	s_delay_alu instid0(VALU_DEP_1) | instskip(SKIP_1) | instid1(VALU_DEP_2)
	v_add_f32_e32 v2, v2, v27
	v_fmac_f32_e32 v137, v6, v1
	v_add_f32_e32 v2, v2, v116
	s_delay_alu instid0(VALU_DEP_1) | instskip(NEXT) | instid1(VALU_DEP_1)
	v_add_f32_e32 v2, v2, v108
	v_dual_mul_f32 v139, v7, v4 :: v_dual_add_f32 v2, v2, v109
	s_delay_alu instid0(VALU_DEP_1) | instskip(NEXT) | instid1(VALU_DEP_1)
	v_dual_mul_f32 v1, v8, v4 :: v_dual_add_f32 v2, v2, v15
	v_fma_f32 v140, v7, v3, -v1
	v_add_f32_e32 v1, 0, v22
	s_delay_alu instid0(VALU_DEP_3) | instskip(NEXT) | instid1(VALU_DEP_2)
	v_add_f32_e32 v5, v2, v18
	v_add_f32_e32 v1, v1, v24
	s_delay_alu instid0(VALU_DEP_1) | instskip(NEXT) | instid1(VALU_DEP_1)
	v_add_f32_e32 v1, v1, v104
	v_add_f32_e32 v1, v1, v105
	scratch_load_b64 v[104:105], off, off offset:296
	v_add_f32_e32 v1, v1, v106
	s_delay_alu instid0(VALU_DEP_1) | instskip(NEXT) | instid1(VALU_DEP_1)
	v_add_f32_e32 v1, v1, v107
	v_add_f32_e32 v1, v1, v13
	;; [unrolled: 1-line block ×3, first 2 shown]
	s_delay_alu instid0(VALU_DEP_2) | instskip(NEXT) | instid1(VALU_DEP_2)
	v_add_f32_e32 v1, v1, v14
	v_add_f32_e32 v13, v13, v20
	s_delay_alu instid0(VALU_DEP_2) | instskip(NEXT) | instid1(VALU_DEP_2)
	v_add_f32_e32 v1, v1, v16
	v_add_f32_e32 v13, v13, v117
	v_fmac_f32_e32 v139, v8, v3
	s_delay_alu instid0(VALU_DEP_3) | instskip(NEXT) | instid1(VALU_DEP_3)
	v_add_f32_e32 v1, v1, v17
	v_add_f32_e32 v18, v13, v118
	s_delay_alu instid0(VALU_DEP_2)
	v_add_f32_e32 v6, v1, v110
	scratch_load_b128 v[1:4], off, off offset:232
	v_add_f32_e32 v18, v18, v121
	v_add_f32_e32 v14, v6, v111
	ds_load_2addr_b64 v[5:8], v21 offset0:65 offset1:66
	v_add_f32_e32 v18, v18, v123
	v_add_f32_e32 v14, v14, v119
	s_delay_alu instid0(VALU_DEP_2) | instskip(NEXT) | instid1(VALU_DEP_2)
	v_add_f32_e32 v24, v18, v125
	v_add_f32_e32 v17, v14, v120
	ds_load_2addr_b64 v[13:16], v21 offset0:67 offset1:68
	v_add_f32_e32 v24, v24, v127
	s_delay_alu instid0(VALU_DEP_1)
	v_add_f32_e32 v24, v24, v129
	s_wait_loadcnt_dscnt 0x201
	v_mul_f32_e32 v22, v5, v10
	v_mul_f32_e32 v10, v6, v10
	;; [unrolled: 1-line block ×3, first 2 shown]
	v_dual_mul_f32 v12, v8, v12 :: v_dual_add_f32 v17, v17, v122
	s_delay_alu instid0(VALU_DEP_4) | instskip(NEXT) | instid1(VALU_DEP_4)
	v_fmac_f32_e32 v22, v6, v9
	v_fma_f32 v109, v5, v9, -v10
	s_delay_alu instid0(VALU_DEP_4) | instskip(NEXT) | instid1(VALU_DEP_4)
	v_fmac_f32_e32 v108, v8, v11
	v_fma_f32 v110, v7, v11, -v12
	s_clause 0x1
	scratch_load_b128 v[5:8], off, off offset:248
	scratch_load_b128 v[9:12], off, off offset:264
	v_dual_add_f32 v17, v17, v124 :: v_dual_add_f32 v24, v24, v131
	s_wait_loadcnt_dscnt 0x200
	s_delay_alu instid0(VALU_DEP_1) | instskip(NEXT) | instid1(VALU_DEP_1)
	v_dual_add_f32 v17, v17, v126 :: v_dual_mul_f32 v114, v15, v4
	v_add_f32_e32 v25, v17, v128
	scratch_load_b128 v[17:20], off, off offset:280
	v_mul_f32_e32 v111, v13, v2
	v_mul_f32_e32 v2, v14, v2
	v_dual_fmac_f32 v114, v16, v3 :: v_dual_add_f32 v25, v25, v130
	v_mul_f32_e32 v4, v16, v4
	s_delay_alu instid0(VALU_DEP_3) | instskip(SKIP_1) | instid1(VALU_DEP_4)
	v_fma_f32 v115, v13, v1, -v2
	v_add_f32_e32 v13, v24, v133
	v_add_f32_e32 v25, v25, v132
	s_delay_alu instid0(VALU_DEP_4) | instskip(NEXT) | instid1(VALU_DEP_3)
	v_fma_f32 v116, v15, v3, -v4
	v_add_f32_e32 v24, v13, v135
	s_delay_alu instid0(VALU_DEP_1) | instskip(NEXT) | instid1(VALU_DEP_1)
	v_add_f32_e32 v107, v24, v137
	v_add_f32_e32 v118, v107, v139
	s_delay_alu instid0(VALU_DEP_1) | instskip(NEXT) | instid1(VALU_DEP_1)
	v_add_f32_e32 v22, v118, v22
	v_dual_add_f32 v25, v25, v134 :: v_dual_add_f32 v22, v22, v108
	s_delay_alu instid0(VALU_DEP_1)
	v_dual_fmac_f32 v111, v14, v1 :: v_dual_add_f32 v14, v25, v136
	ds_load_2addr_b64 v[1:4], v21 offset0:69 offset1:70
	ds_load_2addr_b64 v[24:27], v21 offset0:73 offset1:74
	v_add_f32_e32 v22, v22, v111
	v_add_f32_e32 v106, v14, v138
	ds_load_2addr_b64 v[13:16], v21 offset0:71 offset1:72
	v_add_f32_e32 v22, v22, v114
	v_add_f32_e32 v117, v106, v140
	ds_load_b64 v[106:107], v21 offset:600
	s_wait_loadcnt_dscnt 0x203
	v_dual_add_f32 v109, v117, v109 :: v_dual_mul_f32 v108, v3, v8
	s_delay_alu instid0(VALU_DEP_1)
	v_add_f32_e32 v109, v109, v110
	v_dual_mul_f32 v117, v1, v6 :: v_dual_mul_f32 v8, v4, v8
	v_mul_f32_e32 v6, v2, v6
	s_wait_loadcnt_dscnt 0x101
	v_dual_mul_f32 v110, v13, v10 :: v_dual_mul_f32 v111, v15, v12
	v_add_f32_e32 v109, v109, v115
	v_dual_fmac_f32 v117, v2, v5 :: v_dual_fmac_f32 v108, v4, v7
	v_fma_f32 v1, v1, v5, -v6
	v_fma_f32 v2, v3, v7, -v8
	s_delay_alu instid0(VALU_DEP_3) | instskip(SKIP_2) | instid1(VALU_DEP_3)
	v_dual_add_f32 v109, v109, v116 :: v_dual_add_f32 v4, v22, v117
	v_dual_mul_f32 v5, v16, v12 :: v_dual_fmac_f32 v110, v14, v9
	v_mul_f32_e32 v3, v14, v10
	v_add_f32_e32 v1, v109, v1
	s_wait_dscnt 0x0
	v_dual_fmac_f32 v111, v16, v11 :: v_dual_mul_f32 v114, v106, v105
	v_fma_f32 v5, v15, v11, -v5
	s_delay_alu instid0(VALU_DEP_3) | instskip(SKIP_1) | instid1(VALU_DEP_4)
	v_dual_add_f32 v1, v1, v2 :: v_dual_add_f32 v2, v4, v108
	v_fma_f32 v3, v13, v9, -v3
	v_fmac_f32_e32 v114, v107, v104
	s_delay_alu instid0(VALU_DEP_2) | instskip(SKIP_1) | instid1(VALU_DEP_1)
	v_dual_add_f32 v2, v2, v110 :: v_dual_add_f32 v1, v1, v3
	s_wait_loadcnt 0x0
	v_dual_add_f32 v2, v2, v111 :: v_dual_mul_f32 v3, v27, v20
	v_mul_f32_e32 v115, v24, v18
	v_mul_f32_e32 v4, v25, v18
	;; [unrolled: 1-line block ×3, first 2 shown]
	s_delay_alu instid0(VALU_DEP_4) | instskip(NEXT) | instid1(VALU_DEP_4)
	v_fma_f32 v3, v26, v19, -v3
	v_fmac_f32_e32 v115, v25, v17
	s_delay_alu instid0(VALU_DEP_4) | instskip(NEXT) | instid1(VALU_DEP_4)
	v_fma_f32 v4, v24, v17, -v4
	v_dual_fmac_f32 v116, v27, v19 :: v_dual_add_f32 v1, v1, v5
	s_delay_alu instid0(VALU_DEP_3) | instskip(NEXT) | instid1(VALU_DEP_1)
	v_dual_add_f32 v2, v2, v115 :: v_dual_mul_f32 v5, v107, v105
	v_add_f32_e32 v2, v2, v116
	s_delay_alu instid0(VALU_DEP_3) | instskip(NEXT) | instid1(VALU_DEP_3)
	v_add_f32_e32 v1, v1, v4
	v_fma_f32 v4, v106, v104, -v5
	s_delay_alu instid0(VALU_DEP_2) | instskip(NEXT) | instid1(VALU_DEP_1)
	v_dual_add_f32 v2, v2, v114 :: v_dual_add_f32 v1, v1, v3
	v_sub_f32_e32 v2, v113, v2
	s_delay_alu instid0(VALU_DEP_2) | instskip(NEXT) | instid1(VALU_DEP_1)
	v_add_f32_e32 v1, v1, v4
	v_sub_f32_e32 v1, v112, v1
	scratch_store_b64 off, v[1:2], off offset:16
	v_cmpx_lt_u32_e32 1, v0
	s_cbranch_execz .LBB101_239
; %bb.238:
	scratch_load_b64 v[1:2], off, off offset:8
	v_mov_b32_e32 v22, v21
	scratch_store_b64 off, v[21:22], off offset:8
	s_wait_loadcnt 0x0
	ds_store_b64 v23, v[1:2]
.LBB101_239:
	s_wait_alu 0xfffe
	s_or_b32 exec_lo, exec_lo, s0
	s_wait_storecnt_dscnt 0x0
	s_barrier_signal -1
	s_barrier_wait -1
	global_inv scope:SCOPE_SE
	s_clause 0x4
	scratch_load_b128 v[5:8], off, off offset:16
	scratch_load_b128 v[1:4], off, off offset:32
	;; [unrolled: 1-line block ×5, first 2 shown]
	ds_load_b128 v[24:27], v21 offset:320
	ds_load_b128 v[104:107], v21 offset:336
	;; [unrolled: 1-line block ×3, first 2 shown]
	scratch_load_b64 v[112:113], off, off offset:8
	s_mov_b32 s0, exec_lo
	s_wait_loadcnt_dscnt 0x502
	v_dual_mul_f32 v22, v25, v6 :: v_dual_mul_f32 v115, v26, v8
	v_mul_f32_e32 v114, v24, v6
	v_mul_f32_e32 v6, v27, v8
	s_wait_loadcnt_dscnt 0x300
	v_mul_f32_e32 v116, v110, v12
	v_fma_f32 v22, v24, v5, -v22
	v_dual_fmac_f32 v115, v27, v7 :: v_dual_fmac_f32 v114, v25, v5
	v_mul_f32_e32 v27, v108, v10
	v_mul_f32_e32 v25, v104, v2
	v_fma_f32 v24, v26, v7, -v6
	ds_load_b128 v[5:8], v21 offset:368
	v_mul_f32_e32 v26, v106, v4
	v_dual_mul_f32 v4, v107, v4 :: v_dual_fmac_f32 v27, v109, v9
	v_mul_f32_e32 v10, v109, v10
	v_mul_f32_e32 v12, v111, v12
	;; [unrolled: 1-line block ×3, first 2 shown]
	v_dual_fmac_f32 v25, v105, v1 :: v_dual_fmac_f32 v26, v107, v3
	v_fma_f32 v105, v106, v3, -v4
	v_fma_f32 v106, v108, v9, -v10
	v_fmac_f32_e32 v116, v111, v11
	v_fma_f32 v107, v110, v11, -v12
	ds_load_b128 v[9:12], v21 offset:384
	s_wait_loadcnt_dscnt 0x201
	v_mul_f32_e32 v109, v7, v16
	v_fma_f32 v104, v104, v1, -v2
	scratch_load_b128 v[1:4], off, off offset:96
	v_mul_f32_e32 v108, v5, v14
	v_mul_f32_e32 v14, v6, v14
	;; [unrolled: 1-line block ×3, first 2 shown]
	s_delay_alu instid0(VALU_DEP_3) | instskip(NEXT) | instid1(VALU_DEP_3)
	v_dual_fmac_f32 v109, v8, v15 :: v_dual_fmac_f32 v108, v6, v13
	v_fma_f32 v13, v5, v13, -v14
	s_delay_alu instid0(VALU_DEP_3)
	v_fma_f32 v14, v7, v15, -v16
	ds_load_b128 v[5:8], v21 offset:400
	s_wait_loadcnt_dscnt 0x201
	v_mul_f32_e32 v15, v9, v18
	v_mul_f32_e32 v16, v10, v18
	;; [unrolled: 1-line block ×3, first 2 shown]
	s_delay_alu instid0(VALU_DEP_3) | instskip(NEXT) | instid1(VALU_DEP_3)
	v_dual_mul_f32 v20, v12, v20 :: v_dual_fmac_f32 v15, v10, v17
	v_fma_f32 v16, v9, v17, -v16
	s_delay_alu instid0(VALU_DEP_3) | instskip(NEXT) | instid1(VALU_DEP_3)
	v_fmac_f32_e32 v18, v12, v19
	v_fma_f32 v17, v11, v19, -v20
	scratch_load_b128 v[9:12], off, off offset:112
	s_wait_loadcnt_dscnt 0x100
	v_mul_f32_e32 v19, v5, v2
	v_mul_f32_e32 v2, v6, v2
	v_mul_f32_e32 v20, v7, v4
	s_delay_alu instid0(VALU_DEP_3) | instskip(NEXT) | instid1(VALU_DEP_3)
	v_dual_mul_f32 v4, v8, v4 :: v_dual_fmac_f32 v19, v6, v1
	v_fma_f32 v110, v5, v1, -v2
	s_delay_alu instid0(VALU_DEP_3) | instskip(NEXT) | instid1(VALU_DEP_3)
	v_fmac_f32_e32 v20, v8, v3
	v_fma_f32 v111, v7, v3, -v4
	ds_load_b128 v[1:4], v21 offset:416
	ds_load_b128 v[5:8], v21 offset:432
	s_wait_loadcnt_dscnt 0x1
	v_mul_f32_e32 v117, v1, v10
	v_mul_f32_e32 v10, v2, v10
	s_delay_alu instid0(VALU_DEP_2) | instskip(NEXT) | instid1(VALU_DEP_2)
	v_dual_mul_f32 v118, v3, v12 :: v_dual_fmac_f32 v117, v2, v9
	v_fma_f32 v119, v1, v9, -v10
	v_mul_f32_e32 v1, v4, v12
	s_delay_alu instid0(VALU_DEP_3) | instskip(NEXT) | instid1(VALU_DEP_2)
	v_fmac_f32_e32 v118, v4, v11
	v_fma_f32 v120, v3, v11, -v1
	s_clause 0x1
	scratch_load_b128 v[1:4], off, off offset:128
	scratch_load_b128 v[9:12], off, off offset:144
	s_wait_loadcnt_dscnt 0x100
	v_mul_f32_e32 v121, v5, v2
	v_dual_mul_f32 v2, v6, v2 :: v_dual_mul_f32 v123, v7, v4
	s_delay_alu instid0(VALU_DEP_2) | instskip(NEXT) | instid1(VALU_DEP_2)
	v_fmac_f32_e32 v121, v6, v1
	v_fma_f32 v122, v5, v1, -v2
	v_mul_f32_e32 v1, v8, v4
	s_delay_alu instid0(VALU_DEP_4) | instskip(NEXT) | instid1(VALU_DEP_2)
	v_fmac_f32_e32 v123, v8, v3
	v_fma_f32 v124, v7, v3, -v1
	ds_load_b128 v[1:4], v21 offset:448
	ds_load_b128 v[5:8], v21 offset:464
	s_wait_loadcnt_dscnt 0x1
	v_mul_f32_e32 v125, v1, v10
	v_mul_f32_e32 v127, v3, v12
	s_delay_alu instid0(VALU_DEP_2) | instskip(NEXT) | instid1(VALU_DEP_2)
	v_fmac_f32_e32 v125, v2, v9
	v_dual_mul_f32 v2, v2, v10 :: v_dual_fmac_f32 v127, v4, v11
	s_delay_alu instid0(VALU_DEP_1) | instskip(SKIP_1) | instid1(VALU_DEP_1)
	v_fma_f32 v126, v1, v9, -v2
	v_mul_f32_e32 v1, v4, v12
	v_fma_f32 v128, v3, v11, -v1
	s_clause 0x1
	scratch_load_b128 v[1:4], off, off offset:160
	scratch_load_b128 v[9:12], off, off offset:176
	s_wait_loadcnt_dscnt 0x100
	v_mul_f32_e32 v129, v5, v2
	v_dual_mul_f32 v2, v6, v2 :: v_dual_mul_f32 v131, v7, v4
	s_delay_alu instid0(VALU_DEP_2) | instskip(NEXT) | instid1(VALU_DEP_2)
	v_fmac_f32_e32 v129, v6, v1
	v_fma_f32 v130, v5, v1, -v2
	v_mul_f32_e32 v1, v8, v4
	s_delay_alu instid0(VALU_DEP_4) | instskip(NEXT) | instid1(VALU_DEP_2)
	v_fmac_f32_e32 v131, v8, v3
	v_fma_f32 v132, v7, v3, -v1
	ds_load_b128 v[1:4], v21 offset:480
	ds_load_b128 v[5:8], v21 offset:496
	s_wait_loadcnt_dscnt 0x1
	v_mul_f32_e32 v133, v1, v10
	v_mul_f32_e32 v135, v3, v12
	s_delay_alu instid0(VALU_DEP_2) | instskip(NEXT) | instid1(VALU_DEP_2)
	v_fmac_f32_e32 v133, v2, v9
	v_dual_mul_f32 v2, v2, v10 :: v_dual_fmac_f32 v135, v4, v11
	s_delay_alu instid0(VALU_DEP_1) | instskip(SKIP_1) | instid1(VALU_DEP_1)
	v_fma_f32 v134, v1, v9, -v2
	v_mul_f32_e32 v1, v4, v12
	;; [unrolled: 25-line block ×3, first 2 shown]
	v_fma_f32 v144, v3, v11, -v1
	s_clause 0x1
	scratch_load_b128 v[1:4], off, off offset:224
	scratch_load_b128 v[9:12], off, off offset:240
	s_wait_loadcnt_dscnt 0x100
	v_mul_f32_e32 v145, v5, v2
	v_mul_f32_e32 v2, v6, v2
	s_delay_alu instid0(VALU_DEP_1) | instskip(SKIP_1) | instid1(VALU_DEP_1)
	v_fma_f32 v146, v5, v1, -v2
	v_add_f32_e32 v2, 0, v114
	v_add_f32_e32 v2, v2, v115
	s_delay_alu instid0(VALU_DEP_1) | instskip(NEXT) | instid1(VALU_DEP_1)
	v_add_f32_e32 v2, v2, v25
	v_add_f32_e32 v2, v2, v26
	s_delay_alu instid0(VALU_DEP_1) | instskip(NEXT) | instid1(VALU_DEP_1)
	;; [unrolled: 3-line block ×4, first 2 shown]
	v_dual_add_f32 v2, v2, v15 :: v_dual_mul_f32 v147, v7, v4
	v_add_f32_e32 v2, v2, v18
	s_delay_alu instid0(VALU_DEP_1) | instskip(SKIP_2) | instid1(VALU_DEP_3)
	v_add_f32_e32 v2, v2, v19
	v_fmac_f32_e32 v145, v6, v1
	v_mul_f32_e32 v1, v8, v4
	v_dual_fmac_f32 v147, v8, v3 :: v_dual_add_f32 v2, v2, v20
	s_delay_alu instid0(VALU_DEP_2) | instskip(SKIP_1) | instid1(VALU_DEP_3)
	v_fma_f32 v148, v7, v3, -v1
	v_add_f32_e32 v1, 0, v22
	v_add_f32_e32 v5, v2, v117
	s_delay_alu instid0(VALU_DEP_2) | instskip(NEXT) | instid1(VALU_DEP_2)
	v_add_f32_e32 v1, v1, v24
	v_add_f32_e32 v5, v5, v118
	s_delay_alu instid0(VALU_DEP_2) | instskip(NEXT) | instid1(VALU_DEP_2)
	v_add_f32_e32 v1, v1, v104
	v_add_f32_e32 v5, v5, v121
	s_delay_alu instid0(VALU_DEP_2) | instskip(NEXT) | instid1(VALU_DEP_1)
	v_add_f32_e32 v1, v1, v105
	v_add_f32_e32 v1, v1, v106
	s_delay_alu instid0(VALU_DEP_1) | instskip(NEXT) | instid1(VALU_DEP_1)
	v_add_f32_e32 v1, v1, v107
	v_add_f32_e32 v1, v1, v13
	s_delay_alu instid0(VALU_DEP_1) | instskip(SKIP_1) | instid1(VALU_DEP_1)
	v_add_f32_e32 v1, v1, v14
	v_add_f32_e32 v14, v5, v123
	;; [unrolled: 1-line block ×3, first 2 shown]
	s_delay_alu instid0(VALU_DEP_1) | instskip(NEXT) | instid1(VALU_DEP_1)
	v_dual_add_f32 v14, v14, v127 :: v_dual_add_f32 v1, v1, v16
	v_add_f32_e32 v1, v1, v17
	s_delay_alu instid0(VALU_DEP_2) | instskip(NEXT) | instid1(VALU_DEP_2)
	v_add_f32_e32 v17, v14, v129
	v_add_f32_e32 v1, v1, v110
	s_delay_alu instid0(VALU_DEP_2) | instskip(NEXT) | instid1(VALU_DEP_2)
	v_add_f32_e32 v17, v17, v131
	;; [unrolled: 3-line block ×4, first 2 shown]
	v_add_f32_e32 v6, v1, v120
	ds_load_b128 v[1:4], v21 offset:544
	v_dual_add_f32 v25, v17, v137 :: v_dual_add_f32 v6, v6, v122
	s_delay_alu instid0(VALU_DEP_1)
	v_dual_add_f32 v108, v25, v139 :: v_dual_add_f32 v13, v6, v124
	ds_load_b128 v[5:8], v21 offset:560
	s_wait_loadcnt_dscnt 0x1
	v_mul_f32_e32 v22, v1, v10
	v_mul_f32_e32 v104, v3, v12
	;; [unrolled: 1-line block ×4, first 2 shown]
	s_delay_alu instid0(VALU_DEP_4) | instskip(NEXT) | instid1(VALU_DEP_4)
	v_fmac_f32_e32 v22, v2, v9
	v_fmac_f32_e32 v104, v4, v11
	s_delay_alu instid0(VALU_DEP_4) | instskip(NEXT) | instid1(VALU_DEP_4)
	v_fma_f32 v105, v1, v9, -v10
	v_fma_f32 v106, v3, v11, -v12
	s_clause 0x1
	scratch_load_b128 v[1:4], off, off offset:256
	scratch_load_b128 v[9:12], off, off offset:272
	v_add_f32_e32 v13, v13, v126
	s_delay_alu instid0(VALU_DEP_1) | instskip(NEXT) | instid1(VALU_DEP_1)
	v_add_f32_e32 v13, v13, v128
	v_add_f32_e32 v13, v13, v130
	s_delay_alu instid0(VALU_DEP_1) | instskip(SKIP_2) | instid1(VALU_DEP_1)
	v_add_f32_e32 v18, v13, v132
	scratch_load_b128 v[13:16], off, off offset:288
	v_add_f32_e32 v18, v18, v134
	v_add_f32_e32 v18, v18, v136
	s_delay_alu instid0(VALU_DEP_1)
	v_add_f32_e32 v24, v18, v138
	ds_load_b128 v[17:20], v21 offset:576
	v_add_f32_e32 v107, v24, v140
	ds_load_b128 v[24:27], v21 offset:592
	s_wait_loadcnt_dscnt 0x101
	v_dual_mul_f32 v109, v7, v4 :: v_dual_mul_f32 v110, v17, v10
	v_add_f32_e32 v21, v107, v142
	v_dual_add_f32 v107, v108, v141 :: v_dual_mul_f32 v108, v5, v2
	v_mul_f32_e32 v2, v6, v2
	v_mul_f32_e32 v4, v8, v4
	s_delay_alu instid0(VALU_DEP_4) | instskip(NEXT) | instid1(VALU_DEP_4)
	v_add_f32_e32 v21, v21, v144
	v_dual_fmac_f32 v109, v8, v3 :: v_dual_fmac_f32 v108, v6, v1
	s_delay_alu instid0(VALU_DEP_4) | instskip(SKIP_1) | instid1(VALU_DEP_4)
	v_fma_f32 v2, v5, v1, -v2
	v_mul_f32_e32 v6, v18, v10
	v_add_f32_e32 v21, v21, v146
	v_fma_f32 v3, v7, v3, -v4
	v_mul_f32_e32 v111, v19, v12
	v_mul_f32_e32 v4, v20, v12
	s_delay_alu instid0(VALU_DEP_4)
	v_dual_fmac_f32 v110, v18, v9 :: v_dual_add_f32 v21, v21, v148
	s_wait_loadcnt_dscnt 0x0
	v_dual_mul_f32 v114, v24, v14 :: v_dual_add_f32 v107, v107, v143
	v_fmac_f32_e32 v111, v20, v11
	v_fma_f32 v4, v19, v11, -v4
	v_add_f32_e32 v21, v21, v105
	s_delay_alu instid0(VALU_DEP_4) | instskip(SKIP_2) | instid1(VALU_DEP_4)
	v_fmac_f32_e32 v114, v25, v13
	v_add_f32_e32 v107, v107, v145
	v_mul_f32_e32 v105, v26, v16
	v_add_f32_e32 v1, v21, v106
	s_delay_alu instid0(VALU_DEP_3) | instskip(NEXT) | instid1(VALU_DEP_3)
	v_add_f32_e32 v107, v107, v147
	v_fmac_f32_e32 v105, v27, v15
	s_delay_alu instid0(VALU_DEP_3) | instskip(NEXT) | instid1(VALU_DEP_1)
	v_add_f32_e32 v1, v1, v2
	v_dual_add_f32 v22, v107, v22 :: v_dual_add_f32 v1, v1, v3
	v_mul_f32_e32 v3, v25, v14
	s_delay_alu instid0(VALU_DEP_2) | instskip(NEXT) | instid1(VALU_DEP_2)
	v_add_f32_e32 v5, v22, v104
	v_fma_f32 v3, v24, v13, -v3
	s_delay_alu instid0(VALU_DEP_2) | instskip(SKIP_1) | instid1(VALU_DEP_2)
	v_add_f32_e32 v2, v5, v108
	v_fma_f32 v5, v17, v9, -v6
	v_add_f32_e32 v2, v2, v109
	s_delay_alu instid0(VALU_DEP_2) | instskip(NEXT) | instid1(VALU_DEP_2)
	v_add_f32_e32 v1, v1, v5
	v_dual_mul_f32 v5, v27, v16 :: v_dual_add_f32 v2, v2, v110
	s_delay_alu instid0(VALU_DEP_2) | instskip(NEXT) | instid1(VALU_DEP_2)
	v_add_f32_e32 v1, v1, v4
	v_fma_f32 v4, v26, v15, -v5
	s_delay_alu instid0(VALU_DEP_3) | instskip(NEXT) | instid1(VALU_DEP_1)
	v_add_f32_e32 v2, v2, v111
	v_dual_add_f32 v1, v1, v3 :: v_dual_add_f32 v2, v2, v114
	s_delay_alu instid0(VALU_DEP_1) | instskip(NEXT) | instid1(VALU_DEP_1)
	v_dual_add_f32 v1, v1, v4 :: v_dual_add_f32 v2, v2, v105
	v_dual_sub_f32 v1, v112, v1 :: v_dual_sub_f32 v2, v113, v2
	scratch_store_b64 off, v[1:2], off offset:8
	v_cmpx_ne_u32_e32 0, v0
	s_cbranch_execz .LBB101_241
; %bb.240:
	scratch_load_b64 v[0:1], off, off
	v_mov_b32_e32 v2, 0
	s_delay_alu instid0(VALU_DEP_1)
	v_mov_b32_e32 v3, v2
	scratch_store_b64 off, v[2:3], off
	s_wait_loadcnt 0x0
	ds_store_b64 v23, v[0:1]
.LBB101_241:
	s_wait_alu 0xfffe
	s_or_b32 exec_lo, exec_lo, s0
	s_wait_storecnt_dscnt 0x0
	s_barrier_signal -1
	s_barrier_wait -1
	global_inv scope:SCOPE_SE
	s_clause 0x6
	scratch_load_b128 v[0:3], off, off offset:8
	scratch_load_b128 v[4:7], off, off offset:24
	;; [unrolled: 1-line block ×7, first 2 shown]
	v_mov_b32_e32 v104, 0
	scratch_load_b64 v[113:114], off, off
	s_and_b32 vcc_lo, exec_lo, s12
	ds_load_2addr_b64 v[105:108], v104 offset0:39 offset1:40
	ds_load_2addr_b64 v[109:112], v104 offset0:41 offset1:42
	s_wait_loadcnt_dscnt 0x701
	v_mul_f32_e32 v115, v106, v1
	v_dual_mul_f32 v116, v105, v1 :: v_dual_mul_f32 v117, v107, v3
	v_mul_f32_e32 v1, v108, v3
	s_delay_alu instid0(VALU_DEP_3) | instskip(NEXT) | instid1(VALU_DEP_3)
	v_fma_f32 v105, v105, v0, -v115
	v_dual_fmac_f32 v116, v106, v0 :: v_dual_fmac_f32 v117, v108, v2
	s_wait_loadcnt_dscnt 0x600
	v_mul_f32_e32 v108, v111, v7
	v_fma_f32 v106, v107, v2, -v1
	ds_load_2addr_b64 v[0:3], v104 offset0:43 offset1:44
	v_mul_f32_e32 v107, v109, v5
	v_mul_f32_e32 v5, v110, v5
	;; [unrolled: 1-line block ×3, first 2 shown]
	s_delay_alu instid0(VALU_DEP_3) | instskip(NEXT) | instid1(VALU_DEP_3)
	v_dual_fmac_f32 v108, v112, v6 :: v_dual_fmac_f32 v107, v110, v4
	v_fma_f32 v109, v109, v4, -v5
	s_delay_alu instid0(VALU_DEP_3)
	v_fma_f32 v110, v111, v6, -v7
	ds_load_2addr_b64 v[4:7], v104 offset0:45 offset1:46
	s_wait_loadcnt_dscnt 0x501
	v_dual_mul_f32 v111, v0, v9 :: v_dual_mul_f32 v112, v2, v11
	v_mul_f32_e32 v9, v1, v9
	v_mul_f32_e32 v11, v3, v11
	s_delay_alu instid0(VALU_DEP_3) | instskip(NEXT) | instid1(VALU_DEP_3)
	v_dual_fmac_f32 v111, v1, v8 :: v_dual_fmac_f32 v112, v3, v10
	v_fma_f32 v115, v0, v8, -v9
	s_delay_alu instid0(VALU_DEP_3)
	v_fma_f32 v118, v2, v10, -v11
	ds_load_2addr_b64 v[0:3], v104 offset0:47 offset1:48
	s_wait_loadcnt_dscnt 0x401
	v_mul_f32_e32 v119, v4, v13
	v_dual_mul_f32 v8, v5, v13 :: v_dual_mul_f32 v13, v6, v15
	v_mul_f32_e32 v9, v7, v15
	s_delay_alu instid0(VALU_DEP_3) | instskip(NEXT) | instid1(VALU_DEP_3)
	v_fmac_f32_e32 v119, v5, v12
	v_fma_f32 v12, v4, v12, -v8
	s_delay_alu instid0(VALU_DEP_4) | instskip(NEXT) | instid1(VALU_DEP_4)
	v_fmac_f32_e32 v13, v7, v14
	v_fma_f32 v14, v6, v14, -v9
	ds_load_2addr_b64 v[4:7], v104 offset0:49 offset1:50
	s_wait_loadcnt_dscnt 0x301
	v_mul_f32_e32 v15, v0, v17
	v_dual_mul_f32 v8, v1, v17 :: v_dual_mul_f32 v17, v2, v19
	v_mul_f32_e32 v9, v3, v19
	s_delay_alu instid0(VALU_DEP_3) | instskip(NEXT) | instid1(VALU_DEP_3)
	v_fmac_f32_e32 v15, v1, v16
	v_fma_f32 v16, v0, v16, -v8
	s_delay_alu instid0(VALU_DEP_4) | instskip(NEXT) | instid1(VALU_DEP_4)
	v_fmac_f32_e32 v17, v3, v18
	;; [unrolled: 11-line block ×4, first 2 shown]
	v_fma_f32 v26, v2, v26, -v9
	s_clause 0x1
	scratch_load_b128 v[0:3], off, off offset:120
	scratch_load_b128 v[8:11], off, off offset:136
	s_wait_loadcnt_dscnt 0x100
	v_mul_f32_e32 v27, v4, v1
	v_mul_f32_e32 v1, v5, v1
	v_mul_f32_e32 v121, v6, v3
	s_delay_alu instid0(VALU_DEP_3) | instskip(NEXT) | instid1(VALU_DEP_3)
	v_fmac_f32_e32 v27, v5, v0
	v_fma_f32 v120, v4, v0, -v1
	v_mul_f32_e32 v0, v7, v3
	s_delay_alu instid0(VALU_DEP_4) | instskip(NEXT) | instid1(VALU_DEP_2)
	v_fmac_f32_e32 v121, v7, v2
	v_fma_f32 v122, v6, v2, -v0
	ds_load_2addr_b64 v[0:3], v104 offset0:55 offset1:56
	ds_load_2addr_b64 v[4:7], v104 offset0:57 offset1:58
	s_wait_loadcnt_dscnt 0x1
	v_mul_f32_e32 v123, v0, v9
	v_mul_f32_e32 v125, v2, v11
	s_delay_alu instid0(VALU_DEP_2) | instskip(SKIP_1) | instid1(VALU_DEP_3)
	v_fmac_f32_e32 v123, v1, v8
	v_mul_f32_e32 v1, v1, v9
	v_fmac_f32_e32 v125, v3, v10
	s_delay_alu instid0(VALU_DEP_2) | instskip(SKIP_1) | instid1(VALU_DEP_1)
	v_fma_f32 v124, v0, v8, -v1
	v_mul_f32_e32 v0, v3, v11
	v_fma_f32 v126, v2, v10, -v0
	s_clause 0x1
	scratch_load_b128 v[0:3], off, off offset:152
	scratch_load_b128 v[8:11], off, off offset:168
	s_wait_loadcnt_dscnt 0x100
	v_mul_f32_e32 v127, v4, v1
	v_mul_f32_e32 v1, v5, v1
	v_mul_f32_e32 v129, v6, v3
	s_delay_alu instid0(VALU_DEP_3) | instskip(NEXT) | instid1(VALU_DEP_3)
	v_fmac_f32_e32 v127, v5, v0
	v_fma_f32 v128, v4, v0, -v1
	v_mul_f32_e32 v0, v7, v3
	s_delay_alu instid0(VALU_DEP_4) | instskip(NEXT) | instid1(VALU_DEP_2)
	v_fmac_f32_e32 v129, v7, v2
	v_fma_f32 v130, v6, v2, -v0
	ds_load_2addr_b64 v[0:3], v104 offset0:59 offset1:60
	ds_load_2addr_b64 v[4:7], v104 offset0:61 offset1:62
	s_wait_loadcnt_dscnt 0x1
	v_mul_f32_e32 v131, v0, v9
	v_mul_f32_e32 v133, v2, v11
	s_delay_alu instid0(VALU_DEP_2) | instskip(SKIP_1) | instid1(VALU_DEP_3)
	v_fmac_f32_e32 v131, v1, v8
	v_mul_f32_e32 v1, v1, v9
	v_fmac_f32_e32 v133, v3, v10
	s_delay_alu instid0(VALU_DEP_2) | instskip(SKIP_1) | instid1(VALU_DEP_1)
	v_fma_f32 v132, v0, v8, -v1
	v_mul_f32_e32 v0, v3, v11
	;; [unrolled: 27-line block ×3, first 2 shown]
	v_fma_f32 v142, v2, v10, -v0
	s_clause 0x1
	scratch_load_b128 v[0:3], off, off offset:216
	scratch_load_b128 v[8:11], off, off offset:232
	s_wait_loadcnt_dscnt 0x100
	v_mul_f32_e32 v143, v4, v1
	v_mul_f32_e32 v1, v5, v1
	;; [unrolled: 1-line block ×3, first 2 shown]
	s_delay_alu instid0(VALU_DEP_3) | instskip(NEXT) | instid1(VALU_DEP_3)
	v_fmac_f32_e32 v143, v5, v0
	v_fma_f32 v144, v4, v0, -v1
	v_dual_mul_f32 v0, v7, v3 :: v_dual_add_f32 v1, 0, v116
	s_delay_alu instid0(VALU_DEP_4) | instskip(NEXT) | instid1(VALU_DEP_2)
	v_fmac_f32_e32 v145, v7, v2
	v_fma_f32 v146, v6, v2, -v0
	v_add_f32_e32 v0, 0, v105
	s_delay_alu instid0(VALU_DEP_1) | instskip(NEXT) | instid1(VALU_DEP_1)
	v_dual_add_f32 v1, v1, v117 :: v_dual_add_f32 v0, v0, v106
	v_dual_add_f32 v1, v1, v107 :: v_dual_add_f32 v0, v0, v109
	s_delay_alu instid0(VALU_DEP_1) | instskip(NEXT) | instid1(VALU_DEP_1)
	v_dual_add_f32 v1, v1, v108 :: v_dual_add_f32 v0, v0, v110
	v_add_f32_e32 v1, v1, v111
	s_delay_alu instid0(VALU_DEP_1) | instskip(NEXT) | instid1(VALU_DEP_1)
	v_dual_add_f32 v0, v0, v115 :: v_dual_add_f32 v1, v1, v112
	v_dual_add_f32 v0, v0, v118 :: v_dual_add_f32 v1, v1, v119
	s_delay_alu instid0(VALU_DEP_1) | instskip(NEXT) | instid1(VALU_DEP_1)
	v_dual_add_f32 v0, v0, v12 :: v_dual_add_f32 v1, v1, v13
	v_dual_add_f32 v0, v0, v14 :: v_dual_add_f32 v1, v1, v15
	;; [unrolled: 3-line block ×3, first 2 shown]
	s_delay_alu instid0(VALU_DEP_1) | instskip(NEXT) | instid1(VALU_DEP_2)
	v_add_f32_e32 v0, v0, v20
	v_add_f32_e32 v4, v1, v21
	s_delay_alu instid0(VALU_DEP_2) | instskip(NEXT) | instid1(VALU_DEP_2)
	v_add_f32_e32 v0, v0, v22
	v_add_f32_e32 v4, v4, v23
	s_delay_alu instid0(VALU_DEP_2) | instskip(SKIP_4) | instid1(VALU_DEP_1)
	v_add_f32_e32 v5, v0, v24
	ds_load_2addr_b64 v[0:3], v104 offset0:67 offset1:68
	v_add_f32_e32 v4, v4, v25
	scratch_load_b64 v[24:25], off, off offset:296
	v_add_f32_e32 v5, v5, v26
	v_dual_add_f32 v13, v4, v27 :: v_dual_add_f32 v12, v5, v120
	ds_load_2addr_b64 v[4:7], v104 offset0:69 offset1:70
	v_add_f32_e32 v12, v12, v122
	s_delay_alu instid0(VALU_DEP_1)
	v_add_f32_e32 v12, v12, v124
	s_wait_loadcnt_dscnt 0x101
	v_mul_f32_e32 v105, v0, v9
	v_dual_mul_f32 v9, v1, v9 :: v_dual_mul_f32 v106, v2, v11
	v_mul_f32_e32 v11, v3, v11
	v_add_f32_e32 v13, v13, v121
	s_delay_alu instid0(VALU_DEP_4) | instskip(NEXT) | instid1(VALU_DEP_4)
	v_fmac_f32_e32 v105, v1, v8
	v_fma_f32 v107, v0, v8, -v9
	v_fmac_f32_e32 v106, v3, v10
	v_fma_f32 v108, v2, v10, -v11
	s_clause 0x1
	scratch_load_b128 v[0:3], off, off offset:248
	scratch_load_b128 v[8:11], off, off offset:264
	v_dual_add_f32 v12, v12, v126 :: v_dual_add_f32 v13, v13, v123
	s_delay_alu instid0(VALU_DEP_1) | instskip(SKIP_2) | instid1(VALU_DEP_1)
	v_dual_add_f32 v17, v12, v128 :: v_dual_add_f32 v16, v13, v125
	scratch_load_b128 v[12:15], off, off offset:280
	v_dual_add_f32 v17, v17, v130 :: v_dual_add_f32 v16, v16, v127
	v_dual_add_f32 v17, v17, v132 :: v_dual_add_f32 v16, v16, v129
	s_delay_alu instid0(VALU_DEP_1) | instskip(NEXT) | instid1(VALU_DEP_1)
	v_dual_add_f32 v17, v17, v134 :: v_dual_add_f32 v16, v16, v131
	v_dual_add_f32 v17, v17, v136 :: v_dual_add_f32 v16, v16, v133
	s_delay_alu instid0(VALU_DEP_1) | instskip(NEXT) | instid1(VALU_DEP_2)
	v_add_f32_e32 v26, v17, v138
	v_add_f32_e32 v20, v16, v135
	ds_load_2addr_b64 v[16:19], v104 offset0:71 offset1:72
	v_add_f32_e32 v109, v26, v140
	v_add_f32_e32 v27, v20, v137
	ds_load_2addr_b64 v[20:23], v104 offset0:73 offset1:74
	v_add_f32_e32 v109, v109, v142
	s_delay_alu instid0(VALU_DEP_1) | instskip(NEXT) | instid1(VALU_DEP_1)
	v_add_f32_e32 v109, v109, v144
	v_add_f32_e32 v109, v109, v146
	s_delay_alu instid0(VALU_DEP_1)
	v_add_f32_e32 v107, v109, v107
	s_wait_loadcnt_dscnt 0x202
	v_mul_f32_e32 v111, v4, v1
	v_dual_mul_f32 v1, v5, v1 :: v_dual_mul_f32 v112, v6, v3
	v_mul_f32_e32 v3, v7, v3
	s_wait_loadcnt_dscnt 0x101
	v_mul_f32_e32 v115, v16, v9
	v_fmac_f32_e32 v111, v5, v0
	v_fma_f32 v0, v4, v0, -v1
	v_add_f32_e32 v1, v107, v108
	v_fmac_f32_e32 v112, v7, v2
	v_fma_f32 v2, v6, v2, -v3
	v_dual_mul_f32 v5, v17, v9 :: v_dual_mul_f32 v116, v18, v11
	s_delay_alu instid0(VALU_DEP_4) | instskip(SKIP_2) | instid1(VALU_DEP_3)
	v_dual_add_f32 v0, v1, v0 :: v_dual_mul_f32 v3, v19, v11
	v_fmac_f32_e32 v115, v17, v8
	s_wait_loadcnt_dscnt 0x0
	v_dual_mul_f32 v117, v20, v13 :: v_dual_fmac_f32 v116, v19, v10
	s_delay_alu instid0(VALU_DEP_3)
	v_add_f32_e32 v0, v0, v2
	v_add_f32_e32 v110, v27, v139
	ds_load_b64 v[26:27], v104 offset:600
	v_mul_f32_e32 v2, v21, v13
	v_fma_f32 v3, v18, v10, -v3
	v_mul_f32_e32 v109, v22, v15
	v_dual_add_f32 v110, v110, v141 :: v_dual_fmac_f32 v117, v21, v12
	s_delay_alu instid0(VALU_DEP_4) | instskip(NEXT) | instid1(VALU_DEP_2)
	v_fma_f32 v2, v20, v12, -v2
	v_dual_fmac_f32 v109, v23, v14 :: v_dual_add_f32 v110, v110, v143
	s_delay_alu instid0(VALU_DEP_1) | instskip(NEXT) | instid1(VALU_DEP_1)
	v_add_f32_e32 v110, v110, v145
	v_add_f32_e32 v105, v110, v105
	s_wait_dscnt 0x0
	v_mul_f32_e32 v110, v26, v25
	s_delay_alu instid0(VALU_DEP_2) | instskip(NEXT) | instid1(VALU_DEP_1)
	v_add_f32_e32 v4, v105, v106
	v_dual_fmac_f32 v110, v27, v24 :: v_dual_add_f32 v1, v4, v111
	v_fma_f32 v4, v16, v8, -v5
	s_delay_alu instid0(VALU_DEP_2) | instskip(NEXT) | instid1(VALU_DEP_2)
	v_add_f32_e32 v1, v1, v112
	v_add_f32_e32 v0, v0, v4
	v_mul_f32_e32 v4, v23, v15
	s_delay_alu instid0(VALU_DEP_3) | instskip(NEXT) | instid1(VALU_DEP_3)
	v_add_f32_e32 v1, v1, v115
	v_dual_add_f32 v0, v0, v3 :: v_dual_mul_f32 v3, v27, v25
	s_delay_alu instid0(VALU_DEP_3) | instskip(NEXT) | instid1(VALU_DEP_2)
	v_fma_f32 v4, v22, v14, -v4
	v_dual_add_f32 v1, v1, v116 :: v_dual_add_f32 v0, v0, v2
	s_delay_alu instid0(VALU_DEP_3) | instskip(NEXT) | instid1(VALU_DEP_2)
	v_fma_f32 v2, v26, v24, -v3
	v_dual_add_f32 v1, v1, v117 :: v_dual_add_f32 v0, v0, v4
	s_delay_alu instid0(VALU_DEP_1) | instskip(NEXT) | instid1(VALU_DEP_1)
	v_dual_add_f32 v1, v1, v109 :: v_dual_add_f32 v0, v0, v2
	v_add_f32_e32 v1, v1, v110
	s_delay_alu instid0(VALU_DEP_1)
	v_dual_sub_f32 v0, v113, v0 :: v_dual_sub_f32 v1, v114, v1
	scratch_store_b64 off, v[0:1], off
	s_wait_alu 0xfffe
	s_cbranch_vccz .LBB101_316
; %bb.242:
	global_load_b32 v0, v104, s[2:3] offset:144
	s_wait_loadcnt 0x0
	v_cmp_ne_u32_e32 vcc_lo, 37, v0
	s_cbranch_vccz .LBB101_244
; %bb.243:
	v_lshlrev_b32_e32 v0, 3, v0
	s_delay_alu instid0(VALU_DEP_1)
	v_mov_b32_e32 v4, v0
	scratch_load_b64 v[0:1], v4, off offset:-8
	scratch_load_b64 v[2:3], off, off offset:288
	s_wait_loadcnt 0x1
	scratch_store_b64 off, v[0:1], off offset:288
	s_wait_loadcnt 0x0
	scratch_store_b64 v4, v[2:3], off offset:-8
.LBB101_244:
	v_mov_b32_e32 v0, 0
	global_load_b32 v1, v0, s[2:3] offset:140
	s_wait_loadcnt 0x0
	v_cmp_eq_u32_e32 vcc_lo, 36, v1
	s_cbranch_vccnz .LBB101_246
; %bb.245:
	v_lshlrev_b32_e32 v1, 3, v1
	s_delay_alu instid0(VALU_DEP_1)
	v_mov_b32_e32 v5, v1
	scratch_load_b64 v[1:2], v5, off offset:-8
	scratch_load_b64 v[3:4], off, off offset:280
	s_wait_loadcnt 0x1
	scratch_store_b64 off, v[1:2], off offset:280
	s_wait_loadcnt 0x0
	scratch_store_b64 v5, v[3:4], off offset:-8
.LBB101_246:
	global_load_b32 v0, v0, s[2:3] offset:136
	s_wait_loadcnt 0x0
	v_cmp_eq_u32_e32 vcc_lo, 35, v0
	s_cbranch_vccnz .LBB101_248
; %bb.247:
	v_lshlrev_b32_e32 v0, 3, v0
	s_delay_alu instid0(VALU_DEP_1)
	v_mov_b32_e32 v4, v0
	scratch_load_b64 v[0:1], v4, off offset:-8
	scratch_load_b64 v[2:3], off, off offset:272
	s_wait_loadcnt 0x1
	scratch_store_b64 off, v[0:1], off offset:272
	s_wait_loadcnt 0x0
	scratch_store_b64 v4, v[2:3], off offset:-8
.LBB101_248:
	v_mov_b32_e32 v0, 0
	global_load_b32 v1, v0, s[2:3] offset:132
	s_wait_loadcnt 0x0
	v_cmp_eq_u32_e32 vcc_lo, 34, v1
	s_cbranch_vccnz .LBB101_250
; %bb.249:
	v_lshlrev_b32_e32 v1, 3, v1
	s_delay_alu instid0(VALU_DEP_1)
	v_mov_b32_e32 v5, v1
	scratch_load_b64 v[1:2], v5, off offset:-8
	scratch_load_b64 v[3:4], off, off offset:264
	s_wait_loadcnt 0x1
	scratch_store_b64 off, v[1:2], off offset:264
	s_wait_loadcnt 0x0
	scratch_store_b64 v5, v[3:4], off offset:-8
.LBB101_250:
	global_load_b32 v0, v0, s[2:3] offset:128
	s_wait_loadcnt 0x0
	v_cmp_eq_u32_e32 vcc_lo, 33, v0
	s_cbranch_vccnz .LBB101_252
; %bb.251:
	v_lshlrev_b32_e32 v0, 3, v0
	s_delay_alu instid0(VALU_DEP_1)
	v_mov_b32_e32 v4, v0
	scratch_load_b64 v[0:1], v4, off offset:-8
	scratch_load_b64 v[2:3], off, off offset:256
	s_wait_loadcnt 0x1
	scratch_store_b64 off, v[0:1], off offset:256
	s_wait_loadcnt 0x0
	scratch_store_b64 v4, v[2:3], off offset:-8
.LBB101_252:
	v_mov_b32_e32 v0, 0
	global_load_b32 v1, v0, s[2:3] offset:124
	s_wait_loadcnt 0x0
	v_cmp_eq_u32_e32 vcc_lo, 32, v1
	s_cbranch_vccnz .LBB101_254
; %bb.253:
	v_lshlrev_b32_e32 v1, 3, v1
	s_delay_alu instid0(VALU_DEP_1)
	v_mov_b32_e32 v5, v1
	scratch_load_b64 v[1:2], v5, off offset:-8
	scratch_load_b64 v[3:4], off, off offset:248
	s_wait_loadcnt 0x1
	scratch_store_b64 off, v[1:2], off offset:248
	s_wait_loadcnt 0x0
	scratch_store_b64 v5, v[3:4], off offset:-8
.LBB101_254:
	global_load_b32 v0, v0, s[2:3] offset:120
	s_wait_loadcnt 0x0
	v_cmp_eq_u32_e32 vcc_lo, 31, v0
	s_cbranch_vccnz .LBB101_256
; %bb.255:
	v_lshlrev_b32_e32 v0, 3, v0
	s_delay_alu instid0(VALU_DEP_1)
	v_mov_b32_e32 v4, v0
	scratch_load_b64 v[0:1], v4, off offset:-8
	scratch_load_b64 v[2:3], off, off offset:240
	s_wait_loadcnt 0x1
	scratch_store_b64 off, v[0:1], off offset:240
	s_wait_loadcnt 0x0
	scratch_store_b64 v4, v[2:3], off offset:-8
.LBB101_256:
	v_mov_b32_e32 v0, 0
	global_load_b32 v1, v0, s[2:3] offset:116
	s_wait_loadcnt 0x0
	v_cmp_eq_u32_e32 vcc_lo, 30, v1
	s_cbranch_vccnz .LBB101_258
; %bb.257:
	v_lshlrev_b32_e32 v1, 3, v1
	s_delay_alu instid0(VALU_DEP_1)
	v_mov_b32_e32 v5, v1
	scratch_load_b64 v[1:2], v5, off offset:-8
	scratch_load_b64 v[3:4], off, off offset:232
	s_wait_loadcnt 0x1
	scratch_store_b64 off, v[1:2], off offset:232
	s_wait_loadcnt 0x0
	scratch_store_b64 v5, v[3:4], off offset:-8
.LBB101_258:
	global_load_b32 v0, v0, s[2:3] offset:112
	s_wait_loadcnt 0x0
	v_cmp_eq_u32_e32 vcc_lo, 29, v0
	s_cbranch_vccnz .LBB101_260
; %bb.259:
	v_lshlrev_b32_e32 v0, 3, v0
	s_delay_alu instid0(VALU_DEP_1)
	v_mov_b32_e32 v4, v0
	scratch_load_b64 v[0:1], v4, off offset:-8
	scratch_load_b64 v[2:3], off, off offset:224
	s_wait_loadcnt 0x1
	scratch_store_b64 off, v[0:1], off offset:224
	s_wait_loadcnt 0x0
	scratch_store_b64 v4, v[2:3], off offset:-8
.LBB101_260:
	v_mov_b32_e32 v0, 0
	global_load_b32 v1, v0, s[2:3] offset:108
	s_wait_loadcnt 0x0
	v_cmp_eq_u32_e32 vcc_lo, 28, v1
	s_cbranch_vccnz .LBB101_262
; %bb.261:
	v_lshlrev_b32_e32 v1, 3, v1
	s_delay_alu instid0(VALU_DEP_1)
	v_mov_b32_e32 v5, v1
	scratch_load_b64 v[1:2], v5, off offset:-8
	scratch_load_b64 v[3:4], off, off offset:216
	s_wait_loadcnt 0x1
	scratch_store_b64 off, v[1:2], off offset:216
	s_wait_loadcnt 0x0
	scratch_store_b64 v5, v[3:4], off offset:-8
.LBB101_262:
	global_load_b32 v0, v0, s[2:3] offset:104
	s_wait_loadcnt 0x0
	v_cmp_eq_u32_e32 vcc_lo, 27, v0
	s_cbranch_vccnz .LBB101_264
; %bb.263:
	v_lshlrev_b32_e32 v0, 3, v0
	s_delay_alu instid0(VALU_DEP_1)
	v_mov_b32_e32 v4, v0
	scratch_load_b64 v[0:1], v4, off offset:-8
	scratch_load_b64 v[2:3], off, off offset:208
	s_wait_loadcnt 0x1
	scratch_store_b64 off, v[0:1], off offset:208
	s_wait_loadcnt 0x0
	scratch_store_b64 v4, v[2:3], off offset:-8
.LBB101_264:
	v_mov_b32_e32 v0, 0
	global_load_b32 v1, v0, s[2:3] offset:100
	s_wait_loadcnt 0x0
	v_cmp_eq_u32_e32 vcc_lo, 26, v1
	s_cbranch_vccnz .LBB101_266
; %bb.265:
	v_lshlrev_b32_e32 v1, 3, v1
	s_delay_alu instid0(VALU_DEP_1)
	v_mov_b32_e32 v5, v1
	scratch_load_b64 v[1:2], v5, off offset:-8
	scratch_load_b64 v[3:4], off, off offset:200
	s_wait_loadcnt 0x1
	scratch_store_b64 off, v[1:2], off offset:200
	s_wait_loadcnt 0x0
	scratch_store_b64 v5, v[3:4], off offset:-8
.LBB101_266:
	global_load_b32 v0, v0, s[2:3] offset:96
	s_wait_loadcnt 0x0
	v_cmp_eq_u32_e32 vcc_lo, 25, v0
	s_cbranch_vccnz .LBB101_268
; %bb.267:
	v_lshlrev_b32_e32 v0, 3, v0
	s_delay_alu instid0(VALU_DEP_1)
	v_mov_b32_e32 v4, v0
	scratch_load_b64 v[0:1], v4, off offset:-8
	scratch_load_b64 v[2:3], off, off offset:192
	s_wait_loadcnt 0x1
	scratch_store_b64 off, v[0:1], off offset:192
	s_wait_loadcnt 0x0
	scratch_store_b64 v4, v[2:3], off offset:-8
.LBB101_268:
	v_mov_b32_e32 v0, 0
	global_load_b32 v1, v0, s[2:3] offset:92
	s_wait_loadcnt 0x0
	v_cmp_eq_u32_e32 vcc_lo, 24, v1
	s_cbranch_vccnz .LBB101_270
; %bb.269:
	v_lshlrev_b32_e32 v1, 3, v1
	s_delay_alu instid0(VALU_DEP_1)
	v_mov_b32_e32 v5, v1
	scratch_load_b64 v[1:2], v5, off offset:-8
	scratch_load_b64 v[3:4], off, off offset:184
	s_wait_loadcnt 0x1
	scratch_store_b64 off, v[1:2], off offset:184
	s_wait_loadcnt 0x0
	scratch_store_b64 v5, v[3:4], off offset:-8
.LBB101_270:
	global_load_b32 v0, v0, s[2:3] offset:88
	s_wait_loadcnt 0x0
	v_cmp_eq_u32_e32 vcc_lo, 23, v0
	s_cbranch_vccnz .LBB101_272
; %bb.271:
	v_lshlrev_b32_e32 v0, 3, v0
	s_delay_alu instid0(VALU_DEP_1)
	v_mov_b32_e32 v4, v0
	scratch_load_b64 v[0:1], v4, off offset:-8
	scratch_load_b64 v[2:3], off, off offset:176
	s_wait_loadcnt 0x1
	scratch_store_b64 off, v[0:1], off offset:176
	s_wait_loadcnt 0x0
	scratch_store_b64 v4, v[2:3], off offset:-8
.LBB101_272:
	v_mov_b32_e32 v0, 0
	global_load_b32 v1, v0, s[2:3] offset:84
	s_wait_loadcnt 0x0
	v_cmp_eq_u32_e32 vcc_lo, 22, v1
	s_cbranch_vccnz .LBB101_274
; %bb.273:
	v_lshlrev_b32_e32 v1, 3, v1
	s_delay_alu instid0(VALU_DEP_1)
	v_mov_b32_e32 v5, v1
	scratch_load_b64 v[1:2], v5, off offset:-8
	scratch_load_b64 v[3:4], off, off offset:168
	s_wait_loadcnt 0x1
	scratch_store_b64 off, v[1:2], off offset:168
	s_wait_loadcnt 0x0
	scratch_store_b64 v5, v[3:4], off offset:-8
.LBB101_274:
	global_load_b32 v0, v0, s[2:3] offset:80
	s_wait_loadcnt 0x0
	v_cmp_eq_u32_e32 vcc_lo, 21, v0
	s_cbranch_vccnz .LBB101_276
; %bb.275:
	v_lshlrev_b32_e32 v0, 3, v0
	s_delay_alu instid0(VALU_DEP_1)
	v_mov_b32_e32 v4, v0
	scratch_load_b64 v[0:1], v4, off offset:-8
	scratch_load_b64 v[2:3], off, off offset:160
	s_wait_loadcnt 0x1
	scratch_store_b64 off, v[0:1], off offset:160
	s_wait_loadcnt 0x0
	scratch_store_b64 v4, v[2:3], off offset:-8
.LBB101_276:
	v_mov_b32_e32 v0, 0
	global_load_b32 v1, v0, s[2:3] offset:76
	s_wait_loadcnt 0x0
	v_cmp_eq_u32_e32 vcc_lo, 20, v1
	s_cbranch_vccnz .LBB101_278
; %bb.277:
	v_lshlrev_b32_e32 v1, 3, v1
	s_delay_alu instid0(VALU_DEP_1)
	v_mov_b32_e32 v5, v1
	scratch_load_b64 v[1:2], v5, off offset:-8
	scratch_load_b64 v[3:4], off, off offset:152
	s_wait_loadcnt 0x1
	scratch_store_b64 off, v[1:2], off offset:152
	s_wait_loadcnt 0x0
	scratch_store_b64 v5, v[3:4], off offset:-8
.LBB101_278:
	global_load_b32 v0, v0, s[2:3] offset:72
	s_wait_loadcnt 0x0
	v_cmp_eq_u32_e32 vcc_lo, 19, v0
	s_cbranch_vccnz .LBB101_280
; %bb.279:
	v_lshlrev_b32_e32 v0, 3, v0
	s_delay_alu instid0(VALU_DEP_1)
	v_mov_b32_e32 v4, v0
	scratch_load_b64 v[0:1], v4, off offset:-8
	scratch_load_b64 v[2:3], off, off offset:144
	s_wait_loadcnt 0x1
	scratch_store_b64 off, v[0:1], off offset:144
	s_wait_loadcnt 0x0
	scratch_store_b64 v4, v[2:3], off offset:-8
.LBB101_280:
	v_mov_b32_e32 v0, 0
	global_load_b32 v1, v0, s[2:3] offset:68
	s_wait_loadcnt 0x0
	v_cmp_eq_u32_e32 vcc_lo, 18, v1
	s_cbranch_vccnz .LBB101_282
; %bb.281:
	v_lshlrev_b32_e32 v1, 3, v1
	s_delay_alu instid0(VALU_DEP_1)
	v_mov_b32_e32 v5, v1
	scratch_load_b64 v[1:2], v5, off offset:-8
	scratch_load_b64 v[3:4], off, off offset:136
	s_wait_loadcnt 0x1
	scratch_store_b64 off, v[1:2], off offset:136
	s_wait_loadcnt 0x0
	scratch_store_b64 v5, v[3:4], off offset:-8
.LBB101_282:
	global_load_b32 v0, v0, s[2:3] offset:64
	s_wait_loadcnt 0x0
	v_cmp_eq_u32_e32 vcc_lo, 17, v0
	s_cbranch_vccnz .LBB101_284
; %bb.283:
	v_lshlrev_b32_e32 v0, 3, v0
	s_delay_alu instid0(VALU_DEP_1)
	v_mov_b32_e32 v4, v0
	scratch_load_b64 v[0:1], v4, off offset:-8
	scratch_load_b64 v[2:3], off, off offset:128
	s_wait_loadcnt 0x1
	scratch_store_b64 off, v[0:1], off offset:128
	s_wait_loadcnt 0x0
	scratch_store_b64 v4, v[2:3], off offset:-8
.LBB101_284:
	v_mov_b32_e32 v0, 0
	global_load_b32 v1, v0, s[2:3] offset:60
	s_wait_loadcnt 0x0
	v_cmp_eq_u32_e32 vcc_lo, 16, v1
	s_cbranch_vccnz .LBB101_286
; %bb.285:
	v_lshlrev_b32_e32 v1, 3, v1
	s_delay_alu instid0(VALU_DEP_1)
	v_mov_b32_e32 v5, v1
	scratch_load_b64 v[1:2], v5, off offset:-8
	scratch_load_b64 v[3:4], off, off offset:120
	s_wait_loadcnt 0x1
	scratch_store_b64 off, v[1:2], off offset:120
	s_wait_loadcnt 0x0
	scratch_store_b64 v5, v[3:4], off offset:-8
.LBB101_286:
	global_load_b32 v0, v0, s[2:3] offset:56
	s_wait_loadcnt 0x0
	v_cmp_eq_u32_e32 vcc_lo, 15, v0
	s_cbranch_vccnz .LBB101_288
; %bb.287:
	v_lshlrev_b32_e32 v0, 3, v0
	s_delay_alu instid0(VALU_DEP_1)
	v_mov_b32_e32 v4, v0
	scratch_load_b64 v[0:1], v4, off offset:-8
	scratch_load_b64 v[2:3], off, off offset:112
	s_wait_loadcnt 0x1
	scratch_store_b64 off, v[0:1], off offset:112
	s_wait_loadcnt 0x0
	scratch_store_b64 v4, v[2:3], off offset:-8
.LBB101_288:
	v_mov_b32_e32 v0, 0
	global_load_b32 v1, v0, s[2:3] offset:52
	s_wait_loadcnt 0x0
	v_cmp_eq_u32_e32 vcc_lo, 14, v1
	s_cbranch_vccnz .LBB101_290
; %bb.289:
	v_lshlrev_b32_e32 v1, 3, v1
	s_delay_alu instid0(VALU_DEP_1)
	v_mov_b32_e32 v5, v1
	scratch_load_b64 v[1:2], v5, off offset:-8
	scratch_load_b64 v[3:4], off, off offset:104
	s_wait_loadcnt 0x1
	scratch_store_b64 off, v[1:2], off offset:104
	s_wait_loadcnt 0x0
	scratch_store_b64 v5, v[3:4], off offset:-8
.LBB101_290:
	global_load_b32 v0, v0, s[2:3] offset:48
	s_wait_loadcnt 0x0
	v_cmp_eq_u32_e32 vcc_lo, 13, v0
	s_cbranch_vccnz .LBB101_292
; %bb.291:
	v_lshlrev_b32_e32 v0, 3, v0
	s_delay_alu instid0(VALU_DEP_1)
	v_mov_b32_e32 v4, v0
	scratch_load_b64 v[0:1], v4, off offset:-8
	scratch_load_b64 v[2:3], off, off offset:96
	s_wait_loadcnt 0x1
	scratch_store_b64 off, v[0:1], off offset:96
	s_wait_loadcnt 0x0
	scratch_store_b64 v4, v[2:3], off offset:-8
.LBB101_292:
	v_mov_b32_e32 v0, 0
	global_load_b32 v1, v0, s[2:3] offset:44
	s_wait_loadcnt 0x0
	v_cmp_eq_u32_e32 vcc_lo, 12, v1
	s_cbranch_vccnz .LBB101_294
; %bb.293:
	v_lshlrev_b32_e32 v1, 3, v1
	s_delay_alu instid0(VALU_DEP_1)
	v_mov_b32_e32 v5, v1
	scratch_load_b64 v[1:2], v5, off offset:-8
	scratch_load_b64 v[3:4], off, off offset:88
	s_wait_loadcnt 0x1
	scratch_store_b64 off, v[1:2], off offset:88
	s_wait_loadcnt 0x0
	scratch_store_b64 v5, v[3:4], off offset:-8
.LBB101_294:
	global_load_b32 v0, v0, s[2:3] offset:40
	s_wait_loadcnt 0x0
	v_cmp_eq_u32_e32 vcc_lo, 11, v0
	s_cbranch_vccnz .LBB101_296
; %bb.295:
	v_lshlrev_b32_e32 v0, 3, v0
	s_delay_alu instid0(VALU_DEP_1)
	v_mov_b32_e32 v4, v0
	scratch_load_b64 v[0:1], v4, off offset:-8
	scratch_load_b64 v[2:3], off, off offset:80
	s_wait_loadcnt 0x1
	scratch_store_b64 off, v[0:1], off offset:80
	s_wait_loadcnt 0x0
	scratch_store_b64 v4, v[2:3], off offset:-8
.LBB101_296:
	v_mov_b32_e32 v0, 0
	global_load_b32 v1, v0, s[2:3] offset:36
	s_wait_loadcnt 0x0
	v_cmp_eq_u32_e32 vcc_lo, 10, v1
	s_cbranch_vccnz .LBB101_298
; %bb.297:
	v_lshlrev_b32_e32 v1, 3, v1
	s_delay_alu instid0(VALU_DEP_1)
	v_mov_b32_e32 v5, v1
	scratch_load_b64 v[1:2], v5, off offset:-8
	scratch_load_b64 v[3:4], off, off offset:72
	s_wait_loadcnt 0x1
	scratch_store_b64 off, v[1:2], off offset:72
	s_wait_loadcnt 0x0
	scratch_store_b64 v5, v[3:4], off offset:-8
.LBB101_298:
	global_load_b32 v0, v0, s[2:3] offset:32
	s_wait_loadcnt 0x0
	v_cmp_eq_u32_e32 vcc_lo, 9, v0
	s_cbranch_vccnz .LBB101_300
; %bb.299:
	v_lshlrev_b32_e32 v0, 3, v0
	s_delay_alu instid0(VALU_DEP_1)
	v_mov_b32_e32 v4, v0
	scratch_load_b64 v[0:1], v4, off offset:-8
	scratch_load_b64 v[2:3], off, off offset:64
	s_wait_loadcnt 0x1
	scratch_store_b64 off, v[0:1], off offset:64
	s_wait_loadcnt 0x0
	scratch_store_b64 v4, v[2:3], off offset:-8
.LBB101_300:
	v_mov_b32_e32 v0, 0
	global_load_b32 v1, v0, s[2:3] offset:28
	s_wait_loadcnt 0x0
	v_cmp_eq_u32_e32 vcc_lo, 8, v1
	s_cbranch_vccnz .LBB101_302
; %bb.301:
	v_lshlrev_b32_e32 v1, 3, v1
	s_delay_alu instid0(VALU_DEP_1)
	v_mov_b32_e32 v5, v1
	scratch_load_b64 v[1:2], v5, off offset:-8
	scratch_load_b64 v[3:4], off, off offset:56
	s_wait_loadcnt 0x1
	scratch_store_b64 off, v[1:2], off offset:56
	s_wait_loadcnt 0x0
	scratch_store_b64 v5, v[3:4], off offset:-8
.LBB101_302:
	global_load_b32 v0, v0, s[2:3] offset:24
	s_wait_loadcnt 0x0
	v_cmp_eq_u32_e32 vcc_lo, 7, v0
	s_cbranch_vccnz .LBB101_304
; %bb.303:
	v_lshlrev_b32_e32 v0, 3, v0
	s_delay_alu instid0(VALU_DEP_1)
	v_mov_b32_e32 v4, v0
	scratch_load_b64 v[0:1], v4, off offset:-8
	scratch_load_b64 v[2:3], off, off offset:48
	s_wait_loadcnt 0x1
	scratch_store_b64 off, v[0:1], off offset:48
	s_wait_loadcnt 0x0
	scratch_store_b64 v4, v[2:3], off offset:-8
.LBB101_304:
	v_mov_b32_e32 v0, 0
	global_load_b32 v1, v0, s[2:3] offset:20
	s_wait_loadcnt 0x0
	v_cmp_eq_u32_e32 vcc_lo, 6, v1
	s_cbranch_vccnz .LBB101_306
; %bb.305:
	v_lshlrev_b32_e32 v1, 3, v1
	s_delay_alu instid0(VALU_DEP_1)
	v_mov_b32_e32 v5, v1
	scratch_load_b64 v[1:2], v5, off offset:-8
	scratch_load_b64 v[3:4], off, off offset:40
	s_wait_loadcnt 0x1
	scratch_store_b64 off, v[1:2], off offset:40
	s_wait_loadcnt 0x0
	scratch_store_b64 v5, v[3:4], off offset:-8
.LBB101_306:
	global_load_b32 v0, v0, s[2:3] offset:16
	s_wait_loadcnt 0x0
	v_cmp_eq_u32_e32 vcc_lo, 5, v0
	s_cbranch_vccnz .LBB101_308
; %bb.307:
	v_lshlrev_b32_e32 v0, 3, v0
	s_delay_alu instid0(VALU_DEP_1)
	v_mov_b32_e32 v4, v0
	scratch_load_b64 v[0:1], v4, off offset:-8
	scratch_load_b64 v[2:3], off, off offset:32
	s_wait_loadcnt 0x1
	scratch_store_b64 off, v[0:1], off offset:32
	s_wait_loadcnt 0x0
	scratch_store_b64 v4, v[2:3], off offset:-8
.LBB101_308:
	v_mov_b32_e32 v0, 0
	global_load_b32 v1, v0, s[2:3] offset:12
	s_wait_loadcnt 0x0
	v_cmp_eq_u32_e32 vcc_lo, 4, v1
	s_cbranch_vccnz .LBB101_310
; %bb.309:
	v_lshlrev_b32_e32 v1, 3, v1
	s_delay_alu instid0(VALU_DEP_1)
	v_mov_b32_e32 v5, v1
	scratch_load_b64 v[1:2], v5, off offset:-8
	scratch_load_b64 v[3:4], off, off offset:24
	s_wait_loadcnt 0x1
	scratch_store_b64 off, v[1:2], off offset:24
	s_wait_loadcnt 0x0
	scratch_store_b64 v5, v[3:4], off offset:-8
.LBB101_310:
	global_load_b32 v0, v0, s[2:3] offset:8
	s_wait_loadcnt 0x0
	v_cmp_eq_u32_e32 vcc_lo, 3, v0
	s_cbranch_vccnz .LBB101_312
; %bb.311:
	v_lshlrev_b32_e32 v0, 3, v0
	s_delay_alu instid0(VALU_DEP_1)
	v_mov_b32_e32 v4, v0
	scratch_load_b64 v[0:1], v4, off offset:-8
	scratch_load_b64 v[2:3], off, off offset:16
	s_wait_loadcnt 0x1
	scratch_store_b64 off, v[0:1], off offset:16
	s_wait_loadcnt 0x0
	scratch_store_b64 v4, v[2:3], off offset:-8
.LBB101_312:
	v_mov_b32_e32 v0, 0
	global_load_b32 v1, v0, s[2:3] offset:4
	s_wait_loadcnt 0x0
	v_cmp_eq_u32_e32 vcc_lo, 2, v1
	s_cbranch_vccnz .LBB101_314
; %bb.313:
	v_lshlrev_b32_e32 v1, 3, v1
	s_delay_alu instid0(VALU_DEP_1)
	v_mov_b32_e32 v5, v1
	scratch_load_b64 v[1:2], v5, off offset:-8
	scratch_load_b64 v[3:4], off, off offset:8
	s_wait_loadcnt 0x1
	scratch_store_b64 off, v[1:2], off offset:8
	s_wait_loadcnt 0x0
	scratch_store_b64 v5, v[3:4], off offset:-8
.LBB101_314:
	global_load_b32 v0, v0, s[2:3]
	s_wait_loadcnt 0x0
	v_cmp_eq_u32_e32 vcc_lo, 1, v0
	s_cbranch_vccnz .LBB101_316
; %bb.315:
	v_lshlrev_b32_e32 v0, 3, v0
	s_delay_alu instid0(VALU_DEP_1)
	v_mov_b32_e32 v4, v0
	scratch_load_b64 v[0:1], v4, off offset:-8
	scratch_load_b64 v[2:3], off, off
	s_wait_loadcnt 0x1
	scratch_store_b64 off, v[0:1], off
	s_wait_loadcnt 0x0
	scratch_store_b64 v4, v[2:3], off offset:-8
.LBB101_316:
	scratch_load_b64 v[0:1], off, off
	s_wait_loadcnt 0x0
	flat_store_b64 v[28:29], v[0:1]
	scratch_load_b64 v[0:1], off, off offset:8
	s_wait_loadcnt 0x0
	flat_store_b64 v[30:31], v[0:1]
	scratch_load_b64 v[0:1], off, off offset:16
	;; [unrolled: 3-line block ×37, first 2 shown]
	s_wait_loadcnt 0x0
	flat_store_b64 v[102:103], v[0:1]
	s_nop 0
	s_sendmsg sendmsg(MSG_DEALLOC_VGPRS)
	s_endpgm
	.section	.rodata,"a",@progbits
	.p2align	6, 0x0
	.amdhsa_kernel _ZN9rocsolver6v33100L18getri_kernel_smallILi38E19rocblas_complex_numIfEPKPS3_EEvT1_iilPiilS8_bb
		.amdhsa_group_segment_fixed_size 612
		.amdhsa_private_segment_fixed_size 320
		.amdhsa_kernarg_size 60
		.amdhsa_user_sgpr_count 2
		.amdhsa_user_sgpr_dispatch_ptr 0
		.amdhsa_user_sgpr_queue_ptr 0
		.amdhsa_user_sgpr_kernarg_segment_ptr 1
		.amdhsa_user_sgpr_dispatch_id 0
		.amdhsa_user_sgpr_private_segment_size 0
		.amdhsa_wavefront_size32 1
		.amdhsa_uses_dynamic_stack 0
		.amdhsa_enable_private_segment 1
		.amdhsa_system_sgpr_workgroup_id_x 1
		.amdhsa_system_sgpr_workgroup_id_y 0
		.amdhsa_system_sgpr_workgroup_id_z 0
		.amdhsa_system_sgpr_workgroup_info 0
		.amdhsa_system_vgpr_workitem_id 0
		.amdhsa_next_free_vgpr 250
		.amdhsa_next_free_sgpr 19
		.amdhsa_reserve_vcc 1
		.amdhsa_float_round_mode_32 0
		.amdhsa_float_round_mode_16_64 0
		.amdhsa_float_denorm_mode_32 3
		.amdhsa_float_denorm_mode_16_64 3
		.amdhsa_fp16_overflow 0
		.amdhsa_workgroup_processor_mode 1
		.amdhsa_memory_ordered 1
		.amdhsa_forward_progress 1
		.amdhsa_inst_pref_size 255
		.amdhsa_round_robin_scheduling 0
		.amdhsa_exception_fp_ieee_invalid_op 0
		.amdhsa_exception_fp_denorm_src 0
		.amdhsa_exception_fp_ieee_div_zero 0
		.amdhsa_exception_fp_ieee_overflow 0
		.amdhsa_exception_fp_ieee_underflow 0
		.amdhsa_exception_fp_ieee_inexact 0
		.amdhsa_exception_int_div_zero 0
	.end_amdhsa_kernel
	.section	.text._ZN9rocsolver6v33100L18getri_kernel_smallILi38E19rocblas_complex_numIfEPKPS3_EEvT1_iilPiilS8_bb,"axG",@progbits,_ZN9rocsolver6v33100L18getri_kernel_smallILi38E19rocblas_complex_numIfEPKPS3_EEvT1_iilPiilS8_bb,comdat
.Lfunc_end101:
	.size	_ZN9rocsolver6v33100L18getri_kernel_smallILi38E19rocblas_complex_numIfEPKPS3_EEvT1_iilPiilS8_bb, .Lfunc_end101-_ZN9rocsolver6v33100L18getri_kernel_smallILi38E19rocblas_complex_numIfEPKPS3_EEvT1_iilPiilS8_bb
                                        ; -- End function
	.set _ZN9rocsolver6v33100L18getri_kernel_smallILi38E19rocblas_complex_numIfEPKPS3_EEvT1_iilPiilS8_bb.num_vgpr, 250
	.set _ZN9rocsolver6v33100L18getri_kernel_smallILi38E19rocblas_complex_numIfEPKPS3_EEvT1_iilPiilS8_bb.num_agpr, 0
	.set _ZN9rocsolver6v33100L18getri_kernel_smallILi38E19rocblas_complex_numIfEPKPS3_EEvT1_iilPiilS8_bb.numbered_sgpr, 19
	.set _ZN9rocsolver6v33100L18getri_kernel_smallILi38E19rocblas_complex_numIfEPKPS3_EEvT1_iilPiilS8_bb.num_named_barrier, 0
	.set _ZN9rocsolver6v33100L18getri_kernel_smallILi38E19rocblas_complex_numIfEPKPS3_EEvT1_iilPiilS8_bb.private_seg_size, 320
	.set _ZN9rocsolver6v33100L18getri_kernel_smallILi38E19rocblas_complex_numIfEPKPS3_EEvT1_iilPiilS8_bb.uses_vcc, 1
	.set _ZN9rocsolver6v33100L18getri_kernel_smallILi38E19rocblas_complex_numIfEPKPS3_EEvT1_iilPiilS8_bb.uses_flat_scratch, 1
	.set _ZN9rocsolver6v33100L18getri_kernel_smallILi38E19rocblas_complex_numIfEPKPS3_EEvT1_iilPiilS8_bb.has_dyn_sized_stack, 0
	.set _ZN9rocsolver6v33100L18getri_kernel_smallILi38E19rocblas_complex_numIfEPKPS3_EEvT1_iilPiilS8_bb.has_recursion, 0
	.set _ZN9rocsolver6v33100L18getri_kernel_smallILi38E19rocblas_complex_numIfEPKPS3_EEvT1_iilPiilS8_bb.has_indirect_call, 0
	.section	.AMDGPU.csdata,"",@progbits
; Kernel info:
; codeLenInByte = 54100
; TotalNumSgprs: 21
; NumVgprs: 250
; ScratchSize: 320
; MemoryBound: 0
; FloatMode: 240
; IeeeMode: 1
; LDSByteSize: 612 bytes/workgroup (compile time only)
; SGPRBlocks: 0
; VGPRBlocks: 31
; NumSGPRsForWavesPerEU: 21
; NumVGPRsForWavesPerEU: 250
; Occupancy: 5
; WaveLimiterHint : 1
; COMPUTE_PGM_RSRC2:SCRATCH_EN: 1
; COMPUTE_PGM_RSRC2:USER_SGPR: 2
; COMPUTE_PGM_RSRC2:TRAP_HANDLER: 0
; COMPUTE_PGM_RSRC2:TGID_X_EN: 1
; COMPUTE_PGM_RSRC2:TGID_Y_EN: 0
; COMPUTE_PGM_RSRC2:TGID_Z_EN: 0
; COMPUTE_PGM_RSRC2:TIDIG_COMP_CNT: 0
	.section	.text._ZN9rocsolver6v33100L18getri_kernel_smallILi39E19rocblas_complex_numIfEPKPS3_EEvT1_iilPiilS8_bb,"axG",@progbits,_ZN9rocsolver6v33100L18getri_kernel_smallILi39E19rocblas_complex_numIfEPKPS3_EEvT1_iilPiilS8_bb,comdat
	.globl	_ZN9rocsolver6v33100L18getri_kernel_smallILi39E19rocblas_complex_numIfEPKPS3_EEvT1_iilPiilS8_bb ; -- Begin function _ZN9rocsolver6v33100L18getri_kernel_smallILi39E19rocblas_complex_numIfEPKPS3_EEvT1_iilPiilS8_bb
	.p2align	8
	.type	_ZN9rocsolver6v33100L18getri_kernel_smallILi39E19rocblas_complex_numIfEPKPS3_EEvT1_iilPiilS8_bb,@function
_ZN9rocsolver6v33100L18getri_kernel_smallILi39E19rocblas_complex_numIfEPKPS3_EEvT1_iilPiilS8_bb: ; @_ZN9rocsolver6v33100L18getri_kernel_smallILi39E19rocblas_complex_numIfEPKPS3_EEvT1_iilPiilS8_bb
; %bb.0:
	s_mov_b32 s2, exec_lo
	v_cmpx_gt_u32_e32 39, v0
	s_cbranch_execz .LBB102_170
; %bb.1:
	s_clause 0x1
	s_load_b32 s13, s[0:1], 0x38
	s_load_b64 s[2:3], s[0:1], 0x0
	s_mov_b32 s8, ttmp9
	s_load_b128 s[4:7], s[0:1], 0x28
	s_wait_kmcnt 0x0
	s_bitcmp1_b32 s13, 8
	s_cselect_b32 s12, -1, 0
	s_ashr_i32 s9, ttmp9, 31
	s_delay_alu instid0(SALU_CYCLE_1) | instskip(NEXT) | instid1(SALU_CYCLE_1)
	s_lshl_b64 s[10:11], s[8:9], 3
	s_add_nc_u64 s[2:3], s[2:3], s[10:11]
	s_load_b64 s[10:11], s[2:3], 0x0
	s_bfe_u32 s2, s13, 0x10008
	s_delay_alu instid0(SALU_CYCLE_1)
	s_cmp_eq_u32 s2, 0
                                        ; implicit-def: $sgpr2_sgpr3
	s_cbranch_scc1 .LBB102_3
; %bb.2:
	s_load_b96 s[16:18], s[0:1], 0x18
	s_mul_u64 s[2:3], s[4:5], s[8:9]
	s_delay_alu instid0(SALU_CYCLE_1)
	s_lshl_b64 s[2:3], s[2:3], 2
	s_wait_kmcnt 0x0
	s_ashr_i32 s5, s18, 31
	s_mov_b32 s4, s18
	s_add_nc_u64 s[2:3], s[16:17], s[2:3]
	s_lshl_b64 s[4:5], s[4:5], 2
	s_delay_alu instid0(SALU_CYCLE_1)
	s_add_nc_u64 s[2:3], s[2:3], s[4:5]
.LBB102_3:
	s_clause 0x1
	s_load_b64 s[4:5], s[0:1], 0x8
	s_load_b32 s13, s[0:1], 0x38
	v_lshlrev_b32_e32 v7, 3, v0
	s_wait_kmcnt 0x0
	s_ashr_i32 s1, s4, 31
	s_mov_b32 s0, s4
	v_add3_u32 v3, s5, s5, v0
	s_lshl_b64 s[0:1], s[0:1], 3
	s_delay_alu instid0(SALU_CYCLE_1)
	s_add_nc_u64 s[0:1], s[10:11], s[0:1]
	s_ashr_i32 s11, s5, 31
	v_add_co_u32 v24, s4, s0, v7
	s_wait_alu 0xf1ff
	v_add_co_ci_u32_e64 v25, null, s1, 0, s4
	s_mov_b32 s10, s5
	v_ashrrev_i32_e32 v4, 31, v3
	s_lshl_b64 s[10:11], s[10:11], 3
	flat_load_b64 v[1:2], v[24:25]
	v_add_co_u32 v26, vcc_lo, v24, s10
	s_delay_alu instid0(VALU_DEP_1) | instskip(SKIP_3) | instid1(VALU_DEP_2)
	v_add_co_ci_u32_e64 v27, null, s11, v25, vcc_lo
	v_lshlrev_b64_e32 v[4:5], 3, v[3:4]
	v_add_nc_u32_e32 v3, s5, v3
	s_bitcmp0_b32 s13, 0
	v_add_co_u32 v28, vcc_lo, s0, v4
	s_wait_alu 0xfffd
	s_delay_alu instid0(VALU_DEP_3) | instskip(SKIP_1) | instid1(VALU_DEP_1)
	v_add_co_ci_u32_e64 v29, null, s1, v5, vcc_lo
	v_ashrrev_i32_e32 v4, 31, v3
	v_lshlrev_b64_e32 v[4:5], 3, v[3:4]
	v_add_nc_u32_e32 v3, s5, v3
	s_delay_alu instid0(VALU_DEP_2) | instskip(SKIP_1) | instid1(VALU_DEP_3)
	v_add_co_u32 v30, vcc_lo, s0, v4
	s_wait_alu 0xfffd
	v_add_co_ci_u32_e64 v31, null, s1, v5, vcc_lo
	s_delay_alu instid0(VALU_DEP_3) | instskip(NEXT) | instid1(VALU_DEP_1)
	v_ashrrev_i32_e32 v4, 31, v3
	v_lshlrev_b64_e32 v[4:5], 3, v[3:4]
	v_add_nc_u32_e32 v3, s5, v3
	s_delay_alu instid0(VALU_DEP_2) | instskip(SKIP_1) | instid1(VALU_DEP_3)
	v_add_co_u32 v32, vcc_lo, s0, v4
	s_wait_alu 0xfffd
	v_add_co_ci_u32_e64 v33, null, s1, v5, vcc_lo
	s_delay_alu instid0(VALU_DEP_3) | instskip(NEXT) | instid1(VALU_DEP_1)
	;; [unrolled: 8-line block ×20, first 2 shown]
	v_ashrrev_i32_e32 v4, 31, v3
	v_lshlrev_b64_e32 v[4:5], 3, v[3:4]
	s_wait_loadcnt_dscnt 0x0
	scratch_store_b64 off, v[1:2], off
	flat_load_b64 v[1:2], v[26:27]
	v_add_nc_u32_e32 v3, s5, v3
	v_add_co_u32 v70, vcc_lo, s0, v4
	s_wait_alu 0xfffd
	v_add_co_ci_u32_e64 v71, null, s1, v5, vcc_lo
	s_delay_alu instid0(VALU_DEP_3) | instskip(NEXT) | instid1(VALU_DEP_1)
	v_ashrrev_i32_e32 v4, 31, v3
	v_lshlrev_b64_e32 v[4:5], 3, v[3:4]
	v_add_nc_u32_e32 v3, s5, v3
	s_delay_alu instid0(VALU_DEP_2) | instskip(SKIP_1) | instid1(VALU_DEP_3)
	v_add_co_u32 v72, vcc_lo, s0, v4
	s_wait_alu 0xfffd
	v_add_co_ci_u32_e64 v73, null, s1, v5, vcc_lo
	s_delay_alu instid0(VALU_DEP_3) | instskip(NEXT) | instid1(VALU_DEP_1)
	v_ashrrev_i32_e32 v4, 31, v3
	v_lshlrev_b64_e32 v[4:5], 3, v[3:4]
	v_add_nc_u32_e32 v3, s5, v3
	s_delay_alu instid0(VALU_DEP_2) | instskip(SKIP_1) | instid1(VALU_DEP_3)
	;; [unrolled: 8-line block ×14, first 2 shown]
	v_add_co_u32 v98, vcc_lo, s0, v4
	s_wait_alu 0xfffd
	v_add_co_ci_u32_e64 v99, null, s1, v5, vcc_lo
	s_delay_alu instid0(VALU_DEP_3) | instskip(NEXT) | instid1(VALU_DEP_1)
	v_ashrrev_i32_e32 v4, 31, v3
	v_lshlrev_b64_e32 v[3:4], 3, v[3:4]
	s_delay_alu instid0(VALU_DEP_1) | instskip(SKIP_1) | instid1(VALU_DEP_2)
	v_add_co_u32 v100, vcc_lo, s0, v3
	s_wait_alu 0xfffd
	v_add_co_ci_u32_e64 v101, null, s1, v4, vcc_lo
	s_mov_b32 s1, -1
	s_wait_loadcnt_dscnt 0x0
	scratch_store_b64 off, v[1:2], off offset:8
	flat_load_b64 v[1:2], v[28:29]
	s_wait_loadcnt_dscnt 0x0
	scratch_store_b64 off, v[1:2], off offset:16
	flat_load_b64 v[1:2], v[30:31]
	;; [unrolled: 3-line block ×37, first 2 shown]
	s_wait_loadcnt_dscnt 0x0
	scratch_store_b64 off, v[1:2], off offset:304
	s_cbranch_scc1 .LBB102_168
; %bb.4:
	v_cmp_eq_u32_e64 s0, 0, v0
	s_and_saveexec_b32 s1, s0
; %bb.5:
	v_mov_b32_e32 v1, 0
	ds_store_b32 v1, v1 offset:312
; %bb.6:
	s_wait_alu 0xfffe
	s_or_b32 exec_lo, exec_lo, s1
	s_wait_storecnt_dscnt 0x0
	s_barrier_signal -1
	s_barrier_wait -1
	global_inv scope:SCOPE_SE
	scratch_load_b64 v[1:2], v7, off
	s_wait_loadcnt 0x0
	v_cmp_eq_f32_e32 vcc_lo, 0, v1
	v_cmp_eq_f32_e64 s1, 0, v2
	s_and_b32 s1, vcc_lo, s1
	s_wait_alu 0xfffe
	s_and_saveexec_b32 s4, s1
	s_cbranch_execz .LBB102_10
; %bb.7:
	v_mov_b32_e32 v1, 0
	s_mov_b32 s5, 0
	ds_load_b32 v2, v1 offset:312
	s_wait_dscnt 0x0
	v_readfirstlane_b32 s1, v2
	v_add_nc_u32_e32 v2, 1, v0
	s_cmp_eq_u32 s1, 0
	s_delay_alu instid0(VALU_DEP_1)
	v_cmp_gt_i32_e32 vcc_lo, s1, v2
	s_cselect_b32 s10, -1, 0
	s_wait_alu 0xfffe
	s_or_b32 s10, s10, vcc_lo
	s_wait_alu 0xfffe
	s_and_b32 exec_lo, exec_lo, s10
	s_cbranch_execz .LBB102_10
; %bb.8:
	v_mov_b32_e32 v3, s1
.LBB102_9:                              ; =>This Inner Loop Header: Depth=1
	ds_cmpstore_rtn_b32 v3, v1, v2, v3 offset:312
	s_wait_dscnt 0x0
	v_cmp_ne_u32_e32 vcc_lo, 0, v3
	v_cmp_le_i32_e64 s1, v3, v2
	s_and_b32 s1, vcc_lo, s1
	s_wait_alu 0xfffe
	s_and_b32 s1, exec_lo, s1
	s_wait_alu 0xfffe
	s_or_b32 s5, s1, s5
	s_wait_alu 0xfffe
	s_and_not1_b32 exec_lo, exec_lo, s5
	s_cbranch_execnz .LBB102_9
.LBB102_10:
	s_wait_alu 0xfffe
	s_or_b32 exec_lo, exec_lo, s4
	v_mov_b32_e32 v1, 0
	s_barrier_signal -1
	s_barrier_wait -1
	global_inv scope:SCOPE_SE
	ds_load_b32 v2, v1 offset:312
	s_and_saveexec_b32 s1, s0
	s_cbranch_execz .LBB102_12
; %bb.11:
	s_lshl_b64 s[4:5], s[8:9], 2
	s_wait_alu 0xfffe
	s_add_nc_u64 s[4:5], s[6:7], s[4:5]
	s_wait_dscnt 0x0
	global_store_b32 v1, v2, s[4:5]
.LBB102_12:
	s_wait_alu 0xfffe
	s_or_b32 exec_lo, exec_lo, s1
	s_wait_dscnt 0x0
	v_cmp_ne_u32_e32 vcc_lo, 0, v2
	s_mov_b32 s1, 0
	s_cbranch_vccnz .LBB102_168
; %bb.13:
	v_mov_b32_e32 v8, v7
                                        ; implicit-def: $vgpr3
                                        ; implicit-def: $vgpr5
	scratch_load_b64 v[1:2], v8, off
	s_wait_loadcnt 0x0
	v_cmp_ngt_f32_e64 s1, |v1|, |v2|
	s_wait_alu 0xfffe
	s_and_saveexec_b32 s4, s1
	s_wait_alu 0xfffe
	s_xor_b32 s1, exec_lo, s4
	s_cbranch_execz .LBB102_15
; %bb.14:
	v_div_scale_f32 v3, null, v2, v2, v1
	v_div_scale_f32 v6, vcc_lo, v1, v2, v1
	s_delay_alu instid0(VALU_DEP_2) | instskip(NEXT) | instid1(TRANS32_DEP_1)
	v_rcp_f32_e32 v4, v3
	v_fma_f32 v5, -v3, v4, 1.0
	s_delay_alu instid0(VALU_DEP_1) | instskip(NEXT) | instid1(VALU_DEP_1)
	v_fmac_f32_e32 v4, v5, v4
	v_mul_f32_e32 v5, v6, v4
	s_delay_alu instid0(VALU_DEP_1) | instskip(NEXT) | instid1(VALU_DEP_1)
	v_fma_f32 v9, -v3, v5, v6
	v_fmac_f32_e32 v5, v9, v4
	s_delay_alu instid0(VALU_DEP_1) | instskip(SKIP_1) | instid1(VALU_DEP_1)
	v_fma_f32 v3, -v3, v5, v6
	s_wait_alu 0xfffd
	v_div_fmas_f32 v3, v3, v4, v5
	s_delay_alu instid0(VALU_DEP_1) | instskip(NEXT) | instid1(VALU_DEP_1)
	v_div_fixup_f32 v3, v3, v2, v1
	v_fmac_f32_e32 v2, v1, v3
	s_delay_alu instid0(VALU_DEP_1) | instskip(NEXT) | instid1(VALU_DEP_1)
	v_div_scale_f32 v1, null, v2, v2, 1.0
	v_rcp_f32_e32 v4, v1
	s_delay_alu instid0(TRANS32_DEP_1) | instskip(NEXT) | instid1(VALU_DEP_1)
	v_fma_f32 v5, -v1, v4, 1.0
	v_fmac_f32_e32 v4, v5, v4
	v_div_scale_f32 v5, vcc_lo, 1.0, v2, 1.0
	s_delay_alu instid0(VALU_DEP_1) | instskip(NEXT) | instid1(VALU_DEP_1)
	v_mul_f32_e32 v6, v5, v4
	v_fma_f32 v9, -v1, v6, v5
	s_delay_alu instid0(VALU_DEP_1) | instskip(NEXT) | instid1(VALU_DEP_1)
	v_fmac_f32_e32 v6, v9, v4
	v_fma_f32 v1, -v1, v6, v5
	s_wait_alu 0xfffd
	s_delay_alu instid0(VALU_DEP_1) | instskip(NEXT) | instid1(VALU_DEP_1)
	v_div_fmas_f32 v1, v1, v4, v6
	v_div_fixup_f32 v1, v1, v2, 1.0
	s_delay_alu instid0(VALU_DEP_1) | instskip(SKIP_1) | instid1(VALU_DEP_2)
	v_mul_f32_e32 v3, v3, v1
	v_xor_b32_e32 v4, 0x80000000, v1
                                        ; implicit-def: $vgpr1_vgpr2
	v_xor_b32_e32 v5, 0x80000000, v3
.LBB102_15:
	s_wait_alu 0xfffe
	s_and_not1_saveexec_b32 s1, s1
	s_cbranch_execz .LBB102_17
; %bb.16:
	v_div_scale_f32 v3, null, v1, v1, v2
	v_div_scale_f32 v6, vcc_lo, v2, v1, v2
	s_delay_alu instid0(VALU_DEP_2) | instskip(NEXT) | instid1(TRANS32_DEP_1)
	v_rcp_f32_e32 v4, v3
	v_fma_f32 v5, -v3, v4, 1.0
	s_delay_alu instid0(VALU_DEP_1) | instskip(NEXT) | instid1(VALU_DEP_1)
	v_fmac_f32_e32 v4, v5, v4
	v_mul_f32_e32 v5, v6, v4
	s_delay_alu instid0(VALU_DEP_1) | instskip(NEXT) | instid1(VALU_DEP_1)
	v_fma_f32 v9, -v3, v5, v6
	v_fmac_f32_e32 v5, v9, v4
	s_delay_alu instid0(VALU_DEP_1) | instskip(SKIP_1) | instid1(VALU_DEP_1)
	v_fma_f32 v3, -v3, v5, v6
	s_wait_alu 0xfffd
	v_div_fmas_f32 v3, v3, v4, v5
	s_delay_alu instid0(VALU_DEP_1) | instskip(NEXT) | instid1(VALU_DEP_1)
	v_div_fixup_f32 v4, v3, v1, v2
	v_fmac_f32_e32 v1, v2, v4
	s_delay_alu instid0(VALU_DEP_1) | instskip(SKIP_1) | instid1(VALU_DEP_2)
	v_div_scale_f32 v2, null, v1, v1, 1.0
	v_div_scale_f32 v6, vcc_lo, 1.0, v1, 1.0
	v_rcp_f32_e32 v3, v2
	s_delay_alu instid0(TRANS32_DEP_1) | instskip(NEXT) | instid1(VALU_DEP_1)
	v_fma_f32 v5, -v2, v3, 1.0
	v_fmac_f32_e32 v3, v5, v3
	s_delay_alu instid0(VALU_DEP_1) | instskip(NEXT) | instid1(VALU_DEP_1)
	v_mul_f32_e32 v5, v6, v3
	v_fma_f32 v9, -v2, v5, v6
	s_delay_alu instid0(VALU_DEP_1) | instskip(NEXT) | instid1(VALU_DEP_1)
	v_fmac_f32_e32 v5, v9, v3
	v_fma_f32 v2, -v2, v5, v6
	s_wait_alu 0xfffd
	s_delay_alu instid0(VALU_DEP_1) | instskip(NEXT) | instid1(VALU_DEP_1)
	v_div_fmas_f32 v2, v2, v3, v5
	v_div_fixup_f32 v3, v2, v1, 1.0
	s_delay_alu instid0(VALU_DEP_1)
	v_xor_b32_e32 v5, 0x80000000, v3
	v_mul_f32_e64 v4, v4, -v3
.LBB102_17:
	s_wait_alu 0xfffe
	s_or_b32 exec_lo, exec_lo, s1
	scratch_store_b64 v8, v[3:4], off
	scratch_load_b64 v[2:3], off, off offset:8
	v_xor_b32_e32 v6, 0x80000000, v4
	v_add_nc_u32_e32 v1, 0x140, v7
	s_wait_loadcnt 0x0
	ds_store_2addr_b64 v7, v[5:6], v[2:3] offset1:40
	s_wait_storecnt_dscnt 0x0
	s_barrier_signal -1
	s_barrier_wait -1
	global_inv scope:SCOPE_SE
	s_and_saveexec_b32 s1, s0
	s_cbranch_execz .LBB102_19
; %bb.18:
	scratch_load_b64 v[2:3], v8, off
	ds_load_b64 v[4:5], v1
	v_mov_b32_e32 v6, 0
	ds_load_b64 v[9:10], v6 offset:8
	s_wait_loadcnt_dscnt 0x1
	v_mul_f32_e32 v6, v4, v3
	v_mul_f32_e32 v3, v5, v3
	s_delay_alu instid0(VALU_DEP_2) | instskip(NEXT) | instid1(VALU_DEP_2)
	v_fmac_f32_e32 v6, v5, v2
	v_fma_f32 v2, v4, v2, -v3
	s_delay_alu instid0(VALU_DEP_2) | instskip(NEXT) | instid1(VALU_DEP_2)
	v_add_f32_e32 v4, 0, v6
	v_add_f32_e32 v2, 0, v2
	s_wait_dscnt 0x0
	s_delay_alu instid0(VALU_DEP_2) | instskip(NEXT) | instid1(VALU_DEP_2)
	v_mul_f32_e32 v5, v4, v10
	v_mul_f32_e32 v3, v2, v10
	s_delay_alu instid0(VALU_DEP_2) | instskip(NEXT) | instid1(VALU_DEP_2)
	v_fma_f32 v2, v2, v9, -v5
	v_fmac_f32_e32 v3, v4, v9
	scratch_store_b64 off, v[2:3], off offset:8
.LBB102_19:
	s_wait_alu 0xfffe
	s_or_b32 exec_lo, exec_lo, s1
	s_wait_loadcnt 0x0
	s_wait_storecnt 0x0
	s_barrier_signal -1
	s_barrier_wait -1
	global_inv scope:SCOPE_SE
	scratch_load_b64 v[2:3], off, off offset:16
	s_mov_b32 s1, exec_lo
	s_wait_loadcnt 0x0
	ds_store_b64 v1, v[2:3]
	s_wait_dscnt 0x0
	s_barrier_signal -1
	s_barrier_wait -1
	global_inv scope:SCOPE_SE
	v_cmpx_gt_u32_e32 2, v0
	s_cbranch_execz .LBB102_23
; %bb.20:
	scratch_load_b64 v[2:3], v8, off
	ds_load_b64 v[4:5], v1
	s_wait_loadcnt_dscnt 0x0
	v_mul_f32_e32 v6, v5, v3
	v_mul_f32_e32 v9, v4, v3
	s_delay_alu instid0(VALU_DEP_2) | instskip(NEXT) | instid1(VALU_DEP_2)
	v_fma_f32 v3, v4, v2, -v6
	v_fmac_f32_e32 v9, v5, v2
	s_delay_alu instid0(VALU_DEP_1)
	v_dual_add_f32 v3, 0, v3 :: v_dual_add_f32 v2, 0, v9
	s_and_saveexec_b32 s4, s0
	s_cbranch_execz .LBB102_22
; %bb.21:
	scratch_load_b64 v[4:5], off, off offset:8
	v_mov_b32_e32 v6, 0
	ds_load_b64 v[9:10], v6 offset:328
	s_wait_loadcnt_dscnt 0x0
	v_mul_f32_e32 v6, v9, v5
	v_mul_f32_e32 v5, v10, v5
	s_delay_alu instid0(VALU_DEP_2) | instskip(NEXT) | instid1(VALU_DEP_2)
	v_fmac_f32_e32 v6, v10, v4
	v_fma_f32 v4, v9, v4, -v5
	s_delay_alu instid0(VALU_DEP_1)
	v_dual_add_f32 v2, v2, v6 :: v_dual_add_f32 v3, v3, v4
.LBB102_22:
	s_wait_alu 0xfffe
	s_or_b32 exec_lo, exec_lo, s4
	v_mov_b32_e32 v4, 0
	ds_load_b64 v[4:5], v4 offset:16
	s_wait_dscnt 0x0
	v_mul_f32_e32 v9, v2, v5
	v_mul_f32_e32 v6, v3, v5
	s_delay_alu instid0(VALU_DEP_2) | instskip(NEXT) | instid1(VALU_DEP_2)
	v_fma_f32 v5, v3, v4, -v9
	v_fmac_f32_e32 v6, v2, v4
	scratch_store_b64 off, v[5:6], off offset:16
.LBB102_23:
	s_wait_alu 0xfffe
	s_or_b32 exec_lo, exec_lo, s1
	s_wait_loadcnt 0x0
	s_wait_storecnt 0x0
	s_barrier_signal -1
	s_barrier_wait -1
	global_inv scope:SCOPE_SE
	scratch_load_b64 v[3:4], off, off offset:24
	v_add_nc_u32_e32 v2, -1, v0
	s_mov_b32 s0, exec_lo
	s_wait_loadcnt 0x0
	ds_store_b64 v1, v[3:4]
	s_wait_dscnt 0x0
	s_barrier_signal -1
	s_barrier_wait -1
	global_inv scope:SCOPE_SE
	v_cmpx_gt_u32_e32 3, v0
	s_cbranch_execz .LBB102_27
; %bb.24:
	v_dual_mov_b32 v3, 0 :: v_dual_add_nc_u32 v4, -1, v0
	v_dual_mov_b32 v6, v7 :: v_dual_add_nc_u32 v5, 0x140, v7
	v_mov_b32_e32 v9, 0
	s_mov_b32 s1, 0
.LBB102_25:                             ; =>This Inner Loop Header: Depth=1
	scratch_load_b64 v[10:11], v6, off
	ds_load_b64 v[12:13], v5
	v_add_nc_u32_e32 v4, 1, v4
	v_add_nc_u32_e32 v5, 8, v5
	s_delay_alu instid0(VALU_DEP_2)
	v_cmp_lt_u32_e32 vcc_lo, 1, v4
	s_wait_alu 0xfffe
	s_or_b32 s1, vcc_lo, s1
	s_wait_loadcnt_dscnt 0x0
	v_mul_f32_e32 v14, v13, v11
	v_mul_f32_e32 v11, v12, v11
	s_delay_alu instid0(VALU_DEP_2) | instskip(NEXT) | instid1(VALU_DEP_2)
	v_fma_f32 v12, v12, v10, -v14
	v_fmac_f32_e32 v11, v13, v10
	s_delay_alu instid0(VALU_DEP_2) | instskip(NEXT) | instid1(VALU_DEP_2)
	v_dual_add_f32 v9, v9, v12 :: v_dual_add_nc_u32 v6, 8, v6
	v_add_f32_e32 v3, v3, v11
	s_wait_alu 0xfffe
	s_and_not1_b32 exec_lo, exec_lo, s1
	s_cbranch_execnz .LBB102_25
; %bb.26:
	s_or_b32 exec_lo, exec_lo, s1
	v_mov_b32_e32 v4, 0
	ds_load_b64 v[4:5], v4 offset:24
	s_wait_dscnt 0x0
	v_mul_f32_e32 v10, v3, v5
	v_mul_f32_e32 v6, v9, v5
	s_delay_alu instid0(VALU_DEP_2) | instskip(NEXT) | instid1(VALU_DEP_2)
	v_fma_f32 v5, v9, v4, -v10
	v_fmac_f32_e32 v6, v3, v4
	scratch_store_b64 off, v[5:6], off offset:24
.LBB102_27:
	s_wait_alu 0xfffe
	s_or_b32 exec_lo, exec_lo, s0
	s_wait_loadcnt 0x0
	s_wait_storecnt 0x0
	s_barrier_signal -1
	s_barrier_wait -1
	global_inv scope:SCOPE_SE
	scratch_load_b64 v[3:4], off, off offset:32
	s_mov_b32 s0, exec_lo
	s_wait_loadcnt 0x0
	ds_store_b64 v1, v[3:4]
	s_wait_dscnt 0x0
	s_barrier_signal -1
	s_barrier_wait -1
	global_inv scope:SCOPE_SE
	v_cmpx_gt_u32_e32 4, v0
	s_cbranch_execz .LBB102_31
; %bb.28:
	v_dual_mov_b32 v3, 0 :: v_dual_add_nc_u32 v4, -1, v0
	v_dual_mov_b32 v6, v7 :: v_dual_add_nc_u32 v5, 0x140, v7
	v_mov_b32_e32 v9, 0
	s_mov_b32 s1, 0
.LBB102_29:                             ; =>This Inner Loop Header: Depth=1
	scratch_load_b64 v[10:11], v6, off
	ds_load_b64 v[12:13], v5
	v_add_nc_u32_e32 v4, 1, v4
	v_add_nc_u32_e32 v5, 8, v5
	s_delay_alu instid0(VALU_DEP_2)
	v_cmp_lt_u32_e32 vcc_lo, 2, v4
	s_wait_alu 0xfffe
	s_or_b32 s1, vcc_lo, s1
	s_wait_loadcnt_dscnt 0x0
	v_mul_f32_e32 v14, v13, v11
	v_mul_f32_e32 v11, v12, v11
	s_delay_alu instid0(VALU_DEP_2) | instskip(NEXT) | instid1(VALU_DEP_2)
	v_fma_f32 v12, v12, v10, -v14
	v_fmac_f32_e32 v11, v13, v10
	s_delay_alu instid0(VALU_DEP_2) | instskip(NEXT) | instid1(VALU_DEP_2)
	v_dual_add_f32 v9, v9, v12 :: v_dual_add_nc_u32 v6, 8, v6
	v_add_f32_e32 v3, v3, v11
	s_wait_alu 0xfffe
	s_and_not1_b32 exec_lo, exec_lo, s1
	s_cbranch_execnz .LBB102_29
; %bb.30:
	s_or_b32 exec_lo, exec_lo, s1
	v_mov_b32_e32 v4, 0
	ds_load_b64 v[4:5], v4 offset:32
	s_wait_dscnt 0x0
	v_mul_f32_e32 v10, v3, v5
	v_mul_f32_e32 v6, v9, v5
	s_delay_alu instid0(VALU_DEP_2) | instskip(NEXT) | instid1(VALU_DEP_2)
	v_fma_f32 v5, v9, v4, -v10
	v_fmac_f32_e32 v6, v3, v4
	scratch_store_b64 off, v[5:6], off offset:32
.LBB102_31:
	s_wait_alu 0xfffe
	s_or_b32 exec_lo, exec_lo, s0
	s_wait_loadcnt 0x0
	s_wait_storecnt 0x0
	s_barrier_signal -1
	s_barrier_wait -1
	global_inv scope:SCOPE_SE
	scratch_load_b64 v[3:4], off, off offset:40
	;; [unrolled: 55-line block ×19, first 2 shown]
	s_mov_b32 s0, exec_lo
	s_wait_loadcnt 0x0
	ds_store_b64 v1, v[3:4]
	s_wait_dscnt 0x0
	s_barrier_signal -1
	s_barrier_wait -1
	global_inv scope:SCOPE_SE
	v_cmpx_gt_u32_e32 22, v0
	s_cbranch_execz .LBB102_103
; %bb.100:
	v_dual_mov_b32 v3, 0 :: v_dual_add_nc_u32 v4, -1, v0
	v_dual_mov_b32 v6, v7 :: v_dual_add_nc_u32 v5, 0x140, v7
	v_mov_b32_e32 v9, 0
	s_mov_b32 s1, 0
.LBB102_101:                            ; =>This Inner Loop Header: Depth=1
	scratch_load_b64 v[10:11], v6, off
	ds_load_b64 v[12:13], v5
	v_add_nc_u32_e32 v4, 1, v4
	v_add_nc_u32_e32 v5, 8, v5
	s_delay_alu instid0(VALU_DEP_2)
	v_cmp_lt_u32_e32 vcc_lo, 20, v4
	s_wait_alu 0xfffe
	s_or_b32 s1, vcc_lo, s1
	s_wait_loadcnt_dscnt 0x0
	v_mul_f32_e32 v14, v13, v11
	v_mul_f32_e32 v11, v12, v11
	s_delay_alu instid0(VALU_DEP_2) | instskip(NEXT) | instid1(VALU_DEP_2)
	v_fma_f32 v12, v12, v10, -v14
	v_fmac_f32_e32 v11, v13, v10
	s_delay_alu instid0(VALU_DEP_2) | instskip(NEXT) | instid1(VALU_DEP_2)
	v_dual_add_f32 v9, v9, v12 :: v_dual_add_nc_u32 v6, 8, v6
	v_add_f32_e32 v3, v3, v11
	s_wait_alu 0xfffe
	s_and_not1_b32 exec_lo, exec_lo, s1
	s_cbranch_execnz .LBB102_101
; %bb.102:
	s_or_b32 exec_lo, exec_lo, s1
	v_mov_b32_e32 v4, 0
	ds_load_b64 v[4:5], v4 offset:176
	s_wait_dscnt 0x0
	v_mul_f32_e32 v10, v3, v5
	v_mul_f32_e32 v6, v9, v5
	s_delay_alu instid0(VALU_DEP_2) | instskip(NEXT) | instid1(VALU_DEP_2)
	v_fma_f32 v5, v9, v4, -v10
	v_fmac_f32_e32 v6, v3, v4
	scratch_store_b64 off, v[5:6], off offset:176
.LBB102_103:
	s_wait_alu 0xfffe
	s_or_b32 exec_lo, exec_lo, s0
	s_wait_loadcnt 0x0
	s_wait_storecnt 0x0
	s_barrier_signal -1
	s_barrier_wait -1
	global_inv scope:SCOPE_SE
	scratch_load_b64 v[3:4], off, off offset:184
	s_mov_b32 s0, exec_lo
	s_wait_loadcnt 0x0
	ds_store_b64 v1, v[3:4]
	s_wait_dscnt 0x0
	s_barrier_signal -1
	s_barrier_wait -1
	global_inv scope:SCOPE_SE
	v_cmpx_gt_u32_e32 23, v0
	s_cbranch_execz .LBB102_107
; %bb.104:
	v_dual_mov_b32 v3, 0 :: v_dual_add_nc_u32 v4, -1, v0
	v_dual_mov_b32 v6, v7 :: v_dual_add_nc_u32 v5, 0x140, v7
	v_mov_b32_e32 v9, 0
	s_mov_b32 s1, 0
.LBB102_105:                            ; =>This Inner Loop Header: Depth=1
	scratch_load_b64 v[10:11], v6, off
	ds_load_b64 v[12:13], v5
	v_add_nc_u32_e32 v4, 1, v4
	v_add_nc_u32_e32 v5, 8, v5
	s_delay_alu instid0(VALU_DEP_2)
	v_cmp_lt_u32_e32 vcc_lo, 21, v4
	s_wait_alu 0xfffe
	s_or_b32 s1, vcc_lo, s1
	s_wait_loadcnt_dscnt 0x0
	v_mul_f32_e32 v14, v13, v11
	v_mul_f32_e32 v11, v12, v11
	s_delay_alu instid0(VALU_DEP_2) | instskip(NEXT) | instid1(VALU_DEP_2)
	v_fma_f32 v12, v12, v10, -v14
	v_fmac_f32_e32 v11, v13, v10
	s_delay_alu instid0(VALU_DEP_2) | instskip(NEXT) | instid1(VALU_DEP_2)
	v_dual_add_f32 v9, v9, v12 :: v_dual_add_nc_u32 v6, 8, v6
	v_add_f32_e32 v3, v3, v11
	s_wait_alu 0xfffe
	s_and_not1_b32 exec_lo, exec_lo, s1
	s_cbranch_execnz .LBB102_105
; %bb.106:
	s_or_b32 exec_lo, exec_lo, s1
	v_mov_b32_e32 v4, 0
	ds_load_b64 v[4:5], v4 offset:184
	s_wait_dscnt 0x0
	v_mul_f32_e32 v10, v3, v5
	v_mul_f32_e32 v6, v9, v5
	s_delay_alu instid0(VALU_DEP_2) | instskip(NEXT) | instid1(VALU_DEP_2)
	v_fma_f32 v5, v9, v4, -v10
	v_fmac_f32_e32 v6, v3, v4
	scratch_store_b64 off, v[5:6], off offset:184
.LBB102_107:
	s_wait_alu 0xfffe
	s_or_b32 exec_lo, exec_lo, s0
	s_wait_loadcnt 0x0
	s_wait_storecnt 0x0
	s_barrier_signal -1
	s_barrier_wait -1
	global_inv scope:SCOPE_SE
	scratch_load_b64 v[3:4], off, off offset:192
	;; [unrolled: 55-line block ×15, first 2 shown]
	s_mov_b32 s0, exec_lo
	s_wait_loadcnt 0x0
	ds_store_b64 v1, v[3:4]
	s_wait_dscnt 0x0
	s_barrier_signal -1
	s_barrier_wait -1
	global_inv scope:SCOPE_SE
	v_cmpx_gt_u32_e32 37, v0
	s_cbranch_execz .LBB102_163
; %bb.160:
	v_dual_mov_b32 v3, 0 :: v_dual_add_nc_u32 v4, -1, v0
	v_dual_mov_b32 v6, v7 :: v_dual_add_nc_u32 v5, 0x140, v7
	v_mov_b32_e32 v7, 0
	s_mov_b32 s1, 0
.LBB102_161:                            ; =>This Inner Loop Header: Depth=1
	scratch_load_b64 v[9:10], v6, off
	ds_load_b64 v[11:12], v5
	v_add_nc_u32_e32 v6, 8, v6
	v_add_nc_u32_e32 v4, 1, v4
	;; [unrolled: 1-line block ×3, first 2 shown]
	s_delay_alu instid0(VALU_DEP_2)
	v_cmp_lt_u32_e32 vcc_lo, 35, v4
	s_wait_alu 0xfffe
	s_or_b32 s1, vcc_lo, s1
	s_wait_loadcnt_dscnt 0x0
	v_mul_f32_e32 v13, v12, v10
	v_mul_f32_e32 v10, v11, v10
	s_delay_alu instid0(VALU_DEP_2) | instskip(NEXT) | instid1(VALU_DEP_1)
	v_fma_f32 v11, v11, v9, -v13
	v_dual_fmac_f32 v10, v12, v9 :: v_dual_add_f32 v7, v7, v11
	s_delay_alu instid0(VALU_DEP_1)
	v_add_f32_e32 v3, v3, v10
	s_wait_alu 0xfffe
	s_and_not1_b32 exec_lo, exec_lo, s1
	s_cbranch_execnz .LBB102_161
; %bb.162:
	s_or_b32 exec_lo, exec_lo, s1
	v_mov_b32_e32 v4, 0
	ds_load_b64 v[4:5], v4 offset:296
	s_wait_dscnt 0x0
	v_mul_f32_e32 v9, v3, v5
	v_mul_f32_e32 v6, v7, v5
	s_delay_alu instid0(VALU_DEP_2) | instskip(NEXT) | instid1(VALU_DEP_2)
	v_fma_f32 v5, v7, v4, -v9
	v_fmac_f32_e32 v6, v3, v4
	scratch_store_b64 off, v[5:6], off offset:296
.LBB102_163:
	s_wait_alu 0xfffe
	s_or_b32 exec_lo, exec_lo, s0
	s_wait_loadcnt 0x0
	s_wait_storecnt 0x0
	s_barrier_signal -1
	s_barrier_wait -1
	global_inv scope:SCOPE_SE
	scratch_load_b64 v[3:4], off, off offset:304
	s_mov_b32 s0, exec_lo
	s_wait_loadcnt 0x0
	ds_store_b64 v1, v[3:4]
	s_wait_dscnt 0x0
	s_barrier_signal -1
	s_barrier_wait -1
	global_inv scope:SCOPE_SE
	v_cmpx_ne_u32_e32 38, v0
	s_cbranch_execz .LBB102_167
; %bb.164:
	v_dual_mov_b32 v3, 0 :: v_dual_mov_b32 v4, 0
	s_mov_b32 s1, 0
.LBB102_165:                            ; =>This Inner Loop Header: Depth=1
	scratch_load_b64 v[5:6], v8, off
	ds_load_b64 v[9:10], v1
	v_add_nc_u32_e32 v2, 1, v2
	v_add_nc_u32_e32 v1, 8, v1
	;; [unrolled: 1-line block ×3, first 2 shown]
	s_delay_alu instid0(VALU_DEP_3)
	v_cmp_lt_u32_e32 vcc_lo, 36, v2
	s_wait_alu 0xfffe
	s_or_b32 s1, vcc_lo, s1
	s_wait_loadcnt_dscnt 0x0
	v_mul_f32_e32 v7, v10, v6
	v_mul_f32_e32 v6, v9, v6
	s_delay_alu instid0(VALU_DEP_2) | instskip(NEXT) | instid1(VALU_DEP_2)
	v_fma_f32 v7, v9, v5, -v7
	v_fmac_f32_e32 v6, v10, v5
	s_delay_alu instid0(VALU_DEP_1)
	v_dual_add_f32 v4, v4, v7 :: v_dual_add_f32 v3, v3, v6
	s_wait_alu 0xfffe
	s_and_not1_b32 exec_lo, exec_lo, s1
	s_cbranch_execnz .LBB102_165
; %bb.166:
	s_or_b32 exec_lo, exec_lo, s1
	v_mov_b32_e32 v1, 0
	ds_load_b64 v[1:2], v1 offset:304
	s_wait_dscnt 0x0
	v_mul_f32_e32 v6, v3, v2
	v_mul_f32_e32 v5, v4, v2
	s_delay_alu instid0(VALU_DEP_2) | instskip(NEXT) | instid1(VALU_DEP_2)
	v_fma_f32 v4, v4, v1, -v6
	v_fmac_f32_e32 v5, v3, v1
	scratch_store_b64 off, v[4:5], off offset:304
.LBB102_167:
	s_wait_alu 0xfffe
	s_or_b32 exec_lo, exec_lo, s0
	s_mov_b32 s1, -1
	s_wait_loadcnt 0x0
	s_wait_storecnt 0x0
	s_barrier_signal -1
	s_barrier_wait -1
	global_inv scope:SCOPE_SE
.LBB102_168:
	s_wait_alu 0xfffe
	s_and_b32 vcc_lo, exec_lo, s1
	s_wait_alu 0xfffe
	s_cbranch_vccz .LBB102_170
; %bb.169:
	v_mov_b32_e32 v1, 0
	s_lshl_b64 s[0:1], s[8:9], 2
	s_wait_alu 0xfffe
	s_add_nc_u64 s[0:1], s[6:7], s[0:1]
	global_load_b32 v1, v1, s[0:1]
	s_wait_loadcnt 0x0
	v_cmp_ne_u32_e32 vcc_lo, 0, v1
	s_cbranch_vccz .LBB102_171
.LBB102_170:
	s_nop 0
	s_sendmsg sendmsg(MSG_DEALLOC_VGPRS)
	s_endpgm
.LBB102_171:
	v_lshl_add_u32 v23, v0, 3, 0x140
	s_mov_b32 s0, exec_lo
	v_cmpx_eq_u32_e32 38, v0
	s_cbranch_execz .LBB102_173
; %bb.172:
	scratch_load_b64 v[1:2], off, off offset:296
	v_mov_b32_e32 v3, 0
	s_delay_alu instid0(VALU_DEP_1)
	v_mov_b32_e32 v4, v3
	scratch_store_b64 off, v[3:4], off offset:296
	s_wait_loadcnt 0x0
	ds_store_b64 v23, v[1:2]
.LBB102_173:
	s_wait_alu 0xfffe
	s_or_b32 exec_lo, exec_lo, s0
	s_wait_storecnt_dscnt 0x0
	s_barrier_signal -1
	s_barrier_wait -1
	global_inv scope:SCOPE_SE
	s_clause 0x1
	scratch_load_b64 v[2:3], off, off offset:304
	scratch_load_b64 v[4:5], off, off offset:296
	v_mov_b32_e32 v1, 0
	s_mov_b32 s0, exec_lo
	ds_load_b64 v[6:7], v1 offset:624
	s_wait_loadcnt_dscnt 0x100
	v_mul_f32_e32 v8, v7, v3
	v_mul_f32_e32 v3, v6, v3
	s_delay_alu instid0(VALU_DEP_2) | instskip(NEXT) | instid1(VALU_DEP_2)
	v_fma_f32 v6, v6, v2, -v8
	v_fmac_f32_e32 v3, v7, v2
	s_delay_alu instid0(VALU_DEP_1) | instskip(SKIP_1) | instid1(VALU_DEP_1)
	v_dual_add_f32 v2, 0, v6 :: v_dual_add_f32 v3, 0, v3
	s_wait_loadcnt 0x0
	v_dual_sub_f32 v2, v4, v2 :: v_dual_sub_f32 v3, v5, v3
	scratch_store_b64 off, v[2:3], off offset:296
	v_cmpx_lt_u32_e32 36, v0
	s_cbranch_execz .LBB102_175
; %bb.174:
	scratch_load_b64 v[3:4], off, off offset:288
	v_mov_b32_e32 v2, v1
	scratch_store_b64 off, v[1:2], off offset:288
	s_wait_loadcnt 0x0
	ds_store_b64 v23, v[3:4]
.LBB102_175:
	s_wait_alu 0xfffe
	s_or_b32 exec_lo, exec_lo, s0
	s_wait_storecnt_dscnt 0x0
	s_barrier_signal -1
	s_barrier_wait -1
	global_inv scope:SCOPE_SE
	s_clause 0x1
	scratch_load_b128 v[2:5], off, off offset:296
	scratch_load_b64 v[10:11], off, off offset:288
	ds_load_2addr_b64 v[6:9], v1 offset0:77 offset1:78
	s_mov_b32 s0, exec_lo
	s_wait_loadcnt_dscnt 0x100
	v_dual_mul_f32 v1, v7, v3 :: v_dual_mul_f32 v12, v8, v5
	v_mul_f32_e32 v3, v6, v3
	s_delay_alu instid0(VALU_DEP_2) | instskip(NEXT) | instid1(VALU_DEP_2)
	v_fma_f32 v1, v6, v2, -v1
	v_dual_fmac_f32 v12, v9, v4 :: v_dual_fmac_f32 v3, v7, v2
	s_delay_alu instid0(VALU_DEP_2) | instskip(NEXT) | instid1(VALU_DEP_2)
	v_add_f32_e32 v1, 0, v1
	v_add_f32_e32 v3, 0, v3
	v_mul_f32_e32 v5, v9, v5
	s_delay_alu instid0(VALU_DEP_1) | instskip(NEXT) | instid1(VALU_DEP_1)
	v_fma_f32 v2, v8, v4, -v5
	v_dual_add_f32 v1, v1, v2 :: v_dual_add_f32 v2, v3, v12
	s_wait_loadcnt 0x0
	s_delay_alu instid0(VALU_DEP_1)
	v_dual_sub_f32 v1, v10, v1 :: v_dual_sub_f32 v2, v11, v2
	scratch_store_b64 off, v[1:2], off offset:288
	v_cmpx_lt_u32_e32 35, v0
	s_cbranch_execz .LBB102_177
; %bb.176:
	scratch_load_b64 v[1:2], off, off offset:280
	v_mov_b32_e32 v3, 0
	s_delay_alu instid0(VALU_DEP_1)
	v_mov_b32_e32 v4, v3
	scratch_store_b64 off, v[3:4], off offset:280
	s_wait_loadcnt 0x0
	ds_store_b64 v23, v[1:2]
.LBB102_177:
	s_wait_alu 0xfffe
	s_or_b32 exec_lo, exec_lo, s0
	s_wait_storecnt_dscnt 0x0
	s_barrier_signal -1
	s_barrier_wait -1
	global_inv scope:SCOPE_SE
	s_clause 0x2
	scratch_load_b128 v[2:5], off, off offset:288
	scratch_load_b64 v[10:11], off, off offset:304
	scratch_load_b64 v[12:13], off, off offset:280
	v_mov_b32_e32 v1, 0
	ds_load_b128 v[6:9], v1 offset:608
	ds_load_b64 v[14:15], v1 offset:624
	s_mov_b32 s0, exec_lo
	s_wait_loadcnt_dscnt 0x201
	v_dual_mul_f32 v16, v7, v3 :: v_dual_mul_f32 v17, v8, v5
	s_wait_loadcnt_dscnt 0x100
	v_mul_f32_e32 v18, v14, v11
	v_mul_f32_e32 v3, v6, v3
	;; [unrolled: 1-line block ×3, first 2 shown]
	v_fma_f32 v6, v6, v2, -v16
	s_delay_alu instid0(VALU_DEP_4) | instskip(NEXT) | instid1(VALU_DEP_4)
	v_fmac_f32_e32 v18, v15, v10
	v_fmac_f32_e32 v3, v7, v2
	v_mul_f32_e32 v2, v15, v11
	s_delay_alu instid0(VALU_DEP_1) | instskip(SKIP_3) | instid1(VALU_DEP_1)
	v_fma_f32 v2, v14, v10, -v2
	v_fmac_f32_e32 v17, v9, v4
	v_fma_f32 v4, v8, v4, -v5
	v_add_f32_e32 v5, 0, v6
	v_add_f32_e32 v4, v5, v4
	s_delay_alu instid0(VALU_DEP_1) | instskip(SKIP_1) | instid1(VALU_DEP_1)
	v_dual_add_f32 v2, v4, v2 :: v_dual_add_f32 v3, 0, v3
	s_wait_loadcnt 0x0
	v_dual_sub_f32 v2, v12, v2 :: v_dual_add_f32 v3, v3, v17
	s_delay_alu instid0(VALU_DEP_1) | instskip(NEXT) | instid1(VALU_DEP_1)
	v_add_f32_e32 v3, v3, v18
	v_sub_f32_e32 v3, v13, v3
	scratch_store_b64 off, v[2:3], off offset:280
	v_cmpx_lt_u32_e32 34, v0
	s_cbranch_execz .LBB102_179
; %bb.178:
	scratch_load_b64 v[3:4], off, off offset:272
	v_mov_b32_e32 v2, v1
	scratch_store_b64 off, v[1:2], off offset:272
	s_wait_loadcnt 0x0
	ds_store_b64 v23, v[3:4]
.LBB102_179:
	s_wait_alu 0xfffe
	s_or_b32 exec_lo, exec_lo, s0
	s_wait_storecnt_dscnt 0x0
	s_barrier_signal -1
	s_barrier_wait -1
	global_inv scope:SCOPE_SE
	s_clause 0x2
	scratch_load_b128 v[2:5], off, off offset:280
	scratch_load_b128 v[6:9], off, off offset:296
	scratch_load_b64 v[18:19], off, off offset:272
	ds_load_2addr_b64 v[10:13], v1 offset0:75 offset1:76
	ds_load_2addr_b64 v[14:17], v1 offset0:77 offset1:78
	s_mov_b32 s0, exec_lo
	s_wait_loadcnt_dscnt 0x201
	v_dual_mul_f32 v1, v10, v3 :: v_dual_mul_f32 v20, v12, v5
	s_wait_loadcnt_dscnt 0x100
	v_dual_mul_f32 v3, v11, v3 :: v_dual_mul_f32 v22, v16, v9
	v_mul_f32_e32 v5, v13, v5
	s_delay_alu instid0(VALU_DEP_3) | instskip(NEXT) | instid1(VALU_DEP_3)
	v_dual_mul_f32 v21, v14, v7 :: v_dual_fmac_f32 v20, v13, v4
	v_fma_f32 v3, v10, v2, -v3
	s_delay_alu instid0(VALU_DEP_4) | instskip(SKIP_2) | instid1(VALU_DEP_4)
	v_dual_fmac_f32 v1, v11, v2 :: v_dual_fmac_f32 v22, v17, v8
	v_mul_f32_e32 v2, v15, v7
	v_fma_f32 v4, v12, v4, -v5
	v_add_f32_e32 v3, 0, v3
	v_fmac_f32_e32 v21, v15, v6
	s_delay_alu instid0(VALU_DEP_4) | instskip(NEXT) | instid1(VALU_DEP_3)
	v_fma_f32 v2, v14, v6, -v2
	v_add_f32_e32 v3, v3, v4
	s_delay_alu instid0(VALU_DEP_1) | instskip(NEXT) | instid1(VALU_DEP_1)
	v_dual_add_f32 v1, 0, v1 :: v_dual_add_f32 v2, v3, v2
	v_add_f32_e32 v1, v1, v20
	s_delay_alu instid0(VALU_DEP_1) | instskip(NEXT) | instid1(VALU_DEP_1)
	v_add_f32_e32 v1, v1, v21
	v_add_f32_e32 v3, v1, v22
	v_mul_f32_e32 v5, v17, v9
	s_delay_alu instid0(VALU_DEP_1) | instskip(NEXT) | instid1(VALU_DEP_1)
	v_fma_f32 v4, v16, v8, -v5
	v_add_f32_e32 v2, v2, v4
	s_wait_loadcnt 0x0
	s_delay_alu instid0(VALU_DEP_1)
	v_dual_sub_f32 v1, v18, v2 :: v_dual_sub_f32 v2, v19, v3
	scratch_store_b64 off, v[1:2], off offset:272
	v_cmpx_lt_u32_e32 33, v0
	s_cbranch_execz .LBB102_181
; %bb.180:
	scratch_load_b64 v[1:2], off, off offset:264
	v_mov_b32_e32 v3, 0
	s_delay_alu instid0(VALU_DEP_1)
	v_mov_b32_e32 v4, v3
	scratch_store_b64 off, v[3:4], off offset:264
	s_wait_loadcnt 0x0
	ds_store_b64 v23, v[1:2]
.LBB102_181:
	s_wait_alu 0xfffe
	s_or_b32 exec_lo, exec_lo, s0
	s_wait_storecnt_dscnt 0x0
	s_barrier_signal -1
	s_barrier_wait -1
	global_inv scope:SCOPE_SE
	s_clause 0x3
	scratch_load_b128 v[2:5], off, off offset:272
	scratch_load_b128 v[6:9], off, off offset:288
	scratch_load_b64 v[18:19], off, off offset:304
	scratch_load_b64 v[20:21], off, off offset:264
	v_mov_b32_e32 v1, 0
	ds_load_b128 v[10:13], v1 offset:592
	ds_load_b128 v[14:17], v1 offset:608
	ds_load_b64 v[102:103], v1 offset:624
	s_mov_b32 s0, exec_lo
	s_wait_loadcnt_dscnt 0x302
	v_mul_f32_e32 v22, v10, v3
	v_dual_mul_f32 v104, v12, v5 :: v_dual_mul_f32 v3, v11, v3
	v_mul_f32_e32 v5, v13, v5
	s_wait_loadcnt_dscnt 0x100
	s_delay_alu instid0(VALU_DEP_3)
	v_dual_mul_f32 v107, v102, v19 :: v_dual_fmac_f32 v22, v11, v2
	v_dual_mul_f32 v105, v14, v7 :: v_dual_mul_f32 v106, v16, v9
	v_fma_f32 v3, v10, v2, -v3
	v_mul_f32_e32 v2, v15, v7
	v_fmac_f32_e32 v104, v13, v4
	v_fma_f32 v4, v12, v4, -v5
	v_dual_add_f32 v5, 0, v22 :: v_dual_fmac_f32 v106, v17, v8
	v_add_f32_e32 v3, 0, v3
	v_fma_f32 v2, v14, v6, -v2
	v_fmac_f32_e32 v105, v15, v6
	v_fmac_f32_e32 v107, v103, v18
	s_delay_alu instid0(VALU_DEP_4) | instskip(SKIP_2) | instid1(VALU_DEP_3)
	v_add_f32_e32 v3, v3, v4
	v_mul_f32_e32 v7, v17, v9
	v_add_f32_e32 v4, v5, v104
	v_add_f32_e32 v2, v3, v2
	s_delay_alu instid0(VALU_DEP_3) | instskip(NEXT) | instid1(VALU_DEP_1)
	v_fma_f32 v6, v16, v8, -v7
	v_dual_add_f32 v3, v4, v105 :: v_dual_add_f32 v2, v2, v6
	v_mul_f32_e32 v5, v103, v19
	s_delay_alu instid0(VALU_DEP_2) | instskip(NEXT) | instid1(VALU_DEP_2)
	v_add_f32_e32 v3, v3, v106
	v_fma_f32 v4, v102, v18, -v5
	s_delay_alu instid0(VALU_DEP_1) | instskip(SKIP_1) | instid1(VALU_DEP_1)
	v_dual_add_f32 v2, v2, v4 :: v_dual_add_f32 v3, v3, v107
	s_wait_loadcnt 0x0
	v_dual_sub_f32 v2, v20, v2 :: v_dual_sub_f32 v3, v21, v3
	scratch_store_b64 off, v[2:3], off offset:264
	v_cmpx_lt_u32_e32 32, v0
	s_cbranch_execz .LBB102_183
; %bb.182:
	scratch_load_b64 v[3:4], off, off offset:256
	v_mov_b32_e32 v2, v1
	scratch_store_b64 off, v[1:2], off offset:256
	s_wait_loadcnt 0x0
	ds_store_b64 v23, v[3:4]
.LBB102_183:
	s_wait_alu 0xfffe
	s_or_b32 exec_lo, exec_lo, s0
	s_wait_storecnt_dscnt 0x0
	s_barrier_signal -1
	s_barrier_wait -1
	global_inv scope:SCOPE_SE
	s_clause 0x3
	scratch_load_b128 v[2:5], off, off offset:264
	scratch_load_b128 v[6:9], off, off offset:280
	;; [unrolled: 1-line block ×3, first 2 shown]
	scratch_load_b64 v[106:107], off, off offset:256
	ds_load_2addr_b64 v[14:17], v1 offset0:73 offset1:74
	ds_load_2addr_b64 v[18:21], v1 offset0:75 offset1:76
	ds_load_2addr_b64 v[102:105], v1 offset0:77 offset1:78
	s_mov_b32 s0, exec_lo
	s_wait_loadcnt_dscnt 0x302
	v_dual_mul_f32 v1, v14, v3 :: v_dual_mul_f32 v22, v16, v5
	v_mul_f32_e32 v3, v15, v3
	s_wait_loadcnt_dscnt 0x201
	v_dual_mul_f32 v5, v17, v5 :: v_dual_mul_f32 v108, v18, v7
	s_delay_alu instid0(VALU_DEP_3) | instskip(NEXT) | instid1(VALU_DEP_3)
	v_dual_mul_f32 v109, v20, v9 :: v_dual_fmac_f32 v22, v17, v4
	v_fma_f32 v3, v14, v2, -v3
	v_fmac_f32_e32 v1, v15, v2
	v_mul_f32_e32 v2, v19, v7
	v_fma_f32 v4, v16, v4, -v5
	s_delay_alu instid0(VALU_DEP_4)
	v_dual_fmac_f32 v108, v19, v6 :: v_dual_add_f32 v3, 0, v3
	s_wait_loadcnt_dscnt 0x100
	v_dual_mul_f32 v110, v102, v11 :: v_dual_mul_f32 v111, v104, v13
	v_fma_f32 v2, v18, v6, -v2
	v_fmac_f32_e32 v109, v21, v8
	v_add_f32_e32 v3, v3, v4
	s_delay_alu instid0(VALU_DEP_4) | instskip(SKIP_1) | instid1(VALU_DEP_3)
	v_dual_mul_f32 v5, v21, v9 :: v_dual_fmac_f32 v110, v103, v10
	v_dual_fmac_f32 v111, v105, v12 :: v_dual_mul_f32 v4, v103, v11
	v_add_f32_e32 v2, v3, v2
	s_delay_alu instid0(VALU_DEP_3) | instskip(SKIP_1) | instid1(VALU_DEP_4)
	v_fma_f32 v5, v20, v8, -v5
	v_mul_f32_e32 v3, v105, v13
	v_fma_f32 v4, v102, v10, -v4
	s_delay_alu instid0(VALU_DEP_3) | instskip(SKIP_1) | instid1(VALU_DEP_4)
	v_add_f32_e32 v2, v2, v5
	v_add_f32_e32 v1, 0, v1
	v_fma_f32 v3, v104, v12, -v3
	s_delay_alu instid0(VALU_DEP_2) | instskip(NEXT) | instid1(VALU_DEP_1)
	v_dual_add_f32 v2, v2, v4 :: v_dual_add_f32 v1, v1, v22
	v_dual_add_f32 v2, v2, v3 :: v_dual_add_f32 v1, v1, v108
	s_delay_alu instid0(VALU_DEP_1) | instskip(NEXT) | instid1(VALU_DEP_1)
	v_add_f32_e32 v1, v1, v109
	v_add_f32_e32 v1, v1, v110
	s_delay_alu instid0(VALU_DEP_1) | instskip(SKIP_1) | instid1(VALU_DEP_1)
	v_add_f32_e32 v3, v1, v111
	s_wait_loadcnt 0x0
	v_dual_sub_f32 v1, v106, v2 :: v_dual_sub_f32 v2, v107, v3
	scratch_store_b64 off, v[1:2], off offset:256
	v_cmpx_lt_u32_e32 31, v0
	s_cbranch_execz .LBB102_185
; %bb.184:
	scratch_load_b64 v[1:2], off, off offset:248
	v_mov_b32_e32 v3, 0
	s_delay_alu instid0(VALU_DEP_1)
	v_mov_b32_e32 v4, v3
	scratch_store_b64 off, v[3:4], off offset:248
	s_wait_loadcnt 0x0
	ds_store_b64 v23, v[1:2]
.LBB102_185:
	s_wait_alu 0xfffe
	s_or_b32 exec_lo, exec_lo, s0
	s_wait_storecnt_dscnt 0x0
	s_barrier_signal -1
	s_barrier_wait -1
	global_inv scope:SCOPE_SE
	s_clause 0x4
	scratch_load_b128 v[2:5], off, off offset:256
	scratch_load_b128 v[6:9], off, off offset:272
	;; [unrolled: 1-line block ×3, first 2 shown]
	scratch_load_b64 v[106:107], off, off offset:304
	scratch_load_b64 v[108:109], off, off offset:248
	v_mov_b32_e32 v1, 0
	ds_load_b128 v[14:17], v1 offset:576
	ds_load_b128 v[18:21], v1 offset:592
	;; [unrolled: 1-line block ×3, first 2 shown]
	ds_load_b64 v[110:111], v1 offset:624
	s_mov_b32 s0, exec_lo
	s_wait_loadcnt_dscnt 0x403
	v_mul_f32_e32 v22, v14, v3
	s_wait_loadcnt_dscnt 0x302
	v_dual_mul_f32 v114, v20, v9 :: v_dual_mul_f32 v3, v15, v3
	v_dual_mul_f32 v112, v16, v5 :: v_dual_mul_f32 v113, v18, v7
	v_mul_f32_e32 v5, v17, v5
	s_wait_loadcnt_dscnt 0x100
	v_dual_mul_f32 v117, v110, v107 :: v_dual_fmac_f32 v22, v15, v2
	v_fma_f32 v3, v14, v2, -v3
	v_mul_f32_e32 v2, v19, v7
	v_fmac_f32_e32 v112, v17, v4
	v_fma_f32 v4, v16, v4, -v5
	v_dual_add_f32 v5, 0, v22 :: v_dual_fmac_f32 v114, v21, v8
	v_add_f32_e32 v3, 0, v3
	v_fma_f32 v2, v18, v6, -v2
	v_fmac_f32_e32 v113, v19, v6
	v_dual_mul_f32 v115, v102, v11 :: v_dual_mul_f32 v116, v104, v13
	s_delay_alu instid0(VALU_DEP_4) | instskip(SKIP_1) | instid1(VALU_DEP_3)
	v_add_f32_e32 v3, v3, v4
	v_mul_f32_e32 v7, v21, v9
	v_dual_add_f32 v4, v5, v112 :: v_dual_fmac_f32 v115, v103, v10
	s_delay_alu instid0(VALU_DEP_4) | instskip(NEXT) | instid1(VALU_DEP_4)
	v_fmac_f32_e32 v116, v105, v12
	v_add_f32_e32 v2, v3, v2
	s_delay_alu instid0(VALU_DEP_4) | instskip(SKIP_3) | instid1(VALU_DEP_4)
	v_fma_f32 v6, v20, v8, -v7
	v_mul_f32_e32 v5, v103, v11
	v_add_f32_e32 v3, v4, v113
	v_mul_f32_e32 v4, v105, v13
	v_add_f32_e32 v2, v2, v6
	s_delay_alu instid0(VALU_DEP_4) | instskip(SKIP_3) | instid1(VALU_DEP_4)
	v_fma_f32 v5, v102, v10, -v5
	v_mul_f32_e32 v6, v111, v107
	v_add_f32_e32 v3, v3, v114
	v_fma_f32 v4, v104, v12, -v4
	v_add_f32_e32 v2, v2, v5
	s_delay_alu instid0(VALU_DEP_4) | instskip(NEXT) | instid1(VALU_DEP_2)
	v_fma_f32 v5, v110, v106, -v6
	v_dual_add_f32 v3, v3, v115 :: v_dual_add_f32 v2, v2, v4
	s_delay_alu instid0(VALU_DEP_1) | instskip(SKIP_1) | instid1(VALU_DEP_1)
	v_dual_fmac_f32 v117, v111, v106 :: v_dual_add_f32 v2, v2, v5
	s_wait_loadcnt 0x0
	v_dual_add_f32 v3, v3, v116 :: v_dual_sub_f32 v2, v108, v2
	s_delay_alu instid0(VALU_DEP_1) | instskip(NEXT) | instid1(VALU_DEP_1)
	v_add_f32_e32 v3, v3, v117
	v_sub_f32_e32 v3, v109, v3
	scratch_store_b64 off, v[2:3], off offset:248
	v_cmpx_lt_u32_e32 30, v0
	s_cbranch_execz .LBB102_187
; %bb.186:
	scratch_load_b64 v[3:4], off, off offset:240
	v_mov_b32_e32 v2, v1
	scratch_store_b64 off, v[1:2], off offset:240
	s_wait_loadcnt 0x0
	ds_store_b64 v23, v[3:4]
.LBB102_187:
	s_wait_alu 0xfffe
	s_or_b32 exec_lo, exec_lo, s0
	s_wait_storecnt_dscnt 0x0
	s_barrier_signal -1
	s_barrier_wait -1
	global_inv scope:SCOPE_SE
	s_clause 0x4
	scratch_load_b128 v[2:5], off, off offset:248
	scratch_load_b128 v[6:9], off, off offset:264
	scratch_load_b128 v[10:13], off, off offset:280
	scratch_load_b128 v[14:17], off, off offset:296
	scratch_load_b64 v[114:115], off, off offset:240
	ds_load_2addr_b64 v[18:21], v1 offset0:71 offset1:72
	ds_load_2addr_b64 v[102:105], v1 offset0:73 offset1:74
	;; [unrolled: 1-line block ×4, first 2 shown]
	s_mov_b32 s0, exec_lo
	s_wait_loadcnt_dscnt 0x403
	v_dual_mul_f32 v1, v18, v3 :: v_dual_mul_f32 v22, v20, v5
	v_mul_f32_e32 v3, v19, v3
	s_wait_loadcnt_dscnt 0x302
	v_dual_mul_f32 v5, v21, v5 :: v_dual_mul_f32 v116, v102, v7
	s_delay_alu instid0(VALU_DEP_3) | instskip(NEXT) | instid1(VALU_DEP_3)
	v_dual_mul_f32 v117, v104, v9 :: v_dual_fmac_f32 v22, v21, v4
	v_fma_f32 v3, v18, v2, -v3
	v_fmac_f32_e32 v1, v19, v2
	v_mul_f32_e32 v2, v103, v7
	v_fma_f32 v4, v20, v4, -v5
	s_delay_alu instid0(VALU_DEP_4)
	v_dual_fmac_f32 v116, v103, v6 :: v_dual_add_f32 v3, 0, v3
	s_wait_loadcnt_dscnt 0x201
	v_dual_mul_f32 v118, v106, v11 :: v_dual_mul_f32 v119, v108, v13
	v_fma_f32 v2, v102, v6, -v2
	s_wait_loadcnt_dscnt 0x100
	v_dual_mul_f32 v120, v110, v15 :: v_dual_mul_f32 v121, v112, v17
	v_add_f32_e32 v3, v3, v4
	v_mul_f32_e32 v5, v105, v9
	v_dual_fmac_f32 v117, v105, v8 :: v_dual_fmac_f32 v118, v107, v10
	v_mul_f32_e32 v4, v107, v11
	s_delay_alu instid0(VALU_DEP_4) | instskip(NEXT) | instid1(VALU_DEP_4)
	v_add_f32_e32 v2, v3, v2
	v_fma_f32 v5, v104, v8, -v5
	v_mul_f32_e32 v3, v109, v13
	v_fmac_f32_e32 v121, v113, v16
	v_fma_f32 v4, v106, v10, -v4
	v_fmac_f32_e32 v120, v111, v14
	v_add_f32_e32 v2, v2, v5
	v_add_f32_e32 v1, 0, v1
	v_mul_f32_e32 v5, v111, v15
	v_fma_f32 v3, v108, v12, -v3
	s_delay_alu instid0(VALU_DEP_3) | instskip(SKIP_1) | instid1(VALU_DEP_4)
	v_dual_add_f32 v2, v2, v4 :: v_dual_add_f32 v1, v1, v22
	v_mul_f32_e32 v4, v113, v17
	v_fma_f32 v5, v110, v14, -v5
	s_delay_alu instid0(VALU_DEP_3) | instskip(SKIP_1) | instid1(VALU_DEP_4)
	v_dual_add_f32 v2, v2, v3 :: v_dual_add_f32 v1, v1, v116
	v_fmac_f32_e32 v119, v109, v12
	v_fma_f32 v3, v112, v16, -v4
	s_delay_alu instid0(VALU_DEP_3) | instskip(NEXT) | instid1(VALU_DEP_1)
	v_add_f32_e32 v2, v2, v5
	v_dual_add_f32 v1, v1, v117 :: v_dual_add_f32 v2, v2, v3
	s_delay_alu instid0(VALU_DEP_1) | instskip(NEXT) | instid1(VALU_DEP_1)
	v_add_f32_e32 v1, v1, v118
	v_add_f32_e32 v1, v1, v119
	s_delay_alu instid0(VALU_DEP_1) | instskip(NEXT) | instid1(VALU_DEP_1)
	v_add_f32_e32 v1, v1, v120
	v_add_f32_e32 v3, v1, v121
	s_wait_loadcnt 0x0
	s_delay_alu instid0(VALU_DEP_1)
	v_dual_sub_f32 v1, v114, v2 :: v_dual_sub_f32 v2, v115, v3
	scratch_store_b64 off, v[1:2], off offset:240
	v_cmpx_lt_u32_e32 29, v0
	s_cbranch_execz .LBB102_189
; %bb.188:
	scratch_load_b64 v[1:2], off, off offset:232
	v_mov_b32_e32 v3, 0
	s_delay_alu instid0(VALU_DEP_1)
	v_mov_b32_e32 v4, v3
	scratch_store_b64 off, v[3:4], off offset:232
	s_wait_loadcnt 0x0
	ds_store_b64 v23, v[1:2]
.LBB102_189:
	s_wait_alu 0xfffe
	s_or_b32 exec_lo, exec_lo, s0
	s_wait_storecnt_dscnt 0x0
	s_barrier_signal -1
	s_barrier_wait -1
	global_inv scope:SCOPE_SE
	s_clause 0x5
	scratch_load_b128 v[2:5], off, off offset:240
	scratch_load_b128 v[6:9], off, off offset:256
	;; [unrolled: 1-line block ×4, first 2 shown]
	scratch_load_b64 v[114:115], off, off offset:304
	scratch_load_b64 v[116:117], off, off offset:232
	v_mov_b32_e32 v1, 0
	ds_load_b128 v[18:21], v1 offset:560
	ds_load_b128 v[102:105], v1 offset:576
	;; [unrolled: 1-line block ×4, first 2 shown]
	ds_load_b64 v[118:119], v1 offset:624
	s_mov_b32 s0, exec_lo
	s_wait_loadcnt_dscnt 0x504
	v_mul_f32_e32 v22, v18, v3
	s_wait_loadcnt_dscnt 0x302
	v_dual_mul_f32 v3, v19, v3 :: v_dual_mul_f32 v124, v108, v13
	v_dual_mul_f32 v120, v20, v5 :: v_dual_mul_f32 v121, v102, v7
	v_mul_f32_e32 v5, v21, v5
	s_delay_alu instid0(VALU_DEP_3) | instskip(SKIP_3) | instid1(VALU_DEP_3)
	v_fma_f32 v3, v18, v2, -v3
	s_wait_loadcnt_dscnt 0x100
	v_dual_mul_f32 v127, v118, v115 :: v_dual_fmac_f32 v22, v19, v2
	v_mul_f32_e32 v2, v103, v7
	v_dual_fmac_f32 v120, v21, v4 :: v_dual_add_f32 v3, 0, v3
	v_fma_f32 v4, v20, v4, -v5
	v_dual_mul_f32 v122, v104, v9 :: v_dual_mul_f32 v123, v106, v11
	v_add_f32_e32 v5, 0, v22
	v_fma_f32 v2, v102, v6, -v2
	s_delay_alu instid0(VALU_DEP_4) | instskip(SKIP_3) | instid1(VALU_DEP_4)
	v_add_f32_e32 v3, v3, v4
	v_mul_f32_e32 v7, v105, v9
	v_dual_fmac_f32 v122, v105, v8 :: v_dual_fmac_f32 v121, v103, v6
	v_add_f32_e32 v4, v5, v120
	v_add_f32_e32 v2, v3, v2
	s_delay_alu instid0(VALU_DEP_4)
	v_fma_f32 v6, v104, v8, -v7
	v_mul_f32_e32 v5, v107, v11
	v_dual_fmac_f32 v123, v107, v10 :: v_dual_fmac_f32 v124, v109, v12
	v_add_f32_e32 v3, v4, v121
	v_mul_f32_e32 v4, v109, v13
	v_add_f32_e32 v2, v2, v6
	v_fma_f32 v5, v106, v10, -v5
	v_mul_f32_e32 v6, v111, v15
	v_add_f32_e32 v3, v3, v122
	v_fma_f32 v4, v108, v12, -v4
	v_dual_mul_f32 v125, v110, v15 :: v_dual_mul_f32 v126, v112, v17
	s_delay_alu instid0(VALU_DEP_3) | instskip(SKIP_2) | instid1(VALU_DEP_4)
	v_dual_add_f32 v2, v2, v5 :: v_dual_add_f32 v3, v3, v123
	v_mul_f32_e32 v5, v113, v17
	v_fma_f32 v6, v110, v14, -v6
	v_dual_fmac_f32 v125, v111, v14 :: v_dual_fmac_f32 v126, v113, v16
	s_delay_alu instid0(VALU_DEP_4) | instskip(SKIP_3) | instid1(VALU_DEP_4)
	v_add_f32_e32 v2, v2, v4
	v_add_f32_e32 v3, v3, v124
	v_mul_f32_e32 v4, v119, v115
	v_fma_f32 v5, v112, v16, -v5
	v_add_f32_e32 v2, v2, v6
	v_fmac_f32_e32 v127, v119, v114
	s_delay_alu instid0(VALU_DEP_4) | instskip(NEXT) | instid1(VALU_DEP_3)
	v_fma_f32 v4, v118, v114, -v4
	v_add_f32_e32 v2, v2, v5
	s_delay_alu instid0(VALU_DEP_1) | instskip(NEXT) | instid1(VALU_DEP_1)
	v_dual_add_f32 v3, v3, v125 :: v_dual_add_f32 v2, v2, v4
	v_add_f32_e32 v3, v3, v126
	s_wait_loadcnt 0x0
	s_delay_alu instid0(VALU_DEP_1) | instskip(NEXT) | instid1(VALU_DEP_1)
	v_dual_sub_f32 v2, v116, v2 :: v_dual_add_f32 v3, v3, v127
	v_sub_f32_e32 v3, v117, v3
	scratch_store_b64 off, v[2:3], off offset:232
	v_cmpx_lt_u32_e32 28, v0
	s_cbranch_execz .LBB102_191
; %bb.190:
	scratch_load_b64 v[3:4], off, off offset:224
	v_mov_b32_e32 v2, v1
	scratch_store_b64 off, v[1:2], off offset:224
	s_wait_loadcnt 0x0
	ds_store_b64 v23, v[3:4]
.LBB102_191:
	s_wait_alu 0xfffe
	s_or_b32 exec_lo, exec_lo, s0
	s_wait_storecnt_dscnt 0x0
	s_barrier_signal -1
	s_barrier_wait -1
	global_inv scope:SCOPE_SE
	s_clause 0x5
	scratch_load_b128 v[2:5], off, off offset:232
	scratch_load_b128 v[6:9], off, off offset:248
	;; [unrolled: 1-line block ×5, first 2 shown]
	scratch_load_b64 v[122:123], off, off offset:224
	ds_load_2addr_b64 v[102:105], v1 offset0:69 offset1:70
	ds_load_2addr_b64 v[106:109], v1 offset0:71 offset1:72
	;; [unrolled: 1-line block ×5, first 2 shown]
	s_mov_b32 s0, exec_lo
	s_wait_loadcnt_dscnt 0x504
	v_dual_mul_f32 v1, v102, v3 :: v_dual_mul_f32 v22, v104, v5
	v_mul_f32_e32 v3, v103, v3
	s_wait_loadcnt_dscnt 0x403
	v_dual_mul_f32 v5, v105, v5 :: v_dual_mul_f32 v124, v106, v7
	s_delay_alu instid0(VALU_DEP_3) | instskip(NEXT) | instid1(VALU_DEP_3)
	v_dual_mul_f32 v125, v108, v9 :: v_dual_fmac_f32 v22, v105, v4
	v_fma_f32 v3, v102, v2, -v3
	v_fmac_f32_e32 v1, v103, v2
	v_mul_f32_e32 v2, v107, v7
	v_fma_f32 v4, v104, v4, -v5
	s_delay_alu instid0(VALU_DEP_4)
	v_dual_fmac_f32 v124, v107, v6 :: v_dual_add_f32 v3, 0, v3
	s_wait_loadcnt_dscnt 0x100
	v_dual_mul_f32 v130, v118, v19 :: v_dual_mul_f32 v131, v120, v21
	v_fma_f32 v2, v106, v6, -v2
	v_dual_mul_f32 v126, v110, v11 :: v_dual_mul_f32 v127, v112, v13
	v_add_f32_e32 v3, v3, v4
	v_dual_mul_f32 v5, v109, v9 :: v_dual_mul_f32 v128, v114, v15
	v_dual_mul_f32 v129, v116, v17 :: v_dual_mul_f32 v4, v111, v11
	s_delay_alu instid0(VALU_DEP_3) | instskip(NEXT) | instid1(VALU_DEP_3)
	v_add_f32_e32 v2, v3, v2
	v_fma_f32 v5, v108, v8, -v5
	v_dual_mul_f32 v3, v113, v13 :: v_dual_fmac_f32 v130, v119, v18
	s_delay_alu instid0(VALU_DEP_4) | instskip(SKIP_1) | instid1(VALU_DEP_4)
	v_fma_f32 v4, v110, v10, -v4
	v_dual_fmac_f32 v125, v109, v8 :: v_dual_fmac_f32 v126, v111, v10
	v_add_f32_e32 v2, v2, v5
	v_add_f32_e32 v1, 0, v1
	v_fma_f32 v3, v112, v12, -v3
	v_dual_fmac_f32 v128, v115, v14 :: v_dual_fmac_f32 v129, v117, v16
	s_delay_alu instid0(VALU_DEP_3) | instskip(SKIP_1) | instid1(VALU_DEP_2)
	v_dual_add_f32 v2, v2, v4 :: v_dual_add_f32 v1, v1, v22
	v_mul_f32_e32 v4, v117, v17
	v_dual_fmac_f32 v131, v121, v20 :: v_dual_add_f32 v2, v2, v3
	s_delay_alu instid0(VALU_DEP_3) | instskip(NEXT) | instid1(VALU_DEP_3)
	v_add_f32_e32 v1, v1, v124
	v_fma_f32 v4, v116, v16, -v4
	v_mul_f32_e32 v5, v115, v15
	v_mul_f32_e32 v3, v119, v19
	s_delay_alu instid0(VALU_DEP_4) | instskip(NEXT) | instid1(VALU_DEP_3)
	v_add_f32_e32 v1, v1, v125
	v_fma_f32 v5, v114, v14, -v5
	v_fmac_f32_e32 v127, v113, v12
	s_delay_alu instid0(VALU_DEP_4) | instskip(NEXT) | instid1(VALU_DEP_3)
	v_fma_f32 v3, v118, v18, -v3
	v_add_f32_e32 v2, v2, v5
	s_delay_alu instid0(VALU_DEP_1) | instskip(SKIP_1) | instid1(VALU_DEP_2)
	v_dual_mul_f32 v5, v121, v21 :: v_dual_add_f32 v2, v2, v4
	v_add_f32_e32 v1, v1, v126
	v_fma_f32 v4, v120, v20, -v5
	s_delay_alu instid0(VALU_DEP_3) | instskip(NEXT) | instid1(VALU_DEP_1)
	v_add_f32_e32 v2, v2, v3
	v_dual_add_f32 v1, v1, v127 :: v_dual_add_f32 v2, v2, v4
	s_delay_alu instid0(VALU_DEP_1) | instskip(NEXT) | instid1(VALU_DEP_1)
	v_add_f32_e32 v1, v1, v128
	v_add_f32_e32 v1, v1, v129
	s_delay_alu instid0(VALU_DEP_1) | instskip(NEXT) | instid1(VALU_DEP_1)
	v_add_f32_e32 v1, v1, v130
	v_add_f32_e32 v3, v1, v131
	s_wait_loadcnt 0x0
	s_delay_alu instid0(VALU_DEP_1)
	v_dual_sub_f32 v1, v122, v2 :: v_dual_sub_f32 v2, v123, v3
	scratch_store_b64 off, v[1:2], off offset:224
	v_cmpx_lt_u32_e32 27, v0
	s_cbranch_execz .LBB102_193
; %bb.192:
	scratch_load_b64 v[1:2], off, off offset:216
	v_mov_b32_e32 v3, 0
	s_delay_alu instid0(VALU_DEP_1)
	v_mov_b32_e32 v4, v3
	scratch_store_b64 off, v[3:4], off offset:216
	s_wait_loadcnt 0x0
	ds_store_b64 v23, v[1:2]
.LBB102_193:
	s_wait_alu 0xfffe
	s_or_b32 exec_lo, exec_lo, s0
	s_wait_storecnt_dscnt 0x0
	s_barrier_signal -1
	s_barrier_wait -1
	global_inv scope:SCOPE_SE
	s_clause 0x6
	scratch_load_b128 v[2:5], off, off offset:224
	scratch_load_b128 v[6:9], off, off offset:240
	;; [unrolled: 1-line block ×5, first 2 shown]
	scratch_load_b64 v[122:123], off, off offset:304
	scratch_load_b64 v[124:125], off, off offset:216
	v_mov_b32_e32 v1, 0
	ds_load_b128 v[102:105], v1 offset:544
	ds_load_b128 v[106:109], v1 offset:560
	;; [unrolled: 1-line block ×5, first 2 shown]
	ds_load_b64 v[126:127], v1 offset:624
	s_mov_b32 s0, exec_lo
	s_wait_loadcnt_dscnt 0x605
	v_mul_f32_e32 v22, v102, v3
	v_dual_mul_f32 v3, v103, v3 :: v_dual_mul_f32 v128, v104, v5
	s_wait_loadcnt_dscnt 0x302
	v_dual_mul_f32 v129, v106, v7 :: v_dual_mul_f32 v134, v116, v17
	v_mul_f32_e32 v5, v105, v5
	s_delay_alu instid0(VALU_DEP_3) | instskip(SKIP_3) | instid1(VALU_DEP_3)
	v_fma_f32 v3, v102, v2, -v3
	s_wait_loadcnt_dscnt 0x100
	v_dual_mul_f32 v137, v126, v123 :: v_dual_fmac_f32 v22, v103, v2
	v_mul_f32_e32 v2, v107, v7
	v_dual_fmac_f32 v128, v105, v4 :: v_dual_add_f32 v3, 0, v3
	v_fma_f32 v4, v104, v4, -v5
	v_dual_mul_f32 v130, v108, v9 :: v_dual_mul_f32 v131, v110, v11
	v_add_f32_e32 v5, 0, v22
	v_fma_f32 v2, v106, v6, -v2
	s_delay_alu instid0(VALU_DEP_4) | instskip(SKIP_3) | instid1(VALU_DEP_4)
	v_add_f32_e32 v3, v3, v4
	v_mul_f32_e32 v7, v109, v9
	v_dual_fmac_f32 v130, v109, v8 :: v_dual_fmac_f32 v129, v107, v6
	v_add_f32_e32 v4, v5, v128
	v_add_f32_e32 v2, v3, v2
	s_delay_alu instid0(VALU_DEP_4)
	v_fma_f32 v6, v108, v8, -v7
	v_dual_mul_f32 v5, v111, v11 :: v_dual_mul_f32 v132, v112, v13
	v_mul_f32_e32 v133, v114, v15
	v_add_f32_e32 v3, v4, v129
	v_mul_f32_e32 v4, v113, v13
	v_add_f32_e32 v2, v2, v6
	v_fma_f32 v5, v110, v10, -v5
	v_dual_fmac_f32 v131, v111, v10 :: v_dual_fmac_f32 v132, v113, v12
	v_mul_f32_e32 v6, v115, v15
	s_delay_alu instid0(VALU_DEP_3) | instskip(SKIP_2) | instid1(VALU_DEP_4)
	v_dual_add_f32 v3, v3, v130 :: v_dual_add_f32 v2, v2, v5
	v_fma_f32 v4, v112, v12, -v4
	v_mul_f32_e32 v5, v117, v17
	v_fma_f32 v6, v114, v14, -v6
	s_delay_alu instid0(VALU_DEP_4) | instskip(SKIP_3) | instid1(VALU_DEP_4)
	v_add_f32_e32 v3, v3, v131
	v_dual_mul_f32 v135, v118, v19 :: v_dual_mul_f32 v136, v120, v21
	v_dual_add_f32 v2, v2, v4 :: v_dual_fmac_f32 v133, v115, v14
	v_fmac_f32_e32 v134, v117, v16
	v_add_f32_e32 v3, v3, v132
	v_mul_f32_e32 v4, v119, v19
	v_fma_f32 v5, v116, v16, -v5
	v_add_f32_e32 v2, v2, v6
	v_dual_mul_f32 v6, v121, v21 :: v_dual_fmac_f32 v135, v119, v18
	v_dual_add_f32 v3, v3, v133 :: v_dual_fmac_f32 v136, v121, v20
	v_fma_f32 v4, v118, v18, -v4
	s_delay_alu instid0(VALU_DEP_4) | instskip(NEXT) | instid1(VALU_DEP_4)
	v_add_f32_e32 v2, v2, v5
	v_fma_f32 v6, v120, v20, -v6
	s_delay_alu instid0(VALU_DEP_4) | instskip(NEXT) | instid1(VALU_DEP_3)
	v_add_f32_e32 v3, v3, v134
	v_dual_mul_f32 v5, v127, v123 :: v_dual_add_f32 v2, v2, v4
	s_delay_alu instid0(VALU_DEP_2) | instskip(NEXT) | instid1(VALU_DEP_2)
	v_add_f32_e32 v3, v3, v135
	v_fma_f32 v4, v126, v122, -v5
	s_delay_alu instid0(VALU_DEP_3) | instskip(NEXT) | instid1(VALU_DEP_1)
	v_add_f32_e32 v2, v2, v6
	v_dual_fmac_f32 v137, v127, v122 :: v_dual_add_f32 v2, v2, v4
	s_wait_loadcnt 0x0
	s_delay_alu instid0(VALU_DEP_1) | instskip(NEXT) | instid1(VALU_DEP_1)
	v_dual_add_f32 v3, v3, v136 :: v_dual_sub_f32 v2, v124, v2
	v_add_f32_e32 v3, v3, v137
	s_delay_alu instid0(VALU_DEP_1)
	v_sub_f32_e32 v3, v125, v3
	scratch_store_b64 off, v[2:3], off offset:216
	v_cmpx_lt_u32_e32 26, v0
	s_cbranch_execz .LBB102_195
; %bb.194:
	scratch_load_b64 v[3:4], off, off offset:208
	v_mov_b32_e32 v2, v1
	scratch_store_b64 off, v[1:2], off offset:208
	s_wait_loadcnt 0x0
	ds_store_b64 v23, v[3:4]
.LBB102_195:
	s_wait_alu 0xfffe
	s_or_b32 exec_lo, exec_lo, s0
	s_wait_storecnt_dscnt 0x0
	s_barrier_signal -1
	s_barrier_wait -1
	global_inv scope:SCOPE_SE
	s_clause 0x6
	scratch_load_b128 v[2:5], off, off offset:216
	scratch_load_b128 v[6:9], off, off offset:232
	;; [unrolled: 1-line block ×6, first 2 shown]
	scratch_load_b64 v[130:131], off, off offset:208
	ds_load_2addr_b64 v[106:109], v1 offset0:67 offset1:68
	ds_load_2addr_b64 v[110:113], v1 offset0:69 offset1:70
	;; [unrolled: 1-line block ×6, first 2 shown]
	s_mov_b32 s0, exec_lo
	s_wait_loadcnt_dscnt 0x605
	v_dual_mul_f32 v1, v106, v3 :: v_dual_mul_f32 v22, v108, v5
	v_mul_f32_e32 v3, v107, v3
	s_wait_loadcnt_dscnt 0x504
	v_dual_mul_f32 v5, v109, v5 :: v_dual_mul_f32 v132, v110, v7
	s_delay_alu instid0(VALU_DEP_3) | instskip(NEXT) | instid1(VALU_DEP_3)
	v_dual_mul_f32 v133, v112, v9 :: v_dual_fmac_f32 v22, v109, v4
	v_fma_f32 v3, v106, v2, -v3
	v_fmac_f32_e32 v1, v107, v2
	v_mul_f32_e32 v2, v111, v7
	v_fma_f32 v4, v108, v4, -v5
	s_delay_alu instid0(VALU_DEP_4)
	v_dual_fmac_f32 v132, v111, v6 :: v_dual_add_f32 v3, 0, v3
	s_wait_loadcnt_dscnt 0x201
	v_dual_mul_f32 v138, v122, v19 :: v_dual_mul_f32 v139, v124, v21
	v_fma_f32 v2, v110, v6, -v2
	v_dual_mul_f32 v134, v114, v11 :: v_dual_mul_f32 v135, v116, v13
	v_add_f32_e32 v3, v3, v4
	v_dual_mul_f32 v5, v113, v9 :: v_dual_mul_f32 v136, v118, v15
	v_dual_mul_f32 v137, v120, v17 :: v_dual_mul_f32 v4, v115, v11
	s_delay_alu instid0(VALU_DEP_3) | instskip(NEXT) | instid1(VALU_DEP_3)
	v_add_f32_e32 v2, v3, v2
	v_fma_f32 v5, v112, v8, -v5
	v_dual_mul_f32 v3, v117, v13 :: v_dual_fmac_f32 v138, v123, v18
	s_delay_alu instid0(VALU_DEP_4) | instskip(SKIP_1) | instid1(VALU_DEP_4)
	v_fma_f32 v4, v114, v10, -v4
	v_dual_fmac_f32 v133, v113, v8 :: v_dual_fmac_f32 v134, v115, v10
	v_add_f32_e32 v2, v2, v5
	v_add_f32_e32 v1, 0, v1
	v_fma_f32 v3, v116, v12, -v3
	v_fmac_f32_e32 v136, v119, v14
	s_wait_loadcnt_dscnt 0x100
	v_dual_mul_f32 v140, v126, v103 :: v_dual_mul_f32 v141, v128, v105
	v_dual_add_f32 v1, v1, v22 :: v_dual_add_f32 v2, v2, v4
	v_mul_f32_e32 v4, v121, v17
	v_fmac_f32_e32 v139, v125, v20
	s_delay_alu instid0(VALU_DEP_4) | instskip(NEXT) | instid1(VALU_DEP_4)
	v_fmac_f32_e32 v141, v129, v104
	v_dual_add_f32 v1, v1, v132 :: v_dual_add_f32 v2, v2, v3
	s_delay_alu instid0(VALU_DEP_4) | instskip(SKIP_1) | instid1(VALU_DEP_3)
	v_fma_f32 v4, v120, v16, -v4
	v_mul_f32_e32 v5, v119, v15
	v_dual_fmac_f32 v140, v127, v102 :: v_dual_add_f32 v1, v1, v133
	s_delay_alu instid0(VALU_DEP_2) | instskip(SKIP_1) | instid1(VALU_DEP_2)
	v_fma_f32 v5, v118, v14, -v5
	v_fmac_f32_e32 v135, v117, v12
	v_dual_add_f32 v1, v1, v134 :: v_dual_add_f32 v2, v2, v5
	s_delay_alu instid0(VALU_DEP_1) | instskip(SKIP_1) | instid1(VALU_DEP_3)
	v_add_f32_e32 v2, v2, v4
	v_mul_f32_e32 v4, v127, v103
	v_add_f32_e32 v1, v1, v135
	s_delay_alu instid0(VALU_DEP_2) | instskip(SKIP_1) | instid1(VALU_DEP_1)
	v_fma_f32 v4, v126, v102, -v4
	v_mul_f32_e32 v5, v125, v21
	v_fma_f32 v5, v124, v20, -v5
	v_mul_f32_e32 v3, v123, v19
	s_delay_alu instid0(VALU_DEP_1) | instskip(NEXT) | instid1(VALU_DEP_1)
	v_fma_f32 v3, v122, v18, -v3
	v_dual_fmac_f32 v137, v121, v16 :: v_dual_add_f32 v2, v2, v3
	v_mul_f32_e32 v3, v129, v105
	s_delay_alu instid0(VALU_DEP_2) | instskip(NEXT) | instid1(VALU_DEP_2)
	v_add_f32_e32 v2, v2, v5
	v_fma_f32 v3, v128, v104, -v3
	s_delay_alu instid0(VALU_DEP_2) | instskip(NEXT) | instid1(VALU_DEP_1)
	v_add_f32_e32 v2, v2, v4
	v_dual_add_f32 v1, v1, v136 :: v_dual_add_f32 v2, v2, v3
	s_delay_alu instid0(VALU_DEP_1) | instskip(NEXT) | instid1(VALU_DEP_1)
	v_add_f32_e32 v1, v1, v137
	v_add_f32_e32 v1, v1, v138
	s_delay_alu instid0(VALU_DEP_1) | instskip(NEXT) | instid1(VALU_DEP_1)
	v_add_f32_e32 v1, v1, v139
	v_add_f32_e32 v1, v1, v140
	s_delay_alu instid0(VALU_DEP_1) | instskip(SKIP_1) | instid1(VALU_DEP_1)
	v_add_f32_e32 v3, v1, v141
	s_wait_loadcnt 0x0
	v_dual_sub_f32 v1, v130, v2 :: v_dual_sub_f32 v2, v131, v3
	scratch_store_b64 off, v[1:2], off offset:208
	v_cmpx_lt_u32_e32 25, v0
	s_cbranch_execz .LBB102_197
; %bb.196:
	scratch_load_b64 v[1:2], off, off offset:200
	v_mov_b32_e32 v3, 0
	s_delay_alu instid0(VALU_DEP_1)
	v_mov_b32_e32 v4, v3
	scratch_store_b64 off, v[3:4], off offset:200
	s_wait_loadcnt 0x0
	ds_store_b64 v23, v[1:2]
.LBB102_197:
	s_wait_alu 0xfffe
	s_or_b32 exec_lo, exec_lo, s0
	s_wait_storecnt_dscnt 0x0
	s_barrier_signal -1
	s_barrier_wait -1
	global_inv scope:SCOPE_SE
	s_clause 0x7
	scratch_load_b128 v[2:5], off, off offset:208
	scratch_load_b128 v[6:9], off, off offset:224
	;; [unrolled: 1-line block ×6, first 2 shown]
	scratch_load_b64 v[130:131], off, off offset:304
	scratch_load_b64 v[132:133], off, off offset:200
	v_mov_b32_e32 v1, 0
	ds_load_b128 v[106:109], v1 offset:528
	ds_load_b128 v[110:113], v1 offset:544
	;; [unrolled: 1-line block ×6, first 2 shown]
	ds_load_b64 v[134:135], v1 offset:624
	s_mov_b32 s0, exec_lo
	s_wait_loadcnt_dscnt 0x706
	v_mul_f32_e32 v22, v106, v3
	v_dual_mul_f32 v3, v107, v3 :: v_dual_mul_f32 v136, v108, v5
	s_wait_loadcnt_dscnt 0x302
	v_dual_mul_f32 v137, v110, v7 :: v_dual_mul_f32 v144, v124, v21
	v_mul_f32_e32 v5, v109, v5
	s_wait_loadcnt_dscnt 0x100
	v_dual_mul_f32 v147, v134, v131 :: v_dual_fmac_f32 v22, v107, v2
	v_fma_f32 v3, v106, v2, -v3
	v_dual_mul_f32 v138, v112, v9 :: v_dual_mul_f32 v139, v114, v11
	v_mul_f32_e32 v2, v111, v7
	s_delay_alu instid0(VALU_DEP_3) | instskip(SKIP_1) | instid1(VALU_DEP_4)
	v_dual_fmac_f32 v136, v109, v4 :: v_dual_add_f32 v3, 0, v3
	v_fma_f32 v4, v108, v4, -v5
	v_dual_add_f32 v5, 0, v22 :: v_dual_fmac_f32 v138, v113, v8
	v_fmac_f32_e32 v137, v111, v6
	v_fma_f32 v2, v110, v6, -v2
	s_delay_alu instid0(VALU_DEP_4) | instskip(SKIP_3) | instid1(VALU_DEP_4)
	v_add_f32_e32 v3, v3, v4
	v_mul_f32_e32 v7, v113, v9
	v_add_f32_e32 v4, v5, v136
	v_dual_mul_f32 v140, v116, v13 :: v_dual_mul_f32 v141, v118, v15
	v_add_f32_e32 v2, v3, v2
	s_delay_alu instid0(VALU_DEP_4)
	v_fma_f32 v6, v112, v8, -v7
	v_mul_f32_e32 v5, v115, v11
	v_add_f32_e32 v3, v4, v137
	v_dual_mul_f32 v4, v117, v13 :: v_dual_fmac_f32 v139, v115, v10
	v_fmac_f32_e32 v140, v117, v12
	v_add_f32_e32 v2, v2, v6
	v_fma_f32 v5, v114, v10, -v5
	v_mul_f32_e32 v6, v119, v15
	v_add_f32_e32 v3, v3, v138
	v_fma_f32 v4, v116, v12, -v4
	v_dual_mul_f32 v142, v120, v17 :: v_dual_mul_f32 v143, v122, v19
	s_delay_alu instid0(VALU_DEP_3) | instskip(SKIP_1) | instid1(VALU_DEP_3)
	v_dual_add_f32 v2, v2, v5 :: v_dual_add_f32 v3, v3, v139
	v_mul_f32_e32 v5, v121, v17
	v_dual_fmac_f32 v141, v119, v14 :: v_dual_fmac_f32 v142, v121, v16
	v_fma_f32 v6, v118, v14, -v6
	s_delay_alu instid0(VALU_DEP_4) | instskip(SKIP_4) | instid1(VALU_DEP_4)
	v_add_f32_e32 v2, v2, v4
	v_add_f32_e32 v3, v3, v140
	v_mul_f32_e32 v4, v123, v19
	v_fma_f32 v5, v120, v16, -v5
	v_fmac_f32_e32 v143, v123, v18
	v_dual_add_f32 v2, v2, v6 :: v_dual_add_f32 v3, v3, v141
	v_fmac_f32_e32 v144, v125, v20
	v_mul_f32_e32 v6, v125, v21
	v_fma_f32 v4, v122, v18, -v4
	s_delay_alu instid0(VALU_DEP_4) | instskip(SKIP_1) | instid1(VALU_DEP_2)
	v_dual_add_f32 v2, v2, v5 :: v_dual_add_f32 v3, v3, v142
	v_dual_mul_f32 v145, v126, v103 :: v_dual_mul_f32 v146, v128, v105
	v_dual_mul_f32 v5, v127, v103 :: v_dual_add_f32 v2, v2, v4
	v_fma_f32 v6, v124, v20, -v6
	s_delay_alu instid0(VALU_DEP_4) | instskip(NEXT) | instid1(VALU_DEP_4)
	v_dual_add_f32 v3, v3, v143 :: v_dual_mul_f32 v4, v129, v105
	v_dual_fmac_f32 v145, v127, v102 :: v_dual_fmac_f32 v146, v129, v104
	s_delay_alu instid0(VALU_DEP_4) | instskip(NEXT) | instid1(VALU_DEP_3)
	v_fma_f32 v5, v126, v102, -v5
	v_dual_add_f32 v2, v2, v6 :: v_dual_add_f32 v3, v3, v144
	v_mul_f32_e32 v6, v135, v131
	v_fma_f32 v4, v128, v104, -v4
	s_delay_alu instid0(VALU_DEP_3) | instskip(NEXT) | instid1(VALU_DEP_4)
	v_dual_fmac_f32 v147, v135, v130 :: v_dual_add_f32 v2, v2, v5
	v_add_f32_e32 v3, v3, v145
	s_delay_alu instid0(VALU_DEP_4) | instskip(NEXT) | instid1(VALU_DEP_2)
	v_fma_f32 v5, v134, v130, -v6
	v_dual_add_f32 v2, v2, v4 :: v_dual_add_f32 v3, v3, v146
	s_delay_alu instid0(VALU_DEP_1) | instskip(SKIP_1) | instid1(VALU_DEP_1)
	v_dual_add_f32 v2, v2, v5 :: v_dual_add_f32 v3, v3, v147
	s_wait_loadcnt 0x0
	v_dual_sub_f32 v2, v132, v2 :: v_dual_sub_f32 v3, v133, v3
	scratch_store_b64 off, v[2:3], off offset:200
	v_cmpx_lt_u32_e32 24, v0
	s_cbranch_execz .LBB102_199
; %bb.198:
	scratch_load_b64 v[3:4], off, off offset:192
	v_mov_b32_e32 v2, v1
	scratch_store_b64 off, v[1:2], off offset:192
	s_wait_loadcnt 0x0
	ds_store_b64 v23, v[3:4]
.LBB102_199:
	s_wait_alu 0xfffe
	s_or_b32 exec_lo, exec_lo, s0
	s_wait_storecnt_dscnt 0x0
	s_barrier_signal -1
	s_barrier_wait -1
	global_inv scope:SCOPE_SE
	s_clause 0x7
	scratch_load_b128 v[2:5], off, off offset:200
	scratch_load_b128 v[6:9], off, off offset:216
	;; [unrolled: 1-line block ×7, first 2 shown]
	scratch_load_b64 v[138:139], off, off offset:192
	ds_load_2addr_b64 v[110:113], v1 offset0:65 offset1:66
	ds_load_2addr_b64 v[114:117], v1 offset0:67 offset1:68
	;; [unrolled: 1-line block ×7, first 2 shown]
	s_mov_b32 s0, exec_lo
	s_wait_loadcnt_dscnt 0x706
	v_dual_mul_f32 v1, v110, v3 :: v_dual_mul_f32 v22, v112, v5
	v_mul_f32_e32 v3, v111, v3
	s_wait_loadcnt_dscnt 0x605
	v_dual_mul_f32 v5, v113, v5 :: v_dual_mul_f32 v140, v114, v7
	s_delay_alu instid0(VALU_DEP_3) | instskip(NEXT) | instid1(VALU_DEP_3)
	v_dual_mul_f32 v141, v116, v9 :: v_dual_fmac_f32 v22, v113, v4
	v_fma_f32 v3, v110, v2, -v3
	v_fmac_f32_e32 v1, v111, v2
	v_mul_f32_e32 v2, v115, v7
	v_fma_f32 v4, v112, v4, -v5
	s_delay_alu instid0(VALU_DEP_4)
	v_dual_fmac_f32 v140, v115, v6 :: v_dual_add_f32 v3, 0, v3
	s_wait_loadcnt_dscnt 0x302
	v_dual_mul_f32 v146, v126, v19 :: v_dual_mul_f32 v147, v128, v21
	v_fma_f32 v2, v114, v6, -v2
	v_dual_mul_f32 v142, v118, v11 :: v_dual_mul_f32 v143, v120, v13
	v_add_f32_e32 v3, v3, v4
	v_dual_mul_f32 v5, v117, v9 :: v_dual_mul_f32 v144, v122, v15
	v_dual_mul_f32 v145, v124, v17 :: v_dual_mul_f32 v4, v119, v11
	s_delay_alu instid0(VALU_DEP_3) | instskip(NEXT) | instid1(VALU_DEP_3)
	v_add_f32_e32 v2, v3, v2
	v_fma_f32 v5, v116, v8, -v5
	v_dual_mul_f32 v3, v121, v13 :: v_dual_fmac_f32 v146, v127, v18
	s_delay_alu instid0(VALU_DEP_4) | instskip(SKIP_1) | instid1(VALU_DEP_4)
	v_fma_f32 v4, v118, v10, -v4
	v_dual_fmac_f32 v141, v117, v8 :: v_dual_fmac_f32 v142, v119, v10
	v_add_f32_e32 v2, v2, v5
	v_add_f32_e32 v1, 0, v1
	v_fma_f32 v3, v120, v12, -v3
	v_fmac_f32_e32 v144, v123, v14
	s_wait_loadcnt_dscnt 0x201
	v_dual_mul_f32 v148, v130, v103 :: v_dual_mul_f32 v149, v132, v105
	v_dual_add_f32 v1, v1, v22 :: v_dual_add_f32 v2, v2, v4
	v_mul_f32_e32 v4, v125, v17
	s_wait_loadcnt_dscnt 0x100
	v_dual_mul_f32 v150, v134, v107 :: v_dual_mul_f32 v151, v136, v109
	s_delay_alu instid0(VALU_DEP_3) | instskip(NEXT) | instid1(VALU_DEP_3)
	v_dual_add_f32 v1, v1, v140 :: v_dual_add_f32 v2, v2, v3
	v_fma_f32 v4, v124, v16, -v4
	v_mul_f32_e32 v5, v123, v15
	v_fmac_f32_e32 v149, v133, v104
	s_delay_alu instid0(VALU_DEP_4) | instskip(SKIP_1) | instid1(VALU_DEP_4)
	v_add_f32_e32 v1, v1, v141
	v_dual_fmac_f32 v151, v137, v108 :: v_dual_fmac_f32 v148, v131, v102
	v_fma_f32 v5, v122, v14, -v5
	v_fmac_f32_e32 v143, v121, v12
	s_delay_alu instid0(VALU_DEP_4) | instskip(SKIP_1) | instid1(VALU_DEP_4)
	v_add_f32_e32 v1, v1, v142
	v_fmac_f32_e32 v150, v135, v106
	v_add_f32_e32 v2, v2, v5
	s_delay_alu instid0(VALU_DEP_1) | instskip(SKIP_2) | instid1(VALU_DEP_2)
	v_add_f32_e32 v2, v2, v4
	v_mul_f32_e32 v4, v131, v103
	v_add_f32_e32 v1, v1, v143
	v_fma_f32 v4, v130, v102, -v4
	v_mul_f32_e32 v5, v129, v21
	s_delay_alu instid0(VALU_DEP_3) | instskip(NEXT) | instid1(VALU_DEP_2)
	v_add_f32_e32 v1, v1, v144
	v_fma_f32 v5, v128, v20, -v5
	v_mul_f32_e32 v3, v127, v19
	s_delay_alu instid0(VALU_DEP_1) | instskip(NEXT) | instid1(VALU_DEP_1)
	v_fma_f32 v3, v126, v18, -v3
	v_dual_fmac_f32 v145, v125, v16 :: v_dual_add_f32 v2, v2, v3
	v_mul_f32_e32 v3, v133, v105
	s_delay_alu instid0(VALU_DEP_2) | instskip(NEXT) | instid1(VALU_DEP_2)
	v_dual_add_f32 v2, v2, v5 :: v_dual_mul_f32 v5, v135, v107
	v_fma_f32 v3, v132, v104, -v3
	s_delay_alu instid0(VALU_DEP_2) | instskip(SKIP_1) | instid1(VALU_DEP_4)
	v_dual_add_f32 v2, v2, v4 :: v_dual_add_f32 v1, v1, v145
	v_mul_f32_e32 v4, v137, v109
	v_fma_f32 v5, v134, v106, -v5
	s_delay_alu instid0(VALU_DEP_3) | instskip(NEXT) | instid1(VALU_DEP_3)
	v_dual_add_f32 v2, v2, v3 :: v_dual_fmac_f32 v147, v129, v20
	v_fma_f32 v3, v136, v108, -v4
	s_delay_alu instid0(VALU_DEP_2) | instskip(NEXT) | instid1(VALU_DEP_1)
	v_dual_add_f32 v2, v2, v5 :: v_dual_add_f32 v1, v1, v146
	v_add_f32_e32 v2, v2, v3
	s_delay_alu instid0(VALU_DEP_2) | instskip(NEXT) | instid1(VALU_DEP_1)
	v_add_f32_e32 v1, v1, v147
	v_add_f32_e32 v1, v1, v148
	s_delay_alu instid0(VALU_DEP_1) | instskip(NEXT) | instid1(VALU_DEP_1)
	v_add_f32_e32 v1, v1, v149
	v_add_f32_e32 v1, v1, v150
	s_delay_alu instid0(VALU_DEP_1) | instskip(SKIP_1) | instid1(VALU_DEP_1)
	v_add_f32_e32 v3, v1, v151
	s_wait_loadcnt 0x0
	v_dual_sub_f32 v1, v138, v2 :: v_dual_sub_f32 v2, v139, v3
	scratch_store_b64 off, v[1:2], off offset:192
	v_cmpx_lt_u32_e32 23, v0
	s_cbranch_execz .LBB102_201
; %bb.200:
	scratch_load_b64 v[1:2], off, off offset:184
	v_mov_b32_e32 v3, 0
	s_delay_alu instid0(VALU_DEP_1)
	v_mov_b32_e32 v4, v3
	scratch_store_b64 off, v[3:4], off offset:184
	s_wait_loadcnt 0x0
	ds_store_b64 v23, v[1:2]
.LBB102_201:
	s_wait_alu 0xfffe
	s_or_b32 exec_lo, exec_lo, s0
	s_wait_storecnt_dscnt 0x0
	s_barrier_signal -1
	s_barrier_wait -1
	global_inv scope:SCOPE_SE
	s_clause 0x8
	scratch_load_b128 v[2:5], off, off offset:192
	scratch_load_b128 v[6:9], off, off offset:208
	;; [unrolled: 1-line block ×7, first 2 shown]
	scratch_load_b64 v[138:139], off, off offset:304
	scratch_load_b64 v[140:141], off, off offset:184
	v_mov_b32_e32 v1, 0
	ds_load_b128 v[110:113], v1 offset:512
	ds_load_b128 v[114:117], v1 offset:528
	;; [unrolled: 1-line block ×7, first 2 shown]
	ds_load_b64 v[142:143], v1 offset:624
	s_mov_b32 s0, exec_lo
	s_wait_loadcnt_dscnt 0x807
	v_mul_f32_e32 v22, v110, v3
	v_dual_mul_f32 v3, v111, v3 :: v_dual_mul_f32 v144, v112, v5
	s_wait_loadcnt_dscnt 0x706
	v_mul_f32_e32 v145, v114, v7
	v_mul_f32_e32 v5, v113, v5
	s_wait_loadcnt_dscnt 0x302
	v_mul_f32_e32 v154, v132, v105
	v_fma_f32 v3, v110, v2, -v3
	s_wait_loadcnt_dscnt 0x100
	v_dual_mul_f32 v157, v142, v139 :: v_dual_fmac_f32 v22, v111, v2
	v_mul_f32_e32 v2, v115, v7
	s_delay_alu instid0(VALU_DEP_3) | instskip(SKIP_4) | instid1(VALU_DEP_4)
	v_dual_fmac_f32 v144, v113, v4 :: v_dual_add_f32 v3, 0, v3
	v_fma_f32 v4, v112, v4, -v5
	v_dual_mul_f32 v146, v116, v9 :: v_dual_mul_f32 v147, v118, v11
	v_add_f32_e32 v5, 0, v22
	v_fma_f32 v2, v114, v6, -v2
	v_add_f32_e32 v3, v3, v4
	v_mul_f32_e32 v7, v117, v9
	v_dual_fmac_f32 v146, v117, v8 :: v_dual_fmac_f32 v145, v115, v6
	v_add_f32_e32 v4, v5, v144
	s_delay_alu instid0(VALU_DEP_4) | instskip(NEXT) | instid1(VALU_DEP_4)
	v_add_f32_e32 v2, v3, v2
	v_fma_f32 v6, v116, v8, -v7
	v_dual_mul_f32 v5, v119, v11 :: v_dual_mul_f32 v148, v120, v13
	v_mul_f32_e32 v149, v122, v15
	v_add_f32_e32 v3, v4, v145
	v_mul_f32_e32 v4, v121, v13
	v_add_f32_e32 v2, v2, v6
	v_fma_f32 v5, v118, v10, -v5
	v_dual_fmac_f32 v147, v119, v10 :: v_dual_fmac_f32 v148, v121, v12
	v_mul_f32_e32 v6, v123, v15
	s_delay_alu instid0(VALU_DEP_3) | instskip(SKIP_2) | instid1(VALU_DEP_4)
	v_dual_add_f32 v3, v3, v146 :: v_dual_add_f32 v2, v2, v5
	v_fma_f32 v4, v120, v12, -v4
	v_mul_f32_e32 v5, v125, v17
	v_fma_f32 v6, v122, v14, -v6
	s_delay_alu instid0(VALU_DEP_4) | instskip(SKIP_3) | instid1(VALU_DEP_4)
	v_dual_add_f32 v3, v3, v147 :: v_dual_mul_f32 v150, v124, v17
	v_mul_f32_e32 v151, v126, v19
	v_add_f32_e32 v2, v2, v4
	v_dual_mul_f32 v152, v128, v21 :: v_dual_mul_f32 v153, v130, v103
	v_dual_fmac_f32 v149, v123, v14 :: v_dual_fmac_f32 v150, v125, v16
	s_delay_alu instid0(VALU_DEP_3) | instskip(SKIP_3) | instid1(VALU_DEP_4)
	v_dual_add_f32 v3, v3, v148 :: v_dual_add_f32 v2, v2, v6
	v_mul_f32_e32 v4, v127, v19
	v_fma_f32 v5, v124, v16, -v5
	v_dual_mul_f32 v6, v129, v21 :: v_dual_fmac_f32 v151, v127, v18
	v_dual_add_f32 v3, v3, v149 :: v_dual_fmac_f32 v152, v129, v20
	s_delay_alu instid0(VALU_DEP_4) | instskip(NEXT) | instid1(VALU_DEP_4)
	v_fma_f32 v4, v126, v18, -v4
	v_add_f32_e32 v2, v2, v5
	s_delay_alu instid0(VALU_DEP_4) | instskip(NEXT) | instid1(VALU_DEP_4)
	v_fma_f32 v6, v128, v20, -v6
	v_add_f32_e32 v3, v3, v150
	v_mul_f32_e32 v5, v131, v103
	v_dual_mul_f32 v155, v134, v107 :: v_dual_mul_f32 v156, v136, v109
	s_delay_alu instid0(VALU_DEP_3) | instskip(SKIP_1) | instid1(VALU_DEP_4)
	v_dual_add_f32 v2, v2, v4 :: v_dual_add_f32 v3, v3, v151
	v_mul_f32_e32 v4, v133, v105
	v_fma_f32 v5, v130, v102, -v5
	v_dual_fmac_f32 v153, v131, v102 :: v_dual_fmac_f32 v154, v133, v104
	s_delay_alu instid0(VALU_DEP_4) | instskip(SKIP_2) | instid1(VALU_DEP_3)
	v_dual_add_f32 v2, v2, v6 :: v_dual_add_f32 v3, v3, v152
	v_mul_f32_e32 v6, v135, v107
	v_fma_f32 v4, v132, v104, -v4
	v_dual_fmac_f32 v155, v135, v106 :: v_dual_add_f32 v2, v2, v5
	s_delay_alu instid0(VALU_DEP_4) | instskip(SKIP_3) | instid1(VALU_DEP_4)
	v_add_f32_e32 v3, v3, v153
	v_mul_f32_e32 v5, v137, v109
	v_fma_f32 v6, v134, v106, -v6
	v_fmac_f32_e32 v156, v137, v108
	v_dual_add_f32 v2, v2, v4 :: v_dual_add_f32 v3, v3, v154
	v_mul_f32_e32 v4, v143, v139
	v_fma_f32 v5, v136, v108, -v5
	s_delay_alu instid0(VALU_DEP_3) | instskip(SKIP_1) | instid1(VALU_DEP_4)
	v_dual_add_f32 v2, v2, v6 :: v_dual_add_f32 v3, v3, v155
	v_fmac_f32_e32 v157, v143, v138
	v_fma_f32 v4, v142, v138, -v4
	s_delay_alu instid0(VALU_DEP_3) | instskip(NEXT) | instid1(VALU_DEP_1)
	v_add_f32_e32 v2, v2, v5
	v_add_f32_e32 v2, v2, v4
	s_wait_loadcnt 0x0
	s_delay_alu instid0(VALU_DEP_1) | instskip(NEXT) | instid1(VALU_DEP_1)
	v_dual_add_f32 v3, v3, v156 :: v_dual_sub_f32 v2, v140, v2
	v_add_f32_e32 v3, v3, v157
	s_delay_alu instid0(VALU_DEP_1)
	v_sub_f32_e32 v3, v141, v3
	scratch_store_b64 off, v[2:3], off offset:184
	v_cmpx_lt_u32_e32 22, v0
	s_cbranch_execz .LBB102_203
; %bb.202:
	scratch_load_b64 v[3:4], off, off offset:176
	v_mov_b32_e32 v2, v1
	scratch_store_b64 off, v[1:2], off offset:176
	s_wait_loadcnt 0x0
	ds_store_b64 v23, v[3:4]
.LBB102_203:
	s_wait_alu 0xfffe
	s_or_b32 exec_lo, exec_lo, s0
	s_wait_storecnt_dscnt 0x0
	s_barrier_signal -1
	s_barrier_wait -1
	global_inv scope:SCOPE_SE
	s_clause 0x8
	scratch_load_b128 v[2:5], off, off offset:184
	scratch_load_b128 v[6:9], off, off offset:200
	;; [unrolled: 1-line block ×8, first 2 shown]
	scratch_load_b64 v[146:147], off, off offset:176
	ds_load_2addr_b64 v[114:117], v1 offset0:63 offset1:64
	ds_load_2addr_b64 v[118:121], v1 offset0:65 offset1:66
	;; [unrolled: 1-line block ×8, first 2 shown]
	s_mov_b32 s0, exec_lo
	s_wait_loadcnt_dscnt 0x807
	v_dual_mul_f32 v1, v114, v3 :: v_dual_mul_f32 v22, v116, v5
	v_mul_f32_e32 v3, v115, v3
	s_wait_loadcnt_dscnt 0x706
	v_dual_mul_f32 v5, v117, v5 :: v_dual_mul_f32 v148, v118, v7
	s_delay_alu instid0(VALU_DEP_3) | instskip(NEXT) | instid1(VALU_DEP_3)
	v_dual_mul_f32 v149, v120, v9 :: v_dual_fmac_f32 v22, v117, v4
	v_fma_f32 v3, v114, v2, -v3
	v_fmac_f32_e32 v1, v115, v2
	v_mul_f32_e32 v2, v119, v7
	v_fma_f32 v4, v116, v4, -v5
	s_delay_alu instid0(VALU_DEP_4)
	v_dual_fmac_f32 v148, v119, v6 :: v_dual_add_f32 v3, 0, v3
	s_wait_loadcnt_dscnt 0x403
	v_dual_mul_f32 v154, v130, v19 :: v_dual_mul_f32 v155, v132, v21
	v_fma_f32 v2, v118, v6, -v2
	v_dual_mul_f32 v150, v122, v11 :: v_dual_mul_f32 v151, v124, v13
	v_add_f32_e32 v3, v3, v4
	v_dual_mul_f32 v5, v121, v9 :: v_dual_mul_f32 v152, v126, v15
	v_dual_mul_f32 v153, v128, v17 :: v_dual_mul_f32 v4, v123, v11
	s_delay_alu instid0(VALU_DEP_3) | instskip(NEXT) | instid1(VALU_DEP_3)
	v_add_f32_e32 v2, v3, v2
	v_fma_f32 v5, v120, v8, -v5
	v_dual_mul_f32 v3, v125, v13 :: v_dual_fmac_f32 v154, v131, v18
	s_delay_alu instid0(VALU_DEP_4) | instskip(SKIP_1) | instid1(VALU_DEP_4)
	v_fma_f32 v4, v122, v10, -v4
	v_dual_fmac_f32 v149, v121, v8 :: v_dual_fmac_f32 v150, v123, v10
	v_add_f32_e32 v2, v2, v5
	v_add_f32_e32 v1, 0, v1
	v_fma_f32 v3, v124, v12, -v3
	v_fmac_f32_e32 v152, v127, v14
	s_wait_loadcnt_dscnt 0x302
	v_dual_mul_f32 v156, v134, v103 :: v_dual_mul_f32 v157, v136, v105
	v_dual_add_f32 v1, v1, v22 :: v_dual_add_f32 v2, v2, v4
	v_mul_f32_e32 v4, v129, v17
	s_wait_loadcnt_dscnt 0x100
	v_dual_mul_f32 v160, v142, v111 :: v_dual_mul_f32 v161, v144, v113
	s_delay_alu instid0(VALU_DEP_3) | instskip(NEXT) | instid1(VALU_DEP_3)
	v_dual_add_f32 v1, v1, v148 :: v_dual_add_f32 v2, v2, v3
	v_fma_f32 v4, v128, v16, -v4
	v_mul_f32_e32 v5, v127, v15
	v_dual_mul_f32 v158, v138, v107 :: v_dual_mul_f32 v159, v140, v109
	s_delay_alu instid0(VALU_DEP_4) | instskip(SKIP_1) | instid1(VALU_DEP_4)
	v_add_f32_e32 v1, v1, v149
	v_fmac_f32_e32 v161, v145, v112
	v_fma_f32 v5, v126, v14, -v5
	v_dual_fmac_f32 v151, v125, v12 :: v_dual_fmac_f32 v156, v135, v102
	s_delay_alu instid0(VALU_DEP_4) | instskip(NEXT) | instid1(VALU_DEP_3)
	v_add_f32_e32 v1, v1, v150
	v_dual_fmac_f32 v159, v141, v108 :: v_dual_add_f32 v2, v2, v5
	v_fmac_f32_e32 v158, v139, v106
	v_fmac_f32_e32 v160, v143, v110
	s_delay_alu instid0(VALU_DEP_3) | instskip(SKIP_2) | instid1(VALU_DEP_2)
	v_add_f32_e32 v2, v2, v4
	v_mul_f32_e32 v4, v135, v103
	v_add_f32_e32 v1, v1, v151
	v_fma_f32 v4, v134, v102, -v4
	v_mul_f32_e32 v5, v133, v21
	s_delay_alu instid0(VALU_DEP_3) | instskip(NEXT) | instid1(VALU_DEP_2)
	v_add_f32_e32 v1, v1, v152
	v_fma_f32 v5, v132, v20, -v5
	v_mul_f32_e32 v3, v131, v19
	s_delay_alu instid0(VALU_DEP_1) | instskip(NEXT) | instid1(VALU_DEP_1)
	v_fma_f32 v3, v130, v18, -v3
	v_dual_fmac_f32 v153, v129, v16 :: v_dual_add_f32 v2, v2, v3
	v_mul_f32_e32 v3, v137, v105
	s_delay_alu instid0(VALU_DEP_2) | instskip(NEXT) | instid1(VALU_DEP_2)
	v_dual_add_f32 v2, v2, v5 :: v_dual_mul_f32 v5, v139, v107
	v_fma_f32 v3, v136, v104, -v3
	s_delay_alu instid0(VALU_DEP_2) | instskip(SKIP_1) | instid1(VALU_DEP_4)
	v_dual_add_f32 v2, v2, v4 :: v_dual_add_f32 v1, v1, v153
	v_mul_f32_e32 v4, v141, v109
	v_fma_f32 v5, v138, v106, -v5
	s_delay_alu instid0(VALU_DEP_3) | instskip(SKIP_1) | instid1(VALU_DEP_4)
	v_dual_add_f32 v2, v2, v3 :: v_dual_fmac_f32 v155, v133, v20
	v_mul_f32_e32 v3, v143, v111
	v_fma_f32 v4, v140, v108, -v4
	s_delay_alu instid0(VALU_DEP_3) | instskip(SKIP_1) | instid1(VALU_DEP_4)
	v_dual_add_f32 v2, v2, v5 :: v_dual_add_f32 v1, v1, v154
	v_mul_f32_e32 v5, v145, v113
	v_fma_f32 v3, v142, v110, -v3
	s_delay_alu instid0(VALU_DEP_3) | instskip(SKIP_1) | instid1(VALU_DEP_4)
	v_add_f32_e32 v2, v2, v4
	v_fmac_f32_e32 v157, v137, v104
	v_fma_f32 v4, v144, v112, -v5
	s_delay_alu instid0(VALU_DEP_3) | instskip(NEXT) | instid1(VALU_DEP_1)
	v_add_f32_e32 v2, v2, v3
	v_dual_add_f32 v1, v1, v155 :: v_dual_add_f32 v2, v2, v4
	s_delay_alu instid0(VALU_DEP_1) | instskip(NEXT) | instid1(VALU_DEP_1)
	v_add_f32_e32 v1, v1, v156
	v_add_f32_e32 v1, v1, v157
	s_delay_alu instid0(VALU_DEP_1) | instskip(NEXT) | instid1(VALU_DEP_1)
	v_add_f32_e32 v1, v1, v158
	v_add_f32_e32 v1, v1, v159
	;; [unrolled: 3-line block ×3, first 2 shown]
	s_wait_loadcnt 0x0
	s_delay_alu instid0(VALU_DEP_1)
	v_dual_sub_f32 v1, v146, v2 :: v_dual_sub_f32 v2, v147, v3
	scratch_store_b64 off, v[1:2], off offset:176
	v_cmpx_lt_u32_e32 21, v0
	s_cbranch_execz .LBB102_205
; %bb.204:
	scratch_load_b64 v[1:2], off, off offset:168
	v_mov_b32_e32 v3, 0
	s_delay_alu instid0(VALU_DEP_1)
	v_mov_b32_e32 v4, v3
	scratch_store_b64 off, v[3:4], off offset:168
	s_wait_loadcnt 0x0
	ds_store_b64 v23, v[1:2]
.LBB102_205:
	s_wait_alu 0xfffe
	s_or_b32 exec_lo, exec_lo, s0
	s_wait_storecnt_dscnt 0x0
	s_barrier_signal -1
	s_barrier_wait -1
	global_inv scope:SCOPE_SE
	s_clause 0x9
	scratch_load_b128 v[2:5], off, off offset:176
	scratch_load_b128 v[6:9], off, off offset:192
	;; [unrolled: 1-line block ×8, first 2 shown]
	scratch_load_b64 v[146:147], off, off offset:304
	scratch_load_b64 v[148:149], off, off offset:168
	v_mov_b32_e32 v1, 0
	ds_load_b128 v[114:117], v1 offset:496
	ds_load_b128 v[118:121], v1 offset:512
	;; [unrolled: 1-line block ×8, first 2 shown]
	ds_load_b64 v[150:151], v1 offset:624
	s_mov_b32 s0, exec_lo
	s_wait_loadcnt_dscnt 0x908
	v_mul_f32_e32 v22, v114, v3
	s_wait_loadcnt_dscnt 0x807
	v_dual_mul_f32 v152, v116, v5 :: v_dual_mul_f32 v153, v118, v7
	v_mul_f32_e32 v3, v115, v3
	s_delay_alu instid0(VALU_DEP_3)
	v_dual_mul_f32 v5, v117, v5 :: v_dual_fmac_f32 v22, v115, v2
	s_wait_loadcnt_dscnt 0x302
	v_mul_f32_e32 v164, v140, v109
	v_dual_mul_f32 v154, v120, v9 :: v_dual_mul_f32 v155, v122, v11
	s_wait_loadcnt_dscnt 0x100
	v_mul_f32_e32 v167, v150, v147
	v_fma_f32 v3, v114, v2, -v3
	v_mul_f32_e32 v2, v119, v7
	v_fmac_f32_e32 v152, v117, v4
	v_fma_f32 v4, v116, v4, -v5
	v_dual_add_f32 v5, 0, v22 :: v_dual_fmac_f32 v154, v121, v8
	v_add_f32_e32 v3, 0, v3
	v_fmac_f32_e32 v153, v119, v6
	v_fma_f32 v2, v118, v6, -v2
	v_dual_mul_f32 v156, v124, v13 :: v_dual_mul_f32 v157, v126, v15
	s_delay_alu instid0(VALU_DEP_4) | instskip(SKIP_2) | instid1(VALU_DEP_4)
	v_add_f32_e32 v3, v3, v4
	v_mul_f32_e32 v7, v121, v9
	v_dual_add_f32 v4, v5, v152 :: v_dual_fmac_f32 v155, v123, v10
	v_fmac_f32_e32 v156, v125, v12
	s_delay_alu instid0(VALU_DEP_4) | instskip(NEXT) | instid1(VALU_DEP_4)
	v_add_f32_e32 v2, v3, v2
	v_fma_f32 v6, v120, v8, -v7
	v_mul_f32_e32 v5, v123, v11
	v_add_f32_e32 v3, v4, v153
	v_mul_f32_e32 v4, v125, v13
	v_dual_mul_f32 v158, v128, v17 :: v_dual_mul_f32 v159, v130, v19
	v_add_f32_e32 v2, v2, v6
	v_fma_f32 v5, v122, v10, -v5
	v_mul_f32_e32 v6, v127, v15
	v_add_f32_e32 v3, v3, v154
	v_fma_f32 v4, v124, v12, -v4
	v_dual_fmac_f32 v157, v127, v14 :: v_dual_fmac_f32 v158, v129, v16
	s_delay_alu instid0(VALU_DEP_3) | instskip(SKIP_3) | instid1(VALU_DEP_4)
	v_dual_add_f32 v2, v2, v5 :: v_dual_add_f32 v3, v3, v155
	v_mul_f32_e32 v5, v129, v17
	v_fma_f32 v6, v126, v14, -v6
	v_dual_mul_f32 v160, v132, v21 :: v_dual_mul_f32 v161, v134, v103
	v_add_f32_e32 v2, v2, v4
	v_add_f32_e32 v3, v3, v156
	v_mul_f32_e32 v4, v131, v19
	v_fma_f32 v5, v128, v16, -v5
	v_fmac_f32_e32 v159, v131, v18
	s_delay_alu instid0(VALU_DEP_4) | instskip(SKIP_3) | instid1(VALU_DEP_4)
	v_dual_add_f32 v2, v2, v6 :: v_dual_add_f32 v3, v3, v157
	v_fmac_f32_e32 v160, v133, v20
	v_mul_f32_e32 v6, v133, v21
	v_fma_f32 v4, v130, v18, -v4
	v_dual_add_f32 v2, v2, v5 :: v_dual_add_f32 v3, v3, v158
	v_mul_f32_e32 v5, v135, v103
	s_delay_alu instid0(VALU_DEP_4) | instskip(SKIP_1) | instid1(VALU_DEP_4)
	v_fma_f32 v6, v132, v20, -v6
	v_dual_mul_f32 v162, v136, v105 :: v_dual_mul_f32 v163, v138, v107
	v_dual_add_f32 v2, v2, v4 :: v_dual_add_f32 v3, v3, v159
	v_dual_mul_f32 v4, v137, v105 :: v_dual_fmac_f32 v161, v135, v102
	s_delay_alu instid0(VALU_DEP_3) | instskip(SKIP_1) | instid1(VALU_DEP_4)
	v_fmac_f32_e32 v162, v137, v104
	v_fma_f32 v5, v134, v102, -v5
	v_dual_add_f32 v2, v2, v6 :: v_dual_add_f32 v3, v3, v160
	v_mul_f32_e32 v6, v139, v107
	v_fma_f32 v4, v136, v104, -v4
	s_delay_alu instid0(VALU_DEP_3) | instskip(NEXT) | instid1(VALU_DEP_4)
	v_dual_fmac_f32 v163, v139, v106 :: v_dual_add_f32 v2, v2, v5
	v_add_f32_e32 v3, v3, v161
	v_mul_f32_e32 v5, v141, v109
	v_fma_f32 v6, v138, v106, -v6
	v_dual_mul_f32 v165, v142, v111 :: v_dual_mul_f32 v166, v144, v113
	s_delay_alu instid0(VALU_DEP_4) | instskip(SKIP_3) | instid1(VALU_DEP_4)
	v_dual_add_f32 v2, v2, v4 :: v_dual_add_f32 v3, v3, v162
	v_fmac_f32_e32 v164, v141, v108
	v_mul_f32_e32 v4, v143, v111
	v_fma_f32 v5, v140, v108, -v5
	v_dual_add_f32 v2, v2, v6 :: v_dual_add_f32 v3, v3, v163
	v_dual_mul_f32 v6, v145, v113 :: v_dual_fmac_f32 v165, v143, v110
	s_delay_alu instid0(VALU_DEP_4) | instskip(NEXT) | instid1(VALU_DEP_3)
	v_fma_f32 v4, v142, v110, -v4
	v_dual_add_f32 v2, v2, v5 :: v_dual_add_f32 v3, v3, v164
	v_dual_mul_f32 v5, v151, v147 :: v_dual_fmac_f32 v166, v145, v112
	s_delay_alu instid0(VALU_DEP_4) | instskip(NEXT) | instid1(VALU_DEP_3)
	v_fma_f32 v6, v144, v112, -v6
	v_dual_add_f32 v2, v2, v4 :: v_dual_add_f32 v3, v3, v165
	s_delay_alu instid0(VALU_DEP_3) | instskip(NEXT) | instid1(VALU_DEP_2)
	v_fma_f32 v4, v150, v146, -v5
	v_add_f32_e32 v3, v3, v166
	s_delay_alu instid0(VALU_DEP_3) | instskip(NEXT) | instid1(VALU_DEP_1)
	v_add_f32_e32 v2, v2, v6
	v_dual_fmac_f32 v167, v151, v146 :: v_dual_add_f32 v2, v2, v4
	s_wait_loadcnt 0x0
	s_delay_alu instid0(VALU_DEP_1) | instskip(NEXT) | instid1(VALU_DEP_1)
	v_dual_add_f32 v3, v3, v167 :: v_dual_sub_f32 v2, v148, v2
	v_sub_f32_e32 v3, v149, v3
	scratch_store_b64 off, v[2:3], off offset:168
	v_cmpx_lt_u32_e32 20, v0
	s_cbranch_execz .LBB102_207
; %bb.206:
	scratch_load_b64 v[3:4], off, off offset:160
	v_mov_b32_e32 v2, v1
	scratch_store_b64 off, v[1:2], off offset:160
	s_wait_loadcnt 0x0
	ds_store_b64 v23, v[3:4]
.LBB102_207:
	s_wait_alu 0xfffe
	s_or_b32 exec_lo, exec_lo, s0
	s_wait_storecnt_dscnt 0x0
	s_barrier_signal -1
	s_barrier_wait -1
	global_inv scope:SCOPE_SE
	s_clause 0x9
	scratch_load_b128 v[2:5], off, off offset:168
	scratch_load_b128 v[6:9], off, off offset:184
	;; [unrolled: 1-line block ×9, first 2 shown]
	scratch_load_b64 v[154:155], off, off offset:160
	ds_load_2addr_b64 v[118:121], v1 offset0:61 offset1:62
	ds_load_2addr_b64 v[122:125], v1 offset0:63 offset1:64
	;; [unrolled: 1-line block ×9, first 2 shown]
	s_mov_b32 s0, exec_lo
	s_wait_loadcnt_dscnt 0x908
	v_dual_mul_f32 v1, v118, v3 :: v_dual_mul_f32 v22, v120, v5
	v_mul_f32_e32 v3, v119, v3
	s_wait_loadcnt_dscnt 0x807
	v_dual_mul_f32 v5, v121, v5 :: v_dual_mul_f32 v156, v122, v7
	s_delay_alu instid0(VALU_DEP_3) | instskip(NEXT) | instid1(VALU_DEP_3)
	v_dual_mul_f32 v157, v124, v9 :: v_dual_fmac_f32 v22, v121, v4
	v_fma_f32 v3, v118, v2, -v3
	v_fmac_f32_e32 v1, v119, v2
	v_mul_f32_e32 v2, v123, v7
	v_fma_f32 v4, v120, v4, -v5
	s_delay_alu instid0(VALU_DEP_4)
	v_dual_fmac_f32 v156, v123, v6 :: v_dual_add_f32 v3, 0, v3
	s_wait_loadcnt_dscnt 0x504
	v_dual_mul_f32 v162, v134, v19 :: v_dual_mul_f32 v163, v136, v21
	v_fma_f32 v2, v122, v6, -v2
	v_dual_mul_f32 v158, v126, v11 :: v_dual_mul_f32 v159, v128, v13
	v_add_f32_e32 v3, v3, v4
	v_dual_mul_f32 v5, v125, v9 :: v_dual_mul_f32 v160, v130, v15
	v_dual_mul_f32 v161, v132, v17 :: v_dual_mul_f32 v4, v127, v11
	s_delay_alu instid0(VALU_DEP_3) | instskip(NEXT) | instid1(VALU_DEP_3)
	v_add_f32_e32 v2, v3, v2
	v_fma_f32 v5, v124, v8, -v5
	v_dual_mul_f32 v3, v129, v13 :: v_dual_fmac_f32 v162, v135, v18
	s_delay_alu instid0(VALU_DEP_4) | instskip(SKIP_1) | instid1(VALU_DEP_4)
	v_fma_f32 v4, v126, v10, -v4
	v_dual_fmac_f32 v157, v125, v8 :: v_dual_fmac_f32 v158, v127, v10
	v_add_f32_e32 v2, v2, v5
	v_add_f32_e32 v1, 0, v1
	v_fma_f32 v3, v128, v12, -v3
	v_fmac_f32_e32 v160, v131, v14
	s_wait_loadcnt_dscnt 0x403
	v_dual_mul_f32 v164, v138, v103 :: v_dual_mul_f32 v165, v140, v105
	v_dual_add_f32 v1, v1, v22 :: v_dual_add_f32 v2, v2, v4
	v_mul_f32_e32 v4, v133, v17
	s_wait_loadcnt_dscnt 0x201
	v_dual_mul_f32 v168, v146, v111 :: v_dual_mul_f32 v169, v148, v113
	s_delay_alu instid0(VALU_DEP_3) | instskip(NEXT) | instid1(VALU_DEP_3)
	v_dual_add_f32 v1, v1, v156 :: v_dual_add_f32 v2, v2, v3
	v_fma_f32 v4, v132, v16, -v4
	v_mul_f32_e32 v5, v131, v15
	v_dual_mul_f32 v166, v142, v107 :: v_dual_mul_f32 v167, v144, v109
	s_wait_loadcnt_dscnt 0x100
	v_dual_add_f32 v1, v1, v157 :: v_dual_mul_f32 v170, v150, v115
	v_mul_f32_e32 v171, v152, v117
	v_fma_f32 v5, v130, v14, -v5
	v_fmac_f32_e32 v159, v129, v12
	s_delay_alu instid0(VALU_DEP_4) | instskip(SKIP_1) | instid1(VALU_DEP_4)
	v_add_f32_e32 v1, v1, v158
	v_dual_fmac_f32 v164, v139, v102 :: v_dual_fmac_f32 v165, v141, v104
	v_add_f32_e32 v2, v2, v5
	v_dual_fmac_f32 v166, v143, v106 :: v_dual_fmac_f32 v169, v149, v112
	v_dual_fmac_f32 v171, v153, v116 :: v_dual_fmac_f32 v168, v147, v110
	s_delay_alu instid0(VALU_DEP_3) | instskip(SKIP_2) | instid1(VALU_DEP_2)
	v_add_f32_e32 v2, v2, v4
	v_mul_f32_e32 v4, v139, v103
	v_dual_add_f32 v1, v1, v159 :: v_dual_fmac_f32 v170, v151, v114
	v_fma_f32 v4, v138, v102, -v4
	v_mul_f32_e32 v5, v137, v21
	s_delay_alu instid0(VALU_DEP_3) | instskip(NEXT) | instid1(VALU_DEP_2)
	v_add_f32_e32 v1, v1, v160
	v_fma_f32 v5, v136, v20, -v5
	v_mul_f32_e32 v3, v135, v19
	s_delay_alu instid0(VALU_DEP_1) | instskip(NEXT) | instid1(VALU_DEP_1)
	v_fma_f32 v3, v134, v18, -v3
	v_dual_fmac_f32 v161, v133, v16 :: v_dual_add_f32 v2, v2, v3
	v_mul_f32_e32 v3, v141, v105
	s_delay_alu instid0(VALU_DEP_2) | instskip(NEXT) | instid1(VALU_DEP_2)
	v_dual_add_f32 v2, v2, v5 :: v_dual_mul_f32 v5, v143, v107
	v_fma_f32 v3, v140, v104, -v3
	s_delay_alu instid0(VALU_DEP_2) | instskip(SKIP_1) | instid1(VALU_DEP_4)
	v_dual_add_f32 v2, v2, v4 :: v_dual_add_f32 v1, v1, v161
	v_mul_f32_e32 v4, v145, v109
	v_fma_f32 v5, v142, v106, -v5
	s_delay_alu instid0(VALU_DEP_3) | instskip(NEXT) | instid1(VALU_DEP_3)
	v_dual_add_f32 v2, v2, v3 :: v_dual_fmac_f32 v163, v137, v20
	v_fma_f32 v4, v144, v108, -v4
	s_delay_alu instid0(VALU_DEP_2) | instskip(SKIP_1) | instid1(VALU_DEP_2)
	v_add_f32_e32 v2, v2, v5
	v_mul_f32_e32 v5, v149, v113
	v_dual_add_f32 v1, v1, v162 :: v_dual_add_f32 v2, v2, v4
	s_delay_alu instid0(VALU_DEP_2) | instskip(SKIP_1) | instid1(VALU_DEP_3)
	v_fma_f32 v5, v148, v112, -v5
	v_mul_f32_e32 v3, v147, v111
	v_add_f32_e32 v1, v1, v163
	v_mul_f32_e32 v4, v151, v115
	s_delay_alu instid0(VALU_DEP_3) | instskip(NEXT) | instid1(VALU_DEP_3)
	v_fma_f32 v3, v146, v110, -v3
	v_add_f32_e32 v1, v1, v164
	s_delay_alu instid0(VALU_DEP_3) | instskip(NEXT) | instid1(VALU_DEP_3)
	v_fma_f32 v4, v150, v114, -v4
	v_dual_add_f32 v2, v2, v3 :: v_dual_mul_f32 v3, v153, v117
	s_delay_alu instid0(VALU_DEP_1) | instskip(NEXT) | instid1(VALU_DEP_4)
	v_add_f32_e32 v2, v2, v5
	v_add_f32_e32 v1, v1, v165
	s_delay_alu instid0(VALU_DEP_3) | instskip(NEXT) | instid1(VALU_DEP_3)
	v_fma_f32 v3, v152, v116, -v3
	v_add_f32_e32 v2, v2, v4
	v_fmac_f32_e32 v167, v145, v108
	s_delay_alu instid0(VALU_DEP_2) | instskip(NEXT) | instid1(VALU_DEP_1)
	v_dual_add_f32 v1, v1, v166 :: v_dual_add_f32 v2, v2, v3
	v_add_f32_e32 v1, v1, v167
	s_delay_alu instid0(VALU_DEP_1) | instskip(NEXT) | instid1(VALU_DEP_1)
	v_add_f32_e32 v1, v1, v168
	v_add_f32_e32 v1, v1, v169
	s_delay_alu instid0(VALU_DEP_1) | instskip(NEXT) | instid1(VALU_DEP_1)
	v_add_f32_e32 v1, v1, v170
	v_add_f32_e32 v3, v1, v171
	s_wait_loadcnt 0x0
	s_delay_alu instid0(VALU_DEP_1)
	v_dual_sub_f32 v1, v154, v2 :: v_dual_sub_f32 v2, v155, v3
	scratch_store_b64 off, v[1:2], off offset:160
	v_cmpx_lt_u32_e32 19, v0
	s_cbranch_execz .LBB102_209
; %bb.208:
	scratch_load_b64 v[1:2], off, off offset:152
	v_mov_b32_e32 v3, 0
	s_delay_alu instid0(VALU_DEP_1)
	v_mov_b32_e32 v4, v3
	scratch_store_b64 off, v[3:4], off offset:152
	s_wait_loadcnt 0x0
	ds_store_b64 v23, v[1:2]
.LBB102_209:
	s_wait_alu 0xfffe
	s_or_b32 exec_lo, exec_lo, s0
	s_wait_storecnt_dscnt 0x0
	s_barrier_signal -1
	s_barrier_wait -1
	global_inv scope:SCOPE_SE
	s_clause 0xa
	scratch_load_b128 v[2:5], off, off offset:160
	scratch_load_b128 v[6:9], off, off offset:176
	;; [unrolled: 1-line block ×9, first 2 shown]
	scratch_load_b64 v[154:155], off, off offset:304
	scratch_load_b64 v[156:157], off, off offset:152
	v_mov_b32_e32 v1, 0
	ds_load_b128 v[118:121], v1 offset:480
	ds_load_b128 v[122:125], v1 offset:496
	;; [unrolled: 1-line block ×9, first 2 shown]
	ds_load_b64 v[158:159], v1 offset:624
	s_mov_b32 s0, exec_lo
	s_wait_loadcnt_dscnt 0xa09
	v_mul_f32_e32 v22, v118, v3
	s_wait_loadcnt_dscnt 0x908
	v_dual_mul_f32 v160, v120, v5 :: v_dual_mul_f32 v161, v122, v7
	v_mul_f32_e32 v3, v119, v3
	s_delay_alu instid0(VALU_DEP_3)
	v_dual_mul_f32 v5, v121, v5 :: v_dual_fmac_f32 v22, v119, v2
	s_wait_loadcnt_dscnt 0x807
	v_dual_mul_f32 v162, v124, v9 :: v_dual_mul_f32 v163, v126, v11
	s_wait_loadcnt_dscnt 0x100
	v_dual_mul_f32 v174, v148, v113 :: v_dual_mul_f32 v177, v158, v155
	v_fma_f32 v3, v118, v2, -v3
	v_mul_f32_e32 v2, v123, v7
	v_fmac_f32_e32 v160, v121, v4
	v_fma_f32 v4, v120, v4, -v5
	v_dual_add_f32 v5, 0, v22 :: v_dual_fmac_f32 v162, v125, v8
	v_add_f32_e32 v3, 0, v3
	v_fmac_f32_e32 v161, v123, v6
	v_fma_f32 v2, v122, v6, -v2
	v_dual_mul_f32 v164, v128, v13 :: v_dual_mul_f32 v165, v130, v15
	s_delay_alu instid0(VALU_DEP_4) | instskip(SKIP_2) | instid1(VALU_DEP_4)
	v_add_f32_e32 v3, v3, v4
	v_mul_f32_e32 v7, v125, v9
	v_dual_add_f32 v4, v5, v160 :: v_dual_fmac_f32 v163, v127, v10
	v_fmac_f32_e32 v164, v129, v12
	s_delay_alu instid0(VALU_DEP_4) | instskip(NEXT) | instid1(VALU_DEP_4)
	v_add_f32_e32 v2, v3, v2
	v_fma_f32 v6, v124, v8, -v7
	v_mul_f32_e32 v5, v127, v11
	v_add_f32_e32 v3, v4, v161
	v_mul_f32_e32 v4, v129, v13
	v_dual_mul_f32 v166, v132, v17 :: v_dual_mul_f32 v167, v134, v19
	v_add_f32_e32 v2, v2, v6
	v_fma_f32 v5, v126, v10, -v5
	v_mul_f32_e32 v6, v131, v15
	v_add_f32_e32 v3, v3, v162
	v_fma_f32 v4, v128, v12, -v4
	v_dual_fmac_f32 v165, v131, v14 :: v_dual_fmac_f32 v166, v133, v16
	s_delay_alu instid0(VALU_DEP_3) | instskip(SKIP_3) | instid1(VALU_DEP_4)
	v_dual_add_f32 v2, v2, v5 :: v_dual_add_f32 v3, v3, v163
	v_mul_f32_e32 v5, v133, v17
	v_fma_f32 v6, v130, v14, -v6
	v_dual_mul_f32 v168, v136, v21 :: v_dual_mul_f32 v169, v138, v103
	v_add_f32_e32 v2, v2, v4
	v_add_f32_e32 v3, v3, v164
	v_mul_f32_e32 v4, v135, v19
	v_fma_f32 v5, v132, v16, -v5
	v_fmac_f32_e32 v167, v135, v18
	s_delay_alu instid0(VALU_DEP_4) | instskip(SKIP_3) | instid1(VALU_DEP_4)
	v_dual_add_f32 v2, v2, v6 :: v_dual_add_f32 v3, v3, v165
	v_fmac_f32_e32 v168, v137, v20
	v_mul_f32_e32 v6, v137, v21
	v_fma_f32 v4, v134, v18, -v4
	v_dual_add_f32 v2, v2, v5 :: v_dual_add_f32 v3, v3, v166
	v_mul_f32_e32 v5, v139, v103
	s_delay_alu instid0(VALU_DEP_4) | instskip(SKIP_1) | instid1(VALU_DEP_4)
	v_fma_f32 v6, v136, v20, -v6
	v_dual_mul_f32 v170, v140, v105 :: v_dual_mul_f32 v171, v142, v107
	v_dual_add_f32 v2, v2, v4 :: v_dual_add_f32 v3, v3, v167
	v_dual_mul_f32 v4, v141, v105 :: v_dual_fmac_f32 v169, v139, v102
	s_delay_alu instid0(VALU_DEP_3) | instskip(SKIP_1) | instid1(VALU_DEP_4)
	v_fmac_f32_e32 v170, v141, v104
	v_fma_f32 v5, v138, v102, -v5
	v_dual_add_f32 v2, v2, v6 :: v_dual_add_f32 v3, v3, v168
	v_mul_f32_e32 v6, v143, v107
	v_fma_f32 v4, v140, v104, -v4
	s_delay_alu instid0(VALU_DEP_3) | instskip(NEXT) | instid1(VALU_DEP_4)
	v_dual_fmac_f32 v171, v143, v106 :: v_dual_add_f32 v2, v2, v5
	v_add_f32_e32 v3, v3, v169
	v_dual_mul_f32 v172, v144, v109 :: v_dual_mul_f32 v173, v146, v111
	v_mul_f32_e32 v5, v145, v109
	v_fma_f32 v6, v142, v106, -v6
	s_delay_alu instid0(VALU_DEP_4) | instskip(NEXT) | instid1(VALU_DEP_4)
	v_dual_add_f32 v2, v2, v4 :: v_dual_add_f32 v3, v3, v170
	v_fmac_f32_e32 v172, v145, v108
	v_mul_f32_e32 v4, v147, v111
	v_fma_f32 v5, v144, v108, -v5
	s_delay_alu instid0(VALU_DEP_4) | instskip(SKIP_1) | instid1(VALU_DEP_4)
	v_dual_add_f32 v2, v2, v6 :: v_dual_add_f32 v3, v3, v171
	v_dual_mul_f32 v6, v149, v113 :: v_dual_fmac_f32 v173, v147, v110
	v_fma_f32 v4, v146, v110, -v4
	s_delay_alu instid0(VALU_DEP_3) | instskip(SKIP_3) | instid1(VALU_DEP_4)
	v_dual_add_f32 v2, v2, v5 :: v_dual_add_f32 v3, v3, v172
	v_dual_mul_f32 v175, v150, v115 :: v_dual_mul_f32 v176, v152, v117
	v_dual_mul_f32 v5, v151, v115 :: v_dual_fmac_f32 v174, v149, v112
	v_fma_f32 v6, v148, v112, -v6
	v_dual_add_f32 v2, v2, v4 :: v_dual_add_f32 v3, v3, v173
	s_delay_alu instid0(VALU_DEP_4) | instskip(NEXT) | instid1(VALU_DEP_4)
	v_dual_mul_f32 v4, v153, v117 :: v_dual_fmac_f32 v175, v151, v114
	v_fma_f32 v5, v150, v114, -v5
	s_delay_alu instid0(VALU_DEP_3) | instskip(NEXT) | instid1(VALU_DEP_4)
	v_dual_fmac_f32 v176, v153, v116 :: v_dual_add_f32 v3, v3, v174
	v_add_f32_e32 v2, v2, v6
	v_mul_f32_e32 v6, v159, v155
	v_fma_f32 v4, v152, v116, -v4
	v_fmac_f32_e32 v177, v159, v154
	s_delay_alu instid0(VALU_DEP_4) | instskip(NEXT) | instid1(VALU_DEP_4)
	v_dual_add_f32 v3, v3, v175 :: v_dual_add_f32 v2, v2, v5
	v_fma_f32 v5, v158, v154, -v6
	s_delay_alu instid0(VALU_DEP_2) | instskip(NEXT) | instid1(VALU_DEP_1)
	v_add_f32_e32 v3, v3, v176
	v_dual_add_f32 v2, v2, v4 :: v_dual_add_f32 v3, v3, v177
	s_wait_loadcnt 0x0
	s_delay_alu instid0(VALU_DEP_1) | instskip(NEXT) | instid1(VALU_DEP_1)
	v_dual_add_f32 v2, v2, v5 :: v_dual_sub_f32 v3, v157, v3
	v_sub_f32_e32 v2, v156, v2
	scratch_store_b64 off, v[2:3], off offset:152
	v_cmpx_lt_u32_e32 18, v0
	s_cbranch_execz .LBB102_211
; %bb.210:
	scratch_load_b64 v[3:4], off, off offset:144
	v_mov_b32_e32 v2, v1
	scratch_store_b64 off, v[1:2], off offset:144
	s_wait_loadcnt 0x0
	ds_store_b64 v23, v[3:4]
.LBB102_211:
	s_wait_alu 0xfffe
	s_or_b32 exec_lo, exec_lo, s0
	s_wait_storecnt_dscnt 0x0
	s_barrier_signal -1
	s_barrier_wait -1
	global_inv scope:SCOPE_SE
	s_clause 0xa
	scratch_load_b128 v[2:5], off, off offset:152
	scratch_load_b128 v[6:9], off, off offset:168
	scratch_load_b128 v[10:13], off, off offset:184
	scratch_load_b128 v[14:17], off, off offset:200
	scratch_load_b128 v[18:21], off, off offset:216
	scratch_load_b128 v[102:105], off, off offset:232
	scratch_load_b128 v[106:109], off, off offset:248
	scratch_load_b128 v[110:113], off, off offset:264
	scratch_load_b128 v[114:117], off, off offset:280
	scratch_load_b128 v[118:121], off, off offset:296
	scratch_load_b64 v[162:163], off, off offset:144
	ds_load_2addr_b64 v[122:125], v1 offset0:59 offset1:60
	ds_load_2addr_b64 v[126:129], v1 offset0:61 offset1:62
	;; [unrolled: 1-line block ×10, first 2 shown]
	s_mov_b32 s0, exec_lo
	s_wait_loadcnt_dscnt 0xa09
	v_dual_mul_f32 v1, v122, v3 :: v_dual_mul_f32 v22, v124, v5
	v_mul_f32_e32 v3, v123, v3
	s_wait_loadcnt_dscnt 0x908
	v_dual_mul_f32 v5, v125, v5 :: v_dual_mul_f32 v164, v126, v7
	s_delay_alu instid0(VALU_DEP_3) | instskip(NEXT) | instid1(VALU_DEP_3)
	v_dual_mul_f32 v165, v128, v9 :: v_dual_fmac_f32 v22, v125, v4
	v_fma_f32 v3, v122, v2, -v3
	v_fmac_f32_e32 v1, v123, v2
	v_mul_f32_e32 v2, v127, v7
	v_fma_f32 v4, v124, v4, -v5
	s_delay_alu instid0(VALU_DEP_4)
	v_dual_fmac_f32 v164, v127, v6 :: v_dual_add_f32 v3, 0, v3
	s_wait_loadcnt_dscnt 0x605
	v_dual_mul_f32 v170, v138, v19 :: v_dual_mul_f32 v171, v140, v21
	v_fma_f32 v2, v126, v6, -v2
	v_dual_mul_f32 v166, v130, v11 :: v_dual_mul_f32 v167, v132, v13
	v_add_f32_e32 v3, v3, v4
	v_dual_mul_f32 v5, v129, v9 :: v_dual_mul_f32 v168, v134, v15
	v_dual_mul_f32 v169, v136, v17 :: v_dual_mul_f32 v4, v131, v11
	s_delay_alu instid0(VALU_DEP_3) | instskip(NEXT) | instid1(VALU_DEP_3)
	v_add_f32_e32 v2, v3, v2
	v_fma_f32 v5, v128, v8, -v5
	v_dual_mul_f32 v3, v133, v13 :: v_dual_fmac_f32 v170, v139, v18
	s_delay_alu instid0(VALU_DEP_4) | instskip(SKIP_1) | instid1(VALU_DEP_4)
	v_fma_f32 v4, v130, v10, -v4
	v_dual_fmac_f32 v165, v129, v8 :: v_dual_fmac_f32 v166, v131, v10
	v_add_f32_e32 v2, v2, v5
	v_add_f32_e32 v1, 0, v1
	v_fma_f32 v3, v132, v12, -v3
	v_fmac_f32_e32 v168, v135, v14
	s_wait_loadcnt_dscnt 0x504
	v_dual_mul_f32 v172, v142, v103 :: v_dual_mul_f32 v173, v144, v105
	v_dual_add_f32 v1, v1, v22 :: v_dual_add_f32 v2, v2, v4
	v_mul_f32_e32 v4, v137, v17
	s_wait_loadcnt_dscnt 0x302
	v_dual_mul_f32 v176, v150, v111 :: v_dual_mul_f32 v177, v152, v113
	s_delay_alu instid0(VALU_DEP_3) | instskip(NEXT) | instid1(VALU_DEP_3)
	v_dual_add_f32 v1, v1, v164 :: v_dual_add_f32 v2, v2, v3
	v_fma_f32 v4, v136, v16, -v4
	v_mul_f32_e32 v5, v135, v15
	v_dual_mul_f32 v174, v146, v107 :: v_dual_mul_f32 v175, v148, v109
	s_wait_loadcnt_dscnt 0x201
	v_dual_add_f32 v1, v1, v165 :: v_dual_mul_f32 v178, v154, v115
	v_mul_f32_e32 v179, v156, v117
	v_fma_f32 v5, v134, v14, -v5
	v_fmac_f32_e32 v167, v133, v12
	s_delay_alu instid0(VALU_DEP_4) | instskip(SKIP_1) | instid1(VALU_DEP_4)
	v_add_f32_e32 v1, v1, v166
	v_dual_fmac_f32 v172, v143, v102 :: v_dual_fmac_f32 v173, v145, v104
	v_add_f32_e32 v2, v2, v5
	v_fmac_f32_e32 v174, v147, v106
	s_wait_loadcnt_dscnt 0x100
	v_dual_mul_f32 v180, v158, v119 :: v_dual_mul_f32 v181, v160, v121
	v_fmac_f32_e32 v175, v149, v108
	v_add_f32_e32 v2, v2, v4
	v_mul_f32_e32 v4, v143, v103
	s_delay_alu instid0(VALU_DEP_4) | instskip(SKIP_2) | instid1(VALU_DEP_4)
	v_dual_add_f32 v1, v1, v167 :: v_dual_fmac_f32 v180, v159, v118
	v_fmac_f32_e32 v177, v153, v112
	v_fmac_f32_e32 v179, v157, v116
	v_fma_f32 v4, v142, v102, -v4
	v_mul_f32_e32 v5, v141, v21
	v_add_f32_e32 v1, v1, v168
	v_dual_fmac_f32 v181, v161, v120 :: v_dual_fmac_f32 v176, v151, v110
	v_fmac_f32_e32 v178, v155, v114
	s_delay_alu instid0(VALU_DEP_4) | instskip(SKIP_1) | instid1(VALU_DEP_1)
	v_fma_f32 v5, v140, v20, -v5
	v_mul_f32_e32 v3, v139, v19
	v_fma_f32 v3, v138, v18, -v3
	s_delay_alu instid0(VALU_DEP_1) | instskip(SKIP_1) | instid1(VALU_DEP_2)
	v_dual_fmac_f32 v169, v137, v16 :: v_dual_add_f32 v2, v2, v3
	v_mul_f32_e32 v3, v145, v105
	v_dual_add_f32 v2, v2, v5 :: v_dual_mul_f32 v5, v147, v107
	s_delay_alu instid0(VALU_DEP_2) | instskip(NEXT) | instid1(VALU_DEP_2)
	v_fma_f32 v3, v144, v104, -v3
	v_dual_add_f32 v2, v2, v4 :: v_dual_add_f32 v1, v1, v169
	v_mul_f32_e32 v4, v149, v109
	s_delay_alu instid0(VALU_DEP_4) | instskip(NEXT) | instid1(VALU_DEP_3)
	v_fma_f32 v5, v146, v106, -v5
	v_dual_add_f32 v2, v2, v3 :: v_dual_fmac_f32 v171, v141, v20
	s_delay_alu instid0(VALU_DEP_3) | instskip(NEXT) | instid1(VALU_DEP_2)
	v_fma_f32 v4, v148, v108, -v4
	v_add_f32_e32 v2, v2, v5
	v_mul_f32_e32 v5, v153, v113
	s_delay_alu instid0(VALU_DEP_2) | instskip(NEXT) | instid1(VALU_DEP_2)
	v_dual_add_f32 v1, v1, v170 :: v_dual_add_f32 v2, v2, v4
	v_fma_f32 v5, v152, v112, -v5
	v_mul_f32_e32 v3, v151, v111
	s_delay_alu instid0(VALU_DEP_3) | instskip(SKIP_1) | instid1(VALU_DEP_3)
	v_add_f32_e32 v1, v1, v171
	v_mul_f32_e32 v4, v155, v115
	v_fma_f32 v3, v150, v110, -v3
	s_delay_alu instid0(VALU_DEP_3) | instskip(NEXT) | instid1(VALU_DEP_3)
	v_add_f32_e32 v1, v1, v172
	v_fma_f32 v4, v154, v114, -v4
	s_delay_alu instid0(VALU_DEP_3) | instskip(NEXT) | instid1(VALU_DEP_1)
	v_dual_add_f32 v2, v2, v3 :: v_dual_mul_f32 v3, v157, v117
	v_add_f32_e32 v2, v2, v5
	s_delay_alu instid0(VALU_DEP_4) | instskip(SKIP_1) | instid1(VALU_DEP_4)
	v_add_f32_e32 v1, v1, v173
	v_mul_f32_e32 v5, v159, v119
	v_fma_f32 v3, v156, v116, -v3
	s_delay_alu instid0(VALU_DEP_3) | instskip(SKIP_1) | instid1(VALU_DEP_4)
	v_dual_add_f32 v2, v2, v4 :: v_dual_add_f32 v1, v1, v174
	v_mul_f32_e32 v4, v161, v121
	v_fma_f32 v5, v158, v118, -v5
	s_delay_alu instid0(VALU_DEP_3) | instskip(NEXT) | instid1(VALU_DEP_4)
	v_add_f32_e32 v2, v2, v3
	v_add_f32_e32 v1, v1, v175
	s_delay_alu instid0(VALU_DEP_4) | instskip(NEXT) | instid1(VALU_DEP_2)
	v_fma_f32 v3, v160, v120, -v4
	v_dual_add_f32 v2, v2, v5 :: v_dual_add_f32 v1, v1, v176
	s_delay_alu instid0(VALU_DEP_1) | instskip(NEXT) | instid1(VALU_DEP_1)
	v_dual_add_f32 v2, v2, v3 :: v_dual_add_f32 v1, v1, v177
	v_add_f32_e32 v1, v1, v178
	s_delay_alu instid0(VALU_DEP_1) | instskip(NEXT) | instid1(VALU_DEP_1)
	v_add_f32_e32 v1, v1, v179
	v_add_f32_e32 v1, v1, v180
	s_delay_alu instid0(VALU_DEP_1) | instskip(SKIP_1) | instid1(VALU_DEP_1)
	v_add_f32_e32 v3, v1, v181
	s_wait_loadcnt 0x0
	v_dual_sub_f32 v1, v162, v2 :: v_dual_sub_f32 v2, v163, v3
	scratch_store_b64 off, v[1:2], off offset:144
	v_cmpx_lt_u32_e32 17, v0
	s_cbranch_execz .LBB102_213
; %bb.212:
	scratch_load_b64 v[1:2], off, off offset:136
	v_mov_b32_e32 v3, 0
	s_delay_alu instid0(VALU_DEP_1)
	v_mov_b32_e32 v4, v3
	scratch_store_b64 off, v[3:4], off offset:136
	s_wait_loadcnt 0x0
	ds_store_b64 v23, v[1:2]
.LBB102_213:
	s_wait_alu 0xfffe
	s_or_b32 exec_lo, exec_lo, s0
	s_wait_storecnt_dscnt 0x0
	s_barrier_signal -1
	s_barrier_wait -1
	global_inv scope:SCOPE_SE
	s_clause 0xb
	scratch_load_b128 v[2:5], off, off offset:144
	scratch_load_b128 v[6:9], off, off offset:160
	;; [unrolled: 1-line block ×10, first 2 shown]
	scratch_load_b64 v[162:163], off, off offset:304
	scratch_load_b64 v[164:165], off, off offset:136
	v_mov_b32_e32 v1, 0
	ds_load_b128 v[122:125], v1 offset:464
	ds_load_b128 v[126:129], v1 offset:480
	;; [unrolled: 1-line block ×10, first 2 shown]
	ds_load_b64 v[166:167], v1 offset:624
	s_mov_b32 s0, exec_lo
	s_wait_loadcnt_dscnt 0xb0a
	v_mul_f32_e32 v22, v122, v3
	s_wait_loadcnt_dscnt 0xa09
	v_dual_mul_f32 v168, v124, v5 :: v_dual_mul_f32 v169, v126, v7
	v_mul_f32_e32 v5, v125, v5
	v_dual_mul_f32 v3, v123, v3 :: v_dual_mul_f32 v170, v128, v9
	s_wait_loadcnt_dscnt 0x908
	v_dual_mul_f32 v171, v130, v11 :: v_dual_fmac_f32 v22, v123, v2
	s_wait_loadcnt_dscnt 0x302
	v_mul_f32_e32 v184, v156, v117
	v_fma_f32 v3, v122, v2, -v3
	s_wait_loadcnt_dscnt 0x100
	v_mul_f32_e32 v187, v166, v163
	v_mul_f32_e32 v2, v127, v7
	v_fmac_f32_e32 v168, v125, v4
	v_fma_f32 v4, v124, v4, -v5
	v_add_f32_e32 v3, 0, v3
	v_dual_add_f32 v5, 0, v22 :: v_dual_fmac_f32 v170, v129, v8
	v_fmac_f32_e32 v169, v127, v6
	v_fma_f32 v2, v126, v6, -v2
	s_delay_alu instid0(VALU_DEP_4) | instskip(SKIP_3) | instid1(VALU_DEP_4)
	v_add_f32_e32 v3, v3, v4
	v_mul_f32_e32 v7, v129, v9
	v_add_f32_e32 v4, v5, v168
	v_dual_mul_f32 v172, v132, v13 :: v_dual_mul_f32 v173, v134, v15
	v_add_f32_e32 v2, v3, v2
	s_delay_alu instid0(VALU_DEP_4)
	v_fma_f32 v6, v128, v8, -v7
	v_mul_f32_e32 v5, v131, v11
	v_add_f32_e32 v3, v4, v169
	v_dual_mul_f32 v4, v133, v13 :: v_dual_fmac_f32 v171, v131, v10
	v_fmac_f32_e32 v172, v133, v12
	v_add_f32_e32 v2, v2, v6
	v_fma_f32 v5, v130, v10, -v5
	v_mul_f32_e32 v6, v135, v15
	v_add_f32_e32 v3, v3, v170
	v_fma_f32 v4, v132, v12, -v4
	v_dual_mul_f32 v174, v136, v17 :: v_dual_mul_f32 v175, v138, v19
	s_delay_alu instid0(VALU_DEP_3) | instskip(SKIP_1) | instid1(VALU_DEP_3)
	v_dual_add_f32 v2, v2, v5 :: v_dual_add_f32 v3, v3, v171
	v_mul_f32_e32 v5, v137, v17
	v_dual_fmac_f32 v173, v135, v14 :: v_dual_fmac_f32 v174, v137, v16
	v_fma_f32 v6, v134, v14, -v6
	s_delay_alu instid0(VALU_DEP_4) | instskip(SKIP_4) | instid1(VALU_DEP_4)
	v_add_f32_e32 v2, v2, v4
	v_dual_add_f32 v3, v3, v172 :: v_dual_mul_f32 v176, v140, v21
	v_mul_f32_e32 v177, v142, v103
	v_mul_f32_e32 v4, v139, v19
	v_fma_f32 v5, v136, v16, -v5
	v_dual_add_f32 v2, v2, v6 :: v_dual_add_f32 v3, v3, v173
	v_fmac_f32_e32 v176, v141, v20
	v_dual_mul_f32 v6, v141, v21 :: v_dual_fmac_f32 v175, v139, v18
	v_fma_f32 v4, v138, v18, -v4
	s_delay_alu instid0(VALU_DEP_4) | instskip(SKIP_1) | instid1(VALU_DEP_4)
	v_dual_add_f32 v2, v2, v5 :: v_dual_add_f32 v3, v3, v174
	v_mul_f32_e32 v5, v143, v103
	v_fma_f32 v6, v140, v20, -v6
	v_dual_mul_f32 v178, v144, v105 :: v_dual_mul_f32 v179, v146, v107
	s_delay_alu instid0(VALU_DEP_4) | instskip(SKIP_1) | instid1(VALU_DEP_3)
	v_dual_add_f32 v2, v2, v4 :: v_dual_add_f32 v3, v3, v175
	v_dual_mul_f32 v4, v145, v105 :: v_dual_fmac_f32 v177, v143, v102
	v_fmac_f32_e32 v178, v145, v104
	v_fma_f32 v5, v142, v102, -v5
	s_delay_alu instid0(VALU_DEP_4) | instskip(SKIP_2) | instid1(VALU_DEP_3)
	v_dual_add_f32 v2, v2, v6 :: v_dual_add_f32 v3, v3, v176
	v_mul_f32_e32 v6, v147, v107
	v_fma_f32 v4, v144, v104, -v4
	v_dual_fmac_f32 v179, v147, v106 :: v_dual_add_f32 v2, v2, v5
	s_delay_alu instid0(VALU_DEP_4) | instskip(SKIP_3) | instid1(VALU_DEP_4)
	v_add_f32_e32 v3, v3, v177
	v_dual_mul_f32 v180, v148, v109 :: v_dual_mul_f32 v181, v150, v111
	v_mul_f32_e32 v5, v149, v109
	v_fma_f32 v6, v146, v106, -v6
	v_dual_add_f32 v2, v2, v4 :: v_dual_add_f32 v3, v3, v178
	s_delay_alu instid0(VALU_DEP_4) | instskip(SKIP_2) | instid1(VALU_DEP_4)
	v_fmac_f32_e32 v180, v149, v108
	v_mul_f32_e32 v4, v151, v111
	v_fma_f32 v5, v148, v108, -v5
	v_dual_add_f32 v2, v2, v6 :: v_dual_add_f32 v3, v3, v179
	v_dual_mul_f32 v182, v152, v113 :: v_dual_mul_f32 v183, v154, v115
	v_dual_mul_f32 v6, v153, v113 :: v_dual_fmac_f32 v181, v151, v110
	v_fma_f32 v4, v150, v110, -v4
	s_delay_alu instid0(VALU_DEP_4) | instskip(NEXT) | instid1(VALU_DEP_4)
	v_dual_add_f32 v2, v2, v5 :: v_dual_add_f32 v3, v3, v180
	v_dual_mul_f32 v5, v155, v115 :: v_dual_fmac_f32 v182, v153, v112
	s_delay_alu instid0(VALU_DEP_4) | instskip(NEXT) | instid1(VALU_DEP_3)
	v_fma_f32 v6, v152, v112, -v6
	v_dual_add_f32 v2, v2, v4 :: v_dual_add_f32 v3, v3, v181
	v_dual_mul_f32 v4, v157, v117 :: v_dual_fmac_f32 v183, v155, v114
	s_delay_alu instid0(VALU_DEP_4) | instskip(NEXT) | instid1(VALU_DEP_3)
	v_fma_f32 v5, v154, v114, -v5
	v_dual_fmac_f32 v184, v157, v116 :: v_dual_add_f32 v3, v3, v182
	s_delay_alu instid0(VALU_DEP_4) | instskip(SKIP_3) | instid1(VALU_DEP_4)
	v_add_f32_e32 v2, v2, v6
	v_dual_mul_f32 v185, v158, v119 :: v_dual_mul_f32 v186, v160, v121
	v_mul_f32_e32 v6, v159, v119
	v_fma_f32 v4, v156, v116, -v4
	v_dual_add_f32 v3, v3, v183 :: v_dual_add_f32 v2, v2, v5
	s_delay_alu instid0(VALU_DEP_4) | instskip(SKIP_2) | instid1(VALU_DEP_4)
	v_fmac_f32_e32 v185, v159, v118
	v_mul_f32_e32 v5, v161, v121
	v_fma_f32 v6, v158, v118, -v6
	v_add_f32_e32 v3, v3, v184
	v_add_f32_e32 v2, v2, v4
	v_mul_f32_e32 v4, v167, v163
	v_dual_fmac_f32 v186, v161, v120 :: v_dual_fmac_f32 v187, v167, v162
	v_fma_f32 v5, v160, v120, -v5
	s_delay_alu instid0(VALU_DEP_4) | instskip(NEXT) | instid1(VALU_DEP_4)
	v_dual_add_f32 v3, v3, v185 :: v_dual_add_f32 v2, v2, v6
	v_fma_f32 v4, v166, v162, -v4
	s_delay_alu instid0(VALU_DEP_2) | instskip(NEXT) | instid1(VALU_DEP_1)
	v_dual_add_f32 v3, v3, v186 :: v_dual_add_f32 v2, v2, v5
	v_dual_add_f32 v3, v3, v187 :: v_dual_add_f32 v2, v2, v4
	s_wait_loadcnt 0x0
	s_delay_alu instid0(VALU_DEP_1)
	v_dual_sub_f32 v3, v165, v3 :: v_dual_sub_f32 v2, v164, v2
	scratch_store_b64 off, v[2:3], off offset:136
	v_cmpx_lt_u32_e32 16, v0
	s_cbranch_execz .LBB102_215
; %bb.214:
	scratch_load_b64 v[3:4], off, off offset:128
	v_mov_b32_e32 v2, v1
	scratch_store_b64 off, v[1:2], off offset:128
	s_wait_loadcnt 0x0
	ds_store_b64 v23, v[3:4]
.LBB102_215:
	s_wait_alu 0xfffe
	s_or_b32 exec_lo, exec_lo, s0
	s_wait_storecnt_dscnt 0x0
	s_barrier_signal -1
	s_barrier_wait -1
	global_inv scope:SCOPE_SE
	s_clause 0xb
	scratch_load_b128 v[2:5], off, off offset:136
	scratch_load_b128 v[6:9], off, off offset:152
	;; [unrolled: 1-line block ×11, first 2 shown]
	scratch_load_b64 v[170:171], off, off offset:128
	ds_load_2addr_b64 v[126:129], v1 offset0:57 offset1:58
	ds_load_2addr_b64 v[130:133], v1 offset0:59 offset1:60
	;; [unrolled: 1-line block ×11, first 2 shown]
	s_mov_b32 s0, exec_lo
	s_wait_loadcnt_dscnt 0xb0a
	v_dual_mul_f32 v1, v126, v3 :: v_dual_mul_f32 v22, v128, v5
	v_mul_f32_e32 v3, v127, v3
	s_wait_loadcnt_dscnt 0xa09
	v_dual_mul_f32 v5, v129, v5 :: v_dual_mul_f32 v172, v130, v7
	s_delay_alu instid0(VALU_DEP_3) | instskip(NEXT) | instid1(VALU_DEP_3)
	v_dual_mul_f32 v173, v132, v9 :: v_dual_fmac_f32 v22, v129, v4
	v_fma_f32 v3, v126, v2, -v3
	v_fmac_f32_e32 v1, v127, v2
	v_mul_f32_e32 v2, v131, v7
	v_fma_f32 v4, v128, v4, -v5
	s_delay_alu instid0(VALU_DEP_4)
	v_dual_fmac_f32 v172, v131, v6 :: v_dual_add_f32 v3, 0, v3
	s_wait_loadcnt_dscnt 0x706
	v_dual_mul_f32 v178, v142, v19 :: v_dual_mul_f32 v179, v144, v21
	v_fma_f32 v2, v130, v6, -v2
	v_dual_mul_f32 v174, v134, v11 :: v_dual_mul_f32 v175, v136, v13
	v_add_f32_e32 v3, v3, v4
	v_dual_mul_f32 v5, v133, v9 :: v_dual_mul_f32 v176, v138, v15
	v_dual_mul_f32 v177, v140, v17 :: v_dual_mul_f32 v4, v135, v11
	s_delay_alu instid0(VALU_DEP_3) | instskip(NEXT) | instid1(VALU_DEP_3)
	v_add_f32_e32 v2, v3, v2
	v_fma_f32 v5, v132, v8, -v5
	v_dual_mul_f32 v3, v137, v13 :: v_dual_fmac_f32 v178, v143, v18
	s_delay_alu instid0(VALU_DEP_4) | instskip(SKIP_1) | instid1(VALU_DEP_4)
	v_fma_f32 v4, v134, v10, -v4
	v_dual_fmac_f32 v173, v133, v8 :: v_dual_fmac_f32 v174, v135, v10
	v_add_f32_e32 v2, v2, v5
	v_add_f32_e32 v1, 0, v1
	v_fma_f32 v3, v136, v12, -v3
	v_fmac_f32_e32 v176, v139, v14
	s_wait_loadcnt_dscnt 0x605
	v_dual_mul_f32 v180, v146, v103 :: v_dual_mul_f32 v181, v148, v105
	v_dual_add_f32 v1, v1, v22 :: v_dual_add_f32 v2, v2, v4
	v_mul_f32_e32 v4, v141, v17
	s_wait_loadcnt_dscnt 0x403
	v_dual_mul_f32 v184, v154, v111 :: v_dual_mul_f32 v185, v156, v113
	s_delay_alu instid0(VALU_DEP_3) | instskip(NEXT) | instid1(VALU_DEP_3)
	v_dual_add_f32 v1, v1, v172 :: v_dual_add_f32 v2, v2, v3
	v_fma_f32 v4, v140, v16, -v4
	v_mul_f32_e32 v5, v139, v15
	v_dual_mul_f32 v182, v150, v107 :: v_dual_mul_f32 v183, v152, v109
	s_wait_loadcnt_dscnt 0x100
	v_dual_add_f32 v1, v1, v173 :: v_dual_mul_f32 v190, v166, v123
	v_mul_f32_e32 v191, v168, v125
	v_fma_f32 v5, v138, v14, -v5
	v_fmac_f32_e32 v175, v137, v12
	s_delay_alu instid0(VALU_DEP_4)
	v_add_f32_e32 v1, v1, v174
	v_fmac_f32_e32 v180, v147, v102
	v_dual_mul_f32 v186, v158, v115 :: v_dual_mul_f32 v187, v160, v117
	v_add_f32_e32 v2, v2, v5
	v_dual_fmac_f32 v182, v151, v106 :: v_dual_fmac_f32 v181, v149, v104
	v_dual_mul_f32 v188, v162, v119 :: v_dual_mul_f32 v189, v164, v121
	s_delay_alu instid0(VALU_DEP_3) | instskip(SKIP_2) | instid1(VALU_DEP_4)
	v_add_f32_e32 v2, v2, v4
	v_mul_f32_e32 v4, v147, v103
	v_add_f32_e32 v1, v1, v175
	v_dual_fmac_f32 v183, v153, v108 :: v_dual_fmac_f32 v188, v163, v118
	v_fmac_f32_e32 v187, v161, v116
	s_delay_alu instid0(VALU_DEP_4) | instskip(SKIP_4) | instid1(VALU_DEP_4)
	v_fma_f32 v4, v146, v102, -v4
	v_mul_f32_e32 v5, v145, v21
	v_add_f32_e32 v1, v1, v176
	v_dual_fmac_f32 v189, v165, v120 :: v_dual_fmac_f32 v184, v155, v110
	v_fmac_f32_e32 v191, v169, v124
	v_fma_f32 v5, v144, v20, -v5
	v_mul_f32_e32 v3, v143, v19
	v_fmac_f32_e32 v190, v167, v122
	v_fmac_f32_e32 v186, v159, v114
	s_delay_alu instid0(VALU_DEP_3) | instskip(NEXT) | instid1(VALU_DEP_1)
	v_fma_f32 v3, v142, v18, -v3
	v_dual_fmac_f32 v177, v141, v16 :: v_dual_add_f32 v2, v2, v3
	v_mul_f32_e32 v3, v149, v105
	s_delay_alu instid0(VALU_DEP_2) | instskip(NEXT) | instid1(VALU_DEP_2)
	v_dual_add_f32 v2, v2, v5 :: v_dual_mul_f32 v5, v151, v107
	v_fma_f32 v3, v148, v104, -v3
	s_delay_alu instid0(VALU_DEP_2) | instskip(SKIP_1) | instid1(VALU_DEP_4)
	v_dual_add_f32 v2, v2, v4 :: v_dual_add_f32 v1, v1, v177
	v_mul_f32_e32 v4, v153, v109
	v_fma_f32 v5, v150, v106, -v5
	s_delay_alu instid0(VALU_DEP_3) | instskip(NEXT) | instid1(VALU_DEP_3)
	v_dual_add_f32 v2, v2, v3 :: v_dual_fmac_f32 v179, v145, v20
	v_fma_f32 v4, v152, v108, -v4
	s_delay_alu instid0(VALU_DEP_2) | instskip(SKIP_1) | instid1(VALU_DEP_2)
	v_add_f32_e32 v2, v2, v5
	v_mul_f32_e32 v5, v157, v113
	v_dual_add_f32 v1, v1, v178 :: v_dual_add_f32 v2, v2, v4
	s_delay_alu instid0(VALU_DEP_2) | instskip(SKIP_1) | instid1(VALU_DEP_3)
	v_fma_f32 v5, v156, v112, -v5
	v_mul_f32_e32 v3, v155, v111
	v_add_f32_e32 v1, v1, v179
	v_mul_f32_e32 v4, v159, v115
	s_delay_alu instid0(VALU_DEP_3) | instskip(NEXT) | instid1(VALU_DEP_3)
	v_fma_f32 v3, v154, v110, -v3
	v_add_f32_e32 v1, v1, v180
	s_delay_alu instid0(VALU_DEP_3) | instskip(NEXT) | instid1(VALU_DEP_3)
	v_fma_f32 v4, v158, v114, -v4
	v_add_f32_e32 v2, v2, v3
	s_delay_alu instid0(VALU_DEP_1) | instskip(NEXT) | instid1(VALU_DEP_4)
	v_add_f32_e32 v2, v2, v5
	v_add_f32_e32 v1, v1, v181
	s_delay_alu instid0(VALU_DEP_2) | instskip(SKIP_1) | instid1(VALU_DEP_2)
	v_dual_mul_f32 v5, v163, v119 :: v_dual_add_f32 v2, v2, v4
	v_mul_f32_e32 v4, v165, v121
	v_fma_f32 v5, v162, v118, -v5
	s_delay_alu instid0(VALU_DEP_2) | instskip(SKIP_1) | instid1(VALU_DEP_1)
	v_fma_f32 v4, v164, v120, -v4
	v_mul_f32_e32 v3, v161, v117
	v_fma_f32 v3, v160, v116, -v3
	s_delay_alu instid0(VALU_DEP_1) | instskip(NEXT) | instid1(VALU_DEP_1)
	v_dual_add_f32 v1, v1, v182 :: v_dual_add_f32 v2, v2, v3
	v_add_f32_e32 v1, v1, v183
	s_delay_alu instid0(VALU_DEP_2) | instskip(NEXT) | instid1(VALU_DEP_2)
	v_dual_mul_f32 v3, v167, v123 :: v_dual_add_f32 v2, v2, v5
	v_add_f32_e32 v1, v1, v184
	v_mul_f32_e32 v5, v169, v125
	s_delay_alu instid0(VALU_DEP_3) | instskip(NEXT) | instid1(VALU_DEP_4)
	v_fma_f32 v3, v166, v122, -v3
	v_add_f32_e32 v2, v2, v4
	v_fmac_f32_e32 v185, v157, v112
	s_delay_alu instid0(VALU_DEP_4) | instskip(NEXT) | instid1(VALU_DEP_2)
	v_fma_f32 v4, v168, v124, -v5
	v_dual_add_f32 v2, v2, v3 :: v_dual_add_f32 v1, v1, v185
	s_delay_alu instid0(VALU_DEP_1) | instskip(NEXT) | instid1(VALU_DEP_1)
	v_dual_add_f32 v2, v2, v4 :: v_dual_add_f32 v1, v1, v186
	v_add_f32_e32 v1, v1, v187
	s_delay_alu instid0(VALU_DEP_1) | instskip(NEXT) | instid1(VALU_DEP_1)
	v_add_f32_e32 v1, v1, v188
	v_add_f32_e32 v1, v1, v189
	s_delay_alu instid0(VALU_DEP_1) | instskip(NEXT) | instid1(VALU_DEP_1)
	v_add_f32_e32 v1, v1, v190
	v_add_f32_e32 v3, v1, v191
	s_wait_loadcnt 0x0
	s_delay_alu instid0(VALU_DEP_1)
	v_dual_sub_f32 v1, v170, v2 :: v_dual_sub_f32 v2, v171, v3
	scratch_store_b64 off, v[1:2], off offset:128
	v_cmpx_lt_u32_e32 15, v0
	s_cbranch_execz .LBB102_217
; %bb.216:
	scratch_load_b64 v[1:2], off, off offset:120
	v_mov_b32_e32 v3, 0
	s_delay_alu instid0(VALU_DEP_1)
	v_mov_b32_e32 v4, v3
	scratch_store_b64 off, v[3:4], off offset:120
	s_wait_loadcnt 0x0
	ds_store_b64 v23, v[1:2]
.LBB102_217:
	s_wait_alu 0xfffe
	s_or_b32 exec_lo, exec_lo, s0
	s_wait_storecnt_dscnt 0x0
	s_barrier_signal -1
	s_barrier_wait -1
	global_inv scope:SCOPE_SE
	s_clause 0xc
	scratch_load_b128 v[2:5], off, off offset:128
	scratch_load_b128 v[6:9], off, off offset:144
	;; [unrolled: 1-line block ×11, first 2 shown]
	scratch_load_b64 v[170:171], off, off offset:304
	scratch_load_b64 v[172:173], off, off offset:120
	v_mov_b32_e32 v1, 0
	ds_load_b128 v[126:129], v1 offset:448
	ds_load_b128 v[130:133], v1 offset:464
	;; [unrolled: 1-line block ×11, first 2 shown]
	ds_load_b64 v[174:175], v1 offset:624
	s_mov_b32 s0, exec_lo
	s_wait_loadcnt_dscnt 0xc0b
	v_mul_f32_e32 v22, v126, v3
	s_wait_loadcnt_dscnt 0xb0a
	v_dual_mul_f32 v176, v128, v5 :: v_dual_mul_f32 v177, v130, v7
	v_mul_f32_e32 v5, v129, v5
	s_wait_loadcnt_dscnt 0xa09
	v_dual_mul_f32 v178, v132, v9 :: v_dual_mul_f32 v179, v134, v11
	v_mul_f32_e32 v3, v127, v3
	v_fmac_f32_e32 v22, v127, v2
	s_wait_loadcnt_dscnt 0x908
	v_dual_mul_f32 v180, v136, v13 :: v_dual_mul_f32 v181, v138, v15
	s_wait_loadcnt_dscnt 0x100
	v_dual_mul_f32 v194, v164, v121 :: v_dual_mul_f32 v197, v174, v171
	v_fma_f32 v3, v126, v2, -v3
	v_mul_f32_e32 v2, v131, v7
	v_fmac_f32_e32 v176, v129, v4
	v_fma_f32 v4, v128, v4, -v5
	v_dual_add_f32 v5, 0, v22 :: v_dual_fmac_f32 v178, v133, v8
	v_add_f32_e32 v3, 0, v3
	v_fmac_f32_e32 v177, v131, v6
	v_fma_f32 v2, v130, v6, -v2
	v_dual_fmac_f32 v179, v135, v10 :: v_dual_fmac_f32 v180, v137, v12
	s_delay_alu instid0(VALU_DEP_4) | instskip(SKIP_3) | instid1(VALU_DEP_4)
	v_add_f32_e32 v3, v3, v4
	v_mul_f32_e32 v7, v133, v9
	v_add_f32_e32 v4, v5, v176
	v_dual_mul_f32 v182, v140, v17 :: v_dual_mul_f32 v183, v142, v19
	v_add_f32_e32 v2, v3, v2
	s_delay_alu instid0(VALU_DEP_4)
	v_fma_f32 v6, v132, v8, -v7
	v_mul_f32_e32 v5, v135, v11
	v_add_f32_e32 v3, v4, v177
	v_dual_mul_f32 v4, v137, v13 :: v_dual_fmac_f32 v181, v139, v14
	v_fmac_f32_e32 v182, v141, v16
	v_add_f32_e32 v2, v2, v6
	v_fma_f32 v5, v134, v10, -v5
	v_mul_f32_e32 v6, v139, v15
	v_add_f32_e32 v3, v3, v178
	v_fma_f32 v4, v136, v12, -v4
	v_dual_mul_f32 v184, v144, v21 :: v_dual_mul_f32 v185, v146, v103
	s_delay_alu instid0(VALU_DEP_3) | instskip(SKIP_2) | instid1(VALU_DEP_3)
	v_dual_add_f32 v2, v2, v5 :: v_dual_add_f32 v3, v3, v179
	v_mul_f32_e32 v5, v141, v17
	v_fma_f32 v6, v138, v14, -v6
	v_dual_fmac_f32 v183, v143, v18 :: v_dual_add_f32 v2, v2, v4
	s_delay_alu instid0(VALU_DEP_4) | instskip(SKIP_3) | instid1(VALU_DEP_4)
	v_add_f32_e32 v3, v3, v180
	v_mul_f32_e32 v4, v143, v19
	v_fma_f32 v5, v140, v16, -v5
	v_fmac_f32_e32 v184, v145, v20
	v_dual_add_f32 v2, v2, v6 :: v_dual_add_f32 v3, v3, v181
	v_mul_f32_e32 v6, v145, v21
	v_fma_f32 v4, v142, v18, -v4
	v_dual_mul_f32 v186, v148, v105 :: v_dual_mul_f32 v187, v150, v107
	s_delay_alu instid0(VALU_DEP_4) | instskip(SKIP_2) | instid1(VALU_DEP_4)
	v_dual_add_f32 v2, v2, v5 :: v_dual_add_f32 v3, v3, v182
	v_mul_f32_e32 v5, v147, v103
	v_fma_f32 v6, v144, v20, -v6
	v_dual_fmac_f32 v185, v147, v102 :: v_dual_fmac_f32 v186, v149, v104
	s_delay_alu instid0(VALU_DEP_4) | instskip(SKIP_3) | instid1(VALU_DEP_4)
	v_dual_add_f32 v2, v2, v4 :: v_dual_add_f32 v3, v3, v183
	v_mul_f32_e32 v4, v149, v105
	v_fma_f32 v5, v146, v102, -v5
	v_fmac_f32_e32 v187, v151, v106
	v_dual_add_f32 v2, v2, v6 :: v_dual_add_f32 v3, v3, v184
	v_mul_f32_e32 v6, v151, v107
	v_fma_f32 v4, v148, v104, -v4
	v_dual_mul_f32 v188, v152, v109 :: v_dual_mul_f32 v189, v154, v111
	s_delay_alu instid0(VALU_DEP_4) | instskip(SKIP_4) | instid1(VALU_DEP_4)
	v_add_f32_e32 v2, v2, v5
	v_add_f32_e32 v3, v3, v185
	v_mul_f32_e32 v5, v153, v109
	v_fma_f32 v6, v150, v106, -v6
	v_fmac_f32_e32 v188, v153, v108
	v_dual_add_f32 v2, v2, v4 :: v_dual_add_f32 v3, v3, v186
	v_mul_f32_e32 v4, v155, v111
	v_fma_f32 v5, v152, v108, -v5
	v_dual_mul_f32 v190, v156, v113 :: v_dual_mul_f32 v191, v158, v115
	s_delay_alu instid0(VALU_DEP_4) | instskip(SKIP_2) | instid1(VALU_DEP_3)
	v_dual_add_f32 v2, v2, v6 :: v_dual_add_f32 v3, v3, v187
	v_dual_mul_f32 v6, v157, v113 :: v_dual_fmac_f32 v189, v155, v110
	v_fma_f32 v4, v154, v110, -v4
	v_dual_add_f32 v2, v2, v5 :: v_dual_add_f32 v3, v3, v188
	v_dual_mul_f32 v192, v160, v117 :: v_dual_mul_f32 v193, v162, v119
	v_dual_mul_f32 v5, v159, v115 :: v_dual_fmac_f32 v190, v157, v112
	v_fma_f32 v6, v156, v112, -v6
	s_delay_alu instid0(VALU_DEP_4) | instskip(SKIP_1) | instid1(VALU_DEP_4)
	v_dual_add_f32 v2, v2, v4 :: v_dual_add_f32 v3, v3, v189
	v_dual_mul_f32 v4, v161, v117 :: v_dual_fmac_f32 v191, v159, v114
	v_fma_f32 v5, v158, v114, -v5
	s_delay_alu instid0(VALU_DEP_3) | instskip(NEXT) | instid1(VALU_DEP_4)
	v_dual_fmac_f32 v192, v161, v116 :: v_dual_add_f32 v3, v3, v190
	v_add_f32_e32 v2, v2, v6
	v_mul_f32_e32 v6, v163, v119
	v_fma_f32 v4, v160, v116, -v4
	v_fmac_f32_e32 v193, v163, v118
	s_delay_alu instid0(VALU_DEP_4) | instskip(SKIP_3) | instid1(VALU_DEP_4)
	v_dual_add_f32 v3, v3, v191 :: v_dual_add_f32 v2, v2, v5
	v_mul_f32_e32 v5, v165, v121
	v_fma_f32 v6, v162, v118, -v6
	v_dual_mul_f32 v195, v166, v123 :: v_dual_mul_f32 v196, v168, v125
	v_add_f32_e32 v3, v3, v192
	v_add_f32_e32 v2, v2, v4
	v_mul_f32_e32 v4, v167, v123
	s_delay_alu instid0(VALU_DEP_4) | instskip(SKIP_1) | instid1(VALU_DEP_4)
	v_dual_fmac_f32 v194, v165, v120 :: v_dual_fmac_f32 v195, v167, v122
	v_fma_f32 v5, v164, v120, -v5
	v_dual_add_f32 v3, v3, v193 :: v_dual_add_f32 v2, v2, v6
	v_mul_f32_e32 v6, v169, v125
	v_fma_f32 v4, v166, v122, -v4
	v_fmac_f32_e32 v197, v175, v170
	s_delay_alu instid0(VALU_DEP_4) | instskip(SKIP_2) | instid1(VALU_DEP_3)
	v_dual_add_f32 v3, v3, v194 :: v_dual_add_f32 v2, v2, v5
	v_dual_mul_f32 v5, v175, v171 :: v_dual_fmac_f32 v196, v169, v124
	v_fma_f32 v6, v168, v124, -v6
	v_dual_add_f32 v3, v3, v195 :: v_dual_add_f32 v2, v2, v4
	s_delay_alu instid0(VALU_DEP_3) | instskip(NEXT) | instid1(VALU_DEP_2)
	v_fma_f32 v4, v174, v170, -v5
	v_dual_add_f32 v3, v3, v196 :: v_dual_add_f32 v2, v2, v6
	s_delay_alu instid0(VALU_DEP_1) | instskip(SKIP_1) | instid1(VALU_DEP_1)
	v_dual_add_f32 v3, v3, v197 :: v_dual_add_f32 v2, v2, v4
	s_wait_loadcnt 0x0
	v_dual_sub_f32 v3, v173, v3 :: v_dual_sub_f32 v2, v172, v2
	scratch_store_b64 off, v[2:3], off offset:120
	v_cmpx_lt_u32_e32 14, v0
	s_cbranch_execz .LBB102_219
; %bb.218:
	scratch_load_b64 v[3:4], off, off offset:112
	v_mov_b32_e32 v2, v1
	scratch_store_b64 off, v[1:2], off offset:112
	s_wait_loadcnt 0x0
	ds_store_b64 v23, v[3:4]
.LBB102_219:
	s_wait_alu 0xfffe
	s_or_b32 exec_lo, exec_lo, s0
	s_wait_storecnt_dscnt 0x0
	s_barrier_signal -1
	s_barrier_wait -1
	global_inv scope:SCOPE_SE
	s_clause 0xc
	scratch_load_b128 v[2:5], off, off offset:120
	scratch_load_b128 v[6:9], off, off offset:136
	;; [unrolled: 1-line block ×12, first 2 shown]
	scratch_load_b64 v[178:179], off, off offset:112
	ds_load_2addr_b64 v[130:133], v1 offset0:55 offset1:56
	ds_load_2addr_b64 v[134:137], v1 offset0:57 offset1:58
	;; [unrolled: 1-line block ×12, first 2 shown]
	s_mov_b32 s0, exec_lo
	s_wait_loadcnt_dscnt 0xc0b
	v_dual_mul_f32 v1, v130, v3 :: v_dual_mul_f32 v22, v132, v5
	v_mul_f32_e32 v3, v131, v3
	s_wait_loadcnt_dscnt 0xb0a
	v_dual_mul_f32 v5, v133, v5 :: v_dual_mul_f32 v180, v134, v7
	s_delay_alu instid0(VALU_DEP_3) | instskip(NEXT) | instid1(VALU_DEP_3)
	v_dual_mul_f32 v181, v136, v9 :: v_dual_fmac_f32 v22, v133, v4
	v_fma_f32 v3, v130, v2, -v3
	v_fmac_f32_e32 v1, v131, v2
	v_mul_f32_e32 v2, v135, v7
	v_fma_f32 v4, v132, v4, -v5
	s_delay_alu instid0(VALU_DEP_4)
	v_dual_fmac_f32 v180, v135, v6 :: v_dual_add_f32 v3, 0, v3
	s_wait_loadcnt_dscnt 0x807
	v_dual_mul_f32 v186, v146, v19 :: v_dual_mul_f32 v187, v148, v21
	v_fma_f32 v2, v134, v6, -v2
	v_dual_mul_f32 v182, v138, v11 :: v_dual_mul_f32 v183, v140, v13
	v_add_f32_e32 v3, v3, v4
	v_dual_mul_f32 v5, v137, v9 :: v_dual_mul_f32 v184, v142, v15
	v_dual_mul_f32 v185, v144, v17 :: v_dual_mul_f32 v4, v139, v11
	s_delay_alu instid0(VALU_DEP_3) | instskip(NEXT) | instid1(VALU_DEP_3)
	v_add_f32_e32 v2, v3, v2
	v_fma_f32 v5, v136, v8, -v5
	v_dual_mul_f32 v3, v141, v13 :: v_dual_fmac_f32 v186, v147, v18
	s_delay_alu instid0(VALU_DEP_4) | instskip(SKIP_1) | instid1(VALU_DEP_4)
	v_fma_f32 v4, v138, v10, -v4
	v_dual_fmac_f32 v181, v137, v8 :: v_dual_fmac_f32 v182, v139, v10
	v_add_f32_e32 v2, v2, v5
	v_add_f32_e32 v1, 0, v1
	v_fma_f32 v3, v140, v12, -v3
	v_fmac_f32_e32 v184, v143, v14
	s_wait_loadcnt_dscnt 0x706
	v_dual_mul_f32 v188, v150, v103 :: v_dual_mul_f32 v189, v152, v105
	v_dual_add_f32 v1, v1, v22 :: v_dual_add_f32 v2, v2, v4
	v_mul_f32_e32 v4, v145, v17
	s_wait_loadcnt_dscnt 0x504
	v_dual_mul_f32 v192, v158, v111 :: v_dual_mul_f32 v193, v160, v113
	s_delay_alu instid0(VALU_DEP_3) | instskip(NEXT) | instid1(VALU_DEP_3)
	v_dual_add_f32 v1, v1, v180 :: v_dual_add_f32 v2, v2, v3
	v_fma_f32 v4, v144, v16, -v4
	v_mul_f32_e32 v5, v143, v15
	v_dual_mul_f32 v190, v154, v107 :: v_dual_mul_f32 v191, v156, v109
	s_wait_loadcnt_dscnt 0x201
	v_dual_add_f32 v1, v1, v181 :: v_dual_mul_f32 v198, v170, v123
	v_mul_f32_e32 v199, v172, v125
	v_fma_f32 v5, v142, v14, -v5
	v_fmac_f32_e32 v183, v141, v12
	s_delay_alu instid0(VALU_DEP_4)
	v_add_f32_e32 v1, v1, v182
	v_fmac_f32_e32 v188, v151, v102
	v_dual_mul_f32 v194, v162, v115 :: v_dual_mul_f32 v195, v164, v117
	v_add_f32_e32 v2, v2, v5
	v_dual_fmac_f32 v190, v155, v106 :: v_dual_fmac_f32 v189, v153, v104
	v_dual_mul_f32 v196, v166, v119 :: v_dual_mul_f32 v197, v168, v121
	s_delay_alu instid0(VALU_DEP_3) | instskip(SKIP_2) | instid1(VALU_DEP_4)
	v_add_f32_e32 v2, v2, v4
	v_mul_f32_e32 v4, v151, v103
	v_add_f32_e32 v1, v1, v183
	v_dual_fmac_f32 v191, v157, v108 :: v_dual_fmac_f32 v196, v167, v118
	v_fmac_f32_e32 v193, v161, v112
	s_delay_alu instid0(VALU_DEP_4) | instskip(SKIP_4) | instid1(VALU_DEP_3)
	v_fma_f32 v4, v150, v102, -v4
	v_mul_f32_e32 v5, v149, v21
	s_wait_loadcnt_dscnt 0x100
	v_dual_add_f32 v1, v1, v184 :: v_dual_mul_f32 v200, v174, v127
	v_dual_mul_f32 v201, v176, v129 :: v_dual_fmac_f32 v192, v159, v110
	v_fma_f32 v5, v148, v20, -v5
	v_mul_f32_e32 v3, v147, v19
	v_fmac_f32_e32 v199, v173, v124
	s_delay_alu instid0(VALU_DEP_4) | instskip(SKIP_1) | instid1(VALU_DEP_4)
	v_dual_fmac_f32 v201, v177, v128 :: v_dual_fmac_f32 v198, v171, v122
	v_fmac_f32_e32 v194, v163, v114
	v_fma_f32 v3, v146, v18, -v3
	v_dual_fmac_f32 v185, v145, v16 :: v_dual_fmac_f32 v200, v175, v126
	s_delay_alu instid0(VALU_DEP_2) | instskip(NEXT) | instid1(VALU_DEP_1)
	v_dual_add_f32 v2, v2, v3 :: v_dual_mul_f32 v3, v153, v105
	v_dual_add_f32 v2, v2, v5 :: v_dual_mul_f32 v5, v155, v107
	s_delay_alu instid0(VALU_DEP_2) | instskip(NEXT) | instid1(VALU_DEP_2)
	v_fma_f32 v3, v152, v104, -v3
	v_dual_add_f32 v2, v2, v4 :: v_dual_add_f32 v1, v1, v185
	v_mul_f32_e32 v4, v157, v109
	s_delay_alu instid0(VALU_DEP_4) | instskip(NEXT) | instid1(VALU_DEP_3)
	v_fma_f32 v5, v154, v106, -v5
	v_dual_add_f32 v2, v2, v3 :: v_dual_fmac_f32 v187, v149, v20
	s_delay_alu instid0(VALU_DEP_3) | instskip(NEXT) | instid1(VALU_DEP_2)
	v_fma_f32 v4, v156, v108, -v4
	v_add_f32_e32 v2, v2, v5
	v_mul_f32_e32 v5, v161, v113
	s_delay_alu instid0(VALU_DEP_2) | instskip(NEXT) | instid1(VALU_DEP_2)
	v_dual_add_f32 v1, v1, v186 :: v_dual_add_f32 v2, v2, v4
	v_fma_f32 v5, v160, v112, -v5
	v_mul_f32_e32 v3, v159, v111
	s_delay_alu instid0(VALU_DEP_3) | instskip(SKIP_1) | instid1(VALU_DEP_3)
	v_add_f32_e32 v1, v1, v187
	v_mul_f32_e32 v4, v163, v115
	v_fma_f32 v3, v158, v110, -v3
	s_delay_alu instid0(VALU_DEP_3) | instskip(NEXT) | instid1(VALU_DEP_3)
	v_add_f32_e32 v1, v1, v188
	v_fma_f32 v4, v162, v114, -v4
	s_delay_alu instid0(VALU_DEP_3) | instskip(NEXT) | instid1(VALU_DEP_1)
	v_add_f32_e32 v2, v2, v3
	v_add_f32_e32 v2, v2, v5
	s_delay_alu instid0(VALU_DEP_4) | instskip(NEXT) | instid1(VALU_DEP_2)
	v_add_f32_e32 v1, v1, v189
	v_dual_mul_f32 v5, v167, v119 :: v_dual_add_f32 v2, v2, v4
	v_mul_f32_e32 v4, v169, v121
	s_delay_alu instid0(VALU_DEP_2) | instskip(NEXT) | instid1(VALU_DEP_2)
	v_fma_f32 v5, v166, v118, -v5
	v_fma_f32 v4, v168, v120, -v4
	v_mul_f32_e32 v3, v165, v117
	s_delay_alu instid0(VALU_DEP_1) | instskip(NEXT) | instid1(VALU_DEP_1)
	v_fma_f32 v3, v164, v116, -v3
	v_dual_add_f32 v1, v1, v190 :: v_dual_add_f32 v2, v2, v3
	s_delay_alu instid0(VALU_DEP_1) | instskip(NEXT) | instid1(VALU_DEP_2)
	v_add_f32_e32 v1, v1, v191
	v_dual_mul_f32 v3, v171, v123 :: v_dual_add_f32 v2, v2, v5
	v_mul_f32_e32 v5, v173, v125
	s_delay_alu instid0(VALU_DEP_2) | instskip(NEXT) | instid1(VALU_DEP_3)
	v_fma_f32 v3, v170, v122, -v3
	v_add_f32_e32 v2, v2, v4
	v_dual_add_f32 v1, v1, v192 :: v_dual_mul_f32 v4, v175, v127
	s_delay_alu instid0(VALU_DEP_4) | instskip(NEXT) | instid1(VALU_DEP_2)
	v_fma_f32 v5, v172, v124, -v5
	v_dual_add_f32 v2, v2, v3 :: v_dual_add_f32 v1, v1, v193
	v_fmac_f32_e32 v195, v165, v116
	s_delay_alu instid0(VALU_DEP_4) | instskip(SKIP_1) | instid1(VALU_DEP_4)
	v_fma_f32 v4, v174, v126, -v4
	v_mul_f32_e32 v3, v177, v129
	v_dual_add_f32 v2, v2, v5 :: v_dual_add_f32 v1, v1, v194
	s_delay_alu instid0(VALU_DEP_2) | instskip(NEXT) | instid1(VALU_DEP_2)
	v_fma_f32 v3, v176, v128, -v3
	v_dual_add_f32 v2, v2, v4 :: v_dual_add_f32 v1, v1, v195
	s_delay_alu instid0(VALU_DEP_1) | instskip(NEXT) | instid1(VALU_DEP_2)
	v_dual_fmac_f32 v197, v169, v120 :: v_dual_add_f32 v2, v2, v3
	v_add_f32_e32 v1, v1, v196
	s_delay_alu instid0(VALU_DEP_1) | instskip(NEXT) | instid1(VALU_DEP_1)
	v_add_f32_e32 v1, v1, v197
	v_add_f32_e32 v1, v1, v198
	s_delay_alu instid0(VALU_DEP_1) | instskip(NEXT) | instid1(VALU_DEP_1)
	v_add_f32_e32 v1, v1, v199
	v_add_f32_e32 v1, v1, v200
	s_delay_alu instid0(VALU_DEP_1) | instskip(SKIP_1) | instid1(VALU_DEP_1)
	v_add_f32_e32 v3, v1, v201
	s_wait_loadcnt 0x0
	v_dual_sub_f32 v1, v178, v2 :: v_dual_sub_f32 v2, v179, v3
	scratch_store_b64 off, v[1:2], off offset:112
	v_cmpx_lt_u32_e32 13, v0
	s_cbranch_execz .LBB102_221
; %bb.220:
	scratch_load_b64 v[1:2], off, off offset:104
	v_mov_b32_e32 v3, 0
	s_delay_alu instid0(VALU_DEP_1)
	v_mov_b32_e32 v4, v3
	scratch_store_b64 off, v[3:4], off offset:104
	s_wait_loadcnt 0x0
	ds_store_b64 v23, v[1:2]
.LBB102_221:
	s_wait_alu 0xfffe
	s_or_b32 exec_lo, exec_lo, s0
	s_wait_storecnt_dscnt 0x0
	s_barrier_signal -1
	s_barrier_wait -1
	global_inv scope:SCOPE_SE
	s_clause 0xd
	scratch_load_b128 v[2:5], off, off offset:112
	scratch_load_b128 v[6:9], off, off offset:128
	;; [unrolled: 1-line block ×12, first 2 shown]
	scratch_load_b64 v[178:179], off, off offset:304
	scratch_load_b64 v[180:181], off, off offset:104
	v_mov_b32_e32 v1, 0
	ds_load_b128 v[130:133], v1 offset:432
	ds_load_b128 v[134:137], v1 offset:448
	;; [unrolled: 1-line block ×12, first 2 shown]
	ds_load_b64 v[182:183], v1 offset:624
	s_mov_b32 s0, exec_lo
	s_wait_loadcnt_dscnt 0xd0c
	v_mul_f32_e32 v22, v130, v3
	s_wait_loadcnt_dscnt 0xc0b
	v_dual_mul_f32 v184, v132, v5 :: v_dual_mul_f32 v185, v134, v7
	v_mul_f32_e32 v5, v133, v5
	s_wait_loadcnt_dscnt 0xb0a
	v_dual_mul_f32 v186, v136, v9 :: v_dual_mul_f32 v187, v138, v11
	v_dual_mul_f32 v3, v131, v3 :: v_dual_mul_f32 v188, v140, v13
	s_wait_loadcnt_dscnt 0xa09
	v_dual_mul_f32 v189, v142, v15 :: v_dual_fmac_f32 v22, v131, v2
	s_wait_loadcnt_dscnt 0x302
	v_mul_f32_e32 v204, v172, v125
	v_fma_f32 v3, v130, v2, -v3
	s_wait_loadcnt_dscnt 0x100
	v_mul_f32_e32 v207, v182, v179
	v_mul_f32_e32 v2, v135, v7
	v_fmac_f32_e32 v184, v133, v4
	v_fma_f32 v4, v132, v4, -v5
	v_add_f32_e32 v3, 0, v3
	v_dual_add_f32 v5, 0, v22 :: v_dual_fmac_f32 v186, v137, v8
	v_fmac_f32_e32 v185, v135, v6
	v_fma_f32 v2, v134, v6, -v2
	s_delay_alu instid0(VALU_DEP_4) | instskip(SKIP_3) | instid1(VALU_DEP_4)
	v_add_f32_e32 v3, v3, v4
	v_mul_f32_e32 v7, v137, v9
	v_dual_add_f32 v4, v5, v184 :: v_dual_fmac_f32 v187, v139, v10
	v_fmac_f32_e32 v188, v141, v12
	v_add_f32_e32 v2, v3, v2
	s_delay_alu instid0(VALU_DEP_4)
	v_fma_f32 v6, v136, v8, -v7
	v_mul_f32_e32 v5, v139, v11
	v_add_f32_e32 v3, v4, v185
	v_mul_f32_e32 v4, v141, v13
	v_dual_mul_f32 v190, v144, v17 :: v_dual_mul_f32 v191, v146, v19
	v_add_f32_e32 v2, v2, v6
	v_fma_f32 v5, v138, v10, -v5
	v_mul_f32_e32 v6, v143, v15
	v_add_f32_e32 v3, v3, v186
	v_fma_f32 v4, v140, v12, -v4
	v_dual_fmac_f32 v189, v143, v14 :: v_dual_fmac_f32 v190, v145, v16
	s_delay_alu instid0(VALU_DEP_3) | instskip(SKIP_3) | instid1(VALU_DEP_4)
	v_dual_add_f32 v2, v2, v5 :: v_dual_add_f32 v3, v3, v187
	v_mul_f32_e32 v5, v145, v17
	v_fma_f32 v6, v142, v14, -v6
	v_dual_mul_f32 v192, v148, v21 :: v_dual_mul_f32 v193, v150, v103
	v_add_f32_e32 v2, v2, v4
	v_add_f32_e32 v3, v3, v188
	v_mul_f32_e32 v4, v147, v19
	v_fma_f32 v5, v144, v16, -v5
	v_fmac_f32_e32 v191, v147, v18
	s_delay_alu instid0(VALU_DEP_4) | instskip(SKIP_3) | instid1(VALU_DEP_4)
	v_dual_add_f32 v2, v2, v6 :: v_dual_add_f32 v3, v3, v189
	v_fmac_f32_e32 v192, v149, v20
	v_mul_f32_e32 v6, v149, v21
	v_fma_f32 v4, v146, v18, -v4
	v_dual_add_f32 v2, v2, v5 :: v_dual_add_f32 v3, v3, v190
	v_mul_f32_e32 v5, v151, v103
	s_delay_alu instid0(VALU_DEP_4) | instskip(SKIP_1) | instid1(VALU_DEP_4)
	v_fma_f32 v6, v148, v20, -v6
	v_dual_mul_f32 v194, v152, v105 :: v_dual_mul_f32 v195, v154, v107
	v_dual_add_f32 v2, v2, v4 :: v_dual_add_f32 v3, v3, v191
	v_dual_mul_f32 v4, v153, v105 :: v_dual_fmac_f32 v193, v151, v102
	s_delay_alu instid0(VALU_DEP_3) | instskip(SKIP_1) | instid1(VALU_DEP_4)
	v_fmac_f32_e32 v194, v153, v104
	v_fma_f32 v5, v150, v102, -v5
	v_dual_add_f32 v2, v2, v6 :: v_dual_add_f32 v3, v3, v192
	v_mul_f32_e32 v6, v155, v107
	v_fma_f32 v4, v152, v104, -v4
	s_delay_alu instid0(VALU_DEP_3) | instskip(NEXT) | instid1(VALU_DEP_4)
	v_dual_fmac_f32 v195, v155, v106 :: v_dual_add_f32 v2, v2, v5
	v_add_f32_e32 v3, v3, v193
	v_dual_mul_f32 v196, v156, v109 :: v_dual_mul_f32 v197, v158, v111
	v_mul_f32_e32 v5, v157, v109
	v_fma_f32 v6, v154, v106, -v6
	s_delay_alu instid0(VALU_DEP_4) | instskip(NEXT) | instid1(VALU_DEP_4)
	v_dual_add_f32 v2, v2, v4 :: v_dual_add_f32 v3, v3, v194
	v_fmac_f32_e32 v196, v157, v108
	v_mul_f32_e32 v4, v159, v111
	v_fma_f32 v5, v156, v108, -v5
	s_delay_alu instid0(VALU_DEP_4) | instskip(SKIP_3) | instid1(VALU_DEP_4)
	v_dual_add_f32 v2, v2, v6 :: v_dual_add_f32 v3, v3, v195
	v_dual_mul_f32 v198, v160, v113 :: v_dual_mul_f32 v199, v162, v115
	v_dual_mul_f32 v6, v161, v113 :: v_dual_fmac_f32 v197, v159, v110
	v_fma_f32 v4, v158, v110, -v4
	v_dual_add_f32 v2, v2, v5 :: v_dual_add_f32 v3, v3, v196
	v_dual_mul_f32 v200, v164, v117 :: v_dual_mul_f32 v201, v166, v119
	v_dual_mul_f32 v5, v163, v115 :: v_dual_fmac_f32 v198, v161, v112
	v_fma_f32 v6, v160, v112, -v6
	s_delay_alu instid0(VALU_DEP_4) | instskip(SKIP_1) | instid1(VALU_DEP_4)
	v_dual_add_f32 v2, v2, v4 :: v_dual_add_f32 v3, v3, v197
	v_dual_mul_f32 v4, v165, v117 :: v_dual_fmac_f32 v199, v163, v114
	v_fma_f32 v5, v162, v114, -v5
	s_delay_alu instid0(VALU_DEP_3) | instskip(NEXT) | instid1(VALU_DEP_4)
	v_dual_fmac_f32 v200, v165, v116 :: v_dual_add_f32 v3, v3, v198
	v_add_f32_e32 v2, v2, v6
	v_mul_f32_e32 v6, v167, v119
	v_fma_f32 v4, v164, v116, -v4
	v_dual_mul_f32 v202, v168, v121 :: v_dual_mul_f32 v203, v170, v123
	s_delay_alu instid0(VALU_DEP_4) | instskip(SKIP_3) | instid1(VALU_DEP_4)
	v_dual_add_f32 v3, v3, v199 :: v_dual_add_f32 v2, v2, v5
	v_fmac_f32_e32 v201, v167, v118
	v_mul_f32_e32 v5, v169, v121
	v_fma_f32 v6, v166, v118, -v6
	v_add_f32_e32 v3, v3, v200
	v_add_f32_e32 v2, v2, v4
	v_mul_f32_e32 v4, v171, v123
	v_dual_fmac_f32 v202, v169, v120 :: v_dual_fmac_f32 v203, v171, v122
	v_fma_f32 v5, v168, v120, -v5
	s_delay_alu instid0(VALU_DEP_4) | instskip(SKIP_3) | instid1(VALU_DEP_4)
	v_dual_add_f32 v3, v3, v201 :: v_dual_add_f32 v2, v2, v6
	v_mul_f32_e32 v6, v173, v125
	v_fma_f32 v4, v170, v122, -v4
	v_dual_mul_f32 v205, v174, v127 :: v_dual_mul_f32 v206, v176, v129
	v_dual_add_f32 v2, v2, v5 :: v_dual_mul_f32 v5, v175, v127
	v_dual_add_f32 v3, v3, v202 :: v_dual_fmac_f32 v204, v173, v124
	v_fma_f32 v6, v172, v124, -v6
	s_delay_alu instid0(VALU_DEP_3) | instskip(NEXT) | instid1(VALU_DEP_3)
	v_dual_add_f32 v2, v2, v4 :: v_dual_fmac_f32 v205, v175, v126
	v_dual_add_f32 v3, v3, v203 :: v_dual_mul_f32 v4, v177, v129
	v_fma_f32 v5, v174, v126, -v5
	v_dual_fmac_f32 v206, v177, v128 :: v_dual_fmac_f32 v207, v183, v178
	s_delay_alu instid0(VALU_DEP_3) | instskip(SKIP_2) | instid1(VALU_DEP_3)
	v_dual_add_f32 v3, v3, v204 :: v_dual_add_f32 v2, v2, v6
	v_mul_f32_e32 v6, v183, v179
	v_fma_f32 v4, v176, v128, -v4
	v_add_f32_e32 v3, v3, v205
	s_delay_alu instid0(VALU_DEP_4) | instskip(NEXT) | instid1(VALU_DEP_4)
	v_add_f32_e32 v2, v2, v5
	v_fma_f32 v5, v182, v178, -v6
	s_delay_alu instid0(VALU_DEP_2) | instskip(NEXT) | instid1(VALU_DEP_1)
	v_dual_add_f32 v3, v3, v206 :: v_dual_add_f32 v2, v2, v4
	v_dual_add_f32 v3, v3, v207 :: v_dual_add_f32 v2, v2, v5
	s_wait_loadcnt 0x0
	s_delay_alu instid0(VALU_DEP_1)
	v_dual_sub_f32 v3, v181, v3 :: v_dual_sub_f32 v2, v180, v2
	scratch_store_b64 off, v[2:3], off offset:104
	v_cmpx_lt_u32_e32 12, v0
	s_cbranch_execz .LBB102_223
; %bb.222:
	scratch_load_b64 v[3:4], off, off offset:96
	v_mov_b32_e32 v2, v1
	scratch_store_b64 off, v[1:2], off offset:96
	s_wait_loadcnt 0x0
	ds_store_b64 v23, v[3:4]
.LBB102_223:
	s_wait_alu 0xfffe
	s_or_b32 exec_lo, exec_lo, s0
	s_wait_storecnt_dscnt 0x0
	s_barrier_signal -1
	s_barrier_wait -1
	global_inv scope:SCOPE_SE
	s_clause 0xd
	scratch_load_b128 v[2:5], off, off offset:104
	scratch_load_b128 v[6:9], off, off offset:120
	;; [unrolled: 1-line block ×13, first 2 shown]
	scratch_load_b64 v[186:187], off, off offset:96
	ds_load_2addr_b64 v[134:137], v1 offset0:53 offset1:54
	ds_load_2addr_b64 v[138:141], v1 offset0:55 offset1:56
	;; [unrolled: 1-line block ×13, first 2 shown]
	s_mov_b32 s0, exec_lo
	s_wait_loadcnt_dscnt 0xd0c
	v_dual_mul_f32 v1, v134, v3 :: v_dual_mul_f32 v22, v136, v5
	v_mul_f32_e32 v3, v135, v3
	s_wait_loadcnt_dscnt 0xc0b
	v_dual_mul_f32 v5, v137, v5 :: v_dual_mul_f32 v188, v138, v7
	s_delay_alu instid0(VALU_DEP_3) | instskip(NEXT) | instid1(VALU_DEP_3)
	v_dual_mul_f32 v189, v140, v9 :: v_dual_fmac_f32 v22, v137, v4
	v_fma_f32 v3, v134, v2, -v3
	v_fmac_f32_e32 v1, v135, v2
	v_mul_f32_e32 v2, v139, v7
	v_fma_f32 v4, v136, v4, -v5
	s_delay_alu instid0(VALU_DEP_4)
	v_dual_fmac_f32 v188, v139, v6 :: v_dual_add_f32 v3, 0, v3
	s_wait_loadcnt_dscnt 0x908
	v_dual_mul_f32 v194, v150, v19 :: v_dual_mul_f32 v195, v152, v21
	v_fma_f32 v2, v138, v6, -v2
	v_dual_mul_f32 v190, v142, v11 :: v_dual_mul_f32 v191, v144, v13
	v_add_f32_e32 v3, v3, v4
	v_dual_mul_f32 v5, v141, v9 :: v_dual_mul_f32 v192, v146, v15
	v_dual_mul_f32 v193, v148, v17 :: v_dual_mul_f32 v4, v143, v11
	s_delay_alu instid0(VALU_DEP_3) | instskip(NEXT) | instid1(VALU_DEP_3)
	v_add_f32_e32 v2, v3, v2
	v_fma_f32 v5, v140, v8, -v5
	v_dual_mul_f32 v3, v145, v13 :: v_dual_fmac_f32 v194, v151, v18
	s_delay_alu instid0(VALU_DEP_4) | instskip(SKIP_1) | instid1(VALU_DEP_4)
	v_fma_f32 v4, v142, v10, -v4
	v_dual_fmac_f32 v189, v141, v8 :: v_dual_fmac_f32 v190, v143, v10
	v_add_f32_e32 v2, v2, v5
	v_add_f32_e32 v1, 0, v1
	v_fma_f32 v3, v144, v12, -v3
	v_fmac_f32_e32 v192, v147, v14
	s_wait_loadcnt_dscnt 0x807
	v_dual_mul_f32 v196, v154, v103 :: v_dual_mul_f32 v197, v156, v105
	v_dual_add_f32 v1, v1, v22 :: v_dual_add_f32 v2, v2, v4
	v_mul_f32_e32 v4, v149, v17
	s_wait_loadcnt_dscnt 0x605
	v_dual_mul_f32 v200, v162, v111 :: v_dual_mul_f32 v201, v164, v113
	s_delay_alu instid0(VALU_DEP_3) | instskip(NEXT) | instid1(VALU_DEP_3)
	v_dual_add_f32 v1, v1, v188 :: v_dual_add_f32 v2, v2, v3
	v_fma_f32 v4, v148, v16, -v4
	v_mul_f32_e32 v5, v147, v15
	v_dual_mul_f32 v198, v158, v107 :: v_dual_mul_f32 v199, v160, v109
	s_wait_loadcnt_dscnt 0x302
	v_dual_add_f32 v1, v1, v189 :: v_dual_mul_f32 v206, v174, v123
	v_mul_f32_e32 v207, v176, v125
	v_fma_f32 v5, v146, v14, -v5
	v_fmac_f32_e32 v191, v145, v12
	s_delay_alu instid0(VALU_DEP_4)
	v_add_f32_e32 v1, v1, v190
	v_fmac_f32_e32 v196, v155, v102
	v_dual_mul_f32 v202, v166, v115 :: v_dual_mul_f32 v203, v168, v117
	v_add_f32_e32 v2, v2, v5
	v_dual_fmac_f32 v198, v159, v106 :: v_dual_fmac_f32 v197, v157, v104
	v_dual_mul_f32 v204, v170, v119 :: v_dual_mul_f32 v205, v172, v121
	s_delay_alu instid0(VALU_DEP_3) | instskip(SKIP_2) | instid1(VALU_DEP_4)
	v_add_f32_e32 v2, v2, v4
	v_mul_f32_e32 v4, v155, v103
	v_add_f32_e32 v1, v1, v191
	v_dual_fmac_f32 v199, v161, v108 :: v_dual_fmac_f32 v204, v171, v118
	v_fmac_f32_e32 v201, v165, v112
	s_delay_alu instid0(VALU_DEP_4) | instskip(SKIP_4) | instid1(VALU_DEP_3)
	v_fma_f32 v4, v154, v102, -v4
	v_mul_f32_e32 v5, v153, v21
	s_wait_loadcnt_dscnt 0x201
	v_dual_add_f32 v1, v1, v192 :: v_dual_mul_f32 v208, v178, v127
	v_dual_mul_f32 v209, v180, v129 :: v_dual_fmac_f32 v200, v163, v110
	v_fma_f32 v5, v152, v20, -v5
	v_mul_f32_e32 v3, v151, v19
	s_wait_loadcnt_dscnt 0x100
	v_dual_mul_f32 v210, v182, v131 :: v_dual_mul_f32 v211, v184, v133
	v_fmac_f32_e32 v207, v177, v124
	v_fmac_f32_e32 v209, v181, v128
	v_fma_f32 v3, v150, v18, -v3
	v_fmac_f32_e32 v193, v149, v16
	v_dual_fmac_f32 v211, v185, v132 :: v_dual_fmac_f32 v206, v175, v122
	v_fmac_f32_e32 v202, v167, v114
	s_delay_alu instid0(VALU_DEP_4) | instskip(SKIP_2) | instid1(VALU_DEP_3)
	v_dual_add_f32 v2, v2, v3 :: v_dual_mul_f32 v3, v157, v105
	v_fmac_f32_e32 v208, v179, v126
	v_fmac_f32_e32 v210, v183, v130
	v_dual_add_f32 v2, v2, v5 :: v_dual_mul_f32 v5, v159, v107
	s_delay_alu instid0(VALU_DEP_4) | instskip(NEXT) | instid1(VALU_DEP_2)
	v_fma_f32 v3, v156, v104, -v3
	v_dual_add_f32 v2, v2, v4 :: v_dual_add_f32 v1, v1, v193
	v_mul_f32_e32 v4, v161, v109
	s_delay_alu instid0(VALU_DEP_4) | instskip(NEXT) | instid1(VALU_DEP_3)
	v_fma_f32 v5, v158, v106, -v5
	v_dual_add_f32 v2, v2, v3 :: v_dual_fmac_f32 v195, v153, v20
	s_delay_alu instid0(VALU_DEP_3) | instskip(NEXT) | instid1(VALU_DEP_2)
	v_fma_f32 v4, v160, v108, -v4
	v_add_f32_e32 v2, v2, v5
	v_mul_f32_e32 v5, v165, v113
	s_delay_alu instid0(VALU_DEP_2) | instskip(NEXT) | instid1(VALU_DEP_2)
	v_dual_add_f32 v1, v1, v194 :: v_dual_add_f32 v2, v2, v4
	v_fma_f32 v5, v164, v112, -v5
	v_mul_f32_e32 v3, v163, v111
	s_delay_alu instid0(VALU_DEP_3) | instskip(SKIP_1) | instid1(VALU_DEP_3)
	v_add_f32_e32 v1, v1, v195
	v_mul_f32_e32 v4, v167, v115
	v_fma_f32 v3, v162, v110, -v3
	s_delay_alu instid0(VALU_DEP_3) | instskip(NEXT) | instid1(VALU_DEP_3)
	v_add_f32_e32 v1, v1, v196
	v_fma_f32 v4, v166, v114, -v4
	s_delay_alu instid0(VALU_DEP_3) | instskip(NEXT) | instid1(VALU_DEP_1)
	v_add_f32_e32 v2, v2, v3
	v_add_f32_e32 v2, v2, v5
	s_delay_alu instid0(VALU_DEP_4) | instskip(NEXT) | instid1(VALU_DEP_2)
	v_add_f32_e32 v1, v1, v197
	v_dual_mul_f32 v5, v171, v119 :: v_dual_add_f32 v2, v2, v4
	v_mul_f32_e32 v4, v173, v121
	s_delay_alu instid0(VALU_DEP_2) | instskip(NEXT) | instid1(VALU_DEP_2)
	v_fma_f32 v5, v170, v118, -v5
	v_fma_f32 v4, v172, v120, -v4
	v_mul_f32_e32 v3, v169, v117
	s_delay_alu instid0(VALU_DEP_1) | instskip(NEXT) | instid1(VALU_DEP_1)
	v_fma_f32 v3, v168, v116, -v3
	v_dual_add_f32 v1, v1, v198 :: v_dual_add_f32 v2, v2, v3
	s_delay_alu instid0(VALU_DEP_1) | instskip(NEXT) | instid1(VALU_DEP_2)
	v_add_f32_e32 v1, v1, v199
	v_dual_mul_f32 v3, v175, v123 :: v_dual_add_f32 v2, v2, v5
	v_mul_f32_e32 v5, v177, v125
	s_delay_alu instid0(VALU_DEP_2) | instskip(NEXT) | instid1(VALU_DEP_3)
	v_fma_f32 v3, v174, v122, -v3
	v_add_f32_e32 v2, v2, v4
	v_dual_add_f32 v1, v1, v200 :: v_dual_mul_f32 v4, v179, v127
	s_delay_alu instid0(VALU_DEP_4) | instskip(NEXT) | instid1(VALU_DEP_2)
	v_fma_f32 v5, v176, v124, -v5
	v_dual_add_f32 v2, v2, v3 :: v_dual_add_f32 v1, v1, v201
	v_fmac_f32_e32 v203, v169, v116
	v_mul_f32_e32 v3, v181, v129
	v_fma_f32 v4, v178, v126, -v4
	s_delay_alu instid0(VALU_DEP_4) | instskip(SKIP_1) | instid1(VALU_DEP_4)
	v_dual_add_f32 v2, v2, v5 :: v_dual_add_f32 v1, v1, v202
	v_mul_f32_e32 v5, v183, v131
	v_fma_f32 v3, v180, v128, -v3
	s_delay_alu instid0(VALU_DEP_3) | instskip(SKIP_1) | instid1(VALU_DEP_4)
	v_dual_add_f32 v2, v2, v4 :: v_dual_add_f32 v1, v1, v203
	v_fmac_f32_e32 v205, v173, v120
	v_fma_f32 v5, v182, v130, -v5
	v_mul_f32_e32 v4, v185, v133
	s_delay_alu instid0(VALU_DEP_4) | instskip(NEXT) | instid1(VALU_DEP_2)
	v_dual_add_f32 v2, v2, v3 :: v_dual_add_f32 v1, v1, v204
	v_fma_f32 v3, v184, v132, -v4
	s_delay_alu instid0(VALU_DEP_2) | instskip(NEXT) | instid1(VALU_DEP_1)
	v_add_f32_e32 v2, v2, v5
	v_dual_add_f32 v1, v1, v205 :: v_dual_add_f32 v2, v2, v3
	s_delay_alu instid0(VALU_DEP_1) | instskip(NEXT) | instid1(VALU_DEP_1)
	v_add_f32_e32 v1, v1, v206
	v_add_f32_e32 v1, v1, v207
	s_delay_alu instid0(VALU_DEP_1) | instskip(NEXT) | instid1(VALU_DEP_1)
	v_add_f32_e32 v1, v1, v208
	v_add_f32_e32 v1, v1, v209
	;; [unrolled: 3-line block ×3, first 2 shown]
	s_wait_loadcnt 0x0
	s_delay_alu instid0(VALU_DEP_1)
	v_dual_sub_f32 v1, v186, v2 :: v_dual_sub_f32 v2, v187, v3
	scratch_store_b64 off, v[1:2], off offset:96
	v_cmpx_lt_u32_e32 11, v0
	s_cbranch_execz .LBB102_225
; %bb.224:
	scratch_load_b64 v[1:2], off, off offset:88
	v_mov_b32_e32 v3, 0
	s_delay_alu instid0(VALU_DEP_1)
	v_mov_b32_e32 v4, v3
	scratch_store_b64 off, v[3:4], off offset:88
	s_wait_loadcnt 0x0
	ds_store_b64 v23, v[1:2]
.LBB102_225:
	s_wait_alu 0xfffe
	s_or_b32 exec_lo, exec_lo, s0
	s_wait_storecnt_dscnt 0x0
	s_barrier_signal -1
	s_barrier_wait -1
	global_inv scope:SCOPE_SE
	s_clause 0xe
	scratch_load_b128 v[2:5], off, off offset:96
	scratch_load_b128 v[6:9], off, off offset:112
	;; [unrolled: 1-line block ×13, first 2 shown]
	scratch_load_b64 v[186:187], off, off offset:304
	scratch_load_b64 v[188:189], off, off offset:88
	v_mov_b32_e32 v1, 0
	ds_load_b128 v[134:137], v1 offset:416
	ds_load_b128 v[138:141], v1 offset:432
	;; [unrolled: 1-line block ×13, first 2 shown]
	ds_load_b64 v[190:191], v1 offset:624
	s_mov_b32 s0, exec_lo
	s_wait_loadcnt_dscnt 0xe0d
	v_mul_f32_e32 v22, v134, v3
	s_wait_loadcnt_dscnt 0xd0c
	v_dual_mul_f32 v192, v136, v5 :: v_dual_mul_f32 v193, v138, v7
	v_mul_f32_e32 v5, v137, v5
	s_wait_loadcnt_dscnt 0xc0b
	v_dual_mul_f32 v194, v140, v9 :: v_dual_mul_f32 v195, v142, v11
	s_wait_loadcnt_dscnt 0xb0a
	v_dual_mul_f32 v196, v144, v13 :: v_dual_mul_f32 v197, v146, v15
	v_mul_f32_e32 v3, v135, v3
	v_fmac_f32_e32 v22, v135, v2
	s_delay_alu instid0(VALU_DEP_3)
	v_dual_fmac_f32 v195, v143, v10 :: v_dual_fmac_f32 v196, v145, v12
	s_wait_loadcnt_dscnt 0x100
	v_dual_mul_f32 v214, v180, v129 :: v_dual_mul_f32 v217, v190, v187
	v_fma_f32 v3, v134, v2, -v3
	v_mul_f32_e32 v2, v139, v7
	v_fmac_f32_e32 v192, v137, v4
	v_fma_f32 v4, v136, v4, -v5
	v_dual_add_f32 v5, 0, v22 :: v_dual_fmac_f32 v194, v141, v8
	v_add_f32_e32 v3, 0, v3
	v_fmac_f32_e32 v193, v139, v6
	v_fma_f32 v2, v138, v6, -v2
	v_dual_mul_f32 v198, v148, v17 :: v_dual_mul_f32 v199, v150, v19
	s_delay_alu instid0(VALU_DEP_4) | instskip(SKIP_2) | instid1(VALU_DEP_4)
	v_add_f32_e32 v3, v3, v4
	v_mul_f32_e32 v7, v141, v9
	v_dual_add_f32 v4, v5, v192 :: v_dual_fmac_f32 v197, v147, v14
	v_fmac_f32_e32 v198, v149, v16
	s_delay_alu instid0(VALU_DEP_4) | instskip(NEXT) | instid1(VALU_DEP_4)
	v_add_f32_e32 v2, v3, v2
	v_fma_f32 v6, v140, v8, -v7
	v_mul_f32_e32 v5, v143, v11
	v_add_f32_e32 v3, v4, v193
	v_mul_f32_e32 v4, v145, v13
	v_dual_mul_f32 v200, v152, v21 :: v_dual_mul_f32 v201, v154, v103
	v_add_f32_e32 v2, v2, v6
	v_fma_f32 v5, v142, v10, -v5
	v_mul_f32_e32 v6, v147, v15
	v_add_f32_e32 v3, v3, v194
	v_fma_f32 v4, v144, v12, -v4
	v_dual_mul_f32 v202, v156, v105 :: v_dual_mul_f32 v203, v158, v107
	s_delay_alu instid0(VALU_DEP_3) | instskip(SKIP_2) | instid1(VALU_DEP_3)
	v_dual_add_f32 v2, v2, v5 :: v_dual_add_f32 v3, v3, v195
	v_mul_f32_e32 v5, v149, v17
	v_fma_f32 v6, v146, v14, -v6
	v_dual_fmac_f32 v199, v151, v18 :: v_dual_add_f32 v2, v2, v4
	s_delay_alu instid0(VALU_DEP_4) | instskip(SKIP_3) | instid1(VALU_DEP_4)
	v_add_f32_e32 v3, v3, v196
	v_mul_f32_e32 v4, v151, v19
	v_fma_f32 v5, v148, v16, -v5
	v_fmac_f32_e32 v200, v153, v20
	v_dual_add_f32 v2, v2, v6 :: v_dual_add_f32 v3, v3, v197
	v_mul_f32_e32 v6, v153, v21
	v_fma_f32 v4, v150, v18, -v4
	v_dual_fmac_f32 v201, v155, v102 :: v_dual_fmac_f32 v202, v157, v104
	s_delay_alu instid0(VALU_DEP_4) | instskip(SKIP_3) | instid1(VALU_DEP_4)
	v_dual_add_f32 v2, v2, v5 :: v_dual_add_f32 v3, v3, v198
	v_mul_f32_e32 v5, v155, v103
	v_fma_f32 v6, v152, v20, -v6
	v_dual_mul_f32 v204, v160, v109 :: v_dual_mul_f32 v205, v162, v111
	v_dual_add_f32 v2, v2, v4 :: v_dual_add_f32 v3, v3, v199
	v_mul_f32_e32 v4, v157, v105
	v_fma_f32 v5, v154, v102, -v5
	v_fmac_f32_e32 v203, v159, v106
	s_delay_alu instid0(VALU_DEP_4) | instskip(SKIP_3) | instid1(VALU_DEP_4)
	v_dual_add_f32 v2, v2, v6 :: v_dual_add_f32 v3, v3, v200
	v_mul_f32_e32 v6, v159, v107
	v_fma_f32 v4, v156, v104, -v4
	v_fmac_f32_e32 v204, v161, v108
	v_add_f32_e32 v2, v2, v5
	v_add_f32_e32 v3, v3, v201
	v_mul_f32_e32 v5, v161, v109
	v_fma_f32 v6, v158, v106, -v6
	v_dual_mul_f32 v206, v164, v113 :: v_dual_mul_f32 v207, v166, v115
	s_delay_alu instid0(VALU_DEP_4) | instskip(SKIP_3) | instid1(VALU_DEP_4)
	v_dual_add_f32 v2, v2, v4 :: v_dual_add_f32 v3, v3, v202
	v_mul_f32_e32 v4, v163, v111
	v_fma_f32 v5, v160, v108, -v5
	v_fmac_f32_e32 v205, v163, v110
	v_dual_add_f32 v2, v2, v6 :: v_dual_add_f32 v3, v3, v203
	v_mul_f32_e32 v6, v165, v113
	v_fma_f32 v4, v162, v110, -v4
	v_fmac_f32_e32 v206, v165, v112
	s_delay_alu instid0(VALU_DEP_4) | instskip(SKIP_2) | instid1(VALU_DEP_3)
	v_dual_add_f32 v2, v2, v5 :: v_dual_add_f32 v3, v3, v204
	v_dual_mul_f32 v5, v167, v115 :: v_dual_mul_f32 v208, v168, v117
	v_mul_f32_e32 v209, v170, v119
	v_dual_add_f32 v2, v2, v4 :: v_dual_add_f32 v3, v3, v205
	v_fma_f32 v6, v164, v112, -v6
	v_dual_mul_f32 v4, v169, v117 :: v_dual_fmac_f32 v207, v167, v114
	v_fma_f32 v5, v166, v114, -v5
	s_delay_alu instid0(VALU_DEP_4) | instskip(NEXT) | instid1(VALU_DEP_4)
	v_dual_add_f32 v3, v3, v206 :: v_dual_fmac_f32 v208, v169, v116
	v_add_f32_e32 v2, v2, v6
	v_mul_f32_e32 v6, v171, v119
	v_dual_mul_f32 v210, v172, v121 :: v_dual_mul_f32 v211, v174, v123
	s_delay_alu instid0(VALU_DEP_4) | instskip(SKIP_3) | instid1(VALU_DEP_4)
	v_add_f32_e32 v3, v3, v207
	v_fma_f32 v4, v168, v116, -v4
	v_dual_add_f32 v2, v2, v5 :: v_dual_fmac_f32 v209, v171, v118
	v_fma_f32 v6, v170, v118, -v6
	v_add_f32_e32 v3, v3, v208
	s_delay_alu instid0(VALU_DEP_3) | instskip(SKIP_1) | instid1(VALU_DEP_3)
	v_dual_mul_f32 v5, v173, v121 :: v_dual_add_f32 v2, v2, v4
	v_dual_fmac_f32 v210, v173, v120 :: v_dual_fmac_f32 v211, v175, v122
	v_add_f32_e32 v3, v3, v209
	v_dual_mul_f32 v212, v176, v125 :: v_dual_mul_f32 v213, v178, v127
	v_mul_f32_e32 v4, v175, v123
	v_fma_f32 v5, v172, v120, -v5
	v_add_f32_e32 v2, v2, v6
	v_dual_mul_f32 v6, v177, v125 :: v_dual_add_f32 v3, v3, v210
	s_delay_alu instid0(VALU_DEP_4) | instskip(SKIP_1) | instid1(VALU_DEP_4)
	v_fma_f32 v4, v174, v122, -v4
	v_fmac_f32_e32 v212, v177, v124
	v_dual_add_f32 v2, v2, v5 :: v_dual_mul_f32 v5, v179, v127
	s_delay_alu instid0(VALU_DEP_4) | instskip(SKIP_1) | instid1(VALU_DEP_3)
	v_add_f32_e32 v3, v3, v211
	v_fma_f32 v6, v176, v124, -v6
	v_dual_fmac_f32 v213, v179, v126 :: v_dual_add_f32 v2, v2, v4
	s_delay_alu instid0(VALU_DEP_3) | instskip(SKIP_2) | instid1(VALU_DEP_3)
	v_dual_mul_f32 v4, v181, v129 :: v_dual_add_f32 v3, v3, v212
	v_dual_mul_f32 v215, v182, v131 :: v_dual_mul_f32 v216, v184, v133
	v_fma_f32 v5, v178, v126, -v5
	v_dual_add_f32 v2, v2, v6 :: v_dual_add_f32 v3, v3, v213
	s_delay_alu instid0(VALU_DEP_3) | instskip(SKIP_2) | instid1(VALU_DEP_3)
	v_dual_fmac_f32 v214, v181, v128 :: v_dual_fmac_f32 v215, v183, v130
	v_mul_f32_e32 v6, v183, v131
	v_fma_f32 v4, v180, v128, -v4
	v_dual_add_f32 v2, v2, v5 :: v_dual_add_f32 v3, v3, v214
	v_mul_f32_e32 v5, v185, v133
	s_delay_alu instid0(VALU_DEP_4) | instskip(SKIP_1) | instid1(VALU_DEP_4)
	v_fma_f32 v6, v182, v130, -v6
	v_dual_fmac_f32 v216, v185, v132 :: v_dual_fmac_f32 v217, v191, v186
	v_dual_add_f32 v2, v2, v4 :: v_dual_add_f32 v3, v3, v215
	v_mul_f32_e32 v4, v191, v187
	v_fma_f32 v5, v184, v132, -v5
	s_delay_alu instid0(VALU_DEP_3) | instskip(NEXT) | instid1(VALU_DEP_3)
	v_dual_add_f32 v2, v2, v6 :: v_dual_add_f32 v3, v3, v216
	v_fma_f32 v4, v190, v186, -v4
	s_delay_alu instid0(VALU_DEP_2) | instskip(SKIP_1) | instid1(VALU_DEP_1)
	v_add_f32_e32 v3, v3, v217
	s_wait_loadcnt 0x0
	v_dual_add_f32 v2, v2, v5 :: v_dual_sub_f32 v3, v189, v3
	s_delay_alu instid0(VALU_DEP_1) | instskip(NEXT) | instid1(VALU_DEP_1)
	v_add_f32_e32 v2, v2, v4
	v_sub_f32_e32 v2, v188, v2
	scratch_store_b64 off, v[2:3], off offset:88
	v_cmpx_lt_u32_e32 10, v0
	s_cbranch_execz .LBB102_227
; %bb.226:
	scratch_load_b64 v[3:4], off, off offset:80
	v_mov_b32_e32 v2, v1
	scratch_store_b64 off, v[1:2], off offset:80
	s_wait_loadcnt 0x0
	ds_store_b64 v23, v[3:4]
.LBB102_227:
	s_wait_alu 0xfffe
	s_or_b32 exec_lo, exec_lo, s0
	s_wait_storecnt_dscnt 0x0
	s_barrier_signal -1
	s_barrier_wait -1
	global_inv scope:SCOPE_SE
	s_clause 0xe
	scratch_load_b128 v[2:5], off, off offset:88
	scratch_load_b128 v[6:9], off, off offset:104
	;; [unrolled: 1-line block ×14, first 2 shown]
	scratch_load_b64 v[194:195], off, off offset:80
	ds_load_2addr_b64 v[138:141], v1 offset0:51 offset1:52
	ds_load_2addr_b64 v[142:145], v1 offset0:53 offset1:54
	;; [unrolled: 1-line block ×14, first 2 shown]
	s_mov_b32 s0, exec_lo
	s_wait_loadcnt_dscnt 0xe0d
	v_dual_mul_f32 v1, v138, v3 :: v_dual_mul_f32 v22, v140, v5
	v_mul_f32_e32 v3, v139, v3
	s_wait_loadcnt_dscnt 0xd0c
	v_dual_mul_f32 v5, v141, v5 :: v_dual_mul_f32 v196, v142, v7
	s_delay_alu instid0(VALU_DEP_3) | instskip(NEXT) | instid1(VALU_DEP_3)
	v_dual_mul_f32 v197, v144, v9 :: v_dual_fmac_f32 v22, v141, v4
	v_fma_f32 v3, v138, v2, -v3
	v_fmac_f32_e32 v1, v139, v2
	v_mul_f32_e32 v2, v143, v7
	v_fma_f32 v4, v140, v4, -v5
	s_delay_alu instid0(VALU_DEP_4)
	v_dual_fmac_f32 v196, v143, v6 :: v_dual_add_f32 v3, 0, v3
	s_wait_loadcnt_dscnt 0xa09
	v_dual_mul_f32 v202, v154, v19 :: v_dual_mul_f32 v203, v156, v21
	v_fma_f32 v2, v142, v6, -v2
	v_dual_mul_f32 v198, v146, v11 :: v_dual_mul_f32 v199, v148, v13
	v_add_f32_e32 v3, v3, v4
	v_dual_mul_f32 v5, v145, v9 :: v_dual_mul_f32 v200, v150, v15
	v_dual_mul_f32 v201, v152, v17 :: v_dual_mul_f32 v4, v147, v11
	s_delay_alu instid0(VALU_DEP_3) | instskip(NEXT) | instid1(VALU_DEP_3)
	v_add_f32_e32 v2, v3, v2
	v_fma_f32 v5, v144, v8, -v5
	v_dual_mul_f32 v3, v149, v13 :: v_dual_fmac_f32 v202, v155, v18
	s_delay_alu instid0(VALU_DEP_4) | instskip(SKIP_1) | instid1(VALU_DEP_4)
	v_fma_f32 v4, v146, v10, -v4
	v_dual_fmac_f32 v197, v145, v8 :: v_dual_fmac_f32 v198, v147, v10
	v_add_f32_e32 v2, v2, v5
	v_add_f32_e32 v1, 0, v1
	v_fma_f32 v3, v148, v12, -v3
	v_fmac_f32_e32 v200, v151, v14
	s_wait_loadcnt_dscnt 0x908
	v_dual_mul_f32 v204, v158, v103 :: v_dual_mul_f32 v205, v160, v105
	v_dual_add_f32 v1, v1, v22 :: v_dual_add_f32 v2, v2, v4
	v_mul_f32_e32 v4, v153, v17
	s_wait_loadcnt_dscnt 0x706
	v_dual_mul_f32 v208, v166, v111 :: v_dual_mul_f32 v209, v168, v113
	s_delay_alu instid0(VALU_DEP_3) | instskip(NEXT) | instid1(VALU_DEP_3)
	v_dual_add_f32 v1, v1, v196 :: v_dual_add_f32 v2, v2, v3
	v_fma_f32 v4, v152, v16, -v4
	v_mul_f32_e32 v5, v151, v15
	v_dual_mul_f32 v206, v162, v107 :: v_dual_mul_f32 v207, v164, v109
	s_wait_loadcnt_dscnt 0x403
	v_dual_add_f32 v1, v1, v197 :: v_dual_mul_f32 v214, v178, v123
	v_mul_f32_e32 v215, v180, v125
	v_fma_f32 v5, v150, v14, -v5
	v_fmac_f32_e32 v199, v149, v12
	s_delay_alu instid0(VALU_DEP_4)
	v_add_f32_e32 v1, v1, v198
	v_fmac_f32_e32 v204, v159, v102
	v_dual_mul_f32 v210, v170, v115 :: v_dual_mul_f32 v211, v172, v117
	v_add_f32_e32 v2, v2, v5
	v_dual_fmac_f32 v206, v163, v106 :: v_dual_fmac_f32 v205, v161, v104
	v_dual_mul_f32 v212, v174, v119 :: v_dual_mul_f32 v213, v176, v121
	s_delay_alu instid0(VALU_DEP_3) | instskip(SKIP_2) | instid1(VALU_DEP_4)
	v_add_f32_e32 v2, v2, v4
	v_mul_f32_e32 v4, v159, v103
	v_add_f32_e32 v1, v1, v199
	v_dual_fmac_f32 v207, v165, v108 :: v_dual_fmac_f32 v212, v175, v118
	s_wait_loadcnt_dscnt 0x100
	v_dual_mul_f32 v220, v190, v135 :: v_dual_mul_f32 v221, v192, v137
	v_fma_f32 v4, v158, v102, -v4
	v_mul_f32_e32 v5, v157, v21
	v_dual_add_f32 v1, v1, v200 :: v_dual_fmac_f32 v208, v167, v110
	v_dual_fmac_f32 v209, v169, v112 :: v_dual_mul_f32 v216, v182, v127
	v_mul_f32_e32 v217, v184, v129
	s_delay_alu instid0(VALU_DEP_4) | instskip(SKIP_2) | instid1(VALU_DEP_4)
	v_fma_f32 v5, v156, v20, -v5
	v_mul_f32_e32 v3, v155, v19
	v_dual_mul_f32 v218, v186, v131 :: v_dual_mul_f32 v219, v188, v133
	v_fmac_f32_e32 v217, v185, v128
	v_fmac_f32_e32 v221, v193, v136
	s_delay_alu instid0(VALU_DEP_4) | instskip(SKIP_3) | instid1(VALU_DEP_4)
	v_fma_f32 v3, v154, v18, -v3
	v_fmac_f32_e32 v201, v153, v16
	v_dual_fmac_f32 v219, v189, v132 :: v_dual_fmac_f32 v214, v179, v122
	v_fmac_f32_e32 v210, v171, v114
	v_dual_add_f32 v2, v2, v3 :: v_dual_mul_f32 v3, v161, v105
	v_fmac_f32_e32 v220, v191, v134
	v_fmac_f32_e32 v216, v183, v126
	;; [unrolled: 1-line block ×3, first 2 shown]
	s_delay_alu instid0(VALU_DEP_4) | instskip(SKIP_1) | instid1(VALU_DEP_2)
	v_dual_add_f32 v2, v2, v5 :: v_dual_mul_f32 v5, v163, v107
	v_fma_f32 v3, v160, v104, -v3
	v_dual_add_f32 v2, v2, v4 :: v_dual_add_f32 v1, v1, v201
	v_mul_f32_e32 v4, v165, v109
	s_delay_alu instid0(VALU_DEP_4) | instskip(NEXT) | instid1(VALU_DEP_3)
	v_fma_f32 v5, v162, v106, -v5
	v_dual_add_f32 v2, v2, v3 :: v_dual_fmac_f32 v203, v157, v20
	s_delay_alu instid0(VALU_DEP_3) | instskip(NEXT) | instid1(VALU_DEP_2)
	v_fma_f32 v4, v164, v108, -v4
	v_add_f32_e32 v2, v2, v5
	v_mul_f32_e32 v5, v169, v113
	s_delay_alu instid0(VALU_DEP_2) | instskip(NEXT) | instid1(VALU_DEP_2)
	v_dual_add_f32 v1, v1, v202 :: v_dual_add_f32 v2, v2, v4
	v_fma_f32 v5, v168, v112, -v5
	v_mul_f32_e32 v3, v167, v111
	s_delay_alu instid0(VALU_DEP_3) | instskip(SKIP_1) | instid1(VALU_DEP_3)
	v_add_f32_e32 v1, v1, v203
	v_mul_f32_e32 v4, v171, v115
	v_fma_f32 v3, v166, v110, -v3
	s_delay_alu instid0(VALU_DEP_3) | instskip(NEXT) | instid1(VALU_DEP_3)
	v_add_f32_e32 v1, v1, v204
	v_fma_f32 v4, v170, v114, -v4
	s_delay_alu instid0(VALU_DEP_3) | instskip(NEXT) | instid1(VALU_DEP_1)
	v_add_f32_e32 v2, v2, v3
	v_add_f32_e32 v2, v2, v5
	s_delay_alu instid0(VALU_DEP_4) | instskip(NEXT) | instid1(VALU_DEP_2)
	v_add_f32_e32 v1, v1, v205
	v_dual_mul_f32 v5, v175, v119 :: v_dual_add_f32 v2, v2, v4
	v_mul_f32_e32 v4, v177, v121
	s_delay_alu instid0(VALU_DEP_2) | instskip(NEXT) | instid1(VALU_DEP_2)
	v_fma_f32 v5, v174, v118, -v5
	v_fma_f32 v4, v176, v120, -v4
	v_mul_f32_e32 v3, v173, v117
	s_delay_alu instid0(VALU_DEP_1) | instskip(NEXT) | instid1(VALU_DEP_1)
	v_fma_f32 v3, v172, v116, -v3
	v_dual_add_f32 v1, v1, v206 :: v_dual_add_f32 v2, v2, v3
	s_delay_alu instid0(VALU_DEP_1) | instskip(NEXT) | instid1(VALU_DEP_2)
	v_add_f32_e32 v1, v1, v207
	v_dual_mul_f32 v3, v179, v123 :: v_dual_add_f32 v2, v2, v5
	v_mul_f32_e32 v5, v181, v125
	s_delay_alu instid0(VALU_DEP_2) | instskip(NEXT) | instid1(VALU_DEP_3)
	v_fma_f32 v3, v178, v122, -v3
	v_add_f32_e32 v2, v2, v4
	v_dual_add_f32 v1, v1, v208 :: v_dual_mul_f32 v4, v183, v127
	s_delay_alu instid0(VALU_DEP_4) | instskip(NEXT) | instid1(VALU_DEP_2)
	v_fma_f32 v5, v180, v124, -v5
	v_dual_add_f32 v2, v2, v3 :: v_dual_add_f32 v1, v1, v209
	v_fmac_f32_e32 v211, v173, v116
	v_mul_f32_e32 v3, v185, v129
	v_fma_f32 v4, v182, v126, -v4
	s_delay_alu instid0(VALU_DEP_4) | instskip(SKIP_1) | instid1(VALU_DEP_4)
	v_dual_add_f32 v2, v2, v5 :: v_dual_add_f32 v1, v1, v210
	v_mul_f32_e32 v5, v187, v131
	v_fma_f32 v3, v184, v128, -v3
	s_delay_alu instid0(VALU_DEP_3) | instskip(SKIP_3) | instid1(VALU_DEP_4)
	v_dual_add_f32 v2, v2, v4 :: v_dual_add_f32 v1, v1, v211
	v_fmac_f32_e32 v213, v177, v120
	v_mul_f32_e32 v4, v189, v133
	v_fma_f32 v5, v186, v130, -v5
	v_dual_add_f32 v2, v2, v3 :: v_dual_add_f32 v1, v1, v212
	v_mul_f32_e32 v3, v191, v135
	s_delay_alu instid0(VALU_DEP_4) | instskip(NEXT) | instid1(VALU_DEP_3)
	v_fma_f32 v4, v188, v132, -v4
	v_add_f32_e32 v2, v2, v5
	s_delay_alu instid0(VALU_DEP_4) | instskip(SKIP_2) | instid1(VALU_DEP_4)
	v_add_f32_e32 v1, v1, v213
	v_mul_f32_e32 v5, v193, v137
	v_fma_f32 v3, v190, v134, -v3
	v_add_f32_e32 v2, v2, v4
	v_fmac_f32_e32 v215, v181, v124
	s_delay_alu instid0(VALU_DEP_4) | instskip(NEXT) | instid1(VALU_DEP_3)
	v_fma_f32 v4, v192, v136, -v5
	v_dual_add_f32 v2, v2, v3 :: v_dual_add_f32 v1, v1, v214
	s_delay_alu instid0(VALU_DEP_1) | instskip(NEXT) | instid1(VALU_DEP_1)
	v_dual_add_f32 v2, v2, v4 :: v_dual_add_f32 v1, v1, v215
	v_add_f32_e32 v1, v1, v216
	s_delay_alu instid0(VALU_DEP_1) | instskip(NEXT) | instid1(VALU_DEP_1)
	v_add_f32_e32 v1, v1, v217
	v_add_f32_e32 v1, v1, v218
	s_delay_alu instid0(VALU_DEP_1) | instskip(NEXT) | instid1(VALU_DEP_1)
	v_add_f32_e32 v1, v1, v219
	v_add_f32_e32 v1, v1, v220
	s_delay_alu instid0(VALU_DEP_1) | instskip(SKIP_1) | instid1(VALU_DEP_1)
	v_add_f32_e32 v3, v1, v221
	s_wait_loadcnt 0x0
	v_dual_sub_f32 v1, v194, v2 :: v_dual_sub_f32 v2, v195, v3
	scratch_store_b64 off, v[1:2], off offset:80
	v_cmpx_lt_u32_e32 9, v0
	s_cbranch_execz .LBB102_229
; %bb.228:
	scratch_load_b64 v[1:2], off, off offset:72
	v_mov_b32_e32 v3, 0
	s_delay_alu instid0(VALU_DEP_1)
	v_mov_b32_e32 v4, v3
	scratch_store_b64 off, v[3:4], off offset:72
	s_wait_loadcnt 0x0
	ds_store_b64 v23, v[1:2]
.LBB102_229:
	s_wait_alu 0xfffe
	s_or_b32 exec_lo, exec_lo, s0
	s_wait_storecnt_dscnt 0x0
	s_barrier_signal -1
	s_barrier_wait -1
	global_inv scope:SCOPE_SE
	s_clause 0xf
	scratch_load_b128 v[2:5], off, off offset:80
	scratch_load_b128 v[6:9], off, off offset:96
	;; [unrolled: 1-line block ×14, first 2 shown]
	scratch_load_b64 v[194:195], off, off offset:304
	scratch_load_b64 v[196:197], off, off offset:72
	v_mov_b32_e32 v1, 0
	ds_load_b128 v[138:141], v1 offset:400
	ds_load_b128 v[142:145], v1 offset:416
	;; [unrolled: 1-line block ×14, first 2 shown]
	ds_load_b64 v[198:199], v1 offset:624
	s_mov_b32 s0, exec_lo
	s_wait_loadcnt_dscnt 0xf0e
	v_mul_f32_e32 v22, v138, v3
	s_wait_loadcnt_dscnt 0xe0d
	v_dual_mul_f32 v200, v140, v5 :: v_dual_mul_f32 v201, v142, v7
	v_mul_f32_e32 v5, v141, v5
	s_wait_loadcnt_dscnt 0xd0c
	v_dual_mul_f32 v202, v144, v9 :: v_dual_mul_f32 v203, v146, v11
	s_wait_loadcnt_dscnt 0xc0b
	v_dual_mul_f32 v204, v148, v13 :: v_dual_mul_f32 v205, v150, v15
	v_dual_mul_f32 v3, v139, v3 :: v_dual_mul_f32 v206, v152, v17
	s_wait_loadcnt_dscnt 0xb0a
	v_dual_mul_f32 v207, v154, v19 :: v_dual_fmac_f32 v22, v139, v2
	s_wait_loadcnt_dscnt 0x302
	v_mul_f32_e32 v224, v188, v133
	v_fma_f32 v3, v138, v2, -v3
	s_wait_loadcnt_dscnt 0x100
	v_mul_f32_e32 v227, v198, v195
	v_mul_f32_e32 v2, v143, v7
	v_fmac_f32_e32 v200, v141, v4
	v_fma_f32 v4, v140, v4, -v5
	v_add_f32_e32 v3, 0, v3
	v_dual_add_f32 v5, 0, v22 :: v_dual_fmac_f32 v202, v145, v8
	v_fmac_f32_e32 v201, v143, v6
	v_fma_f32 v2, v142, v6, -v2
	s_delay_alu instid0(VALU_DEP_4) | instskip(SKIP_3) | instid1(VALU_DEP_4)
	v_add_f32_e32 v3, v3, v4
	v_mul_f32_e32 v7, v145, v9
	v_dual_add_f32 v4, v5, v200 :: v_dual_fmac_f32 v203, v147, v10
	v_fmac_f32_e32 v204, v149, v12
	v_add_f32_e32 v2, v3, v2
	s_delay_alu instid0(VALU_DEP_4)
	v_fma_f32 v6, v144, v8, -v7
	v_mul_f32_e32 v5, v147, v11
	v_add_f32_e32 v3, v4, v201
	v_dual_mul_f32 v4, v149, v13 :: v_dual_fmac_f32 v205, v151, v14
	v_fmac_f32_e32 v206, v153, v16
	v_add_f32_e32 v2, v2, v6
	v_fma_f32 v5, v146, v10, -v5
	v_mul_f32_e32 v6, v151, v15
	v_add_f32_e32 v3, v3, v202
	v_fma_f32 v4, v148, v12, -v4
	v_dual_mul_f32 v208, v156, v21 :: v_dual_mul_f32 v209, v158, v103
	s_delay_alu instid0(VALU_DEP_3) | instskip(SKIP_3) | instid1(VALU_DEP_4)
	v_dual_add_f32 v2, v2, v5 :: v_dual_add_f32 v3, v3, v203
	v_mul_f32_e32 v5, v153, v17
	v_fma_f32 v6, v150, v14, -v6
	v_dual_mul_f32 v210, v160, v105 :: v_dual_mul_f32 v211, v162, v107
	v_add_f32_e32 v2, v2, v4
	v_add_f32_e32 v3, v3, v204
	v_mul_f32_e32 v4, v155, v19
	v_fma_f32 v5, v152, v16, -v5
	v_fmac_f32_e32 v207, v155, v18
	s_delay_alu instid0(VALU_DEP_4) | instskip(SKIP_3) | instid1(VALU_DEP_4)
	v_dual_add_f32 v2, v2, v6 :: v_dual_add_f32 v3, v3, v205
	v_fmac_f32_e32 v208, v157, v20
	v_mul_f32_e32 v6, v157, v21
	v_fma_f32 v4, v154, v18, -v4
	v_dual_add_f32 v2, v2, v5 :: v_dual_add_f32 v3, v3, v206
	v_mul_f32_e32 v5, v159, v103
	s_delay_alu instid0(VALU_DEP_4) | instskip(SKIP_1) | instid1(VALU_DEP_4)
	v_fma_f32 v6, v156, v20, -v6
	v_dual_fmac_f32 v209, v159, v102 :: v_dual_fmac_f32 v210, v161, v104
	v_dual_add_f32 v2, v2, v4 :: v_dual_add_f32 v3, v3, v207
	v_mul_f32_e32 v4, v161, v105
	v_fma_f32 v5, v158, v102, -v5
	v_fmac_f32_e32 v211, v163, v106
	s_delay_alu instid0(VALU_DEP_4) | instskip(SKIP_3) | instid1(VALU_DEP_4)
	v_dual_add_f32 v2, v2, v6 :: v_dual_add_f32 v3, v3, v208
	v_mul_f32_e32 v6, v163, v107
	v_fma_f32 v4, v160, v104, -v4
	v_dual_mul_f32 v212, v164, v109 :: v_dual_mul_f32 v213, v166, v111
	v_add_f32_e32 v2, v2, v5
	v_add_f32_e32 v3, v3, v209
	v_mul_f32_e32 v5, v165, v109
	v_fma_f32 v6, v162, v106, -v6
	v_fmac_f32_e32 v212, v165, v108
	s_delay_alu instid0(VALU_DEP_4) | instskip(SKIP_3) | instid1(VALU_DEP_4)
	v_dual_add_f32 v2, v2, v4 :: v_dual_add_f32 v3, v3, v210
	v_mul_f32_e32 v4, v167, v111
	v_fma_f32 v5, v164, v108, -v5
	v_dual_mul_f32 v214, v168, v113 :: v_dual_mul_f32 v215, v170, v115
	v_dual_add_f32 v2, v2, v6 :: v_dual_add_f32 v3, v3, v211
	v_dual_mul_f32 v6, v169, v113 :: v_dual_fmac_f32 v213, v167, v110
	v_fma_f32 v4, v166, v110, -v4
	s_delay_alu instid0(VALU_DEP_3) | instskip(SKIP_3) | instid1(VALU_DEP_4)
	v_dual_add_f32 v2, v2, v5 :: v_dual_add_f32 v3, v3, v212
	v_dual_mul_f32 v216, v172, v117 :: v_dual_mul_f32 v217, v174, v119
	v_dual_mul_f32 v5, v171, v115 :: v_dual_fmac_f32 v214, v169, v112
	v_fma_f32 v6, v168, v112, -v6
	v_dual_add_f32 v2, v2, v4 :: v_dual_add_f32 v3, v3, v213
	v_dual_mul_f32 v4, v173, v117 :: v_dual_fmac_f32 v215, v171, v114
	s_delay_alu instid0(VALU_DEP_4) | instskip(NEXT) | instid1(VALU_DEP_3)
	v_fma_f32 v5, v170, v114, -v5
	v_dual_fmac_f32 v216, v173, v116 :: v_dual_add_f32 v3, v3, v214
	s_delay_alu instid0(VALU_DEP_4) | instskip(SKIP_3) | instid1(VALU_DEP_4)
	v_add_f32_e32 v2, v2, v6
	v_mul_f32_e32 v6, v175, v119
	v_fma_f32 v4, v172, v116, -v4
	v_dual_mul_f32 v218, v176, v121 :: v_dual_mul_f32 v219, v178, v123
	v_dual_add_f32 v3, v3, v215 :: v_dual_add_f32 v2, v2, v5
	v_fmac_f32_e32 v217, v175, v118
	v_mul_f32_e32 v5, v177, v121
	v_fma_f32 v6, v174, v118, -v6
	s_delay_alu instid0(VALU_DEP_4) | instskip(SKIP_4) | instid1(VALU_DEP_4)
	v_add_f32_e32 v3, v3, v216
	v_add_f32_e32 v2, v2, v4
	v_mul_f32_e32 v4, v179, v123
	v_dual_fmac_f32 v218, v177, v120 :: v_dual_fmac_f32 v219, v179, v122
	v_fma_f32 v5, v176, v120, -v5
	v_dual_add_f32 v3, v3, v217 :: v_dual_add_f32 v2, v2, v6
	v_dual_mul_f32 v220, v180, v125 :: v_dual_mul_f32 v221, v182, v127
	s_delay_alu instid0(VALU_DEP_2) | instskip(SKIP_1) | instid1(VALU_DEP_4)
	v_dual_mul_f32 v6, v181, v125 :: v_dual_add_f32 v3, v3, v218
	v_fma_f32 v4, v178, v122, -v4
	v_dual_add_f32 v2, v2, v5 :: v_dual_mul_f32 v5, v183, v127
	s_delay_alu instid0(VALU_DEP_3) | instskip(NEXT) | instid1(VALU_DEP_4)
	v_dual_fmac_f32 v220, v181, v124 :: v_dual_add_f32 v3, v3, v219
	v_fma_f32 v6, v180, v124, -v6
	s_delay_alu instid0(VALU_DEP_3) | instskip(SKIP_1) | instid1(VALU_DEP_4)
	v_dual_add_f32 v2, v2, v4 :: v_dual_fmac_f32 v221, v183, v126
	v_dual_mul_f32 v222, v184, v129 :: v_dual_mul_f32 v223, v186, v131
	v_dual_mul_f32 v4, v185, v129 :: v_dual_add_f32 v3, v3, v220
	v_fma_f32 v5, v182, v126, -v5
	s_delay_alu instid0(VALU_DEP_4)
	v_add_f32_e32 v2, v2, v6
	v_mul_f32_e32 v6, v187, v131
	v_dual_fmac_f32 v222, v185, v128 :: v_dual_fmac_f32 v223, v187, v130
	v_fma_f32 v4, v184, v128, -v4
	v_add_f32_e32 v3, v3, v221
	v_add_f32_e32 v2, v2, v5
	v_dual_mul_f32 v225, v190, v135 :: v_dual_mul_f32 v226, v192, v137
	v_mul_f32_e32 v5, v189, v133
	v_fma_f32 v6, v186, v130, -v6
	s_delay_alu instid0(VALU_DEP_4) | instskip(SKIP_3) | instid1(VALU_DEP_4)
	v_dual_add_f32 v3, v3, v222 :: v_dual_add_f32 v2, v2, v4
	v_mul_f32_e32 v4, v191, v135
	v_dual_fmac_f32 v224, v189, v132 :: v_dual_fmac_f32 v225, v191, v134
	v_fma_f32 v5, v188, v132, -v5
	v_dual_add_f32 v3, v3, v223 :: v_dual_add_f32 v2, v2, v6
	v_mul_f32_e32 v6, v193, v137
	v_fma_f32 v4, v190, v134, -v4
	v_fmac_f32_e32 v227, v199, v194
	s_delay_alu instid0(VALU_DEP_4) | instskip(SKIP_2) | instid1(VALU_DEP_3)
	v_dual_add_f32 v3, v3, v224 :: v_dual_add_f32 v2, v2, v5
	v_dual_mul_f32 v5, v199, v195 :: v_dual_fmac_f32 v226, v193, v136
	v_fma_f32 v6, v192, v136, -v6
	v_dual_add_f32 v3, v3, v225 :: v_dual_add_f32 v2, v2, v4
	s_delay_alu instid0(VALU_DEP_3) | instskip(NEXT) | instid1(VALU_DEP_2)
	v_fma_f32 v4, v198, v194, -v5
	v_add_f32_e32 v3, v3, v226
	s_delay_alu instid0(VALU_DEP_1) | instskip(SKIP_1) | instid1(VALU_DEP_1)
	v_dual_add_f32 v2, v2, v6 :: v_dual_add_f32 v3, v3, v227
	s_wait_loadcnt 0x0
	v_dual_add_f32 v2, v2, v4 :: v_dual_sub_f32 v3, v197, v3
	s_delay_alu instid0(VALU_DEP_1)
	v_sub_f32_e32 v2, v196, v2
	scratch_store_b64 off, v[2:3], off offset:72
	v_cmpx_lt_u32_e32 8, v0
	s_cbranch_execz .LBB102_231
; %bb.230:
	scratch_load_b64 v[3:4], off, off offset:64
	v_mov_b32_e32 v2, v1
	scratch_store_b64 off, v[1:2], off offset:64
	s_wait_loadcnt 0x0
	ds_store_b64 v23, v[3:4]
.LBB102_231:
	s_wait_alu 0xfffe
	s_or_b32 exec_lo, exec_lo, s0
	s_wait_storecnt_dscnt 0x0
	s_barrier_signal -1
	s_barrier_wait -1
	global_inv scope:SCOPE_SE
	s_clause 0xf
	scratch_load_b128 v[2:5], off, off offset:72
	scratch_load_b128 v[6:9], off, off offset:88
	;; [unrolled: 1-line block ×15, first 2 shown]
	scratch_load_b64 v[202:203], off, off offset:64
	ds_load_2addr_b64 v[142:145], v1 offset0:49 offset1:50
	ds_load_2addr_b64 v[146:149], v1 offset0:51 offset1:52
	;; [unrolled: 1-line block ×15, first 2 shown]
	s_mov_b32 s0, exec_lo
	s_wait_loadcnt_dscnt 0xf0e
	v_dual_mul_f32 v1, v142, v3 :: v_dual_mul_f32 v22, v144, v5
	v_mul_f32_e32 v3, v143, v3
	s_wait_loadcnt_dscnt 0xe0d
	v_dual_mul_f32 v5, v145, v5 :: v_dual_mul_f32 v204, v146, v7
	s_delay_alu instid0(VALU_DEP_3) | instskip(NEXT) | instid1(VALU_DEP_3)
	v_dual_mul_f32 v205, v148, v9 :: v_dual_fmac_f32 v22, v145, v4
	v_fma_f32 v3, v142, v2, -v3
	v_fmac_f32_e32 v1, v143, v2
	v_mul_f32_e32 v2, v147, v7
	v_fma_f32 v4, v144, v4, -v5
	s_delay_alu instid0(VALU_DEP_4)
	v_dual_fmac_f32 v204, v147, v6 :: v_dual_add_f32 v3, 0, v3
	s_wait_loadcnt_dscnt 0xb0a
	v_dual_mul_f32 v210, v158, v19 :: v_dual_mul_f32 v211, v160, v21
	v_fma_f32 v2, v146, v6, -v2
	v_dual_mul_f32 v206, v150, v11 :: v_dual_mul_f32 v207, v152, v13
	v_add_f32_e32 v3, v3, v4
	v_dual_mul_f32 v5, v149, v9 :: v_dual_mul_f32 v208, v154, v15
	v_dual_mul_f32 v209, v156, v17 :: v_dual_mul_f32 v4, v151, v11
	s_delay_alu instid0(VALU_DEP_3) | instskip(NEXT) | instid1(VALU_DEP_3)
	v_add_f32_e32 v2, v3, v2
	v_fma_f32 v5, v148, v8, -v5
	v_dual_mul_f32 v3, v153, v13 :: v_dual_fmac_f32 v210, v159, v18
	s_delay_alu instid0(VALU_DEP_4) | instskip(SKIP_1) | instid1(VALU_DEP_4)
	v_fma_f32 v4, v150, v10, -v4
	v_dual_fmac_f32 v205, v149, v8 :: v_dual_fmac_f32 v206, v151, v10
	v_add_f32_e32 v2, v2, v5
	v_add_f32_e32 v1, 0, v1
	v_fma_f32 v3, v152, v12, -v3
	v_fmac_f32_e32 v208, v155, v14
	s_wait_loadcnt_dscnt 0xa09
	v_dual_mul_f32 v212, v162, v103 :: v_dual_mul_f32 v213, v164, v105
	v_dual_add_f32 v1, v1, v22 :: v_dual_add_f32 v2, v2, v4
	v_mul_f32_e32 v4, v157, v17
	s_wait_loadcnt_dscnt 0x807
	v_dual_mul_f32 v216, v170, v111 :: v_dual_mul_f32 v217, v172, v113
	s_delay_alu instid0(VALU_DEP_3) | instskip(NEXT) | instid1(VALU_DEP_3)
	v_dual_add_f32 v1, v1, v204 :: v_dual_add_f32 v2, v2, v3
	v_fma_f32 v4, v156, v16, -v4
	v_mul_f32_e32 v5, v155, v15
	v_dual_mul_f32 v214, v166, v107 :: v_dual_mul_f32 v215, v168, v109
	s_wait_loadcnt_dscnt 0x504
	v_dual_add_f32 v1, v1, v205 :: v_dual_mul_f32 v222, v182, v123
	v_mul_f32_e32 v223, v184, v125
	v_fma_f32 v5, v154, v14, -v5
	v_fmac_f32_e32 v207, v153, v12
	s_delay_alu instid0(VALU_DEP_4)
	v_add_f32_e32 v1, v1, v206
	v_fmac_f32_e32 v212, v163, v102
	v_dual_mul_f32 v218, v174, v115 :: v_dual_mul_f32 v219, v176, v117
	v_add_f32_e32 v2, v2, v5
	v_dual_fmac_f32 v214, v167, v106 :: v_dual_fmac_f32 v213, v165, v104
	v_dual_mul_f32 v220, v178, v119 :: v_dual_mul_f32 v221, v180, v121
	s_delay_alu instid0(VALU_DEP_3) | instskip(SKIP_2) | instid1(VALU_DEP_4)
	v_add_f32_e32 v2, v2, v4
	v_mul_f32_e32 v4, v163, v103
	v_add_f32_e32 v1, v1, v207
	v_dual_fmac_f32 v215, v169, v108 :: v_dual_fmac_f32 v220, v179, v118
	s_wait_loadcnt_dscnt 0x201
	v_dual_mul_f32 v228, v194, v135 :: v_dual_mul_f32 v229, v196, v137
	v_fma_f32 v4, v162, v102, -v4
	v_mul_f32_e32 v5, v161, v21
	v_dual_add_f32 v1, v1, v208 :: v_dual_fmac_f32 v216, v171, v110
	v_dual_fmac_f32 v217, v173, v112 :: v_dual_mul_f32 v224, v186, v127
	v_mul_f32_e32 v225, v188, v129
	s_delay_alu instid0(VALU_DEP_4) | instskip(SKIP_4) | instid1(VALU_DEP_3)
	v_fma_f32 v5, v160, v20, -v5
	v_mul_f32_e32 v3, v159, v19
	s_wait_loadcnt_dscnt 0x100
	v_dual_mul_f32 v230, v198, v139 :: v_dual_mul_f32 v231, v200, v141
	v_dual_mul_f32 v226, v190, v131 :: v_dual_mul_f32 v227, v192, v133
	v_fma_f32 v3, v158, v18, -v3
	v_fmac_f32_e32 v209, v157, v16
	v_fmac_f32_e32 v223, v185, v124
	;; [unrolled: 1-line block ×3, first 2 shown]
	s_delay_alu instid0(VALU_DEP_4) | instskip(SKIP_3) | instid1(VALU_DEP_4)
	v_dual_fmac_f32 v227, v193, v132 :: v_dual_add_f32 v2, v2, v3
	v_mul_f32_e32 v3, v165, v105
	v_dual_fmac_f32 v231, v201, v140 :: v_dual_fmac_f32 v222, v183, v122
	v_fmac_f32_e32 v218, v175, v114
	v_dual_add_f32 v2, v2, v5 :: v_dual_mul_f32 v5, v167, v107
	s_delay_alu instid0(VALU_DEP_4) | instskip(SKIP_2) | instid1(VALU_DEP_4)
	v_fma_f32 v3, v164, v104, -v3
	v_fmac_f32_e32 v228, v195, v134
	v_fmac_f32_e32 v224, v187, v126
	v_dual_add_f32 v2, v2, v4 :: v_dual_add_f32 v1, v1, v209
	v_mul_f32_e32 v4, v169, v109
	v_fma_f32 v5, v166, v106, -v5
	v_fmac_f32_e32 v230, v199, v138
	s_delay_alu instid0(VALU_DEP_4) | instskip(NEXT) | instid1(VALU_DEP_4)
	v_dual_add_f32 v2, v2, v3 :: v_dual_fmac_f32 v211, v161, v20
	v_fma_f32 v4, v168, v108, -v4
	v_fmac_f32_e32 v226, v191, v130
	s_delay_alu instid0(VALU_DEP_3) | instskip(SKIP_1) | instid1(VALU_DEP_2)
	v_add_f32_e32 v2, v2, v5
	v_mul_f32_e32 v5, v173, v113
	v_dual_add_f32 v1, v1, v210 :: v_dual_add_f32 v2, v2, v4
	s_delay_alu instid0(VALU_DEP_2) | instskip(SKIP_1) | instid1(VALU_DEP_3)
	v_fma_f32 v5, v172, v112, -v5
	v_mul_f32_e32 v3, v171, v111
	v_add_f32_e32 v1, v1, v211
	v_mul_f32_e32 v4, v175, v115
	s_delay_alu instid0(VALU_DEP_3) | instskip(NEXT) | instid1(VALU_DEP_3)
	v_fma_f32 v3, v170, v110, -v3
	v_add_f32_e32 v1, v1, v212
	s_delay_alu instid0(VALU_DEP_3) | instskip(NEXT) | instid1(VALU_DEP_3)
	v_fma_f32 v4, v174, v114, -v4
	v_add_f32_e32 v2, v2, v3
	s_delay_alu instid0(VALU_DEP_1) | instskip(NEXT) | instid1(VALU_DEP_4)
	v_add_f32_e32 v2, v2, v5
	v_add_f32_e32 v1, v1, v213
	s_delay_alu instid0(VALU_DEP_2) | instskip(SKIP_1) | instid1(VALU_DEP_2)
	v_dual_mul_f32 v5, v179, v119 :: v_dual_add_f32 v2, v2, v4
	v_mul_f32_e32 v4, v181, v121
	v_fma_f32 v5, v178, v118, -v5
	s_delay_alu instid0(VALU_DEP_2) | instskip(SKIP_1) | instid1(VALU_DEP_1)
	v_fma_f32 v4, v180, v120, -v4
	v_mul_f32_e32 v3, v177, v117
	v_fma_f32 v3, v176, v116, -v3
	s_delay_alu instid0(VALU_DEP_1) | instskip(NEXT) | instid1(VALU_DEP_1)
	v_dual_add_f32 v1, v1, v214 :: v_dual_add_f32 v2, v2, v3
	v_add_f32_e32 v1, v1, v215
	s_delay_alu instid0(VALU_DEP_2) | instskip(SKIP_1) | instid1(VALU_DEP_2)
	v_dual_mul_f32 v3, v183, v123 :: v_dual_add_f32 v2, v2, v5
	v_mul_f32_e32 v5, v185, v125
	v_fma_f32 v3, v182, v122, -v3
	s_delay_alu instid0(VALU_DEP_3) | instskip(SKIP_1) | instid1(VALU_DEP_4)
	v_add_f32_e32 v2, v2, v4
	v_dual_add_f32 v1, v1, v216 :: v_dual_mul_f32 v4, v187, v127
	v_fma_f32 v5, v184, v124, -v5
	s_delay_alu instid0(VALU_DEP_2) | instskip(SKIP_3) | instid1(VALU_DEP_4)
	v_dual_add_f32 v2, v2, v3 :: v_dual_add_f32 v1, v1, v217
	v_fmac_f32_e32 v219, v177, v116
	v_mul_f32_e32 v3, v189, v129
	v_fma_f32 v4, v186, v126, -v4
	v_dual_add_f32 v2, v2, v5 :: v_dual_add_f32 v1, v1, v218
	v_mul_f32_e32 v5, v191, v131
	s_delay_alu instid0(VALU_DEP_4) | instskip(NEXT) | instid1(VALU_DEP_3)
	v_fma_f32 v3, v188, v128, -v3
	v_dual_add_f32 v2, v2, v4 :: v_dual_add_f32 v1, v1, v219
	v_fmac_f32_e32 v221, v181, v120
	v_mul_f32_e32 v4, v193, v133
	v_fma_f32 v5, v190, v130, -v5
	s_delay_alu instid0(VALU_DEP_4) | instskip(SKIP_1) | instid1(VALU_DEP_4)
	v_dual_add_f32 v2, v2, v3 :: v_dual_add_f32 v1, v1, v220
	v_mul_f32_e32 v3, v195, v135
	v_fma_f32 v4, v192, v132, -v4
	s_delay_alu instid0(VALU_DEP_3) | instskip(NEXT) | instid1(VALU_DEP_4)
	v_add_f32_e32 v2, v2, v5
	v_add_f32_e32 v1, v1, v221
	v_mul_f32_e32 v5, v197, v137
	v_fma_f32 v3, v194, v134, -v3
	s_delay_alu instid0(VALU_DEP_3) | instskip(SKIP_1) | instid1(VALU_DEP_4)
	v_dual_add_f32 v2, v2, v4 :: v_dual_add_f32 v1, v1, v222
	v_mul_f32_e32 v4, v199, v139
	v_fma_f32 v5, v196, v136, -v5
	s_delay_alu instid0(VALU_DEP_3) | instskip(NEXT) | instid1(VALU_DEP_4)
	v_add_f32_e32 v2, v2, v3
	v_add_f32_e32 v1, v1, v223
	v_mul_f32_e32 v3, v201, v141
	v_fma_f32 v4, v198, v138, -v4
	s_delay_alu instid0(VALU_DEP_3) | instskip(NEXT) | instid1(VALU_DEP_3)
	v_dual_add_f32 v2, v2, v5 :: v_dual_add_f32 v1, v1, v224
	v_fma_f32 v3, v200, v140, -v3
	s_delay_alu instid0(VALU_DEP_2) | instskip(NEXT) | instid1(VALU_DEP_1)
	v_add_f32_e32 v2, v2, v4
	v_dual_fmac_f32 v225, v189, v128 :: v_dual_add_f32 v2, v2, v3
	s_delay_alu instid0(VALU_DEP_1) | instskip(NEXT) | instid1(VALU_DEP_1)
	v_add_f32_e32 v1, v1, v225
	v_add_f32_e32 v1, v1, v226
	s_delay_alu instid0(VALU_DEP_1) | instskip(NEXT) | instid1(VALU_DEP_1)
	v_add_f32_e32 v1, v1, v227
	v_add_f32_e32 v1, v1, v228
	;; [unrolled: 3-line block ×3, first 2 shown]
	s_delay_alu instid0(VALU_DEP_1) | instskip(SKIP_1) | instid1(VALU_DEP_1)
	v_add_f32_e32 v3, v1, v231
	s_wait_loadcnt 0x0
	v_dual_sub_f32 v1, v202, v2 :: v_dual_sub_f32 v2, v203, v3
	scratch_store_b64 off, v[1:2], off offset:64
	v_cmpx_lt_u32_e32 7, v0
	s_cbranch_execz .LBB102_233
; %bb.232:
	scratch_load_b64 v[1:2], off, off offset:56
	v_mov_b32_e32 v3, 0
	s_delay_alu instid0(VALU_DEP_1)
	v_mov_b32_e32 v4, v3
	scratch_store_b64 off, v[3:4], off offset:56
	s_wait_loadcnt 0x0
	ds_store_b64 v23, v[1:2]
.LBB102_233:
	s_wait_alu 0xfffe
	s_or_b32 exec_lo, exec_lo, s0
	s_wait_storecnt_dscnt 0x0
	s_barrier_signal -1
	s_barrier_wait -1
	global_inv scope:SCOPE_SE
	s_clause 0x10
	scratch_load_b128 v[2:5], off, off offset:64
	scratch_load_b128 v[6:9], off, off offset:80
	;; [unrolled: 1-line block ×15, first 2 shown]
	scratch_load_b64 v[202:203], off, off offset:304
	scratch_load_b64 v[204:205], off, off offset:56
	v_mov_b32_e32 v1, 0
	ds_load_b128 v[142:145], v1 offset:384
	ds_load_b128 v[146:149], v1 offset:400
	;; [unrolled: 1-line block ×15, first 2 shown]
	ds_load_b64 v[206:207], v1 offset:624
	s_mov_b32 s0, exec_lo
	s_wait_loadcnt_dscnt 0x100f
	v_mul_f32_e32 v22, v142, v3
	s_wait_loadcnt_dscnt 0xf0e
	v_dual_mul_f32 v208, v144, v5 :: v_dual_mul_f32 v209, v146, v7
	v_mul_f32_e32 v5, v145, v5
	s_wait_loadcnt_dscnt 0xe0d
	v_dual_mul_f32 v210, v148, v9 :: v_dual_mul_f32 v211, v150, v11
	s_wait_loadcnt_dscnt 0xd0c
	v_dual_mul_f32 v212, v152, v13 :: v_dual_mul_f32 v213, v154, v15
	;; [unrolled: 2-line block ×3, first 2 shown]
	v_mul_f32_e32 v3, v143, v3
	v_fmac_f32_e32 v22, v143, v2
	v_dual_fmac_f32 v211, v151, v10 :: v_dual_fmac_f32 v212, v153, v12
	s_wait_loadcnt_dscnt 0x100
	v_dual_mul_f32 v234, v196, v137 :: v_dual_mul_f32 v237, v206, v203
	v_fma_f32 v3, v142, v2, -v3
	v_mul_f32_e32 v2, v147, v7
	v_fmac_f32_e32 v208, v145, v4
	v_fma_f32 v4, v144, v4, -v5
	v_dual_add_f32 v5, 0, v22 :: v_dual_fmac_f32 v210, v149, v8
	v_add_f32_e32 v3, 0, v3
	v_fmac_f32_e32 v209, v147, v6
	v_fma_f32 v2, v146, v6, -v2
	v_dual_fmac_f32 v213, v155, v14 :: v_dual_fmac_f32 v214, v157, v16
	s_delay_alu instid0(VALU_DEP_4) | instskip(SKIP_3) | instid1(VALU_DEP_4)
	v_add_f32_e32 v3, v3, v4
	v_mul_f32_e32 v7, v149, v9
	v_add_f32_e32 v4, v5, v208
	v_dual_mul_f32 v216, v160, v21 :: v_dual_mul_f32 v217, v162, v103
	v_add_f32_e32 v2, v3, v2
	s_delay_alu instid0(VALU_DEP_4)
	v_fma_f32 v6, v148, v8, -v7
	v_mul_f32_e32 v5, v151, v11
	v_add_f32_e32 v3, v4, v209
	v_mul_f32_e32 v4, v153, v13
	v_dual_mul_f32 v218, v164, v105 :: v_dual_mul_f32 v219, v166, v107
	v_add_f32_e32 v2, v2, v6
	v_fma_f32 v5, v150, v10, -v5
	v_mul_f32_e32 v6, v155, v15
	v_add_f32_e32 v3, v3, v210
	v_fma_f32 v4, v152, v12, -v4
	v_dual_fmac_f32 v217, v163, v102 :: v_dual_fmac_f32 v218, v165, v104
	s_delay_alu instid0(VALU_DEP_3) | instskip(SKIP_2) | instid1(VALU_DEP_3)
	v_dual_add_f32 v2, v2, v5 :: v_dual_add_f32 v3, v3, v211
	v_mul_f32_e32 v5, v157, v17
	v_fma_f32 v6, v154, v14, -v6
	v_dual_fmac_f32 v215, v159, v18 :: v_dual_add_f32 v2, v2, v4
	s_delay_alu instid0(VALU_DEP_4) | instskip(SKIP_3) | instid1(VALU_DEP_4)
	v_add_f32_e32 v3, v3, v212
	v_mul_f32_e32 v4, v159, v19
	v_fma_f32 v5, v156, v16, -v5
	v_fmac_f32_e32 v216, v161, v20
	v_dual_add_f32 v2, v2, v6 :: v_dual_add_f32 v3, v3, v213
	v_mul_f32_e32 v6, v161, v21
	v_fma_f32 v4, v158, v18, -v4
	v_dual_mul_f32 v220, v168, v109 :: v_dual_mul_f32 v221, v170, v111
	s_delay_alu instid0(VALU_DEP_4) | instskip(SKIP_3) | instid1(VALU_DEP_4)
	v_dual_add_f32 v2, v2, v5 :: v_dual_add_f32 v3, v3, v214
	v_mul_f32_e32 v5, v163, v103
	v_fma_f32 v6, v160, v20, -v6
	v_dual_mul_f32 v222, v172, v113 :: v_dual_mul_f32 v223, v174, v115
	v_dual_add_f32 v2, v2, v4 :: v_dual_add_f32 v3, v3, v215
	v_mul_f32_e32 v4, v165, v105
	v_fma_f32 v5, v162, v102, -v5
	v_fmac_f32_e32 v219, v167, v106
	s_delay_alu instid0(VALU_DEP_4) | instskip(SKIP_3) | instid1(VALU_DEP_4)
	v_dual_add_f32 v2, v2, v6 :: v_dual_add_f32 v3, v3, v216
	v_mul_f32_e32 v6, v167, v107
	v_fma_f32 v4, v164, v104, -v4
	v_fmac_f32_e32 v220, v169, v108
	v_add_f32_e32 v2, v2, v5
	v_add_f32_e32 v3, v3, v217
	v_mul_f32_e32 v5, v169, v109
	v_fma_f32 v6, v166, v106, -v6
	s_delay_alu instid0(VALU_DEP_4) | instskip(NEXT) | instid1(VALU_DEP_4)
	v_dual_fmac_f32 v221, v171, v110 :: v_dual_add_f32 v2, v2, v4
	v_add_f32_e32 v3, v3, v218
	v_mul_f32_e32 v4, v171, v111
	v_fma_f32 v5, v168, v108, -v5
	v_fmac_f32_e32 v222, v173, v112
	s_delay_alu instid0(VALU_DEP_4) | instskip(SKIP_3) | instid1(VALU_DEP_4)
	v_dual_add_f32 v2, v2, v6 :: v_dual_add_f32 v3, v3, v219
	v_mul_f32_e32 v6, v173, v113
	v_fma_f32 v4, v170, v110, -v4
	v_dual_mul_f32 v224, v176, v117 :: v_dual_mul_f32 v225, v178, v119
	v_dual_add_f32 v2, v2, v5 :: v_dual_add_f32 v3, v3, v220
	v_mul_f32_e32 v5, v175, v115
	v_fma_f32 v6, v172, v112, -v6
	s_delay_alu instid0(VALU_DEP_3) | instskip(NEXT) | instid1(VALU_DEP_4)
	v_dual_fmac_f32 v223, v175, v114 :: v_dual_add_f32 v2, v2, v4
	v_add_f32_e32 v3, v3, v221
	v_mul_f32_e32 v4, v177, v117
	v_fma_f32 v5, v174, v114, -v5
	v_fmac_f32_e32 v224, v177, v116
	v_dual_mul_f32 v226, v180, v121 :: v_dual_mul_f32 v227, v182, v123
	v_add_f32_e32 v3, v3, v222
	v_add_f32_e32 v2, v2, v6
	v_mul_f32_e32 v6, v179, v119
	v_fma_f32 v4, v176, v116, -v4
	v_fmac_f32_e32 v225, v179, v118
	s_delay_alu instid0(VALU_DEP_4) | instskip(NEXT) | instid1(VALU_DEP_4)
	v_dual_add_f32 v3, v3, v223 :: v_dual_add_f32 v2, v2, v5
	v_fma_f32 v6, v178, v118, -v6
	v_mul_f32_e32 v5, v181, v121
	v_dual_fmac_f32 v226, v181, v120 :: v_dual_fmac_f32 v227, v183, v122
	s_delay_alu instid0(VALU_DEP_4) | instskip(SKIP_3) | instid1(VALU_DEP_4)
	v_add_f32_e32 v3, v3, v224
	v_add_f32_e32 v2, v2, v4
	v_dual_mul_f32 v228, v184, v125 :: v_dual_mul_f32 v229, v186, v127
	v_mul_f32_e32 v4, v183, v123
	v_add_f32_e32 v3, v3, v225
	v_fma_f32 v5, v180, v120, -v5
	v_add_f32_e32 v2, v2, v6
	v_mul_f32_e32 v6, v185, v125
	v_fma_f32 v4, v182, v122, -v4
	v_dual_add_f32 v3, v3, v226 :: v_dual_fmac_f32 v228, v185, v124
	s_delay_alu instid0(VALU_DEP_4) | instskip(SKIP_1) | instid1(VALU_DEP_3)
	v_dual_add_f32 v2, v2, v5 :: v_dual_mul_f32 v5, v187, v127
	v_dual_mul_f32 v230, v188, v129 :: v_dual_mul_f32 v231, v190, v131
	v_add_f32_e32 v3, v3, v227
	v_fma_f32 v6, v184, v124, -v6
	s_delay_alu instid0(VALU_DEP_4) | instskip(NEXT) | instid1(VALU_DEP_3)
	v_dual_add_f32 v2, v2, v4 :: v_dual_fmac_f32 v229, v187, v126
	v_dual_mul_f32 v4, v189, v129 :: v_dual_add_f32 v3, v3, v228
	v_fma_f32 v5, v186, v126, -v5
	s_delay_alu instid0(VALU_DEP_3) | instskip(SKIP_1) | instid1(VALU_DEP_4)
	v_add_f32_e32 v2, v2, v6
	v_dual_fmac_f32 v230, v189, v128 :: v_dual_fmac_f32 v231, v191, v130
	v_add_f32_e32 v3, v3, v229
	v_dual_mul_f32 v232, v192, v133 :: v_dual_mul_f32 v233, v194, v135
	v_mul_f32_e32 v6, v191, v131
	v_fma_f32 v4, v188, v128, -v4
	s_delay_alu instid0(VALU_DEP_4) | instskip(SKIP_1) | instid1(VALU_DEP_4)
	v_dual_add_f32 v2, v2, v5 :: v_dual_add_f32 v3, v3, v230
	v_mul_f32_e32 v5, v193, v133
	v_fma_f32 v6, v190, v130, -v6
	v_dual_fmac_f32 v232, v193, v132 :: v_dual_fmac_f32 v233, v195, v134
	s_delay_alu instid0(VALU_DEP_4) | instskip(SKIP_3) | instid1(VALU_DEP_4)
	v_dual_add_f32 v2, v2, v4 :: v_dual_add_f32 v3, v3, v231
	v_mul_f32_e32 v4, v195, v135
	v_fma_f32 v5, v192, v132, -v5
	v_dual_mul_f32 v235, v198, v139 :: v_dual_mul_f32 v236, v200, v141
	v_dual_add_f32 v2, v2, v6 :: v_dual_add_f32 v3, v3, v232
	s_delay_alu instid0(VALU_DEP_4) | instskip(SKIP_2) | instid1(VALU_DEP_4)
	v_fma_f32 v4, v194, v134, -v4
	v_fmac_f32_e32 v234, v197, v136
	v_mul_f32_e32 v6, v197, v137
	v_dual_add_f32 v2, v2, v5 :: v_dual_fmac_f32 v235, v199, v138
	v_add_f32_e32 v3, v3, v233
	v_mul_f32_e32 v5, v199, v139
	s_delay_alu instid0(VALU_DEP_4) | instskip(NEXT) | instid1(VALU_DEP_4)
	v_fma_f32 v6, v196, v136, -v6
	v_add_f32_e32 v2, v2, v4
	v_dual_fmac_f32 v236, v201, v140 :: v_dual_fmac_f32 v237, v207, v202
	v_dual_add_f32 v3, v3, v234 :: v_dual_mul_f32 v4, v201, v141
	v_fma_f32 v5, v198, v138, -v5
	s_delay_alu instid0(VALU_DEP_2) | instskip(SKIP_1) | instid1(VALU_DEP_4)
	v_dual_add_f32 v3, v3, v235 :: v_dual_add_f32 v2, v2, v6
	v_mul_f32_e32 v6, v207, v203
	v_fma_f32 v4, v200, v140, -v4
	s_delay_alu instid0(VALU_DEP_3) | instskip(NEXT) | instid1(VALU_DEP_1)
	v_add_f32_e32 v3, v3, v236
	v_add_f32_e32 v3, v3, v237
	;; [unrolled: 1-line block ×3, first 2 shown]
	v_fma_f32 v5, v206, v202, -v6
	s_wait_loadcnt 0x0
	s_delay_alu instid0(VALU_DEP_2) | instskip(NEXT) | instid1(VALU_DEP_1)
	v_dual_sub_f32 v3, v205, v3 :: v_dual_add_f32 v2, v2, v4
	v_add_f32_e32 v2, v2, v5
	s_delay_alu instid0(VALU_DEP_1)
	v_sub_f32_e32 v2, v204, v2
	scratch_store_b64 off, v[2:3], off offset:56
	v_cmpx_lt_u32_e32 6, v0
	s_cbranch_execz .LBB102_235
; %bb.234:
	scratch_load_b64 v[3:4], off, off offset:48
	v_mov_b32_e32 v2, v1
	scratch_store_b64 off, v[1:2], off offset:48
	s_wait_loadcnt 0x0
	ds_store_b64 v23, v[3:4]
.LBB102_235:
	s_wait_alu 0xfffe
	s_or_b32 exec_lo, exec_lo, s0
	s_wait_storecnt_dscnt 0x0
	s_barrier_signal -1
	s_barrier_wait -1
	global_inv scope:SCOPE_SE
	s_clause 0x10
	scratch_load_b128 v[2:5], off, off offset:56
	scratch_load_b128 v[6:9], off, off offset:72
	;; [unrolled: 1-line block ×16, first 2 shown]
	scratch_load_b64 v[210:211], off, off offset:48
	ds_load_2addr_b64 v[146:149], v1 offset0:47 offset1:48
	ds_load_2addr_b64 v[150:153], v1 offset0:49 offset1:50
	;; [unrolled: 1-line block ×16, first 2 shown]
	s_mov_b32 s0, exec_lo
	s_wait_loadcnt_dscnt 0x100f
	v_dual_mul_f32 v1, v146, v3 :: v_dual_mul_f32 v22, v148, v5
	v_mul_f32_e32 v3, v147, v3
	s_wait_loadcnt_dscnt 0xf0e
	v_dual_mul_f32 v5, v149, v5 :: v_dual_mul_f32 v212, v150, v7
	s_delay_alu instid0(VALU_DEP_3) | instskip(NEXT) | instid1(VALU_DEP_3)
	v_dual_mul_f32 v213, v152, v9 :: v_dual_fmac_f32 v22, v149, v4
	v_fma_f32 v3, v146, v2, -v3
	v_fmac_f32_e32 v1, v147, v2
	v_mul_f32_e32 v2, v151, v7
	v_fma_f32 v4, v148, v4, -v5
	s_delay_alu instid0(VALU_DEP_4)
	v_dual_fmac_f32 v212, v151, v6 :: v_dual_add_f32 v3, 0, v3
	s_wait_loadcnt_dscnt 0xc0b
	v_dual_mul_f32 v218, v162, v19 :: v_dual_mul_f32 v219, v164, v21
	v_fma_f32 v2, v150, v6, -v2
	v_dual_mul_f32 v214, v154, v11 :: v_dual_mul_f32 v215, v156, v13
	v_add_f32_e32 v3, v3, v4
	v_dual_mul_f32 v5, v153, v9 :: v_dual_mul_f32 v216, v158, v15
	v_dual_mul_f32 v217, v160, v17 :: v_dual_mul_f32 v4, v155, v11
	s_delay_alu instid0(VALU_DEP_3) | instskip(NEXT) | instid1(VALU_DEP_3)
	v_add_f32_e32 v2, v3, v2
	v_fma_f32 v5, v152, v8, -v5
	v_dual_mul_f32 v3, v157, v13 :: v_dual_fmac_f32 v218, v163, v18
	s_delay_alu instid0(VALU_DEP_4) | instskip(SKIP_1) | instid1(VALU_DEP_4)
	v_fma_f32 v4, v154, v10, -v4
	v_dual_fmac_f32 v213, v153, v8 :: v_dual_fmac_f32 v214, v155, v10
	v_add_f32_e32 v2, v2, v5
	v_add_f32_e32 v1, 0, v1
	v_fma_f32 v3, v156, v12, -v3
	v_fmac_f32_e32 v216, v159, v14
	s_wait_loadcnt_dscnt 0xb0a
	v_dual_mul_f32 v220, v166, v103 :: v_dual_mul_f32 v221, v168, v105
	v_dual_add_f32 v1, v1, v22 :: v_dual_add_f32 v2, v2, v4
	v_mul_f32_e32 v4, v161, v17
	s_wait_loadcnt_dscnt 0x908
	v_dual_mul_f32 v224, v174, v111 :: v_dual_mul_f32 v225, v176, v113
	s_delay_alu instid0(VALU_DEP_3) | instskip(NEXT) | instid1(VALU_DEP_3)
	v_dual_add_f32 v1, v1, v212 :: v_dual_add_f32 v2, v2, v3
	v_fma_f32 v4, v160, v16, -v4
	v_mul_f32_e32 v5, v159, v15
	v_dual_mul_f32 v222, v170, v107 :: v_dual_mul_f32 v223, v172, v109
	s_wait_loadcnt_dscnt 0x605
	v_dual_add_f32 v1, v1, v213 :: v_dual_mul_f32 v230, v186, v123
	v_mul_f32_e32 v231, v188, v125
	v_fma_f32 v5, v158, v14, -v5
	v_fmac_f32_e32 v215, v157, v12
	s_delay_alu instid0(VALU_DEP_4)
	v_add_f32_e32 v1, v1, v214
	v_fmac_f32_e32 v220, v167, v102
	v_dual_mul_f32 v226, v178, v115 :: v_dual_mul_f32 v227, v180, v117
	v_add_f32_e32 v2, v2, v5
	v_dual_fmac_f32 v222, v171, v106 :: v_dual_fmac_f32 v221, v169, v104
	v_dual_mul_f32 v228, v182, v119 :: v_dual_mul_f32 v229, v184, v121
	s_delay_alu instid0(VALU_DEP_3) | instskip(SKIP_2) | instid1(VALU_DEP_4)
	v_add_f32_e32 v2, v2, v4
	v_mul_f32_e32 v4, v167, v103
	v_add_f32_e32 v1, v1, v215
	v_dual_fmac_f32 v223, v173, v108 :: v_dual_fmac_f32 v228, v183, v118
	s_wait_loadcnt_dscnt 0x302
	v_dual_mul_f32 v236, v198, v135 :: v_dual_mul_f32 v237, v200, v137
	v_fma_f32 v4, v166, v102, -v4
	v_mul_f32_e32 v5, v165, v21
	v_dual_add_f32 v1, v1, v216 :: v_dual_fmac_f32 v224, v175, v110
	v_dual_fmac_f32 v225, v177, v112 :: v_dual_mul_f32 v232, v190, v127
	v_mul_f32_e32 v233, v192, v129
	s_delay_alu instid0(VALU_DEP_4) | instskip(SKIP_4) | instid1(VALU_DEP_3)
	v_fma_f32 v5, v164, v20, -v5
	v_mul_f32_e32 v3, v163, v19
	s_wait_loadcnt_dscnt 0x201
	v_dual_mul_f32 v238, v202, v139 :: v_dual_mul_f32 v239, v204, v141
	v_dual_mul_f32 v234, v194, v131 :: v_dual_mul_f32 v235, v196, v133
	v_fma_f32 v3, v162, v18, -v3
	v_fmac_f32_e32 v217, v161, v16
	s_wait_loadcnt_dscnt 0x100
	v_dual_fmac_f32 v231, v189, v124 :: v_dual_mul_f32 v240, v206, v143
	s_delay_alu instid0(VALU_DEP_3) | instskip(SKIP_1) | instid1(VALU_DEP_3)
	v_dual_mul_f32 v241, v208, v145 :: v_dual_add_f32 v2, v2, v3
	v_mul_f32_e32 v3, v169, v105
	v_dual_fmac_f32 v233, v193, v128 :: v_dual_fmac_f32 v240, v207, v142
	s_delay_alu instid0(VALU_DEP_3) | instskip(SKIP_1) | instid1(VALU_DEP_4)
	v_dual_fmac_f32 v237, v201, v136 :: v_dual_add_f32 v2, v2, v5
	v_mul_f32_e32 v5, v171, v107
	v_fma_f32 v3, v168, v104, -v3
	v_dual_fmac_f32 v230, v187, v122 :: v_dual_fmac_f32 v239, v205, v140
	s_delay_alu instid0(VALU_DEP_4) | instskip(SKIP_3) | instid1(VALU_DEP_4)
	v_dual_add_f32 v2, v2, v4 :: v_dual_add_f32 v1, v1, v217
	v_mul_f32_e32 v4, v173, v109
	v_fma_f32 v5, v170, v106, -v5
	v_fmac_f32_e32 v226, v179, v114
	v_dual_add_f32 v2, v2, v3 :: v_dual_fmac_f32 v219, v165, v20
	s_delay_alu instid0(VALU_DEP_4) | instskip(SKIP_1) | instid1(VALU_DEP_3)
	v_fma_f32 v4, v172, v108, -v4
	v_dual_fmac_f32 v241, v209, v144 :: v_dual_fmac_f32 v236, v199, v134
	v_add_f32_e32 v2, v2, v5
	v_mul_f32_e32 v5, v177, v113
	v_add_f32_e32 v1, v1, v218
	v_fmac_f32_e32 v232, v191, v126
	v_fmac_f32_e32 v238, v203, v138
	v_add_f32_e32 v2, v2, v4
	v_fma_f32 v5, v176, v112, -v5
	v_mul_f32_e32 v3, v175, v111
	v_add_f32_e32 v1, v1, v219
	v_mul_f32_e32 v4, v179, v115
	v_fmac_f32_e32 v234, v195, v130
	s_delay_alu instid0(VALU_DEP_4) | instskip(NEXT) | instid1(VALU_DEP_4)
	v_fma_f32 v3, v174, v110, -v3
	v_add_f32_e32 v1, v1, v220
	s_delay_alu instid0(VALU_DEP_4) | instskip(NEXT) | instid1(VALU_DEP_3)
	v_fma_f32 v4, v178, v114, -v4
	v_add_f32_e32 v2, v2, v3
	s_delay_alu instid0(VALU_DEP_1) | instskip(NEXT) | instid1(VALU_DEP_4)
	v_add_f32_e32 v2, v2, v5
	v_add_f32_e32 v1, v1, v221
	s_delay_alu instid0(VALU_DEP_2) | instskip(SKIP_1) | instid1(VALU_DEP_2)
	v_dual_mul_f32 v5, v183, v119 :: v_dual_add_f32 v2, v2, v4
	v_mul_f32_e32 v4, v185, v121
	v_fma_f32 v5, v182, v118, -v5
	s_delay_alu instid0(VALU_DEP_2) | instskip(SKIP_1) | instid1(VALU_DEP_1)
	v_fma_f32 v4, v184, v120, -v4
	v_mul_f32_e32 v3, v181, v117
	v_fma_f32 v3, v180, v116, -v3
	s_delay_alu instid0(VALU_DEP_1) | instskip(NEXT) | instid1(VALU_DEP_1)
	v_dual_add_f32 v1, v1, v222 :: v_dual_add_f32 v2, v2, v3
	v_add_f32_e32 v1, v1, v223
	s_delay_alu instid0(VALU_DEP_2) | instskip(SKIP_1) | instid1(VALU_DEP_2)
	v_dual_mul_f32 v3, v187, v123 :: v_dual_add_f32 v2, v2, v5
	v_mul_f32_e32 v5, v189, v125
	v_fma_f32 v3, v186, v122, -v3
	s_delay_alu instid0(VALU_DEP_3) | instskip(SKIP_1) | instid1(VALU_DEP_4)
	v_add_f32_e32 v2, v2, v4
	v_dual_add_f32 v1, v1, v224 :: v_dual_mul_f32 v4, v191, v127
	v_fma_f32 v5, v188, v124, -v5
	s_delay_alu instid0(VALU_DEP_2) | instskip(SKIP_3) | instid1(VALU_DEP_4)
	v_dual_add_f32 v2, v2, v3 :: v_dual_add_f32 v1, v1, v225
	v_fmac_f32_e32 v227, v181, v116
	v_mul_f32_e32 v3, v193, v129
	v_fma_f32 v4, v190, v126, -v4
	v_dual_add_f32 v2, v2, v5 :: v_dual_add_f32 v1, v1, v226
	v_mul_f32_e32 v5, v195, v131
	s_delay_alu instid0(VALU_DEP_4) | instskip(NEXT) | instid1(VALU_DEP_3)
	v_fma_f32 v3, v192, v128, -v3
	v_dual_add_f32 v2, v2, v4 :: v_dual_add_f32 v1, v1, v227
	v_fmac_f32_e32 v229, v185, v120
	v_mul_f32_e32 v4, v197, v133
	v_fma_f32 v5, v194, v130, -v5
	s_delay_alu instid0(VALU_DEP_4) | instskip(SKIP_1) | instid1(VALU_DEP_4)
	v_dual_add_f32 v2, v2, v3 :: v_dual_add_f32 v1, v1, v228
	v_mul_f32_e32 v3, v199, v135
	v_fma_f32 v4, v196, v132, -v4
	s_delay_alu instid0(VALU_DEP_3) | instskip(NEXT) | instid1(VALU_DEP_4)
	v_add_f32_e32 v2, v2, v5
	v_add_f32_e32 v1, v1, v229
	v_mul_f32_e32 v5, v201, v137
	v_fma_f32 v3, v198, v134, -v3
	s_delay_alu instid0(VALU_DEP_3) | instskip(SKIP_1) | instid1(VALU_DEP_4)
	v_dual_add_f32 v2, v2, v4 :: v_dual_add_f32 v1, v1, v230
	v_mul_f32_e32 v4, v203, v139
	v_fma_f32 v5, v200, v136, -v5
	s_delay_alu instid0(VALU_DEP_3) | instskip(NEXT) | instid1(VALU_DEP_4)
	v_add_f32_e32 v2, v2, v3
	v_add_f32_e32 v1, v1, v231
	v_mul_f32_e32 v3, v205, v141
	v_fma_f32 v4, v202, v138, -v4
	s_delay_alu instid0(VALU_DEP_4) | instskip(NEXT) | instid1(VALU_DEP_3)
	v_dual_add_f32 v2, v2, v5 :: v_dual_mul_f32 v5, v207, v143
	v_fma_f32 v3, v204, v140, -v3
	s_delay_alu instid0(VALU_DEP_2) | instskip(SKIP_3) | instid1(VALU_DEP_4)
	v_add_f32_e32 v2, v2, v4
	v_add_f32_e32 v1, v1, v232
	v_mul_f32_e32 v4, v209, v145
	v_fma_f32 v5, v206, v142, -v5
	v_dual_add_f32 v2, v2, v3 :: v_dual_fmac_f32 v235, v197, v132
	s_delay_alu instid0(VALU_DEP_3) | instskip(NEXT) | instid1(VALU_DEP_2)
	v_fma_f32 v3, v208, v144, -v4
	v_add_f32_e32 v2, v2, v5
	s_delay_alu instid0(VALU_DEP_1) | instskip(NEXT) | instid1(VALU_DEP_1)
	v_dual_add_f32 v1, v1, v233 :: v_dual_add_f32 v2, v2, v3
	v_add_f32_e32 v1, v1, v234
	s_delay_alu instid0(VALU_DEP_1) | instskip(NEXT) | instid1(VALU_DEP_1)
	v_add_f32_e32 v1, v1, v235
	v_add_f32_e32 v1, v1, v236
	s_delay_alu instid0(VALU_DEP_1) | instskip(NEXT) | instid1(VALU_DEP_1)
	v_add_f32_e32 v1, v1, v237
	;; [unrolled: 3-line block ×3, first 2 shown]
	v_add_f32_e32 v1, v1, v240
	s_delay_alu instid0(VALU_DEP_1) | instskip(SKIP_1) | instid1(VALU_DEP_1)
	v_add_f32_e32 v3, v1, v241
	s_wait_loadcnt 0x0
	v_dual_sub_f32 v1, v210, v2 :: v_dual_sub_f32 v2, v211, v3
	scratch_store_b64 off, v[1:2], off offset:48
	v_cmpx_lt_u32_e32 5, v0
	s_cbranch_execz .LBB102_237
; %bb.236:
	scratch_load_b64 v[1:2], off, off offset:40
	v_mov_b32_e32 v3, 0
	s_delay_alu instid0(VALU_DEP_1)
	v_mov_b32_e32 v4, v3
	scratch_store_b64 off, v[3:4], off offset:40
	s_wait_loadcnt 0x0
	ds_store_b64 v23, v[1:2]
.LBB102_237:
	s_wait_alu 0xfffe
	s_or_b32 exec_lo, exec_lo, s0
	s_wait_storecnt_dscnt 0x0
	s_barrier_signal -1
	s_barrier_wait -1
	global_inv scope:SCOPE_SE
	s_clause 0x11
	scratch_load_b128 v[2:5], off, off offset:48
	scratch_load_b128 v[6:9], off, off offset:64
	;; [unrolled: 1-line block ×16, first 2 shown]
	scratch_load_b64 v[210:211], off, off offset:304
	scratch_load_b64 v[212:213], off, off offset:40
	v_mov_b32_e32 v1, 0
	ds_load_b128 v[146:149], v1 offset:368
	ds_load_b128 v[150:153], v1 offset:384
	;; [unrolled: 1-line block ×16, first 2 shown]
	ds_load_b64 v[214:215], v1 offset:624
	s_mov_b32 s0, exec_lo
	s_wait_loadcnt_dscnt 0x1110
	v_mul_f32_e32 v22, v146, v3
	s_wait_loadcnt_dscnt 0x100f
	v_dual_mul_f32 v216, v148, v5 :: v_dual_mul_f32 v217, v150, v7
	v_mul_f32_e32 v5, v149, v5
	s_wait_loadcnt_dscnt 0xf0e
	v_dual_mul_f32 v218, v152, v9 :: v_dual_mul_f32 v219, v154, v11
	s_wait_loadcnt_dscnt 0xe0d
	v_dual_mul_f32 v220, v156, v13 :: v_dual_mul_f32 v221, v158, v15
	s_wait_loadcnt_dscnt 0xd0c
	v_dual_mul_f32 v222, v160, v17 :: v_dual_mul_f32 v223, v162, v19
	v_mul_f32_e32 v3, v147, v3
	s_delay_alu instid0(VALU_DEP_3)
	v_dual_fmac_f32 v219, v155, v10 :: v_dual_fmac_f32 v220, v157, v12
	v_fmac_f32_e32 v22, v147, v2
	s_wait_loadcnt_dscnt 0x302
	v_mul_f32_e32 v244, v204, v141
	v_fma_f32 v3, v146, v2, -v3
	s_wait_loadcnt_dscnt 0x100
	v_mul_f32_e32 v247, v214, v211
	v_mul_f32_e32 v2, v151, v7
	v_fmac_f32_e32 v216, v149, v4
	v_fma_f32 v4, v148, v4, -v5
	v_add_f32_e32 v3, 0, v3
	v_dual_add_f32 v5, 0, v22 :: v_dual_fmac_f32 v218, v153, v8
	v_fmac_f32_e32 v217, v151, v6
	v_fma_f32 v2, v150, v6, -v2
	s_delay_alu instid0(VALU_DEP_4) | instskip(SKIP_3) | instid1(VALU_DEP_4)
	v_add_f32_e32 v3, v3, v4
	v_mul_f32_e32 v7, v153, v9
	v_dual_add_f32 v4, v5, v216 :: v_dual_fmac_f32 v221, v159, v14
	v_fmac_f32_e32 v222, v161, v16
	v_add_f32_e32 v2, v3, v2
	s_delay_alu instid0(VALU_DEP_4)
	v_fma_f32 v6, v152, v8, -v7
	v_mul_f32_e32 v5, v155, v11
	v_add_f32_e32 v3, v4, v217
	v_mul_f32_e32 v4, v157, v13
	v_dual_mul_f32 v224, v164, v21 :: v_dual_mul_f32 v225, v166, v103
	v_add_f32_e32 v2, v2, v6
	v_fma_f32 v5, v154, v10, -v5
	v_mul_f32_e32 v6, v159, v15
	v_add_f32_e32 v3, v3, v218
	v_fma_f32 v4, v156, v12, -v4
	v_dual_mul_f32 v226, v168, v105 :: v_dual_mul_f32 v227, v170, v107
	s_delay_alu instid0(VALU_DEP_3) | instskip(SKIP_2) | instid1(VALU_DEP_4)
	v_dual_add_f32 v2, v2, v5 :: v_dual_add_f32 v3, v3, v219
	v_mul_f32_e32 v5, v161, v17
	v_fma_f32 v6, v158, v14, -v6
	v_dual_fmac_f32 v225, v167, v102 :: v_dual_fmac_f32 v226, v169, v104
	s_delay_alu instid0(VALU_DEP_4) | instskip(SKIP_4) | instid1(VALU_DEP_4)
	v_add_f32_e32 v2, v2, v4
	v_add_f32_e32 v3, v3, v220
	v_mul_f32_e32 v4, v163, v19
	v_fma_f32 v5, v160, v16, -v5
	v_fmac_f32_e32 v223, v163, v18
	v_dual_add_f32 v2, v2, v6 :: v_dual_add_f32 v3, v3, v221
	v_fmac_f32_e32 v224, v165, v20
	v_mul_f32_e32 v6, v165, v21
	v_fma_f32 v4, v162, v18, -v4
	s_delay_alu instid0(VALU_DEP_4) | instskip(SKIP_1) | instid1(VALU_DEP_4)
	v_dual_add_f32 v2, v2, v5 :: v_dual_add_f32 v3, v3, v222
	v_mul_f32_e32 v5, v167, v103
	v_fma_f32 v6, v164, v20, -v6
	v_dual_mul_f32 v228, v172, v109 :: v_dual_mul_f32 v229, v174, v111
	s_delay_alu instid0(VALU_DEP_4) | instskip(SKIP_3) | instid1(VALU_DEP_4)
	v_dual_add_f32 v2, v2, v4 :: v_dual_add_f32 v3, v3, v223
	v_mul_f32_e32 v4, v169, v105
	v_fma_f32 v5, v166, v102, -v5
	v_fmac_f32_e32 v227, v171, v106
	v_dual_add_f32 v2, v2, v6 :: v_dual_add_f32 v3, v3, v224
	v_mul_f32_e32 v6, v171, v107
	v_fma_f32 v4, v168, v104, -v4
	v_fmac_f32_e32 v228, v173, v108
	s_delay_alu instid0(VALU_DEP_4) | instskip(SKIP_4) | instid1(VALU_DEP_4)
	v_add_f32_e32 v2, v2, v5
	v_add_f32_e32 v3, v3, v225
	v_mul_f32_e32 v5, v173, v109
	v_fma_f32 v6, v170, v106, -v6
	v_dual_mul_f32 v230, v176, v113 :: v_dual_mul_f32 v231, v178, v115
	v_dual_add_f32 v2, v2, v4 :: v_dual_add_f32 v3, v3, v226
	v_mul_f32_e32 v4, v175, v111
	v_fma_f32 v5, v172, v108, -v5
	v_fmac_f32_e32 v229, v175, v110
	s_delay_alu instid0(VALU_DEP_4) | instskip(SKIP_3) | instid1(VALU_DEP_4)
	v_dual_add_f32 v2, v2, v6 :: v_dual_add_f32 v3, v3, v227
	v_mul_f32_e32 v6, v177, v113
	v_fma_f32 v4, v174, v110, -v4
	v_fmac_f32_e32 v230, v177, v112
	v_dual_add_f32 v2, v2, v5 :: v_dual_add_f32 v3, v3, v228
	v_dual_mul_f32 v5, v179, v115 :: v_dual_mul_f32 v232, v180, v117
	v_mul_f32_e32 v233, v182, v119
	s_delay_alu instid0(VALU_DEP_3) | instskip(SKIP_3) | instid1(VALU_DEP_4)
	v_dual_add_f32 v2, v2, v4 :: v_dual_add_f32 v3, v3, v229
	v_fma_f32 v6, v176, v112, -v6
	v_dual_mul_f32 v4, v181, v117 :: v_dual_fmac_f32 v231, v179, v114
	v_fma_f32 v5, v178, v114, -v5
	v_dual_add_f32 v3, v3, v230 :: v_dual_fmac_f32 v232, v181, v116
	s_delay_alu instid0(VALU_DEP_4) | instskip(SKIP_2) | instid1(VALU_DEP_4)
	v_add_f32_e32 v2, v2, v6
	v_mul_f32_e32 v6, v183, v119
	v_dual_mul_f32 v234, v184, v121 :: v_dual_mul_f32 v235, v186, v123
	v_add_f32_e32 v3, v3, v231
	v_fma_f32 v4, v180, v116, -v4
	v_dual_add_f32 v2, v2, v5 :: v_dual_fmac_f32 v233, v183, v118
	v_fma_f32 v6, v182, v118, -v6
	s_delay_alu instid0(VALU_DEP_4) | instskip(NEXT) | instid1(VALU_DEP_3)
	v_add_f32_e32 v3, v3, v232
	v_dual_mul_f32 v5, v185, v121 :: v_dual_add_f32 v2, v2, v4
	v_dual_fmac_f32 v234, v185, v120 :: v_dual_fmac_f32 v235, v187, v122
	s_delay_alu instid0(VALU_DEP_3)
	v_add_f32_e32 v3, v3, v233
	v_dual_mul_f32 v236, v188, v125 :: v_dual_mul_f32 v237, v190, v127
	v_mul_f32_e32 v4, v187, v123
	v_fma_f32 v5, v184, v120, -v5
	v_add_f32_e32 v2, v2, v6
	v_dual_mul_f32 v6, v189, v125 :: v_dual_add_f32 v3, v3, v234
	s_delay_alu instid0(VALU_DEP_4) | instskip(SKIP_1) | instid1(VALU_DEP_4)
	v_fma_f32 v4, v186, v122, -v4
	v_fmac_f32_e32 v236, v189, v124
	v_dual_add_f32 v2, v2, v5 :: v_dual_mul_f32 v5, v191, v127
	s_delay_alu instid0(VALU_DEP_4) | instskip(SKIP_2) | instid1(VALU_DEP_4)
	v_dual_add_f32 v3, v3, v235 :: v_dual_mul_f32 v238, v192, v129
	v_mul_f32_e32 v239, v194, v131
	v_fma_f32 v6, v188, v124, -v6
	v_dual_add_f32 v2, v2, v4 :: v_dual_fmac_f32 v237, v191, v126
	s_delay_alu instid0(VALU_DEP_4) | instskip(SKIP_1) | instid1(VALU_DEP_3)
	v_dual_mul_f32 v4, v193, v129 :: v_dual_add_f32 v3, v3, v236
	v_fma_f32 v5, v190, v126, -v5
	v_add_f32_e32 v2, v2, v6
	v_dual_fmac_f32 v238, v193, v128 :: v_dual_fmac_f32 v239, v195, v130
	s_delay_alu instid0(VALU_DEP_4) | instskip(SKIP_3) | instid1(VALU_DEP_4)
	v_add_f32_e32 v3, v3, v237
	v_dual_mul_f32 v240, v196, v133 :: v_dual_mul_f32 v241, v198, v135
	v_mul_f32_e32 v6, v195, v131
	v_fma_f32 v4, v192, v128, -v4
	v_dual_add_f32 v2, v2, v5 :: v_dual_add_f32 v3, v3, v238
	v_mul_f32_e32 v5, v197, v133
	s_delay_alu instid0(VALU_DEP_4) | instskip(SKIP_1) | instid1(VALU_DEP_4)
	v_fma_f32 v6, v194, v130, -v6
	v_dual_fmac_f32 v240, v197, v132 :: v_dual_fmac_f32 v241, v199, v134
	v_dual_add_f32 v2, v2, v4 :: v_dual_add_f32 v3, v3, v239
	v_dual_mul_f32 v242, v200, v137 :: v_dual_mul_f32 v243, v202, v139
	v_mul_f32_e32 v4, v199, v135
	v_fma_f32 v5, v196, v132, -v5
	s_delay_alu instid0(VALU_DEP_4) | instskip(SKIP_1) | instid1(VALU_DEP_4)
	v_dual_add_f32 v2, v2, v6 :: v_dual_add_f32 v3, v3, v240
	v_mul_f32_e32 v6, v201, v137
	v_fma_f32 v4, v198, v134, -v4
	v_fmac_f32_e32 v242, v201, v136
	s_delay_alu instid0(VALU_DEP_4) | instskip(SKIP_4) | instid1(VALU_DEP_4)
	v_dual_add_f32 v2, v2, v5 :: v_dual_fmac_f32 v243, v203, v138
	v_add_f32_e32 v3, v3, v241
	v_dual_mul_f32 v245, v206, v143 :: v_dual_mul_f32 v246, v208, v145
	v_mul_f32_e32 v5, v203, v139
	v_fma_f32 v6, v200, v136, -v6
	v_dual_add_f32 v2, v2, v4 :: v_dual_add_f32 v3, v3, v242
	v_mul_f32_e32 v4, v205, v141
	s_delay_alu instid0(VALU_DEP_4) | instskip(SKIP_1) | instid1(VALU_DEP_4)
	v_fma_f32 v5, v202, v138, -v5
	v_dual_fmac_f32 v244, v205, v140 :: v_dual_fmac_f32 v245, v207, v142
	v_dual_add_f32 v3, v3, v243 :: v_dual_add_f32 v2, v2, v6
	s_delay_alu instid0(VALU_DEP_4) | instskip(SKIP_2) | instid1(VALU_DEP_4)
	v_fma_f32 v4, v204, v140, -v4
	v_mul_f32_e32 v6, v207, v143
	v_fmac_f32_e32 v247, v215, v210
	v_dual_add_f32 v3, v3, v244 :: v_dual_add_f32 v2, v2, v5
	v_fmac_f32_e32 v246, v209, v144
	v_mul_f32_e32 v5, v209, v145
	v_fma_f32 v6, v206, v142, -v6
	s_delay_alu instid0(VALU_DEP_4) | instskip(SKIP_1) | instid1(VALU_DEP_4)
	v_dual_add_f32 v3, v3, v245 :: v_dual_add_f32 v2, v2, v4
	v_mul_f32_e32 v4, v215, v211
	v_fma_f32 v5, v208, v144, -v5
	s_delay_alu instid0(VALU_DEP_2) | instskip(NEXT) | instid1(VALU_DEP_4)
	v_fma_f32 v4, v214, v210, -v4
	v_add_f32_e32 v3, v3, v246
	s_delay_alu instid0(VALU_DEP_1) | instskip(SKIP_1) | instid1(VALU_DEP_1)
	v_dual_add_f32 v3, v3, v247 :: v_dual_add_f32 v2, v2, v6
	s_wait_loadcnt 0x0
	v_dual_sub_f32 v3, v213, v3 :: v_dual_add_f32 v2, v2, v5
	s_delay_alu instid0(VALU_DEP_1) | instskip(NEXT) | instid1(VALU_DEP_1)
	v_add_f32_e32 v2, v2, v4
	v_sub_f32_e32 v2, v212, v2
	scratch_store_b64 off, v[2:3], off offset:40
	v_cmpx_lt_u32_e32 4, v0
	s_cbranch_execz .LBB102_239
; %bb.238:
	scratch_load_b64 v[3:4], off, off offset:32
	v_mov_b32_e32 v2, v1
	scratch_store_b64 off, v[1:2], off offset:32
	s_wait_loadcnt 0x0
	ds_store_b64 v23, v[3:4]
.LBB102_239:
	s_wait_alu 0xfffe
	s_or_b32 exec_lo, exec_lo, s0
	s_wait_storecnt_dscnt 0x0
	s_barrier_signal -1
	s_barrier_wait -1
	global_inv scope:SCOPE_SE
	s_clause 0x11
	scratch_load_b128 v[2:5], off, off offset:40
	scratch_load_b128 v[6:9], off, off offset:56
	;; [unrolled: 1-line block ×17, first 2 shown]
	scratch_load_b64 v[218:219], off, off offset:32
	ds_load_2addr_b64 v[150:153], v1 offset0:45 offset1:46
	ds_load_2addr_b64 v[154:157], v1 offset0:47 offset1:48
	;; [unrolled: 1-line block ×17, first 2 shown]
	s_mov_b32 s0, exec_lo
	s_wait_loadcnt_dscnt 0x1110
	v_dual_mul_f32 v1, v150, v3 :: v_dual_mul_f32 v22, v152, v5
	v_mul_f32_e32 v3, v151, v3
	s_wait_loadcnt_dscnt 0x100f
	v_dual_mul_f32 v5, v153, v5 :: v_dual_mul_f32 v220, v154, v7
	s_delay_alu instid0(VALU_DEP_3) | instskip(NEXT) | instid1(VALU_DEP_3)
	v_dual_mul_f32 v221, v156, v9 :: v_dual_fmac_f32 v22, v153, v4
	v_fma_f32 v3, v150, v2, -v3
	v_fmac_f32_e32 v1, v151, v2
	v_mul_f32_e32 v2, v155, v7
	v_fma_f32 v4, v152, v4, -v5
	s_delay_alu instid0(VALU_DEP_4)
	v_dual_fmac_f32 v220, v155, v6 :: v_dual_add_f32 v3, 0, v3
	s_wait_loadcnt_dscnt 0xd0c
	v_dual_mul_f32 v226, v166, v19 :: v_dual_mul_f32 v227, v168, v21
	v_fma_f32 v2, v154, v6, -v2
	v_dual_mul_f32 v222, v158, v11 :: v_dual_mul_f32 v223, v160, v13
	v_add_f32_e32 v3, v3, v4
	v_dual_mul_f32 v5, v157, v9 :: v_dual_mul_f32 v224, v162, v15
	v_dual_mul_f32 v225, v164, v17 :: v_dual_mul_f32 v4, v159, v11
	s_delay_alu instid0(VALU_DEP_3) | instskip(NEXT) | instid1(VALU_DEP_3)
	v_add_f32_e32 v2, v3, v2
	v_fma_f32 v5, v156, v8, -v5
	v_dual_mul_f32 v3, v161, v13 :: v_dual_fmac_f32 v226, v167, v18
	s_delay_alu instid0(VALU_DEP_4) | instskip(SKIP_1) | instid1(VALU_DEP_4)
	v_fma_f32 v4, v158, v10, -v4
	v_dual_fmac_f32 v221, v157, v8 :: v_dual_fmac_f32 v222, v159, v10
	v_add_f32_e32 v2, v2, v5
	v_add_f32_e32 v1, 0, v1
	v_fma_f32 v3, v160, v12, -v3
	v_fmac_f32_e32 v224, v163, v14
	s_wait_loadcnt_dscnt 0xc0b
	v_dual_mul_f32 v228, v170, v103 :: v_dual_mul_f32 v229, v172, v105
	v_dual_add_f32 v1, v1, v22 :: v_dual_add_f32 v2, v2, v4
	v_mul_f32_e32 v4, v165, v17
	s_wait_loadcnt_dscnt 0xa09
	v_dual_mul_f32 v232, v178, v111 :: v_dual_mul_f32 v233, v180, v113
	s_delay_alu instid0(VALU_DEP_3) | instskip(NEXT) | instid1(VALU_DEP_3)
	v_dual_add_f32 v1, v1, v220 :: v_dual_add_f32 v2, v2, v3
	v_fma_f32 v4, v164, v16, -v4
	v_mul_f32_e32 v5, v163, v15
	v_dual_mul_f32 v230, v174, v107 :: v_dual_mul_f32 v231, v176, v109
	s_wait_loadcnt_dscnt 0x706
	v_dual_add_f32 v1, v1, v221 :: v_dual_mul_f32 v238, v190, v123
	v_mul_f32_e32 v239, v192, v125
	v_fma_f32 v5, v162, v14, -v5
	v_fmac_f32_e32 v223, v161, v12
	s_delay_alu instid0(VALU_DEP_4)
	v_add_f32_e32 v1, v1, v222
	v_fmac_f32_e32 v228, v171, v102
	v_dual_mul_f32 v234, v182, v115 :: v_dual_mul_f32 v235, v184, v117
	v_add_f32_e32 v2, v2, v5
	v_dual_fmac_f32 v230, v175, v106 :: v_dual_fmac_f32 v229, v173, v104
	v_dual_mul_f32 v236, v186, v119 :: v_dual_mul_f32 v237, v188, v121
	s_delay_alu instid0(VALU_DEP_3) | instskip(SKIP_2) | instid1(VALU_DEP_4)
	v_add_f32_e32 v2, v2, v4
	v_mul_f32_e32 v4, v171, v103
	v_add_f32_e32 v1, v1, v223
	v_dual_fmac_f32 v231, v177, v108 :: v_dual_fmac_f32 v236, v187, v118
	s_wait_loadcnt_dscnt 0x403
	v_dual_mul_f32 v244, v202, v135 :: v_dual_mul_f32 v245, v204, v137
	v_fma_f32 v4, v170, v102, -v4
	v_mul_f32_e32 v5, v169, v21
	v_dual_add_f32 v1, v1, v224 :: v_dual_fmac_f32 v232, v179, v110
	v_dual_fmac_f32 v233, v181, v112 :: v_dual_mul_f32 v240, v194, v127
	v_mul_f32_e32 v241, v196, v129
	s_delay_alu instid0(VALU_DEP_4) | instskip(SKIP_4) | instid1(VALU_DEP_3)
	v_fma_f32 v5, v168, v20, -v5
	v_mul_f32_e32 v3, v167, v19
	s_wait_loadcnt_dscnt 0x302
	v_dual_mul_f32 v246, v206, v139 :: v_dual_mul_f32 v247, v208, v141
	v_dual_mul_f32 v242, v198, v131 :: v_dual_mul_f32 v243, v200, v133
	v_fma_f32 v3, v166, v18, -v3
	v_fmac_f32_e32 v225, v165, v16
	s_wait_loadcnt_dscnt 0x201
	v_dual_fmac_f32 v239, v193, v124 :: v_dual_mul_f32 v248, v210, v143
	s_delay_alu instid0(VALU_DEP_3) | instskip(SKIP_1) | instid1(VALU_DEP_3)
	v_dual_mul_f32 v249, v212, v145 :: v_dual_add_f32 v2, v2, v3
	v_mul_f32_e32 v3, v173, v105
	v_dual_fmac_f32 v241, v197, v128 :: v_dual_fmac_f32 v248, v211, v142
	s_wait_loadcnt_dscnt 0x100
	v_dual_mul_f32 v250, v214, v147 :: v_dual_mul_f32 v251, v216, v149
	v_dual_add_f32 v2, v2, v5 :: v_dual_mul_f32 v5, v175, v107
	v_fma_f32 v3, v172, v104, -v3
	v_fmac_f32_e32 v238, v191, v122
	v_fmac_f32_e32 v234, v183, v114
	s_delay_alu instid0(VALU_DEP_4) | instskip(SKIP_2) | instid1(VALU_DEP_3)
	v_dual_add_f32 v2, v2, v4 :: v_dual_add_f32 v1, v1, v225
	v_mul_f32_e32 v4, v177, v109
	v_fma_f32 v5, v174, v106, -v5
	v_dual_fmac_f32 v245, v205, v136 :: v_dual_add_f32 v2, v2, v3
	v_fmac_f32_e32 v227, v169, v20
	s_delay_alu instid0(VALU_DEP_4) | instskip(SKIP_1) | instid1(VALU_DEP_4)
	v_fma_f32 v4, v176, v108, -v4
	v_fmac_f32_e32 v247, v209, v140
	v_dual_fmac_f32 v249, v213, v144 :: v_dual_add_f32 v2, v2, v5
	v_mul_f32_e32 v5, v181, v113
	v_add_f32_e32 v1, v1, v226
	v_dual_fmac_f32 v251, v217, v148 :: v_dual_fmac_f32 v244, v203, v134
	s_delay_alu instid0(VALU_DEP_4) | instskip(NEXT) | instid1(VALU_DEP_4)
	v_add_f32_e32 v2, v2, v4
	v_fma_f32 v5, v180, v112, -v5
	v_mul_f32_e32 v3, v179, v111
	v_add_f32_e32 v1, v1, v227
	v_mul_f32_e32 v4, v183, v115
	v_fmac_f32_e32 v240, v195, v126
	v_fmac_f32_e32 v246, v207, v138
	v_fma_f32 v3, v178, v110, -v3
	v_add_f32_e32 v1, v1, v228
	v_fma_f32 v4, v182, v114, -v4
	v_fmac_f32_e32 v242, v199, v130
	v_fmac_f32_e32 v250, v215, v146
	v_add_f32_e32 v2, v2, v3
	s_delay_alu instid0(VALU_DEP_1) | instskip(SKIP_1) | instid1(VALU_DEP_2)
	v_add_f32_e32 v2, v2, v5
	v_add_f32_e32 v1, v1, v229
	v_dual_mul_f32 v5, v187, v119 :: v_dual_add_f32 v2, v2, v4
	v_mul_f32_e32 v4, v189, v121
	s_delay_alu instid0(VALU_DEP_2) | instskip(NEXT) | instid1(VALU_DEP_2)
	v_fma_f32 v5, v186, v118, -v5
	v_fma_f32 v4, v188, v120, -v4
	v_mul_f32_e32 v3, v185, v117
	s_delay_alu instid0(VALU_DEP_1) | instskip(NEXT) | instid1(VALU_DEP_1)
	v_fma_f32 v3, v184, v116, -v3
	v_dual_add_f32 v1, v1, v230 :: v_dual_add_f32 v2, v2, v3
	s_delay_alu instid0(VALU_DEP_1) | instskip(NEXT) | instid1(VALU_DEP_2)
	v_add_f32_e32 v1, v1, v231
	v_dual_mul_f32 v3, v191, v123 :: v_dual_add_f32 v2, v2, v5
	v_mul_f32_e32 v5, v193, v125
	s_delay_alu instid0(VALU_DEP_2) | instskip(NEXT) | instid1(VALU_DEP_3)
	v_fma_f32 v3, v190, v122, -v3
	v_add_f32_e32 v2, v2, v4
	v_dual_add_f32 v1, v1, v232 :: v_dual_mul_f32 v4, v195, v127
	s_delay_alu instid0(VALU_DEP_4) | instskip(NEXT) | instid1(VALU_DEP_2)
	v_fma_f32 v5, v192, v124, -v5
	v_dual_add_f32 v2, v2, v3 :: v_dual_add_f32 v1, v1, v233
	v_fmac_f32_e32 v235, v185, v116
	v_mul_f32_e32 v3, v197, v129
	v_fma_f32 v4, v194, v126, -v4
	s_delay_alu instid0(VALU_DEP_4) | instskip(SKIP_1) | instid1(VALU_DEP_4)
	v_dual_add_f32 v2, v2, v5 :: v_dual_add_f32 v1, v1, v234
	v_mul_f32_e32 v5, v199, v131
	v_fma_f32 v3, v196, v128, -v3
	s_delay_alu instid0(VALU_DEP_3) | instskip(SKIP_3) | instid1(VALU_DEP_4)
	v_dual_add_f32 v2, v2, v4 :: v_dual_add_f32 v1, v1, v235
	v_fmac_f32_e32 v237, v189, v120
	v_mul_f32_e32 v4, v201, v133
	v_fma_f32 v5, v198, v130, -v5
	v_dual_add_f32 v2, v2, v3 :: v_dual_add_f32 v1, v1, v236
	v_mul_f32_e32 v3, v203, v135
	s_delay_alu instid0(VALU_DEP_4) | instskip(NEXT) | instid1(VALU_DEP_3)
	v_fma_f32 v4, v200, v132, -v4
	v_add_f32_e32 v2, v2, v5
	s_delay_alu instid0(VALU_DEP_4) | instskip(SKIP_2) | instid1(VALU_DEP_3)
	v_add_f32_e32 v1, v1, v237
	v_mul_f32_e32 v5, v205, v137
	v_fma_f32 v3, v202, v134, -v3
	v_dual_add_f32 v2, v2, v4 :: v_dual_add_f32 v1, v1, v238
	v_mul_f32_e32 v4, v207, v139
	s_delay_alu instid0(VALU_DEP_4) | instskip(NEXT) | instid1(VALU_DEP_3)
	v_fma_f32 v5, v204, v136, -v5
	v_add_f32_e32 v2, v2, v3
	s_delay_alu instid0(VALU_DEP_4) | instskip(SKIP_2) | instid1(VALU_DEP_4)
	v_add_f32_e32 v1, v1, v239
	v_mul_f32_e32 v3, v209, v141
	v_fma_f32 v4, v206, v138, -v4
	v_dual_add_f32 v2, v2, v5 :: v_dual_mul_f32 v5, v211, v143
	s_delay_alu instid0(VALU_DEP_3) | instskip(NEXT) | instid1(VALU_DEP_2)
	v_fma_f32 v3, v208, v140, -v3
	v_add_f32_e32 v2, v2, v4
	v_add_f32_e32 v1, v1, v240
	v_mul_f32_e32 v4, v213, v145
	v_fma_f32 v5, v210, v142, -v5
	s_delay_alu instid0(VALU_DEP_3) | instskip(SKIP_3) | instid1(VALU_DEP_4)
	v_dual_add_f32 v2, v2, v3 :: v_dual_add_f32 v1, v1, v241
	v_fmac_f32_e32 v243, v201, v132
	v_mul_f32_e32 v3, v215, v147
	v_fma_f32 v4, v212, v144, -v4
	v_dual_add_f32 v2, v2, v5 :: v_dual_add_f32 v1, v1, v242
	v_mul_f32_e32 v5, v217, v149
	s_delay_alu instid0(VALU_DEP_4) | instskip(NEXT) | instid1(VALU_DEP_3)
	v_fma_f32 v3, v214, v146, -v3
	v_add_f32_e32 v2, v2, v4
	s_delay_alu instid0(VALU_DEP_3) | instskip(NEXT) | instid1(VALU_DEP_2)
	v_fma_f32 v4, v216, v148, -v5
	v_add_f32_e32 v2, v2, v3
	s_delay_alu instid0(VALU_DEP_1) | instskip(NEXT) | instid1(VALU_DEP_1)
	v_dual_add_f32 v1, v1, v243 :: v_dual_add_f32 v2, v2, v4
	v_add_f32_e32 v1, v1, v244
	s_delay_alu instid0(VALU_DEP_1) | instskip(NEXT) | instid1(VALU_DEP_1)
	v_add_f32_e32 v1, v1, v245
	v_add_f32_e32 v1, v1, v246
	s_delay_alu instid0(VALU_DEP_1) | instskip(NEXT) | instid1(VALU_DEP_1)
	v_add_f32_e32 v1, v1, v247
	;; [unrolled: 3-line block ×3, first 2 shown]
	v_add_f32_e32 v1, v1, v250
	s_delay_alu instid0(VALU_DEP_1) | instskip(SKIP_1) | instid1(VALU_DEP_1)
	v_add_f32_e32 v3, v1, v251
	s_wait_loadcnt 0x0
	v_dual_sub_f32 v1, v218, v2 :: v_dual_sub_f32 v2, v219, v3
	scratch_store_b64 off, v[1:2], off offset:32
	v_cmpx_lt_u32_e32 3, v0
	s_cbranch_execz .LBB102_241
; %bb.240:
	scratch_load_b64 v[1:2], off, off offset:24
	v_mov_b32_e32 v3, 0
	s_delay_alu instid0(VALU_DEP_1)
	v_mov_b32_e32 v4, v3
	scratch_store_b64 off, v[3:4], off offset:24
	s_wait_loadcnt 0x0
	ds_store_b64 v23, v[1:2]
.LBB102_241:
	s_wait_alu 0xfffe
	s_or_b32 exec_lo, exec_lo, s0
	s_wait_storecnt_dscnt 0x0
	s_barrier_signal -1
	s_barrier_wait -1
	global_inv scope:SCOPE_SE
	s_clause 0x4
	scratch_load_b128 v[5:8], off, off offset:32
	scratch_load_b128 v[1:4], off, off offset:48
	;; [unrolled: 1-line block ×5, first 2 shown]
	v_mov_b32_e32 v21, 0
	ds_load_b128 v[102:105], v21 offset:352
	ds_load_b128 v[106:109], v21 offset:368
	;; [unrolled: 1-line block ×3, first 2 shown]
	scratch_load_b64 v[114:115], off, off offset:24
	s_mov_b32 s0, exec_lo
	s_wait_loadcnt_dscnt 0x502
	v_mul_f32_e32 v22, v103, v6
	v_dual_mul_f32 v116, v102, v6 :: v_dual_mul_f32 v117, v104, v8
	v_mul_f32_e32 v6, v105, v8
	s_delay_alu instid0(VALU_DEP_3) | instskip(NEXT) | instid1(VALU_DEP_3)
	v_fma_f32 v22, v102, v5, -v22
	v_dual_fmac_f32 v116, v103, v5 :: v_dual_fmac_f32 v117, v105, v7
	s_wait_loadcnt_dscnt 0x401
	v_mul_f32_e32 v103, v106, v2
	v_fma_f32 v102, v104, v7, -v6
	ds_load_b128 v[5:8], v21 offset:400
	s_wait_loadcnt_dscnt 0x301
	v_dual_mul_f32 v104, v108, v4 :: v_dual_mul_f32 v105, v110, v10
	v_dual_mul_f32 v4, v109, v4 :: v_dual_fmac_f32 v103, v107, v1
	v_mul_f32_e32 v10, v111, v10
	s_delay_alu instid0(VALU_DEP_3)
	v_dual_mul_f32 v118, v112, v12 :: v_dual_fmac_f32 v105, v111, v9
	v_mul_f32_e32 v12, v113, v12
	v_mul_f32_e32 v2, v107, v2
	v_fmac_f32_e32 v104, v109, v3
	v_fma_f32 v107, v108, v3, -v4
	v_fma_f32 v108, v110, v9, -v10
	v_fmac_f32_e32 v118, v113, v11
	v_fma_f32 v109, v112, v11, -v12
	ds_load_b128 v[9:12], v21 offset:416
	s_wait_loadcnt_dscnt 0x201
	v_dual_mul_f32 v111, v7, v16 :: v_dual_mul_f32 v110, v5, v14
	v_mul_f32_e32 v14, v6, v14
	v_mul_f32_e32 v16, v8, v16
	s_delay_alu instid0(VALU_DEP_3)
	v_fmac_f32_e32 v111, v8, v15
	v_fma_f32 v106, v106, v1, -v2
	scratch_load_b128 v[1:4], off, off offset:112
	v_fmac_f32_e32 v110, v6, v13
	v_fma_f32 v13, v5, v13, -v14
	v_fma_f32 v14, v7, v15, -v16
	ds_load_b128 v[5:8], v21 offset:432
	s_wait_loadcnt_dscnt 0x201
	v_mul_f32_e32 v15, v9, v18
	v_mul_f32_e32 v16, v10, v18
	;; [unrolled: 1-line block ×3, first 2 shown]
	s_delay_alu instid0(VALU_DEP_3) | instskip(NEXT) | instid1(VALU_DEP_3)
	v_dual_mul_f32 v20, v12, v20 :: v_dual_fmac_f32 v15, v10, v17
	v_fma_f32 v16, v9, v17, -v16
	s_delay_alu instid0(VALU_DEP_3) | instskip(NEXT) | instid1(VALU_DEP_3)
	v_fmac_f32_e32 v18, v12, v19
	v_fma_f32 v17, v11, v19, -v20
	scratch_load_b128 v[9:12], off, off offset:128
	s_wait_loadcnt_dscnt 0x100
	v_mul_f32_e32 v19, v5, v2
	v_mul_f32_e32 v2, v6, v2
	;; [unrolled: 1-line block ×3, first 2 shown]
	s_delay_alu instid0(VALU_DEP_3) | instskip(NEXT) | instid1(VALU_DEP_3)
	v_dual_mul_f32 v4, v8, v4 :: v_dual_fmac_f32 v19, v6, v1
	v_fma_f32 v112, v5, v1, -v2
	s_delay_alu instid0(VALU_DEP_3) | instskip(NEXT) | instid1(VALU_DEP_3)
	v_fmac_f32_e32 v20, v8, v3
	v_fma_f32 v113, v7, v3, -v4
	ds_load_b128 v[1:4], v21 offset:448
	ds_load_b128 v[5:8], v21 offset:464
	s_wait_loadcnt_dscnt 0x1
	v_mul_f32_e32 v119, v1, v10
	v_mul_f32_e32 v10, v2, v10
	s_delay_alu instid0(VALU_DEP_2) | instskip(NEXT) | instid1(VALU_DEP_2)
	v_dual_mul_f32 v120, v3, v12 :: v_dual_fmac_f32 v119, v2, v9
	v_fma_f32 v121, v1, v9, -v10
	v_mul_f32_e32 v1, v4, v12
	s_delay_alu instid0(VALU_DEP_3) | instskip(NEXT) | instid1(VALU_DEP_2)
	v_fmac_f32_e32 v120, v4, v11
	v_fma_f32 v122, v3, v11, -v1
	s_clause 0x1
	scratch_load_b128 v[1:4], off, off offset:144
	scratch_load_b128 v[9:12], off, off offset:160
	s_wait_loadcnt_dscnt 0x100
	v_mul_f32_e32 v123, v5, v2
	v_dual_mul_f32 v2, v6, v2 :: v_dual_mul_f32 v125, v7, v4
	s_delay_alu instid0(VALU_DEP_2) | instskip(NEXT) | instid1(VALU_DEP_2)
	v_fmac_f32_e32 v123, v6, v1
	v_fma_f32 v124, v5, v1, -v2
	v_mul_f32_e32 v1, v8, v4
	s_delay_alu instid0(VALU_DEP_4) | instskip(NEXT) | instid1(VALU_DEP_2)
	v_fmac_f32_e32 v125, v8, v3
	v_fma_f32 v126, v7, v3, -v1
	ds_load_b128 v[1:4], v21 offset:480
	ds_load_b128 v[5:8], v21 offset:496
	s_wait_loadcnt_dscnt 0x1
	v_mul_f32_e32 v127, v1, v10
	v_mul_f32_e32 v129, v3, v12
	s_delay_alu instid0(VALU_DEP_2) | instskip(NEXT) | instid1(VALU_DEP_2)
	v_fmac_f32_e32 v127, v2, v9
	v_dual_mul_f32 v2, v2, v10 :: v_dual_fmac_f32 v129, v4, v11
	s_delay_alu instid0(VALU_DEP_1) | instskip(SKIP_1) | instid1(VALU_DEP_1)
	v_fma_f32 v128, v1, v9, -v2
	v_mul_f32_e32 v1, v4, v12
	v_fma_f32 v130, v3, v11, -v1
	s_clause 0x1
	scratch_load_b128 v[1:4], off, off offset:176
	scratch_load_b128 v[9:12], off, off offset:192
	s_wait_loadcnt_dscnt 0x100
	v_mul_f32_e32 v131, v5, v2
	v_dual_mul_f32 v133, v7, v4 :: v_dual_mul_f32 v2, v6, v2
	s_delay_alu instid0(VALU_DEP_2) | instskip(NEXT) | instid1(VALU_DEP_2)
	v_fmac_f32_e32 v131, v6, v1
	v_fmac_f32_e32 v133, v8, v3
	s_delay_alu instid0(VALU_DEP_3) | instskip(SKIP_1) | instid1(VALU_DEP_1)
	v_fma_f32 v132, v5, v1, -v2
	v_mul_f32_e32 v1, v8, v4
	v_fma_f32 v134, v7, v3, -v1
	ds_load_b128 v[1:4], v21 offset:512
	ds_load_b128 v[5:8], v21 offset:528
	s_wait_loadcnt_dscnt 0x1
	v_mul_f32_e32 v135, v1, v10
	v_mul_f32_e32 v137, v3, v12
	s_delay_alu instid0(VALU_DEP_2) | instskip(NEXT) | instid1(VALU_DEP_2)
	v_fmac_f32_e32 v135, v2, v9
	v_dual_mul_f32 v2, v2, v10 :: v_dual_fmac_f32 v137, v4, v11
	s_delay_alu instid0(VALU_DEP_1) | instskip(SKIP_1) | instid1(VALU_DEP_1)
	v_fma_f32 v136, v1, v9, -v2
	v_mul_f32_e32 v1, v4, v12
	v_fma_f32 v138, v3, v11, -v1
	s_clause 0x1
	scratch_load_b128 v[1:4], off, off offset:208
	scratch_load_b128 v[9:12], off, off offset:224
	s_wait_loadcnt_dscnt 0x100
	v_mul_f32_e32 v139, v5, v2
	v_mul_f32_e32 v2, v6, v2
	s_delay_alu instid0(VALU_DEP_1) | instskip(SKIP_1) | instid1(VALU_DEP_1)
	v_fma_f32 v140, v5, v1, -v2
	v_add_f32_e32 v2, 0, v116
	v_add_f32_e32 v2, v2, v117
	s_delay_alu instid0(VALU_DEP_1) | instskip(NEXT) | instid1(VALU_DEP_1)
	v_add_f32_e32 v2, v2, v103
	v_add_f32_e32 v2, v2, v104
	v_mul_f32_e32 v141, v7, v4
	v_fmac_f32_e32 v139, v6, v1
	s_delay_alu instid0(VALU_DEP_2) | instskip(NEXT) | instid1(VALU_DEP_1)
	v_dual_add_f32 v2, v2, v105 :: v_dual_fmac_f32 v141, v8, v3
	v_dual_add_f32 v2, v2, v118 :: v_dual_mul_f32 v1, v8, v4
	s_delay_alu instid0(VALU_DEP_1) | instskip(NEXT) | instid1(VALU_DEP_2)
	v_add_f32_e32 v2, v2, v110
	v_fma_f32 v142, v7, v3, -v1
	s_delay_alu instid0(VALU_DEP_2) | instskip(NEXT) | instid1(VALU_DEP_1)
	v_dual_add_f32 v1, 0, v22 :: v_dual_add_f32 v2, v2, v111
	v_dual_add_f32 v1, v1, v102 :: v_dual_add_f32 v2, v2, v15
	s_delay_alu instid0(VALU_DEP_1) | instskip(NEXT) | instid1(VALU_DEP_2)
	v_add_f32_e32 v1, v1, v106
	v_add_f32_e32 v5, v2, v18
	s_delay_alu instid0(VALU_DEP_2) | instskip(SKIP_2) | instid1(VALU_DEP_1)
	v_add_f32_e32 v1, v1, v107
	scratch_load_b64 v[106:107], off, off offset:304
	v_add_f32_e32 v1, v1, v108
	v_add_f32_e32 v1, v1, v109
	s_delay_alu instid0(VALU_DEP_1) | instskip(SKIP_1) | instid1(VALU_DEP_2)
	v_add_f32_e32 v1, v1, v13
	v_add_f32_e32 v13, v5, v19
	;; [unrolled: 1-line block ×3, first 2 shown]
	s_delay_alu instid0(VALU_DEP_2) | instskip(NEXT) | instid1(VALU_DEP_2)
	v_add_f32_e32 v13, v13, v20
	v_add_f32_e32 v1, v1, v16
	s_delay_alu instid0(VALU_DEP_2) | instskip(NEXT) | instid1(VALU_DEP_2)
	v_add_f32_e32 v13, v13, v119
	v_add_f32_e32 v1, v1, v17
	;; [unrolled: 3-line block ×3, first 2 shown]
	scratch_load_b128 v[1:4], off, off offset:240
	v_add_f32_e32 v18, v18, v123
	v_add_f32_e32 v14, v6, v113
	ds_load_b128 v[5:8], v21 offset:544
	v_add_f32_e32 v18, v18, v125
	v_add_f32_e32 v14, v14, v121
	s_delay_alu instid0(VALU_DEP_2) | instskip(NEXT) | instid1(VALU_DEP_2)
	v_add_f32_e32 v102, v18, v127
	v_add_f32_e32 v17, v14, v122
	ds_load_b128 v[13:16], v21 offset:560
	v_add_f32_e32 v102, v102, v129
	s_delay_alu instid0(VALU_DEP_1)
	v_add_f32_e32 v102, v102, v131
	s_wait_loadcnt_dscnt 0x201
	v_mul_f32_e32 v22, v5, v10
	v_mul_f32_e32 v10, v6, v10
	;; [unrolled: 1-line block ×4, first 2 shown]
	v_add_f32_e32 v102, v102, v133
	v_fmac_f32_e32 v22, v6, v9
	v_fma_f32 v111, v5, v9, -v10
	v_fmac_f32_e32 v110, v8, v11
	v_fma_f32 v112, v7, v11, -v12
	s_clause 0x1
	scratch_load_b128 v[5:8], off, off offset:256
	scratch_load_b128 v[9:12], off, off offset:272
	s_wait_loadcnt_dscnt 0x200
	v_mul_f32_e32 v116, v15, v4
	v_mul_f32_e32 v4, v16, v4
	v_add_f32_e32 v17, v17, v124
	v_mul_f32_e32 v113, v13, v2
	v_mul_f32_e32 v2, v14, v2
	v_fmac_f32_e32 v116, v16, v3
	v_fma_f32 v118, v15, v3, -v4
	v_add_f32_e32 v17, v17, v126
	s_delay_alu instid0(VALU_DEP_4) | instskip(SKIP_1) | instid1(VALU_DEP_3)
	v_fma_f32 v117, v13, v1, -v2
	v_add_f32_e32 v13, v102, v135
	v_add_f32_e32 v17, v17, v128
	s_delay_alu instid0(VALU_DEP_2) | instskip(NEXT) | instid1(VALU_DEP_2)
	v_add_f32_e32 v102, v13, v137
	v_add_f32_e32 v103, v17, v130
	scratch_load_b128 v[17:20], off, off offset:288
	v_add_f32_e32 v109, v102, v139
	s_delay_alu instid0(VALU_DEP_1) | instskip(NEXT) | instid1(VALU_DEP_1)
	v_dual_add_f32 v103, v103, v132 :: v_dual_add_f32 v120, v109, v141
	v_add_f32_e32 v103, v103, v134
	s_delay_alu instid0(VALU_DEP_1)
	v_dual_add_f32 v22, v120, v22 :: v_dual_add_f32 v103, v103, v136
	v_fmac_f32_e32 v113, v14, v1
	ds_load_b128 v[1:4], v21 offset:576
	v_add_f32_e32 v22, v22, v110
	v_add_f32_e32 v14, v103, v138
	ds_load_b128 v[102:105], v21 offset:608
	v_add_f32_e32 v22, v22, v113
	v_add_f32_e32 v108, v14, v140
	ds_load_b128 v[13:16], v21 offset:592
	v_dual_add_f32 v22, v22, v116 :: v_dual_add_f32 v119, v108, v142
	ds_load_b64 v[108:109], v21 offset:624
	v_add_f32_e32 v111, v119, v111
	s_wait_loadcnt_dscnt 0x203
	v_mul_f32_e32 v119, v1, v6
	v_mul_f32_e32 v6, v2, v6
	;; [unrolled: 1-line block ×3, first 2 shown]
	v_add_f32_e32 v111, v111, v112
	s_delay_alu instid0(VALU_DEP_4) | instskip(NEXT) | instid1(VALU_DEP_4)
	v_dual_mul_f32 v8, v4, v8 :: v_dual_fmac_f32 v119, v2, v5
	v_fma_f32 v1, v1, v5, -v6
	s_delay_alu instid0(VALU_DEP_4)
	v_fmac_f32_e32 v110, v4, v7
	s_wait_loadcnt_dscnt 0x101
	v_dual_mul_f32 v112, v13, v10 :: v_dual_add_f32 v111, v111, v117
	v_fma_f32 v2, v3, v7, -v8
	v_dual_add_f32 v4, v22, v119 :: v_dual_mul_f32 v113, v15, v12
	s_wait_dscnt 0x0
	s_delay_alu instid0(VALU_DEP_3) | instskip(SKIP_1) | instid1(VALU_DEP_2)
	v_dual_mul_f32 v116, v108, v107 :: v_dual_add_f32 v111, v111, v118
	v_dual_mul_f32 v5, v16, v12 :: v_dual_fmac_f32 v112, v14, v9
	v_dual_fmac_f32 v113, v16, v11 :: v_dual_fmac_f32 v116, v109, v106
	s_delay_alu instid0(VALU_DEP_3) | instskip(NEXT) | instid1(VALU_DEP_3)
	v_add_f32_e32 v1, v111, v1
	v_fma_f32 v5, v15, v11, -v5
	s_delay_alu instid0(VALU_DEP_2) | instskip(SKIP_3) | instid1(VALU_DEP_2)
	v_add_f32_e32 v1, v1, v2
	s_wait_loadcnt 0x0
	v_dual_mul_f32 v117, v102, v18 :: v_dual_mul_f32 v118, v104, v20
	v_mul_f32_e32 v3, v14, v10
	v_dual_fmac_f32 v117, v103, v17 :: v_dual_fmac_f32 v118, v105, v19
	s_delay_alu instid0(VALU_DEP_2) | instskip(SKIP_2) | instid1(VALU_DEP_2)
	v_fma_f32 v3, v13, v9, -v3
	v_add_f32_e32 v2, v4, v110
	v_mul_f32_e32 v4, v103, v18
	v_dual_add_f32 v2, v2, v112 :: v_dual_add_f32 v1, v1, v3
	v_mul_f32_e32 v3, v105, v20
	s_delay_alu instid0(VALU_DEP_3) | instskip(NEXT) | instid1(VALU_DEP_3)
	v_fma_f32 v4, v102, v17, -v4
	v_add_f32_e32 v2, v2, v113
	s_delay_alu instid0(VALU_DEP_3) | instskip(NEXT) | instid1(VALU_DEP_2)
	v_fma_f32 v3, v104, v19, -v3
	v_add_f32_e32 v2, v2, v117
	s_delay_alu instid0(VALU_DEP_1) | instskip(NEXT) | instid1(VALU_DEP_1)
	v_dual_add_f32 v1, v1, v5 :: v_dual_add_f32 v2, v2, v118
	v_dual_mul_f32 v5, v109, v107 :: v_dual_add_f32 v2, v2, v116
	s_delay_alu instid0(VALU_DEP_2) | instskip(NEXT) | instid1(VALU_DEP_2)
	v_add_f32_e32 v1, v1, v4
	v_fma_f32 v4, v108, v106, -v5
	s_delay_alu instid0(VALU_DEP_2) | instskip(NEXT) | instid1(VALU_DEP_1)
	v_dual_sub_f32 v2, v115, v2 :: v_dual_add_f32 v1, v1, v3
	v_add_f32_e32 v1, v1, v4
	s_delay_alu instid0(VALU_DEP_1)
	v_sub_f32_e32 v1, v114, v1
	scratch_store_b64 off, v[1:2], off offset:24
	v_cmpx_lt_u32_e32 2, v0
	s_cbranch_execz .LBB102_243
; %bb.242:
	scratch_load_b64 v[1:2], off, off offset:16
	v_mov_b32_e32 v22, v21
	scratch_store_b64 off, v[21:22], off offset:16
	s_wait_loadcnt 0x0
	ds_store_b64 v23, v[1:2]
.LBB102_243:
	s_wait_alu 0xfffe
	s_or_b32 exec_lo, exec_lo, s0
	s_wait_storecnt_dscnt 0x0
	s_barrier_signal -1
	s_barrier_wait -1
	global_inv scope:SCOPE_SE
	s_clause 0x4
	scratch_load_b128 v[5:8], off, off offset:24
	scratch_load_b128 v[1:4], off, off offset:40
	;; [unrolled: 1-line block ×5, first 2 shown]
	ds_load_2addr_b64 v[102:105], v21 offset0:43 offset1:44
	ds_load_2addr_b64 v[106:109], v21 offset0:45 offset1:46
	;; [unrolled: 1-line block ×3, first 2 shown]
	scratch_load_b64 v[114:115], off, off offset:16
	s_mov_b32 s0, exec_lo
	s_wait_loadcnt_dscnt 0x502
	v_dual_mul_f32 v22, v103, v6 :: v_dual_mul_f32 v117, v104, v8
	v_mul_f32_e32 v116, v102, v6
	v_mul_f32_e32 v6, v105, v8
	s_wait_loadcnt_dscnt 0x300
	v_mul_f32_e32 v118, v112, v12
	v_fma_f32 v22, v102, v5, -v22
	v_dual_fmac_f32 v117, v105, v7 :: v_dual_fmac_f32 v116, v103, v5
	v_mul_f32_e32 v105, v110, v10
	v_mul_f32_e32 v103, v106, v2
	v_fma_f32 v102, v104, v7, -v6
	ds_load_2addr_b64 v[5:8], v21 offset0:49 offset1:50
	v_mul_f32_e32 v104, v108, v4
	v_dual_mul_f32 v4, v109, v4 :: v_dual_fmac_f32 v105, v111, v9
	v_mul_f32_e32 v10, v111, v10
	v_mul_f32_e32 v12, v113, v12
	;; [unrolled: 1-line block ×3, first 2 shown]
	v_dual_fmac_f32 v103, v107, v1 :: v_dual_fmac_f32 v104, v109, v3
	v_fma_f32 v107, v108, v3, -v4
	v_fma_f32 v108, v110, v9, -v10
	v_fmac_f32_e32 v118, v113, v11
	v_fma_f32 v109, v112, v11, -v12
	ds_load_2addr_b64 v[9:12], v21 offset0:51 offset1:52
	s_wait_loadcnt_dscnt 0x201
	v_dual_mul_f32 v111, v7, v16 :: v_dual_mul_f32 v110, v5, v14
	s_delay_alu instid0(VALU_DEP_1)
	v_dual_mul_f32 v14, v6, v14 :: v_dual_fmac_f32 v111, v8, v15
	v_fma_f32 v106, v106, v1, -v2
	scratch_load_b128 v[1:4], off, off offset:104
	v_mul_f32_e32 v16, v8, v16
	v_fmac_f32_e32 v110, v6, v13
	v_fma_f32 v13, v5, v13, -v14
	s_delay_alu instid0(VALU_DEP_3)
	v_fma_f32 v14, v7, v15, -v16
	s_wait_loadcnt_dscnt 0x200
	v_mul_f32_e32 v15, v9, v18
	v_mul_f32_e32 v16, v10, v18
	;; [unrolled: 1-line block ×4, first 2 shown]
	ds_load_2addr_b64 v[5:8], v21 offset0:53 offset1:54
	v_fmac_f32_e32 v15, v10, v17
	v_fma_f32 v16, v9, v17, -v16
	v_fmac_f32_e32 v18, v12, v19
	v_fma_f32 v17, v11, v19, -v20
	scratch_load_b128 v[9:12], off, off offset:120
	s_wait_loadcnt_dscnt 0x100
	v_mul_f32_e32 v19, v5, v2
	v_mul_f32_e32 v2, v6, v2
	;; [unrolled: 1-line block ×3, first 2 shown]
	s_delay_alu instid0(VALU_DEP_3) | instskip(NEXT) | instid1(VALU_DEP_3)
	v_dual_mul_f32 v4, v8, v4 :: v_dual_fmac_f32 v19, v6, v1
	v_fma_f32 v112, v5, v1, -v2
	s_delay_alu instid0(VALU_DEP_3) | instskip(NEXT) | instid1(VALU_DEP_3)
	v_fmac_f32_e32 v20, v8, v3
	v_fma_f32 v113, v7, v3, -v4
	ds_load_2addr_b64 v[1:4], v21 offset0:55 offset1:56
	ds_load_2addr_b64 v[5:8], v21 offset0:57 offset1:58
	s_wait_loadcnt_dscnt 0x1
	v_mul_f32_e32 v119, v1, v10
	v_mul_f32_e32 v10, v2, v10
	s_delay_alu instid0(VALU_DEP_2) | instskip(NEXT) | instid1(VALU_DEP_2)
	v_dual_mul_f32 v120, v3, v12 :: v_dual_fmac_f32 v119, v2, v9
	v_fma_f32 v121, v1, v9, -v10
	v_mul_f32_e32 v1, v4, v12
	s_delay_alu instid0(VALU_DEP_3) | instskip(NEXT) | instid1(VALU_DEP_2)
	v_fmac_f32_e32 v120, v4, v11
	v_fma_f32 v122, v3, v11, -v1
	s_clause 0x1
	scratch_load_b128 v[1:4], off, off offset:136
	scratch_load_b128 v[9:12], off, off offset:152
	s_wait_loadcnt_dscnt 0x100
	v_mul_f32_e32 v123, v5, v2
	v_dual_mul_f32 v2, v6, v2 :: v_dual_mul_f32 v125, v7, v4
	s_delay_alu instid0(VALU_DEP_2) | instskip(NEXT) | instid1(VALU_DEP_2)
	v_fmac_f32_e32 v123, v6, v1
	v_fma_f32 v124, v5, v1, -v2
	v_mul_f32_e32 v1, v8, v4
	s_delay_alu instid0(VALU_DEP_4) | instskip(NEXT) | instid1(VALU_DEP_2)
	v_fmac_f32_e32 v125, v8, v3
	v_fma_f32 v126, v7, v3, -v1
	ds_load_2addr_b64 v[1:4], v21 offset0:59 offset1:60
	ds_load_2addr_b64 v[5:8], v21 offset0:61 offset1:62
	s_wait_loadcnt_dscnt 0x1
	v_mul_f32_e32 v127, v1, v10
	v_mul_f32_e32 v129, v3, v12
	s_delay_alu instid0(VALU_DEP_2) | instskip(NEXT) | instid1(VALU_DEP_2)
	v_fmac_f32_e32 v127, v2, v9
	v_dual_mul_f32 v2, v2, v10 :: v_dual_fmac_f32 v129, v4, v11
	s_delay_alu instid0(VALU_DEP_1) | instskip(SKIP_1) | instid1(VALU_DEP_1)
	v_fma_f32 v128, v1, v9, -v2
	v_mul_f32_e32 v1, v4, v12
	v_fma_f32 v130, v3, v11, -v1
	s_clause 0x1
	scratch_load_b128 v[1:4], off, off offset:168
	scratch_load_b128 v[9:12], off, off offset:184
	s_wait_loadcnt_dscnt 0x100
	v_mul_f32_e32 v131, v5, v2
	v_dual_mul_f32 v2, v6, v2 :: v_dual_mul_f32 v133, v7, v4
	s_delay_alu instid0(VALU_DEP_2) | instskip(NEXT) | instid1(VALU_DEP_2)
	v_fmac_f32_e32 v131, v6, v1
	v_fma_f32 v132, v5, v1, -v2
	v_mul_f32_e32 v1, v8, v4
	s_delay_alu instid0(VALU_DEP_4) | instskip(NEXT) | instid1(VALU_DEP_2)
	v_fmac_f32_e32 v133, v8, v3
	v_fma_f32 v134, v7, v3, -v1
	ds_load_2addr_b64 v[1:4], v21 offset0:63 offset1:64
	ds_load_2addr_b64 v[5:8], v21 offset0:65 offset1:66
	s_wait_loadcnt_dscnt 0x1
	v_mul_f32_e32 v135, v1, v10
	v_mul_f32_e32 v137, v3, v12
	s_delay_alu instid0(VALU_DEP_2) | instskip(NEXT) | instid1(VALU_DEP_2)
	v_fmac_f32_e32 v135, v2, v9
	v_dual_mul_f32 v2, v2, v10 :: v_dual_fmac_f32 v137, v4, v11
	s_delay_alu instid0(VALU_DEP_1) | instskip(SKIP_1) | instid1(VALU_DEP_1)
	v_fma_f32 v136, v1, v9, -v2
	v_mul_f32_e32 v1, v4, v12
	;; [unrolled: 25-line block ×3, first 2 shown]
	v_fma_f32 v146, v3, v11, -v1
	s_clause 0x1
	scratch_load_b128 v[1:4], off, off offset:232
	scratch_load_b128 v[9:12], off, off offset:248
	s_wait_loadcnt_dscnt 0x100
	v_mul_f32_e32 v147, v5, v2
	v_mul_f32_e32 v2, v6, v2
	s_delay_alu instid0(VALU_DEP_1) | instskip(SKIP_1) | instid1(VALU_DEP_1)
	v_fma_f32 v148, v5, v1, -v2
	v_add_f32_e32 v2, 0, v116
	v_add_f32_e32 v2, v2, v117
	s_delay_alu instid0(VALU_DEP_1) | instskip(NEXT) | instid1(VALU_DEP_1)
	v_add_f32_e32 v2, v2, v103
	v_add_f32_e32 v2, v2, v104
	s_delay_alu instid0(VALU_DEP_1) | instskip(NEXT) | instid1(VALU_DEP_1)
	;; [unrolled: 3-line block ×3, first 2 shown]
	v_add_f32_e32 v2, v2, v110
	v_add_f32_e32 v2, v2, v111
	s_delay_alu instid0(VALU_DEP_1) | instskip(SKIP_1) | instid1(VALU_DEP_2)
	v_add_f32_e32 v2, v2, v15
	v_fmac_f32_e32 v147, v6, v1
	v_dual_mul_f32 v149, v7, v4 :: v_dual_add_f32 v2, v2, v18
	s_delay_alu instid0(VALU_DEP_1) | instskip(NEXT) | instid1(VALU_DEP_1)
	v_dual_mul_f32 v1, v8, v4 :: v_dual_add_f32 v2, v2, v19
	v_fma_f32 v150, v7, v3, -v1
	v_add_f32_e32 v1, 0, v22
	s_delay_alu instid0(VALU_DEP_3) | instskip(NEXT) | instid1(VALU_DEP_2)
	v_dual_fmac_f32 v149, v8, v3 :: v_dual_add_f32 v2, v2, v20
	v_add_f32_e32 v1, v1, v102
	s_delay_alu instid0(VALU_DEP_2) | instskip(NEXT) | instid1(VALU_DEP_2)
	v_add_f32_e32 v5, v2, v119
	v_add_f32_e32 v1, v1, v106
	s_delay_alu instid0(VALU_DEP_2) | instskip(NEXT) | instid1(VALU_DEP_2)
	v_add_f32_e32 v5, v5, v120
	;; [unrolled: 3-line block ×3, first 2 shown]
	v_add_f32_e32 v1, v1, v108
	s_delay_alu instid0(VALU_DEP_1) | instskip(NEXT) | instid1(VALU_DEP_1)
	v_add_f32_e32 v1, v1, v109
	v_add_f32_e32 v1, v1, v13
	s_delay_alu instid0(VALU_DEP_1) | instskip(SKIP_1) | instid1(VALU_DEP_1)
	v_add_f32_e32 v1, v1, v14
	v_add_f32_e32 v14, v5, v125
	v_add_f32_e32 v14, v14, v127
	s_delay_alu instid0(VALU_DEP_1) | instskip(NEXT) | instid1(VALU_DEP_1)
	v_dual_add_f32 v14, v14, v129 :: v_dual_add_f32 v1, v1, v16
	v_add_f32_e32 v1, v1, v17
	s_delay_alu instid0(VALU_DEP_1) | instskip(NEXT) | instid1(VALU_DEP_1)
	v_add_f32_e32 v1, v1, v112
	v_add_f32_e32 v1, v1, v113
	s_delay_alu instid0(VALU_DEP_1) | instskip(NEXT) | instid1(VALU_DEP_1)
	v_add_f32_e32 v1, v1, v121
	v_add_f32_e32 v6, v1, v122
	ds_load_2addr_b64 v[1:4], v21 offset0:71 offset1:72
	v_add_f32_e32 v6, v6, v124
	s_delay_alu instid0(VALU_DEP_1)
	v_add_f32_e32 v13, v6, v126
	ds_load_2addr_b64 v[5:8], v21 offset0:73 offset1:74
	s_wait_loadcnt_dscnt 0x1
	v_mul_f32_e32 v22, v1, v10
	v_mul_f32_e32 v106, v3, v12
	;; [unrolled: 1-line block ×4, first 2 shown]
	s_delay_alu instid0(VALU_DEP_4) | instskip(NEXT) | instid1(VALU_DEP_4)
	v_fmac_f32_e32 v22, v2, v9
	v_fmac_f32_e32 v106, v4, v11
	s_delay_alu instid0(VALU_DEP_4) | instskip(NEXT) | instid1(VALU_DEP_4)
	v_fma_f32 v107, v1, v9, -v10
	v_fma_f32 v108, v3, v11, -v12
	s_clause 0x1
	scratch_load_b128 v[1:4], off, off offset:264
	scratch_load_b128 v[9:12], off, off offset:280
	v_add_f32_e32 v13, v13, v128
	v_add_f32_e32 v17, v14, v131
	s_delay_alu instid0(VALU_DEP_1) | instskip(SKIP_3) | instid1(VALU_DEP_2)
	v_add_f32_e32 v17, v17, v133
	s_wait_loadcnt_dscnt 0x100
	v_mul_f32_e32 v111, v7, v4
	v_mul_f32_e32 v4, v8, v4
	v_fmac_f32_e32 v111, v8, v3
	v_add_f32_e32 v13, v13, v130
	s_delay_alu instid0(VALU_DEP_3) | instskip(NEXT) | instid1(VALU_DEP_2)
	v_fma_f32 v3, v7, v3, -v4
	v_add_f32_e32 v13, v13, v132
	s_delay_alu instid0(VALU_DEP_1) | instskip(SKIP_2) | instid1(VALU_DEP_1)
	v_add_f32_e32 v18, v13, v134
	scratch_load_b128 v[13:16], off, off offset:296
	v_dual_add_f32 v17, v17, v135 :: v_dual_add_f32 v18, v18, v136
	v_dual_add_f32 v17, v17, v137 :: v_dual_add_f32 v18, v18, v138
	s_delay_alu instid0(VALU_DEP_1)
	v_dual_add_f32 v103, v17, v139 :: v_dual_add_f32 v102, v18, v140
	ds_load_2addr_b64 v[17:20], v21 offset0:75 offset1:76
	v_dual_add_f32 v110, v103, v141 :: v_dual_add_f32 v109, v102, v142
	ds_load_2addr_b64 v[102:105], v21 offset0:77 offset1:78
	v_add_f32_e32 v21, v109, v144
	v_dual_add_f32 v109, v110, v143 :: v_dual_mul_f32 v110, v5, v2
	v_mul_f32_e32 v2, v6, v2
	s_delay_alu instid0(VALU_DEP_2) | instskip(NEXT) | instid1(VALU_DEP_2)
	v_dual_add_f32 v21, v21, v146 :: v_dual_fmac_f32 v110, v6, v1
	v_fma_f32 v2, v5, v1, -v2
	s_delay_alu instid0(VALU_DEP_2) | instskip(SKIP_3) | instid1(VALU_DEP_3)
	v_add_f32_e32 v21, v21, v148
	s_wait_loadcnt_dscnt 0x101
	v_mul_f32_e32 v112, v17, v10
	v_dual_add_f32 v109, v109, v145 :: v_dual_mul_f32 v6, v18, v10
	v_dual_mul_f32 v4, v20, v12 :: v_dual_add_f32 v21, v21, v150
	s_delay_alu instid0(VALU_DEP_2) | instskip(NEXT) | instid1(VALU_DEP_2)
	v_dual_fmac_f32 v112, v18, v9 :: v_dual_add_f32 v109, v109, v147
	v_fma_f32 v4, v19, v11, -v4
	s_delay_alu instid0(VALU_DEP_3) | instskip(NEXT) | instid1(VALU_DEP_3)
	v_add_f32_e32 v21, v21, v107
	v_add_f32_e32 v109, v109, v149
	s_delay_alu instid0(VALU_DEP_2) | instskip(NEXT) | instid1(VALU_DEP_2)
	v_add_f32_e32 v1, v21, v108
	v_add_f32_e32 v22, v109, v22
	s_delay_alu instid0(VALU_DEP_2) | instskip(NEXT) | instid1(VALU_DEP_2)
	v_add_f32_e32 v1, v1, v2
	v_add_f32_e32 v5, v22, v106
	v_mul_f32_e32 v113, v19, v12
	s_delay_alu instid0(VALU_DEP_3) | instskip(NEXT) | instid1(VALU_DEP_3)
	v_add_f32_e32 v1, v1, v3
	v_add_f32_e32 v2, v5, v110
	v_fma_f32 v5, v17, v9, -v6
	s_delay_alu instid0(VALU_DEP_4) | instskip(NEXT) | instid1(VALU_DEP_2)
	v_fmac_f32_e32 v113, v20, v11
	v_dual_add_f32 v2, v2, v111 :: v_dual_add_f32 v1, v1, v5
	s_delay_alu instid0(VALU_DEP_1) | instskip(NEXT) | instid1(VALU_DEP_1)
	v_add_f32_e32 v2, v2, v112
	v_dual_add_f32 v1, v1, v4 :: v_dual_add_f32 v2, v2, v113
	s_wait_loadcnt_dscnt 0x0
	v_mul_f32_e32 v116, v102, v14
	v_mul_f32_e32 v3, v103, v14
	v_mul_f32_e32 v107, v104, v16
	s_delay_alu instid0(VALU_DEP_3) | instskip(NEXT) | instid1(VALU_DEP_3)
	v_dual_mul_f32 v5, v105, v16 :: v_dual_fmac_f32 v116, v103, v13
	v_fma_f32 v3, v102, v13, -v3
	s_delay_alu instid0(VALU_DEP_3) | instskip(NEXT) | instid1(VALU_DEP_3)
	v_fmac_f32_e32 v107, v105, v15
	v_fma_f32 v4, v104, v15, -v5
	s_delay_alu instid0(VALU_DEP_3) | instskip(NEXT) | instid1(VALU_DEP_1)
	v_dual_add_f32 v2, v2, v116 :: v_dual_add_f32 v1, v1, v3
	v_dual_add_f32 v2, v2, v107 :: v_dual_add_f32 v1, v1, v4
	s_delay_alu instid0(VALU_DEP_1)
	v_dual_sub_f32 v2, v115, v2 :: v_dual_sub_f32 v1, v114, v1
	scratch_store_b64 off, v[1:2], off offset:16
	v_cmpx_lt_u32_e32 1, v0
	s_cbranch_execz .LBB102_245
; %bb.244:
	scratch_load_b64 v[1:2], off, off offset:8
	v_mov_b32_e32 v3, 0
	s_delay_alu instid0(VALU_DEP_1)
	v_mov_b32_e32 v4, v3
	scratch_store_b64 off, v[3:4], off offset:8
	s_wait_loadcnt 0x0
	ds_store_b64 v23, v[1:2]
.LBB102_245:
	s_wait_alu 0xfffe
	s_or_b32 exec_lo, exec_lo, s0
	s_wait_storecnt_dscnt 0x0
	s_barrier_signal -1
	s_barrier_wait -1
	global_inv scope:SCOPE_SE
	s_clause 0x4
	scratch_load_b128 v[5:8], off, off offset:16
	scratch_load_b128 v[1:4], off, off offset:32
	;; [unrolled: 1-line block ×5, first 2 shown]
	v_mov_b32_e32 v102, 0
	ds_load_b128 v[103:106], v102 offset:336
	ds_load_b128 v[107:110], v102 offset:352
	;; [unrolled: 1-line block ×3, first 2 shown]
	scratch_load_b64 v[21:22], off, off offset:8
	s_mov_b32 s0, exec_lo
	s_wait_loadcnt_dscnt 0x502
	v_mul_f32_e32 v115, v104, v6
	v_dual_mul_f32 v116, v103, v6 :: v_dual_mul_f32 v117, v105, v8
	v_mul_f32_e32 v6, v106, v8
	s_delay_alu instid0(VALU_DEP_3) | instskip(NEXT) | instid1(VALU_DEP_3)
	v_fma_f32 v103, v103, v5, -v115
	v_dual_fmac_f32 v116, v104, v5 :: v_dual_fmac_f32 v117, v106, v7
	s_delay_alu instid0(VALU_DEP_3)
	v_fma_f32 v104, v105, v7, -v6
	ds_load_b128 v[5:8], v102 offset:384
	s_wait_loadcnt_dscnt 0x402
	v_dual_mul_f32 v105, v107, v2 :: v_dual_mul_f32 v106, v109, v4
	s_wait_loadcnt_dscnt 0x301
	v_dual_mul_f32 v115, v111, v10 :: v_dual_mul_f32 v4, v110, v4
	v_mul_f32_e32 v10, v112, v10
	v_mul_f32_e32 v118, v113, v12
	;; [unrolled: 1-line block ×4, first 2 shown]
	v_dual_fmac_f32 v105, v108, v1 :: v_dual_fmac_f32 v106, v110, v3
	v_fma_f32 v108, v109, v3, -v4
	v_fmac_f32_e32 v115, v112, v9
	v_fma_f32 v109, v111, v9, -v10
	v_fmac_f32_e32 v118, v114, v11
	v_fma_f32 v110, v113, v11, -v12
	ds_load_b128 v[9:12], v102 offset:400
	s_wait_loadcnt_dscnt 0x201
	v_mul_f32_e32 v111, v5, v14
	v_mul_f32_e32 v14, v6, v14
	;; [unrolled: 1-line block ×3, first 2 shown]
	s_delay_alu instid0(VALU_DEP_3)
	v_dual_mul_f32 v16, v8, v16 :: v_dual_fmac_f32 v111, v6, v13
	v_fma_f32 v107, v107, v1, -v2
	scratch_load_b128 v[1:4], off, off offset:96
	v_fma_f32 v13, v5, v13, -v14
	v_fmac_f32_e32 v112, v8, v15
	v_fma_f32 v14, v7, v15, -v16
	ds_load_b128 v[5:8], v102 offset:416
	s_wait_loadcnt_dscnt 0x201
	v_mul_f32_e32 v15, v9, v18
	v_mul_f32_e32 v16, v10, v18
	;; [unrolled: 1-line block ×3, first 2 shown]
	s_delay_alu instid0(VALU_DEP_3) | instskip(NEXT) | instid1(VALU_DEP_3)
	v_dual_mul_f32 v20, v12, v20 :: v_dual_fmac_f32 v15, v10, v17
	v_fma_f32 v16, v9, v17, -v16
	s_delay_alu instid0(VALU_DEP_3) | instskip(NEXT) | instid1(VALU_DEP_3)
	v_fmac_f32_e32 v18, v12, v19
	v_fma_f32 v17, v11, v19, -v20
	scratch_load_b128 v[9:12], off, off offset:112
	s_wait_loadcnt_dscnt 0x100
	v_mul_f32_e32 v19, v5, v2
	v_mul_f32_e32 v2, v6, v2
	;; [unrolled: 1-line block ×3, first 2 shown]
	s_delay_alu instid0(VALU_DEP_3) | instskip(NEXT) | instid1(VALU_DEP_3)
	v_dual_mul_f32 v4, v8, v4 :: v_dual_fmac_f32 v19, v6, v1
	v_fma_f32 v113, v5, v1, -v2
	s_delay_alu instid0(VALU_DEP_3) | instskip(NEXT) | instid1(VALU_DEP_3)
	v_fmac_f32_e32 v20, v8, v3
	v_fma_f32 v114, v7, v3, -v4
	ds_load_b128 v[1:4], v102 offset:432
	ds_load_b128 v[5:8], v102 offset:448
	s_wait_loadcnt_dscnt 0x1
	v_mul_f32_e32 v119, v1, v10
	v_mul_f32_e32 v10, v2, v10
	s_delay_alu instid0(VALU_DEP_2) | instskip(NEXT) | instid1(VALU_DEP_2)
	v_dual_mul_f32 v120, v3, v12 :: v_dual_fmac_f32 v119, v2, v9
	v_fma_f32 v121, v1, v9, -v10
	v_mul_f32_e32 v1, v4, v12
	s_delay_alu instid0(VALU_DEP_3) | instskip(NEXT) | instid1(VALU_DEP_2)
	v_fmac_f32_e32 v120, v4, v11
	v_fma_f32 v122, v3, v11, -v1
	s_clause 0x1
	scratch_load_b128 v[1:4], off, off offset:128
	scratch_load_b128 v[9:12], off, off offset:144
	s_wait_loadcnt_dscnt 0x100
	v_mul_f32_e32 v123, v5, v2
	v_dual_mul_f32 v2, v6, v2 :: v_dual_mul_f32 v125, v7, v4
	s_delay_alu instid0(VALU_DEP_2) | instskip(NEXT) | instid1(VALU_DEP_2)
	v_fmac_f32_e32 v123, v6, v1
	v_fma_f32 v124, v5, v1, -v2
	v_mul_f32_e32 v1, v8, v4
	s_delay_alu instid0(VALU_DEP_4) | instskip(NEXT) | instid1(VALU_DEP_2)
	v_fmac_f32_e32 v125, v8, v3
	v_fma_f32 v126, v7, v3, -v1
	ds_load_b128 v[1:4], v102 offset:464
	ds_load_b128 v[5:8], v102 offset:480
	s_wait_loadcnt_dscnt 0x1
	v_mul_f32_e32 v127, v1, v10
	v_mul_f32_e32 v129, v3, v12
	s_delay_alu instid0(VALU_DEP_2) | instskip(NEXT) | instid1(VALU_DEP_2)
	v_fmac_f32_e32 v127, v2, v9
	v_dual_mul_f32 v2, v2, v10 :: v_dual_fmac_f32 v129, v4, v11
	s_delay_alu instid0(VALU_DEP_1) | instskip(SKIP_1) | instid1(VALU_DEP_1)
	v_fma_f32 v128, v1, v9, -v2
	v_mul_f32_e32 v1, v4, v12
	v_fma_f32 v130, v3, v11, -v1
	s_clause 0x1
	scratch_load_b128 v[1:4], off, off offset:160
	scratch_load_b128 v[9:12], off, off offset:176
	s_wait_loadcnt_dscnt 0x100
	v_mul_f32_e32 v131, v5, v2
	v_dual_mul_f32 v133, v7, v4 :: v_dual_mul_f32 v2, v6, v2
	s_delay_alu instid0(VALU_DEP_2) | instskip(NEXT) | instid1(VALU_DEP_2)
	v_fmac_f32_e32 v131, v6, v1
	v_fmac_f32_e32 v133, v8, v3
	s_delay_alu instid0(VALU_DEP_3) | instskip(SKIP_1) | instid1(VALU_DEP_1)
	v_fma_f32 v132, v5, v1, -v2
	v_mul_f32_e32 v1, v8, v4
	v_fma_f32 v134, v7, v3, -v1
	ds_load_b128 v[1:4], v102 offset:496
	ds_load_b128 v[5:8], v102 offset:512
	s_wait_loadcnt_dscnt 0x1
	v_mul_f32_e32 v135, v1, v10
	v_mul_f32_e32 v137, v3, v12
	s_delay_alu instid0(VALU_DEP_2) | instskip(NEXT) | instid1(VALU_DEP_2)
	v_fmac_f32_e32 v135, v2, v9
	v_dual_mul_f32 v2, v2, v10 :: v_dual_fmac_f32 v137, v4, v11
	s_delay_alu instid0(VALU_DEP_1) | instskip(SKIP_1) | instid1(VALU_DEP_1)
	v_fma_f32 v136, v1, v9, -v2
	v_mul_f32_e32 v1, v4, v12
	v_fma_f32 v138, v3, v11, -v1
	s_clause 0x1
	scratch_load_b128 v[1:4], off, off offset:192
	scratch_load_b128 v[9:12], off, off offset:208
	s_wait_loadcnt_dscnt 0x100
	v_mul_f32_e32 v139, v5, v2
	v_dual_mul_f32 v2, v6, v2 :: v_dual_mul_f32 v141, v7, v4
	s_delay_alu instid0(VALU_DEP_2) | instskip(NEXT) | instid1(VALU_DEP_2)
	v_fmac_f32_e32 v139, v6, v1
	v_fma_f32 v140, v5, v1, -v2
	v_mul_f32_e32 v1, v8, v4
	s_delay_alu instid0(VALU_DEP_4) | instskip(NEXT) | instid1(VALU_DEP_2)
	v_fmac_f32_e32 v141, v8, v3
	v_fma_f32 v142, v7, v3, -v1
	ds_load_b128 v[1:4], v102 offset:528
	ds_load_b128 v[5:8], v102 offset:544
	s_wait_loadcnt_dscnt 0x1
	v_mul_f32_e32 v143, v1, v10
	v_mul_f32_e32 v145, v3, v12
	s_delay_alu instid0(VALU_DEP_2) | instskip(NEXT) | instid1(VALU_DEP_2)
	v_fmac_f32_e32 v143, v2, v9
	v_dual_mul_f32 v2, v2, v10 :: v_dual_fmac_f32 v145, v4, v11
	s_delay_alu instid0(VALU_DEP_1) | instskip(SKIP_1) | instid1(VALU_DEP_1)
	v_fma_f32 v144, v1, v9, -v2
	v_mul_f32_e32 v1, v4, v12
	v_fma_f32 v146, v3, v11, -v1
	s_clause 0x1
	scratch_load_b128 v[1:4], off, off offset:224
	scratch_load_b128 v[9:12], off, off offset:240
	s_wait_loadcnt_dscnt 0x100
	v_mul_f32_e32 v147, v5, v2
	v_mul_f32_e32 v2, v6, v2
	s_delay_alu instid0(VALU_DEP_1) | instskip(SKIP_1) | instid1(VALU_DEP_1)
	v_fma_f32 v148, v5, v1, -v2
	v_add_f32_e32 v2, 0, v116
	v_add_f32_e32 v2, v2, v117
	s_delay_alu instid0(VALU_DEP_1) | instskip(NEXT) | instid1(VALU_DEP_1)
	v_add_f32_e32 v2, v2, v105
	v_add_f32_e32 v2, v2, v106
	s_delay_alu instid0(VALU_DEP_1) | instskip(NEXT) | instid1(VALU_DEP_1)
	;; [unrolled: 3-line block ×4, first 2 shown]
	v_dual_add_f32 v2, v2, v15 :: v_dual_mul_f32 v149, v7, v4
	v_add_f32_e32 v2, v2, v18
	s_delay_alu instid0(VALU_DEP_1) | instskip(NEXT) | instid1(VALU_DEP_3)
	v_add_f32_e32 v2, v2, v19
	v_fmac_f32_e32 v149, v8, v3
	v_fmac_f32_e32 v147, v6, v1
	s_delay_alu instid0(VALU_DEP_3) | instskip(NEXT) | instid1(VALU_DEP_1)
	v_add_f32_e32 v2, v2, v20
	v_add_f32_e32 v5, v2, v119
	s_delay_alu instid0(VALU_DEP_1) | instskip(NEXT) | instid1(VALU_DEP_1)
	v_add_f32_e32 v5, v5, v120
	v_add_f32_e32 v5, v5, v123
	v_mul_f32_e32 v1, v8, v4
	s_delay_alu instid0(VALU_DEP_1) | instskip(SKIP_1) | instid1(VALU_DEP_1)
	v_fma_f32 v150, v7, v3, -v1
	v_add_f32_e32 v1, 0, v103
	v_add_f32_e32 v1, v1, v104
	s_delay_alu instid0(VALU_DEP_1) | instskip(NEXT) | instid1(VALU_DEP_1)
	v_add_f32_e32 v1, v1, v107
	v_add_f32_e32 v1, v1, v108
	scratch_load_b64 v[107:108], off, off offset:304
	v_add_f32_e32 v1, v1, v109
	s_delay_alu instid0(VALU_DEP_1) | instskip(NEXT) | instid1(VALU_DEP_1)
	v_add_f32_e32 v1, v1, v110
	v_add_f32_e32 v1, v1, v13
	s_delay_alu instid0(VALU_DEP_1) | instskip(SKIP_1) | instid1(VALU_DEP_1)
	v_add_f32_e32 v1, v1, v14
	v_add_f32_e32 v14, v5, v125
	v_dual_add_f32 v1, v1, v16 :: v_dual_add_f32 v14, v14, v127
	s_delay_alu instid0(VALU_DEP_1) | instskip(NEXT) | instid1(VALU_DEP_2)
	v_add_f32_e32 v1, v1, v17
	v_add_f32_e32 v14, v14, v129
	s_delay_alu instid0(VALU_DEP_2) | instskip(NEXT) | instid1(VALU_DEP_2)
	v_add_f32_e32 v1, v1, v113
	v_add_f32_e32 v17, v14, v131
	s_delay_alu instid0(VALU_DEP_2) | instskip(NEXT) | instid1(VALU_DEP_2)
	v_add_f32_e32 v1, v1, v114
	v_add_f32_e32 v17, v17, v133
	s_delay_alu instid0(VALU_DEP_2) | instskip(NEXT) | instid1(VALU_DEP_1)
	v_add_f32_e32 v1, v1, v121
	v_add_f32_e32 v6, v1, v122
	ds_load_b128 v[1:4], v102 offset:560
	v_dual_add_f32 v17, v17, v135 :: v_dual_add_f32 v6, v6, v124
	s_delay_alu instid0(VALU_DEP_1) | instskip(NEXT) | instid1(VALU_DEP_2)
	v_add_f32_e32 v17, v17, v137
	v_add_f32_e32 v13, v6, v126
	ds_load_b128 v[5:8], v102 offset:576
	s_wait_loadcnt_dscnt 0x101
	v_mul_f32_e32 v111, v1, v10
	v_mul_f32_e32 v10, v2, v10
	;; [unrolled: 1-line block ×3, first 2 shown]
	v_dual_mul_f32 v12, v4, v12 :: v_dual_add_f32 v17, v17, v139
	s_delay_alu instid0(VALU_DEP_4) | instskip(NEXT) | instid1(VALU_DEP_4)
	v_fmac_f32_e32 v111, v2, v9
	v_fma_f32 v113, v1, v9, -v10
	s_delay_alu instid0(VALU_DEP_4) | instskip(NEXT) | instid1(VALU_DEP_4)
	v_fmac_f32_e32 v112, v4, v11
	v_fma_f32 v114, v3, v11, -v12
	s_clause 0x1
	scratch_load_b128 v[1:4], off, off offset:256
	scratch_load_b128 v[9:12], off, off offset:272
	v_add_f32_e32 v103, v17, v141
	s_delay_alu instid0(VALU_DEP_1) | instskip(SKIP_2) | instid1(VALU_DEP_1)
	v_add_f32_e32 v110, v103, v143
	ds_load_b128 v[103:106], v102 offset:608
	v_add_f32_e32 v116, v110, v145
	v_add_f32_e32 v116, v116, v147
	s_delay_alu instid0(VALU_DEP_1) | instskip(NEXT) | instid1(VALU_DEP_1)
	v_add_f32_e32 v116, v116, v149
	v_add_f32_e32 v111, v116, v111
	s_delay_alu instid0(VALU_DEP_1) | instskip(SKIP_3) | instid1(VALU_DEP_2)
	v_add_f32_e32 v111, v111, v112
	s_wait_loadcnt_dscnt 0x101
	v_dual_mul_f32 v117, v5, v2 :: v_dual_mul_f32 v118, v7, v4
	v_dual_add_f32 v13, v13, v128 :: v_dual_mul_f32 v2, v6, v2
	v_dual_mul_f32 v4, v8, v4 :: v_dual_fmac_f32 v117, v6, v1
	s_delay_alu instid0(VALU_DEP_2) | instskip(NEXT) | instid1(VALU_DEP_3)
	v_dual_fmac_f32 v118, v8, v3 :: v_dual_add_f32 v13, v13, v130
	v_fma_f32 v2, v5, v1, -v2
	s_delay_alu instid0(VALU_DEP_3) | instskip(NEXT) | instid1(VALU_DEP_3)
	v_fma_f32 v1, v7, v3, -v4
	v_dual_add_f32 v4, v111, v117 :: v_dual_add_f32 v13, v13, v132
	s_delay_alu instid0(VALU_DEP_1) | instskip(SKIP_2) | instid1(VALU_DEP_1)
	v_add_f32_e32 v18, v13, v134
	scratch_load_b128 v[13:16], off, off offset:288
	v_add_f32_e32 v18, v18, v136
	v_add_f32_e32 v18, v18, v138
	s_delay_alu instid0(VALU_DEP_1) | instskip(NEXT) | instid1(VALU_DEP_1)
	v_add_f32_e32 v18, v18, v140
	v_add_f32_e32 v18, v18, v142
	s_delay_alu instid0(VALU_DEP_1) | instskip(SKIP_4) | instid1(VALU_DEP_2)
	v_add_f32_e32 v109, v18, v144
	ds_load_b128 v[17:20], v102 offset:592
	s_wait_loadcnt_dscnt 0x100
	v_dual_mul_f32 v3, v18, v10 :: v_dual_mul_f32 v116, v19, v12
	v_mul_f32_e32 v5, v20, v12
	v_fma_f32 v3, v17, v9, -v3
	s_delay_alu instid0(VALU_DEP_3) | instskip(NEXT) | instid1(VALU_DEP_3)
	v_fmac_f32_e32 v116, v20, v11
	v_fma_f32 v5, v19, v11, -v5
	s_wait_loadcnt 0x0
	v_mul_f32_e32 v119, v103, v14
	s_delay_alu instid0(VALU_DEP_1) | instskip(SKIP_4) | instid1(VALU_DEP_1)
	v_fmac_f32_e32 v119, v104, v13
	v_add_f32_e32 v115, v109, v146
	ds_load_b64 v[109:110], v102 offset:624
	s_wait_dscnt 0x0
	v_mul_f32_e32 v112, v109, v108
	v_dual_add_f32 v115, v115, v148 :: v_dual_fmac_f32 v112, v110, v107
	s_delay_alu instid0(VALU_DEP_1) | instskip(NEXT) | instid1(VALU_DEP_1)
	v_add_f32_e32 v115, v115, v150
	v_add_f32_e32 v113, v115, v113
	v_mul_f32_e32 v115, v17, v10
	s_delay_alu instid0(VALU_DEP_2) | instskip(NEXT) | instid1(VALU_DEP_2)
	v_add_f32_e32 v113, v113, v114
	v_dual_fmac_f32 v115, v18, v9 :: v_dual_mul_f32 v114, v105, v16
	s_delay_alu instid0(VALU_DEP_2) | instskip(NEXT) | instid1(VALU_DEP_2)
	v_add_f32_e32 v2, v113, v2
	v_fmac_f32_e32 v114, v106, v15
	s_delay_alu instid0(VALU_DEP_2) | instskip(NEXT) | instid1(VALU_DEP_1)
	v_dual_add_f32 v1, v2, v1 :: v_dual_add_f32 v2, v4, v118
	v_dual_mul_f32 v4, v104, v14 :: v_dual_add_f32 v1, v1, v3
	s_delay_alu instid0(VALU_DEP_2) | instskip(SKIP_1) | instid1(VALU_DEP_3)
	v_add_f32_e32 v2, v2, v115
	v_mul_f32_e32 v3, v106, v16
	v_fma_f32 v4, v103, v13, -v4
	s_delay_alu instid0(VALU_DEP_3) | instskip(SKIP_1) | instid1(VALU_DEP_4)
	v_dual_add_f32 v1, v1, v5 :: v_dual_add_f32 v2, v2, v116
	v_mul_f32_e32 v5, v110, v108
	v_fma_f32 v3, v105, v15, -v3
	s_delay_alu instid0(VALU_DEP_3) | instskip(NEXT) | instid1(VALU_DEP_3)
	v_dual_add_f32 v1, v1, v4 :: v_dual_add_f32 v2, v2, v119
	v_fma_f32 v4, v109, v107, -v5
	s_delay_alu instid0(VALU_DEP_2) | instskip(NEXT) | instid1(VALU_DEP_1)
	v_dual_add_f32 v1, v1, v3 :: v_dual_add_f32 v2, v2, v114
	v_add_f32_e32 v1, v1, v4
	s_delay_alu instid0(VALU_DEP_1) | instskip(NEXT) | instid1(VALU_DEP_1)
	v_dual_add_f32 v2, v2, v112 :: v_dual_sub_f32 v1, v21, v1
	v_sub_f32_e32 v2, v22, v2
	scratch_store_b64 off, v[1:2], off offset:8
	v_cmpx_ne_u32_e32 0, v0
	s_cbranch_execz .LBB102_247
; %bb.246:
	scratch_load_b64 v[0:1], off, off
	v_mov_b32_e32 v103, v102
	scratch_store_b64 off, v[102:103], off
	s_wait_loadcnt 0x0
	ds_store_b64 v23, v[0:1]
.LBB102_247:
	s_wait_alu 0xfffe
	s_or_b32 exec_lo, exec_lo, s0
	s_wait_storecnt_dscnt 0x0
	s_barrier_signal -1
	s_barrier_wait -1
	global_inv scope:SCOPE_SE
	s_clause 0x6
	scratch_load_b128 v[0:3], off, off offset:8
	scratch_load_b128 v[4:7], off, off offset:24
	;; [unrolled: 1-line block ×7, first 2 shown]
	ds_load_2addr_b64 v[107:110], v102 offset0:41 offset1:42
	ds_load_2addr_b64 v[111:114], v102 offset0:43 offset1:44
	scratch_load_b64 v[115:116], off, off
	s_and_b32 vcc_lo, exec_lo, s12
	s_wait_loadcnt_dscnt 0x701
	v_mul_f32_e32 v117, v108, v1
	v_dual_mul_f32 v118, v107, v1 :: v_dual_mul_f32 v119, v109, v3
	s_delay_alu instid0(VALU_DEP_1) | instskip(NEXT) | instid1(VALU_DEP_2)
	v_dual_mul_f32 v1, v110, v3 :: v_dual_fmac_f32 v118, v108, v0
	v_fmac_f32_e32 v119, v110, v2
	s_delay_alu instid0(VALU_DEP_2)
	v_fma_f32 v108, v109, v2, -v1
	s_wait_loadcnt_dscnt 0x600
	v_mul_f32_e32 v110, v113, v7
	v_fma_f32 v107, v107, v0, -v117
	ds_load_2addr_b64 v[0:3], v102 offset0:45 offset1:46
	v_mul_f32_e32 v109, v111, v5
	v_mul_f32_e32 v5, v112, v5
	;; [unrolled: 1-line block ×3, first 2 shown]
	s_delay_alu instid0(VALU_DEP_3) | instskip(NEXT) | instid1(VALU_DEP_3)
	v_dual_fmac_f32 v110, v114, v6 :: v_dual_fmac_f32 v109, v112, v4
	v_fma_f32 v111, v111, v4, -v5
	s_delay_alu instid0(VALU_DEP_3)
	v_fma_f32 v112, v113, v6, -v7
	ds_load_2addr_b64 v[4:7], v102 offset0:47 offset1:48
	s_wait_loadcnt_dscnt 0x501
	v_mul_f32_e32 v113, v0, v9
	v_dual_mul_f32 v9, v1, v9 :: v_dual_mul_f32 v114, v2, v11
	v_mul_f32_e32 v11, v3, v11
	s_delay_alu instid0(VALU_DEP_3) | instskip(NEXT) | instid1(VALU_DEP_3)
	v_fmac_f32_e32 v113, v1, v8
	v_fma_f32 v117, v0, v8, -v9
	s_delay_alu instid0(VALU_DEP_4) | instskip(NEXT) | instid1(VALU_DEP_4)
	v_fmac_f32_e32 v114, v3, v10
	v_fma_f32 v120, v2, v10, -v11
	ds_load_2addr_b64 v[0:3], v102 offset0:49 offset1:50
	s_wait_loadcnt_dscnt 0x401
	v_mul_f32_e32 v121, v4, v13
	v_dual_mul_f32 v8, v5, v13 :: v_dual_mul_f32 v13, v6, v15
	v_mul_f32_e32 v9, v7, v15
	s_delay_alu instid0(VALU_DEP_3) | instskip(NEXT) | instid1(VALU_DEP_3)
	v_fmac_f32_e32 v121, v5, v12
	v_fma_f32 v12, v4, v12, -v8
	s_delay_alu instid0(VALU_DEP_4) | instskip(NEXT) | instid1(VALU_DEP_4)
	v_fmac_f32_e32 v13, v7, v14
	;; [unrolled: 11-line block ×4, first 2 shown]
	v_fma_f32 v22, v6, v22, -v9
	ds_load_2addr_b64 v[4:7], v102 offset0:55 offset1:56
	s_wait_loadcnt_dscnt 0x101
	v_mul_f32_e32 v23, v0, v104
	v_mul_f32_e32 v8, v1, v104
	;; [unrolled: 1-line block ×4, first 2 shown]
	s_delay_alu instid0(VALU_DEP_4) | instskip(NEXT) | instid1(VALU_DEP_4)
	v_fmac_f32_e32 v23, v1, v103
	v_fma_f32 v103, v0, v103, -v8
	s_delay_alu instid0(VALU_DEP_4) | instskip(NEXT) | instid1(VALU_DEP_4)
	v_fmac_f32_e32 v104, v3, v105
	v_fma_f32 v105, v2, v105, -v9
	s_clause 0x1
	scratch_load_b128 v[0:3], off, off offset:120
	scratch_load_b128 v[8:11], off, off offset:136
	s_wait_loadcnt_dscnt 0x100
	v_mul_f32_e32 v106, v4, v1
	v_mul_f32_e32 v1, v5, v1
	s_delay_alu instid0(VALU_DEP_2) | instskip(NEXT) | instid1(VALU_DEP_2)
	v_dual_mul_f32 v123, v6, v3 :: v_dual_fmac_f32 v106, v5, v0
	v_fma_f32 v122, v4, v0, -v1
	v_mul_f32_e32 v0, v7, v3
	s_delay_alu instid0(VALU_DEP_3) | instskip(NEXT) | instid1(VALU_DEP_2)
	v_fmac_f32_e32 v123, v7, v2
	v_fma_f32 v124, v6, v2, -v0
	ds_load_2addr_b64 v[0:3], v102 offset0:57 offset1:58
	ds_load_2addr_b64 v[4:7], v102 offset0:59 offset1:60
	s_wait_loadcnt_dscnt 0x1
	v_mul_f32_e32 v125, v0, v9
	v_mul_f32_e32 v127, v2, v11
	s_delay_alu instid0(VALU_DEP_2) | instskip(SKIP_1) | instid1(VALU_DEP_3)
	v_fmac_f32_e32 v125, v1, v8
	v_mul_f32_e32 v1, v1, v9
	v_fmac_f32_e32 v127, v3, v10
	s_delay_alu instid0(VALU_DEP_2) | instskip(SKIP_1) | instid1(VALU_DEP_1)
	v_fma_f32 v126, v0, v8, -v1
	v_mul_f32_e32 v0, v3, v11
	v_fma_f32 v128, v2, v10, -v0
	s_clause 0x1
	scratch_load_b128 v[0:3], off, off offset:152
	scratch_load_b128 v[8:11], off, off offset:168
	s_wait_loadcnt_dscnt 0x100
	v_mul_f32_e32 v129, v4, v1
	v_mul_f32_e32 v1, v5, v1
	s_delay_alu instid0(VALU_DEP_2) | instskip(NEXT) | instid1(VALU_DEP_2)
	v_fmac_f32_e32 v129, v5, v0
	v_fma_f32 v130, v4, v0, -v1
	v_mul_f32_e32 v131, v6, v3
	v_mul_f32_e32 v0, v7, v3
	s_delay_alu instid0(VALU_DEP_2) | instskip(NEXT) | instid1(VALU_DEP_2)
	v_fmac_f32_e32 v131, v7, v2
	v_fma_f32 v132, v6, v2, -v0
	ds_load_2addr_b64 v[0:3], v102 offset0:61 offset1:62
	ds_load_2addr_b64 v[4:7], v102 offset0:63 offset1:64
	s_wait_loadcnt_dscnt 0x1
	v_mul_f32_e32 v133, v0, v9
	v_mul_f32_e32 v135, v2, v11
	s_delay_alu instid0(VALU_DEP_2) | instskip(SKIP_1) | instid1(VALU_DEP_3)
	v_fmac_f32_e32 v133, v1, v8
	v_mul_f32_e32 v1, v1, v9
	v_fmac_f32_e32 v135, v3, v10
	s_delay_alu instid0(VALU_DEP_2) | instskip(SKIP_1) | instid1(VALU_DEP_1)
	v_fma_f32 v134, v0, v8, -v1
	v_mul_f32_e32 v0, v3, v11
	v_fma_f32 v136, v2, v10, -v0
	s_clause 0x1
	scratch_load_b128 v[0:3], off, off offset:184
	scratch_load_b128 v[8:11], off, off offset:200
	s_wait_loadcnt_dscnt 0x100
	v_mul_f32_e32 v137, v4, v1
	v_mul_f32_e32 v1, v5, v1
	;; [unrolled: 1-line block ×3, first 2 shown]
	s_delay_alu instid0(VALU_DEP_3) | instskip(NEXT) | instid1(VALU_DEP_3)
	v_fmac_f32_e32 v137, v5, v0
	v_fma_f32 v138, v4, v0, -v1
	v_mul_f32_e32 v0, v7, v3
	s_delay_alu instid0(VALU_DEP_4) | instskip(NEXT) | instid1(VALU_DEP_2)
	v_fmac_f32_e32 v139, v7, v2
	v_fma_f32 v140, v6, v2, -v0
	ds_load_2addr_b64 v[0:3], v102 offset0:65 offset1:66
	ds_load_2addr_b64 v[4:7], v102 offset0:67 offset1:68
	s_wait_loadcnt_dscnt 0x1
	v_mul_f32_e32 v141, v0, v9
	v_mul_f32_e32 v143, v2, v11
	s_delay_alu instid0(VALU_DEP_2) | instskip(SKIP_1) | instid1(VALU_DEP_3)
	v_fmac_f32_e32 v141, v1, v8
	v_mul_f32_e32 v1, v1, v9
	v_fmac_f32_e32 v143, v3, v10
	s_delay_alu instid0(VALU_DEP_2) | instskip(SKIP_1) | instid1(VALU_DEP_1)
	v_fma_f32 v142, v0, v8, -v1
	v_mul_f32_e32 v0, v3, v11
	v_fma_f32 v144, v2, v10, -v0
	s_clause 0x1
	scratch_load_b128 v[0:3], off, off offset:216
	scratch_load_b128 v[8:11], off, off offset:232
	s_wait_loadcnt_dscnt 0x100
	v_mul_f32_e32 v145, v4, v1
	v_mul_f32_e32 v1, v5, v1
	s_delay_alu instid0(VALU_DEP_2) | instskip(NEXT) | instid1(VALU_DEP_2)
	v_fmac_f32_e32 v145, v5, v0
	v_fma_f32 v146, v4, v0, -v1
	v_dual_mul_f32 v0, v7, v3 :: v_dual_add_f32 v1, 0, v118
	s_delay_alu instid0(VALU_DEP_1) | instskip(SKIP_1) | instid1(VALU_DEP_1)
	v_fma_f32 v148, v6, v2, -v0
	v_add_f32_e32 v0, 0, v107
	v_dual_add_f32 v1, v1, v119 :: v_dual_add_f32 v0, v0, v108
	s_delay_alu instid0(VALU_DEP_1) | instskip(NEXT) | instid1(VALU_DEP_1)
	v_dual_add_f32 v1, v1, v109 :: v_dual_add_f32 v0, v0, v111
	v_dual_add_f32 v1, v1, v110 :: v_dual_add_f32 v0, v0, v112
	s_delay_alu instid0(VALU_DEP_1) | instskip(NEXT) | instid1(VALU_DEP_1)
	v_add_f32_e32 v1, v1, v113
	v_dual_add_f32 v0, v0, v117 :: v_dual_add_f32 v1, v1, v114
	s_delay_alu instid0(VALU_DEP_1) | instskip(NEXT) | instid1(VALU_DEP_1)
	v_dual_add_f32 v0, v0, v120 :: v_dual_add_f32 v1, v1, v121
	v_dual_add_f32 v0, v0, v12 :: v_dual_add_f32 v1, v1, v13
	s_delay_alu instid0(VALU_DEP_1) | instskip(NEXT) | instid1(VALU_DEP_1)
	v_dual_add_f32 v0, v0, v14 :: v_dual_add_f32 v1, v1, v15
	;; [unrolled: 3-line block ×4, first 2 shown]
	v_dual_add_f32 v4, v0, v103 :: v_dual_add_f32 v5, v5, v104
	s_delay_alu instid0(VALU_DEP_1) | instskip(NEXT) | instid1(VALU_DEP_2)
	v_add_f32_e32 v4, v4, v105
	v_add_f32_e32 v12, v5, v106
	s_delay_alu instid0(VALU_DEP_2) | instskip(NEXT) | instid1(VALU_DEP_2)
	v_add_f32_e32 v4, v4, v122
	v_add_f32_e32 v12, v12, v123
	s_delay_alu instid0(VALU_DEP_2) | instskip(NEXT) | instid1(VALU_DEP_1)
	v_add_f32_e32 v13, v4, v124
	v_dual_add_f32 v12, v12, v125 :: v_dual_add_f32 v13, v13, v126
	s_delay_alu instid0(VALU_DEP_1) | instskip(NEXT) | instid1(VALU_DEP_1)
	v_dual_add_f32 v12, v12, v127 :: v_dual_add_f32 v13, v13, v128
	v_dual_add_f32 v12, v12, v129 :: v_dual_add_f32 v13, v13, v130
	s_delay_alu instid0(VALU_DEP_1) | instskip(SKIP_4) | instid1(VALU_DEP_1)
	v_dual_add_f32 v17, v12, v131 :: v_dual_add_f32 v16, v13, v132
	scratch_load_b128 v[12:15], off, off offset:280
	v_dual_add_f32 v20, v16, v134 :: v_dual_add_f32 v21, v17, v133
	scratch_load_b128 v[16:19], off, off offset:296
	v_add_f32_e32 v20, v20, v136
	v_add_f32_e32 v20, v20, v138
	s_delay_alu instid0(VALU_DEP_1) | instskip(NEXT) | instid1(VALU_DEP_1)
	v_dual_add_f32 v20, v20, v140 :: v_dual_add_f32 v21, v21, v135
	v_dual_add_f32 v104, v20, v142 :: v_dual_add_f32 v21, v21, v137
	s_delay_alu instid0(VALU_DEP_1) | instskip(NEXT) | instid1(VALU_DEP_2)
	v_add_f32_e32 v107, v104, v144
	v_add_f32_e32 v103, v21, v139
	ds_load_2addr_b64 v[20:23], v102 offset0:73 offset1:74
	v_add_f32_e32 v118, v107, v146
	v_add_f32_e32 v103, v103, v141
	ds_load_2addr_b64 v[107:110], v102 offset0:77 offset1:78
	v_dual_add_f32 v118, v118, v148 :: v_dual_add_f32 v117, v103, v143
	ds_load_2addr_b64 v[103:106], v102 offset0:75 offset1:76
	v_mul_f32_e32 v147, v6, v3
	s_delay_alu instid0(VALU_DEP_1)
	v_fmac_f32_e32 v147, v7, v2
	ds_load_2addr_b64 v[0:3], v102 offset0:69 offset1:70
	ds_load_2addr_b64 v[4:7], v102 offset0:71 offset1:72
	v_add_f32_e32 v102, v117, v145
	s_wait_loadcnt_dscnt 0x201
	v_mul_f32_e32 v111, v0, v9
	v_dual_mul_f32 v9, v1, v9 :: v_dual_mul_f32 v112, v2, v11
	v_mul_f32_e32 v11, v3, v11
	s_delay_alu instid0(VALU_DEP_3) | instskip(NEXT) | instid1(VALU_DEP_3)
	v_fmac_f32_e32 v111, v1, v8
	v_fma_f32 v113, v0, v8, -v9
	s_delay_alu instid0(VALU_DEP_4) | instskip(NEXT) | instid1(VALU_DEP_4)
	v_fmac_f32_e32 v112, v3, v10
	v_fma_f32 v114, v2, v10, -v11
	s_clause 0x1
	scratch_load_b128 v[0:3], off, off offset:248
	scratch_load_b128 v[8:11], off, off offset:264
	v_add_f32_e32 v113, v118, v113
	s_wait_loadcnt_dscnt 0x100
	v_mul_f32_e32 v117, v4, v1
	v_mul_f32_e32 v1, v5, v1
	;; [unrolled: 1-line block ×3, first 2 shown]
	s_wait_loadcnt 0x0
	v_dual_mul_f32 v3, v7, v3 :: v_dual_mul_f32 v118, v20, v9
	v_fmac_f32_e32 v117, v5, v0
	v_fma_f32 v0, v4, v0, -v1
	v_add_f32_e32 v4, v113, v114
	s_delay_alu instid0(VALU_DEP_4)
	v_fma_f32 v1, v6, v2, -v3
	v_fmac_f32_e32 v119, v7, v2
	v_mul_f32_e32 v7, v21, v9
	v_fmac_f32_e32 v118, v21, v8
	v_add_f32_e32 v0, v4, v0
	v_dual_mul_f32 v2, v103, v13 :: v_dual_mul_f32 v3, v105, v15
	s_delay_alu instid0(VALU_DEP_4) | instskip(SKIP_1) | instid1(VALU_DEP_4)
	v_fma_f32 v7, v20, v8, -v7
	v_mul_f32_e32 v6, v107, v17
	v_add_f32_e32 v0, v0, v1
	v_add_f32_e32 v102, v102, v147
	v_dual_fmac_f32 v2, v104, v12 :: v_dual_fmac_f32 v3, v106, v14
	v_mul_f32_e32 v9, v109, v19
	s_delay_alu instid0(VALU_DEP_4) | instskip(NEXT) | instid1(VALU_DEP_4)
	v_add_f32_e32 v0, v0, v7
	v_add_f32_e32 v102, v102, v111
	v_mul_f32_e32 v111, v22, v11
	v_dual_mul_f32 v7, v106, v15 :: v_dual_fmac_f32 v6, v108, v16
	v_fmac_f32_e32 v9, v110, v18
	s_delay_alu instid0(VALU_DEP_4) | instskip(NEXT) | instid1(VALU_DEP_4)
	v_add_f32_e32 v5, v102, v112
	v_fmac_f32_e32 v111, v23, v10
	s_delay_alu instid0(VALU_DEP_4) | instskip(NEXT) | instid1(VALU_DEP_3)
	v_fma_f32 v7, v105, v14, -v7
	v_dual_add_f32 v4, v5, v117 :: v_dual_mul_f32 v5, v23, v11
	s_delay_alu instid0(VALU_DEP_1) | instskip(SKIP_1) | instid1(VALU_DEP_3)
	v_add_f32_e32 v1, v4, v119
	v_mul_f32_e32 v4, v104, v13
	v_fma_f32 v5, v22, v10, -v5
	s_delay_alu instid0(VALU_DEP_3) | instskip(NEXT) | instid1(VALU_DEP_3)
	v_add_f32_e32 v1, v1, v118
	v_fma_f32 v4, v103, v12, -v4
	s_delay_alu instid0(VALU_DEP_3) | instskip(SKIP_1) | instid1(VALU_DEP_2)
	v_add_f32_e32 v0, v0, v5
	v_mul_f32_e32 v5, v108, v17
	v_dual_add_f32 v1, v1, v111 :: v_dual_add_f32 v0, v0, v4
	s_delay_alu instid0(VALU_DEP_2) | instskip(NEXT) | instid1(VALU_DEP_2)
	v_fma_f32 v4, v107, v16, -v5
	v_dual_add_f32 v1, v1, v2 :: v_dual_mul_f32 v2, v110, v19
	s_delay_alu instid0(VALU_DEP_3) | instskip(NEXT) | instid1(VALU_DEP_2)
	v_add_f32_e32 v0, v0, v7
	v_add_f32_e32 v1, v1, v3
	s_delay_alu instid0(VALU_DEP_3) | instskip(NEXT) | instid1(VALU_DEP_2)
	v_fma_f32 v2, v109, v18, -v2
	v_dual_add_f32 v0, v0, v4 :: v_dual_add_f32 v1, v1, v6
	s_delay_alu instid0(VALU_DEP_1) | instskip(NEXT) | instid1(VALU_DEP_1)
	v_dual_add_f32 v0, v0, v2 :: v_dual_add_f32 v1, v1, v9
	v_dual_sub_f32 v0, v115, v0 :: v_dual_sub_f32 v1, v116, v1
	scratch_store_b64 off, v[0:1], off
	s_wait_alu 0xfffe
	s_cbranch_vccz .LBB102_324
; %bb.248:
	v_mov_b32_e32 v0, 0
	global_load_b32 v1, v0, s[2:3] offset:148
	s_wait_loadcnt 0x0
	v_cmp_ne_u32_e32 vcc_lo, 38, v1
	s_cbranch_vccz .LBB102_250
; %bb.249:
	v_lshlrev_b32_e32 v1, 3, v1
	s_delay_alu instid0(VALU_DEP_1)
	v_mov_b32_e32 v5, v1
	scratch_load_b64 v[1:2], v5, off offset:-8
	scratch_load_b64 v[3:4], off, off offset:296
	s_wait_loadcnt 0x1
	scratch_store_b64 off, v[1:2], off offset:296
	s_wait_loadcnt 0x0
	scratch_store_b64 v5, v[3:4], off offset:-8
.LBB102_250:
	global_load_b32 v0, v0, s[2:3] offset:144
	s_wait_loadcnt 0x0
	v_cmp_eq_u32_e32 vcc_lo, 37, v0
	s_cbranch_vccnz .LBB102_252
; %bb.251:
	v_lshlrev_b32_e32 v0, 3, v0
	s_delay_alu instid0(VALU_DEP_1)
	v_mov_b32_e32 v4, v0
	scratch_load_b64 v[0:1], v4, off offset:-8
	scratch_load_b64 v[2:3], off, off offset:288
	s_wait_loadcnt 0x1
	scratch_store_b64 off, v[0:1], off offset:288
	s_wait_loadcnt 0x0
	scratch_store_b64 v4, v[2:3], off offset:-8
.LBB102_252:
	v_mov_b32_e32 v0, 0
	global_load_b32 v1, v0, s[2:3] offset:140
	s_wait_loadcnt 0x0
	v_cmp_eq_u32_e32 vcc_lo, 36, v1
	s_cbranch_vccnz .LBB102_254
; %bb.253:
	v_lshlrev_b32_e32 v1, 3, v1
	s_delay_alu instid0(VALU_DEP_1)
	v_mov_b32_e32 v5, v1
	scratch_load_b64 v[1:2], v5, off offset:-8
	scratch_load_b64 v[3:4], off, off offset:280
	s_wait_loadcnt 0x1
	scratch_store_b64 off, v[1:2], off offset:280
	s_wait_loadcnt 0x0
	scratch_store_b64 v5, v[3:4], off offset:-8
.LBB102_254:
	global_load_b32 v0, v0, s[2:3] offset:136
	s_wait_loadcnt 0x0
	v_cmp_eq_u32_e32 vcc_lo, 35, v0
	s_cbranch_vccnz .LBB102_256
; %bb.255:
	v_lshlrev_b32_e32 v0, 3, v0
	s_delay_alu instid0(VALU_DEP_1)
	v_mov_b32_e32 v4, v0
	scratch_load_b64 v[0:1], v4, off offset:-8
	scratch_load_b64 v[2:3], off, off offset:272
	s_wait_loadcnt 0x1
	scratch_store_b64 off, v[0:1], off offset:272
	s_wait_loadcnt 0x0
	scratch_store_b64 v4, v[2:3], off offset:-8
.LBB102_256:
	v_mov_b32_e32 v0, 0
	global_load_b32 v1, v0, s[2:3] offset:132
	s_wait_loadcnt 0x0
	v_cmp_eq_u32_e32 vcc_lo, 34, v1
	s_cbranch_vccnz .LBB102_258
; %bb.257:
	v_lshlrev_b32_e32 v1, 3, v1
	s_delay_alu instid0(VALU_DEP_1)
	v_mov_b32_e32 v5, v1
	scratch_load_b64 v[1:2], v5, off offset:-8
	scratch_load_b64 v[3:4], off, off offset:264
	s_wait_loadcnt 0x1
	scratch_store_b64 off, v[1:2], off offset:264
	s_wait_loadcnt 0x0
	scratch_store_b64 v5, v[3:4], off offset:-8
.LBB102_258:
	;; [unrolled: 31-line block ×18, first 2 shown]
	global_load_b32 v0, v0, s[2:3]
	s_wait_loadcnt 0x0
	v_cmp_eq_u32_e32 vcc_lo, 1, v0
	s_cbranch_vccnz .LBB102_324
; %bb.323:
	v_lshlrev_b32_e32 v0, 3, v0
	s_delay_alu instid0(VALU_DEP_1)
	v_mov_b32_e32 v4, v0
	scratch_load_b64 v[0:1], v4, off offset:-8
	scratch_load_b64 v[2:3], off, off
	s_wait_loadcnt 0x1
	scratch_store_b64 off, v[0:1], off
	s_wait_loadcnt 0x0
	scratch_store_b64 v4, v[2:3], off offset:-8
.LBB102_324:
	scratch_load_b64 v[0:1], off, off
	s_wait_loadcnt 0x0
	flat_store_b64 v[24:25], v[0:1]
	scratch_load_b64 v[0:1], off, off offset:8
	s_wait_loadcnt 0x0
	flat_store_b64 v[26:27], v[0:1]
	scratch_load_b64 v[0:1], off, off offset:16
	s_wait_loadcnt 0x0
	flat_store_b64 v[28:29], v[0:1]
	scratch_load_b64 v[0:1], off, off offset:24
	s_wait_loadcnt 0x0
	flat_store_b64 v[30:31], v[0:1]
	scratch_load_b64 v[0:1], off, off offset:32
	s_wait_loadcnt 0x0
	flat_store_b64 v[32:33], v[0:1]
	scratch_load_b64 v[0:1], off, off offset:40
	s_wait_loadcnt 0x0
	flat_store_b64 v[34:35], v[0:1]
	scratch_load_b64 v[0:1], off, off offset:48
	s_wait_loadcnt 0x0
	flat_store_b64 v[36:37], v[0:1]
	scratch_load_b64 v[0:1], off, off offset:56
	s_wait_loadcnt 0x0
	flat_store_b64 v[38:39], v[0:1]
	scratch_load_b64 v[0:1], off, off offset:64
	s_wait_loadcnt 0x0
	flat_store_b64 v[40:41], v[0:1]
	scratch_load_b64 v[0:1], off, off offset:72
	s_wait_loadcnt 0x0
	flat_store_b64 v[42:43], v[0:1]
	scratch_load_b64 v[0:1], off, off offset:80
	s_wait_loadcnt 0x0
	flat_store_b64 v[44:45], v[0:1]
	scratch_load_b64 v[0:1], off, off offset:88
	s_wait_loadcnt 0x0
	flat_store_b64 v[46:47], v[0:1]
	scratch_load_b64 v[0:1], off, off offset:96
	s_wait_loadcnt 0x0
	flat_store_b64 v[48:49], v[0:1]
	scratch_load_b64 v[0:1], off, off offset:104
	s_wait_loadcnt 0x0
	flat_store_b64 v[50:51], v[0:1]
	scratch_load_b64 v[0:1], off, off offset:112
	s_wait_loadcnt 0x0
	flat_store_b64 v[52:53], v[0:1]
	scratch_load_b64 v[0:1], off, off offset:120
	s_wait_loadcnt 0x0
	flat_store_b64 v[54:55], v[0:1]
	scratch_load_b64 v[0:1], off, off offset:128
	s_wait_loadcnt 0x0
	flat_store_b64 v[56:57], v[0:1]
	scratch_load_b64 v[0:1], off, off offset:136
	s_wait_loadcnt 0x0
	flat_store_b64 v[58:59], v[0:1]
	scratch_load_b64 v[0:1], off, off offset:144
	s_wait_loadcnt 0x0
	flat_store_b64 v[60:61], v[0:1]
	scratch_load_b64 v[0:1], off, off offset:152
	s_wait_loadcnt 0x0
	flat_store_b64 v[62:63], v[0:1]
	scratch_load_b64 v[0:1], off, off offset:160
	s_wait_loadcnt 0x0
	flat_store_b64 v[64:65], v[0:1]
	scratch_load_b64 v[0:1], off, off offset:168
	s_wait_loadcnt 0x0
	flat_store_b64 v[66:67], v[0:1]
	scratch_load_b64 v[0:1], off, off offset:176
	s_wait_loadcnt 0x0
	flat_store_b64 v[68:69], v[0:1]
	scratch_load_b64 v[0:1], off, off offset:184
	s_wait_loadcnt 0x0
	flat_store_b64 v[70:71], v[0:1]
	scratch_load_b64 v[0:1], off, off offset:192
	s_wait_loadcnt 0x0
	flat_store_b64 v[72:73], v[0:1]
	scratch_load_b64 v[0:1], off, off offset:200
	s_wait_loadcnt 0x0
	flat_store_b64 v[74:75], v[0:1]
	scratch_load_b64 v[0:1], off, off offset:208
	s_wait_loadcnt 0x0
	flat_store_b64 v[76:77], v[0:1]
	scratch_load_b64 v[0:1], off, off offset:216
	s_wait_loadcnt 0x0
	flat_store_b64 v[78:79], v[0:1]
	scratch_load_b64 v[0:1], off, off offset:224
	s_wait_loadcnt 0x0
	flat_store_b64 v[80:81], v[0:1]
	scratch_load_b64 v[0:1], off, off offset:232
	s_wait_loadcnt 0x0
	flat_store_b64 v[82:83], v[0:1]
	scratch_load_b64 v[0:1], off, off offset:240
	s_wait_loadcnt 0x0
	flat_store_b64 v[84:85], v[0:1]
	scratch_load_b64 v[0:1], off, off offset:248
	s_wait_loadcnt 0x0
	flat_store_b64 v[86:87], v[0:1]
	scratch_load_b64 v[0:1], off, off offset:256
	s_wait_loadcnt 0x0
	flat_store_b64 v[88:89], v[0:1]
	scratch_load_b64 v[0:1], off, off offset:264
	s_wait_loadcnt 0x0
	flat_store_b64 v[90:91], v[0:1]
	scratch_load_b64 v[0:1], off, off offset:272
	s_wait_loadcnt 0x0
	flat_store_b64 v[92:93], v[0:1]
	scratch_load_b64 v[0:1], off, off offset:280
	s_wait_loadcnt 0x0
	flat_store_b64 v[94:95], v[0:1]
	scratch_load_b64 v[0:1], off, off offset:288
	s_wait_loadcnt 0x0
	flat_store_b64 v[96:97], v[0:1]
	scratch_load_b64 v[0:1], off, off offset:296
	s_wait_loadcnt 0x0
	flat_store_b64 v[98:99], v[0:1]
	scratch_load_b64 v[0:1], off, off offset:304
	s_wait_loadcnt 0x0
	flat_store_b64 v[100:101], v[0:1]
	s_nop 0
	s_sendmsg sendmsg(MSG_DEALLOC_VGPRS)
	s_endpgm
	.section	.rodata,"a",@progbits
	.p2align	6, 0x0
	.amdhsa_kernel _ZN9rocsolver6v33100L18getri_kernel_smallILi39E19rocblas_complex_numIfEPKPS3_EEvT1_iilPiilS8_bb
		.amdhsa_group_segment_fixed_size 632
		.amdhsa_private_segment_fixed_size 320
		.amdhsa_kernarg_size 60
		.amdhsa_user_sgpr_count 2
		.amdhsa_user_sgpr_dispatch_ptr 0
		.amdhsa_user_sgpr_queue_ptr 0
		.amdhsa_user_sgpr_kernarg_segment_ptr 1
		.amdhsa_user_sgpr_dispatch_id 0
		.amdhsa_user_sgpr_private_segment_size 0
		.amdhsa_wavefront_size32 1
		.amdhsa_uses_dynamic_stack 0
		.amdhsa_enable_private_segment 1
		.amdhsa_system_sgpr_workgroup_id_x 1
		.amdhsa_system_sgpr_workgroup_id_y 0
		.amdhsa_system_sgpr_workgroup_id_z 0
		.amdhsa_system_sgpr_workgroup_info 0
		.amdhsa_system_vgpr_workitem_id 0
		.amdhsa_next_free_vgpr 252
		.amdhsa_next_free_sgpr 19
		.amdhsa_reserve_vcc 1
		.amdhsa_float_round_mode_32 0
		.amdhsa_float_round_mode_16_64 0
		.amdhsa_float_denorm_mode_32 3
		.amdhsa_float_denorm_mode_16_64 3
		.amdhsa_fp16_overflow 0
		.amdhsa_workgroup_processor_mode 1
		.amdhsa_memory_ordered 1
		.amdhsa_forward_progress 1
		.amdhsa_inst_pref_size 255
		.amdhsa_round_robin_scheduling 0
		.amdhsa_exception_fp_ieee_invalid_op 0
		.amdhsa_exception_fp_denorm_src 0
		.amdhsa_exception_fp_ieee_div_zero 0
		.amdhsa_exception_fp_ieee_overflow 0
		.amdhsa_exception_fp_ieee_underflow 0
		.amdhsa_exception_fp_ieee_inexact 0
		.amdhsa_exception_int_div_zero 0
	.end_amdhsa_kernel
	.section	.text._ZN9rocsolver6v33100L18getri_kernel_smallILi39E19rocblas_complex_numIfEPKPS3_EEvT1_iilPiilS8_bb,"axG",@progbits,_ZN9rocsolver6v33100L18getri_kernel_smallILi39E19rocblas_complex_numIfEPKPS3_EEvT1_iilPiilS8_bb,comdat
.Lfunc_end102:
	.size	_ZN9rocsolver6v33100L18getri_kernel_smallILi39E19rocblas_complex_numIfEPKPS3_EEvT1_iilPiilS8_bb, .Lfunc_end102-_ZN9rocsolver6v33100L18getri_kernel_smallILi39E19rocblas_complex_numIfEPKPS3_EEvT1_iilPiilS8_bb
                                        ; -- End function
	.set _ZN9rocsolver6v33100L18getri_kernel_smallILi39E19rocblas_complex_numIfEPKPS3_EEvT1_iilPiilS8_bb.num_vgpr, 252
	.set _ZN9rocsolver6v33100L18getri_kernel_smallILi39E19rocblas_complex_numIfEPKPS3_EEvT1_iilPiilS8_bb.num_agpr, 0
	.set _ZN9rocsolver6v33100L18getri_kernel_smallILi39E19rocblas_complex_numIfEPKPS3_EEvT1_iilPiilS8_bb.numbered_sgpr, 19
	.set _ZN9rocsolver6v33100L18getri_kernel_smallILi39E19rocblas_complex_numIfEPKPS3_EEvT1_iilPiilS8_bb.num_named_barrier, 0
	.set _ZN9rocsolver6v33100L18getri_kernel_smallILi39E19rocblas_complex_numIfEPKPS3_EEvT1_iilPiilS8_bb.private_seg_size, 320
	.set _ZN9rocsolver6v33100L18getri_kernel_smallILi39E19rocblas_complex_numIfEPKPS3_EEvT1_iilPiilS8_bb.uses_vcc, 1
	.set _ZN9rocsolver6v33100L18getri_kernel_smallILi39E19rocblas_complex_numIfEPKPS3_EEvT1_iilPiilS8_bb.uses_flat_scratch, 1
	.set _ZN9rocsolver6v33100L18getri_kernel_smallILi39E19rocblas_complex_numIfEPKPS3_EEvT1_iilPiilS8_bb.has_dyn_sized_stack, 0
	.set _ZN9rocsolver6v33100L18getri_kernel_smallILi39E19rocblas_complex_numIfEPKPS3_EEvT1_iilPiilS8_bb.has_recursion, 0
	.set _ZN9rocsolver6v33100L18getri_kernel_smallILi39E19rocblas_complex_numIfEPKPS3_EEvT1_iilPiilS8_bb.has_indirect_call, 0
	.section	.AMDGPU.csdata,"",@progbits
; Kernel info:
; codeLenInByte = 56504
; TotalNumSgprs: 21
; NumVgprs: 252
; ScratchSize: 320
; MemoryBound: 0
; FloatMode: 240
; IeeeMode: 1
; LDSByteSize: 632 bytes/workgroup (compile time only)
; SGPRBlocks: 0
; VGPRBlocks: 31
; NumSGPRsForWavesPerEU: 21
; NumVGPRsForWavesPerEU: 252
; Occupancy: 5
; WaveLimiterHint : 1
; COMPUTE_PGM_RSRC2:SCRATCH_EN: 1
; COMPUTE_PGM_RSRC2:USER_SGPR: 2
; COMPUTE_PGM_RSRC2:TRAP_HANDLER: 0
; COMPUTE_PGM_RSRC2:TGID_X_EN: 1
; COMPUTE_PGM_RSRC2:TGID_Y_EN: 0
; COMPUTE_PGM_RSRC2:TGID_Z_EN: 0
; COMPUTE_PGM_RSRC2:TIDIG_COMP_CNT: 0
	.section	.text._ZN9rocsolver6v33100L18getri_kernel_smallILi40E19rocblas_complex_numIfEPKPS3_EEvT1_iilPiilS8_bb,"axG",@progbits,_ZN9rocsolver6v33100L18getri_kernel_smallILi40E19rocblas_complex_numIfEPKPS3_EEvT1_iilPiilS8_bb,comdat
	.globl	_ZN9rocsolver6v33100L18getri_kernel_smallILi40E19rocblas_complex_numIfEPKPS3_EEvT1_iilPiilS8_bb ; -- Begin function _ZN9rocsolver6v33100L18getri_kernel_smallILi40E19rocblas_complex_numIfEPKPS3_EEvT1_iilPiilS8_bb
	.p2align	8
	.type	_ZN9rocsolver6v33100L18getri_kernel_smallILi40E19rocblas_complex_numIfEPKPS3_EEvT1_iilPiilS8_bb,@function
_ZN9rocsolver6v33100L18getri_kernel_smallILi40E19rocblas_complex_numIfEPKPS3_EEvT1_iilPiilS8_bb: ; @_ZN9rocsolver6v33100L18getri_kernel_smallILi40E19rocblas_complex_numIfEPKPS3_EEvT1_iilPiilS8_bb
; %bb.0:
	s_mov_b32 s2, exec_lo
	v_cmpx_gt_u32_e32 40, v0
	s_cbranch_execz .LBB103_174
; %bb.1:
	s_clause 0x1
	s_load_b32 s13, s[0:1], 0x38
	s_load_b64 s[2:3], s[0:1], 0x0
	s_mov_b32 s8, ttmp9
	s_load_b128 s[4:7], s[0:1], 0x28
	s_wait_kmcnt 0x0
	s_bitcmp1_b32 s13, 8
	s_cselect_b32 s12, -1, 0
	s_ashr_i32 s9, ttmp9, 31
	s_delay_alu instid0(SALU_CYCLE_1) | instskip(NEXT) | instid1(SALU_CYCLE_1)
	s_lshl_b64 s[10:11], s[8:9], 3
	s_add_nc_u64 s[2:3], s[2:3], s[10:11]
	s_load_b64 s[10:11], s[2:3], 0x0
	s_bfe_u32 s2, s13, 0x10008
	s_delay_alu instid0(SALU_CYCLE_1)
	s_cmp_eq_u32 s2, 0
                                        ; implicit-def: $sgpr2_sgpr3
	s_cbranch_scc1 .LBB103_3
; %bb.2:
	s_load_b96 s[16:18], s[0:1], 0x18
	s_mul_u64 s[2:3], s[4:5], s[8:9]
	s_delay_alu instid0(SALU_CYCLE_1)
	s_lshl_b64 s[2:3], s[2:3], 2
	s_wait_kmcnt 0x0
	s_ashr_i32 s5, s18, 31
	s_mov_b32 s4, s18
	s_add_nc_u64 s[2:3], s[16:17], s[2:3]
	s_lshl_b64 s[4:5], s[4:5], 2
	s_delay_alu instid0(SALU_CYCLE_1)
	s_add_nc_u64 s[2:3], s[2:3], s[4:5]
.LBB103_3:
	s_clause 0x1
	s_load_b64 s[4:5], s[0:1], 0x8
	s_load_b32 s13, s[0:1], 0x38
	v_lshlrev_b32_e32 v7, 3, v0
	s_wait_kmcnt 0x0
	s_ashr_i32 s1, s4, 31
	s_mov_b32 s0, s4
	v_add3_u32 v3, s5, s5, v0
	s_lshl_b64 s[0:1], s[0:1], 3
	s_delay_alu instid0(SALU_CYCLE_1)
	s_add_nc_u64 s[0:1], s[10:11], s[0:1]
	s_ashr_i32 s11, s5, 31
	v_add_co_u32 v28, s4, s0, v7
	s_wait_alu 0xf1ff
	v_add_co_ci_u32_e64 v29, null, s1, 0, s4
	s_mov_b32 s10, s5
	v_ashrrev_i32_e32 v4, 31, v3
	s_lshl_b64 s[10:11], s[10:11], 3
	flat_load_b64 v[1:2], v[28:29]
	v_add_co_u32 v30, vcc_lo, v28, s10
	s_delay_alu instid0(VALU_DEP_1) | instskip(SKIP_3) | instid1(VALU_DEP_2)
	v_add_co_ci_u32_e64 v31, null, s11, v29, vcc_lo
	v_lshlrev_b64_e32 v[4:5], 3, v[3:4]
	v_add_nc_u32_e32 v3, s5, v3
	s_bitcmp0_b32 s13, 0
	v_add_co_u32 v32, vcc_lo, s0, v4
	s_wait_alu 0xfffd
	s_delay_alu instid0(VALU_DEP_3) | instskip(SKIP_1) | instid1(VALU_DEP_1)
	v_add_co_ci_u32_e64 v33, null, s1, v5, vcc_lo
	v_ashrrev_i32_e32 v4, 31, v3
	v_lshlrev_b64_e32 v[4:5], 3, v[3:4]
	v_add_nc_u32_e32 v3, s5, v3
	s_delay_alu instid0(VALU_DEP_2) | instskip(SKIP_1) | instid1(VALU_DEP_3)
	v_add_co_u32 v34, vcc_lo, s0, v4
	s_wait_alu 0xfffd
	v_add_co_ci_u32_e64 v35, null, s1, v5, vcc_lo
	s_delay_alu instid0(VALU_DEP_3) | instskip(NEXT) | instid1(VALU_DEP_1)
	v_ashrrev_i32_e32 v4, 31, v3
	v_lshlrev_b64_e32 v[4:5], 3, v[3:4]
	v_add_nc_u32_e32 v3, s5, v3
	s_delay_alu instid0(VALU_DEP_2) | instskip(SKIP_1) | instid1(VALU_DEP_3)
	v_add_co_u32 v36, vcc_lo, s0, v4
	s_wait_alu 0xfffd
	v_add_co_ci_u32_e64 v37, null, s1, v5, vcc_lo
	s_delay_alu instid0(VALU_DEP_3) | instskip(NEXT) | instid1(VALU_DEP_1)
	;; [unrolled: 8-line block ×20, first 2 shown]
	v_ashrrev_i32_e32 v4, 31, v3
	v_lshlrev_b64_e32 v[4:5], 3, v[3:4]
	s_wait_loadcnt_dscnt 0x0
	scratch_store_b64 off, v[1:2], off
	flat_load_b64 v[1:2], v[30:31]
	v_add_nc_u32_e32 v3, s5, v3
	v_add_co_u32 v74, vcc_lo, s0, v4
	s_wait_alu 0xfffd
	v_add_co_ci_u32_e64 v75, null, s1, v5, vcc_lo
	s_delay_alu instid0(VALU_DEP_3) | instskip(NEXT) | instid1(VALU_DEP_1)
	v_ashrrev_i32_e32 v4, 31, v3
	v_lshlrev_b64_e32 v[4:5], 3, v[3:4]
	v_add_nc_u32_e32 v3, s5, v3
	s_delay_alu instid0(VALU_DEP_2) | instskip(SKIP_1) | instid1(VALU_DEP_3)
	v_add_co_u32 v76, vcc_lo, s0, v4
	s_wait_alu 0xfffd
	v_add_co_ci_u32_e64 v77, null, s1, v5, vcc_lo
	s_delay_alu instid0(VALU_DEP_3) | instskip(NEXT) | instid1(VALU_DEP_1)
	v_ashrrev_i32_e32 v4, 31, v3
	v_lshlrev_b64_e32 v[4:5], 3, v[3:4]
	v_add_nc_u32_e32 v3, s5, v3
	s_delay_alu instid0(VALU_DEP_2) | instskip(SKIP_1) | instid1(VALU_DEP_3)
	;; [unrolled: 8-line block ×15, first 2 shown]
	v_add_co_u32 v104, vcc_lo, s0, v4
	s_wait_alu 0xfffd
	v_add_co_ci_u32_e64 v105, null, s1, v5, vcc_lo
	s_delay_alu instid0(VALU_DEP_3) | instskip(NEXT) | instid1(VALU_DEP_1)
	v_ashrrev_i32_e32 v4, 31, v3
	v_lshlrev_b64_e32 v[3:4], 3, v[3:4]
	s_delay_alu instid0(VALU_DEP_1) | instskip(SKIP_1) | instid1(VALU_DEP_2)
	v_add_co_u32 v106, vcc_lo, s0, v3
	s_wait_alu 0xfffd
	v_add_co_ci_u32_e64 v107, null, s1, v4, vcc_lo
	s_mov_b32 s1, -1
	s_wait_loadcnt_dscnt 0x0
	scratch_store_b64 off, v[1:2], off offset:8
	flat_load_b64 v[1:2], v[32:33]
	s_wait_loadcnt_dscnt 0x0
	scratch_store_b64 off, v[1:2], off offset:16
	flat_load_b64 v[1:2], v[34:35]
	;; [unrolled: 3-line block ×38, first 2 shown]
	s_wait_loadcnt_dscnt 0x0
	scratch_store_b64 off, v[1:2], off offset:312
	s_cbranch_scc1 .LBB103_172
; %bb.4:
	v_cmp_eq_u32_e64 s0, 0, v0
	s_and_saveexec_b32 s1, s0
; %bb.5:
	v_mov_b32_e32 v1, 0
	ds_store_b32 v1, v1 offset:640
; %bb.6:
	s_wait_alu 0xfffe
	s_or_b32 exec_lo, exec_lo, s1
	s_wait_storecnt_dscnt 0x0
	s_barrier_signal -1
	s_barrier_wait -1
	global_inv scope:SCOPE_SE
	scratch_load_b64 v[1:2], v7, off
	s_wait_loadcnt 0x0
	v_cmp_eq_f32_e32 vcc_lo, 0, v1
	v_cmp_eq_f32_e64 s1, 0, v2
	s_and_b32 s1, vcc_lo, s1
	s_wait_alu 0xfffe
	s_and_saveexec_b32 s4, s1
	s_cbranch_execz .LBB103_10
; %bb.7:
	v_mov_b32_e32 v1, 0
	s_mov_b32 s5, 0
	ds_load_b32 v2, v1 offset:640
	s_wait_dscnt 0x0
	v_readfirstlane_b32 s1, v2
	v_add_nc_u32_e32 v2, 1, v0
	s_cmp_eq_u32 s1, 0
	s_delay_alu instid0(VALU_DEP_1)
	v_cmp_gt_i32_e32 vcc_lo, s1, v2
	s_cselect_b32 s10, -1, 0
	s_wait_alu 0xfffe
	s_or_b32 s10, s10, vcc_lo
	s_wait_alu 0xfffe
	s_and_b32 exec_lo, exec_lo, s10
	s_cbranch_execz .LBB103_10
; %bb.8:
	v_mov_b32_e32 v3, s1
.LBB103_9:                              ; =>This Inner Loop Header: Depth=1
	ds_cmpstore_rtn_b32 v3, v1, v2, v3 offset:640
	s_wait_dscnt 0x0
	v_cmp_ne_u32_e32 vcc_lo, 0, v3
	v_cmp_le_i32_e64 s1, v3, v2
	s_and_b32 s1, vcc_lo, s1
	s_wait_alu 0xfffe
	s_and_b32 s1, exec_lo, s1
	s_wait_alu 0xfffe
	s_or_b32 s5, s1, s5
	s_wait_alu 0xfffe
	s_and_not1_b32 exec_lo, exec_lo, s5
	s_cbranch_execnz .LBB103_9
.LBB103_10:
	s_wait_alu 0xfffe
	s_or_b32 exec_lo, exec_lo, s4
	v_mov_b32_e32 v1, 0
	s_barrier_signal -1
	s_barrier_wait -1
	global_inv scope:SCOPE_SE
	ds_load_b32 v2, v1 offset:640
	s_and_saveexec_b32 s1, s0
	s_cbranch_execz .LBB103_12
; %bb.11:
	s_lshl_b64 s[4:5], s[8:9], 2
	s_wait_alu 0xfffe
	s_add_nc_u64 s[4:5], s[6:7], s[4:5]
	s_wait_dscnt 0x0
	global_store_b32 v1, v2, s[4:5]
.LBB103_12:
	s_wait_alu 0xfffe
	s_or_b32 exec_lo, exec_lo, s1
	s_wait_dscnt 0x0
	v_cmp_ne_u32_e32 vcc_lo, 0, v2
	s_mov_b32 s1, 0
	s_cbranch_vccnz .LBB103_172
; %bb.13:
	v_mov_b32_e32 v8, v7
                                        ; implicit-def: $vgpr3
                                        ; implicit-def: $vgpr5
	scratch_load_b64 v[1:2], v8, off
	s_wait_loadcnt 0x0
	v_cmp_ngt_f32_e64 s1, |v1|, |v2|
	s_wait_alu 0xfffe
	s_and_saveexec_b32 s4, s1
	s_wait_alu 0xfffe
	s_xor_b32 s1, exec_lo, s4
	s_cbranch_execz .LBB103_15
; %bb.14:
	v_div_scale_f32 v3, null, v2, v2, v1
	v_div_scale_f32 v6, vcc_lo, v1, v2, v1
	s_delay_alu instid0(VALU_DEP_2) | instskip(NEXT) | instid1(TRANS32_DEP_1)
	v_rcp_f32_e32 v4, v3
	v_fma_f32 v5, -v3, v4, 1.0
	s_delay_alu instid0(VALU_DEP_1) | instskip(NEXT) | instid1(VALU_DEP_1)
	v_fmac_f32_e32 v4, v5, v4
	v_mul_f32_e32 v5, v6, v4
	s_delay_alu instid0(VALU_DEP_1) | instskip(NEXT) | instid1(VALU_DEP_1)
	v_fma_f32 v9, -v3, v5, v6
	v_fmac_f32_e32 v5, v9, v4
	s_delay_alu instid0(VALU_DEP_1) | instskip(SKIP_1) | instid1(VALU_DEP_1)
	v_fma_f32 v3, -v3, v5, v6
	s_wait_alu 0xfffd
	v_div_fmas_f32 v3, v3, v4, v5
	s_delay_alu instid0(VALU_DEP_1) | instskip(NEXT) | instid1(VALU_DEP_1)
	v_div_fixup_f32 v3, v3, v2, v1
	v_fmac_f32_e32 v2, v1, v3
	s_delay_alu instid0(VALU_DEP_1) | instskip(NEXT) | instid1(VALU_DEP_1)
	v_div_scale_f32 v1, null, v2, v2, 1.0
	v_rcp_f32_e32 v4, v1
	s_delay_alu instid0(TRANS32_DEP_1) | instskip(NEXT) | instid1(VALU_DEP_1)
	v_fma_f32 v5, -v1, v4, 1.0
	v_fmac_f32_e32 v4, v5, v4
	v_div_scale_f32 v5, vcc_lo, 1.0, v2, 1.0
	s_delay_alu instid0(VALU_DEP_1) | instskip(NEXT) | instid1(VALU_DEP_1)
	v_mul_f32_e32 v6, v5, v4
	v_fma_f32 v9, -v1, v6, v5
	s_delay_alu instid0(VALU_DEP_1) | instskip(NEXT) | instid1(VALU_DEP_1)
	v_fmac_f32_e32 v6, v9, v4
	v_fma_f32 v1, -v1, v6, v5
	s_wait_alu 0xfffd
	s_delay_alu instid0(VALU_DEP_1) | instskip(NEXT) | instid1(VALU_DEP_1)
	v_div_fmas_f32 v1, v1, v4, v6
	v_div_fixup_f32 v1, v1, v2, 1.0
	s_delay_alu instid0(VALU_DEP_1) | instskip(SKIP_1) | instid1(VALU_DEP_2)
	v_mul_f32_e32 v3, v3, v1
	v_xor_b32_e32 v4, 0x80000000, v1
                                        ; implicit-def: $vgpr1_vgpr2
	v_xor_b32_e32 v5, 0x80000000, v3
.LBB103_15:
	s_wait_alu 0xfffe
	s_and_not1_saveexec_b32 s1, s1
	s_cbranch_execz .LBB103_17
; %bb.16:
	v_div_scale_f32 v3, null, v1, v1, v2
	v_div_scale_f32 v6, vcc_lo, v2, v1, v2
	s_delay_alu instid0(VALU_DEP_2) | instskip(NEXT) | instid1(TRANS32_DEP_1)
	v_rcp_f32_e32 v4, v3
	v_fma_f32 v5, -v3, v4, 1.0
	s_delay_alu instid0(VALU_DEP_1) | instskip(NEXT) | instid1(VALU_DEP_1)
	v_fmac_f32_e32 v4, v5, v4
	v_mul_f32_e32 v5, v6, v4
	s_delay_alu instid0(VALU_DEP_1) | instskip(NEXT) | instid1(VALU_DEP_1)
	v_fma_f32 v9, -v3, v5, v6
	v_fmac_f32_e32 v5, v9, v4
	s_delay_alu instid0(VALU_DEP_1) | instskip(SKIP_1) | instid1(VALU_DEP_1)
	v_fma_f32 v3, -v3, v5, v6
	s_wait_alu 0xfffd
	v_div_fmas_f32 v3, v3, v4, v5
	s_delay_alu instid0(VALU_DEP_1) | instskip(NEXT) | instid1(VALU_DEP_1)
	v_div_fixup_f32 v4, v3, v1, v2
	v_fmac_f32_e32 v1, v2, v4
	s_delay_alu instid0(VALU_DEP_1) | instskip(SKIP_1) | instid1(VALU_DEP_2)
	v_div_scale_f32 v2, null, v1, v1, 1.0
	v_div_scale_f32 v6, vcc_lo, 1.0, v1, 1.0
	v_rcp_f32_e32 v3, v2
	s_delay_alu instid0(TRANS32_DEP_1) | instskip(NEXT) | instid1(VALU_DEP_1)
	v_fma_f32 v5, -v2, v3, 1.0
	v_fmac_f32_e32 v3, v5, v3
	s_delay_alu instid0(VALU_DEP_1) | instskip(NEXT) | instid1(VALU_DEP_1)
	v_mul_f32_e32 v5, v6, v3
	v_fma_f32 v9, -v2, v5, v6
	s_delay_alu instid0(VALU_DEP_1) | instskip(NEXT) | instid1(VALU_DEP_1)
	v_fmac_f32_e32 v5, v9, v3
	v_fma_f32 v2, -v2, v5, v6
	s_wait_alu 0xfffd
	s_delay_alu instid0(VALU_DEP_1) | instskip(NEXT) | instid1(VALU_DEP_1)
	v_div_fmas_f32 v2, v2, v3, v5
	v_div_fixup_f32 v3, v2, v1, 1.0
	s_delay_alu instid0(VALU_DEP_1)
	v_xor_b32_e32 v5, 0x80000000, v3
	v_mul_f32_e64 v4, v4, -v3
.LBB103_17:
	s_wait_alu 0xfffe
	s_or_b32 exec_lo, exec_lo, s1
	scratch_store_b64 v8, v[3:4], off
	scratch_load_b64 v[2:3], off, off offset:8
	v_xor_b32_e32 v6, 0x80000000, v4
	v_add_nc_u32_e32 v1, 0x140, v7
	s_wait_loadcnt 0x0
	ds_store_2addr_b64 v7, v[5:6], v[2:3] offset1:40
	s_wait_storecnt_dscnt 0x0
	s_barrier_signal -1
	s_barrier_wait -1
	global_inv scope:SCOPE_SE
	s_and_saveexec_b32 s1, s0
	s_cbranch_execz .LBB103_19
; %bb.18:
	scratch_load_b64 v[2:3], v8, off
	ds_load_b64 v[4:5], v1
	v_mov_b32_e32 v6, 0
	ds_load_b64 v[9:10], v6 offset:8
	s_wait_loadcnt_dscnt 0x1
	v_mul_f32_e32 v6, v4, v3
	v_mul_f32_e32 v3, v5, v3
	s_delay_alu instid0(VALU_DEP_2) | instskip(NEXT) | instid1(VALU_DEP_2)
	v_fmac_f32_e32 v6, v5, v2
	v_fma_f32 v2, v4, v2, -v3
	s_delay_alu instid0(VALU_DEP_2) | instskip(NEXT) | instid1(VALU_DEP_2)
	v_add_f32_e32 v4, 0, v6
	v_add_f32_e32 v2, 0, v2
	s_wait_dscnt 0x0
	s_delay_alu instid0(VALU_DEP_2) | instskip(NEXT) | instid1(VALU_DEP_2)
	v_mul_f32_e32 v5, v4, v10
	v_mul_f32_e32 v3, v2, v10
	s_delay_alu instid0(VALU_DEP_2) | instskip(NEXT) | instid1(VALU_DEP_2)
	v_fma_f32 v2, v2, v9, -v5
	v_fmac_f32_e32 v3, v4, v9
	scratch_store_b64 off, v[2:3], off offset:8
.LBB103_19:
	s_wait_alu 0xfffe
	s_or_b32 exec_lo, exec_lo, s1
	s_wait_loadcnt 0x0
	s_wait_storecnt 0x0
	s_barrier_signal -1
	s_barrier_wait -1
	global_inv scope:SCOPE_SE
	scratch_load_b64 v[2:3], off, off offset:16
	s_mov_b32 s1, exec_lo
	s_wait_loadcnt 0x0
	ds_store_b64 v1, v[2:3]
	s_wait_dscnt 0x0
	s_barrier_signal -1
	s_barrier_wait -1
	global_inv scope:SCOPE_SE
	v_cmpx_gt_u32_e32 2, v0
	s_cbranch_execz .LBB103_23
; %bb.20:
	scratch_load_b64 v[2:3], v8, off
	ds_load_b64 v[4:5], v1
	s_wait_loadcnt_dscnt 0x0
	v_mul_f32_e32 v6, v5, v3
	v_mul_f32_e32 v9, v4, v3
	s_delay_alu instid0(VALU_DEP_2) | instskip(NEXT) | instid1(VALU_DEP_2)
	v_fma_f32 v3, v4, v2, -v6
	v_fmac_f32_e32 v9, v5, v2
	s_delay_alu instid0(VALU_DEP_1)
	v_dual_add_f32 v3, 0, v3 :: v_dual_add_f32 v2, 0, v9
	s_and_saveexec_b32 s4, s0
	s_cbranch_execz .LBB103_22
; %bb.21:
	scratch_load_b64 v[4:5], off, off offset:8
	v_mov_b32_e32 v6, 0
	ds_load_b64 v[9:10], v6 offset:328
	s_wait_loadcnt_dscnt 0x0
	v_mul_f32_e32 v6, v9, v5
	v_mul_f32_e32 v5, v10, v5
	s_delay_alu instid0(VALU_DEP_2) | instskip(NEXT) | instid1(VALU_DEP_2)
	v_fmac_f32_e32 v6, v10, v4
	v_fma_f32 v4, v9, v4, -v5
	s_delay_alu instid0(VALU_DEP_1)
	v_dual_add_f32 v2, v2, v6 :: v_dual_add_f32 v3, v3, v4
.LBB103_22:
	s_wait_alu 0xfffe
	s_or_b32 exec_lo, exec_lo, s4
	v_mov_b32_e32 v4, 0
	ds_load_b64 v[4:5], v4 offset:16
	s_wait_dscnt 0x0
	v_mul_f32_e32 v9, v2, v5
	v_mul_f32_e32 v6, v3, v5
	s_delay_alu instid0(VALU_DEP_2) | instskip(NEXT) | instid1(VALU_DEP_2)
	v_fma_f32 v5, v3, v4, -v9
	v_fmac_f32_e32 v6, v2, v4
	scratch_store_b64 off, v[5:6], off offset:16
.LBB103_23:
	s_wait_alu 0xfffe
	s_or_b32 exec_lo, exec_lo, s1
	s_wait_loadcnt 0x0
	s_wait_storecnt 0x0
	s_barrier_signal -1
	s_barrier_wait -1
	global_inv scope:SCOPE_SE
	scratch_load_b64 v[3:4], off, off offset:24
	v_add_nc_u32_e32 v2, -1, v0
	s_mov_b32 s0, exec_lo
	s_wait_loadcnt 0x0
	ds_store_b64 v1, v[3:4]
	s_wait_dscnt 0x0
	s_barrier_signal -1
	s_barrier_wait -1
	global_inv scope:SCOPE_SE
	v_cmpx_gt_u32_e32 3, v0
	s_cbranch_execz .LBB103_27
; %bb.24:
	v_dual_mov_b32 v3, 0 :: v_dual_add_nc_u32 v4, -1, v0
	v_dual_mov_b32 v6, v7 :: v_dual_add_nc_u32 v5, 0x140, v7
	v_mov_b32_e32 v9, 0
	s_mov_b32 s1, 0
.LBB103_25:                             ; =>This Inner Loop Header: Depth=1
	scratch_load_b64 v[10:11], v6, off
	ds_load_b64 v[12:13], v5
	v_add_nc_u32_e32 v4, 1, v4
	v_add_nc_u32_e32 v5, 8, v5
	s_delay_alu instid0(VALU_DEP_2)
	v_cmp_lt_u32_e32 vcc_lo, 1, v4
	s_wait_alu 0xfffe
	s_or_b32 s1, vcc_lo, s1
	s_wait_loadcnt_dscnt 0x0
	v_mul_f32_e32 v14, v13, v11
	v_mul_f32_e32 v11, v12, v11
	s_delay_alu instid0(VALU_DEP_2) | instskip(NEXT) | instid1(VALU_DEP_2)
	v_fma_f32 v12, v12, v10, -v14
	v_fmac_f32_e32 v11, v13, v10
	s_delay_alu instid0(VALU_DEP_2) | instskip(NEXT) | instid1(VALU_DEP_2)
	v_dual_add_f32 v9, v9, v12 :: v_dual_add_nc_u32 v6, 8, v6
	v_add_f32_e32 v3, v3, v11
	s_wait_alu 0xfffe
	s_and_not1_b32 exec_lo, exec_lo, s1
	s_cbranch_execnz .LBB103_25
; %bb.26:
	s_or_b32 exec_lo, exec_lo, s1
	v_mov_b32_e32 v4, 0
	ds_load_b64 v[4:5], v4 offset:24
	s_wait_dscnt 0x0
	v_mul_f32_e32 v10, v3, v5
	v_mul_f32_e32 v6, v9, v5
	s_delay_alu instid0(VALU_DEP_2) | instskip(NEXT) | instid1(VALU_DEP_2)
	v_fma_f32 v5, v9, v4, -v10
	v_fmac_f32_e32 v6, v3, v4
	scratch_store_b64 off, v[5:6], off offset:24
.LBB103_27:
	s_wait_alu 0xfffe
	s_or_b32 exec_lo, exec_lo, s0
	s_wait_loadcnt 0x0
	s_wait_storecnt 0x0
	s_barrier_signal -1
	s_barrier_wait -1
	global_inv scope:SCOPE_SE
	scratch_load_b64 v[3:4], off, off offset:32
	s_mov_b32 s0, exec_lo
	s_wait_loadcnt 0x0
	ds_store_b64 v1, v[3:4]
	s_wait_dscnt 0x0
	s_barrier_signal -1
	s_barrier_wait -1
	global_inv scope:SCOPE_SE
	v_cmpx_gt_u32_e32 4, v0
	s_cbranch_execz .LBB103_31
; %bb.28:
	v_dual_mov_b32 v3, 0 :: v_dual_add_nc_u32 v4, -1, v0
	v_dual_mov_b32 v6, v7 :: v_dual_add_nc_u32 v5, 0x140, v7
	v_mov_b32_e32 v9, 0
	s_mov_b32 s1, 0
.LBB103_29:                             ; =>This Inner Loop Header: Depth=1
	scratch_load_b64 v[10:11], v6, off
	ds_load_b64 v[12:13], v5
	v_add_nc_u32_e32 v4, 1, v4
	v_add_nc_u32_e32 v5, 8, v5
	s_delay_alu instid0(VALU_DEP_2)
	v_cmp_lt_u32_e32 vcc_lo, 2, v4
	s_wait_alu 0xfffe
	s_or_b32 s1, vcc_lo, s1
	s_wait_loadcnt_dscnt 0x0
	v_mul_f32_e32 v14, v13, v11
	v_mul_f32_e32 v11, v12, v11
	s_delay_alu instid0(VALU_DEP_2) | instskip(NEXT) | instid1(VALU_DEP_2)
	v_fma_f32 v12, v12, v10, -v14
	v_fmac_f32_e32 v11, v13, v10
	s_delay_alu instid0(VALU_DEP_2) | instskip(NEXT) | instid1(VALU_DEP_2)
	v_dual_add_f32 v9, v9, v12 :: v_dual_add_nc_u32 v6, 8, v6
	v_add_f32_e32 v3, v3, v11
	s_wait_alu 0xfffe
	s_and_not1_b32 exec_lo, exec_lo, s1
	s_cbranch_execnz .LBB103_29
; %bb.30:
	s_or_b32 exec_lo, exec_lo, s1
	v_mov_b32_e32 v4, 0
	ds_load_b64 v[4:5], v4 offset:32
	s_wait_dscnt 0x0
	v_mul_f32_e32 v10, v3, v5
	v_mul_f32_e32 v6, v9, v5
	s_delay_alu instid0(VALU_DEP_2) | instskip(NEXT) | instid1(VALU_DEP_2)
	v_fma_f32 v5, v9, v4, -v10
	v_fmac_f32_e32 v6, v3, v4
	scratch_store_b64 off, v[5:6], off offset:32
.LBB103_31:
	s_wait_alu 0xfffe
	s_or_b32 exec_lo, exec_lo, s0
	s_wait_loadcnt 0x0
	s_wait_storecnt 0x0
	s_barrier_signal -1
	s_barrier_wait -1
	global_inv scope:SCOPE_SE
	scratch_load_b64 v[3:4], off, off offset:40
	;; [unrolled: 55-line block ×19, first 2 shown]
	s_mov_b32 s0, exec_lo
	s_wait_loadcnt 0x0
	ds_store_b64 v1, v[3:4]
	s_wait_dscnt 0x0
	s_barrier_signal -1
	s_barrier_wait -1
	global_inv scope:SCOPE_SE
	v_cmpx_gt_u32_e32 22, v0
	s_cbranch_execz .LBB103_103
; %bb.100:
	v_dual_mov_b32 v3, 0 :: v_dual_add_nc_u32 v4, -1, v0
	v_dual_mov_b32 v6, v7 :: v_dual_add_nc_u32 v5, 0x140, v7
	v_mov_b32_e32 v9, 0
	s_mov_b32 s1, 0
.LBB103_101:                            ; =>This Inner Loop Header: Depth=1
	scratch_load_b64 v[10:11], v6, off
	ds_load_b64 v[12:13], v5
	v_add_nc_u32_e32 v4, 1, v4
	v_add_nc_u32_e32 v5, 8, v5
	s_delay_alu instid0(VALU_DEP_2)
	v_cmp_lt_u32_e32 vcc_lo, 20, v4
	s_wait_alu 0xfffe
	s_or_b32 s1, vcc_lo, s1
	s_wait_loadcnt_dscnt 0x0
	v_mul_f32_e32 v14, v13, v11
	v_mul_f32_e32 v11, v12, v11
	s_delay_alu instid0(VALU_DEP_2) | instskip(NEXT) | instid1(VALU_DEP_2)
	v_fma_f32 v12, v12, v10, -v14
	v_fmac_f32_e32 v11, v13, v10
	s_delay_alu instid0(VALU_DEP_2) | instskip(NEXT) | instid1(VALU_DEP_2)
	v_dual_add_f32 v9, v9, v12 :: v_dual_add_nc_u32 v6, 8, v6
	v_add_f32_e32 v3, v3, v11
	s_wait_alu 0xfffe
	s_and_not1_b32 exec_lo, exec_lo, s1
	s_cbranch_execnz .LBB103_101
; %bb.102:
	s_or_b32 exec_lo, exec_lo, s1
	v_mov_b32_e32 v4, 0
	ds_load_b64 v[4:5], v4 offset:176
	s_wait_dscnt 0x0
	v_mul_f32_e32 v10, v3, v5
	v_mul_f32_e32 v6, v9, v5
	s_delay_alu instid0(VALU_DEP_2) | instskip(NEXT) | instid1(VALU_DEP_2)
	v_fma_f32 v5, v9, v4, -v10
	v_fmac_f32_e32 v6, v3, v4
	scratch_store_b64 off, v[5:6], off offset:176
.LBB103_103:
	s_wait_alu 0xfffe
	s_or_b32 exec_lo, exec_lo, s0
	s_wait_loadcnt 0x0
	s_wait_storecnt 0x0
	s_barrier_signal -1
	s_barrier_wait -1
	global_inv scope:SCOPE_SE
	scratch_load_b64 v[3:4], off, off offset:184
	s_mov_b32 s0, exec_lo
	s_wait_loadcnt 0x0
	ds_store_b64 v1, v[3:4]
	s_wait_dscnt 0x0
	s_barrier_signal -1
	s_barrier_wait -1
	global_inv scope:SCOPE_SE
	v_cmpx_gt_u32_e32 23, v0
	s_cbranch_execz .LBB103_107
; %bb.104:
	v_dual_mov_b32 v3, 0 :: v_dual_add_nc_u32 v4, -1, v0
	v_dual_mov_b32 v6, v7 :: v_dual_add_nc_u32 v5, 0x140, v7
	v_mov_b32_e32 v9, 0
	s_mov_b32 s1, 0
.LBB103_105:                            ; =>This Inner Loop Header: Depth=1
	scratch_load_b64 v[10:11], v6, off
	ds_load_b64 v[12:13], v5
	v_add_nc_u32_e32 v4, 1, v4
	v_add_nc_u32_e32 v5, 8, v5
	s_delay_alu instid0(VALU_DEP_2)
	v_cmp_lt_u32_e32 vcc_lo, 21, v4
	s_wait_alu 0xfffe
	s_or_b32 s1, vcc_lo, s1
	s_wait_loadcnt_dscnt 0x0
	v_mul_f32_e32 v14, v13, v11
	v_mul_f32_e32 v11, v12, v11
	s_delay_alu instid0(VALU_DEP_2) | instskip(NEXT) | instid1(VALU_DEP_2)
	v_fma_f32 v12, v12, v10, -v14
	v_fmac_f32_e32 v11, v13, v10
	s_delay_alu instid0(VALU_DEP_2) | instskip(NEXT) | instid1(VALU_DEP_2)
	v_dual_add_f32 v9, v9, v12 :: v_dual_add_nc_u32 v6, 8, v6
	v_add_f32_e32 v3, v3, v11
	s_wait_alu 0xfffe
	s_and_not1_b32 exec_lo, exec_lo, s1
	s_cbranch_execnz .LBB103_105
; %bb.106:
	s_or_b32 exec_lo, exec_lo, s1
	v_mov_b32_e32 v4, 0
	ds_load_b64 v[4:5], v4 offset:184
	s_wait_dscnt 0x0
	v_mul_f32_e32 v10, v3, v5
	v_mul_f32_e32 v6, v9, v5
	s_delay_alu instid0(VALU_DEP_2) | instskip(NEXT) | instid1(VALU_DEP_2)
	v_fma_f32 v5, v9, v4, -v10
	v_fmac_f32_e32 v6, v3, v4
	scratch_store_b64 off, v[5:6], off offset:184
.LBB103_107:
	s_wait_alu 0xfffe
	s_or_b32 exec_lo, exec_lo, s0
	s_wait_loadcnt 0x0
	s_wait_storecnt 0x0
	s_barrier_signal -1
	s_barrier_wait -1
	global_inv scope:SCOPE_SE
	scratch_load_b64 v[3:4], off, off offset:192
	;; [unrolled: 55-line block ×16, first 2 shown]
	s_mov_b32 s0, exec_lo
	s_wait_loadcnt 0x0
	ds_store_b64 v1, v[3:4]
	s_wait_dscnt 0x0
	s_barrier_signal -1
	s_barrier_wait -1
	global_inv scope:SCOPE_SE
	v_cmpx_gt_u32_e32 38, v0
	s_cbranch_execz .LBB103_167
; %bb.164:
	v_dual_mov_b32 v3, 0 :: v_dual_add_nc_u32 v4, -1, v0
	v_dual_mov_b32 v6, v7 :: v_dual_add_nc_u32 v5, 0x140, v7
	v_mov_b32_e32 v7, 0
	s_mov_b32 s1, 0
.LBB103_165:                            ; =>This Inner Loop Header: Depth=1
	scratch_load_b64 v[9:10], v6, off
	ds_load_b64 v[11:12], v5
	v_add_nc_u32_e32 v6, 8, v6
	v_add_nc_u32_e32 v4, 1, v4
	;; [unrolled: 1-line block ×3, first 2 shown]
	s_delay_alu instid0(VALU_DEP_2)
	v_cmp_lt_u32_e32 vcc_lo, 36, v4
	s_wait_alu 0xfffe
	s_or_b32 s1, vcc_lo, s1
	s_wait_loadcnt_dscnt 0x0
	v_mul_f32_e32 v13, v12, v10
	v_mul_f32_e32 v10, v11, v10
	s_delay_alu instid0(VALU_DEP_2) | instskip(NEXT) | instid1(VALU_DEP_1)
	v_fma_f32 v11, v11, v9, -v13
	v_dual_fmac_f32 v10, v12, v9 :: v_dual_add_f32 v7, v7, v11
	s_delay_alu instid0(VALU_DEP_1)
	v_add_f32_e32 v3, v3, v10
	s_wait_alu 0xfffe
	s_and_not1_b32 exec_lo, exec_lo, s1
	s_cbranch_execnz .LBB103_165
; %bb.166:
	s_or_b32 exec_lo, exec_lo, s1
	v_mov_b32_e32 v4, 0
	ds_load_b64 v[4:5], v4 offset:304
	s_wait_dscnt 0x0
	v_mul_f32_e32 v9, v3, v5
	v_mul_f32_e32 v6, v7, v5
	s_delay_alu instid0(VALU_DEP_2) | instskip(NEXT) | instid1(VALU_DEP_2)
	v_fma_f32 v5, v7, v4, -v9
	v_fmac_f32_e32 v6, v3, v4
	scratch_store_b64 off, v[5:6], off offset:304
.LBB103_167:
	s_wait_alu 0xfffe
	s_or_b32 exec_lo, exec_lo, s0
	s_wait_loadcnt 0x0
	s_wait_storecnt 0x0
	s_barrier_signal -1
	s_barrier_wait -1
	global_inv scope:SCOPE_SE
	scratch_load_b64 v[3:4], off, off offset:312
	s_mov_b32 s0, exec_lo
	s_wait_loadcnt 0x0
	ds_store_b64 v1, v[3:4]
	s_wait_dscnt 0x0
	s_barrier_signal -1
	s_barrier_wait -1
	global_inv scope:SCOPE_SE
	v_cmpx_ne_u32_e32 39, v0
	s_cbranch_execz .LBB103_171
; %bb.168:
	v_dual_mov_b32 v3, 0 :: v_dual_mov_b32 v4, 0
	s_mov_b32 s1, 0
.LBB103_169:                            ; =>This Inner Loop Header: Depth=1
	scratch_load_b64 v[5:6], v8, off
	ds_load_b64 v[9:10], v1
	v_add_nc_u32_e32 v2, 1, v2
	v_add_nc_u32_e32 v1, 8, v1
	;; [unrolled: 1-line block ×3, first 2 shown]
	s_delay_alu instid0(VALU_DEP_3)
	v_cmp_lt_u32_e32 vcc_lo, 37, v2
	s_wait_alu 0xfffe
	s_or_b32 s1, vcc_lo, s1
	s_wait_loadcnt_dscnt 0x0
	v_mul_f32_e32 v7, v10, v6
	v_mul_f32_e32 v6, v9, v6
	s_delay_alu instid0(VALU_DEP_2) | instskip(NEXT) | instid1(VALU_DEP_2)
	v_fma_f32 v7, v9, v5, -v7
	v_fmac_f32_e32 v6, v10, v5
	s_delay_alu instid0(VALU_DEP_1)
	v_dual_add_f32 v4, v4, v7 :: v_dual_add_f32 v3, v3, v6
	s_wait_alu 0xfffe
	s_and_not1_b32 exec_lo, exec_lo, s1
	s_cbranch_execnz .LBB103_169
; %bb.170:
	s_or_b32 exec_lo, exec_lo, s1
	v_mov_b32_e32 v1, 0
	ds_load_b64 v[1:2], v1 offset:312
	s_wait_dscnt 0x0
	v_mul_f32_e32 v6, v3, v2
	v_mul_f32_e32 v5, v4, v2
	s_delay_alu instid0(VALU_DEP_2) | instskip(NEXT) | instid1(VALU_DEP_2)
	v_fma_f32 v4, v4, v1, -v6
	v_fmac_f32_e32 v5, v3, v1
	scratch_store_b64 off, v[4:5], off offset:312
.LBB103_171:
	s_wait_alu 0xfffe
	s_or_b32 exec_lo, exec_lo, s0
	s_mov_b32 s1, -1
	s_wait_loadcnt 0x0
	s_wait_storecnt 0x0
	s_barrier_signal -1
	s_barrier_wait -1
	global_inv scope:SCOPE_SE
.LBB103_172:
	s_wait_alu 0xfffe
	s_and_b32 vcc_lo, exec_lo, s1
	s_wait_alu 0xfffe
	s_cbranch_vccz .LBB103_174
; %bb.173:
	v_mov_b32_e32 v1, 0
	s_lshl_b64 s[0:1], s[8:9], 2
	s_wait_alu 0xfffe
	s_add_nc_u64 s[0:1], s[6:7], s[0:1]
	global_load_b32 v1, v1, s[0:1]
	s_wait_loadcnt 0x0
	v_cmp_ne_u32_e32 vcc_lo, 0, v1
	s_cbranch_vccz .LBB103_175
.LBB103_174:
	s_nop 0
	s_sendmsg sendmsg(MSG_DEALLOC_VGPRS)
	s_endpgm
.LBB103_175:
	v_lshl_add_u32 v23, v0, 3, 0x140
	s_mov_b32 s0, exec_lo
	v_cmpx_eq_u32_e32 39, v0
	s_cbranch_execz .LBB103_177
; %bb.176:
	scratch_load_b64 v[1:2], off, off offset:304
	v_mov_b32_e32 v3, 0
	s_delay_alu instid0(VALU_DEP_1)
	v_mov_b32_e32 v4, v3
	scratch_store_b64 off, v[3:4], off offset:304
	s_wait_loadcnt 0x0
	ds_store_b64 v23, v[1:2]
.LBB103_177:
	s_wait_alu 0xfffe
	s_or_b32 exec_lo, exec_lo, s0
	s_wait_storecnt_dscnt 0x0
	s_barrier_signal -1
	s_barrier_wait -1
	global_inv scope:SCOPE_SE
	s_clause 0x1
	scratch_load_b64 v[2:3], off, off offset:312
	scratch_load_b64 v[4:5], off, off offset:304
	v_mov_b32_e32 v1, 0
	s_mov_b32 s0, exec_lo
	ds_load_b64 v[6:7], v1 offset:632
	s_wait_loadcnt_dscnt 0x100
	v_mul_f32_e32 v8, v7, v3
	v_mul_f32_e32 v3, v6, v3
	s_delay_alu instid0(VALU_DEP_2) | instskip(NEXT) | instid1(VALU_DEP_2)
	v_fma_f32 v6, v6, v2, -v8
	v_fmac_f32_e32 v3, v7, v2
	s_delay_alu instid0(VALU_DEP_1) | instskip(SKIP_1) | instid1(VALU_DEP_1)
	v_dual_add_f32 v2, 0, v6 :: v_dual_add_f32 v3, 0, v3
	s_wait_loadcnt 0x0
	v_dual_sub_f32 v2, v4, v2 :: v_dual_sub_f32 v3, v5, v3
	scratch_store_b64 off, v[2:3], off offset:304
	v_cmpx_lt_u32_e32 37, v0
	s_cbranch_execz .LBB103_179
; %bb.178:
	scratch_load_b64 v[3:4], off, off offset:296
	v_mov_b32_e32 v2, v1
	scratch_store_b64 off, v[1:2], off offset:296
	s_wait_loadcnt 0x0
	ds_store_b64 v23, v[3:4]
.LBB103_179:
	s_wait_alu 0xfffe
	s_or_b32 exec_lo, exec_lo, s0
	s_wait_storecnt_dscnt 0x0
	s_barrier_signal -1
	s_barrier_wait -1
	global_inv scope:SCOPE_SE
	s_clause 0x1
	scratch_load_b128 v[2:5], off, off offset:304
	scratch_load_b64 v[10:11], off, off offset:296
	ds_load_b128 v[6:9], v1 offset:624
	s_mov_b32 s0, exec_lo
	s_wait_loadcnt_dscnt 0x100
	v_dual_mul_f32 v1, v7, v3 :: v_dual_mul_f32 v12, v8, v5
	v_mul_f32_e32 v3, v6, v3
	s_delay_alu instid0(VALU_DEP_2) | instskip(NEXT) | instid1(VALU_DEP_2)
	v_fma_f32 v1, v6, v2, -v1
	v_dual_fmac_f32 v12, v9, v4 :: v_dual_fmac_f32 v3, v7, v2
	s_delay_alu instid0(VALU_DEP_2) | instskip(NEXT) | instid1(VALU_DEP_2)
	v_add_f32_e32 v1, 0, v1
	v_add_f32_e32 v3, 0, v3
	v_mul_f32_e32 v5, v9, v5
	s_delay_alu instid0(VALU_DEP_1) | instskip(NEXT) | instid1(VALU_DEP_1)
	v_fma_f32 v2, v8, v4, -v5
	v_dual_add_f32 v1, v1, v2 :: v_dual_add_f32 v2, v3, v12
	s_wait_loadcnt 0x0
	s_delay_alu instid0(VALU_DEP_1)
	v_dual_sub_f32 v1, v10, v1 :: v_dual_sub_f32 v2, v11, v2
	scratch_store_b64 off, v[1:2], off offset:296
	v_cmpx_lt_u32_e32 36, v0
	s_cbranch_execz .LBB103_181
; %bb.180:
	scratch_load_b64 v[1:2], off, off offset:288
	v_mov_b32_e32 v3, 0
	s_delay_alu instid0(VALU_DEP_1)
	v_mov_b32_e32 v4, v3
	scratch_store_b64 off, v[3:4], off offset:288
	s_wait_loadcnt 0x0
	ds_store_b64 v23, v[1:2]
.LBB103_181:
	s_wait_alu 0xfffe
	s_or_b32 exec_lo, exec_lo, s0
	s_wait_storecnt_dscnt 0x0
	s_barrier_signal -1
	s_barrier_wait -1
	global_inv scope:SCOPE_SE
	s_clause 0x2
	scratch_load_b128 v[2:5], off, off offset:296
	scratch_load_b64 v[10:11], off, off offset:312
	scratch_load_b64 v[12:13], off, off offset:288
	v_mov_b32_e32 v1, 0
	ds_load_2addr_b64 v[6:9], v1 offset0:77 offset1:78
	ds_load_b64 v[14:15], v1 offset:632
	s_mov_b32 s0, exec_lo
	s_wait_loadcnt_dscnt 0x201
	v_dual_mul_f32 v16, v7, v3 :: v_dual_mul_f32 v17, v8, v5
	s_wait_loadcnt_dscnt 0x100
	v_mul_f32_e32 v18, v14, v11
	v_mul_f32_e32 v3, v6, v3
	;; [unrolled: 1-line block ×3, first 2 shown]
	v_fma_f32 v6, v6, v2, -v16
	s_delay_alu instid0(VALU_DEP_4) | instskip(NEXT) | instid1(VALU_DEP_4)
	v_fmac_f32_e32 v18, v15, v10
	v_fmac_f32_e32 v3, v7, v2
	v_mul_f32_e32 v2, v15, v11
	s_delay_alu instid0(VALU_DEP_1) | instskip(SKIP_3) | instid1(VALU_DEP_1)
	v_fma_f32 v2, v14, v10, -v2
	v_fmac_f32_e32 v17, v9, v4
	v_fma_f32 v4, v8, v4, -v5
	v_add_f32_e32 v5, 0, v6
	v_add_f32_e32 v4, v5, v4
	s_delay_alu instid0(VALU_DEP_1) | instskip(SKIP_1) | instid1(VALU_DEP_1)
	v_dual_add_f32 v2, v4, v2 :: v_dual_add_f32 v3, 0, v3
	s_wait_loadcnt 0x0
	v_dual_sub_f32 v2, v12, v2 :: v_dual_add_f32 v3, v3, v17
	s_delay_alu instid0(VALU_DEP_1) | instskip(NEXT) | instid1(VALU_DEP_1)
	v_add_f32_e32 v3, v3, v18
	v_sub_f32_e32 v3, v13, v3
	scratch_store_b64 off, v[2:3], off offset:288
	v_cmpx_lt_u32_e32 35, v0
	s_cbranch_execz .LBB103_183
; %bb.182:
	scratch_load_b64 v[3:4], off, off offset:280
	v_mov_b32_e32 v2, v1
	scratch_store_b64 off, v[1:2], off offset:280
	s_wait_loadcnt 0x0
	ds_store_b64 v23, v[3:4]
.LBB103_183:
	s_wait_alu 0xfffe
	s_or_b32 exec_lo, exec_lo, s0
	s_wait_storecnt_dscnt 0x0
	s_barrier_signal -1
	s_barrier_wait -1
	global_inv scope:SCOPE_SE
	s_clause 0x2
	scratch_load_b128 v[2:5], off, off offset:288
	scratch_load_b128 v[6:9], off, off offset:304
	scratch_load_b64 v[18:19], off, off offset:280
	ds_load_b128 v[10:13], v1 offset:608
	ds_load_b128 v[14:17], v1 offset:624
	s_mov_b32 s0, exec_lo
	s_wait_loadcnt_dscnt 0x201
	v_dual_mul_f32 v1, v10, v3 :: v_dual_mul_f32 v20, v12, v5
	s_wait_loadcnt_dscnt 0x100
	v_dual_mul_f32 v3, v11, v3 :: v_dual_mul_f32 v22, v16, v9
	v_mul_f32_e32 v5, v13, v5
	s_delay_alu instid0(VALU_DEP_3) | instskip(NEXT) | instid1(VALU_DEP_3)
	v_dual_mul_f32 v21, v14, v7 :: v_dual_fmac_f32 v20, v13, v4
	v_fma_f32 v3, v10, v2, -v3
	s_delay_alu instid0(VALU_DEP_4) | instskip(SKIP_2) | instid1(VALU_DEP_4)
	v_dual_fmac_f32 v1, v11, v2 :: v_dual_fmac_f32 v22, v17, v8
	v_mul_f32_e32 v2, v15, v7
	v_fma_f32 v4, v12, v4, -v5
	v_add_f32_e32 v3, 0, v3
	v_fmac_f32_e32 v21, v15, v6
	s_delay_alu instid0(VALU_DEP_4) | instskip(NEXT) | instid1(VALU_DEP_3)
	v_fma_f32 v2, v14, v6, -v2
	v_add_f32_e32 v3, v3, v4
	s_delay_alu instid0(VALU_DEP_1) | instskip(NEXT) | instid1(VALU_DEP_1)
	v_dual_add_f32 v1, 0, v1 :: v_dual_add_f32 v2, v3, v2
	v_add_f32_e32 v1, v1, v20
	s_delay_alu instid0(VALU_DEP_1) | instskip(NEXT) | instid1(VALU_DEP_1)
	v_add_f32_e32 v1, v1, v21
	v_add_f32_e32 v3, v1, v22
	v_mul_f32_e32 v5, v17, v9
	s_delay_alu instid0(VALU_DEP_1) | instskip(NEXT) | instid1(VALU_DEP_1)
	v_fma_f32 v4, v16, v8, -v5
	v_add_f32_e32 v2, v2, v4
	s_wait_loadcnt 0x0
	s_delay_alu instid0(VALU_DEP_1)
	v_dual_sub_f32 v1, v18, v2 :: v_dual_sub_f32 v2, v19, v3
	scratch_store_b64 off, v[1:2], off offset:280
	v_cmpx_lt_u32_e32 34, v0
	s_cbranch_execz .LBB103_185
; %bb.184:
	scratch_load_b64 v[1:2], off, off offset:272
	v_mov_b32_e32 v3, 0
	s_delay_alu instid0(VALU_DEP_1)
	v_mov_b32_e32 v4, v3
	scratch_store_b64 off, v[3:4], off offset:272
	s_wait_loadcnt 0x0
	ds_store_b64 v23, v[1:2]
.LBB103_185:
	s_wait_alu 0xfffe
	s_or_b32 exec_lo, exec_lo, s0
	s_wait_storecnt_dscnt 0x0
	s_barrier_signal -1
	s_barrier_wait -1
	global_inv scope:SCOPE_SE
	s_clause 0x3
	scratch_load_b128 v[2:5], off, off offset:280
	scratch_load_b128 v[6:9], off, off offset:296
	scratch_load_b64 v[18:19], off, off offset:312
	scratch_load_b64 v[20:21], off, off offset:272
	v_mov_b32_e32 v1, 0
	ds_load_2addr_b64 v[10:13], v1 offset0:75 offset1:76
	ds_load_2addr_b64 v[14:17], v1 offset0:77 offset1:78
	ds_load_b64 v[24:25], v1 offset:632
	s_mov_b32 s0, exec_lo
	s_wait_loadcnt_dscnt 0x302
	v_mul_f32_e32 v22, v10, v3
	v_dual_mul_f32 v26, v12, v5 :: v_dual_mul_f32 v3, v11, v3
	s_wait_loadcnt_dscnt 0x100
	v_mul_f32_e32 v109, v24, v19
	s_delay_alu instid0(VALU_DEP_3)
	v_dual_mul_f32 v5, v13, v5 :: v_dual_fmac_f32 v22, v11, v2
	v_dual_mul_f32 v27, v14, v7 :: v_dual_mul_f32 v108, v16, v9
	v_fma_f32 v3, v10, v2, -v3
	v_mul_f32_e32 v2, v15, v7
	v_fmac_f32_e32 v26, v13, v4
	v_fma_f32 v4, v12, v4, -v5
	v_dual_add_f32 v5, 0, v22 :: v_dual_fmac_f32 v108, v17, v8
	v_add_f32_e32 v3, 0, v3
	v_fma_f32 v2, v14, v6, -v2
	v_fmac_f32_e32 v27, v15, v6
	v_fmac_f32_e32 v109, v25, v18
	s_delay_alu instid0(VALU_DEP_4) | instskip(NEXT) | instid1(VALU_DEP_1)
	v_dual_add_f32 v3, v3, v4 :: v_dual_add_f32 v4, v5, v26
	v_dual_mul_f32 v7, v17, v9 :: v_dual_add_f32 v2, v3, v2
	s_delay_alu instid0(VALU_DEP_2) | instskip(NEXT) | instid1(VALU_DEP_2)
	v_add_f32_e32 v3, v4, v27
	v_fma_f32 v6, v16, v8, -v7
	s_delay_alu instid0(VALU_DEP_1) | instskip(NEXT) | instid1(VALU_DEP_1)
	v_dual_mul_f32 v5, v25, v19 :: v_dual_add_f32 v2, v2, v6
	v_fma_f32 v4, v24, v18, -v5
	s_delay_alu instid0(VALU_DEP_1) | instskip(SKIP_1) | instid1(VALU_DEP_1)
	v_add_f32_e32 v2, v2, v4
	s_wait_loadcnt 0x0
	v_dual_add_f32 v3, v3, v108 :: v_dual_sub_f32 v2, v20, v2
	s_delay_alu instid0(VALU_DEP_1) | instskip(NEXT) | instid1(VALU_DEP_1)
	v_add_f32_e32 v3, v3, v109
	v_sub_f32_e32 v3, v21, v3
	scratch_store_b64 off, v[2:3], off offset:272
	v_cmpx_lt_u32_e32 33, v0
	s_cbranch_execz .LBB103_187
; %bb.186:
	scratch_load_b64 v[3:4], off, off offset:264
	v_mov_b32_e32 v2, v1
	scratch_store_b64 off, v[1:2], off offset:264
	s_wait_loadcnt 0x0
	ds_store_b64 v23, v[3:4]
.LBB103_187:
	s_wait_alu 0xfffe
	s_or_b32 exec_lo, exec_lo, s0
	s_wait_storecnt_dscnt 0x0
	s_barrier_signal -1
	s_barrier_wait -1
	global_inv scope:SCOPE_SE
	s_clause 0x3
	scratch_load_b128 v[2:5], off, off offset:272
	scratch_load_b128 v[6:9], off, off offset:288
	;; [unrolled: 1-line block ×3, first 2 shown]
	scratch_load_b64 v[108:109], off, off offset:264
	ds_load_b128 v[14:17], v1 offset:592
	ds_load_b128 v[18:21], v1 offset:608
	;; [unrolled: 1-line block ×3, first 2 shown]
	s_mov_b32 s0, exec_lo
	s_wait_loadcnt_dscnt 0x302
	v_dual_mul_f32 v1, v14, v3 :: v_dual_mul_f32 v22, v16, v5
	v_mul_f32_e32 v3, v15, v3
	s_wait_loadcnt_dscnt 0x201
	v_dual_mul_f32 v5, v17, v5 :: v_dual_mul_f32 v110, v18, v7
	s_delay_alu instid0(VALU_DEP_3) | instskip(NEXT) | instid1(VALU_DEP_3)
	v_dual_mul_f32 v111, v20, v9 :: v_dual_fmac_f32 v22, v17, v4
	v_fma_f32 v3, v14, v2, -v3
	v_fmac_f32_e32 v1, v15, v2
	v_mul_f32_e32 v2, v19, v7
	v_fma_f32 v4, v16, v4, -v5
	s_wait_loadcnt_dscnt 0x100
	v_dual_mul_f32 v112, v24, v11 :: v_dual_mul_f32 v113, v26, v13
	v_dual_add_f32 v3, 0, v3 :: v_dual_fmac_f32 v110, v19, v6
	v_fma_f32 v2, v18, v6, -v2
	s_delay_alu instid0(VALU_DEP_3) | instskip(NEXT) | instid1(VALU_DEP_3)
	v_dual_fmac_f32 v112, v25, v10 :: v_dual_fmac_f32 v113, v27, v12
	v_dual_add_f32 v3, v3, v4 :: v_dual_mul_f32 v4, v25, v11
	s_delay_alu instid0(VALU_DEP_1) | instskip(NEXT) | instid1(VALU_DEP_2)
	v_dual_add_f32 v1, 0, v1 :: v_dual_add_f32 v2, v3, v2
	v_fma_f32 v4, v24, v10, -v4
	v_mul_f32_e32 v5, v21, v9
	v_mul_f32_e32 v3, v27, v13
	s_delay_alu instid0(VALU_DEP_2) | instskip(SKIP_1) | instid1(VALU_DEP_3)
	v_fma_f32 v5, v20, v8, -v5
	v_add_f32_e32 v1, v1, v22
	v_fma_f32 v3, v26, v12, -v3
	s_delay_alu instid0(VALU_DEP_2) | instskip(NEXT) | instid1(VALU_DEP_1)
	v_dual_add_f32 v2, v2, v5 :: v_dual_add_f32 v1, v1, v110
	v_add_f32_e32 v2, v2, v4
	s_delay_alu instid0(VALU_DEP_1) | instskip(NEXT) | instid1(VALU_DEP_1)
	v_dual_fmac_f32 v111, v21, v8 :: v_dual_add_f32 v2, v2, v3
	v_add_f32_e32 v1, v1, v111
	s_delay_alu instid0(VALU_DEP_1) | instskip(NEXT) | instid1(VALU_DEP_1)
	v_add_f32_e32 v1, v1, v112
	v_add_f32_e32 v3, v1, v113
	s_wait_loadcnt 0x0
	s_delay_alu instid0(VALU_DEP_1)
	v_dual_sub_f32 v1, v108, v2 :: v_dual_sub_f32 v2, v109, v3
	scratch_store_b64 off, v[1:2], off offset:264
	v_cmpx_lt_u32_e32 32, v0
	s_cbranch_execz .LBB103_189
; %bb.188:
	scratch_load_b64 v[1:2], off, off offset:256
	v_mov_b32_e32 v3, 0
	s_delay_alu instid0(VALU_DEP_1)
	v_mov_b32_e32 v4, v3
	scratch_store_b64 off, v[3:4], off offset:256
	s_wait_loadcnt 0x0
	ds_store_b64 v23, v[1:2]
.LBB103_189:
	s_wait_alu 0xfffe
	s_or_b32 exec_lo, exec_lo, s0
	s_wait_storecnt_dscnt 0x0
	s_barrier_signal -1
	s_barrier_wait -1
	global_inv scope:SCOPE_SE
	s_clause 0x4
	scratch_load_b128 v[2:5], off, off offset:264
	scratch_load_b128 v[6:9], off, off offset:280
	;; [unrolled: 1-line block ×3, first 2 shown]
	scratch_load_b64 v[108:109], off, off offset:312
	scratch_load_b64 v[110:111], off, off offset:256
	v_mov_b32_e32 v1, 0
	ds_load_2addr_b64 v[14:17], v1 offset0:73 offset1:74
	ds_load_2addr_b64 v[18:21], v1 offset0:75 offset1:76
	ds_load_2addr_b64 v[24:27], v1 offset0:77 offset1:78
	ds_load_b64 v[112:113], v1 offset:632
	s_mov_b32 s0, exec_lo
	s_wait_loadcnt_dscnt 0x403
	v_mul_f32_e32 v22, v14, v3
	s_wait_loadcnt_dscnt 0x302
	v_dual_mul_f32 v116, v20, v9 :: v_dual_mul_f32 v3, v15, v3
	v_dual_mul_f32 v114, v16, v5 :: v_dual_mul_f32 v115, v18, v7
	s_wait_loadcnt_dscnt 0x100
	v_dual_mul_f32 v119, v112, v109 :: v_dual_fmac_f32 v22, v15, v2
	v_mul_f32_e32 v5, v17, v5
	v_fma_f32 v3, v14, v2, -v3
	v_mul_f32_e32 v2, v19, v7
	v_fmac_f32_e32 v114, v17, v4
	v_fmac_f32_e32 v116, v21, v8
	v_fma_f32 v4, v16, v4, -v5
	v_add_f32_e32 v3, 0, v3
	v_add_f32_e32 v5, 0, v22
	v_fma_f32 v2, v18, v6, -v2
	v_fmac_f32_e32 v115, v19, v6
	v_dual_mul_f32 v117, v24, v11 :: v_dual_mul_f32 v118, v26, v13
	s_delay_alu instid0(VALU_DEP_4) | instskip(SKIP_1) | instid1(VALU_DEP_3)
	v_dual_add_f32 v3, v3, v4 :: v_dual_add_f32 v4, v5, v114
	v_mul_f32_e32 v7, v21, v9
	v_dual_mul_f32 v5, v25, v11 :: v_dual_fmac_f32 v118, v27, v12
	s_delay_alu instid0(VALU_DEP_3) | instskip(NEXT) | instid1(VALU_DEP_3)
	v_add_f32_e32 v2, v3, v2
	v_fma_f32 v6, v20, v8, -v7
	s_delay_alu instid0(VALU_DEP_1) | instskip(SKIP_3) | instid1(VALU_DEP_3)
	v_add_f32_e32 v2, v2, v6
	v_dual_mul_f32 v6, v113, v109 :: v_dual_add_f32 v3, v4, v115
	v_mul_f32_e32 v4, v27, v13
	v_fma_f32 v5, v24, v10, -v5
	v_add_f32_e32 v3, v3, v116
	s_delay_alu instid0(VALU_DEP_2) | instskip(NEXT) | instid1(VALU_DEP_4)
	v_dual_fmac_f32 v117, v25, v10 :: v_dual_add_f32 v2, v2, v5
	v_fma_f32 v4, v26, v12, -v4
	v_fma_f32 v5, v112, v108, -v6
	s_delay_alu instid0(VALU_DEP_2) | instskip(SKIP_1) | instid1(VALU_DEP_2)
	v_dual_add_f32 v3, v3, v117 :: v_dual_add_f32 v2, v2, v4
	v_fmac_f32_e32 v119, v113, v108
	v_dual_add_f32 v3, v3, v118 :: v_dual_add_f32 v2, v2, v5
	s_wait_loadcnt 0x0
	s_delay_alu instid0(VALU_DEP_1) | instskip(NEXT) | instid1(VALU_DEP_1)
	v_dual_add_f32 v3, v3, v119 :: v_dual_sub_f32 v2, v110, v2
	v_sub_f32_e32 v3, v111, v3
	scratch_store_b64 off, v[2:3], off offset:256
	v_cmpx_lt_u32_e32 31, v0
	s_cbranch_execz .LBB103_191
; %bb.190:
	scratch_load_b64 v[3:4], off, off offset:248
	v_mov_b32_e32 v2, v1
	scratch_store_b64 off, v[1:2], off offset:248
	s_wait_loadcnt 0x0
	ds_store_b64 v23, v[3:4]
.LBB103_191:
	s_wait_alu 0xfffe
	s_or_b32 exec_lo, exec_lo, s0
	s_wait_storecnt_dscnt 0x0
	s_barrier_signal -1
	s_barrier_wait -1
	global_inv scope:SCOPE_SE
	s_clause 0x4
	scratch_load_b128 v[2:5], off, off offset:256
	scratch_load_b128 v[6:9], off, off offset:272
	;; [unrolled: 1-line block ×4, first 2 shown]
	scratch_load_b64 v[116:117], off, off offset:248
	ds_load_b128 v[18:21], v1 offset:576
	ds_load_b128 v[24:27], v1 offset:592
	;; [unrolled: 1-line block ×4, first 2 shown]
	s_mov_b32 s0, exec_lo
	s_wait_loadcnt_dscnt 0x403
	v_dual_mul_f32 v1, v18, v3 :: v_dual_mul_f32 v22, v20, v5
	v_mul_f32_e32 v3, v19, v3
	s_wait_loadcnt_dscnt 0x302
	v_dual_mul_f32 v118, v24, v7 :: v_dual_mul_f32 v119, v26, v9
	s_delay_alu instid0(VALU_DEP_3) | instskip(NEXT) | instid1(VALU_DEP_3)
	v_dual_fmac_f32 v1, v19, v2 :: v_dual_fmac_f32 v22, v21, v4
	v_fma_f32 v3, v18, v2, -v3
	v_mul_f32_e32 v2, v25, v7
	s_wait_loadcnt_dscnt 0x201
	v_dual_mul_f32 v120, v108, v11 :: v_dual_mul_f32 v121, v110, v13
	s_delay_alu instid0(VALU_DEP_3) | instskip(NEXT) | instid1(VALU_DEP_3)
	v_dual_fmac_f32 v118, v25, v6 :: v_dual_add_f32 v3, 0, v3
	v_fma_f32 v2, v24, v6, -v2
	v_mul_f32_e32 v5, v21, v5
	s_delay_alu instid0(VALU_DEP_4) | instskip(SKIP_2) | instid1(VALU_DEP_3)
	v_dual_fmac_f32 v120, v109, v10 :: v_dual_add_f32 v1, 0, v1
	s_wait_loadcnt_dscnt 0x100
	v_dual_mul_f32 v122, v112, v15 :: v_dual_mul_f32 v123, v114, v17
	v_fma_f32 v4, v20, v4, -v5
	v_mul_f32_e32 v5, v27, v9
	s_delay_alu instid0(VALU_DEP_3) | instskip(NEXT) | instid1(VALU_DEP_4)
	v_dual_fmac_f32 v119, v27, v8 :: v_dual_fmac_f32 v122, v113, v14
	v_fmac_f32_e32 v123, v115, v16
	s_delay_alu instid0(VALU_DEP_3) | instskip(SKIP_1) | instid1(VALU_DEP_1)
	v_fma_f32 v5, v26, v8, -v5
	v_dual_add_f32 v3, v3, v4 :: v_dual_mul_f32 v4, v109, v11
	v_add_f32_e32 v2, v3, v2
	v_mul_f32_e32 v3, v111, v13
	s_delay_alu instid0(VALU_DEP_3) | instskip(NEXT) | instid1(VALU_DEP_3)
	v_fma_f32 v4, v108, v10, -v4
	v_dual_add_f32 v2, v2, v5 :: v_dual_add_f32 v1, v1, v22
	v_mul_f32_e32 v5, v113, v15
	s_delay_alu instid0(VALU_DEP_4) | instskip(NEXT) | instid1(VALU_DEP_3)
	v_fma_f32 v3, v110, v12, -v3
	v_dual_add_f32 v2, v2, v4 :: v_dual_add_f32 v1, v1, v118
	v_mul_f32_e32 v4, v115, v17
	v_fmac_f32_e32 v121, v111, v12
	v_fma_f32 v5, v112, v14, -v5
	s_delay_alu instid0(VALU_DEP_4) | instskip(SKIP_2) | instid1(VALU_DEP_2)
	v_add_f32_e32 v2, v2, v3
	v_add_f32_e32 v1, v1, v119
	v_fma_f32 v3, v114, v16, -v4
	v_dual_add_f32 v2, v2, v5 :: v_dual_add_f32 v1, v1, v120
	s_delay_alu instid0(VALU_DEP_1) | instskip(NEXT) | instid1(VALU_DEP_1)
	v_dual_add_f32 v2, v2, v3 :: v_dual_add_f32 v1, v1, v121
	v_add_f32_e32 v1, v1, v122
	s_delay_alu instid0(VALU_DEP_1) | instskip(SKIP_1) | instid1(VALU_DEP_1)
	v_add_f32_e32 v3, v1, v123
	s_wait_loadcnt 0x0
	v_dual_sub_f32 v1, v116, v2 :: v_dual_sub_f32 v2, v117, v3
	scratch_store_b64 off, v[1:2], off offset:248
	v_cmpx_lt_u32_e32 30, v0
	s_cbranch_execz .LBB103_193
; %bb.192:
	scratch_load_b64 v[1:2], off, off offset:240
	v_mov_b32_e32 v3, 0
	s_delay_alu instid0(VALU_DEP_1)
	v_mov_b32_e32 v4, v3
	scratch_store_b64 off, v[3:4], off offset:240
	s_wait_loadcnt 0x0
	ds_store_b64 v23, v[1:2]
.LBB103_193:
	s_wait_alu 0xfffe
	s_or_b32 exec_lo, exec_lo, s0
	s_wait_storecnt_dscnt 0x0
	s_barrier_signal -1
	s_barrier_wait -1
	global_inv scope:SCOPE_SE
	s_clause 0x5
	scratch_load_b128 v[2:5], off, off offset:248
	scratch_load_b128 v[6:9], off, off offset:264
	;; [unrolled: 1-line block ×4, first 2 shown]
	scratch_load_b64 v[116:117], off, off offset:312
	scratch_load_b64 v[118:119], off, off offset:240
	v_mov_b32_e32 v1, 0
	ds_load_2addr_b64 v[18:21], v1 offset0:71 offset1:72
	ds_load_2addr_b64 v[24:27], v1 offset0:73 offset1:74
	;; [unrolled: 1-line block ×4, first 2 shown]
	ds_load_b64 v[120:121], v1 offset:632
	s_mov_b32 s0, exec_lo
	s_wait_loadcnt_dscnt 0x504
	v_mul_f32_e32 v22, v18, v3
	v_dual_mul_f32 v122, v20, v5 :: v_dual_mul_f32 v3, v19, v3
	s_wait_loadcnt_dscnt 0x403
	v_dual_mul_f32 v123, v24, v7 :: v_dual_mul_f32 v124, v26, v9
	v_mul_f32_e32 v5, v21, v5
	s_wait_loadcnt_dscnt 0x100
	v_dual_mul_f32 v129, v120, v117 :: v_dual_fmac_f32 v22, v19, v2
	v_fma_f32 v3, v18, v2, -v3
	v_mul_f32_e32 v2, v25, v7
	v_fmac_f32_e32 v122, v21, v4
	v_fmac_f32_e32 v124, v27, v8
	v_fma_f32 v4, v20, v4, -v5
	v_add_f32_e32 v3, 0, v3
	v_add_f32_e32 v5, 0, v22
	v_mul_f32_e32 v7, v27, v9
	v_fma_f32 v2, v24, v6, -v2
	v_fmac_f32_e32 v123, v25, v6
	s_delay_alu instid0(VALU_DEP_4) | instskip(SKIP_3) | instid1(VALU_DEP_4)
	v_dual_add_f32 v3, v3, v4 :: v_dual_add_f32 v4, v5, v122
	v_mul_f32_e32 v5, v109, v11
	v_fma_f32 v6, v26, v8, -v7
	v_dual_mul_f32 v125, v108, v11 :: v_dual_mul_f32 v126, v110, v13
	v_dual_add_f32 v2, v3, v2 :: v_dual_add_f32 v3, v4, v123
	v_mul_f32_e32 v4, v111, v13
	v_fma_f32 v5, v108, v10, -v5
	s_delay_alu instid0(VALU_DEP_4) | instskip(NEXT) | instid1(VALU_DEP_4)
	v_fmac_f32_e32 v126, v111, v12
	v_add_f32_e32 v2, v2, v6
	v_fmac_f32_e32 v125, v109, v10
	v_dual_add_f32 v3, v3, v124 :: v_dual_mul_f32 v6, v113, v15
	v_fma_f32 v4, v110, v12, -v4
	s_delay_alu instid0(VALU_DEP_4) | instskip(SKIP_1) | instid1(VALU_DEP_4)
	v_dual_add_f32 v2, v2, v5 :: v_dual_mul_f32 v127, v112, v15
	v_mul_f32_e32 v128, v114, v17
	v_add_f32_e32 v3, v3, v125
	v_fma_f32 v6, v112, v14, -v6
	s_delay_alu instid0(VALU_DEP_4) | instskip(NEXT) | instid1(VALU_DEP_4)
	v_dual_add_f32 v2, v2, v4 :: v_dual_mul_f32 v5, v115, v17
	v_dual_fmac_f32 v127, v113, v14 :: v_dual_fmac_f32 v128, v115, v16
	s_delay_alu instid0(VALU_DEP_4) | instskip(NEXT) | instid1(VALU_DEP_3)
	v_dual_add_f32 v3, v3, v126 :: v_dual_mul_f32 v4, v121, v117
	v_add_f32_e32 v2, v2, v6
	s_delay_alu instid0(VALU_DEP_4) | instskip(NEXT) | instid1(VALU_DEP_3)
	v_fma_f32 v5, v114, v16, -v5
	v_add_f32_e32 v3, v3, v127
	s_delay_alu instid0(VALU_DEP_4) | instskip(NEXT) | instid1(VALU_DEP_2)
	v_fma_f32 v4, v120, v116, -v4
	v_dual_add_f32 v2, v2, v5 :: v_dual_add_f32 v3, v3, v128
	s_delay_alu instid0(VALU_DEP_1) | instskip(SKIP_1) | instid1(VALU_DEP_1)
	v_add_f32_e32 v2, v2, v4
	s_wait_loadcnt 0x0
	v_dual_fmac_f32 v129, v121, v116 :: v_dual_sub_f32 v2, v118, v2
	s_delay_alu instid0(VALU_DEP_1) | instskip(NEXT) | instid1(VALU_DEP_1)
	v_add_f32_e32 v3, v3, v129
	v_sub_f32_e32 v3, v119, v3
	scratch_store_b64 off, v[2:3], off offset:240
	v_cmpx_lt_u32_e32 29, v0
	s_cbranch_execz .LBB103_195
; %bb.194:
	scratch_load_b64 v[3:4], off, off offset:232
	v_mov_b32_e32 v2, v1
	scratch_store_b64 off, v[1:2], off offset:232
	s_wait_loadcnt 0x0
	ds_store_b64 v23, v[3:4]
.LBB103_195:
	s_wait_alu 0xfffe
	s_or_b32 exec_lo, exec_lo, s0
	s_wait_storecnt_dscnt 0x0
	s_barrier_signal -1
	s_barrier_wait -1
	global_inv scope:SCOPE_SE
	s_clause 0x5
	scratch_load_b128 v[2:5], off, off offset:240
	scratch_load_b128 v[6:9], off, off offset:256
	;; [unrolled: 1-line block ×5, first 2 shown]
	scratch_load_b64 v[124:125], off, off offset:232
	ds_load_b128 v[24:27], v1 offset:560
	ds_load_b128 v[108:111], v1 offset:576
	;; [unrolled: 1-line block ×5, first 2 shown]
	s_mov_b32 s0, exec_lo
	s_wait_loadcnt_dscnt 0x504
	v_dual_mul_f32 v1, v24, v3 :: v_dual_mul_f32 v22, v26, v5
	v_mul_f32_e32 v3, v25, v3
	s_wait_loadcnt_dscnt 0x403
	v_dual_mul_f32 v5, v27, v5 :: v_dual_mul_f32 v126, v108, v7
	s_delay_alu instid0(VALU_DEP_3) | instskip(NEXT) | instid1(VALU_DEP_3)
	v_dual_mul_f32 v127, v110, v9 :: v_dual_fmac_f32 v22, v27, v4
	v_fma_f32 v3, v24, v2, -v3
	v_fmac_f32_e32 v1, v25, v2
	v_mul_f32_e32 v2, v109, v7
	v_fma_f32 v4, v26, v4, -v5
	s_wait_loadcnt_dscnt 0x302
	v_dual_mul_f32 v128, v112, v11 :: v_dual_mul_f32 v129, v114, v13
	v_dual_add_f32 v3, 0, v3 :: v_dual_fmac_f32 v126, v109, v6
	s_wait_loadcnt_dscnt 0x201
	v_dual_mul_f32 v130, v116, v15 :: v_dual_mul_f32 v131, v118, v17
	s_delay_alu instid0(VALU_DEP_3) | instskip(SKIP_1) | instid1(VALU_DEP_3)
	v_dual_mul_f32 v5, v111, v9 :: v_dual_fmac_f32 v128, v113, v10
	v_fma_f32 v2, v108, v6, -v2
	v_dual_add_f32 v3, v3, v4 :: v_dual_fmac_f32 v130, v117, v14
	s_delay_alu instid0(VALU_DEP_3)
	v_fma_f32 v5, v110, v8, -v5
	v_mul_f32_e32 v4, v113, v11
	s_wait_loadcnt_dscnt 0x100
	v_dual_mul_f32 v132, v120, v19 :: v_dual_mul_f32 v133, v122, v21
	v_add_f32_e32 v2, v3, v2
	v_mul_f32_e32 v3, v115, v13
	v_fma_f32 v4, v112, v10, -v4
	s_delay_alu instid0(VALU_DEP_4) | instskip(NEXT) | instid1(VALU_DEP_4)
	v_dual_fmac_f32 v132, v121, v18 :: v_dual_fmac_f32 v131, v119, v16
	v_add_f32_e32 v2, v2, v5
	v_add_f32_e32 v1, 0, v1
	v_fma_f32 v3, v114, v12, -v3
	v_fmac_f32_e32 v133, v123, v20
	s_delay_alu instid0(VALU_DEP_3) | instskip(SKIP_1) | instid1(VALU_DEP_2)
	v_dual_add_f32 v2, v2, v4 :: v_dual_add_f32 v1, v1, v22
	v_mul_f32_e32 v4, v119, v17
	v_dual_fmac_f32 v127, v111, v8 :: v_dual_add_f32 v2, v2, v3
	s_delay_alu instid0(VALU_DEP_3) | instskip(NEXT) | instid1(VALU_DEP_3)
	v_add_f32_e32 v1, v1, v126
	v_fma_f32 v4, v118, v16, -v4
	v_mul_f32_e32 v5, v117, v15
	v_mul_f32_e32 v3, v121, v19
	s_delay_alu instid0(VALU_DEP_4) | instskip(NEXT) | instid1(VALU_DEP_3)
	v_add_f32_e32 v1, v1, v127
	v_fma_f32 v5, v116, v14, -v5
	v_fmac_f32_e32 v129, v115, v12
	s_delay_alu instid0(VALU_DEP_4) | instskip(NEXT) | instid1(VALU_DEP_3)
	v_fma_f32 v3, v120, v18, -v3
	v_add_f32_e32 v2, v2, v5
	s_delay_alu instid0(VALU_DEP_1) | instskip(SKIP_1) | instid1(VALU_DEP_2)
	v_dual_mul_f32 v5, v123, v21 :: v_dual_add_f32 v2, v2, v4
	v_add_f32_e32 v1, v1, v128
	v_fma_f32 v4, v122, v20, -v5
	s_delay_alu instid0(VALU_DEP_2) | instskip(NEXT) | instid1(VALU_DEP_1)
	v_dual_add_f32 v2, v2, v3 :: v_dual_add_f32 v1, v1, v129
	v_dual_add_f32 v2, v2, v4 :: v_dual_add_f32 v1, v1, v130
	s_delay_alu instid0(VALU_DEP_1) | instskip(NEXT) | instid1(VALU_DEP_1)
	v_add_f32_e32 v1, v1, v131
	v_add_f32_e32 v1, v1, v132
	s_delay_alu instid0(VALU_DEP_1) | instskip(SKIP_1) | instid1(VALU_DEP_1)
	v_add_f32_e32 v3, v1, v133
	s_wait_loadcnt 0x0
	v_dual_sub_f32 v1, v124, v2 :: v_dual_sub_f32 v2, v125, v3
	scratch_store_b64 off, v[1:2], off offset:232
	v_cmpx_lt_u32_e32 28, v0
	s_cbranch_execz .LBB103_197
; %bb.196:
	scratch_load_b64 v[1:2], off, off offset:224
	v_mov_b32_e32 v3, 0
	s_delay_alu instid0(VALU_DEP_1)
	v_mov_b32_e32 v4, v3
	scratch_store_b64 off, v[3:4], off offset:224
	s_wait_loadcnt 0x0
	ds_store_b64 v23, v[1:2]
.LBB103_197:
	s_wait_alu 0xfffe
	s_or_b32 exec_lo, exec_lo, s0
	s_wait_storecnt_dscnt 0x0
	s_barrier_signal -1
	s_barrier_wait -1
	global_inv scope:SCOPE_SE
	s_clause 0x6
	scratch_load_b128 v[2:5], off, off offset:232
	scratch_load_b128 v[6:9], off, off offset:248
	;; [unrolled: 1-line block ×5, first 2 shown]
	scratch_load_b64 v[124:125], off, off offset:312
	scratch_load_b64 v[126:127], off, off offset:224
	v_mov_b32_e32 v1, 0
	ds_load_2addr_b64 v[24:27], v1 offset0:69 offset1:70
	ds_load_2addr_b64 v[108:111], v1 offset0:71 offset1:72
	;; [unrolled: 1-line block ×5, first 2 shown]
	ds_load_b64 v[128:129], v1 offset:632
	s_mov_b32 s0, exec_lo
	s_wait_loadcnt_dscnt 0x605
	v_mul_f32_e32 v22, v24, v3
	v_dual_mul_f32 v3, v25, v3 :: v_dual_mul_f32 v130, v26, v5
	s_wait_loadcnt_dscnt 0x302
	v_dual_mul_f32 v131, v108, v7 :: v_dual_mul_f32 v136, v118, v17
	v_mul_f32_e32 v5, v27, v5
	s_delay_alu instid0(VALU_DEP_3)
	v_fma_f32 v3, v24, v2, -v3
	v_dual_mul_f32 v132, v110, v9 :: v_dual_mul_f32 v133, v112, v11
	s_wait_loadcnt_dscnt 0x100
	v_dual_mul_f32 v139, v128, v125 :: v_dual_fmac_f32 v22, v25, v2
	v_mul_f32_e32 v2, v109, v7
	v_dual_fmac_f32 v130, v27, v4 :: v_dual_add_f32 v3, 0, v3
	v_fma_f32 v4, v26, v4, -v5
	s_delay_alu instid0(VALU_DEP_4) | instskip(SKIP_2) | instid1(VALU_DEP_4)
	v_dual_add_f32 v5, 0, v22 :: v_dual_fmac_f32 v132, v111, v8
	v_mul_f32_e32 v7, v111, v9
	v_fma_f32 v2, v108, v6, -v2
	v_add_f32_e32 v3, v3, v4
	v_fmac_f32_e32 v131, v109, v6
	v_add_f32_e32 v4, v5, v130
	v_mul_f32_e32 v5, v113, v11
	v_fma_f32 v6, v110, v8, -v7
	v_add_f32_e32 v2, v3, v2
	v_dual_mul_f32 v134, v114, v13 :: v_dual_mul_f32 v135, v116, v15
	v_dual_add_f32 v3, v4, v131 :: v_dual_mul_f32 v4, v115, v13
	v_fma_f32 v5, v112, v10, -v5
	s_delay_alu instid0(VALU_DEP_4)
	v_add_f32_e32 v2, v2, v6
	v_fmac_f32_e32 v133, v113, v10
	v_mul_f32_e32 v6, v117, v15
	v_fmac_f32_e32 v134, v115, v12
	v_add_f32_e32 v3, v3, v132
	v_fma_f32 v4, v114, v12, -v4
	v_add_f32_e32 v2, v2, v5
	v_mul_f32_e32 v5, v119, v17
	v_fma_f32 v6, v116, v14, -v6
	v_add_f32_e32 v3, v3, v133
	v_dual_fmac_f32 v135, v117, v14 :: v_dual_fmac_f32 v136, v119, v16
	v_add_f32_e32 v2, v2, v4
	v_mul_f32_e32 v4, v121, v19
	v_fma_f32 v5, v118, v16, -v5
	v_dual_mul_f32 v137, v120, v19 :: v_dual_mul_f32 v138, v122, v21
	s_delay_alu instid0(VALU_DEP_4) | instskip(SKIP_1) | instid1(VALU_DEP_3)
	v_add_f32_e32 v2, v2, v6
	v_add_f32_e32 v3, v3, v134
	v_dual_mul_f32 v6, v123, v21 :: v_dual_fmac_f32 v137, v121, v18
	v_fma_f32 v4, v120, v18, -v4
	s_delay_alu instid0(VALU_DEP_3) | instskip(SKIP_1) | instid1(VALU_DEP_4)
	v_dual_add_f32 v2, v2, v5 :: v_dual_add_f32 v3, v3, v135
	v_dual_mul_f32 v5, v129, v125 :: v_dual_fmac_f32 v138, v123, v20
	v_fma_f32 v6, v122, v20, -v6
	s_delay_alu instid0(VALU_DEP_3) | instskip(NEXT) | instid1(VALU_DEP_4)
	v_add_f32_e32 v2, v2, v4
	v_add_f32_e32 v3, v3, v136
	s_delay_alu instid0(VALU_DEP_4) | instskip(NEXT) | instid1(VALU_DEP_2)
	v_fma_f32 v4, v128, v124, -v5
	v_dual_add_f32 v2, v2, v6 :: v_dual_add_f32 v3, v3, v137
	s_delay_alu instid0(VALU_DEP_1) | instskip(SKIP_1) | instid1(VALU_DEP_1)
	v_dual_add_f32 v2, v2, v4 :: v_dual_add_f32 v3, v3, v138
	s_wait_loadcnt 0x0
	v_dual_fmac_f32 v139, v129, v124 :: v_dual_sub_f32 v2, v126, v2
	s_delay_alu instid0(VALU_DEP_1) | instskip(NEXT) | instid1(VALU_DEP_1)
	v_add_f32_e32 v3, v3, v139
	v_sub_f32_e32 v3, v127, v3
	scratch_store_b64 off, v[2:3], off offset:224
	v_cmpx_lt_u32_e32 27, v0
	s_cbranch_execz .LBB103_199
; %bb.198:
	scratch_load_b64 v[3:4], off, off offset:216
	v_mov_b32_e32 v2, v1
	scratch_store_b64 off, v[1:2], off offset:216
	s_wait_loadcnt 0x0
	ds_store_b64 v23, v[3:4]
.LBB103_199:
	s_wait_alu 0xfffe
	s_or_b32 exec_lo, exec_lo, s0
	s_wait_storecnt_dscnt 0x0
	s_barrier_signal -1
	s_barrier_wait -1
	global_inv scope:SCOPE_SE
	s_clause 0x6
	scratch_load_b128 v[2:5], off, off offset:224
	scratch_load_b128 v[6:9], off, off offset:240
	;; [unrolled: 1-line block ×6, first 2 shown]
	scratch_load_b64 v[132:133], off, off offset:216
	ds_load_b128 v[108:111], v1 offset:544
	ds_load_b128 v[112:115], v1 offset:560
	;; [unrolled: 1-line block ×6, first 2 shown]
	s_mov_b32 s0, exec_lo
	s_wait_loadcnt_dscnt 0x605
	v_dual_mul_f32 v1, v108, v3 :: v_dual_mul_f32 v22, v110, v5
	v_mul_f32_e32 v3, v109, v3
	s_wait_loadcnt_dscnt 0x504
	v_dual_mul_f32 v5, v111, v5 :: v_dual_mul_f32 v134, v112, v7
	v_mul_f32_e32 v135, v114, v9
	s_wait_loadcnt_dscnt 0x100
	v_mul_f32_e32 v142, v128, v25
	v_fma_f32 v3, v108, v2, -v3
	v_dual_mul_f32 v143, v130, v27 :: v_dual_fmac_f32 v22, v111, v4
	v_fmac_f32_e32 v1, v109, v2
	v_mul_f32_e32 v2, v113, v7
	v_fma_f32 v4, v110, v4, -v5
	v_dual_add_f32 v3, 0, v3 :: v_dual_fmac_f32 v134, v113, v6
	v_dual_mul_f32 v136, v116, v11 :: v_dual_mul_f32 v137, v118, v13
	v_dual_mul_f32 v138, v120, v15 :: v_dual_mul_f32 v139, v122, v17
	s_delay_alu instid0(VALU_DEP_2) | instskip(SKIP_1) | instid1(VALU_DEP_3)
	v_dual_mul_f32 v5, v115, v9 :: v_dual_fmac_f32 v136, v117, v10
	v_fma_f32 v2, v112, v6, -v2
	v_dual_add_f32 v3, v3, v4 :: v_dual_fmac_f32 v138, v121, v14
	s_delay_alu instid0(VALU_DEP_3) | instskip(SKIP_2) | instid1(VALU_DEP_4)
	v_fma_f32 v5, v114, v8, -v5
	v_mul_f32_e32 v4, v117, v11
	v_dual_mul_f32 v140, v124, v19 :: v_dual_mul_f32 v141, v126, v21
	v_add_f32_e32 v2, v3, v2
	v_mul_f32_e32 v3, v119, v13
	s_delay_alu instid0(VALU_DEP_4) | instskip(NEXT) | instid1(VALU_DEP_4)
	v_fma_f32 v4, v116, v10, -v4
	v_dual_fmac_f32 v140, v125, v18 :: v_dual_fmac_f32 v139, v123, v16
	s_delay_alu instid0(VALU_DEP_4) | instskip(SKIP_3) | instid1(VALU_DEP_4)
	v_add_f32_e32 v2, v2, v5
	v_add_f32_e32 v1, 0, v1
	v_fma_f32 v3, v118, v12, -v3
	v_fmac_f32_e32 v141, v127, v20
	v_dual_fmac_f32 v143, v131, v26 :: v_dual_add_f32 v2, v2, v4
	s_delay_alu instid0(VALU_DEP_4) | instskip(SKIP_2) | instid1(VALU_DEP_3)
	v_dual_add_f32 v1, v1, v22 :: v_dual_mul_f32 v4, v123, v17
	v_fmac_f32_e32 v135, v115, v8
	v_fmac_f32_e32 v142, v129, v24
	v_dual_add_f32 v2, v2, v3 :: v_dual_add_f32 v1, v1, v134
	s_delay_alu instid0(VALU_DEP_4) | instskip(SKIP_1) | instid1(VALU_DEP_3)
	v_fma_f32 v4, v122, v16, -v4
	v_mul_f32_e32 v5, v121, v15
	v_add_f32_e32 v1, v1, v135
	s_delay_alu instid0(VALU_DEP_2) | instskip(NEXT) | instid1(VALU_DEP_1)
	v_fma_f32 v5, v120, v14, -v5
	v_dual_fmac_f32 v137, v119, v12 :: v_dual_add_f32 v2, v2, v5
	s_delay_alu instid0(VALU_DEP_1) | instskip(NEXT) | instid1(VALU_DEP_1)
	v_dual_mul_f32 v5, v127, v21 :: v_dual_add_f32 v2, v2, v4
	v_fma_f32 v5, v126, v20, -v5
	v_mul_f32_e32 v3, v125, v19
	v_mul_f32_e32 v4, v129, v25
	s_delay_alu instid0(VALU_DEP_2) | instskip(SKIP_1) | instid1(VALU_DEP_3)
	v_fma_f32 v3, v124, v18, -v3
	v_add_f32_e32 v1, v1, v136
	v_fma_f32 v4, v128, v24, -v4
	s_delay_alu instid0(VALU_DEP_3) | instskip(NEXT) | instid1(VALU_DEP_1)
	v_add_f32_e32 v2, v2, v3
	v_dual_mul_f32 v3, v131, v27 :: v_dual_add_f32 v2, v2, v5
	s_delay_alu instid0(VALU_DEP_4) | instskip(NEXT) | instid1(VALU_DEP_2)
	v_add_f32_e32 v1, v1, v137
	v_fma_f32 v3, v130, v26, -v3
	s_delay_alu instid0(VALU_DEP_2) | instskip(NEXT) | instid1(VALU_DEP_1)
	v_dual_add_f32 v2, v2, v4 :: v_dual_add_f32 v1, v1, v138
	v_add_f32_e32 v2, v2, v3
	s_delay_alu instid0(VALU_DEP_2) | instskip(NEXT) | instid1(VALU_DEP_1)
	v_add_f32_e32 v1, v1, v139
	v_add_f32_e32 v1, v1, v140
	s_delay_alu instid0(VALU_DEP_1) | instskip(NEXT) | instid1(VALU_DEP_1)
	v_add_f32_e32 v1, v1, v141
	v_add_f32_e32 v1, v1, v142
	s_delay_alu instid0(VALU_DEP_1) | instskip(SKIP_1) | instid1(VALU_DEP_1)
	v_add_f32_e32 v3, v1, v143
	s_wait_loadcnt 0x0
	v_dual_sub_f32 v1, v132, v2 :: v_dual_sub_f32 v2, v133, v3
	scratch_store_b64 off, v[1:2], off offset:216
	v_cmpx_lt_u32_e32 26, v0
	s_cbranch_execz .LBB103_201
; %bb.200:
	scratch_load_b64 v[1:2], off, off offset:208
	v_mov_b32_e32 v3, 0
	s_delay_alu instid0(VALU_DEP_1)
	v_mov_b32_e32 v4, v3
	scratch_store_b64 off, v[3:4], off offset:208
	s_wait_loadcnt 0x0
	ds_store_b64 v23, v[1:2]
.LBB103_201:
	s_wait_alu 0xfffe
	s_or_b32 exec_lo, exec_lo, s0
	s_wait_storecnt_dscnt 0x0
	s_barrier_signal -1
	s_barrier_wait -1
	global_inv scope:SCOPE_SE
	s_clause 0x7
	scratch_load_b128 v[2:5], off, off offset:216
	scratch_load_b128 v[6:9], off, off offset:232
	;; [unrolled: 1-line block ×6, first 2 shown]
	scratch_load_b64 v[132:133], off, off offset:312
	scratch_load_b64 v[134:135], off, off offset:208
	v_mov_b32_e32 v1, 0
	ds_load_2addr_b64 v[108:111], v1 offset0:67 offset1:68
	ds_load_2addr_b64 v[112:115], v1 offset0:69 offset1:70
	;; [unrolled: 1-line block ×6, first 2 shown]
	ds_load_b64 v[136:137], v1 offset:632
	s_mov_b32 s0, exec_lo
	s_wait_loadcnt_dscnt 0x706
	v_mul_f32_e32 v22, v108, v3
	v_dual_mul_f32 v3, v109, v3 :: v_dual_mul_f32 v138, v110, v5
	s_wait_loadcnt_dscnt 0x302
	v_dual_mul_f32 v139, v112, v7 :: v_dual_mul_f32 v146, v126, v21
	v_mul_f32_e32 v5, v111, v5
	s_delay_alu instid0(VALU_DEP_3)
	v_fma_f32 v3, v108, v2, -v3
	v_dual_mul_f32 v140, v114, v9 :: v_dual_mul_f32 v141, v116, v11
	s_wait_loadcnt_dscnt 0x100
	v_dual_mul_f32 v149, v136, v133 :: v_dual_fmac_f32 v22, v109, v2
	v_mul_f32_e32 v2, v113, v7
	v_dual_fmac_f32 v138, v111, v4 :: v_dual_add_f32 v3, 0, v3
	v_fma_f32 v4, v110, v4, -v5
	s_delay_alu instid0(VALU_DEP_4) | instskip(SKIP_2) | instid1(VALU_DEP_4)
	v_dual_add_f32 v5, 0, v22 :: v_dual_fmac_f32 v140, v115, v8
	v_mul_f32_e32 v7, v115, v9
	v_fma_f32 v2, v112, v6, -v2
	v_add_f32_e32 v3, v3, v4
	v_fmac_f32_e32 v139, v113, v6
	v_add_f32_e32 v4, v5, v138
	v_mul_f32_e32 v5, v117, v11
	v_fma_f32 v6, v114, v8, -v7
	v_add_f32_e32 v2, v3, v2
	v_dual_mul_f32 v142, v118, v13 :: v_dual_mul_f32 v143, v120, v15
	v_dual_add_f32 v3, v4, v139 :: v_dual_mul_f32 v4, v119, v13
	v_fma_f32 v5, v116, v10, -v5
	s_delay_alu instid0(VALU_DEP_4)
	v_add_f32_e32 v2, v2, v6
	v_fmac_f32_e32 v141, v117, v10
	v_mul_f32_e32 v6, v121, v15
	v_fmac_f32_e32 v142, v119, v12
	v_add_f32_e32 v3, v3, v140
	v_fma_f32 v4, v118, v12, -v4
	v_add_f32_e32 v2, v2, v5
	v_dual_mul_f32 v144, v122, v17 :: v_dual_mul_f32 v145, v124, v19
	s_delay_alu instid0(VALU_DEP_4)
	v_add_f32_e32 v3, v3, v141
	v_mul_f32_e32 v5, v123, v17
	v_fma_f32 v6, v120, v14, -v6
	v_dual_add_f32 v2, v2, v4 :: v_dual_fmac_f32 v143, v121, v14
	v_fmac_f32_e32 v144, v123, v16
	v_mul_f32_e32 v4, v125, v19
	v_fma_f32 v5, v122, v16, -v5
	s_delay_alu instid0(VALU_DEP_4) | instskip(SKIP_3) | instid1(VALU_DEP_3)
	v_add_f32_e32 v2, v2, v6
	v_add_f32_e32 v3, v3, v142
	v_dual_mul_f32 v6, v127, v21 :: v_dual_fmac_f32 v145, v125, v18
	v_fma_f32 v4, v124, v18, -v4
	v_dual_add_f32 v2, v2, v5 :: v_dual_add_f32 v3, v3, v143
	s_delay_alu instid0(VALU_DEP_3) | instskip(SKIP_1) | instid1(VALU_DEP_3)
	v_fma_f32 v6, v126, v20, -v6
	v_dual_mul_f32 v147, v128, v25 :: v_dual_mul_f32 v148, v130, v27
	v_add_f32_e32 v2, v2, v4
	s_delay_alu instid0(VALU_DEP_4) | instskip(SKIP_1) | instid1(VALU_DEP_4)
	v_add_f32_e32 v3, v3, v144
	v_dual_mul_f32 v5, v129, v25 :: v_dual_fmac_f32 v146, v127, v20
	v_dual_mul_f32 v4, v131, v27 :: v_dual_fmac_f32 v147, v129, v24
	s_delay_alu instid0(VALU_DEP_3) | instskip(NEXT) | instid1(VALU_DEP_3)
	v_dual_add_f32 v2, v2, v6 :: v_dual_add_f32 v3, v3, v145
	v_fma_f32 v5, v128, v24, -v5
	v_mul_f32_e32 v6, v137, v133
	v_dual_fmac_f32 v148, v131, v26 :: v_dual_fmac_f32 v149, v137, v132
	s_delay_alu instid0(VALU_DEP_4) | instskip(SKIP_3) | instid1(VALU_DEP_4)
	v_add_f32_e32 v3, v3, v146
	v_fma_f32 v4, v130, v26, -v4
	v_add_f32_e32 v2, v2, v5
	v_fma_f32 v5, v136, v132, -v6
	v_add_f32_e32 v3, v3, v147
	s_delay_alu instid0(VALU_DEP_1) | instskip(NEXT) | instid1(VALU_DEP_1)
	v_add_f32_e32 v3, v3, v148
	v_dual_add_f32 v2, v2, v4 :: v_dual_add_f32 v3, v3, v149
	s_wait_loadcnt 0x0
	s_delay_alu instid0(VALU_DEP_1) | instskip(NEXT) | instid1(VALU_DEP_1)
	v_dual_add_f32 v2, v2, v5 :: v_dual_sub_f32 v3, v135, v3
	v_sub_f32_e32 v2, v134, v2
	scratch_store_b64 off, v[2:3], off offset:208
	v_cmpx_lt_u32_e32 25, v0
	s_cbranch_execz .LBB103_203
; %bb.202:
	scratch_load_b64 v[3:4], off, off offset:200
	v_mov_b32_e32 v2, v1
	scratch_store_b64 off, v[1:2], off offset:200
	s_wait_loadcnt 0x0
	ds_store_b64 v23, v[3:4]
.LBB103_203:
	s_wait_alu 0xfffe
	s_or_b32 exec_lo, exec_lo, s0
	s_wait_storecnt_dscnt 0x0
	s_barrier_signal -1
	s_barrier_wait -1
	global_inv scope:SCOPE_SE
	s_clause 0x7
	scratch_load_b128 v[2:5], off, off offset:208
	scratch_load_b128 v[6:9], off, off offset:224
	;; [unrolled: 1-line block ×7, first 2 shown]
	scratch_load_b64 v[140:141], off, off offset:200
	ds_load_b128 v[112:115], v1 offset:528
	ds_load_b128 v[116:119], v1 offset:544
	;; [unrolled: 1-line block ×7, first 2 shown]
	s_mov_b32 s0, exec_lo
	s_wait_loadcnt_dscnt 0x706
	v_dual_mul_f32 v1, v112, v3 :: v_dual_mul_f32 v22, v114, v5
	v_mul_f32_e32 v3, v113, v3
	s_wait_loadcnt_dscnt 0x605
	v_dual_mul_f32 v5, v115, v5 :: v_dual_mul_f32 v142, v116, v7
	v_mul_f32_e32 v143, v118, v9
	s_wait_loadcnt_dscnt 0x201
	v_mul_f32_e32 v150, v132, v25
	v_fma_f32 v3, v112, v2, -v3
	s_wait_loadcnt_dscnt 0x100
	v_dual_mul_f32 v153, v138, v111 :: v_dual_fmac_f32 v22, v115, v4
	v_fmac_f32_e32 v1, v113, v2
	v_mul_f32_e32 v2, v117, v7
	v_fma_f32 v4, v114, v4, -v5
	v_dual_add_f32 v3, 0, v3 :: v_dual_fmac_f32 v142, v117, v6
	v_dual_mul_f32 v144, v120, v11 :: v_dual_mul_f32 v145, v122, v13
	v_dual_mul_f32 v146, v124, v15 :: v_dual_mul_f32 v147, v126, v17
	s_delay_alu instid0(VALU_DEP_2) | instskip(SKIP_1) | instid1(VALU_DEP_3)
	v_dual_mul_f32 v5, v119, v9 :: v_dual_fmac_f32 v144, v121, v10
	v_fma_f32 v2, v116, v6, -v2
	v_dual_add_f32 v3, v3, v4 :: v_dual_fmac_f32 v146, v125, v14
	s_delay_alu instid0(VALU_DEP_3) | instskip(SKIP_1) | instid1(VALU_DEP_3)
	v_fma_f32 v5, v118, v8, -v5
	v_dual_mul_f32 v148, v128, v19 :: v_dual_mul_f32 v149, v130, v21
	v_add_f32_e32 v2, v3, v2
	v_dual_mul_f32 v4, v121, v11 :: v_dual_mul_f32 v3, v123, v13
	s_delay_alu instid0(VALU_DEP_3) | instskip(NEXT) | instid1(VALU_DEP_3)
	v_dual_fmac_f32 v148, v129, v18 :: v_dual_fmac_f32 v147, v127, v16
	v_add_f32_e32 v2, v2, v5
	v_add_f32_e32 v1, 0, v1
	s_delay_alu instid0(VALU_DEP_4) | instskip(SKIP_2) | instid1(VALU_DEP_3)
	v_fma_f32 v4, v120, v10, -v4
	v_fma_f32 v3, v122, v12, -v3
	v_dual_mul_f32 v151, v134, v27 :: v_dual_mul_f32 v152, v136, v109
	v_dual_add_f32 v1, v1, v22 :: v_dual_add_f32 v2, v2, v4
	v_mul_f32_e32 v4, v127, v17
	v_fmac_f32_e32 v143, v119, v8
	s_delay_alu instid0(VALU_DEP_4) | instskip(NEXT) | instid1(VALU_DEP_4)
	v_fmac_f32_e32 v151, v135, v26
	v_dual_add_f32 v1, v1, v142 :: v_dual_add_f32 v2, v2, v3
	s_delay_alu instid0(VALU_DEP_4) | instskip(SKIP_2) | instid1(VALU_DEP_4)
	v_fma_f32 v4, v126, v16, -v4
	v_mul_f32_e32 v5, v125, v15
	v_fmac_f32_e32 v153, v139, v110
	v_add_f32_e32 v1, v1, v143
	v_fmac_f32_e32 v150, v133, v24
	v_fmac_f32_e32 v152, v137, v108
	v_fma_f32 v5, v124, v14, -v5
	s_delay_alu instid0(VALU_DEP_1) | instskip(NEXT) | instid1(VALU_DEP_1)
	v_dual_fmac_f32 v145, v123, v12 :: v_dual_add_f32 v2, v2, v5
	v_dual_mul_f32 v5, v131, v21 :: v_dual_add_f32 v2, v2, v4
	s_delay_alu instid0(VALU_DEP_1) | instskip(SKIP_2) | instid1(VALU_DEP_2)
	v_fma_f32 v5, v130, v20, -v5
	v_mul_f32_e32 v3, v129, v19
	v_mul_f32_e32 v4, v133, v25
	v_fma_f32 v3, v128, v18, -v3
	v_add_f32_e32 v1, v1, v144
	s_delay_alu instid0(VALU_DEP_3) | instskip(NEXT) | instid1(VALU_DEP_3)
	v_fma_f32 v4, v132, v24, -v4
	v_add_f32_e32 v2, v2, v3
	s_delay_alu instid0(VALU_DEP_1) | instskip(NEXT) | instid1(VALU_DEP_4)
	v_dual_mul_f32 v3, v135, v27 :: v_dual_add_f32 v2, v2, v5
	v_add_f32_e32 v1, v1, v145
	v_mul_f32_e32 v5, v137, v109
	s_delay_alu instid0(VALU_DEP_3) | instskip(NEXT) | instid1(VALU_DEP_3)
	v_fma_f32 v3, v134, v26, -v3
	v_dual_add_f32 v2, v2, v4 :: v_dual_add_f32 v1, v1, v146
	v_mul_f32_e32 v4, v139, v111
	v_fmac_f32_e32 v149, v131, v20
	v_fma_f32 v5, v136, v108, -v5
	s_delay_alu instid0(VALU_DEP_4) | instskip(SKIP_2) | instid1(VALU_DEP_2)
	v_add_f32_e32 v2, v2, v3
	v_add_f32_e32 v1, v1, v147
	v_fma_f32 v3, v138, v110, -v4
	v_dual_add_f32 v2, v2, v5 :: v_dual_add_f32 v1, v1, v148
	s_delay_alu instid0(VALU_DEP_1) | instskip(NEXT) | instid1(VALU_DEP_1)
	v_dual_add_f32 v2, v2, v3 :: v_dual_add_f32 v1, v1, v149
	v_add_f32_e32 v1, v1, v150
	s_delay_alu instid0(VALU_DEP_1) | instskip(NEXT) | instid1(VALU_DEP_1)
	v_add_f32_e32 v1, v1, v151
	v_add_f32_e32 v1, v1, v152
	s_delay_alu instid0(VALU_DEP_1) | instskip(SKIP_1) | instid1(VALU_DEP_1)
	v_add_f32_e32 v3, v1, v153
	s_wait_loadcnt 0x0
	v_dual_sub_f32 v1, v140, v2 :: v_dual_sub_f32 v2, v141, v3
	scratch_store_b64 off, v[1:2], off offset:200
	v_cmpx_lt_u32_e32 24, v0
	s_cbranch_execz .LBB103_205
; %bb.204:
	scratch_load_b64 v[1:2], off, off offset:192
	v_mov_b32_e32 v3, 0
	s_delay_alu instid0(VALU_DEP_1)
	v_mov_b32_e32 v4, v3
	scratch_store_b64 off, v[3:4], off offset:192
	s_wait_loadcnt 0x0
	ds_store_b64 v23, v[1:2]
.LBB103_205:
	s_wait_alu 0xfffe
	s_or_b32 exec_lo, exec_lo, s0
	s_wait_storecnt_dscnt 0x0
	s_barrier_signal -1
	s_barrier_wait -1
	global_inv scope:SCOPE_SE
	s_clause 0x8
	scratch_load_b128 v[2:5], off, off offset:200
	scratch_load_b128 v[6:9], off, off offset:216
	;; [unrolled: 1-line block ×7, first 2 shown]
	scratch_load_b64 v[140:141], off, off offset:312
	scratch_load_b64 v[142:143], off, off offset:192
	v_mov_b32_e32 v1, 0
	ds_load_2addr_b64 v[112:115], v1 offset0:65 offset1:66
	ds_load_2addr_b64 v[116:119], v1 offset0:67 offset1:68
	;; [unrolled: 1-line block ×7, first 2 shown]
	ds_load_b64 v[144:145], v1 offset:632
	s_mov_b32 s0, exec_lo
	s_wait_loadcnt_dscnt 0x807
	v_mul_f32_e32 v22, v112, v3
	v_dual_mul_f32 v3, v113, v3 :: v_dual_mul_f32 v146, v114, v5
	s_wait_loadcnt_dscnt 0x403
	v_dual_mul_f32 v147, v116, v7 :: v_dual_mul_f32 v154, v130, v21
	v_mul_f32_e32 v5, v115, v5
	s_delay_alu instid0(VALU_DEP_3)
	v_fma_f32 v3, v112, v2, -v3
	v_dual_mul_f32 v148, v118, v9 :: v_dual_mul_f32 v149, v120, v11
	s_wait_loadcnt_dscnt 0x100
	v_dual_mul_f32 v159, v144, v141 :: v_dual_fmac_f32 v22, v113, v2
	v_mul_f32_e32 v2, v117, v7
	v_dual_fmac_f32 v146, v115, v4 :: v_dual_add_f32 v3, 0, v3
	v_fma_f32 v4, v114, v4, -v5
	s_delay_alu instid0(VALU_DEP_4) | instskip(SKIP_2) | instid1(VALU_DEP_4)
	v_dual_add_f32 v5, 0, v22 :: v_dual_fmac_f32 v148, v119, v8
	v_mul_f32_e32 v7, v119, v9
	v_fma_f32 v2, v116, v6, -v2
	v_add_f32_e32 v3, v3, v4
	v_fmac_f32_e32 v147, v117, v6
	v_add_f32_e32 v4, v5, v146
	v_mul_f32_e32 v5, v121, v11
	v_fma_f32 v6, v118, v8, -v7
	v_add_f32_e32 v2, v3, v2
	v_dual_mul_f32 v150, v122, v13 :: v_dual_mul_f32 v151, v124, v15
	v_dual_add_f32 v3, v4, v147 :: v_dual_mul_f32 v4, v123, v13
	v_fma_f32 v5, v120, v10, -v5
	s_delay_alu instid0(VALU_DEP_4)
	v_add_f32_e32 v2, v2, v6
	v_fmac_f32_e32 v149, v121, v10
	v_mul_f32_e32 v6, v125, v15
	v_fmac_f32_e32 v150, v123, v12
	v_add_f32_e32 v3, v3, v148
	v_fma_f32 v4, v122, v12, -v4
	v_add_f32_e32 v2, v2, v5
	v_dual_mul_f32 v152, v126, v17 :: v_dual_mul_f32 v153, v128, v19
	s_delay_alu instid0(VALU_DEP_4)
	v_add_f32_e32 v3, v3, v149
	v_mul_f32_e32 v5, v127, v17
	v_fma_f32 v6, v124, v14, -v6
	v_dual_add_f32 v2, v2, v4 :: v_dual_fmac_f32 v151, v125, v14
	v_fmac_f32_e32 v152, v127, v16
	v_mul_f32_e32 v4, v129, v19
	v_fma_f32 v5, v126, v16, -v5
	s_delay_alu instid0(VALU_DEP_4) | instskip(SKIP_3) | instid1(VALU_DEP_3)
	v_add_f32_e32 v2, v2, v6
	v_add_f32_e32 v3, v3, v150
	v_dual_mul_f32 v6, v131, v21 :: v_dual_fmac_f32 v153, v129, v18
	v_fma_f32 v4, v128, v18, -v4
	v_dual_add_f32 v2, v2, v5 :: v_dual_add_f32 v3, v3, v151
	s_delay_alu instid0(VALU_DEP_3) | instskip(SKIP_1) | instid1(VALU_DEP_3)
	v_fma_f32 v6, v130, v20, -v6
	v_dual_mul_f32 v155, v132, v25 :: v_dual_mul_f32 v156, v134, v27
	v_add_f32_e32 v2, v2, v4
	s_delay_alu instid0(VALU_DEP_4) | instskip(SKIP_1) | instid1(VALU_DEP_4)
	v_add_f32_e32 v3, v3, v152
	v_dual_mul_f32 v5, v133, v25 :: v_dual_fmac_f32 v154, v131, v20
	v_dual_mul_f32 v4, v135, v27 :: v_dual_fmac_f32 v155, v133, v24
	s_delay_alu instid0(VALU_DEP_3) | instskip(NEXT) | instid1(VALU_DEP_3)
	v_dual_add_f32 v2, v2, v6 :: v_dual_add_f32 v3, v3, v153
	v_fma_f32 v5, v132, v24, -v5
	v_dual_mul_f32 v157, v136, v109 :: v_dual_mul_f32 v158, v138, v111
	s_delay_alu instid0(VALU_DEP_3) | instskip(NEXT) | instid1(VALU_DEP_2)
	v_dual_mul_f32 v6, v137, v109 :: v_dual_add_f32 v3, v3, v154
	v_dual_fmac_f32 v156, v135, v26 :: v_dual_fmac_f32 v157, v137, v108
	v_fma_f32 v4, v134, v26, -v4
	s_delay_alu instid0(VALU_DEP_3) | instskip(SKIP_3) | instid1(VALU_DEP_4)
	v_dual_add_f32 v2, v2, v5 :: v_dual_add_f32 v3, v3, v155
	v_mul_f32_e32 v5, v139, v111
	v_fma_f32 v6, v136, v108, -v6
	v_dual_fmac_f32 v158, v139, v110 :: v_dual_fmac_f32 v159, v145, v140
	v_add_f32_e32 v2, v2, v4
	v_dual_add_f32 v3, v3, v156 :: v_dual_mul_f32 v4, v145, v141
	v_fma_f32 v5, v138, v110, -v5
	s_delay_alu instid0(VALU_DEP_2) | instskip(NEXT) | instid1(VALU_DEP_3)
	v_dual_add_f32 v2, v2, v6 :: v_dual_add_f32 v3, v3, v157
	v_fma_f32 v4, v144, v140, -v4
	s_delay_alu instid0(VALU_DEP_2) | instskip(NEXT) | instid1(VALU_DEP_1)
	v_dual_add_f32 v2, v2, v5 :: v_dual_add_f32 v3, v3, v158
	v_dual_add_f32 v2, v2, v4 :: v_dual_add_f32 v3, v3, v159
	s_wait_loadcnt 0x0
	s_delay_alu instid0(VALU_DEP_1)
	v_dual_sub_f32 v2, v142, v2 :: v_dual_sub_f32 v3, v143, v3
	scratch_store_b64 off, v[2:3], off offset:192
	v_cmpx_lt_u32_e32 23, v0
	s_cbranch_execz .LBB103_207
; %bb.206:
	scratch_load_b64 v[3:4], off, off offset:184
	v_mov_b32_e32 v2, v1
	scratch_store_b64 off, v[1:2], off offset:184
	s_wait_loadcnt 0x0
	ds_store_b64 v23, v[3:4]
.LBB103_207:
	s_wait_alu 0xfffe
	s_or_b32 exec_lo, exec_lo, s0
	s_wait_storecnt_dscnt 0x0
	s_barrier_signal -1
	s_barrier_wait -1
	global_inv scope:SCOPE_SE
	s_clause 0x8
	scratch_load_b128 v[2:5], off, off offset:192
	scratch_load_b128 v[6:9], off, off offset:208
	scratch_load_b128 v[10:13], off, off offset:224
	scratch_load_b128 v[14:17], off, off offset:240
	scratch_load_b128 v[18:21], off, off offset:256
	scratch_load_b128 v[24:27], off, off offset:272
	scratch_load_b128 v[108:111], off, off offset:288
	scratch_load_b128 v[112:115], off, off offset:304
	scratch_load_b64 v[148:149], off, off offset:184
	ds_load_b128 v[116:119], v1 offset:512
	ds_load_b128 v[120:123], v1 offset:528
	ds_load_b128 v[124:127], v1 offset:544
	ds_load_b128 v[128:131], v1 offset:560
	ds_load_b128 v[132:135], v1 offset:576
	ds_load_b128 v[136:139], v1 offset:592
	ds_load_b128 v[140:143], v1 offset:608
	ds_load_b128 v[144:147], v1 offset:624
	s_mov_b32 s0, exec_lo
	s_wait_loadcnt_dscnt 0x807
	v_dual_mul_f32 v1, v116, v3 :: v_dual_mul_f32 v22, v118, v5
	v_mul_f32_e32 v3, v117, v3
	s_wait_loadcnt_dscnt 0x706
	v_dual_mul_f32 v5, v119, v5 :: v_dual_mul_f32 v150, v120, v7
	v_mul_f32_e32 v151, v122, v9
	s_wait_loadcnt_dscnt 0x201
	v_mul_f32_e32 v160, v140, v109
	v_fma_f32 v3, v116, v2, -v3
	s_wait_loadcnt_dscnt 0x100
	v_dual_mul_f32 v163, v146, v115 :: v_dual_fmac_f32 v22, v119, v4
	v_fmac_f32_e32 v1, v117, v2
	v_mul_f32_e32 v2, v121, v7
	v_fma_f32 v4, v118, v4, -v5
	v_dual_add_f32 v3, 0, v3 :: v_dual_fmac_f32 v150, v121, v6
	v_dual_mul_f32 v152, v124, v11 :: v_dual_mul_f32 v153, v126, v13
	v_dual_mul_f32 v154, v128, v15 :: v_dual_mul_f32 v155, v130, v17
	s_delay_alu instid0(VALU_DEP_2) | instskip(SKIP_1) | instid1(VALU_DEP_3)
	v_dual_mul_f32 v5, v123, v9 :: v_dual_fmac_f32 v152, v125, v10
	v_fma_f32 v2, v120, v6, -v2
	v_dual_add_f32 v3, v3, v4 :: v_dual_fmac_f32 v154, v129, v14
	s_delay_alu instid0(VALU_DEP_3) | instskip(SKIP_1) | instid1(VALU_DEP_3)
	v_fma_f32 v5, v122, v8, -v5
	v_dual_mul_f32 v156, v132, v19 :: v_dual_mul_f32 v157, v134, v21
	v_add_f32_e32 v2, v3, v2
	v_dual_mul_f32 v4, v125, v11 :: v_dual_mul_f32 v3, v127, v13
	s_delay_alu instid0(VALU_DEP_3) | instskip(SKIP_1) | instid1(VALU_DEP_4)
	v_fmac_f32_e32 v156, v133, v18
	v_dual_mul_f32 v158, v136, v25 :: v_dual_mul_f32 v159, v138, v27
	v_add_f32_e32 v2, v2, v5
	v_add_f32_e32 v1, 0, v1
	v_fma_f32 v4, v124, v10, -v4
	v_fma_f32 v3, v126, v12, -v3
	v_fmac_f32_e32 v155, v131, v16
	v_dual_mul_f32 v161, v142, v111 :: v_dual_mul_f32 v162, v144, v113
	s_delay_alu instid0(VALU_DEP_4) | instskip(SKIP_2) | instid1(VALU_DEP_4)
	v_dual_add_f32 v1, v1, v22 :: v_dual_add_f32 v2, v2, v4
	v_mul_f32_e32 v4, v131, v17
	v_fmac_f32_e32 v151, v123, v8
	v_dual_fmac_f32 v159, v139, v26 :: v_dual_fmac_f32 v162, v145, v112
	s_delay_alu instid0(VALU_DEP_4) | instskip(NEXT) | instid1(VALU_DEP_4)
	v_add_f32_e32 v1, v1, v150
	v_fma_f32 v4, v130, v16, -v4
	v_mul_f32_e32 v5, v129, v15
	v_dual_add_f32 v2, v2, v3 :: v_dual_fmac_f32 v161, v143, v110
	s_delay_alu instid0(VALU_DEP_4) | instskip(SKIP_1) | instid1(VALU_DEP_4)
	v_add_f32_e32 v1, v1, v151
	v_fmac_f32_e32 v158, v137, v24
	v_fma_f32 v5, v128, v14, -v5
	v_fmac_f32_e32 v153, v127, v12
	v_dual_fmac_f32 v163, v147, v114 :: v_dual_fmac_f32 v160, v141, v108
	s_delay_alu instid0(VALU_DEP_3) | instskip(NEXT) | instid1(VALU_DEP_1)
	v_add_f32_e32 v2, v2, v5
	v_dual_mul_f32 v5, v135, v21 :: v_dual_add_f32 v2, v2, v4
	s_delay_alu instid0(VALU_DEP_1) | instskip(SKIP_2) | instid1(VALU_DEP_2)
	v_fma_f32 v5, v134, v20, -v5
	v_mul_f32_e32 v3, v133, v19
	v_mul_f32_e32 v4, v137, v25
	v_fma_f32 v3, v132, v18, -v3
	v_add_f32_e32 v1, v1, v152
	s_delay_alu instid0(VALU_DEP_3) | instskip(NEXT) | instid1(VALU_DEP_3)
	v_fma_f32 v4, v136, v24, -v4
	v_add_f32_e32 v2, v2, v3
	s_delay_alu instid0(VALU_DEP_1) | instskip(NEXT) | instid1(VALU_DEP_4)
	v_dual_mul_f32 v3, v139, v27 :: v_dual_add_f32 v2, v2, v5
	v_add_f32_e32 v1, v1, v153
	s_delay_alu instid0(VALU_DEP_2) | instskip(NEXT) | instid1(VALU_DEP_2)
	v_fma_f32 v3, v138, v26, -v3
	v_dual_add_f32 v2, v2, v4 :: v_dual_add_f32 v1, v1, v154
	v_mul_f32_e32 v4, v143, v111
	s_delay_alu instid0(VALU_DEP_2) | instskip(SKIP_1) | instid1(VALU_DEP_3)
	v_dual_fmac_f32 v157, v135, v20 :: v_dual_add_f32 v2, v2, v3
	v_mul_f32_e32 v3, v145, v113
	v_fma_f32 v4, v142, v110, -v4
	v_mul_f32_e32 v5, v141, v109
	s_delay_alu instid0(VALU_DEP_3) | instskip(NEXT) | instid1(VALU_DEP_2)
	v_fma_f32 v3, v144, v112, -v3
	v_fma_f32 v5, v140, v108, -v5
	s_delay_alu instid0(VALU_DEP_1) | instskip(NEXT) | instid1(VALU_DEP_1)
	v_dual_add_f32 v1, v1, v155 :: v_dual_add_f32 v2, v2, v5
	v_dual_mul_f32 v5, v147, v115 :: v_dual_add_f32 v2, v2, v4
	s_delay_alu instid0(VALU_DEP_2) | instskip(NEXT) | instid1(VALU_DEP_2)
	v_add_f32_e32 v1, v1, v156
	v_fma_f32 v4, v146, v114, -v5
	s_delay_alu instid0(VALU_DEP_2) | instskip(NEXT) | instid1(VALU_DEP_1)
	v_dual_add_f32 v2, v2, v3 :: v_dual_add_f32 v1, v1, v157
	v_dual_add_f32 v2, v2, v4 :: v_dual_add_f32 v1, v1, v158
	s_delay_alu instid0(VALU_DEP_1) | instskip(NEXT) | instid1(VALU_DEP_1)
	v_add_f32_e32 v1, v1, v159
	v_add_f32_e32 v1, v1, v160
	s_delay_alu instid0(VALU_DEP_1) | instskip(NEXT) | instid1(VALU_DEP_1)
	v_add_f32_e32 v1, v1, v161
	v_add_f32_e32 v1, v1, v162
	s_delay_alu instid0(VALU_DEP_1) | instskip(SKIP_1) | instid1(VALU_DEP_1)
	v_add_f32_e32 v3, v1, v163
	s_wait_loadcnt 0x0
	v_dual_sub_f32 v1, v148, v2 :: v_dual_sub_f32 v2, v149, v3
	scratch_store_b64 off, v[1:2], off offset:184
	v_cmpx_lt_u32_e32 22, v0
	s_cbranch_execz .LBB103_209
; %bb.208:
	scratch_load_b64 v[1:2], off, off offset:176
	v_mov_b32_e32 v3, 0
	s_delay_alu instid0(VALU_DEP_1)
	v_mov_b32_e32 v4, v3
	scratch_store_b64 off, v[3:4], off offset:176
	s_wait_loadcnt 0x0
	ds_store_b64 v23, v[1:2]
.LBB103_209:
	s_wait_alu 0xfffe
	s_or_b32 exec_lo, exec_lo, s0
	s_wait_storecnt_dscnt 0x0
	s_barrier_signal -1
	s_barrier_wait -1
	global_inv scope:SCOPE_SE
	s_clause 0x9
	scratch_load_b128 v[2:5], off, off offset:184
	scratch_load_b128 v[6:9], off, off offset:200
	;; [unrolled: 1-line block ×8, first 2 shown]
	scratch_load_b64 v[148:149], off, off offset:312
	scratch_load_b64 v[150:151], off, off offset:176
	v_mov_b32_e32 v1, 0
	ds_load_2addr_b64 v[116:119], v1 offset0:63 offset1:64
	ds_load_2addr_b64 v[120:123], v1 offset0:65 offset1:66
	;; [unrolled: 1-line block ×8, first 2 shown]
	ds_load_b64 v[152:153], v1 offset:632
	s_mov_b32 s0, exec_lo
	s_wait_loadcnt_dscnt 0x908
	v_mul_f32_e32 v22, v116, v3
	v_dual_mul_f32 v3, v117, v3 :: v_dual_mul_f32 v154, v118, v5
	s_wait_loadcnt_dscnt 0x504
	v_dual_mul_f32 v155, v120, v7 :: v_dual_mul_f32 v162, v134, v21
	v_mul_f32_e32 v5, v119, v5
	s_delay_alu instid0(VALU_DEP_3)
	v_fma_f32 v3, v116, v2, -v3
	v_dual_mul_f32 v156, v122, v9 :: v_dual_mul_f32 v157, v124, v11
	s_wait_loadcnt_dscnt 0x100
	v_dual_mul_f32 v169, v152, v149 :: v_dual_fmac_f32 v22, v117, v2
	v_mul_f32_e32 v2, v121, v7
	v_dual_fmac_f32 v154, v119, v4 :: v_dual_add_f32 v3, 0, v3
	v_fma_f32 v4, v118, v4, -v5
	s_delay_alu instid0(VALU_DEP_4) | instskip(SKIP_2) | instid1(VALU_DEP_4)
	v_dual_add_f32 v5, 0, v22 :: v_dual_fmac_f32 v156, v123, v8
	v_mul_f32_e32 v7, v123, v9
	v_fma_f32 v2, v120, v6, -v2
	v_add_f32_e32 v3, v3, v4
	v_fmac_f32_e32 v155, v121, v6
	v_add_f32_e32 v4, v5, v154
	v_mul_f32_e32 v5, v125, v11
	v_fma_f32 v6, v122, v8, -v7
	v_add_f32_e32 v2, v3, v2
	v_dual_mul_f32 v158, v126, v13 :: v_dual_mul_f32 v159, v128, v15
	v_dual_add_f32 v3, v4, v155 :: v_dual_mul_f32 v4, v127, v13
	v_fma_f32 v5, v124, v10, -v5
	s_delay_alu instid0(VALU_DEP_4)
	v_add_f32_e32 v2, v2, v6
	v_fmac_f32_e32 v157, v125, v10
	v_mul_f32_e32 v6, v129, v15
	v_fmac_f32_e32 v158, v127, v12
	v_add_f32_e32 v3, v3, v156
	v_fma_f32 v4, v126, v12, -v4
	v_add_f32_e32 v2, v2, v5
	v_dual_mul_f32 v160, v130, v17 :: v_dual_mul_f32 v161, v132, v19
	s_delay_alu instid0(VALU_DEP_4)
	v_add_f32_e32 v3, v3, v157
	v_mul_f32_e32 v5, v131, v17
	v_fma_f32 v6, v128, v14, -v6
	v_dual_add_f32 v2, v2, v4 :: v_dual_fmac_f32 v159, v129, v14
	v_fmac_f32_e32 v160, v131, v16
	v_mul_f32_e32 v4, v133, v19
	v_fma_f32 v5, v130, v16, -v5
	s_delay_alu instid0(VALU_DEP_4) | instskip(SKIP_3) | instid1(VALU_DEP_3)
	v_add_f32_e32 v2, v2, v6
	v_add_f32_e32 v3, v3, v158
	v_dual_mul_f32 v6, v135, v21 :: v_dual_fmac_f32 v161, v133, v18
	v_fma_f32 v4, v132, v18, -v4
	v_dual_add_f32 v2, v2, v5 :: v_dual_add_f32 v3, v3, v159
	s_delay_alu instid0(VALU_DEP_3) | instskip(SKIP_1) | instid1(VALU_DEP_3)
	v_fma_f32 v6, v134, v20, -v6
	v_dual_mul_f32 v163, v136, v25 :: v_dual_mul_f32 v164, v138, v27
	v_add_f32_e32 v2, v2, v4
	s_delay_alu instid0(VALU_DEP_4) | instskip(SKIP_1) | instid1(VALU_DEP_4)
	v_add_f32_e32 v3, v3, v160
	v_dual_mul_f32 v5, v137, v25 :: v_dual_fmac_f32 v162, v135, v20
	v_dual_mul_f32 v4, v139, v27 :: v_dual_fmac_f32 v163, v137, v24
	s_delay_alu instid0(VALU_DEP_3) | instskip(NEXT) | instid1(VALU_DEP_3)
	v_dual_add_f32 v2, v2, v6 :: v_dual_add_f32 v3, v3, v161
	v_fma_f32 v5, v136, v24, -v5
	v_dual_mul_f32 v165, v140, v109 :: v_dual_mul_f32 v166, v142, v111
	s_delay_alu instid0(VALU_DEP_3) | instskip(NEXT) | instid1(VALU_DEP_2)
	v_dual_mul_f32 v6, v141, v109 :: v_dual_add_f32 v3, v3, v162
	v_dual_fmac_f32 v164, v139, v26 :: v_dual_fmac_f32 v165, v141, v108
	v_fma_f32 v4, v138, v26, -v4
	s_delay_alu instid0(VALU_DEP_3) | instskip(SKIP_3) | instid1(VALU_DEP_4)
	v_dual_add_f32 v2, v2, v5 :: v_dual_add_f32 v3, v3, v163
	v_mul_f32_e32 v5, v143, v111
	v_fma_f32 v6, v140, v108, -v6
	v_dual_mul_f32 v167, v144, v113 :: v_dual_mul_f32 v168, v146, v115
	v_add_f32_e32 v2, v2, v4
	v_dual_add_f32 v3, v3, v164 :: v_dual_mul_f32 v4, v145, v113
	s_delay_alu instid0(VALU_DEP_3) | instskip(SKIP_1) | instid1(VALU_DEP_3)
	v_dual_fmac_f32 v166, v143, v110 :: v_dual_fmac_f32 v167, v145, v112
	v_fma_f32 v5, v142, v110, -v5
	v_dual_add_f32 v2, v2, v6 :: v_dual_add_f32 v3, v3, v165
	v_mul_f32_e32 v6, v147, v115
	v_fma_f32 v4, v144, v112, -v4
	v_dual_fmac_f32 v168, v147, v114 :: v_dual_fmac_f32 v169, v153, v148
	s_delay_alu instid0(VALU_DEP_4) | instskip(SKIP_2) | instid1(VALU_DEP_3)
	v_dual_add_f32 v2, v2, v5 :: v_dual_add_f32 v3, v3, v166
	v_mul_f32_e32 v5, v153, v149
	v_fma_f32 v6, v146, v114, -v6
	v_dual_add_f32 v2, v2, v4 :: v_dual_add_f32 v3, v3, v167
	s_delay_alu instid0(VALU_DEP_3) | instskip(NEXT) | instid1(VALU_DEP_2)
	v_fma_f32 v4, v152, v148, -v5
	v_dual_add_f32 v2, v2, v6 :: v_dual_add_f32 v3, v3, v168
	s_delay_alu instid0(VALU_DEP_1) | instskip(SKIP_1) | instid1(VALU_DEP_1)
	v_dual_add_f32 v2, v2, v4 :: v_dual_add_f32 v3, v3, v169
	s_wait_loadcnt 0x0
	v_dual_sub_f32 v2, v150, v2 :: v_dual_sub_f32 v3, v151, v3
	scratch_store_b64 off, v[2:3], off offset:176
	v_cmpx_lt_u32_e32 21, v0
	s_cbranch_execz .LBB103_211
; %bb.210:
	scratch_load_b64 v[3:4], off, off offset:168
	v_mov_b32_e32 v2, v1
	scratch_store_b64 off, v[1:2], off offset:168
	s_wait_loadcnt 0x0
	ds_store_b64 v23, v[3:4]
.LBB103_211:
	s_wait_alu 0xfffe
	s_or_b32 exec_lo, exec_lo, s0
	s_wait_storecnt_dscnt 0x0
	s_barrier_signal -1
	s_barrier_wait -1
	global_inv scope:SCOPE_SE
	s_clause 0x9
	scratch_load_b128 v[2:5], off, off offset:176
	scratch_load_b128 v[6:9], off, off offset:192
	;; [unrolled: 1-line block ×9, first 2 shown]
	scratch_load_b64 v[156:157], off, off offset:168
	ds_load_b128 v[120:123], v1 offset:496
	ds_load_b128 v[124:127], v1 offset:512
	;; [unrolled: 1-line block ×9, first 2 shown]
	s_mov_b32 s0, exec_lo
	s_wait_loadcnt_dscnt 0x908
	v_dual_mul_f32 v1, v120, v3 :: v_dual_mul_f32 v22, v122, v5
	v_mul_f32_e32 v5, v123, v5
	v_mul_f32_e32 v3, v121, v3
	s_wait_loadcnt_dscnt 0x807
	v_dual_mul_f32 v158, v124, v7 :: v_dual_mul_f32 v159, v126, v9
	s_wait_loadcnt_dscnt 0x201
	v_dual_fmac_f32 v1, v121, v2 :: v_dual_mul_f32 v170, v148, v113
	v_fma_f32 v3, v120, v2, -v3
	s_wait_loadcnt_dscnt 0x100
	v_dual_mul_f32 v173, v154, v119 :: v_dual_fmac_f32 v22, v123, v4
	v_mul_f32_e32 v2, v125, v7
	v_fma_f32 v4, v122, v4, -v5
	v_dual_add_f32 v3, 0, v3 :: v_dual_fmac_f32 v158, v125, v6
	v_dual_mul_f32 v160, v128, v11 :: v_dual_mul_f32 v161, v130, v13
	v_dual_mul_f32 v162, v132, v15 :: v_dual_mul_f32 v163, v134, v17
	s_delay_alu instid0(VALU_DEP_2) | instskip(SKIP_1) | instid1(VALU_DEP_3)
	v_dual_mul_f32 v5, v127, v9 :: v_dual_fmac_f32 v160, v129, v10
	v_fma_f32 v2, v124, v6, -v2
	v_dual_add_f32 v3, v3, v4 :: v_dual_fmac_f32 v162, v133, v14
	s_delay_alu instid0(VALU_DEP_3) | instskip(SKIP_1) | instid1(VALU_DEP_3)
	v_fma_f32 v5, v126, v8, -v5
	v_dual_mul_f32 v164, v136, v19 :: v_dual_mul_f32 v165, v138, v21
	v_add_f32_e32 v2, v3, v2
	v_dual_mul_f32 v4, v129, v11 :: v_dual_mul_f32 v3, v131, v13
	s_delay_alu instid0(VALU_DEP_3) | instskip(SKIP_1) | instid1(VALU_DEP_4)
	v_fmac_f32_e32 v164, v137, v18
	v_dual_mul_f32 v166, v140, v25 :: v_dual_mul_f32 v167, v142, v27
	v_add_f32_e32 v2, v2, v5
	v_add_f32_e32 v1, 0, v1
	v_fma_f32 v4, v128, v10, -v4
	v_fma_f32 v3, v130, v12, -v3
	v_dual_fmac_f32 v163, v135, v16 :: v_dual_mul_f32 v168, v144, v109
	v_mul_f32_e32 v169, v146, v111
	s_delay_alu instid0(VALU_DEP_4) | instskip(SKIP_3) | instid1(VALU_DEP_4)
	v_dual_add_f32 v1, v1, v22 :: v_dual_add_f32 v2, v2, v4
	v_mul_f32_e32 v4, v135, v17
	v_fmac_f32_e32 v159, v127, v8
	v_dual_mul_f32 v171, v150, v115 :: v_dual_mul_f32 v172, v152, v117
	v_add_f32_e32 v1, v1, v158
	s_delay_alu instid0(VALU_DEP_4) | instskip(SKIP_2) | instid1(VALU_DEP_4)
	v_fma_f32 v4, v134, v16, -v4
	v_mul_f32_e32 v5, v133, v15
	v_dual_add_f32 v2, v2, v3 :: v_dual_fmac_f32 v169, v147, v110
	v_add_f32_e32 v1, v1, v159
	v_dual_fmac_f32 v167, v143, v26 :: v_dual_fmac_f32 v170, v149, v112
	s_delay_alu instid0(VALU_DEP_4) | instskip(SKIP_3) | instid1(VALU_DEP_4)
	v_fma_f32 v5, v132, v14, -v5
	v_fmac_f32_e32 v161, v131, v12
	v_dual_fmac_f32 v166, v141, v24 :: v_dual_fmac_f32 v173, v155, v118
	v_fmac_f32_e32 v168, v145, v108
	v_add_f32_e32 v2, v2, v5
	v_dual_mul_f32 v5, v139, v21 :: v_dual_fmac_f32 v172, v153, v116
	s_delay_alu instid0(VALU_DEP_2) | instskip(NEXT) | instid1(VALU_DEP_2)
	v_add_f32_e32 v2, v2, v4
	v_fma_f32 v5, v138, v20, -v5
	v_mul_f32_e32 v3, v137, v19
	v_mul_f32_e32 v4, v141, v25
	s_delay_alu instid0(VALU_DEP_2) | instskip(SKIP_1) | instid1(VALU_DEP_3)
	v_fma_f32 v3, v136, v18, -v3
	v_add_f32_e32 v1, v1, v160
	v_fma_f32 v4, v140, v24, -v4
	s_delay_alu instid0(VALU_DEP_3) | instskip(NEXT) | instid1(VALU_DEP_1)
	v_add_f32_e32 v2, v2, v3
	v_dual_mul_f32 v3, v143, v27 :: v_dual_add_f32 v2, v2, v5
	s_delay_alu instid0(VALU_DEP_4) | instskip(NEXT) | instid1(VALU_DEP_2)
	v_add_f32_e32 v1, v1, v161
	v_fma_f32 v3, v142, v26, -v3
	s_delay_alu instid0(VALU_DEP_2) | instskip(SKIP_1) | instid1(VALU_DEP_2)
	v_dual_add_f32 v2, v2, v4 :: v_dual_add_f32 v1, v1, v162
	v_mul_f32_e32 v4, v147, v111
	v_dual_fmac_f32 v165, v139, v20 :: v_dual_add_f32 v2, v2, v3
	v_mul_f32_e32 v3, v149, v113
	s_delay_alu instid0(VALU_DEP_3) | instskip(SKIP_1) | instid1(VALU_DEP_3)
	v_fma_f32 v4, v146, v110, -v4
	v_mul_f32_e32 v5, v145, v109
	v_fma_f32 v3, v148, v112, -v3
	s_delay_alu instid0(VALU_DEP_2) | instskip(NEXT) | instid1(VALU_DEP_1)
	v_fma_f32 v5, v144, v108, -v5
	v_dual_add_f32 v1, v1, v163 :: v_dual_add_f32 v2, v2, v5
	s_delay_alu instid0(VALU_DEP_1) | instskip(NEXT) | instid1(VALU_DEP_2)
	v_dual_mul_f32 v5, v151, v115 :: v_dual_add_f32 v2, v2, v4
	v_add_f32_e32 v1, v1, v164
	v_mul_f32_e32 v4, v153, v117
	s_delay_alu instid0(VALU_DEP_3) | instskip(NEXT) | instid1(VALU_DEP_4)
	v_fma_f32 v5, v150, v114, -v5
	v_dual_add_f32 v2, v2, v3 :: v_dual_fmac_f32 v171, v151, v114
	v_mul_f32_e32 v3, v155, v119
	s_delay_alu instid0(VALU_DEP_4) | instskip(NEXT) | instid1(VALU_DEP_3)
	v_fma_f32 v4, v152, v116, -v4
	v_add_f32_e32 v2, v2, v5
	v_add_f32_e32 v1, v1, v165
	s_delay_alu instid0(VALU_DEP_4) | instskip(NEXT) | instid1(VALU_DEP_2)
	v_fma_f32 v3, v154, v118, -v3
	v_dual_add_f32 v2, v2, v4 :: v_dual_add_f32 v1, v1, v166
	s_delay_alu instid0(VALU_DEP_1) | instskip(NEXT) | instid1(VALU_DEP_2)
	v_add_f32_e32 v2, v2, v3
	v_add_f32_e32 v1, v1, v167
	s_delay_alu instid0(VALU_DEP_1) | instskip(NEXT) | instid1(VALU_DEP_1)
	v_add_f32_e32 v1, v1, v168
	v_add_f32_e32 v1, v1, v169
	s_delay_alu instid0(VALU_DEP_1) | instskip(NEXT) | instid1(VALU_DEP_1)
	;; [unrolled: 3-line block ×3, first 2 shown]
	v_add_f32_e32 v1, v1, v172
	v_add_f32_e32 v3, v1, v173
	s_wait_loadcnt 0x0
	s_delay_alu instid0(VALU_DEP_1)
	v_dual_sub_f32 v1, v156, v2 :: v_dual_sub_f32 v2, v157, v3
	scratch_store_b64 off, v[1:2], off offset:168
	v_cmpx_lt_u32_e32 20, v0
	s_cbranch_execz .LBB103_213
; %bb.212:
	scratch_load_b64 v[1:2], off, off offset:160
	v_mov_b32_e32 v3, 0
	s_delay_alu instid0(VALU_DEP_1)
	v_mov_b32_e32 v4, v3
	scratch_store_b64 off, v[3:4], off offset:160
	s_wait_loadcnt 0x0
	ds_store_b64 v23, v[1:2]
.LBB103_213:
	s_wait_alu 0xfffe
	s_or_b32 exec_lo, exec_lo, s0
	s_wait_storecnt_dscnt 0x0
	s_barrier_signal -1
	s_barrier_wait -1
	global_inv scope:SCOPE_SE
	s_clause 0xa
	scratch_load_b128 v[2:5], off, off offset:168
	scratch_load_b128 v[6:9], off, off offset:184
	;; [unrolled: 1-line block ×9, first 2 shown]
	scratch_load_b64 v[156:157], off, off offset:312
	scratch_load_b64 v[158:159], off, off offset:160
	v_mov_b32_e32 v1, 0
	ds_load_2addr_b64 v[120:123], v1 offset0:61 offset1:62
	ds_load_2addr_b64 v[124:127], v1 offset0:63 offset1:64
	;; [unrolled: 1-line block ×9, first 2 shown]
	ds_load_b64 v[160:161], v1 offset:632
	s_mov_b32 s0, exec_lo
	s_wait_loadcnt_dscnt 0xa09
	v_mul_f32_e32 v22, v120, v3
	v_dual_mul_f32 v3, v121, v3 :: v_dual_mul_f32 v162, v122, v5
	s_wait_loadcnt_dscnt 0x605
	v_dual_mul_f32 v163, v124, v7 :: v_dual_mul_f32 v170, v138, v21
	v_mul_f32_e32 v5, v123, v5
	s_delay_alu instid0(VALU_DEP_3)
	v_fma_f32 v3, v120, v2, -v3
	v_dual_mul_f32 v164, v126, v9 :: v_dual_mul_f32 v165, v128, v11
	s_wait_loadcnt_dscnt 0x100
	v_dual_mul_f32 v179, v160, v157 :: v_dual_fmac_f32 v22, v121, v2
	v_mul_f32_e32 v2, v125, v7
	v_dual_fmac_f32 v162, v123, v4 :: v_dual_add_f32 v3, 0, v3
	v_fma_f32 v4, v122, v4, -v5
	s_delay_alu instid0(VALU_DEP_4) | instskip(SKIP_2) | instid1(VALU_DEP_4)
	v_dual_add_f32 v5, 0, v22 :: v_dual_fmac_f32 v164, v127, v8
	v_mul_f32_e32 v7, v127, v9
	v_fma_f32 v2, v124, v6, -v2
	v_add_f32_e32 v3, v3, v4
	v_fmac_f32_e32 v163, v125, v6
	v_add_f32_e32 v4, v5, v162
	v_mul_f32_e32 v5, v129, v11
	v_fma_f32 v6, v126, v8, -v7
	v_add_f32_e32 v2, v3, v2
	v_dual_mul_f32 v166, v130, v13 :: v_dual_mul_f32 v167, v132, v15
	v_dual_add_f32 v3, v4, v163 :: v_dual_mul_f32 v4, v131, v13
	v_fma_f32 v5, v128, v10, -v5
	s_delay_alu instid0(VALU_DEP_4)
	v_add_f32_e32 v2, v2, v6
	v_fmac_f32_e32 v165, v129, v10
	v_mul_f32_e32 v6, v133, v15
	v_fmac_f32_e32 v166, v131, v12
	v_add_f32_e32 v3, v3, v164
	v_fma_f32 v4, v130, v12, -v4
	v_add_f32_e32 v2, v2, v5
	v_dual_mul_f32 v168, v134, v17 :: v_dual_mul_f32 v169, v136, v19
	s_delay_alu instid0(VALU_DEP_4)
	v_add_f32_e32 v3, v3, v165
	v_mul_f32_e32 v5, v135, v17
	v_fma_f32 v6, v132, v14, -v6
	v_dual_add_f32 v2, v2, v4 :: v_dual_fmac_f32 v167, v133, v14
	v_fmac_f32_e32 v168, v135, v16
	v_mul_f32_e32 v4, v137, v19
	v_fma_f32 v5, v134, v16, -v5
	s_delay_alu instid0(VALU_DEP_4) | instskip(SKIP_3) | instid1(VALU_DEP_3)
	v_add_f32_e32 v2, v2, v6
	v_add_f32_e32 v3, v3, v166
	v_dual_mul_f32 v6, v139, v21 :: v_dual_fmac_f32 v169, v137, v18
	v_fma_f32 v4, v136, v18, -v4
	v_dual_add_f32 v2, v2, v5 :: v_dual_add_f32 v3, v3, v167
	s_delay_alu instid0(VALU_DEP_3) | instskip(SKIP_1) | instid1(VALU_DEP_3)
	v_fma_f32 v6, v138, v20, -v6
	v_dual_mul_f32 v171, v140, v25 :: v_dual_mul_f32 v172, v142, v27
	v_add_f32_e32 v2, v2, v4
	s_delay_alu instid0(VALU_DEP_4) | instskip(SKIP_1) | instid1(VALU_DEP_4)
	v_add_f32_e32 v3, v3, v168
	v_dual_mul_f32 v5, v141, v25 :: v_dual_fmac_f32 v170, v139, v20
	v_dual_mul_f32 v4, v143, v27 :: v_dual_fmac_f32 v171, v141, v24
	s_delay_alu instid0(VALU_DEP_3) | instskip(NEXT) | instid1(VALU_DEP_3)
	v_dual_add_f32 v2, v2, v6 :: v_dual_add_f32 v3, v3, v169
	v_fma_f32 v5, v140, v24, -v5
	v_dual_mul_f32 v173, v144, v109 :: v_dual_mul_f32 v174, v146, v111
	s_delay_alu instid0(VALU_DEP_3) | instskip(NEXT) | instid1(VALU_DEP_2)
	v_dual_mul_f32 v6, v145, v109 :: v_dual_add_f32 v3, v3, v170
	v_dual_fmac_f32 v172, v143, v26 :: v_dual_fmac_f32 v173, v145, v108
	v_fma_f32 v4, v142, v26, -v4
	s_delay_alu instid0(VALU_DEP_3) | instskip(SKIP_3) | instid1(VALU_DEP_4)
	v_dual_add_f32 v2, v2, v5 :: v_dual_add_f32 v3, v3, v171
	v_mul_f32_e32 v5, v147, v111
	v_fma_f32 v6, v144, v108, -v6
	v_dual_mul_f32 v175, v148, v113 :: v_dual_mul_f32 v176, v150, v115
	v_add_f32_e32 v2, v2, v4
	v_dual_add_f32 v3, v3, v172 :: v_dual_mul_f32 v4, v149, v113
	s_delay_alu instid0(VALU_DEP_3) | instskip(SKIP_1) | instid1(VALU_DEP_3)
	v_dual_fmac_f32 v174, v147, v110 :: v_dual_fmac_f32 v175, v149, v112
	v_fma_f32 v5, v146, v110, -v5
	v_dual_add_f32 v2, v2, v6 :: v_dual_add_f32 v3, v3, v173
	v_mul_f32_e32 v6, v151, v115
	v_fma_f32 v4, v148, v112, -v4
	v_dual_mul_f32 v177, v152, v117 :: v_dual_mul_f32 v178, v154, v119
	s_delay_alu instid0(VALU_DEP_4) | instskip(SKIP_1) | instid1(VALU_DEP_3)
	v_dual_add_f32 v2, v2, v5 :: v_dual_add_f32 v3, v3, v174
	v_dual_mul_f32 v5, v153, v117 :: v_dual_fmac_f32 v176, v151, v114
	v_fmac_f32_e32 v177, v153, v116
	v_fma_f32 v6, v150, v114, -v6
	s_delay_alu instid0(VALU_DEP_4) | instskip(SKIP_2) | instid1(VALU_DEP_3)
	v_dual_add_f32 v2, v2, v4 :: v_dual_add_f32 v3, v3, v175
	v_dual_mul_f32 v4, v155, v119 :: v_dual_fmac_f32 v179, v161, v156
	v_fma_f32 v5, v152, v116, -v5
	v_dual_add_f32 v2, v2, v6 :: v_dual_add_f32 v3, v3, v176
	v_fmac_f32_e32 v178, v155, v118
	s_delay_alu instid0(VALU_DEP_4) | instskip(NEXT) | instid1(VALU_DEP_3)
	v_fma_f32 v4, v154, v118, -v4
	v_add_f32_e32 v3, v3, v177
	s_delay_alu instid0(VALU_DEP_1) | instskip(SKIP_1) | instid1(VALU_DEP_2)
	v_dual_mul_f32 v6, v161, v157 :: v_dual_add_f32 v3, v3, v178
	v_add_f32_e32 v2, v2, v5
	v_fma_f32 v5, v160, v156, -v6
	s_delay_alu instid0(VALU_DEP_2) | instskip(SKIP_1) | instid1(VALU_DEP_1)
	v_dual_add_f32 v3, v3, v179 :: v_dual_add_f32 v2, v2, v4
	s_wait_loadcnt 0x0
	v_dual_sub_f32 v3, v159, v3 :: v_dual_add_f32 v2, v2, v5
	s_delay_alu instid0(VALU_DEP_1)
	v_sub_f32_e32 v2, v158, v2
	scratch_store_b64 off, v[2:3], off offset:160
	v_cmpx_lt_u32_e32 19, v0
	s_cbranch_execz .LBB103_215
; %bb.214:
	scratch_load_b64 v[3:4], off, off offset:152
	v_mov_b32_e32 v2, v1
	scratch_store_b64 off, v[1:2], off offset:152
	s_wait_loadcnt 0x0
	ds_store_b64 v23, v[3:4]
.LBB103_215:
	s_wait_alu 0xfffe
	s_or_b32 exec_lo, exec_lo, s0
	s_wait_storecnt_dscnt 0x0
	s_barrier_signal -1
	s_barrier_wait -1
	global_inv scope:SCOPE_SE
	s_clause 0xa
	scratch_load_b128 v[2:5], off, off offset:160
	scratch_load_b128 v[6:9], off, off offset:176
	;; [unrolled: 1-line block ×10, first 2 shown]
	scratch_load_b64 v[164:165], off, off offset:152
	ds_load_b128 v[124:127], v1 offset:480
	ds_load_b128 v[128:131], v1 offset:496
	;; [unrolled: 1-line block ×10, first 2 shown]
	s_mov_b32 s0, exec_lo
	s_wait_loadcnt_dscnt 0xa09
	v_dual_mul_f32 v1, v124, v3 :: v_dual_mul_f32 v22, v126, v5
	s_wait_loadcnt_dscnt 0x908
	v_dual_mul_f32 v5, v127, v5 :: v_dual_mul_f32 v166, v128, v7
	v_mul_f32_e32 v167, v130, v9
	v_mul_f32_e32 v3, v125, v3
	v_dual_fmac_f32 v1, v125, v2 :: v_dual_fmac_f32 v22, v127, v4
	s_wait_loadcnt_dscnt 0x100
	v_dual_mul_f32 v180, v156, v117 :: v_dual_mul_f32 v183, v162, v123
	s_delay_alu instid0(VALU_DEP_3) | instskip(SKIP_3) | instid1(VALU_DEP_4)
	v_fma_f32 v3, v124, v2, -v3
	v_mul_f32_e32 v2, v129, v7
	v_fma_f32 v4, v126, v4, -v5
	v_dual_mul_f32 v168, v132, v11 :: v_dual_mul_f32 v169, v134, v13
	v_dual_add_f32 v3, 0, v3 :: v_dual_fmac_f32 v166, v129, v6
	v_dual_mul_f32 v170, v136, v15 :: v_dual_mul_f32 v171, v138, v17
	s_delay_alu instid0(VALU_DEP_3) | instskip(SKIP_1) | instid1(VALU_DEP_3)
	v_dual_mul_f32 v5, v131, v9 :: v_dual_fmac_f32 v168, v133, v10
	v_fma_f32 v2, v128, v6, -v2
	v_dual_add_f32 v3, v3, v4 :: v_dual_fmac_f32 v170, v137, v14
	s_delay_alu instid0(VALU_DEP_3) | instskip(SKIP_1) | instid1(VALU_DEP_3)
	v_fma_f32 v5, v130, v8, -v5
	v_dual_mul_f32 v172, v140, v19 :: v_dual_mul_f32 v173, v142, v21
	v_add_f32_e32 v2, v3, v2
	v_dual_mul_f32 v3, v135, v13 :: v_dual_mul_f32 v4, v133, v11
	s_delay_alu instid0(VALU_DEP_3) | instskip(SKIP_1) | instid1(VALU_DEP_4)
	v_fmac_f32_e32 v172, v141, v18
	v_dual_mul_f32 v174, v144, v25 :: v_dual_mul_f32 v175, v146, v27
	v_add_f32_e32 v2, v2, v5
	v_add_f32_e32 v1, 0, v1
	v_fma_f32 v4, v132, v10, -v4
	v_fma_f32 v3, v134, v12, -v3
	v_dual_fmac_f32 v171, v139, v16 :: v_dual_mul_f32 v176, v148, v109
	v_mul_f32_e32 v177, v150, v111
	s_delay_alu instid0(VALU_DEP_4) | instskip(SKIP_3) | instid1(VALU_DEP_4)
	v_dual_add_f32 v1, v1, v22 :: v_dual_add_f32 v2, v2, v4
	v_mul_f32_e32 v4, v139, v17
	v_dual_fmac_f32 v167, v131, v8 :: v_dual_mul_f32 v178, v152, v113
	v_mul_f32_e32 v179, v154, v115
	v_add_f32_e32 v1, v1, v166
	s_delay_alu instid0(VALU_DEP_4) | instskip(SKIP_2) | instid1(VALU_DEP_4)
	v_fma_f32 v4, v138, v16, -v4
	v_mul_f32_e32 v5, v137, v15
	v_dual_add_f32 v2, v2, v3 :: v_dual_fmac_f32 v177, v151, v110
	v_add_f32_e32 v1, v1, v167
	v_dual_mul_f32 v181, v158, v119 :: v_dual_mul_f32 v182, v160, v121
	s_delay_alu instid0(VALU_DEP_4) | instskip(SKIP_3) | instid1(VALU_DEP_4)
	v_fma_f32 v5, v136, v14, -v5
	v_fmac_f32_e32 v169, v135, v12
	v_dual_fmac_f32 v174, v145, v24 :: v_dual_fmac_f32 v175, v147, v26
	v_fmac_f32_e32 v178, v153, v112
	v_add_f32_e32 v2, v2, v5
	v_mul_f32_e32 v5, v143, v21
	v_fmac_f32_e32 v181, v159, v118
	v_dual_fmac_f32 v183, v163, v122 :: v_dual_fmac_f32 v176, v149, v108
	s_delay_alu instid0(VALU_DEP_4) | instskip(NEXT) | instid1(VALU_DEP_4)
	v_add_f32_e32 v2, v2, v4
	v_fma_f32 v5, v142, v20, -v5
	v_mul_f32_e32 v3, v141, v19
	v_mul_f32_e32 v4, v145, v25
	v_fmac_f32_e32 v180, v157, v116
	v_fmac_f32_e32 v182, v161, v120
	s_delay_alu instid0(VALU_DEP_4) | instskip(SKIP_2) | instid1(VALU_DEP_3)
	v_fma_f32 v3, v140, v18, -v3
	v_add_f32_e32 v1, v1, v168
	v_fma_f32 v4, v144, v24, -v4
	v_add_f32_e32 v2, v2, v3
	s_delay_alu instid0(VALU_DEP_1) | instskip(NEXT) | instid1(VALU_DEP_4)
	v_dual_mul_f32 v3, v147, v27 :: v_dual_add_f32 v2, v2, v5
	v_add_f32_e32 v1, v1, v169
	s_delay_alu instid0(VALU_DEP_2) | instskip(NEXT) | instid1(VALU_DEP_2)
	v_fma_f32 v3, v146, v26, -v3
	v_dual_add_f32 v2, v2, v4 :: v_dual_add_f32 v1, v1, v170
	v_mul_f32_e32 v4, v151, v111
	s_delay_alu instid0(VALU_DEP_2) | instskip(SKIP_1) | instid1(VALU_DEP_3)
	v_dual_fmac_f32 v173, v143, v20 :: v_dual_add_f32 v2, v2, v3
	v_mul_f32_e32 v3, v153, v113
	v_fma_f32 v4, v150, v110, -v4
	v_mul_f32_e32 v5, v149, v109
	s_delay_alu instid0(VALU_DEP_3) | instskip(NEXT) | instid1(VALU_DEP_2)
	v_fma_f32 v3, v152, v112, -v3
	v_fma_f32 v5, v148, v108, -v5
	s_delay_alu instid0(VALU_DEP_1) | instskip(NEXT) | instid1(VALU_DEP_1)
	v_dual_add_f32 v1, v1, v171 :: v_dual_add_f32 v2, v2, v5
	v_dual_mul_f32 v5, v155, v115 :: v_dual_add_f32 v2, v2, v4
	s_delay_alu instid0(VALU_DEP_2) | instskip(SKIP_1) | instid1(VALU_DEP_3)
	v_add_f32_e32 v1, v1, v172
	v_mul_f32_e32 v4, v157, v117
	v_fma_f32 v5, v154, v114, -v5
	s_delay_alu instid0(VALU_DEP_4) | instskip(SKIP_1) | instid1(VALU_DEP_4)
	v_dual_add_f32 v2, v2, v3 :: v_dual_fmac_f32 v179, v155, v114
	v_mul_f32_e32 v3, v159, v119
	v_fma_f32 v4, v156, v116, -v4
	s_delay_alu instid0(VALU_DEP_3) | instskip(SKIP_1) | instid1(VALU_DEP_4)
	v_add_f32_e32 v2, v2, v5
	v_add_f32_e32 v1, v1, v173
	v_fma_f32 v3, v158, v118, -v3
	s_delay_alu instid0(VALU_DEP_2) | instskip(SKIP_1) | instid1(VALU_DEP_2)
	v_dual_add_f32 v2, v2, v4 :: v_dual_add_f32 v1, v1, v174
	v_dual_mul_f32 v4, v163, v123 :: v_dual_mul_f32 v5, v161, v121
	v_add_f32_e32 v2, v2, v3
	s_delay_alu instid0(VALU_DEP_2) | instskip(NEXT) | instid1(VALU_DEP_3)
	v_fma_f32 v3, v162, v122, -v4
	v_fma_f32 v5, v160, v120, -v5
	s_delay_alu instid0(VALU_DEP_1) | instskip(NEXT) | instid1(VALU_DEP_1)
	v_dual_add_f32 v1, v1, v175 :: v_dual_add_f32 v2, v2, v5
	v_dual_add_f32 v1, v1, v176 :: v_dual_add_f32 v2, v2, v3
	s_delay_alu instid0(VALU_DEP_1) | instskip(NEXT) | instid1(VALU_DEP_1)
	v_add_f32_e32 v1, v1, v177
	v_add_f32_e32 v1, v1, v178
	s_delay_alu instid0(VALU_DEP_1) | instskip(NEXT) | instid1(VALU_DEP_1)
	v_add_f32_e32 v1, v1, v179
	v_add_f32_e32 v1, v1, v180
	;; [unrolled: 3-line block ×3, first 2 shown]
	s_delay_alu instid0(VALU_DEP_1) | instskip(SKIP_1) | instid1(VALU_DEP_1)
	v_add_f32_e32 v3, v1, v183
	s_wait_loadcnt 0x0
	v_dual_sub_f32 v1, v164, v2 :: v_dual_sub_f32 v2, v165, v3
	scratch_store_b64 off, v[1:2], off offset:152
	v_cmpx_lt_u32_e32 18, v0
	s_cbranch_execz .LBB103_217
; %bb.216:
	scratch_load_b64 v[1:2], off, off offset:144
	v_mov_b32_e32 v3, 0
	s_delay_alu instid0(VALU_DEP_1)
	v_mov_b32_e32 v4, v3
	scratch_store_b64 off, v[3:4], off offset:144
	s_wait_loadcnt 0x0
	ds_store_b64 v23, v[1:2]
.LBB103_217:
	s_wait_alu 0xfffe
	s_or_b32 exec_lo, exec_lo, s0
	s_wait_storecnt_dscnt 0x0
	s_barrier_signal -1
	s_barrier_wait -1
	global_inv scope:SCOPE_SE
	s_clause 0xb
	scratch_load_b128 v[2:5], off, off offset:152
	scratch_load_b128 v[6:9], off, off offset:168
	;; [unrolled: 1-line block ×10, first 2 shown]
	scratch_load_b64 v[164:165], off, off offset:312
	scratch_load_b64 v[166:167], off, off offset:144
	v_mov_b32_e32 v1, 0
	ds_load_2addr_b64 v[124:127], v1 offset0:59 offset1:60
	ds_load_2addr_b64 v[128:131], v1 offset0:61 offset1:62
	;; [unrolled: 1-line block ×10, first 2 shown]
	ds_load_b64 v[168:169], v1 offset:632
	s_mov_b32 s0, exec_lo
	s_wait_loadcnt_dscnt 0xb0a
	v_mul_f32_e32 v22, v124, v3
	v_dual_mul_f32 v3, v125, v3 :: v_dual_mul_f32 v170, v126, v5
	s_wait_loadcnt_dscnt 0x706
	v_dual_mul_f32 v171, v128, v7 :: v_dual_mul_f32 v178, v142, v21
	v_mul_f32_e32 v5, v127, v5
	s_delay_alu instid0(VALU_DEP_3)
	v_fma_f32 v3, v124, v2, -v3
	v_dual_mul_f32 v172, v130, v9 :: v_dual_mul_f32 v173, v132, v11
	s_wait_loadcnt_dscnt 0x100
	v_dual_fmac_f32 v22, v125, v2 :: v_dual_mul_f32 v189, v168, v165
	v_mul_f32_e32 v2, v129, v7
	v_dual_fmac_f32 v170, v127, v4 :: v_dual_add_f32 v3, 0, v3
	v_fma_f32 v4, v126, v4, -v5
	s_delay_alu instid0(VALU_DEP_4) | instskip(SKIP_2) | instid1(VALU_DEP_4)
	v_dual_add_f32 v5, 0, v22 :: v_dual_fmac_f32 v172, v131, v8
	v_mul_f32_e32 v7, v131, v9
	v_fma_f32 v2, v128, v6, -v2
	v_add_f32_e32 v3, v3, v4
	v_fmac_f32_e32 v171, v129, v6
	v_add_f32_e32 v4, v5, v170
	v_mul_f32_e32 v5, v133, v11
	v_fma_f32 v6, v130, v8, -v7
	v_add_f32_e32 v2, v3, v2
	v_dual_mul_f32 v174, v134, v13 :: v_dual_mul_f32 v175, v136, v15
	v_dual_add_f32 v3, v4, v171 :: v_dual_mul_f32 v4, v135, v13
	v_fma_f32 v5, v132, v10, -v5
	s_delay_alu instid0(VALU_DEP_4)
	v_add_f32_e32 v2, v2, v6
	v_fmac_f32_e32 v173, v133, v10
	v_mul_f32_e32 v6, v137, v15
	v_fmac_f32_e32 v174, v135, v12
	v_add_f32_e32 v3, v3, v172
	v_fma_f32 v4, v134, v12, -v4
	v_add_f32_e32 v2, v2, v5
	v_dual_mul_f32 v176, v138, v17 :: v_dual_mul_f32 v177, v140, v19
	s_delay_alu instid0(VALU_DEP_4)
	v_add_f32_e32 v3, v3, v173
	v_mul_f32_e32 v5, v139, v17
	v_fma_f32 v6, v136, v14, -v6
	v_dual_add_f32 v2, v2, v4 :: v_dual_fmac_f32 v175, v137, v14
	v_fmac_f32_e32 v176, v139, v16
	v_mul_f32_e32 v4, v141, v19
	v_fma_f32 v5, v138, v16, -v5
	s_delay_alu instid0(VALU_DEP_4) | instskip(SKIP_3) | instid1(VALU_DEP_3)
	v_add_f32_e32 v2, v2, v6
	v_add_f32_e32 v3, v3, v174
	v_dual_mul_f32 v6, v143, v21 :: v_dual_fmac_f32 v177, v141, v18
	v_fma_f32 v4, v140, v18, -v4
	v_dual_add_f32 v2, v2, v5 :: v_dual_add_f32 v3, v3, v175
	s_delay_alu instid0(VALU_DEP_3) | instskip(SKIP_1) | instid1(VALU_DEP_3)
	v_fma_f32 v6, v142, v20, -v6
	v_dual_mul_f32 v179, v144, v25 :: v_dual_mul_f32 v180, v146, v27
	v_add_f32_e32 v2, v2, v4
	s_delay_alu instid0(VALU_DEP_4) | instskip(SKIP_1) | instid1(VALU_DEP_4)
	v_add_f32_e32 v3, v3, v176
	v_dual_mul_f32 v5, v145, v25 :: v_dual_fmac_f32 v178, v143, v20
	v_dual_mul_f32 v4, v147, v27 :: v_dual_fmac_f32 v179, v145, v24
	s_delay_alu instid0(VALU_DEP_3) | instskip(NEXT) | instid1(VALU_DEP_3)
	v_dual_add_f32 v2, v2, v6 :: v_dual_add_f32 v3, v3, v177
	v_fma_f32 v5, v144, v24, -v5
	v_dual_mul_f32 v181, v148, v109 :: v_dual_mul_f32 v182, v150, v111
	s_delay_alu instid0(VALU_DEP_3) | instskip(NEXT) | instid1(VALU_DEP_2)
	v_dual_mul_f32 v6, v149, v109 :: v_dual_add_f32 v3, v3, v178
	v_dual_fmac_f32 v180, v147, v26 :: v_dual_fmac_f32 v181, v149, v108
	v_fma_f32 v4, v146, v26, -v4
	s_delay_alu instid0(VALU_DEP_3) | instskip(SKIP_3) | instid1(VALU_DEP_4)
	v_dual_add_f32 v2, v2, v5 :: v_dual_add_f32 v3, v3, v179
	v_mul_f32_e32 v5, v151, v111
	v_fma_f32 v6, v148, v108, -v6
	v_dual_mul_f32 v183, v152, v113 :: v_dual_mul_f32 v184, v154, v115
	v_add_f32_e32 v2, v2, v4
	v_dual_add_f32 v3, v3, v180 :: v_dual_mul_f32 v4, v153, v113
	s_delay_alu instid0(VALU_DEP_3) | instskip(SKIP_1) | instid1(VALU_DEP_3)
	v_dual_fmac_f32 v182, v151, v110 :: v_dual_fmac_f32 v183, v153, v112
	v_fma_f32 v5, v150, v110, -v5
	v_dual_add_f32 v2, v2, v6 :: v_dual_add_f32 v3, v3, v181
	v_mul_f32_e32 v6, v155, v115
	v_fma_f32 v4, v152, v112, -v4
	v_dual_mul_f32 v185, v156, v117 :: v_dual_mul_f32 v186, v158, v119
	s_delay_alu instid0(VALU_DEP_4) | instskip(SKIP_1) | instid1(VALU_DEP_3)
	v_dual_add_f32 v2, v2, v5 :: v_dual_add_f32 v3, v3, v182
	v_dual_mul_f32 v5, v157, v117 :: v_dual_fmac_f32 v184, v155, v114
	v_fmac_f32_e32 v185, v157, v116
	v_fma_f32 v6, v154, v114, -v6
	s_delay_alu instid0(VALU_DEP_4) | instskip(SKIP_2) | instid1(VALU_DEP_3)
	v_dual_add_f32 v2, v2, v4 :: v_dual_add_f32 v3, v3, v183
	v_dual_mul_f32 v187, v160, v121 :: v_dual_mul_f32 v188, v162, v123
	v_mul_f32_e32 v4, v159, v119
	v_dual_add_f32 v2, v2, v6 :: v_dual_add_f32 v3, v3, v184
	v_fma_f32 v5, v156, v116, -v5
	v_dual_fmac_f32 v186, v159, v118 :: v_dual_fmac_f32 v189, v169, v164
	v_fmac_f32_e32 v187, v161, v120
	v_fma_f32 v4, v158, v118, -v4
	v_add_f32_e32 v3, v3, v185
	v_mul_f32_e32 v6, v161, v121
	v_dual_add_f32 v2, v2, v5 :: v_dual_mul_f32 v5, v163, v123
	v_fmac_f32_e32 v188, v163, v122
	s_delay_alu instid0(VALU_DEP_4) | instskip(NEXT) | instid1(VALU_DEP_4)
	v_add_f32_e32 v3, v3, v186
	v_fma_f32 v6, v160, v120, -v6
	s_delay_alu instid0(VALU_DEP_4) | instskip(SKIP_2) | instid1(VALU_DEP_3)
	v_add_f32_e32 v2, v2, v4
	v_mul_f32_e32 v4, v169, v165
	v_fma_f32 v5, v162, v122, -v5
	v_dual_add_f32 v3, v3, v187 :: v_dual_add_f32 v2, v2, v6
	s_delay_alu instid0(VALU_DEP_3) | instskip(NEXT) | instid1(VALU_DEP_2)
	v_fma_f32 v4, v168, v164, -v4
	v_add_f32_e32 v3, v3, v188
	s_delay_alu instid0(VALU_DEP_1) | instskip(SKIP_1) | instid1(VALU_DEP_1)
	v_add_f32_e32 v3, v3, v189
	s_wait_loadcnt 0x0
	v_dual_add_f32 v2, v2, v5 :: v_dual_sub_f32 v3, v167, v3
	s_delay_alu instid0(VALU_DEP_1) | instskip(NEXT) | instid1(VALU_DEP_1)
	v_add_f32_e32 v2, v2, v4
	v_sub_f32_e32 v2, v166, v2
	scratch_store_b64 off, v[2:3], off offset:144
	v_cmpx_lt_u32_e32 17, v0
	s_cbranch_execz .LBB103_219
; %bb.218:
	scratch_load_b64 v[3:4], off, off offset:136
	v_mov_b32_e32 v2, v1
	scratch_store_b64 off, v[1:2], off offset:136
	s_wait_loadcnt 0x0
	ds_store_b64 v23, v[3:4]
.LBB103_219:
	s_wait_alu 0xfffe
	s_or_b32 exec_lo, exec_lo, s0
	s_wait_storecnt_dscnt 0x0
	s_barrier_signal -1
	s_barrier_wait -1
	global_inv scope:SCOPE_SE
	s_clause 0xb
	scratch_load_b128 v[2:5], off, off offset:144
	scratch_load_b128 v[6:9], off, off offset:160
	;; [unrolled: 1-line block ×11, first 2 shown]
	scratch_load_b64 v[172:173], off, off offset:136
	ds_load_b128 v[128:131], v1 offset:464
	ds_load_b128 v[132:135], v1 offset:480
	;; [unrolled: 1-line block ×11, first 2 shown]
	s_mov_b32 s0, exec_lo
	s_wait_loadcnt_dscnt 0xb0a
	v_dual_mul_f32 v1, v128, v3 :: v_dual_mul_f32 v22, v130, v5
	s_wait_loadcnt_dscnt 0xa09
	v_dual_mul_f32 v5, v131, v5 :: v_dual_mul_f32 v174, v132, v7
	v_mul_f32_e32 v175, v134, v9
	v_mul_f32_e32 v3, v129, v3
	v_dual_fmac_f32 v1, v129, v2 :: v_dual_fmac_f32 v22, v131, v4
	s_wait_loadcnt_dscnt 0x908
	v_dual_mul_f32 v176, v136, v11 :: v_dual_mul_f32 v177, v138, v13
	s_wait_loadcnt_dscnt 0x201
	v_mul_f32_e32 v190, v164, v121
	v_fma_f32 v3, v128, v2, -v3
	s_wait_loadcnt_dscnt 0x100
	v_mul_f32_e32 v193, v170, v127
	v_mul_f32_e32 v2, v133, v7
	v_fma_f32 v4, v130, v4, -v5
	v_dual_mul_f32 v178, v140, v15 :: v_dual_mul_f32 v179, v142, v17
	v_dual_add_f32 v3, 0, v3 :: v_dual_fmac_f32 v174, v133, v6
	v_dual_mul_f32 v5, v135, v9 :: v_dual_fmac_f32 v176, v137, v10
	v_fma_f32 v2, v132, v6, -v2
	s_delay_alu instid0(VALU_DEP_3) | instskip(NEXT) | instid1(VALU_DEP_3)
	v_dual_add_f32 v3, v3, v4 :: v_dual_fmac_f32 v178, v141, v14
	v_fma_f32 v5, v134, v8, -v5
	v_dual_mul_f32 v180, v144, v19 :: v_dual_mul_f32 v181, v146, v21
	s_delay_alu instid0(VALU_DEP_3) | instskip(SKIP_3) | instid1(VALU_DEP_4)
	v_add_f32_e32 v2, v3, v2
	v_mul_f32_e32 v3, v139, v13
	v_dual_mul_f32 v182, v148, v25 :: v_dual_mul_f32 v183, v150, v27
	v_mul_f32_e32 v4, v137, v11
	v_add_f32_e32 v2, v2, v5
	v_dual_add_f32 v1, 0, v1 :: v_dual_fmac_f32 v180, v145, v18
	v_fma_f32 v3, v138, v12, -v3
	s_delay_alu instid0(VALU_DEP_4) | instskip(SKIP_1) | instid1(VALU_DEP_4)
	v_fma_f32 v4, v136, v10, -v4
	v_fmac_f32_e32 v179, v143, v16
	v_dual_add_f32 v1, v1, v22 :: v_dual_mul_f32 v184, v152, v109
	v_mul_f32_e32 v185, v154, v111
	s_delay_alu instid0(VALU_DEP_4) | instskip(NEXT) | instid1(VALU_DEP_3)
	v_add_f32_e32 v2, v2, v4
	v_dual_mul_f32 v4, v143, v17 :: v_dual_add_f32 v1, v1, v174
	v_dual_fmac_f32 v175, v135, v8 :: v_dual_mul_f32 v188, v160, v117
	v_mul_f32_e32 v189, v162, v119
	s_delay_alu instid0(VALU_DEP_3) | instskip(SKIP_4) | instid1(VALU_DEP_4)
	v_fma_f32 v4, v142, v16, -v4
	v_mul_f32_e32 v5, v141, v15
	v_add_f32_e32 v2, v2, v3
	v_dual_add_f32 v1, v1, v175 :: v_dual_mul_f32 v186, v156, v113
	v_mul_f32_e32 v187, v158, v115
	v_fma_f32 v5, v140, v14, -v5
	v_fmac_f32_e32 v177, v139, v12
	v_dual_fmac_f32 v182, v149, v24 :: v_dual_fmac_f32 v185, v155, v110
	v_dual_fmac_f32 v183, v151, v26 :: v_dual_fmac_f32 v186, v157, v112
	s_delay_alu instid0(VALU_DEP_4) | instskip(SKIP_2) | instid1(VALU_DEP_3)
	v_add_f32_e32 v2, v2, v5
	v_mul_f32_e32 v5, v147, v21
	v_dual_mul_f32 v191, v166, v123 :: v_dual_mul_f32 v192, v168, v125
	v_dual_fmac_f32 v189, v163, v118 :: v_dual_add_f32 v2, v2, v4
	s_delay_alu instid0(VALU_DEP_3) | instskip(SKIP_4) | instid1(VALU_DEP_4)
	v_fma_f32 v5, v146, v20, -v5
	v_mul_f32_e32 v3, v145, v19
	v_mul_f32_e32 v4, v149, v25
	v_dual_fmac_f32 v192, v169, v124 :: v_dual_fmac_f32 v191, v167, v122
	v_fmac_f32_e32 v184, v153, v108
	v_fma_f32 v3, v144, v18, -v3
	v_add_f32_e32 v1, v1, v176
	v_fma_f32 v4, v148, v24, -v4
	v_dual_fmac_f32 v193, v171, v126 :: v_dual_fmac_f32 v188, v161, v116
	s_delay_alu instid0(VALU_DEP_4) | instskip(SKIP_1) | instid1(VALU_DEP_2)
	v_add_f32_e32 v2, v2, v3
	v_dual_mul_f32 v3, v151, v27 :: v_dual_fmac_f32 v190, v165, v120
	v_add_f32_e32 v2, v2, v5
	v_add_f32_e32 v1, v1, v177
	s_delay_alu instid0(VALU_DEP_3) | instskip(NEXT) | instid1(VALU_DEP_2)
	v_fma_f32 v3, v150, v26, -v3
	v_dual_add_f32 v2, v2, v4 :: v_dual_add_f32 v1, v1, v178
	v_mul_f32_e32 v4, v155, v111
	s_delay_alu instid0(VALU_DEP_2) | instskip(SKIP_1) | instid1(VALU_DEP_3)
	v_dual_fmac_f32 v181, v147, v20 :: v_dual_add_f32 v2, v2, v3
	v_mul_f32_e32 v3, v157, v113
	v_fma_f32 v4, v154, v110, -v4
	v_mul_f32_e32 v5, v153, v109
	s_delay_alu instid0(VALU_DEP_3) | instskip(NEXT) | instid1(VALU_DEP_2)
	v_fma_f32 v3, v156, v112, -v3
	v_fma_f32 v5, v152, v108, -v5
	s_delay_alu instid0(VALU_DEP_1) | instskip(NEXT) | instid1(VALU_DEP_1)
	v_dual_add_f32 v1, v1, v179 :: v_dual_add_f32 v2, v2, v5
	v_dual_mul_f32 v5, v159, v115 :: v_dual_add_f32 v2, v2, v4
	s_delay_alu instid0(VALU_DEP_2) | instskip(SKIP_1) | instid1(VALU_DEP_3)
	v_add_f32_e32 v1, v1, v180
	v_mul_f32_e32 v4, v161, v117
	v_fma_f32 v5, v158, v114, -v5
	s_delay_alu instid0(VALU_DEP_4) | instskip(SKIP_1) | instid1(VALU_DEP_4)
	v_dual_add_f32 v2, v2, v3 :: v_dual_fmac_f32 v187, v159, v114
	v_mul_f32_e32 v3, v163, v119
	v_fma_f32 v4, v160, v116, -v4
	s_delay_alu instid0(VALU_DEP_3) | instskip(SKIP_1) | instid1(VALU_DEP_4)
	v_add_f32_e32 v2, v2, v5
	v_add_f32_e32 v1, v1, v181
	v_fma_f32 v3, v162, v118, -v3
	s_delay_alu instid0(VALU_DEP_3) | instskip(NEXT) | instid1(VALU_DEP_3)
	v_dual_add_f32 v2, v2, v4 :: v_dual_mul_f32 v5, v165, v121
	v_dual_add_f32 v1, v1, v182 :: v_dual_mul_f32 v4, v167, v123
	s_delay_alu instid0(VALU_DEP_2) | instskip(NEXT) | instid1(VALU_DEP_3)
	v_add_f32_e32 v2, v2, v3
	v_fma_f32 v5, v164, v120, -v5
	s_delay_alu instid0(VALU_DEP_3) | instskip(SKIP_2) | instid1(VALU_DEP_4)
	v_add_f32_e32 v1, v1, v183
	v_mul_f32_e32 v3, v169, v125
	v_fma_f32 v4, v166, v122, -v4
	v_dual_add_f32 v2, v2, v5 :: v_dual_mul_f32 v5, v171, v127
	s_delay_alu instid0(VALU_DEP_3) | instskip(NEXT) | instid1(VALU_DEP_2)
	v_fma_f32 v3, v168, v124, -v3
	v_add_f32_e32 v2, v2, v4
	v_add_f32_e32 v1, v1, v184
	s_delay_alu instid0(VALU_DEP_4) | instskip(NEXT) | instid1(VALU_DEP_2)
	v_fma_f32 v4, v170, v126, -v5
	v_dual_add_f32 v2, v2, v3 :: v_dual_add_f32 v1, v1, v185
	s_delay_alu instid0(VALU_DEP_1) | instskip(NEXT) | instid1(VALU_DEP_1)
	v_dual_add_f32 v2, v2, v4 :: v_dual_add_f32 v1, v1, v186
	v_add_f32_e32 v1, v1, v187
	s_delay_alu instid0(VALU_DEP_1) | instskip(NEXT) | instid1(VALU_DEP_1)
	v_add_f32_e32 v1, v1, v188
	v_add_f32_e32 v1, v1, v189
	s_delay_alu instid0(VALU_DEP_1) | instskip(NEXT) | instid1(VALU_DEP_1)
	v_add_f32_e32 v1, v1, v190
	;; [unrolled: 3-line block ×3, first 2 shown]
	v_add_f32_e32 v3, v1, v193
	s_wait_loadcnt 0x0
	s_delay_alu instid0(VALU_DEP_1)
	v_dual_sub_f32 v1, v172, v2 :: v_dual_sub_f32 v2, v173, v3
	scratch_store_b64 off, v[1:2], off offset:136
	v_cmpx_lt_u32_e32 16, v0
	s_cbranch_execz .LBB103_221
; %bb.220:
	scratch_load_b64 v[1:2], off, off offset:128
	v_mov_b32_e32 v3, 0
	s_delay_alu instid0(VALU_DEP_1)
	v_mov_b32_e32 v4, v3
	scratch_store_b64 off, v[3:4], off offset:128
	s_wait_loadcnt 0x0
	ds_store_b64 v23, v[1:2]
.LBB103_221:
	s_wait_alu 0xfffe
	s_or_b32 exec_lo, exec_lo, s0
	s_wait_storecnt_dscnt 0x0
	s_barrier_signal -1
	s_barrier_wait -1
	global_inv scope:SCOPE_SE
	s_clause 0xc
	scratch_load_b128 v[2:5], off, off offset:136
	scratch_load_b128 v[6:9], off, off offset:152
	;; [unrolled: 1-line block ×11, first 2 shown]
	scratch_load_b64 v[172:173], off, off offset:312
	scratch_load_b64 v[174:175], off, off offset:128
	v_mov_b32_e32 v1, 0
	ds_load_2addr_b64 v[128:131], v1 offset0:57 offset1:58
	ds_load_2addr_b64 v[132:135], v1 offset0:59 offset1:60
	;; [unrolled: 1-line block ×11, first 2 shown]
	ds_load_b64 v[176:177], v1 offset:632
	s_mov_b32 s0, exec_lo
	s_wait_loadcnt_dscnt 0xc0b
	v_mul_f32_e32 v22, v128, v3
	v_dual_mul_f32 v3, v129, v3 :: v_dual_mul_f32 v178, v130, v5
	s_wait_loadcnt_dscnt 0x807
	v_dual_mul_f32 v179, v132, v7 :: v_dual_mul_f32 v186, v146, v21
	v_mul_f32_e32 v5, v131, v5
	s_delay_alu instid0(VALU_DEP_3)
	v_fma_f32 v3, v128, v2, -v3
	v_dual_mul_f32 v180, v134, v9 :: v_dual_mul_f32 v181, v136, v11
	v_fmac_f32_e32 v22, v129, v2
	s_wait_loadcnt_dscnt 0x100
	v_dual_mul_f32 v2, v133, v7 :: v_dual_mul_f32 v199, v176, v173
	v_dual_fmac_f32 v178, v131, v4 :: v_dual_add_f32 v3, 0, v3
	v_fma_f32 v4, v130, v4, -v5
	v_dual_add_f32 v5, 0, v22 :: v_dual_fmac_f32 v180, v135, v8
	v_mul_f32_e32 v7, v135, v9
	v_fma_f32 v2, v132, v6, -v2
	s_delay_alu instid0(VALU_DEP_4)
	v_add_f32_e32 v3, v3, v4
	v_fmac_f32_e32 v179, v133, v6
	v_add_f32_e32 v4, v5, v178
	v_mul_f32_e32 v5, v137, v11
	v_fma_f32 v6, v134, v8, -v7
	v_add_f32_e32 v2, v3, v2
	v_dual_mul_f32 v182, v138, v13 :: v_dual_mul_f32 v183, v140, v15
	v_dual_add_f32 v3, v4, v179 :: v_dual_mul_f32 v4, v139, v13
	v_fma_f32 v5, v136, v10, -v5
	s_delay_alu instid0(VALU_DEP_4)
	v_add_f32_e32 v2, v2, v6
	v_fmac_f32_e32 v181, v137, v10
	v_mul_f32_e32 v6, v141, v15
	v_fmac_f32_e32 v182, v139, v12
	v_add_f32_e32 v3, v3, v180
	v_fma_f32 v4, v138, v12, -v4
	v_add_f32_e32 v2, v2, v5
	v_dual_mul_f32 v184, v142, v17 :: v_dual_mul_f32 v185, v144, v19
	s_delay_alu instid0(VALU_DEP_4)
	v_add_f32_e32 v3, v3, v181
	v_mul_f32_e32 v5, v143, v17
	v_fma_f32 v6, v140, v14, -v6
	v_dual_add_f32 v2, v2, v4 :: v_dual_fmac_f32 v183, v141, v14
	v_fmac_f32_e32 v184, v143, v16
	v_mul_f32_e32 v4, v145, v19
	v_fma_f32 v5, v142, v16, -v5
	s_delay_alu instid0(VALU_DEP_4) | instskip(SKIP_3) | instid1(VALU_DEP_3)
	v_add_f32_e32 v2, v2, v6
	v_add_f32_e32 v3, v3, v182
	v_dual_mul_f32 v6, v147, v21 :: v_dual_fmac_f32 v185, v145, v18
	v_fma_f32 v4, v144, v18, -v4
	v_dual_add_f32 v2, v2, v5 :: v_dual_add_f32 v3, v3, v183
	s_delay_alu instid0(VALU_DEP_3) | instskip(SKIP_1) | instid1(VALU_DEP_3)
	v_fma_f32 v6, v146, v20, -v6
	v_dual_mul_f32 v187, v148, v25 :: v_dual_mul_f32 v188, v150, v27
	v_add_f32_e32 v2, v2, v4
	s_delay_alu instid0(VALU_DEP_4) | instskip(SKIP_1) | instid1(VALU_DEP_4)
	v_add_f32_e32 v3, v3, v184
	v_dual_mul_f32 v5, v149, v25 :: v_dual_fmac_f32 v186, v147, v20
	v_dual_mul_f32 v4, v151, v27 :: v_dual_fmac_f32 v187, v149, v24
	s_delay_alu instid0(VALU_DEP_3) | instskip(NEXT) | instid1(VALU_DEP_3)
	v_dual_add_f32 v2, v2, v6 :: v_dual_add_f32 v3, v3, v185
	v_fma_f32 v5, v148, v24, -v5
	v_dual_mul_f32 v189, v152, v109 :: v_dual_mul_f32 v190, v154, v111
	s_delay_alu instid0(VALU_DEP_3) | instskip(NEXT) | instid1(VALU_DEP_2)
	v_dual_mul_f32 v6, v153, v109 :: v_dual_add_f32 v3, v3, v186
	v_dual_fmac_f32 v188, v151, v26 :: v_dual_fmac_f32 v189, v153, v108
	v_fma_f32 v4, v150, v26, -v4
	s_delay_alu instid0(VALU_DEP_3) | instskip(SKIP_3) | instid1(VALU_DEP_4)
	v_dual_add_f32 v2, v2, v5 :: v_dual_add_f32 v3, v3, v187
	v_mul_f32_e32 v5, v155, v111
	v_fma_f32 v6, v152, v108, -v6
	v_dual_mul_f32 v191, v156, v113 :: v_dual_mul_f32 v192, v158, v115
	v_add_f32_e32 v2, v2, v4
	v_dual_add_f32 v3, v3, v188 :: v_dual_mul_f32 v4, v157, v113
	s_delay_alu instid0(VALU_DEP_3) | instskip(SKIP_1) | instid1(VALU_DEP_3)
	v_dual_fmac_f32 v190, v155, v110 :: v_dual_fmac_f32 v191, v157, v112
	v_fma_f32 v5, v154, v110, -v5
	v_dual_add_f32 v2, v2, v6 :: v_dual_add_f32 v3, v3, v189
	v_mul_f32_e32 v6, v159, v115
	v_fma_f32 v4, v156, v112, -v4
	v_dual_mul_f32 v193, v160, v117 :: v_dual_mul_f32 v194, v162, v119
	s_delay_alu instid0(VALU_DEP_4) | instskip(SKIP_1) | instid1(VALU_DEP_3)
	v_dual_add_f32 v2, v2, v5 :: v_dual_add_f32 v3, v3, v190
	v_dual_mul_f32 v5, v161, v117 :: v_dual_fmac_f32 v192, v159, v114
	v_fmac_f32_e32 v193, v161, v116
	v_fma_f32 v6, v158, v114, -v6
	s_delay_alu instid0(VALU_DEP_4) | instskip(SKIP_2) | instid1(VALU_DEP_2)
	v_dual_add_f32 v2, v2, v4 :: v_dual_add_f32 v3, v3, v191
	v_dual_mul_f32 v195, v164, v121 :: v_dual_mul_f32 v196, v166, v123
	v_dual_mul_f32 v197, v168, v125 :: v_dual_mul_f32 v198, v170, v127
	v_dual_mul_f32 v4, v163, v119 :: v_dual_fmac_f32 v195, v165, v120
	v_fma_f32 v5, v160, v116, -v5
	v_dual_add_f32 v2, v2, v6 :: v_dual_add_f32 v3, v3, v192
	v_mul_f32_e32 v6, v165, v121
	v_dual_fmac_f32 v194, v163, v118 :: v_dual_fmac_f32 v197, v169, v124
	v_fma_f32 v4, v162, v118, -v4
	s_delay_alu instid0(VALU_DEP_4) | instskip(SKIP_3) | instid1(VALU_DEP_3)
	v_add_f32_e32 v3, v3, v193
	v_dual_add_f32 v2, v2, v5 :: v_dual_mul_f32 v5, v167, v123
	v_fma_f32 v6, v164, v120, -v6
	v_fmac_f32_e32 v196, v167, v122
	v_dual_add_f32 v3, v3, v194 :: v_dual_add_f32 v2, v2, v4
	v_mul_f32_e32 v4, v169, v125
	v_fma_f32 v5, v166, v122, -v5
	v_fmac_f32_e32 v198, v171, v126
	s_delay_alu instid0(VALU_DEP_4) | instskip(SKIP_2) | instid1(VALU_DEP_3)
	v_dual_add_f32 v3, v3, v195 :: v_dual_add_f32 v2, v2, v6
	v_dual_mul_f32 v6, v171, v127 :: v_dual_fmac_f32 v199, v177, v172
	v_fma_f32 v4, v168, v124, -v4
	v_add_f32_e32 v2, v2, v5
	v_mul_f32_e32 v5, v177, v173
	v_add_f32_e32 v3, v3, v196
	v_fma_f32 v6, v170, v126, -v6
	s_delay_alu instid0(VALU_DEP_2) | instskip(NEXT) | instid1(VALU_DEP_1)
	v_add_f32_e32 v3, v3, v197
	v_dual_add_f32 v3, v3, v198 :: v_dual_add_f32 v2, v2, v4
	v_fma_f32 v4, v176, v172, -v5
	s_delay_alu instid0(VALU_DEP_2) | instskip(SKIP_1) | instid1(VALU_DEP_1)
	v_dual_add_f32 v3, v3, v199 :: v_dual_add_f32 v2, v2, v6
	s_wait_loadcnt 0x0
	v_dual_sub_f32 v3, v175, v3 :: v_dual_add_f32 v2, v2, v4
	s_delay_alu instid0(VALU_DEP_1)
	v_sub_f32_e32 v2, v174, v2
	scratch_store_b64 off, v[2:3], off offset:128
	v_cmpx_lt_u32_e32 15, v0
	s_cbranch_execz .LBB103_223
; %bb.222:
	scratch_load_b64 v[3:4], off, off offset:120
	v_mov_b32_e32 v2, v1
	scratch_store_b64 off, v[1:2], off offset:120
	s_wait_loadcnt 0x0
	ds_store_b64 v23, v[3:4]
.LBB103_223:
	s_wait_alu 0xfffe
	s_or_b32 exec_lo, exec_lo, s0
	s_wait_storecnt_dscnt 0x0
	s_barrier_signal -1
	s_barrier_wait -1
	global_inv scope:SCOPE_SE
	s_clause 0xc
	scratch_load_b128 v[2:5], off, off offset:128
	scratch_load_b128 v[6:9], off, off offset:144
	scratch_load_b128 v[10:13], off, off offset:160
	scratch_load_b128 v[14:17], off, off offset:176
	scratch_load_b128 v[18:21], off, off offset:192
	scratch_load_b128 v[24:27], off, off offset:208
	scratch_load_b128 v[108:111], off, off offset:224
	scratch_load_b128 v[112:115], off, off offset:240
	scratch_load_b128 v[116:119], off, off offset:256
	scratch_load_b128 v[120:123], off, off offset:272
	scratch_load_b128 v[124:127], off, off offset:288
	scratch_load_b128 v[128:131], off, off offset:304
	scratch_load_b64 v[180:181], off, off offset:120
	ds_load_b128 v[132:135], v1 offset:448
	ds_load_b128 v[136:139], v1 offset:464
	;; [unrolled: 1-line block ×12, first 2 shown]
	s_mov_b32 s0, exec_lo
	s_wait_loadcnt_dscnt 0xc0b
	v_dual_mul_f32 v1, v132, v3 :: v_dual_mul_f32 v22, v134, v5
	s_wait_loadcnt_dscnt 0xb0a
	v_dual_mul_f32 v5, v135, v5 :: v_dual_mul_f32 v182, v136, v7
	v_mul_f32_e32 v183, v138, v9
	s_delay_alu instid0(VALU_DEP_3)
	v_fmac_f32_e32 v1, v133, v2
	v_dual_mul_f32 v3, v133, v3 :: v_dual_fmac_f32 v22, v135, v4
	s_wait_loadcnt_dscnt 0xa09
	v_dual_mul_f32 v184, v140, v11 :: v_dual_mul_f32 v185, v142, v13
	s_wait_loadcnt_dscnt 0x201
	v_mul_f32_e32 v200, v172, v125
	v_fma_f32 v3, v132, v2, -v3
	s_wait_loadcnt_dscnt 0x100
	v_mul_f32_e32 v203, v178, v131
	v_mul_f32_e32 v2, v137, v7
	v_fma_f32 v4, v134, v4, -v5
	v_dual_mul_f32 v186, v144, v15 :: v_dual_mul_f32 v187, v146, v17
	v_dual_add_f32 v3, 0, v3 :: v_dual_fmac_f32 v182, v137, v6
	v_dual_mul_f32 v5, v139, v9 :: v_dual_fmac_f32 v184, v141, v10
	v_fma_f32 v2, v136, v6, -v2
	s_delay_alu instid0(VALU_DEP_3) | instskip(NEXT) | instid1(VALU_DEP_3)
	v_dual_add_f32 v3, v3, v4 :: v_dual_fmac_f32 v186, v145, v14
	v_fma_f32 v5, v138, v8, -v5
	v_dual_mul_f32 v188, v148, v19 :: v_dual_mul_f32 v189, v150, v21
	s_delay_alu instid0(VALU_DEP_3) | instskip(SKIP_3) | instid1(VALU_DEP_4)
	v_add_f32_e32 v2, v3, v2
	v_mul_f32_e32 v3, v143, v13
	v_dual_mul_f32 v190, v152, v25 :: v_dual_mul_f32 v191, v154, v27
	v_mul_f32_e32 v4, v141, v11
	v_add_f32_e32 v2, v2, v5
	v_dual_add_f32 v1, 0, v1 :: v_dual_fmac_f32 v188, v149, v18
	v_fma_f32 v3, v142, v12, -v3
	s_delay_alu instid0(VALU_DEP_4) | instskip(SKIP_1) | instid1(VALU_DEP_4)
	v_fma_f32 v4, v140, v10, -v4
	v_fmac_f32_e32 v187, v147, v16
	v_dual_add_f32 v1, v1, v22 :: v_dual_mul_f32 v192, v156, v109
	v_mul_f32_e32 v193, v158, v111
	s_delay_alu instid0(VALU_DEP_4) | instskip(NEXT) | instid1(VALU_DEP_3)
	v_add_f32_e32 v2, v2, v4
	v_dual_mul_f32 v4, v147, v17 :: v_dual_add_f32 v1, v1, v182
	v_dual_fmac_f32 v183, v139, v8 :: v_dual_mul_f32 v196, v164, v117
	v_mul_f32_e32 v197, v166, v119
	s_delay_alu instid0(VALU_DEP_3) | instskip(SKIP_4) | instid1(VALU_DEP_4)
	v_fma_f32 v4, v146, v16, -v4
	v_mul_f32_e32 v5, v145, v15
	v_add_f32_e32 v2, v2, v3
	v_dual_add_f32 v1, v1, v183 :: v_dual_mul_f32 v194, v160, v113
	v_mul_f32_e32 v195, v162, v115
	v_fma_f32 v5, v144, v14, -v5
	v_fmac_f32_e32 v185, v143, v12
	v_dual_fmac_f32 v193, v159, v110 :: v_dual_fmac_f32 v190, v153, v24
	v_dual_mul_f32 v198, v168, v121 :: v_dual_mul_f32 v199, v170, v123
	s_delay_alu instid0(VALU_DEP_4) | instskip(SKIP_3) | instid1(VALU_DEP_3)
	v_add_f32_e32 v2, v2, v5
	v_mul_f32_e32 v5, v151, v21
	v_dual_fmac_f32 v191, v155, v26 :: v_dual_fmac_f32 v194, v161, v112
	v_dual_mul_f32 v201, v174, v127 :: v_dual_mul_f32 v202, v176, v129
	v_fma_f32 v5, v150, v20, -v5
	v_dual_mul_f32 v3, v149, v19 :: v_dual_add_f32 v2, v2, v4
	v_dual_mul_f32 v4, v153, v25 :: v_dual_fmac_f32 v199, v171, v122
	v_dual_fmac_f32 v197, v167, v118 :: v_dual_fmac_f32 v200, v173, v124
	s_delay_alu instid0(VALU_DEP_3) | instskip(SKIP_1) | instid1(VALU_DEP_4)
	v_fma_f32 v3, v148, v18, -v3
	v_add_f32_e32 v1, v1, v184
	v_fma_f32 v4, v152, v24, -v4
	v_dual_fmac_f32 v192, v157, v108 :: v_dual_fmac_f32 v203, v179, v130
	s_delay_alu instid0(VALU_DEP_4) | instskip(SKIP_3) | instid1(VALU_DEP_4)
	v_add_f32_e32 v2, v2, v3
	v_dual_mul_f32 v3, v155, v27 :: v_dual_fmac_f32 v196, v165, v116
	v_fmac_f32_e32 v198, v169, v120
	v_fmac_f32_e32 v202, v177, v128
	v_add_f32_e32 v2, v2, v5
	v_add_f32_e32 v1, v1, v185
	v_fma_f32 v3, v154, v26, -v3
	s_delay_alu instid0(VALU_DEP_2) | instskip(SKIP_1) | instid1(VALU_DEP_2)
	v_dual_add_f32 v2, v2, v4 :: v_dual_add_f32 v1, v1, v186
	v_mul_f32_e32 v4, v159, v111
	v_dual_fmac_f32 v189, v151, v20 :: v_dual_add_f32 v2, v2, v3
	v_mul_f32_e32 v3, v161, v113
	s_delay_alu instid0(VALU_DEP_3) | instskip(SKIP_1) | instid1(VALU_DEP_3)
	v_fma_f32 v4, v158, v110, -v4
	v_mul_f32_e32 v5, v157, v109
	v_fma_f32 v3, v160, v112, -v3
	s_delay_alu instid0(VALU_DEP_2) | instskip(NEXT) | instid1(VALU_DEP_1)
	v_fma_f32 v5, v156, v108, -v5
	v_dual_add_f32 v1, v1, v187 :: v_dual_add_f32 v2, v2, v5
	s_delay_alu instid0(VALU_DEP_1) | instskip(NEXT) | instid1(VALU_DEP_2)
	v_dual_mul_f32 v5, v163, v115 :: v_dual_add_f32 v2, v2, v4
	v_add_f32_e32 v1, v1, v188
	v_mul_f32_e32 v4, v165, v117
	s_delay_alu instid0(VALU_DEP_3) | instskip(NEXT) | instid1(VALU_DEP_4)
	v_fma_f32 v5, v162, v114, -v5
	v_dual_add_f32 v2, v2, v3 :: v_dual_fmac_f32 v195, v163, v114
	v_mul_f32_e32 v3, v167, v119
	s_delay_alu instid0(VALU_DEP_4) | instskip(NEXT) | instid1(VALU_DEP_3)
	v_fma_f32 v4, v164, v116, -v4
	v_add_f32_e32 v2, v2, v5
	v_add_f32_e32 v1, v1, v189
	s_delay_alu instid0(VALU_DEP_4) | instskip(NEXT) | instid1(VALU_DEP_3)
	v_fma_f32 v3, v166, v118, -v3
	v_dual_add_f32 v2, v2, v4 :: v_dual_mul_f32 v5, v169, v121
	s_delay_alu instid0(VALU_DEP_3) | instskip(NEXT) | instid1(VALU_DEP_2)
	v_dual_add_f32 v1, v1, v190 :: v_dual_mul_f32 v4, v171, v123
	v_add_f32_e32 v2, v2, v3
	s_delay_alu instid0(VALU_DEP_3) | instskip(NEXT) | instid1(VALU_DEP_3)
	v_fma_f32 v5, v168, v120, -v5
	v_add_f32_e32 v1, v1, v191
	v_mul_f32_e32 v3, v173, v125
	v_fma_f32 v4, v170, v122, -v4
	s_delay_alu instid0(VALU_DEP_4) | instskip(NEXT) | instid1(VALU_DEP_3)
	v_dual_add_f32 v2, v2, v5 :: v_dual_mul_f32 v5, v175, v127
	v_fma_f32 v3, v172, v124, -v3
	s_delay_alu instid0(VALU_DEP_2) | instskip(SKIP_3) | instid1(VALU_DEP_4)
	v_add_f32_e32 v2, v2, v4
	v_add_f32_e32 v1, v1, v192
	v_mul_f32_e32 v4, v177, v129
	v_fma_f32 v5, v174, v126, -v5
	v_dual_add_f32 v2, v2, v3 :: v_dual_fmac_f32 v201, v175, v126
	v_mul_f32_e32 v3, v179, v131
	s_delay_alu instid0(VALU_DEP_4) | instskip(NEXT) | instid1(VALU_DEP_3)
	v_fma_f32 v4, v176, v128, -v4
	v_add_f32_e32 v2, v2, v5
	v_add_f32_e32 v1, v1, v193
	s_delay_alu instid0(VALU_DEP_4) | instskip(NEXT) | instid1(VALU_DEP_2)
	v_fma_f32 v3, v178, v130, -v3
	v_dual_add_f32 v2, v2, v4 :: v_dual_add_f32 v1, v1, v194
	s_delay_alu instid0(VALU_DEP_1) | instskip(NEXT) | instid1(VALU_DEP_2)
	v_add_f32_e32 v2, v2, v3
	v_add_f32_e32 v1, v1, v195
	s_delay_alu instid0(VALU_DEP_1) | instskip(NEXT) | instid1(VALU_DEP_1)
	v_add_f32_e32 v1, v1, v196
	v_add_f32_e32 v1, v1, v197
	s_delay_alu instid0(VALU_DEP_1) | instskip(NEXT) | instid1(VALU_DEP_1)
	;; [unrolled: 3-line block ×4, first 2 shown]
	v_add_f32_e32 v1, v1, v202
	v_add_f32_e32 v3, v1, v203
	s_wait_loadcnt 0x0
	s_delay_alu instid0(VALU_DEP_1)
	v_dual_sub_f32 v1, v180, v2 :: v_dual_sub_f32 v2, v181, v3
	scratch_store_b64 off, v[1:2], off offset:120
	v_cmpx_lt_u32_e32 14, v0
	s_cbranch_execz .LBB103_225
; %bb.224:
	scratch_load_b64 v[1:2], off, off offset:112
	v_mov_b32_e32 v3, 0
	s_delay_alu instid0(VALU_DEP_1)
	v_mov_b32_e32 v4, v3
	scratch_store_b64 off, v[3:4], off offset:112
	s_wait_loadcnt 0x0
	ds_store_b64 v23, v[1:2]
.LBB103_225:
	s_wait_alu 0xfffe
	s_or_b32 exec_lo, exec_lo, s0
	s_wait_storecnt_dscnt 0x0
	s_barrier_signal -1
	s_barrier_wait -1
	global_inv scope:SCOPE_SE
	s_clause 0xd
	scratch_load_b128 v[2:5], off, off offset:120
	scratch_load_b128 v[6:9], off, off offset:136
	;; [unrolled: 1-line block ×12, first 2 shown]
	scratch_load_b64 v[180:181], off, off offset:312
	scratch_load_b64 v[182:183], off, off offset:112
	v_mov_b32_e32 v1, 0
	ds_load_2addr_b64 v[132:135], v1 offset0:55 offset1:56
	ds_load_2addr_b64 v[136:139], v1 offset0:57 offset1:58
	;; [unrolled: 1-line block ×12, first 2 shown]
	ds_load_b64 v[184:185], v1 offset:632
	s_mov_b32 s0, exec_lo
	s_wait_loadcnt_dscnt 0xd0c
	v_mul_f32_e32 v22, v132, v3
	v_dual_mul_f32 v3, v133, v3 :: v_dual_mul_f32 v186, v134, v5
	s_wait_loadcnt_dscnt 0x908
	v_dual_mul_f32 v187, v136, v7 :: v_dual_mul_f32 v194, v150, v21
	v_mul_f32_e32 v5, v135, v5
	s_delay_alu instid0(VALU_DEP_3) | instskip(SKIP_3) | instid1(VALU_DEP_4)
	v_fma_f32 v3, v132, v2, -v3
	v_dual_mul_f32 v188, v138, v9 :: v_dual_mul_f32 v189, v140, v11
	v_fmac_f32_e32 v22, v133, v2
	v_mul_f32_e32 v2, v137, v7
	v_dual_fmac_f32 v186, v135, v4 :: v_dual_add_f32 v3, 0, v3
	s_wait_loadcnt_dscnt 0x100
	v_mul_f32_e32 v209, v184, v181
	v_fma_f32 v4, v134, v4, -v5
	v_dual_add_f32 v5, 0, v22 :: v_dual_fmac_f32 v188, v139, v8
	v_mul_f32_e32 v7, v139, v9
	v_fma_f32 v2, v136, v6, -v2
	s_delay_alu instid0(VALU_DEP_4)
	v_add_f32_e32 v3, v3, v4
	v_fmac_f32_e32 v187, v137, v6
	v_add_f32_e32 v4, v5, v186
	v_mul_f32_e32 v5, v141, v11
	v_fma_f32 v6, v138, v8, -v7
	v_add_f32_e32 v2, v3, v2
	v_dual_mul_f32 v190, v142, v13 :: v_dual_mul_f32 v191, v144, v15
	v_dual_add_f32 v3, v4, v187 :: v_dual_mul_f32 v4, v143, v13
	v_fma_f32 v5, v140, v10, -v5
	s_delay_alu instid0(VALU_DEP_4)
	v_add_f32_e32 v2, v2, v6
	v_fmac_f32_e32 v189, v141, v10
	v_mul_f32_e32 v6, v145, v15
	v_fmac_f32_e32 v190, v143, v12
	v_add_f32_e32 v3, v3, v188
	v_fma_f32 v4, v142, v12, -v4
	v_add_f32_e32 v2, v2, v5
	v_dual_mul_f32 v192, v146, v17 :: v_dual_mul_f32 v193, v148, v19
	s_delay_alu instid0(VALU_DEP_4)
	v_add_f32_e32 v3, v3, v189
	v_mul_f32_e32 v5, v147, v17
	v_fma_f32 v6, v144, v14, -v6
	v_dual_add_f32 v2, v2, v4 :: v_dual_fmac_f32 v191, v145, v14
	v_fmac_f32_e32 v192, v147, v16
	v_mul_f32_e32 v4, v149, v19
	v_fma_f32 v5, v146, v16, -v5
	s_delay_alu instid0(VALU_DEP_4) | instskip(SKIP_3) | instid1(VALU_DEP_3)
	v_add_f32_e32 v2, v2, v6
	v_add_f32_e32 v3, v3, v190
	v_dual_mul_f32 v6, v151, v21 :: v_dual_fmac_f32 v193, v149, v18
	v_fma_f32 v4, v148, v18, -v4
	v_dual_add_f32 v2, v2, v5 :: v_dual_add_f32 v3, v3, v191
	s_delay_alu instid0(VALU_DEP_3) | instskip(SKIP_1) | instid1(VALU_DEP_3)
	v_fma_f32 v6, v150, v20, -v6
	v_dual_mul_f32 v195, v152, v25 :: v_dual_mul_f32 v196, v154, v27
	v_add_f32_e32 v2, v2, v4
	s_delay_alu instid0(VALU_DEP_4) | instskip(SKIP_1) | instid1(VALU_DEP_4)
	v_add_f32_e32 v3, v3, v192
	v_dual_mul_f32 v5, v153, v25 :: v_dual_fmac_f32 v194, v151, v20
	v_dual_mul_f32 v4, v155, v27 :: v_dual_fmac_f32 v195, v153, v24
	s_delay_alu instid0(VALU_DEP_3) | instskip(NEXT) | instid1(VALU_DEP_3)
	v_dual_add_f32 v2, v2, v6 :: v_dual_add_f32 v3, v3, v193
	v_fma_f32 v5, v152, v24, -v5
	v_dual_mul_f32 v197, v156, v109 :: v_dual_mul_f32 v198, v158, v111
	s_delay_alu instid0(VALU_DEP_3) | instskip(NEXT) | instid1(VALU_DEP_2)
	v_dual_mul_f32 v6, v157, v109 :: v_dual_add_f32 v3, v3, v194
	v_dual_fmac_f32 v196, v155, v26 :: v_dual_fmac_f32 v197, v157, v108
	v_fma_f32 v4, v154, v26, -v4
	s_delay_alu instid0(VALU_DEP_3) | instskip(SKIP_3) | instid1(VALU_DEP_4)
	v_dual_add_f32 v2, v2, v5 :: v_dual_add_f32 v3, v3, v195
	v_mul_f32_e32 v5, v159, v111
	v_fma_f32 v6, v156, v108, -v6
	v_dual_mul_f32 v199, v160, v113 :: v_dual_mul_f32 v200, v162, v115
	v_add_f32_e32 v2, v2, v4
	v_dual_add_f32 v3, v3, v196 :: v_dual_mul_f32 v4, v161, v113
	s_delay_alu instid0(VALU_DEP_3) | instskip(SKIP_1) | instid1(VALU_DEP_3)
	v_dual_fmac_f32 v198, v159, v110 :: v_dual_fmac_f32 v199, v161, v112
	v_fma_f32 v5, v158, v110, -v5
	v_dual_add_f32 v2, v2, v6 :: v_dual_add_f32 v3, v3, v197
	v_mul_f32_e32 v6, v163, v115
	v_fma_f32 v4, v160, v112, -v4
	v_dual_mul_f32 v201, v164, v117 :: v_dual_mul_f32 v202, v166, v119
	s_delay_alu instid0(VALU_DEP_4) | instskip(SKIP_1) | instid1(VALU_DEP_3)
	v_dual_add_f32 v2, v2, v5 :: v_dual_add_f32 v3, v3, v198
	v_dual_mul_f32 v5, v165, v117 :: v_dual_fmac_f32 v200, v163, v114
	v_fmac_f32_e32 v201, v165, v116
	v_fma_f32 v6, v162, v114, -v6
	s_delay_alu instid0(VALU_DEP_4) | instskip(SKIP_2) | instid1(VALU_DEP_2)
	v_dual_add_f32 v2, v2, v4 :: v_dual_add_f32 v3, v3, v199
	v_dual_mul_f32 v203, v168, v121 :: v_dual_mul_f32 v204, v170, v123
	v_dual_mul_f32 v205, v172, v125 :: v_dual_mul_f32 v206, v174, v127
	v_dual_mul_f32 v4, v167, v119 :: v_dual_fmac_f32 v203, v169, v120
	v_fma_f32 v5, v164, v116, -v5
	v_dual_add_f32 v2, v2, v6 :: v_dual_add_f32 v3, v3, v200
	v_mul_f32_e32 v6, v169, v121
	v_dual_fmac_f32 v202, v167, v118 :: v_dual_fmac_f32 v205, v173, v124
	v_fma_f32 v4, v166, v118, -v4
	s_delay_alu instid0(VALU_DEP_4) | instskip(SKIP_3) | instid1(VALU_DEP_3)
	v_add_f32_e32 v3, v3, v201
	v_dual_add_f32 v2, v2, v5 :: v_dual_mul_f32 v5, v171, v123
	v_fma_f32 v6, v168, v120, -v6
	v_fmac_f32_e32 v204, v171, v122
	v_dual_add_f32 v3, v3, v202 :: v_dual_add_f32 v2, v2, v4
	v_mul_f32_e32 v4, v173, v125
	v_fma_f32 v5, v170, v122, -v5
	v_dual_mul_f32 v207, v176, v129 :: v_dual_mul_f32 v208, v178, v131
	s_delay_alu instid0(VALU_DEP_4) | instskip(NEXT) | instid1(VALU_DEP_2)
	v_dual_add_f32 v3, v3, v203 :: v_dual_add_f32 v2, v2, v6
	v_dual_mul_f32 v6, v175, v127 :: v_dual_fmac_f32 v207, v177, v128
	v_dual_fmac_f32 v206, v175, v126 :: v_dual_fmac_f32 v209, v185, v180
	s_delay_alu instid0(VALU_DEP_3)
	v_add_f32_e32 v2, v2, v5
	v_mul_f32_e32 v5, v177, v129
	v_add_f32_e32 v3, v3, v204
	v_fma_f32 v6, v174, v126, -v6
	v_fma_f32 v4, v172, v124, -v4
	v_fmac_f32_e32 v208, v179, v130
	v_fma_f32 v5, v176, v128, -v5
	v_add_f32_e32 v3, v3, v205
	s_delay_alu instid0(VALU_DEP_1) | instskip(SKIP_1) | instid1(VALU_DEP_2)
	v_dual_add_f32 v3, v3, v206 :: v_dual_add_f32 v2, v2, v4
	v_mul_f32_e32 v4, v179, v131
	v_dual_add_f32 v3, v3, v207 :: v_dual_add_f32 v2, v2, v6
	v_mul_f32_e32 v6, v185, v181
	s_delay_alu instid0(VALU_DEP_3) | instskip(NEXT) | instid1(VALU_DEP_3)
	v_fma_f32 v4, v178, v130, -v4
	v_add_f32_e32 v3, v3, v208
	s_delay_alu instid0(VALU_DEP_1) | instskip(SKIP_3) | instid1(VALU_DEP_2)
	v_add_f32_e32 v3, v3, v209
	v_add_f32_e32 v2, v2, v5
	v_fma_f32 v5, v184, v180, -v6
	s_wait_loadcnt 0x0
	v_dual_sub_f32 v3, v183, v3 :: v_dual_add_f32 v2, v2, v4
	s_delay_alu instid0(VALU_DEP_1) | instskip(NEXT) | instid1(VALU_DEP_1)
	v_add_f32_e32 v2, v2, v5
	v_sub_f32_e32 v2, v182, v2
	scratch_store_b64 off, v[2:3], off offset:112
	v_cmpx_lt_u32_e32 13, v0
	s_cbranch_execz .LBB103_227
; %bb.226:
	scratch_load_b64 v[3:4], off, off offset:104
	v_mov_b32_e32 v2, v1
	scratch_store_b64 off, v[1:2], off offset:104
	s_wait_loadcnt 0x0
	ds_store_b64 v23, v[3:4]
.LBB103_227:
	s_wait_alu 0xfffe
	s_or_b32 exec_lo, exec_lo, s0
	s_wait_storecnt_dscnt 0x0
	s_barrier_signal -1
	s_barrier_wait -1
	global_inv scope:SCOPE_SE
	s_clause 0xd
	scratch_load_b128 v[2:5], off, off offset:112
	scratch_load_b128 v[6:9], off, off offset:128
	;; [unrolled: 1-line block ×13, first 2 shown]
	scratch_load_b64 v[188:189], off, off offset:104
	ds_load_b128 v[136:139], v1 offset:432
	ds_load_b128 v[140:143], v1 offset:448
	;; [unrolled: 1-line block ×13, first 2 shown]
	s_mov_b32 s0, exec_lo
	s_wait_loadcnt_dscnt 0xd0c
	v_dual_mul_f32 v1, v136, v3 :: v_dual_mul_f32 v22, v138, v5
	s_wait_loadcnt_dscnt 0xc0b
	v_dual_mul_f32 v5, v139, v5 :: v_dual_mul_f32 v190, v140, v7
	v_mul_f32_e32 v191, v142, v9
	s_wait_loadcnt_dscnt 0xb0a
	v_dual_fmac_f32 v1, v137, v2 :: v_dual_mul_f32 v192, v144, v11
	v_mul_f32_e32 v193, v146, v13
	v_dual_mul_f32 v3, v137, v3 :: v_dual_fmac_f32 v22, v139, v4
	s_wait_loadcnt_dscnt 0xa09
	v_dual_mul_f32 v194, v148, v15 :: v_dual_mul_f32 v195, v150, v17
	s_wait_loadcnt_dscnt 0x201
	v_mul_f32_e32 v210, v180, v129
	v_fma_f32 v3, v136, v2, -v3
	s_wait_loadcnt_dscnt 0x100
	v_mul_f32_e32 v213, v186, v135
	v_mul_f32_e32 v2, v141, v7
	v_fma_f32 v4, v138, v4, -v5
	v_dual_mul_f32 v5, v143, v9 :: v_dual_fmac_f32 v192, v145, v10
	v_dual_add_f32 v3, 0, v3 :: v_dual_fmac_f32 v190, v141, v6
	s_delay_alu instid0(VALU_DEP_4) | instskip(NEXT) | instid1(VALU_DEP_3)
	v_fma_f32 v2, v140, v6, -v2
	v_fma_f32 v5, v142, v8, -v5
	s_delay_alu instid0(VALU_DEP_3) | instskip(SKIP_2) | instid1(VALU_DEP_3)
	v_dual_fmac_f32 v194, v149, v14 :: v_dual_add_f32 v3, v3, v4
	v_dual_mul_f32 v196, v152, v19 :: v_dual_mul_f32 v197, v154, v21
	v_dual_mul_f32 v198, v156, v25 :: v_dual_mul_f32 v199, v158, v27
	v_add_f32_e32 v2, v3, v2
	s_delay_alu instid0(VALU_DEP_3) | instskip(SKIP_1) | instid1(VALU_DEP_3)
	v_dual_mul_f32 v3, v147, v13 :: v_dual_fmac_f32 v196, v153, v18
	v_dual_mul_f32 v4, v145, v11 :: v_dual_fmac_f32 v195, v151, v16
	v_add_f32_e32 v2, v2, v5
	v_add_f32_e32 v1, 0, v1
	s_delay_alu instid0(VALU_DEP_4) | instskip(NEXT) | instid1(VALU_DEP_4)
	v_fma_f32 v3, v146, v12, -v3
	v_fma_f32 v4, v144, v10, -v4
	v_dual_mul_f32 v200, v160, v109 :: v_dual_mul_f32 v201, v162, v111
	s_delay_alu instid0(VALU_DEP_4) | instskip(SKIP_1) | instid1(VALU_DEP_4)
	v_dual_add_f32 v1, v1, v22 :: v_dual_mul_f32 v204, v168, v117
	v_mul_f32_e32 v205, v170, v119
	v_add_f32_e32 v2, v2, v4
	s_delay_alu instid0(VALU_DEP_3) | instskip(SKIP_2) | instid1(VALU_DEP_3)
	v_dual_mul_f32 v4, v151, v17 :: v_dual_add_f32 v1, v1, v190
	v_dual_fmac_f32 v191, v143, v8 :: v_dual_mul_f32 v202, v164, v113
	v_mul_f32_e32 v203, v166, v115
	v_fma_f32 v4, v150, v16, -v4
	v_mul_f32_e32 v5, v149, v15
	v_add_f32_e32 v2, v2, v3
	v_add_f32_e32 v1, v1, v191
	v_dual_fmac_f32 v201, v163, v110 :: v_dual_mul_f32 v206, v172, v121
	v_mul_f32_e32 v207, v174, v123
	v_fma_f32 v5, v148, v14, -v5
	v_fmac_f32_e32 v193, v147, v12
	v_dual_fmac_f32 v198, v157, v24 :: v_dual_fmac_f32 v199, v159, v26
	v_fmac_f32_e32 v202, v165, v112
	s_delay_alu instid0(VALU_DEP_4) | instskip(SKIP_2) | instid1(VALU_DEP_3)
	v_add_f32_e32 v2, v2, v5
	v_mul_f32_e32 v5, v155, v21
	v_dual_mul_f32 v208, v176, v125 :: v_dual_mul_f32 v209, v178, v127
	v_dual_fmac_f32 v207, v175, v122 :: v_dual_add_f32 v2, v2, v4
	s_delay_alu instid0(VALU_DEP_3) | instskip(SKIP_4) | instid1(VALU_DEP_4)
	v_fma_f32 v5, v154, v20, -v5
	v_mul_f32_e32 v3, v153, v19
	v_dual_mul_f32 v4, v157, v25 :: v_dual_mul_f32 v211, v182, v131
	v_mul_f32_e32 v212, v184, v133
	v_fmac_f32_e32 v200, v161, v108
	v_fma_f32 v3, v152, v18, -v3
	v_add_f32_e32 v1, v1, v192
	v_fma_f32 v4, v156, v24, -v4
	v_dual_fmac_f32 v205, v171, v118 :: v_dual_fmac_f32 v208, v177, v124
	s_delay_alu instid0(VALU_DEP_4) | instskip(SKIP_3) | instid1(VALU_DEP_4)
	v_add_f32_e32 v2, v2, v3
	v_mul_f32_e32 v3, v159, v27
	v_fmac_f32_e32 v211, v183, v130
	v_dual_fmac_f32 v213, v187, v134 :: v_dual_fmac_f32 v204, v169, v116
	v_add_f32_e32 v2, v2, v5
	v_add_f32_e32 v1, v1, v193
	v_fma_f32 v3, v158, v26, -v3
	v_fmac_f32_e32 v206, v173, v120
	v_fmac_f32_e32 v210, v181, v128
	s_delay_alu instid0(VALU_DEP_4) | instskip(SKIP_3) | instid1(VALU_DEP_4)
	v_dual_add_f32 v2, v2, v4 :: v_dual_add_f32 v1, v1, v194
	v_mul_f32_e32 v4, v163, v111
	v_fmac_f32_e32 v197, v155, v20
	v_fmac_f32_e32 v212, v185, v132
	v_dual_add_f32 v2, v2, v3 :: v_dual_mul_f32 v3, v165, v113
	s_delay_alu instid0(VALU_DEP_4) | instskip(SKIP_1) | instid1(VALU_DEP_3)
	v_fma_f32 v4, v162, v110, -v4
	v_mul_f32_e32 v5, v161, v109
	v_fma_f32 v3, v164, v112, -v3
	s_delay_alu instid0(VALU_DEP_2) | instskip(NEXT) | instid1(VALU_DEP_1)
	v_fma_f32 v5, v160, v108, -v5
	v_dual_add_f32 v1, v1, v195 :: v_dual_add_f32 v2, v2, v5
	s_delay_alu instid0(VALU_DEP_1) | instskip(NEXT) | instid1(VALU_DEP_2)
	v_dual_mul_f32 v5, v167, v115 :: v_dual_add_f32 v2, v2, v4
	v_add_f32_e32 v1, v1, v196
	v_mul_f32_e32 v4, v169, v117
	s_delay_alu instid0(VALU_DEP_3) | instskip(NEXT) | instid1(VALU_DEP_4)
	v_fma_f32 v5, v166, v114, -v5
	v_dual_add_f32 v2, v2, v3 :: v_dual_fmac_f32 v203, v167, v114
	v_mul_f32_e32 v3, v171, v119
	s_delay_alu instid0(VALU_DEP_4) | instskip(NEXT) | instid1(VALU_DEP_3)
	v_fma_f32 v4, v168, v116, -v4
	v_add_f32_e32 v2, v2, v5
	v_add_f32_e32 v1, v1, v197
	s_delay_alu instid0(VALU_DEP_4) | instskip(NEXT) | instid1(VALU_DEP_3)
	v_fma_f32 v3, v170, v118, -v3
	v_dual_add_f32 v2, v2, v4 :: v_dual_mul_f32 v5, v173, v121
	s_delay_alu instid0(VALU_DEP_3) | instskip(NEXT) | instid1(VALU_DEP_2)
	v_dual_add_f32 v1, v1, v198 :: v_dual_mul_f32 v4, v175, v123
	v_add_f32_e32 v2, v2, v3
	s_delay_alu instid0(VALU_DEP_3) | instskip(NEXT) | instid1(VALU_DEP_3)
	v_fma_f32 v5, v172, v120, -v5
	v_add_f32_e32 v1, v1, v199
	v_mul_f32_e32 v3, v177, v125
	v_fma_f32 v4, v174, v122, -v4
	s_delay_alu instid0(VALU_DEP_4) | instskip(NEXT) | instid1(VALU_DEP_3)
	v_dual_add_f32 v2, v2, v5 :: v_dual_mul_f32 v5, v179, v127
	v_fma_f32 v3, v176, v124, -v3
	s_delay_alu instid0(VALU_DEP_2) | instskip(SKIP_3) | instid1(VALU_DEP_4)
	v_add_f32_e32 v2, v2, v4
	v_add_f32_e32 v1, v1, v200
	v_mul_f32_e32 v4, v181, v129
	v_fma_f32 v5, v178, v126, -v5
	v_dual_add_f32 v2, v2, v3 :: v_dual_fmac_f32 v209, v179, v126
	v_mul_f32_e32 v3, v183, v131
	s_delay_alu instid0(VALU_DEP_4) | instskip(NEXT) | instid1(VALU_DEP_3)
	v_fma_f32 v4, v180, v128, -v4
	v_add_f32_e32 v2, v2, v5
	v_add_f32_e32 v1, v1, v201
	s_delay_alu instid0(VALU_DEP_4) | instskip(NEXT) | instid1(VALU_DEP_2)
	v_fma_f32 v3, v182, v130, -v3
	v_dual_add_f32 v2, v2, v4 :: v_dual_add_f32 v1, v1, v202
	v_dual_mul_f32 v4, v187, v135 :: v_dual_mul_f32 v5, v185, v133
	s_delay_alu instid0(VALU_DEP_2) | instskip(NEXT) | instid1(VALU_DEP_2)
	v_add_f32_e32 v2, v2, v3
	v_fma_f32 v3, v186, v134, -v4
	s_delay_alu instid0(VALU_DEP_3) | instskip(NEXT) | instid1(VALU_DEP_1)
	v_fma_f32 v5, v184, v132, -v5
	v_dual_add_f32 v1, v1, v203 :: v_dual_add_f32 v2, v2, v5
	s_delay_alu instid0(VALU_DEP_1) | instskip(NEXT) | instid1(VALU_DEP_1)
	v_dual_add_f32 v1, v1, v204 :: v_dual_add_f32 v2, v2, v3
	v_add_f32_e32 v1, v1, v205
	s_delay_alu instid0(VALU_DEP_1) | instskip(NEXT) | instid1(VALU_DEP_1)
	v_add_f32_e32 v1, v1, v206
	v_add_f32_e32 v1, v1, v207
	s_delay_alu instid0(VALU_DEP_1) | instskip(NEXT) | instid1(VALU_DEP_1)
	v_add_f32_e32 v1, v1, v208
	;; [unrolled: 3-line block ×4, first 2 shown]
	v_add_f32_e32 v3, v1, v213
	s_wait_loadcnt 0x0
	s_delay_alu instid0(VALU_DEP_1)
	v_dual_sub_f32 v1, v188, v2 :: v_dual_sub_f32 v2, v189, v3
	scratch_store_b64 off, v[1:2], off offset:104
	v_cmpx_lt_u32_e32 12, v0
	s_cbranch_execz .LBB103_229
; %bb.228:
	scratch_load_b64 v[1:2], off, off offset:96
	v_mov_b32_e32 v3, 0
	s_delay_alu instid0(VALU_DEP_1)
	v_mov_b32_e32 v4, v3
	scratch_store_b64 off, v[3:4], off offset:96
	s_wait_loadcnt 0x0
	ds_store_b64 v23, v[1:2]
.LBB103_229:
	s_wait_alu 0xfffe
	s_or_b32 exec_lo, exec_lo, s0
	s_wait_storecnt_dscnt 0x0
	s_barrier_signal -1
	s_barrier_wait -1
	global_inv scope:SCOPE_SE
	s_clause 0xe
	scratch_load_b128 v[2:5], off, off offset:104
	scratch_load_b128 v[6:9], off, off offset:120
	;; [unrolled: 1-line block ×13, first 2 shown]
	scratch_load_b64 v[188:189], off, off offset:312
	scratch_load_b64 v[190:191], off, off offset:96
	v_mov_b32_e32 v1, 0
	ds_load_2addr_b64 v[136:139], v1 offset0:53 offset1:54
	ds_load_2addr_b64 v[140:143], v1 offset0:55 offset1:56
	;; [unrolled: 1-line block ×13, first 2 shown]
	ds_load_b64 v[192:193], v1 offset:632
	s_mov_b32 s0, exec_lo
	s_wait_loadcnt_dscnt 0xe0d
	v_mul_f32_e32 v22, v136, v3
	v_dual_mul_f32 v3, v137, v3 :: v_dual_mul_f32 v194, v138, v5
	s_wait_loadcnt_dscnt 0xa09
	v_dual_mul_f32 v195, v140, v7 :: v_dual_mul_f32 v202, v154, v21
	v_mul_f32_e32 v5, v139, v5
	s_delay_alu instid0(VALU_DEP_3) | instskip(SKIP_3) | instid1(VALU_DEP_4)
	v_fma_f32 v3, v136, v2, -v3
	v_dual_mul_f32 v196, v142, v9 :: v_dual_mul_f32 v197, v144, v11
	v_fmac_f32_e32 v22, v137, v2
	v_mul_f32_e32 v2, v141, v7
	v_dual_fmac_f32 v194, v139, v4 :: v_dual_add_f32 v3, 0, v3
	s_wait_loadcnt_dscnt 0x100
	v_mul_f32_e32 v219, v192, v189
	v_fma_f32 v4, v138, v4, -v5
	v_dual_add_f32 v5, 0, v22 :: v_dual_fmac_f32 v196, v143, v8
	v_mul_f32_e32 v7, v143, v9
	v_fma_f32 v2, v140, v6, -v2
	s_delay_alu instid0(VALU_DEP_4)
	v_add_f32_e32 v3, v3, v4
	v_fmac_f32_e32 v195, v141, v6
	v_add_f32_e32 v4, v5, v194
	v_mul_f32_e32 v5, v145, v11
	v_fma_f32 v6, v142, v8, -v7
	v_add_f32_e32 v2, v3, v2
	v_dual_mul_f32 v198, v146, v13 :: v_dual_mul_f32 v199, v148, v15
	v_dual_add_f32 v3, v4, v195 :: v_dual_mul_f32 v4, v147, v13
	v_fma_f32 v5, v144, v10, -v5
	s_delay_alu instid0(VALU_DEP_4)
	v_add_f32_e32 v2, v2, v6
	v_fmac_f32_e32 v197, v145, v10
	v_mul_f32_e32 v6, v149, v15
	v_fmac_f32_e32 v198, v147, v12
	v_add_f32_e32 v3, v3, v196
	v_fma_f32 v4, v146, v12, -v4
	v_add_f32_e32 v2, v2, v5
	v_dual_mul_f32 v200, v150, v17 :: v_dual_mul_f32 v201, v152, v19
	s_delay_alu instid0(VALU_DEP_4)
	v_add_f32_e32 v3, v3, v197
	v_mul_f32_e32 v5, v151, v17
	v_fma_f32 v6, v148, v14, -v6
	v_dual_add_f32 v2, v2, v4 :: v_dual_fmac_f32 v199, v149, v14
	v_fmac_f32_e32 v200, v151, v16
	v_mul_f32_e32 v4, v153, v19
	v_fma_f32 v5, v150, v16, -v5
	s_delay_alu instid0(VALU_DEP_4) | instskip(SKIP_3) | instid1(VALU_DEP_3)
	v_add_f32_e32 v2, v2, v6
	v_add_f32_e32 v3, v3, v198
	v_dual_mul_f32 v6, v155, v21 :: v_dual_fmac_f32 v201, v153, v18
	v_fma_f32 v4, v152, v18, -v4
	v_dual_add_f32 v2, v2, v5 :: v_dual_add_f32 v3, v3, v199
	s_delay_alu instid0(VALU_DEP_3) | instskip(SKIP_1) | instid1(VALU_DEP_3)
	v_fma_f32 v6, v154, v20, -v6
	v_dual_mul_f32 v203, v156, v25 :: v_dual_mul_f32 v204, v158, v27
	v_add_f32_e32 v2, v2, v4
	s_delay_alu instid0(VALU_DEP_4) | instskip(SKIP_1) | instid1(VALU_DEP_4)
	v_add_f32_e32 v3, v3, v200
	v_dual_mul_f32 v5, v157, v25 :: v_dual_fmac_f32 v202, v155, v20
	v_dual_mul_f32 v4, v159, v27 :: v_dual_fmac_f32 v203, v157, v24
	s_delay_alu instid0(VALU_DEP_3) | instskip(NEXT) | instid1(VALU_DEP_3)
	v_dual_add_f32 v2, v2, v6 :: v_dual_add_f32 v3, v3, v201
	v_fma_f32 v5, v156, v24, -v5
	v_dual_mul_f32 v205, v160, v109 :: v_dual_mul_f32 v206, v162, v111
	s_delay_alu instid0(VALU_DEP_3) | instskip(NEXT) | instid1(VALU_DEP_2)
	v_dual_mul_f32 v6, v161, v109 :: v_dual_add_f32 v3, v3, v202
	v_dual_fmac_f32 v204, v159, v26 :: v_dual_fmac_f32 v205, v161, v108
	v_fma_f32 v4, v158, v26, -v4
	s_delay_alu instid0(VALU_DEP_3) | instskip(SKIP_3) | instid1(VALU_DEP_4)
	v_dual_add_f32 v2, v2, v5 :: v_dual_add_f32 v3, v3, v203
	v_mul_f32_e32 v5, v163, v111
	v_fma_f32 v6, v160, v108, -v6
	v_dual_mul_f32 v207, v164, v113 :: v_dual_mul_f32 v208, v166, v115
	v_add_f32_e32 v2, v2, v4
	v_dual_add_f32 v3, v3, v204 :: v_dual_mul_f32 v4, v165, v113
	s_delay_alu instid0(VALU_DEP_3) | instskip(SKIP_1) | instid1(VALU_DEP_3)
	v_dual_fmac_f32 v206, v163, v110 :: v_dual_fmac_f32 v207, v165, v112
	v_fma_f32 v5, v162, v110, -v5
	v_dual_add_f32 v2, v2, v6 :: v_dual_add_f32 v3, v3, v205
	v_mul_f32_e32 v6, v167, v115
	v_fma_f32 v4, v164, v112, -v4
	v_dual_mul_f32 v209, v168, v117 :: v_dual_mul_f32 v210, v170, v119
	s_delay_alu instid0(VALU_DEP_4) | instskip(SKIP_1) | instid1(VALU_DEP_3)
	v_dual_add_f32 v2, v2, v5 :: v_dual_add_f32 v3, v3, v206
	v_dual_mul_f32 v5, v169, v117 :: v_dual_fmac_f32 v208, v167, v114
	v_fmac_f32_e32 v209, v169, v116
	v_fma_f32 v6, v166, v114, -v6
	s_delay_alu instid0(VALU_DEP_4) | instskip(SKIP_2) | instid1(VALU_DEP_2)
	v_dual_add_f32 v2, v2, v4 :: v_dual_add_f32 v3, v3, v207
	v_dual_mul_f32 v211, v172, v121 :: v_dual_mul_f32 v212, v174, v123
	v_dual_mul_f32 v213, v176, v125 :: v_dual_mul_f32 v214, v178, v127
	v_dual_mul_f32 v4, v171, v119 :: v_dual_fmac_f32 v211, v173, v120
	v_fma_f32 v5, v168, v116, -v5
	v_dual_add_f32 v2, v2, v6 :: v_dual_add_f32 v3, v3, v208
	v_mul_f32_e32 v6, v173, v121
	v_dual_fmac_f32 v210, v171, v118 :: v_dual_fmac_f32 v213, v177, v124
	v_fma_f32 v4, v170, v118, -v4
	s_delay_alu instid0(VALU_DEP_4) | instskip(SKIP_3) | instid1(VALU_DEP_3)
	v_add_f32_e32 v3, v3, v209
	v_dual_add_f32 v2, v2, v5 :: v_dual_mul_f32 v5, v175, v123
	v_fma_f32 v6, v172, v120, -v6
	v_dual_mul_f32 v217, v184, v133 :: v_dual_mul_f32 v218, v186, v135
	v_dual_add_f32 v3, v3, v210 :: v_dual_add_f32 v2, v2, v4
	v_mul_f32_e32 v4, v177, v125
	v_fmac_f32_e32 v212, v175, v122
	v_fma_f32 v5, v174, v122, -v5
	s_delay_alu instid0(VALU_DEP_4) | instskip(SKIP_3) | instid1(VALU_DEP_4)
	v_dual_add_f32 v3, v3, v211 :: v_dual_add_f32 v2, v2, v6
	v_dual_mul_f32 v215, v180, v129 :: v_dual_mul_f32 v216, v182, v131
	v_mul_f32_e32 v6, v179, v127
	v_dual_fmac_f32 v214, v179, v126 :: v_dual_fmac_f32 v217, v185, v132
	v_add_f32_e32 v2, v2, v5
	v_mul_f32_e32 v5, v181, v129
	v_add_f32_e32 v3, v3, v212
	v_fma_f32 v4, v176, v124, -v4
	v_fmac_f32_e32 v215, v181, v128
	v_fma_f32 v6, v178, v126, -v6
	v_fma_f32 v5, v180, v128, -v5
	v_add_f32_e32 v3, v3, v213
	v_dual_fmac_f32 v216, v183, v130 :: v_dual_fmac_f32 v219, v193, v188
	v_fmac_f32_e32 v218, v187, v134
	s_delay_alu instid0(VALU_DEP_3) | instskip(SKIP_1) | instid1(VALU_DEP_2)
	v_dual_add_f32 v3, v3, v214 :: v_dual_add_f32 v2, v2, v4
	v_mul_f32_e32 v4, v183, v131
	v_dual_add_f32 v3, v3, v215 :: v_dual_add_f32 v2, v2, v6
	v_mul_f32_e32 v6, v185, v133
	s_delay_alu instid0(VALU_DEP_3) | instskip(NEXT) | instid1(VALU_DEP_3)
	v_fma_f32 v4, v182, v130, -v4
	v_dual_add_f32 v3, v3, v216 :: v_dual_add_f32 v2, v2, v5
	v_mul_f32_e32 v5, v187, v135
	s_delay_alu instid0(VALU_DEP_4) | instskip(NEXT) | instid1(VALU_DEP_3)
	v_fma_f32 v6, v184, v132, -v6
	v_dual_add_f32 v3, v3, v217 :: v_dual_add_f32 v2, v2, v4
	v_mul_f32_e32 v4, v193, v189
	s_delay_alu instid0(VALU_DEP_4) | instskip(NEXT) | instid1(VALU_DEP_3)
	v_fma_f32 v5, v186, v134, -v5
	v_add_f32_e32 v3, v3, v218
	s_delay_alu instid0(VALU_DEP_4) | instskip(NEXT) | instid1(VALU_DEP_4)
	v_add_f32_e32 v2, v2, v6
	v_fma_f32 v4, v192, v188, -v4
	s_delay_alu instid0(VALU_DEP_2) | instskip(SKIP_1) | instid1(VALU_DEP_1)
	v_dual_add_f32 v3, v3, v219 :: v_dual_add_f32 v2, v2, v5
	s_wait_loadcnt 0x0
	v_dual_sub_f32 v3, v191, v3 :: v_dual_add_f32 v2, v2, v4
	s_delay_alu instid0(VALU_DEP_1)
	v_sub_f32_e32 v2, v190, v2
	scratch_store_b64 off, v[2:3], off offset:96
	v_cmpx_lt_u32_e32 11, v0
	s_cbranch_execz .LBB103_231
; %bb.230:
	scratch_load_b64 v[3:4], off, off offset:88
	v_mov_b32_e32 v2, v1
	scratch_store_b64 off, v[1:2], off offset:88
	s_wait_loadcnt 0x0
	ds_store_b64 v23, v[3:4]
.LBB103_231:
	s_wait_alu 0xfffe
	s_or_b32 exec_lo, exec_lo, s0
	s_wait_storecnt_dscnt 0x0
	s_barrier_signal -1
	s_barrier_wait -1
	global_inv scope:SCOPE_SE
	s_clause 0xe
	scratch_load_b128 v[2:5], off, off offset:96
	scratch_load_b128 v[6:9], off, off offset:112
	;; [unrolled: 1-line block ×14, first 2 shown]
	scratch_load_b64 v[196:197], off, off offset:88
	ds_load_b128 v[140:143], v1 offset:416
	ds_load_b128 v[144:147], v1 offset:432
	;; [unrolled: 1-line block ×14, first 2 shown]
	s_mov_b32 s0, exec_lo
	s_wait_loadcnt_dscnt 0xe0d
	v_dual_mul_f32 v1, v140, v3 :: v_dual_mul_f32 v22, v142, v5
	s_wait_loadcnt_dscnt 0xd0c
	v_dual_mul_f32 v5, v143, v5 :: v_dual_mul_f32 v198, v144, v7
	v_mul_f32_e32 v199, v146, v9
	s_wait_loadcnt_dscnt 0xc0b
	v_dual_fmac_f32 v1, v141, v2 :: v_dual_mul_f32 v200, v148, v11
	v_mul_f32_e32 v201, v150, v13
	v_dual_mul_f32 v3, v141, v3 :: v_dual_fmac_f32 v22, v143, v4
	s_wait_loadcnt_dscnt 0xb0a
	v_dual_mul_f32 v202, v152, v15 :: v_dual_mul_f32 v203, v154, v17
	s_wait_loadcnt_dscnt 0x201
	v_mul_f32_e32 v220, v188, v133
	v_fma_f32 v3, v140, v2, -v3
	s_wait_loadcnt_dscnt 0x100
	v_mul_f32_e32 v223, v194, v139
	v_mul_f32_e32 v2, v145, v7
	v_fma_f32 v4, v142, v4, -v5
	v_dual_mul_f32 v5, v147, v9 :: v_dual_fmac_f32 v200, v149, v10
	v_dual_add_f32 v3, 0, v3 :: v_dual_fmac_f32 v198, v145, v6
	s_delay_alu instid0(VALU_DEP_4) | instskip(NEXT) | instid1(VALU_DEP_3)
	v_fma_f32 v2, v144, v6, -v2
	v_fma_f32 v5, v146, v8, -v5
	s_delay_alu instid0(VALU_DEP_3) | instskip(SKIP_2) | instid1(VALU_DEP_3)
	v_dual_fmac_f32 v202, v153, v14 :: v_dual_add_f32 v3, v3, v4
	v_dual_mul_f32 v204, v156, v19 :: v_dual_mul_f32 v205, v158, v21
	v_dual_mul_f32 v206, v160, v25 :: v_dual_mul_f32 v207, v162, v27
	v_add_f32_e32 v2, v3, v2
	s_delay_alu instid0(VALU_DEP_3) | instskip(SKIP_1) | instid1(VALU_DEP_3)
	v_dual_mul_f32 v3, v151, v13 :: v_dual_fmac_f32 v204, v157, v18
	v_dual_fmac_f32 v203, v155, v16 :: v_dual_mul_f32 v4, v149, v11
	v_add_f32_e32 v2, v2, v5
	v_add_f32_e32 v1, 0, v1
	s_delay_alu instid0(VALU_DEP_4) | instskip(SKIP_2) | instid1(VALU_DEP_4)
	v_fma_f32 v3, v150, v12, -v3
	v_dual_mul_f32 v208, v164, v109 :: v_dual_mul_f32 v209, v166, v111
	v_fma_f32 v4, v148, v10, -v4
	v_dual_add_f32 v1, v1, v22 :: v_dual_mul_f32 v212, v172, v117
	v_dual_mul_f32 v213, v174, v119 :: v_dual_mul_f32 v210, v168, v113
	v_mul_f32_e32 v211, v170, v115
	s_delay_alu instid0(VALU_DEP_3) | instskip(SKIP_2) | instid1(VALU_DEP_3)
	v_dual_add_f32 v2, v2, v4 :: v_dual_add_f32 v1, v1, v198
	v_mul_f32_e32 v4, v155, v17
	v_fmac_f32_e32 v199, v147, v8
	v_dual_fmac_f32 v209, v167, v110 :: v_dual_add_f32 v2, v2, v3
	v_dual_mul_f32 v214, v176, v121 :: v_dual_mul_f32 v215, v178, v123
	s_delay_alu instid0(VALU_DEP_4) | instskip(SKIP_4) | instid1(VALU_DEP_4)
	v_fma_f32 v4, v154, v16, -v4
	v_mul_f32_e32 v5, v153, v15
	v_add_f32_e32 v1, v1, v199
	v_dual_fmac_f32 v207, v163, v26 :: v_dual_fmac_f32 v210, v169, v112
	v_fmac_f32_e32 v206, v161, v24
	v_fma_f32 v5, v152, v14, -v5
	v_dual_fmac_f32 v201, v151, v12 :: v_dual_mul_f32 v218, v184, v129
	v_dual_mul_f32 v219, v186, v131 :: v_dual_mul_f32 v216, v180, v125
	v_mul_f32_e32 v217, v182, v127
	s_delay_alu instid0(VALU_DEP_4) | instskip(SKIP_3) | instid1(VALU_DEP_4)
	v_add_f32_e32 v2, v2, v5
	v_mul_f32_e32 v5, v159, v21
	v_fmac_f32_e32 v215, v179, v122
	v_dual_fmac_f32 v213, v175, v118 :: v_dual_fmac_f32 v216, v181, v124
	v_add_f32_e32 v2, v2, v4
	s_delay_alu instid0(VALU_DEP_4) | instskip(SKIP_4) | instid1(VALU_DEP_4)
	v_fma_f32 v5, v158, v20, -v5
	v_mul_f32_e32 v3, v157, v19
	v_mul_f32_e32 v4, v161, v25
	v_dual_fmac_f32 v208, v165, v108 :: v_dual_mul_f32 v221, v190, v135
	v_mul_f32_e32 v222, v192, v137
	v_fma_f32 v3, v156, v18, -v3
	v_add_f32_e32 v1, v1, v200
	v_fma_f32 v4, v160, v24, -v4
	s_delay_alu instid0(VALU_DEP_4) | instskip(NEXT) | instid1(VALU_DEP_4)
	v_dual_fmac_f32 v219, v187, v130 :: v_dual_fmac_f32 v222, v193, v136
	v_add_f32_e32 v2, v2, v3
	v_mul_f32_e32 v3, v163, v27
	v_fmac_f32_e32 v221, v191, v134
	v_dual_fmac_f32 v223, v195, v138 :: v_dual_fmac_f32 v212, v173, v116
	s_delay_alu instid0(VALU_DEP_4) | instskip(SKIP_4) | instid1(VALU_DEP_4)
	v_add_f32_e32 v2, v2, v5
	v_add_f32_e32 v1, v1, v201
	v_fma_f32 v3, v162, v26, -v3
	v_fmac_f32_e32 v214, v177, v120
	v_fmac_f32_e32 v218, v185, v128
	v_dual_add_f32 v2, v2, v4 :: v_dual_add_f32 v1, v1, v202
	v_mul_f32_e32 v4, v167, v111
	v_fmac_f32_e32 v205, v159, v20
	v_fmac_f32_e32 v220, v189, v132
	s_delay_alu instid0(VALU_DEP_4) | instskip(NEXT) | instid1(VALU_DEP_4)
	v_dual_add_f32 v2, v2, v3 :: v_dual_mul_f32 v3, v169, v113
	v_fma_f32 v4, v166, v110, -v4
	v_mul_f32_e32 v5, v165, v109
	s_delay_alu instid0(VALU_DEP_3) | instskip(NEXT) | instid1(VALU_DEP_2)
	v_fma_f32 v3, v168, v112, -v3
	v_fma_f32 v5, v164, v108, -v5
	s_delay_alu instid0(VALU_DEP_1) | instskip(NEXT) | instid1(VALU_DEP_1)
	v_dual_add_f32 v1, v1, v203 :: v_dual_add_f32 v2, v2, v5
	v_dual_mul_f32 v5, v171, v115 :: v_dual_add_f32 v2, v2, v4
	s_delay_alu instid0(VALU_DEP_2) | instskip(SKIP_1) | instid1(VALU_DEP_3)
	v_add_f32_e32 v1, v1, v204
	v_mul_f32_e32 v4, v173, v117
	v_fma_f32 v5, v170, v114, -v5
	s_delay_alu instid0(VALU_DEP_4) | instskip(SKIP_1) | instid1(VALU_DEP_4)
	v_dual_add_f32 v2, v2, v3 :: v_dual_fmac_f32 v211, v171, v114
	v_mul_f32_e32 v3, v175, v119
	v_fma_f32 v4, v172, v116, -v4
	s_delay_alu instid0(VALU_DEP_3) | instskip(SKIP_1) | instid1(VALU_DEP_4)
	v_add_f32_e32 v2, v2, v5
	v_add_f32_e32 v1, v1, v205
	v_fma_f32 v3, v174, v118, -v3
	s_delay_alu instid0(VALU_DEP_3) | instskip(NEXT) | instid1(VALU_DEP_3)
	v_dual_add_f32 v2, v2, v4 :: v_dual_mul_f32 v5, v177, v121
	v_dual_add_f32 v1, v1, v206 :: v_dual_mul_f32 v4, v179, v123
	s_delay_alu instid0(VALU_DEP_2) | instskip(NEXT) | instid1(VALU_DEP_3)
	v_add_f32_e32 v2, v2, v3
	v_fma_f32 v5, v176, v120, -v5
	s_delay_alu instid0(VALU_DEP_3) | instskip(SKIP_2) | instid1(VALU_DEP_4)
	v_add_f32_e32 v1, v1, v207
	v_mul_f32_e32 v3, v181, v125
	v_fma_f32 v4, v178, v122, -v4
	v_dual_add_f32 v2, v2, v5 :: v_dual_mul_f32 v5, v183, v127
	s_delay_alu instid0(VALU_DEP_3) | instskip(NEXT) | instid1(VALU_DEP_2)
	v_fma_f32 v3, v180, v124, -v3
	v_add_f32_e32 v2, v2, v4
	v_add_f32_e32 v1, v1, v208
	v_mul_f32_e32 v4, v185, v129
	v_fma_f32 v5, v182, v126, -v5
	s_delay_alu instid0(VALU_DEP_4) | instskip(SKIP_1) | instid1(VALU_DEP_4)
	v_dual_add_f32 v2, v2, v3 :: v_dual_fmac_f32 v217, v183, v126
	v_mul_f32_e32 v3, v187, v131
	v_fma_f32 v4, v184, v128, -v4
	s_delay_alu instid0(VALU_DEP_3) | instskip(SKIP_1) | instid1(VALU_DEP_4)
	v_add_f32_e32 v2, v2, v5
	v_add_f32_e32 v1, v1, v209
	v_fma_f32 v3, v186, v130, -v3
	s_delay_alu instid0(VALU_DEP_3) | instskip(NEXT) | instid1(VALU_DEP_3)
	v_dual_add_f32 v2, v2, v4 :: v_dual_mul_f32 v5, v189, v133
	v_dual_add_f32 v1, v1, v210 :: v_dual_mul_f32 v4, v191, v135
	s_delay_alu instid0(VALU_DEP_2) | instskip(NEXT) | instid1(VALU_DEP_3)
	v_add_f32_e32 v2, v2, v3
	v_fma_f32 v5, v188, v132, -v5
	s_delay_alu instid0(VALU_DEP_3) | instskip(SKIP_2) | instid1(VALU_DEP_4)
	v_add_f32_e32 v1, v1, v211
	v_mul_f32_e32 v3, v193, v137
	v_fma_f32 v4, v190, v134, -v4
	v_dual_add_f32 v2, v2, v5 :: v_dual_mul_f32 v5, v195, v139
	s_delay_alu instid0(VALU_DEP_3) | instskip(NEXT) | instid1(VALU_DEP_2)
	v_fma_f32 v3, v192, v136, -v3
	v_add_f32_e32 v2, v2, v4
	v_add_f32_e32 v1, v1, v212
	s_delay_alu instid0(VALU_DEP_4) | instskip(NEXT) | instid1(VALU_DEP_2)
	v_fma_f32 v4, v194, v138, -v5
	v_dual_add_f32 v2, v2, v3 :: v_dual_add_f32 v1, v1, v213
	s_delay_alu instid0(VALU_DEP_1) | instskip(NEXT) | instid1(VALU_DEP_1)
	v_dual_add_f32 v2, v2, v4 :: v_dual_add_f32 v1, v1, v214
	v_add_f32_e32 v1, v1, v215
	s_delay_alu instid0(VALU_DEP_1) | instskip(NEXT) | instid1(VALU_DEP_1)
	v_add_f32_e32 v1, v1, v216
	v_add_f32_e32 v1, v1, v217
	s_delay_alu instid0(VALU_DEP_1) | instskip(NEXT) | instid1(VALU_DEP_1)
	v_add_f32_e32 v1, v1, v218
	;; [unrolled: 3-line block ×4, first 2 shown]
	v_add_f32_e32 v3, v1, v223
	s_wait_loadcnt 0x0
	s_delay_alu instid0(VALU_DEP_1)
	v_dual_sub_f32 v1, v196, v2 :: v_dual_sub_f32 v2, v197, v3
	scratch_store_b64 off, v[1:2], off offset:88
	v_cmpx_lt_u32_e32 10, v0
	s_cbranch_execz .LBB103_233
; %bb.232:
	scratch_load_b64 v[1:2], off, off offset:80
	v_mov_b32_e32 v3, 0
	s_delay_alu instid0(VALU_DEP_1)
	v_mov_b32_e32 v4, v3
	scratch_store_b64 off, v[3:4], off offset:80
	s_wait_loadcnt 0x0
	ds_store_b64 v23, v[1:2]
.LBB103_233:
	s_wait_alu 0xfffe
	s_or_b32 exec_lo, exec_lo, s0
	s_wait_storecnt_dscnt 0x0
	s_barrier_signal -1
	s_barrier_wait -1
	global_inv scope:SCOPE_SE
	s_clause 0xf
	scratch_load_b128 v[2:5], off, off offset:88
	scratch_load_b128 v[6:9], off, off offset:104
	;; [unrolled: 1-line block ×14, first 2 shown]
	scratch_load_b64 v[196:197], off, off offset:312
	scratch_load_b64 v[198:199], off, off offset:80
	v_mov_b32_e32 v1, 0
	ds_load_2addr_b64 v[140:143], v1 offset0:51 offset1:52
	ds_load_2addr_b64 v[144:147], v1 offset0:53 offset1:54
	;; [unrolled: 1-line block ×14, first 2 shown]
	ds_load_b64 v[200:201], v1 offset:632
	s_mov_b32 s0, exec_lo
	s_wait_loadcnt_dscnt 0xf0e
	v_mul_f32_e32 v22, v140, v3
	v_dual_mul_f32 v3, v141, v3 :: v_dual_mul_f32 v202, v142, v5
	s_wait_loadcnt_dscnt 0xb0a
	v_dual_mul_f32 v203, v144, v7 :: v_dual_mul_f32 v210, v158, v21
	v_mul_f32_e32 v5, v143, v5
	s_delay_alu instid0(VALU_DEP_3)
	v_fma_f32 v3, v140, v2, -v3
	v_dual_mul_f32 v204, v146, v9 :: v_dual_mul_f32 v205, v148, v11
	v_fmac_f32_e32 v202, v143, v4
	v_fmac_f32_e32 v22, v141, v2
	v_mul_f32_e32 v2, v145, v7
	v_fma_f32 v4, v142, v4, -v5
	v_add_f32_e32 v3, 0, v3
	s_wait_loadcnt_dscnt 0x100
	v_mul_f32_e32 v229, v200, v197
	v_dual_add_f32 v5, 0, v22 :: v_dual_fmac_f32 v204, v147, v8
	v_mul_f32_e32 v7, v147, v9
	v_fma_f32 v2, v144, v6, -v2
	v_add_f32_e32 v3, v3, v4
	v_fmac_f32_e32 v203, v145, v6
	v_add_f32_e32 v4, v5, v202
	v_mul_f32_e32 v5, v149, v11
	v_fma_f32 v6, v146, v8, -v7
	v_add_f32_e32 v2, v3, v2
	v_dual_mul_f32 v206, v150, v13 :: v_dual_mul_f32 v207, v152, v15
	v_dual_add_f32 v3, v4, v203 :: v_dual_mul_f32 v4, v151, v13
	v_fma_f32 v5, v148, v10, -v5
	s_delay_alu instid0(VALU_DEP_4)
	v_add_f32_e32 v2, v2, v6
	v_fmac_f32_e32 v205, v149, v10
	v_mul_f32_e32 v6, v153, v15
	v_fmac_f32_e32 v206, v151, v12
	v_add_f32_e32 v3, v3, v204
	v_fma_f32 v4, v150, v12, -v4
	v_add_f32_e32 v2, v2, v5
	v_dual_mul_f32 v208, v154, v17 :: v_dual_mul_f32 v209, v156, v19
	s_delay_alu instid0(VALU_DEP_4)
	v_add_f32_e32 v3, v3, v205
	v_mul_f32_e32 v5, v155, v17
	v_fma_f32 v6, v152, v14, -v6
	v_dual_add_f32 v2, v2, v4 :: v_dual_fmac_f32 v207, v153, v14
	v_fmac_f32_e32 v208, v155, v16
	v_mul_f32_e32 v4, v157, v19
	v_fma_f32 v5, v154, v16, -v5
	s_delay_alu instid0(VALU_DEP_4) | instskip(SKIP_3) | instid1(VALU_DEP_3)
	v_add_f32_e32 v2, v2, v6
	v_add_f32_e32 v3, v3, v206
	v_dual_mul_f32 v6, v159, v21 :: v_dual_fmac_f32 v209, v157, v18
	v_fma_f32 v4, v156, v18, -v4
	v_dual_add_f32 v2, v2, v5 :: v_dual_add_f32 v3, v3, v207
	s_delay_alu instid0(VALU_DEP_3) | instskip(SKIP_1) | instid1(VALU_DEP_3)
	v_fma_f32 v6, v158, v20, -v6
	v_dual_mul_f32 v211, v160, v25 :: v_dual_mul_f32 v212, v162, v27
	v_add_f32_e32 v2, v2, v4
	s_delay_alu instid0(VALU_DEP_4) | instskip(SKIP_1) | instid1(VALU_DEP_4)
	v_add_f32_e32 v3, v3, v208
	v_dual_mul_f32 v5, v161, v25 :: v_dual_fmac_f32 v210, v159, v20
	v_dual_mul_f32 v4, v163, v27 :: v_dual_fmac_f32 v211, v161, v24
	s_delay_alu instid0(VALU_DEP_3) | instskip(NEXT) | instid1(VALU_DEP_3)
	v_dual_add_f32 v2, v2, v6 :: v_dual_add_f32 v3, v3, v209
	v_fma_f32 v5, v160, v24, -v5
	v_dual_mul_f32 v213, v164, v109 :: v_dual_mul_f32 v214, v166, v111
	s_delay_alu instid0(VALU_DEP_3) | instskip(NEXT) | instid1(VALU_DEP_2)
	v_dual_mul_f32 v6, v165, v109 :: v_dual_add_f32 v3, v3, v210
	v_dual_fmac_f32 v212, v163, v26 :: v_dual_fmac_f32 v213, v165, v108
	v_fma_f32 v4, v162, v26, -v4
	s_delay_alu instid0(VALU_DEP_3) | instskip(SKIP_3) | instid1(VALU_DEP_4)
	v_dual_add_f32 v2, v2, v5 :: v_dual_add_f32 v3, v3, v211
	v_mul_f32_e32 v5, v167, v111
	v_fma_f32 v6, v164, v108, -v6
	v_dual_mul_f32 v215, v168, v113 :: v_dual_mul_f32 v216, v170, v115
	v_add_f32_e32 v2, v2, v4
	v_dual_add_f32 v3, v3, v212 :: v_dual_mul_f32 v4, v169, v113
	s_delay_alu instid0(VALU_DEP_3) | instskip(SKIP_1) | instid1(VALU_DEP_3)
	v_dual_fmac_f32 v214, v167, v110 :: v_dual_fmac_f32 v215, v169, v112
	v_fma_f32 v5, v166, v110, -v5
	v_dual_add_f32 v2, v2, v6 :: v_dual_add_f32 v3, v3, v213
	v_mul_f32_e32 v6, v171, v115
	v_fma_f32 v4, v168, v112, -v4
	v_dual_mul_f32 v217, v172, v117 :: v_dual_mul_f32 v218, v174, v119
	s_delay_alu instid0(VALU_DEP_4) | instskip(SKIP_1) | instid1(VALU_DEP_3)
	v_dual_add_f32 v2, v2, v5 :: v_dual_add_f32 v3, v3, v214
	v_dual_mul_f32 v5, v173, v117 :: v_dual_fmac_f32 v216, v171, v114
	v_fmac_f32_e32 v217, v173, v116
	v_fma_f32 v6, v170, v114, -v6
	s_delay_alu instid0(VALU_DEP_4) | instskip(SKIP_2) | instid1(VALU_DEP_2)
	v_dual_add_f32 v2, v2, v4 :: v_dual_add_f32 v3, v3, v215
	v_dual_mul_f32 v219, v176, v121 :: v_dual_mul_f32 v220, v178, v123
	v_dual_mul_f32 v221, v180, v125 :: v_dual_mul_f32 v222, v182, v127
	v_dual_mul_f32 v4, v175, v119 :: v_dual_fmac_f32 v219, v177, v120
	v_fma_f32 v5, v172, v116, -v5
	v_dual_add_f32 v2, v2, v6 :: v_dual_add_f32 v3, v3, v216
	v_mul_f32_e32 v6, v177, v121
	v_dual_fmac_f32 v218, v175, v118 :: v_dual_fmac_f32 v221, v181, v124
	v_fma_f32 v4, v174, v118, -v4
	s_delay_alu instid0(VALU_DEP_4) | instskip(SKIP_3) | instid1(VALU_DEP_3)
	v_add_f32_e32 v3, v3, v217
	v_dual_add_f32 v2, v2, v5 :: v_dual_mul_f32 v5, v179, v123
	v_fma_f32 v6, v176, v120, -v6
	v_dual_mul_f32 v225, v188, v133 :: v_dual_mul_f32 v226, v190, v135
	v_dual_add_f32 v3, v3, v218 :: v_dual_add_f32 v2, v2, v4
	v_mul_f32_e32 v4, v181, v125
	v_fmac_f32_e32 v220, v179, v122
	v_fma_f32 v5, v178, v122, -v5
	s_delay_alu instid0(VALU_DEP_4) | instskip(SKIP_3) | instid1(VALU_DEP_4)
	v_dual_add_f32 v3, v3, v219 :: v_dual_add_f32 v2, v2, v6
	v_dual_mul_f32 v223, v184, v129 :: v_dual_mul_f32 v224, v186, v131
	v_mul_f32_e32 v6, v183, v127
	v_dual_fmac_f32 v222, v183, v126 :: v_dual_fmac_f32 v225, v189, v132
	v_add_f32_e32 v2, v2, v5
	v_mul_f32_e32 v5, v185, v129
	v_add_f32_e32 v3, v3, v220
	v_fma_f32 v4, v180, v124, -v4
	v_fmac_f32_e32 v223, v185, v128
	v_fma_f32 v6, v182, v126, -v6
	v_dual_mul_f32 v227, v192, v137 :: v_dual_mul_f32 v228, v194, v139
	v_add_f32_e32 v3, v3, v221
	v_fma_f32 v5, v184, v128, -v5
	s_delay_alu instid0(VALU_DEP_3) | instskip(NEXT) | instid1(VALU_DEP_4)
	v_dual_fmac_f32 v224, v187, v130 :: v_dual_fmac_f32 v227, v193, v136
	v_fmac_f32_e32 v228, v195, v138
	s_delay_alu instid0(VALU_DEP_4) | instskip(SKIP_2) | instid1(VALU_DEP_3)
	v_dual_add_f32 v3, v3, v222 :: v_dual_add_f32 v2, v2, v4
	v_mul_f32_e32 v4, v187, v131
	v_dual_fmac_f32 v226, v191, v134 :: v_dual_fmac_f32 v229, v201, v196
	v_dual_add_f32 v3, v3, v223 :: v_dual_add_f32 v2, v2, v6
	v_mul_f32_e32 v6, v189, v133
	s_delay_alu instid0(VALU_DEP_4) | instskip(NEXT) | instid1(VALU_DEP_3)
	v_fma_f32 v4, v186, v130, -v4
	v_dual_add_f32 v2, v2, v5 :: v_dual_mul_f32 v5, v191, v135
	s_delay_alu instid0(VALU_DEP_3) | instskip(NEXT) | instid1(VALU_DEP_2)
	v_fma_f32 v6, v188, v132, -v6
	v_add_f32_e32 v2, v2, v4
	s_delay_alu instid0(VALU_DEP_3) | instskip(NEXT) | instid1(VALU_DEP_2)
	v_fma_f32 v5, v190, v134, -v5
	v_add_f32_e32 v2, v2, v6
	v_mul_f32_e32 v6, v195, v139
	s_delay_alu instid0(VALU_DEP_2) | instskip(SKIP_2) | instid1(VALU_DEP_4)
	v_add_f32_e32 v2, v2, v5
	v_mul_f32_e32 v5, v201, v197
	v_add_f32_e32 v3, v3, v224
	v_fma_f32 v6, v194, v138, -v6
	s_delay_alu instid0(VALU_DEP_2) | instskip(NEXT) | instid1(VALU_DEP_1)
	v_add_f32_e32 v3, v3, v225
	v_dual_mul_f32 v4, v193, v137 :: v_dual_add_f32 v3, v3, v226
	s_delay_alu instid0(VALU_DEP_1) | instskip(NEXT) | instid1(VALU_DEP_2)
	v_fma_f32 v4, v192, v136, -v4
	v_add_f32_e32 v3, v3, v227
	s_delay_alu instid0(VALU_DEP_1) | instskip(NEXT) | instid1(VALU_DEP_3)
	v_add_f32_e32 v3, v3, v228
	v_add_f32_e32 v2, v2, v4
	v_fma_f32 v4, v200, v196, -v5
	s_delay_alu instid0(VALU_DEP_2) | instskip(SKIP_1) | instid1(VALU_DEP_1)
	v_dual_add_f32 v3, v3, v229 :: v_dual_add_f32 v2, v2, v6
	s_wait_loadcnt 0x0
	v_dual_sub_f32 v3, v199, v3 :: v_dual_add_f32 v2, v2, v4
	s_delay_alu instid0(VALU_DEP_1)
	v_sub_f32_e32 v2, v198, v2
	scratch_store_b64 off, v[2:3], off offset:80
	v_cmpx_lt_u32_e32 9, v0
	s_cbranch_execz .LBB103_235
; %bb.234:
	scratch_load_b64 v[3:4], off, off offset:72
	v_mov_b32_e32 v2, v1
	scratch_store_b64 off, v[1:2], off offset:72
	s_wait_loadcnt 0x0
	ds_store_b64 v23, v[3:4]
.LBB103_235:
	s_wait_alu 0xfffe
	s_or_b32 exec_lo, exec_lo, s0
	s_wait_storecnt_dscnt 0x0
	s_barrier_signal -1
	s_barrier_wait -1
	global_inv scope:SCOPE_SE
	s_clause 0xf
	scratch_load_b128 v[2:5], off, off offset:80
	scratch_load_b128 v[6:9], off, off offset:96
	;; [unrolled: 1-line block ×15, first 2 shown]
	scratch_load_b64 v[204:205], off, off offset:72
	ds_load_b128 v[144:147], v1 offset:400
	ds_load_b128 v[148:151], v1 offset:416
	;; [unrolled: 1-line block ×15, first 2 shown]
	s_mov_b32 s0, exec_lo
	s_wait_loadcnt_dscnt 0xf0e
	v_dual_mul_f32 v1, v144, v3 :: v_dual_mul_f32 v22, v146, v5
	s_wait_loadcnt_dscnt 0xe0d
	v_dual_mul_f32 v5, v147, v5 :: v_dual_mul_f32 v206, v148, v7
	v_mul_f32_e32 v207, v150, v9
	s_wait_loadcnt_dscnt 0xd0c
	v_dual_fmac_f32 v1, v145, v2 :: v_dual_mul_f32 v208, v152, v11
	s_wait_loadcnt_dscnt 0xc0b
	v_dual_mul_f32 v209, v154, v13 :: v_dual_mul_f32 v210, v156, v15
	v_mul_f32_e32 v211, v158, v17
	v_dual_mul_f32 v3, v145, v3 :: v_dual_fmac_f32 v22, v147, v4
	s_wait_loadcnt_dscnt 0xb0a
	v_dual_mul_f32 v212, v160, v19 :: v_dual_mul_f32 v213, v162, v21
	s_wait_loadcnt_dscnt 0x201
	v_mul_f32_e32 v230, v196, v137
	v_fma_f32 v3, v144, v2, -v3
	s_wait_loadcnt_dscnt 0x100
	v_mul_f32_e32 v233, v202, v143
	v_mul_f32_e32 v2, v149, v7
	v_fma_f32 v4, v146, v4, -v5
	v_dual_mul_f32 v5, v151, v9 :: v_dual_fmac_f32 v208, v153, v10
	v_dual_add_f32 v3, 0, v3 :: v_dual_fmac_f32 v206, v149, v6
	s_delay_alu instid0(VALU_DEP_4) | instskip(NEXT) | instid1(VALU_DEP_3)
	v_fma_f32 v2, v148, v6, -v2
	v_fma_f32 v5, v150, v8, -v5
	s_delay_alu instid0(VALU_DEP_3) | instskip(SKIP_2) | instid1(VALU_DEP_3)
	v_dual_fmac_f32 v210, v157, v14 :: v_dual_add_f32 v3, v3, v4
	v_dual_mul_f32 v214, v164, v25 :: v_dual_mul_f32 v215, v166, v27
	v_dual_fmac_f32 v212, v161, v18 :: v_dual_fmac_f32 v211, v159, v16
	v_add_f32_e32 v2, v3, v2
	v_mul_f32_e32 v3, v155, v13
	v_dual_mul_f32 v216, v168, v109 :: v_dual_mul_f32 v217, v170, v111
	v_mul_f32_e32 v4, v153, v11
	s_delay_alu instid0(VALU_DEP_4) | instskip(SKIP_4) | instid1(VALU_DEP_4)
	v_add_f32_e32 v2, v2, v5
	v_add_f32_e32 v1, 0, v1
	v_fma_f32 v3, v154, v12, -v3
	v_dual_mul_f32 v220, v176, v117 :: v_dual_mul_f32 v221, v178, v119
	v_fma_f32 v4, v152, v10, -v4
	v_dual_add_f32 v1, v1, v22 :: v_dual_mul_f32 v218, v172, v113
	v_mul_f32_e32 v219, v174, v115
	s_delay_alu instid0(VALU_DEP_3) | instskip(NEXT) | instid1(VALU_DEP_3)
	v_dual_fmac_f32 v217, v171, v110 :: v_dual_add_f32 v2, v2, v4
	v_dual_add_f32 v1, v1, v206 :: v_dual_mul_f32 v4, v159, v17
	v_dual_fmac_f32 v207, v151, v8 :: v_dual_mul_f32 v222, v180, v121
	v_mul_f32_e32 v223, v182, v123
	s_delay_alu instid0(VALU_DEP_4) | instskip(NEXT) | instid1(VALU_DEP_4)
	v_add_f32_e32 v2, v2, v3
	v_fma_f32 v4, v158, v16, -v4
	v_mul_f32_e32 v5, v157, v15
	v_add_f32_e32 v1, v1, v207
	v_dual_fmac_f32 v215, v167, v26 :: v_dual_fmac_f32 v218, v173, v112
	v_dual_mul_f32 v226, v188, v129 :: v_dual_mul_f32 v227, v190, v131
	s_delay_alu instid0(VALU_DEP_4) | instskip(SKIP_3) | instid1(VALU_DEP_4)
	v_fma_f32 v5, v156, v14, -v5
	v_fmac_f32_e32 v209, v155, v12
	v_fmac_f32_e32 v214, v165, v24
	v_dual_mul_f32 v224, v184, v125 :: v_dual_mul_f32 v225, v186, v127
	v_add_f32_e32 v2, v2, v5
	v_mul_f32_e32 v5, v163, v21
	v_dual_fmac_f32 v223, v183, v122 :: v_dual_mul_f32 v228, v192, v133
	v_mul_f32_e32 v229, v194, v135
	s_delay_alu instid0(VALU_DEP_4) | instskip(NEXT) | instid1(VALU_DEP_4)
	v_add_f32_e32 v2, v2, v4
	v_fma_f32 v5, v162, v20, -v5
	v_mul_f32_e32 v3, v161, v19
	v_mul_f32_e32 v4, v165, v25
	v_dual_fmac_f32 v216, v169, v108 :: v_dual_mul_f32 v231, v198, v139
	v_mul_f32_e32 v232, v200, v141
	s_delay_alu instid0(VALU_DEP_4) | instskip(SKIP_3) | instid1(VALU_DEP_4)
	v_fma_f32 v3, v160, v18, -v3
	v_add_f32_e32 v1, v1, v208
	v_fma_f32 v4, v164, v24, -v4
	v_dual_fmac_f32 v221, v179, v118 :: v_dual_fmac_f32 v224, v185, v124
	v_add_f32_e32 v2, v2, v3
	v_mul_f32_e32 v3, v167, v27
	v_fmac_f32_e32 v229, v195, v134
	v_dual_fmac_f32 v227, v191, v130 :: v_dual_fmac_f32 v230, v197, v136
	s_delay_alu instid0(VALU_DEP_4) | instskip(SKIP_3) | instid1(VALU_DEP_3)
	v_add_f32_e32 v2, v2, v5
	v_add_f32_e32 v1, v1, v209
	v_fma_f32 v3, v166, v26, -v3
	v_dual_fmac_f32 v233, v203, v142 :: v_dual_fmac_f32 v220, v177, v116
	v_dual_add_f32 v2, v2, v4 :: v_dual_add_f32 v1, v1, v210
	v_mul_f32_e32 v4, v171, v111
	v_fmac_f32_e32 v213, v163, v20
	v_fmac_f32_e32 v222, v181, v120
	s_delay_alu instid0(VALU_DEP_4) | instskip(NEXT) | instid1(VALU_DEP_4)
	v_dual_add_f32 v2, v2, v3 :: v_dual_mul_f32 v3, v173, v113
	v_fma_f32 v4, v170, v110, -v4
	v_mul_f32_e32 v5, v169, v109
	v_fmac_f32_e32 v226, v189, v128
	v_fmac_f32_e32 v228, v193, v132
	v_fma_f32 v3, v172, v112, -v3
	v_fmac_f32_e32 v232, v201, v140
	v_fma_f32 v5, v168, v108, -v5
	s_delay_alu instid0(VALU_DEP_1) | instskip(NEXT) | instid1(VALU_DEP_1)
	v_dual_add_f32 v1, v1, v211 :: v_dual_add_f32 v2, v2, v5
	v_dual_mul_f32 v5, v175, v115 :: v_dual_add_f32 v2, v2, v4
	s_delay_alu instid0(VALU_DEP_2) | instskip(SKIP_1) | instid1(VALU_DEP_3)
	v_add_f32_e32 v1, v1, v212
	v_mul_f32_e32 v4, v177, v117
	v_fma_f32 v5, v174, v114, -v5
	s_delay_alu instid0(VALU_DEP_4) | instskip(SKIP_1) | instid1(VALU_DEP_4)
	v_dual_add_f32 v2, v2, v3 :: v_dual_fmac_f32 v219, v175, v114
	v_mul_f32_e32 v3, v179, v119
	v_fma_f32 v4, v176, v116, -v4
	s_delay_alu instid0(VALU_DEP_3) | instskip(SKIP_1) | instid1(VALU_DEP_4)
	v_add_f32_e32 v2, v2, v5
	v_add_f32_e32 v1, v1, v213
	v_fma_f32 v3, v178, v118, -v3
	s_delay_alu instid0(VALU_DEP_3) | instskip(NEXT) | instid1(VALU_DEP_3)
	v_dual_add_f32 v2, v2, v4 :: v_dual_mul_f32 v5, v181, v121
	v_dual_add_f32 v1, v1, v214 :: v_dual_mul_f32 v4, v183, v123
	s_delay_alu instid0(VALU_DEP_2) | instskip(NEXT) | instid1(VALU_DEP_3)
	v_add_f32_e32 v2, v2, v3
	v_fma_f32 v5, v180, v120, -v5
	s_delay_alu instid0(VALU_DEP_3) | instskip(SKIP_2) | instid1(VALU_DEP_4)
	v_add_f32_e32 v1, v1, v215
	v_mul_f32_e32 v3, v185, v125
	v_fma_f32 v4, v182, v122, -v4
	v_dual_add_f32 v2, v2, v5 :: v_dual_mul_f32 v5, v187, v127
	s_delay_alu instid0(VALU_DEP_3) | instskip(NEXT) | instid1(VALU_DEP_2)
	v_fma_f32 v3, v184, v124, -v3
	v_add_f32_e32 v2, v2, v4
	v_add_f32_e32 v1, v1, v216
	v_mul_f32_e32 v4, v189, v129
	v_fma_f32 v5, v186, v126, -v5
	s_delay_alu instid0(VALU_DEP_4) | instskip(SKIP_1) | instid1(VALU_DEP_4)
	v_dual_add_f32 v2, v2, v3 :: v_dual_fmac_f32 v225, v187, v126
	v_mul_f32_e32 v3, v191, v131
	v_fma_f32 v4, v188, v128, -v4
	s_delay_alu instid0(VALU_DEP_3) | instskip(SKIP_1) | instid1(VALU_DEP_4)
	v_add_f32_e32 v2, v2, v5
	v_add_f32_e32 v1, v1, v217
	v_fma_f32 v3, v190, v130, -v3
	s_delay_alu instid0(VALU_DEP_3) | instskip(NEXT) | instid1(VALU_DEP_3)
	v_dual_add_f32 v2, v2, v4 :: v_dual_mul_f32 v5, v193, v133
	v_dual_add_f32 v1, v1, v218 :: v_dual_mul_f32 v4, v195, v135
	s_delay_alu instid0(VALU_DEP_2) | instskip(NEXT) | instid1(VALU_DEP_3)
	v_add_f32_e32 v2, v2, v3
	v_fma_f32 v5, v192, v132, -v5
	s_delay_alu instid0(VALU_DEP_3) | instskip(SKIP_2) | instid1(VALU_DEP_4)
	v_add_f32_e32 v1, v1, v219
	v_mul_f32_e32 v3, v197, v137
	v_fma_f32 v4, v194, v134, -v4
	v_dual_add_f32 v2, v2, v5 :: v_dual_mul_f32 v5, v199, v139
	s_delay_alu instid0(VALU_DEP_3) | instskip(NEXT) | instid1(VALU_DEP_2)
	v_fma_f32 v3, v196, v136, -v3
	v_add_f32_e32 v2, v2, v4
	v_add_f32_e32 v1, v1, v220
	v_mul_f32_e32 v4, v201, v141
	v_fma_f32 v5, v198, v138, -v5
	s_delay_alu instid0(VALU_DEP_4) | instskip(SKIP_1) | instid1(VALU_DEP_4)
	v_dual_add_f32 v2, v2, v3 :: v_dual_fmac_f32 v231, v199, v138
	v_mul_f32_e32 v3, v203, v143
	v_fma_f32 v4, v200, v140, -v4
	s_delay_alu instid0(VALU_DEP_3) | instskip(SKIP_1) | instid1(VALU_DEP_4)
	v_add_f32_e32 v2, v2, v5
	v_add_f32_e32 v1, v1, v221
	v_fma_f32 v3, v202, v142, -v3
	s_delay_alu instid0(VALU_DEP_2) | instskip(NEXT) | instid1(VALU_DEP_1)
	v_dual_add_f32 v2, v2, v4 :: v_dual_add_f32 v1, v1, v222
	v_add_f32_e32 v2, v2, v3
	s_delay_alu instid0(VALU_DEP_2) | instskip(NEXT) | instid1(VALU_DEP_1)
	v_add_f32_e32 v1, v1, v223
	v_add_f32_e32 v1, v1, v224
	s_delay_alu instid0(VALU_DEP_1) | instskip(NEXT) | instid1(VALU_DEP_1)
	v_add_f32_e32 v1, v1, v225
	v_add_f32_e32 v1, v1, v226
	s_delay_alu instid0(VALU_DEP_1) | instskip(NEXT) | instid1(VALU_DEP_1)
	;; [unrolled: 3-line block ×4, first 2 shown]
	v_add_f32_e32 v1, v1, v231
	v_add_f32_e32 v1, v1, v232
	s_delay_alu instid0(VALU_DEP_1) | instskip(SKIP_1) | instid1(VALU_DEP_1)
	v_add_f32_e32 v3, v1, v233
	s_wait_loadcnt 0x0
	v_dual_sub_f32 v1, v204, v2 :: v_dual_sub_f32 v2, v205, v3
	scratch_store_b64 off, v[1:2], off offset:72
	v_cmpx_lt_u32_e32 8, v0
	s_cbranch_execz .LBB103_237
; %bb.236:
	scratch_load_b64 v[1:2], off, off offset:64
	v_mov_b32_e32 v3, 0
	s_delay_alu instid0(VALU_DEP_1)
	v_mov_b32_e32 v4, v3
	scratch_store_b64 off, v[3:4], off offset:64
	s_wait_loadcnt 0x0
	ds_store_b64 v23, v[1:2]
.LBB103_237:
	s_wait_alu 0xfffe
	s_or_b32 exec_lo, exec_lo, s0
	s_wait_storecnt_dscnt 0x0
	s_barrier_signal -1
	s_barrier_wait -1
	global_inv scope:SCOPE_SE
	s_clause 0x10
	scratch_load_b128 v[2:5], off, off offset:72
	scratch_load_b128 v[6:9], off, off offset:88
	scratch_load_b128 v[10:13], off, off offset:104
	scratch_load_b128 v[14:17], off, off offset:120
	scratch_load_b128 v[18:21], off, off offset:136
	scratch_load_b128 v[24:27], off, off offset:152
	scratch_load_b128 v[108:111], off, off offset:168
	scratch_load_b128 v[112:115], off, off offset:184
	scratch_load_b128 v[116:119], off, off offset:200
	scratch_load_b128 v[120:123], off, off offset:216
	scratch_load_b128 v[124:127], off, off offset:232
	scratch_load_b128 v[128:131], off, off offset:248
	scratch_load_b128 v[132:135], off, off offset:264
	scratch_load_b128 v[136:139], off, off offset:280
	scratch_load_b128 v[140:143], off, off offset:296
	scratch_load_b64 v[204:205], off, off offset:312
	scratch_load_b64 v[206:207], off, off offset:64
	v_mov_b32_e32 v1, 0
	ds_load_2addr_b64 v[144:147], v1 offset0:49 offset1:50
	ds_load_2addr_b64 v[148:151], v1 offset0:51 offset1:52
	;; [unrolled: 1-line block ×15, first 2 shown]
	ds_load_b64 v[208:209], v1 offset:632
	s_mov_b32 s0, exec_lo
	s_wait_loadcnt_dscnt 0x100f
	v_mul_f32_e32 v22, v144, v3
	v_dual_mul_f32 v3, v145, v3 :: v_dual_mul_f32 v210, v146, v5
	s_wait_loadcnt_dscnt 0xc0b
	v_dual_mul_f32 v211, v148, v7 :: v_dual_mul_f32 v218, v162, v21
	v_mul_f32_e32 v5, v147, v5
	s_delay_alu instid0(VALU_DEP_3) | instskip(SKIP_1) | instid1(VALU_DEP_4)
	v_fma_f32 v3, v144, v2, -v3
	v_dual_mul_f32 v212, v150, v9 :: v_dual_mul_f32 v213, v152, v11
	v_dual_fmac_f32 v210, v147, v4 :: v_dual_fmac_f32 v211, v149, v6
	v_fmac_f32_e32 v22, v145, v2
	v_mul_f32_e32 v2, v149, v7
	v_fma_f32 v4, v146, v4, -v5
	v_add_f32_e32 v3, 0, v3
	s_wait_loadcnt_dscnt 0x100
	v_mul_f32_e32 v239, v208, v205
	v_dual_add_f32 v5, 0, v22 :: v_dual_fmac_f32 v212, v151, v8
	v_mul_f32_e32 v7, v151, v9
	v_fma_f32 v2, v148, v6, -v2
	s_delay_alu instid0(VALU_DEP_3) | instskip(SKIP_1) | instid1(VALU_DEP_4)
	v_dual_add_f32 v3, v3, v4 :: v_dual_add_f32 v4, v5, v210
	v_mul_f32_e32 v5, v153, v11
	v_fma_f32 v6, v150, v8, -v7
	v_dual_mul_f32 v214, v154, v13 :: v_dual_mul_f32 v215, v156, v15
	s_delay_alu instid0(VALU_DEP_4) | instskip(SKIP_2) | instid1(VALU_DEP_4)
	v_dual_add_f32 v2, v3, v2 :: v_dual_add_f32 v3, v4, v211
	v_mul_f32_e32 v4, v155, v13
	v_fma_f32 v5, v152, v10, -v5
	v_fmac_f32_e32 v214, v155, v12
	s_delay_alu instid0(VALU_DEP_4) | instskip(SKIP_3) | instid1(VALU_DEP_4)
	v_add_f32_e32 v2, v2, v6
	v_fmac_f32_e32 v213, v153, v10
	v_dual_add_f32 v3, v3, v212 :: v_dual_mul_f32 v6, v157, v15
	v_fma_f32 v4, v154, v12, -v4
	v_add_f32_e32 v2, v2, v5
	v_dual_mul_f32 v216, v158, v17 :: v_dual_mul_f32 v217, v160, v19
	s_delay_alu instid0(VALU_DEP_4)
	v_add_f32_e32 v3, v3, v213
	v_mul_f32_e32 v5, v159, v17
	v_fma_f32 v6, v156, v14, -v6
	v_dual_add_f32 v2, v2, v4 :: v_dual_fmac_f32 v215, v157, v14
	v_fmac_f32_e32 v216, v159, v16
	v_mul_f32_e32 v4, v161, v19
	v_fma_f32 v5, v158, v16, -v5
	s_delay_alu instid0(VALU_DEP_4) | instskip(SKIP_3) | instid1(VALU_DEP_3)
	v_add_f32_e32 v2, v2, v6
	v_add_f32_e32 v3, v3, v214
	v_dual_mul_f32 v6, v163, v21 :: v_dual_fmac_f32 v217, v161, v18
	v_fma_f32 v4, v160, v18, -v4
	v_dual_add_f32 v2, v2, v5 :: v_dual_add_f32 v3, v3, v215
	s_delay_alu instid0(VALU_DEP_3) | instskip(SKIP_1) | instid1(VALU_DEP_3)
	v_fma_f32 v6, v162, v20, -v6
	v_dual_mul_f32 v219, v164, v25 :: v_dual_mul_f32 v220, v166, v27
	v_add_f32_e32 v2, v2, v4
	s_delay_alu instid0(VALU_DEP_4) | instskip(SKIP_1) | instid1(VALU_DEP_4)
	v_add_f32_e32 v3, v3, v216
	v_dual_mul_f32 v5, v165, v25 :: v_dual_fmac_f32 v218, v163, v20
	v_dual_mul_f32 v4, v167, v27 :: v_dual_fmac_f32 v219, v165, v24
	s_delay_alu instid0(VALU_DEP_3) | instskip(NEXT) | instid1(VALU_DEP_3)
	v_dual_add_f32 v2, v2, v6 :: v_dual_add_f32 v3, v3, v217
	v_fma_f32 v5, v164, v24, -v5
	v_dual_mul_f32 v221, v168, v109 :: v_dual_mul_f32 v222, v170, v111
	s_delay_alu instid0(VALU_DEP_3) | instskip(NEXT) | instid1(VALU_DEP_2)
	v_dual_mul_f32 v6, v169, v109 :: v_dual_add_f32 v3, v3, v218
	v_dual_fmac_f32 v220, v167, v26 :: v_dual_fmac_f32 v221, v169, v108
	v_fma_f32 v4, v166, v26, -v4
	s_delay_alu instid0(VALU_DEP_3) | instskip(SKIP_3) | instid1(VALU_DEP_4)
	v_dual_add_f32 v2, v2, v5 :: v_dual_add_f32 v3, v3, v219
	v_mul_f32_e32 v5, v171, v111
	v_fma_f32 v6, v168, v108, -v6
	v_dual_mul_f32 v223, v172, v113 :: v_dual_mul_f32 v224, v174, v115
	v_add_f32_e32 v2, v2, v4
	v_dual_add_f32 v3, v3, v220 :: v_dual_mul_f32 v4, v173, v113
	s_delay_alu instid0(VALU_DEP_3) | instskip(SKIP_1) | instid1(VALU_DEP_3)
	v_dual_fmac_f32 v222, v171, v110 :: v_dual_fmac_f32 v223, v173, v112
	v_fma_f32 v5, v170, v110, -v5
	v_dual_add_f32 v2, v2, v6 :: v_dual_add_f32 v3, v3, v221
	v_mul_f32_e32 v6, v175, v115
	v_fma_f32 v4, v172, v112, -v4
	v_dual_mul_f32 v225, v176, v117 :: v_dual_mul_f32 v226, v178, v119
	s_delay_alu instid0(VALU_DEP_4) | instskip(SKIP_1) | instid1(VALU_DEP_3)
	v_dual_add_f32 v2, v2, v5 :: v_dual_add_f32 v3, v3, v222
	v_dual_mul_f32 v5, v177, v117 :: v_dual_fmac_f32 v224, v175, v114
	v_fmac_f32_e32 v225, v177, v116
	v_fma_f32 v6, v174, v114, -v6
	s_delay_alu instid0(VALU_DEP_4) | instskip(SKIP_2) | instid1(VALU_DEP_2)
	v_dual_add_f32 v2, v2, v4 :: v_dual_add_f32 v3, v3, v223
	v_dual_mul_f32 v227, v180, v121 :: v_dual_mul_f32 v228, v182, v123
	v_dual_mul_f32 v229, v184, v125 :: v_dual_mul_f32 v230, v186, v127
	v_dual_mul_f32 v4, v179, v119 :: v_dual_fmac_f32 v227, v181, v120
	v_fma_f32 v5, v176, v116, -v5
	v_dual_add_f32 v2, v2, v6 :: v_dual_add_f32 v3, v3, v224
	v_mul_f32_e32 v6, v181, v121
	v_dual_fmac_f32 v226, v179, v118 :: v_dual_fmac_f32 v229, v185, v124
	v_fma_f32 v4, v178, v118, -v4
	s_delay_alu instid0(VALU_DEP_4) | instskip(SKIP_3) | instid1(VALU_DEP_3)
	v_add_f32_e32 v3, v3, v225
	v_dual_add_f32 v2, v2, v5 :: v_dual_mul_f32 v5, v183, v123
	v_fma_f32 v6, v180, v120, -v6
	v_dual_mul_f32 v233, v192, v133 :: v_dual_mul_f32 v234, v194, v135
	v_dual_add_f32 v3, v3, v226 :: v_dual_add_f32 v2, v2, v4
	v_mul_f32_e32 v4, v185, v125
	v_fmac_f32_e32 v228, v183, v122
	v_fma_f32 v5, v182, v122, -v5
	s_delay_alu instid0(VALU_DEP_4) | instskip(SKIP_3) | instid1(VALU_DEP_4)
	v_dual_add_f32 v3, v3, v227 :: v_dual_add_f32 v2, v2, v6
	v_dual_mul_f32 v231, v188, v129 :: v_dual_mul_f32 v232, v190, v131
	v_mul_f32_e32 v6, v187, v127
	v_dual_fmac_f32 v230, v187, v126 :: v_dual_fmac_f32 v233, v193, v132
	v_add_f32_e32 v2, v2, v5
	v_mul_f32_e32 v5, v189, v129
	v_add_f32_e32 v3, v3, v228
	v_fma_f32 v4, v184, v124, -v4
	v_fmac_f32_e32 v231, v189, v128
	v_fma_f32 v6, v186, v126, -v6
	v_dual_mul_f32 v235, v196, v137 :: v_dual_mul_f32 v236, v198, v139
	v_add_f32_e32 v3, v3, v229
	v_fma_f32 v5, v188, v128, -v5
	s_delay_alu instid0(VALU_DEP_3) | instskip(NEXT) | instid1(VALU_DEP_4)
	v_dual_fmac_f32 v232, v191, v130 :: v_dual_fmac_f32 v235, v197, v136
	v_fmac_f32_e32 v236, v199, v138
	s_delay_alu instid0(VALU_DEP_4) | instskip(SKIP_2) | instid1(VALU_DEP_3)
	v_dual_add_f32 v3, v3, v230 :: v_dual_add_f32 v2, v2, v4
	v_dual_mul_f32 v4, v191, v131 :: v_dual_mul_f32 v237, v200, v141
	v_mul_f32_e32 v238, v202, v143
	v_dual_add_f32 v3, v3, v231 :: v_dual_add_f32 v2, v2, v6
	v_mul_f32_e32 v6, v193, v133
	s_delay_alu instid0(VALU_DEP_4) | instskip(SKIP_1) | instid1(VALU_DEP_4)
	v_fma_f32 v4, v190, v130, -v4
	v_dual_fmac_f32 v234, v195, v134 :: v_dual_fmac_f32 v237, v201, v140
	v_dual_add_f32 v2, v2, v5 :: v_dual_mul_f32 v5, v195, v135
	s_delay_alu instid0(VALU_DEP_4) | instskip(SKIP_1) | instid1(VALU_DEP_3)
	v_fma_f32 v6, v192, v132, -v6
	v_dual_fmac_f32 v238, v203, v142 :: v_dual_fmac_f32 v239, v209, v204
	v_add_f32_e32 v2, v2, v4
	s_delay_alu instid0(VALU_DEP_4) | instskip(NEXT) | instid1(VALU_DEP_2)
	v_fma_f32 v5, v194, v134, -v5
	v_add_f32_e32 v2, v2, v6
	v_mul_f32_e32 v6, v199, v139
	s_delay_alu instid0(VALU_DEP_2) | instskip(SKIP_2) | instid1(VALU_DEP_4)
	v_add_f32_e32 v2, v2, v5
	v_mul_f32_e32 v5, v201, v141
	v_add_f32_e32 v3, v3, v232
	v_fma_f32 v6, v198, v138, -v6
	s_delay_alu instid0(VALU_DEP_3) | instskip(NEXT) | instid1(VALU_DEP_3)
	v_fma_f32 v5, v200, v140, -v5
	v_add_f32_e32 v3, v3, v233
	s_delay_alu instid0(VALU_DEP_1) | instskip(NEXT) | instid1(VALU_DEP_1)
	v_dual_mul_f32 v4, v197, v137 :: v_dual_add_f32 v3, v3, v234
	v_fma_f32 v4, v196, v136, -v4
	s_delay_alu instid0(VALU_DEP_2) | instskip(NEXT) | instid1(VALU_DEP_1)
	v_add_f32_e32 v3, v3, v235
	v_add_f32_e32 v3, v3, v236
	s_delay_alu instid0(VALU_DEP_3) | instskip(SKIP_1) | instid1(VALU_DEP_3)
	v_add_f32_e32 v2, v2, v4
	v_mul_f32_e32 v4, v203, v143
	v_add_f32_e32 v3, v3, v237
	s_delay_alu instid0(VALU_DEP_2) | instskip(NEXT) | instid1(VALU_DEP_2)
	v_fma_f32 v4, v202, v142, -v4
	v_add_f32_e32 v3, v3, v238
	s_delay_alu instid0(VALU_DEP_1) | instskip(SKIP_2) | instid1(VALU_DEP_2)
	v_dual_add_f32 v2, v2, v6 :: v_dual_add_f32 v3, v3, v239
	v_mul_f32_e32 v6, v209, v205
	s_wait_loadcnt 0x0
	v_dual_add_f32 v2, v2, v5 :: v_dual_sub_f32 v3, v207, v3
	s_delay_alu instid0(VALU_DEP_2) | instskip(NEXT) | instid1(VALU_DEP_2)
	v_fma_f32 v5, v208, v204, -v6
	v_add_f32_e32 v2, v2, v4
	s_delay_alu instid0(VALU_DEP_1) | instskip(NEXT) | instid1(VALU_DEP_1)
	v_add_f32_e32 v2, v2, v5
	v_sub_f32_e32 v2, v206, v2
	scratch_store_b64 off, v[2:3], off offset:64
	v_cmpx_lt_u32_e32 7, v0
	s_cbranch_execz .LBB103_239
; %bb.238:
	scratch_load_b64 v[3:4], off, off offset:56
	v_mov_b32_e32 v2, v1
	scratch_store_b64 off, v[1:2], off offset:56
	s_wait_loadcnt 0x0
	ds_store_b64 v23, v[3:4]
.LBB103_239:
	s_wait_alu 0xfffe
	s_or_b32 exec_lo, exec_lo, s0
	s_wait_storecnt_dscnt 0x0
	s_barrier_signal -1
	s_barrier_wait -1
	global_inv scope:SCOPE_SE
	s_clause 0x10
	scratch_load_b128 v[2:5], off, off offset:64
	scratch_load_b128 v[6:9], off, off offset:80
	;; [unrolled: 1-line block ×16, first 2 shown]
	scratch_load_b64 v[212:213], off, off offset:56
	ds_load_b128 v[148:151], v1 offset:384
	ds_load_b128 v[152:155], v1 offset:400
	;; [unrolled: 1-line block ×16, first 2 shown]
	s_mov_b32 s0, exec_lo
	s_wait_loadcnt_dscnt 0x100f
	v_dual_mul_f32 v1, v148, v3 :: v_dual_mul_f32 v22, v150, v5
	s_wait_loadcnt_dscnt 0xf0e
	v_dual_mul_f32 v5, v151, v5 :: v_dual_mul_f32 v214, v152, v7
	v_mul_f32_e32 v215, v154, v9
	s_wait_loadcnt_dscnt 0xe0d
	v_dual_fmac_f32 v1, v149, v2 :: v_dual_mul_f32 v216, v156, v11
	s_wait_loadcnt_dscnt 0xd0c
	v_dual_mul_f32 v217, v158, v13 :: v_dual_mul_f32 v218, v160, v15
	v_mul_f32_e32 v219, v162, v17
	v_dual_mul_f32 v3, v149, v3 :: v_dual_fmac_f32 v22, v151, v4
	s_wait_loadcnt_dscnt 0xc0b
	v_dual_mul_f32 v220, v164, v19 :: v_dual_mul_f32 v221, v166, v21
	s_wait_loadcnt_dscnt 0x201
	v_mul_f32_e32 v240, v204, v141
	v_fma_f32 v3, v148, v2, -v3
	s_wait_loadcnt_dscnt 0x100
	v_mul_f32_e32 v243, v210, v147
	v_mul_f32_e32 v2, v153, v7
	v_fma_f32 v4, v150, v4, -v5
	v_dual_mul_f32 v5, v155, v9 :: v_dual_fmac_f32 v216, v157, v10
	v_dual_add_f32 v3, 0, v3 :: v_dual_fmac_f32 v214, v153, v6
	s_delay_alu instid0(VALU_DEP_4) | instskip(NEXT) | instid1(VALU_DEP_3)
	v_fma_f32 v2, v152, v6, -v2
	v_fma_f32 v5, v154, v8, -v5
	s_delay_alu instid0(VALU_DEP_3) | instskip(SKIP_2) | instid1(VALU_DEP_3)
	v_dual_fmac_f32 v218, v161, v14 :: v_dual_add_f32 v3, v3, v4
	v_dual_mul_f32 v222, v168, v25 :: v_dual_mul_f32 v223, v170, v27
	v_dual_fmac_f32 v219, v163, v16 :: v_dual_fmac_f32 v220, v165, v18
	v_add_f32_e32 v2, v3, v2
	v_mul_f32_e32 v3, v159, v13
	v_dual_mul_f32 v224, v172, v109 :: v_dual_mul_f32 v225, v174, v111
	v_mul_f32_e32 v4, v157, v11
	s_delay_alu instid0(VALU_DEP_4) | instskip(SKIP_4) | instid1(VALU_DEP_4)
	v_add_f32_e32 v2, v2, v5
	v_add_f32_e32 v1, 0, v1
	v_fma_f32 v3, v158, v12, -v3
	v_dual_mul_f32 v228, v180, v117 :: v_dual_mul_f32 v229, v182, v119
	v_fma_f32 v4, v156, v10, -v4
	v_dual_add_f32 v1, v1, v22 :: v_dual_mul_f32 v226, v176, v113
	v_mul_f32_e32 v227, v178, v115
	s_delay_alu instid0(VALU_DEP_3) | instskip(NEXT) | instid1(VALU_DEP_3)
	v_dual_fmac_f32 v225, v175, v110 :: v_dual_add_f32 v2, v2, v4
	v_dual_add_f32 v1, v1, v214 :: v_dual_mul_f32 v4, v163, v17
	v_dual_fmac_f32 v215, v155, v8 :: v_dual_mul_f32 v230, v184, v121
	v_mul_f32_e32 v231, v186, v123
	s_delay_alu instid0(VALU_DEP_4) | instskip(NEXT) | instid1(VALU_DEP_4)
	v_add_f32_e32 v2, v2, v3
	v_fma_f32 v4, v162, v16, -v4
	v_mul_f32_e32 v5, v161, v15
	v_add_f32_e32 v1, v1, v215
	v_dual_fmac_f32 v223, v171, v26 :: v_dual_fmac_f32 v226, v177, v112
	v_dual_mul_f32 v234, v192, v129 :: v_dual_mul_f32 v235, v194, v131
	s_delay_alu instid0(VALU_DEP_4) | instskip(SKIP_3) | instid1(VALU_DEP_4)
	v_fma_f32 v5, v160, v14, -v5
	v_fmac_f32_e32 v217, v159, v12
	v_fmac_f32_e32 v222, v169, v24
	v_dual_mul_f32 v232, v188, v125 :: v_dual_mul_f32 v233, v190, v127
	v_add_f32_e32 v2, v2, v5
	v_mul_f32_e32 v5, v167, v21
	v_dual_fmac_f32 v231, v187, v122 :: v_dual_mul_f32 v236, v196, v133
	v_mul_f32_e32 v237, v198, v135
	s_delay_alu instid0(VALU_DEP_4) | instskip(NEXT) | instid1(VALU_DEP_4)
	v_add_f32_e32 v2, v2, v4
	v_fma_f32 v5, v166, v20, -v5
	v_mul_f32_e32 v3, v165, v19
	v_mul_f32_e32 v4, v169, v25
	v_dual_mul_f32 v238, v200, v137 :: v_dual_mul_f32 v239, v202, v139
	v_fmac_f32_e32 v224, v173, v108
	s_delay_alu instid0(VALU_DEP_4) | instskip(SKIP_3) | instid1(VALU_DEP_4)
	v_fma_f32 v3, v164, v18, -v3
	v_add_f32_e32 v1, v1, v216
	v_fma_f32 v4, v168, v24, -v4
	v_dual_fmac_f32 v229, v183, v118 :: v_dual_fmac_f32 v232, v189, v124
	v_add_f32_e32 v2, v2, v3
	v_mul_f32_e32 v3, v171, v27
	v_fmac_f32_e32 v237, v199, v134
	v_dual_mul_f32 v241, v206, v143 :: v_dual_mul_f32 v242, v208, v145
	s_delay_alu instid0(VALU_DEP_4) | instskip(SKIP_3) | instid1(VALU_DEP_3)
	v_add_f32_e32 v2, v2, v5
	v_add_f32_e32 v1, v1, v217
	v_fma_f32 v3, v170, v26, -v3
	v_dual_fmac_f32 v235, v195, v130 :: v_dual_fmac_f32 v238, v201, v136
	v_dual_add_f32 v2, v2, v4 :: v_dual_add_f32 v1, v1, v218
	v_mul_f32_e32 v4, v175, v111
	v_fmac_f32_e32 v221, v167, v20
	s_delay_alu instid0(VALU_DEP_3) | instskip(SKIP_1) | instid1(VALU_DEP_4)
	v_dual_fmac_f32 v241, v207, v142 :: v_dual_add_f32 v2, v2, v3
	v_mul_f32_e32 v3, v177, v113
	v_fma_f32 v4, v174, v110, -v4
	v_mul_f32_e32 v5, v173, v109
	v_dual_fmac_f32 v228, v181, v116 :: v_dual_fmac_f32 v243, v211, v146
	s_delay_alu instid0(VALU_DEP_4) | instskip(SKIP_1) | instid1(VALU_DEP_4)
	v_fma_f32 v3, v176, v112, -v3
	v_fmac_f32_e32 v230, v185, v120
	v_fma_f32 v5, v172, v108, -v5
	v_add_f32_e32 v1, v1, v219
	v_fmac_f32_e32 v234, v193, v128
	v_fmac_f32_e32 v236, v197, v132
	;; [unrolled: 1-line block ×3, first 2 shown]
	v_dual_add_f32 v2, v2, v5 :: v_dual_mul_f32 v5, v179, v115
	v_fmac_f32_e32 v242, v209, v144
	s_delay_alu instid0(VALU_DEP_2) | instskip(SKIP_3) | instid1(VALU_DEP_4)
	v_add_f32_e32 v2, v2, v4
	v_add_f32_e32 v1, v1, v220
	v_mul_f32_e32 v4, v181, v117
	v_fma_f32 v5, v178, v114, -v5
	v_dual_add_f32 v2, v2, v3 :: v_dual_fmac_f32 v227, v179, v114
	v_mul_f32_e32 v3, v183, v119
	s_delay_alu instid0(VALU_DEP_4) | instskip(NEXT) | instid1(VALU_DEP_3)
	v_fma_f32 v4, v180, v116, -v4
	v_add_f32_e32 v2, v2, v5
	v_add_f32_e32 v1, v1, v221
	s_delay_alu instid0(VALU_DEP_4) | instskip(NEXT) | instid1(VALU_DEP_3)
	v_fma_f32 v3, v182, v118, -v3
	v_dual_add_f32 v2, v2, v4 :: v_dual_mul_f32 v5, v185, v121
	s_delay_alu instid0(VALU_DEP_3) | instskip(NEXT) | instid1(VALU_DEP_2)
	v_dual_add_f32 v1, v1, v222 :: v_dual_mul_f32 v4, v187, v123
	v_add_f32_e32 v2, v2, v3
	s_delay_alu instid0(VALU_DEP_3) | instskip(NEXT) | instid1(VALU_DEP_3)
	v_fma_f32 v5, v184, v120, -v5
	v_add_f32_e32 v1, v1, v223
	v_mul_f32_e32 v3, v189, v125
	v_fma_f32 v4, v186, v122, -v4
	s_delay_alu instid0(VALU_DEP_4) | instskip(NEXT) | instid1(VALU_DEP_3)
	v_dual_add_f32 v2, v2, v5 :: v_dual_mul_f32 v5, v191, v127
	v_fma_f32 v3, v188, v124, -v3
	s_delay_alu instid0(VALU_DEP_2) | instskip(SKIP_3) | instid1(VALU_DEP_4)
	v_add_f32_e32 v2, v2, v4
	v_add_f32_e32 v1, v1, v224
	v_mul_f32_e32 v4, v193, v129
	v_fma_f32 v5, v190, v126, -v5
	v_dual_add_f32 v2, v2, v3 :: v_dual_fmac_f32 v233, v191, v126
	v_mul_f32_e32 v3, v195, v131
	s_delay_alu instid0(VALU_DEP_4) | instskip(NEXT) | instid1(VALU_DEP_3)
	v_fma_f32 v4, v192, v128, -v4
	v_add_f32_e32 v2, v2, v5
	v_add_f32_e32 v1, v1, v225
	s_delay_alu instid0(VALU_DEP_4) | instskip(NEXT) | instid1(VALU_DEP_3)
	v_fma_f32 v3, v194, v130, -v3
	v_dual_add_f32 v2, v2, v4 :: v_dual_mul_f32 v5, v197, v133
	s_delay_alu instid0(VALU_DEP_3) | instskip(NEXT) | instid1(VALU_DEP_2)
	v_dual_add_f32 v1, v1, v226 :: v_dual_mul_f32 v4, v199, v135
	v_add_f32_e32 v2, v2, v3
	s_delay_alu instid0(VALU_DEP_3) | instskip(NEXT) | instid1(VALU_DEP_3)
	v_fma_f32 v5, v196, v132, -v5
	v_add_f32_e32 v1, v1, v227
	v_mul_f32_e32 v3, v201, v137
	v_fma_f32 v4, v198, v134, -v4
	s_delay_alu instid0(VALU_DEP_4) | instskip(NEXT) | instid1(VALU_DEP_3)
	v_dual_add_f32 v2, v2, v5 :: v_dual_mul_f32 v5, v203, v139
	v_fma_f32 v3, v200, v136, -v3
	s_delay_alu instid0(VALU_DEP_2) | instskip(SKIP_3) | instid1(VALU_DEP_4)
	v_add_f32_e32 v2, v2, v4
	v_add_f32_e32 v1, v1, v228
	v_mul_f32_e32 v4, v205, v141
	v_fma_f32 v5, v202, v138, -v5
	v_dual_add_f32 v2, v2, v3 :: v_dual_fmac_f32 v239, v203, v138
	v_mul_f32_e32 v3, v207, v143
	s_delay_alu instid0(VALU_DEP_4) | instskip(NEXT) | instid1(VALU_DEP_3)
	v_fma_f32 v4, v204, v140, -v4
	v_add_f32_e32 v2, v2, v5
	v_add_f32_e32 v1, v1, v229
	s_delay_alu instid0(VALU_DEP_4) | instskip(NEXT) | instid1(VALU_DEP_2)
	v_fma_f32 v3, v206, v142, -v3
	v_dual_add_f32 v2, v2, v4 :: v_dual_add_f32 v1, v1, v230
	v_dual_mul_f32 v4, v211, v147 :: v_dual_mul_f32 v5, v209, v145
	s_delay_alu instid0(VALU_DEP_2) | instskip(NEXT) | instid1(VALU_DEP_2)
	v_add_f32_e32 v2, v2, v3
	v_fma_f32 v3, v210, v146, -v4
	s_delay_alu instid0(VALU_DEP_3) | instskip(NEXT) | instid1(VALU_DEP_1)
	v_fma_f32 v5, v208, v144, -v5
	v_dual_add_f32 v1, v1, v231 :: v_dual_add_f32 v2, v2, v5
	s_delay_alu instid0(VALU_DEP_1) | instskip(NEXT) | instid1(VALU_DEP_1)
	v_dual_add_f32 v1, v1, v232 :: v_dual_add_f32 v2, v2, v3
	v_add_f32_e32 v1, v1, v233
	s_delay_alu instid0(VALU_DEP_1) | instskip(NEXT) | instid1(VALU_DEP_1)
	v_add_f32_e32 v1, v1, v234
	v_add_f32_e32 v1, v1, v235
	s_delay_alu instid0(VALU_DEP_1) | instskip(NEXT) | instid1(VALU_DEP_1)
	v_add_f32_e32 v1, v1, v236
	;; [unrolled: 3-line block ×5, first 2 shown]
	v_add_f32_e32 v3, v1, v243
	s_wait_loadcnt 0x0
	s_delay_alu instid0(VALU_DEP_1)
	v_dual_sub_f32 v1, v212, v2 :: v_dual_sub_f32 v2, v213, v3
	scratch_store_b64 off, v[1:2], off offset:56
	v_cmpx_lt_u32_e32 6, v0
	s_cbranch_execz .LBB103_241
; %bb.240:
	scratch_load_b64 v[1:2], off, off offset:48
	v_mov_b32_e32 v3, 0
	s_delay_alu instid0(VALU_DEP_1)
	v_mov_b32_e32 v4, v3
	scratch_store_b64 off, v[3:4], off offset:48
	s_wait_loadcnt 0x0
	ds_store_b64 v23, v[1:2]
.LBB103_241:
	s_wait_alu 0xfffe
	s_or_b32 exec_lo, exec_lo, s0
	s_wait_storecnt_dscnt 0x0
	s_barrier_signal -1
	s_barrier_wait -1
	global_inv scope:SCOPE_SE
	s_clause 0x11
	scratch_load_b128 v[2:5], off, off offset:56
	scratch_load_b128 v[6:9], off, off offset:72
	;; [unrolled: 1-line block ×16, first 2 shown]
	scratch_load_b64 v[212:213], off, off offset:312
	scratch_load_b64 v[214:215], off, off offset:48
	v_mov_b32_e32 v1, 0
	ds_load_2addr_b64 v[148:151], v1 offset0:47 offset1:48
	ds_load_2addr_b64 v[152:155], v1 offset0:49 offset1:50
	;; [unrolled: 1-line block ×16, first 2 shown]
	ds_load_b64 v[216:217], v1 offset:632
	s_mov_b32 s0, exec_lo
	s_wait_loadcnt_dscnt 0x1110
	v_mul_f32_e32 v22, v148, v3
	v_dual_mul_f32 v3, v149, v3 :: v_dual_mul_f32 v218, v150, v5
	s_wait_loadcnt_dscnt 0xd0c
	v_dual_mul_f32 v219, v152, v7 :: v_dual_mul_f32 v226, v166, v21
	v_mul_f32_e32 v5, v151, v5
	s_delay_alu instid0(VALU_DEP_3) | instskip(SKIP_1) | instid1(VALU_DEP_4)
	v_fma_f32 v3, v148, v2, -v3
	v_dual_mul_f32 v220, v154, v9 :: v_dual_mul_f32 v221, v156, v11
	v_dual_fmac_f32 v218, v151, v4 :: v_dual_fmac_f32 v219, v153, v6
	s_delay_alu instid0(VALU_DEP_3)
	v_dual_add_f32 v3, 0, v3 :: v_dual_fmac_f32 v22, v149, v2
	v_mul_f32_e32 v2, v153, v7
	v_fma_f32 v4, v150, v4, -v5
	v_dual_mul_f32 v222, v158, v13 :: v_dual_mul_f32 v223, v160, v15
	s_wait_loadcnt_dscnt 0x100
	v_mul_f32_e32 v249, v216, v213
	v_dual_add_f32 v5, 0, v22 :: v_dual_fmac_f32 v220, v155, v8
	v_mul_f32_e32 v7, v155, v9
	v_fma_f32 v2, v152, v6, -v2
	s_delay_alu instid0(VALU_DEP_3) | instskip(SKIP_1) | instid1(VALU_DEP_4)
	v_dual_add_f32 v3, v3, v4 :: v_dual_add_f32 v4, v5, v218
	v_mul_f32_e32 v5, v157, v11
	v_fma_f32 v6, v154, v8, -v7
	v_dual_mul_f32 v224, v162, v17 :: v_dual_mul_f32 v225, v164, v19
	s_delay_alu instid0(VALU_DEP_4) | instskip(SKIP_3) | instid1(VALU_DEP_4)
	v_dual_add_f32 v2, v3, v2 :: v_dual_add_f32 v3, v4, v219
	v_fmac_f32_e32 v222, v159, v12
	v_mul_f32_e32 v4, v159, v13
	v_fma_f32 v5, v156, v10, -v5
	v_add_f32_e32 v2, v2, v6
	v_fmac_f32_e32 v221, v157, v10
	v_dual_add_f32 v3, v3, v220 :: v_dual_mul_f32 v6, v161, v15
	v_fma_f32 v4, v158, v12, -v4
	s_delay_alu instid0(VALU_DEP_4) | instskip(SKIP_1) | instid1(VALU_DEP_4)
	v_add_f32_e32 v2, v2, v5
	v_mul_f32_e32 v5, v163, v17
	v_add_f32_e32 v3, v3, v221
	v_fma_f32 v6, v160, v14, -v6
	v_dual_fmac_f32 v223, v161, v14 :: v_dual_fmac_f32 v224, v163, v16
	v_add_f32_e32 v2, v2, v4
	v_mul_f32_e32 v4, v165, v19
	v_fma_f32 v5, v162, v16, -v5
	v_fmac_f32_e32 v225, v165, v18
	v_dual_mul_f32 v227, v168, v25 :: v_dual_mul_f32 v228, v170, v27
	v_add_f32_e32 v2, v2, v6
	v_add_f32_e32 v3, v3, v222
	v_mul_f32_e32 v6, v167, v21
	v_fma_f32 v4, v164, v18, -v4
	v_fmac_f32_e32 v226, v167, v20
	s_delay_alu instid0(VALU_DEP_4) | instskip(NEXT) | instid1(VALU_DEP_4)
	v_dual_add_f32 v2, v2, v5 :: v_dual_add_f32 v3, v3, v223
	v_fma_f32 v6, v166, v20, -v6
	v_mul_f32_e32 v5, v169, v25
	v_fmac_f32_e32 v227, v169, v24
	s_delay_alu instid0(VALU_DEP_4) | instskip(SKIP_4) | instid1(VALU_DEP_4)
	v_add_f32_e32 v2, v2, v4
	v_add_f32_e32 v3, v3, v224
	v_mul_f32_e32 v4, v171, v27
	v_fma_f32 v5, v168, v24, -v5
	v_dual_mul_f32 v229, v172, v109 :: v_dual_mul_f32 v230, v174, v111
	v_dual_add_f32 v2, v2, v6 :: v_dual_add_f32 v3, v3, v225
	v_mul_f32_e32 v6, v173, v109
	s_delay_alu instid0(VALU_DEP_3) | instskip(SKIP_1) | instid1(VALU_DEP_4)
	v_dual_fmac_f32 v228, v171, v26 :: v_dual_fmac_f32 v229, v173, v108
	v_fma_f32 v4, v170, v26, -v4
	v_dual_add_f32 v3, v3, v226 :: v_dual_add_f32 v2, v2, v5
	s_delay_alu instid0(VALU_DEP_4) | instskip(SKIP_1) | instid1(VALU_DEP_3)
	v_fma_f32 v6, v172, v108, -v6
	v_dual_mul_f32 v231, v176, v113 :: v_dual_mul_f32 v232, v178, v115
	v_add_f32_e32 v3, v3, v227
	s_delay_alu instid0(VALU_DEP_4) | instskip(SKIP_1) | instid1(VALU_DEP_4)
	v_dual_mul_f32 v5, v175, v111 :: v_dual_add_f32 v2, v2, v4
	v_mul_f32_e32 v4, v177, v113
	v_dual_fmac_f32 v230, v175, v110 :: v_dual_fmac_f32 v231, v177, v112
	s_delay_alu instid0(VALU_DEP_4) | instskip(NEXT) | instid1(VALU_DEP_4)
	v_add_f32_e32 v3, v3, v228
	v_fma_f32 v5, v174, v110, -v5
	v_add_f32_e32 v2, v2, v6
	v_mul_f32_e32 v6, v179, v115
	v_fma_f32 v4, v176, v112, -v4
	v_add_f32_e32 v3, v3, v229
	v_dual_mul_f32 v233, v180, v117 :: v_dual_mul_f32 v234, v182, v119
	v_add_f32_e32 v2, v2, v5
	v_mul_f32_e32 v5, v181, v117
	s_delay_alu instid0(VALU_DEP_4) | instskip(NEXT) | instid1(VALU_DEP_4)
	v_add_f32_e32 v3, v3, v230
	v_dual_fmac_f32 v232, v179, v114 :: v_dual_fmac_f32 v233, v181, v116
	v_fma_f32 v6, v178, v114, -v6
	s_delay_alu instid0(VALU_DEP_3) | instskip(SKIP_2) | instid1(VALU_DEP_2)
	v_dual_add_f32 v2, v2, v4 :: v_dual_add_f32 v3, v3, v231
	v_dual_mul_f32 v235, v184, v121 :: v_dual_mul_f32 v236, v186, v123
	v_dual_mul_f32 v237, v188, v125 :: v_dual_mul_f32 v238, v190, v127
	v_dual_mul_f32 v4, v183, v119 :: v_dual_fmac_f32 v235, v185, v120
	v_fma_f32 v5, v180, v116, -v5
	v_dual_add_f32 v2, v2, v6 :: v_dual_add_f32 v3, v3, v232
	v_mul_f32_e32 v6, v185, v121
	v_dual_fmac_f32 v234, v183, v118 :: v_dual_fmac_f32 v237, v189, v124
	v_fma_f32 v4, v182, v118, -v4
	s_delay_alu instid0(VALU_DEP_4) | instskip(SKIP_3) | instid1(VALU_DEP_3)
	v_add_f32_e32 v3, v3, v233
	v_dual_add_f32 v2, v2, v5 :: v_dual_mul_f32 v5, v187, v123
	v_fma_f32 v6, v184, v120, -v6
	v_dual_mul_f32 v241, v196, v133 :: v_dual_mul_f32 v242, v198, v135
	v_dual_add_f32 v3, v3, v234 :: v_dual_add_f32 v2, v2, v4
	v_mul_f32_e32 v4, v189, v125
	v_fmac_f32_e32 v236, v187, v122
	v_fma_f32 v5, v186, v122, -v5
	s_delay_alu instid0(VALU_DEP_4) | instskip(SKIP_3) | instid1(VALU_DEP_4)
	v_dual_add_f32 v3, v3, v235 :: v_dual_add_f32 v2, v2, v6
	v_dual_mul_f32 v239, v192, v129 :: v_dual_mul_f32 v240, v194, v131
	v_mul_f32_e32 v6, v191, v127
	v_dual_fmac_f32 v238, v191, v126 :: v_dual_fmac_f32 v241, v197, v132
	v_add_f32_e32 v2, v2, v5
	v_mul_f32_e32 v5, v193, v129
	v_add_f32_e32 v3, v3, v236
	v_fma_f32 v4, v188, v124, -v4
	v_fmac_f32_e32 v239, v193, v128
	v_fma_f32 v6, v190, v126, -v6
	v_dual_mul_f32 v243, v200, v137 :: v_dual_mul_f32 v244, v202, v139
	v_add_f32_e32 v3, v3, v237
	v_fma_f32 v5, v192, v128, -v5
	s_delay_alu instid0(VALU_DEP_3) | instskip(NEXT) | instid1(VALU_DEP_4)
	v_dual_fmac_f32 v240, v195, v130 :: v_dual_fmac_f32 v243, v201, v136
	v_dual_fmac_f32 v244, v203, v138 :: v_dual_fmac_f32 v249, v217, v212
	s_delay_alu instid0(VALU_DEP_4) | instskip(SKIP_2) | instid1(VALU_DEP_3)
	v_dual_add_f32 v3, v3, v238 :: v_dual_add_f32 v2, v2, v4
	v_dual_mul_f32 v4, v195, v131 :: v_dual_mul_f32 v245, v204, v141
	v_mul_f32_e32 v246, v206, v143
	v_dual_add_f32 v3, v3, v239 :: v_dual_add_f32 v2, v2, v6
	v_mul_f32_e32 v6, v197, v133
	s_delay_alu instid0(VALU_DEP_4) | instskip(SKIP_1) | instid1(VALU_DEP_4)
	v_fma_f32 v4, v194, v130, -v4
	v_dual_fmac_f32 v242, v199, v134 :: v_dual_fmac_f32 v245, v205, v140
	v_dual_add_f32 v2, v2, v5 :: v_dual_mul_f32 v5, v199, v135
	s_delay_alu instid0(VALU_DEP_4) | instskip(SKIP_1) | instid1(VALU_DEP_3)
	v_fma_f32 v6, v196, v132, -v6
	v_dual_mul_f32 v247, v208, v145 :: v_dual_mul_f32 v248, v210, v147
	v_add_f32_e32 v2, v2, v4
	s_delay_alu instid0(VALU_DEP_4) | instskip(NEXT) | instid1(VALU_DEP_3)
	v_fma_f32 v5, v198, v134, -v5
	v_dual_fmac_f32 v246, v207, v142 :: v_dual_fmac_f32 v247, v209, v144
	s_delay_alu instid0(VALU_DEP_4) | instskip(NEXT) | instid1(VALU_DEP_4)
	v_fmac_f32_e32 v248, v211, v146
	v_add_f32_e32 v2, v2, v6
	v_mul_f32_e32 v6, v203, v139
	s_delay_alu instid0(VALU_DEP_2) | instskip(SKIP_2) | instid1(VALU_DEP_4)
	v_add_f32_e32 v2, v2, v5
	v_mul_f32_e32 v5, v205, v141
	v_add_f32_e32 v3, v3, v240
	v_fma_f32 v6, v202, v138, -v6
	s_delay_alu instid0(VALU_DEP_3) | instskip(NEXT) | instid1(VALU_DEP_3)
	v_fma_f32 v5, v204, v140, -v5
	v_add_f32_e32 v3, v3, v241
	s_delay_alu instid0(VALU_DEP_1) | instskip(NEXT) | instid1(VALU_DEP_1)
	v_dual_mul_f32 v4, v201, v137 :: v_dual_add_f32 v3, v3, v242
	v_fma_f32 v4, v200, v136, -v4
	s_delay_alu instid0(VALU_DEP_2) | instskip(NEXT) | instid1(VALU_DEP_1)
	v_add_f32_e32 v3, v3, v243
	v_add_f32_e32 v3, v3, v244
	s_delay_alu instid0(VALU_DEP_3) | instskip(SKIP_1) | instid1(VALU_DEP_2)
	v_add_f32_e32 v2, v2, v4
	v_mul_f32_e32 v4, v207, v143
	v_dual_add_f32 v3, v3, v245 :: v_dual_add_f32 v2, v2, v6
	v_mul_f32_e32 v6, v209, v145
	s_delay_alu instid0(VALU_DEP_3) | instskip(NEXT) | instid1(VALU_DEP_3)
	v_fma_f32 v4, v206, v142, -v4
	v_dual_add_f32 v3, v3, v246 :: v_dual_add_f32 v2, v2, v5
	v_mul_f32_e32 v5, v211, v147
	s_delay_alu instid0(VALU_DEP_4) | instskip(NEXT) | instid1(VALU_DEP_3)
	v_fma_f32 v6, v208, v144, -v6
	v_add_f32_e32 v3, v3, v247
	s_delay_alu instid0(VALU_DEP_3) | instskip(NEXT) | instid1(VALU_DEP_2)
	v_fma_f32 v5, v210, v146, -v5
	v_add_f32_e32 v3, v3, v248
	s_delay_alu instid0(VALU_DEP_1) | instskip(SKIP_2) | instid1(VALU_DEP_2)
	v_dual_add_f32 v2, v2, v4 :: v_dual_add_f32 v3, v3, v249
	v_mul_f32_e32 v4, v217, v213
	s_wait_loadcnt 0x0
	v_dual_add_f32 v2, v2, v6 :: v_dual_sub_f32 v3, v215, v3
	s_delay_alu instid0(VALU_DEP_2) | instskip(NEXT) | instid1(VALU_DEP_2)
	v_fma_f32 v4, v216, v212, -v4
	v_add_f32_e32 v2, v2, v5
	s_delay_alu instid0(VALU_DEP_1) | instskip(NEXT) | instid1(VALU_DEP_1)
	v_add_f32_e32 v2, v2, v4
	v_sub_f32_e32 v2, v214, v2
	scratch_store_b64 off, v[2:3], off offset:48
	v_cmpx_lt_u32_e32 5, v0
	s_cbranch_execz .LBB103_243
; %bb.242:
	scratch_load_b64 v[3:4], off, off offset:40
	v_mov_b32_e32 v2, v1
	scratch_store_b64 off, v[1:2], off offset:40
	s_wait_loadcnt 0x0
	ds_store_b64 v23, v[3:4]
.LBB103_243:
	s_wait_alu 0xfffe
	s_or_b32 exec_lo, exec_lo, s0
	s_wait_storecnt_dscnt 0x0
	s_barrier_signal -1
	s_barrier_wait -1
	global_inv scope:SCOPE_SE
	s_clause 0x11
	scratch_load_b128 v[2:5], off, off offset:48
	scratch_load_b128 v[6:9], off, off offset:64
	;; [unrolled: 1-line block ×17, first 2 shown]
	scratch_load_b64 v[220:221], off, off offset:40
	ds_load_b128 v[152:155], v1 offset:368
	ds_load_b128 v[156:159], v1 offset:384
	;; [unrolled: 1-line block ×17, first 2 shown]
	s_mov_b32 s0, exec_lo
	s_wait_loadcnt_dscnt 0x1110
	v_dual_mul_f32 v1, v152, v3 :: v_dual_mul_f32 v22, v154, v5
	s_wait_loadcnt_dscnt 0x100f
	v_dual_mul_f32 v5, v155, v5 :: v_dual_mul_f32 v222, v156, v7
	v_mul_f32_e32 v223, v158, v9
	s_wait_loadcnt_dscnt 0xf0e
	v_dual_fmac_f32 v1, v153, v2 :: v_dual_mul_f32 v224, v160, v11
	s_wait_loadcnt_dscnt 0xe0d
	v_dual_mul_f32 v225, v162, v13 :: v_dual_mul_f32 v226, v164, v15
	s_wait_loadcnt_dscnt 0xd0c
	v_dual_mul_f32 v227, v166, v17 :: v_dual_mul_f32 v228, v168, v19
	v_mul_f32_e32 v229, v170, v21
	v_dual_mul_f32 v3, v153, v3 :: v_dual_fmac_f32 v22, v155, v4
	s_wait_loadcnt_dscnt 0xc0b
	v_dual_mul_f32 v230, v172, v25 :: v_dual_mul_f32 v231, v174, v27
	s_wait_loadcnt_dscnt 0x201
	v_mul_f32_e32 v250, v212, v145
	v_fma_f32 v3, v152, v2, -v3
	s_wait_loadcnt_dscnt 0x100
	v_mul_f32_e32 v253, v218, v151
	v_mul_f32_e32 v2, v157, v7
	v_fma_f32 v4, v154, v4, -v5
	v_dual_mul_f32 v5, v159, v9 :: v_dual_fmac_f32 v224, v161, v10
	v_dual_add_f32 v3, 0, v3 :: v_dual_fmac_f32 v222, v157, v6
	s_delay_alu instid0(VALU_DEP_4) | instskip(NEXT) | instid1(VALU_DEP_3)
	v_fma_f32 v2, v156, v6, -v2
	v_fma_f32 v5, v158, v8, -v5
	s_delay_alu instid0(VALU_DEP_3) | instskip(SKIP_2) | instid1(VALU_DEP_3)
	v_dual_fmac_f32 v226, v165, v14 :: v_dual_add_f32 v3, v3, v4
	v_dual_fmac_f32 v227, v167, v16 :: v_dual_mul_f32 v232, v176, v109
	v_dual_mul_f32 v233, v178, v111 :: v_dual_fmac_f32 v228, v169, v18
	v_add_f32_e32 v2, v3, v2
	v_mul_f32_e32 v3, v163, v13
	v_dual_mul_f32 v236, v184, v117 :: v_dual_mul_f32 v237, v186, v119
	v_mul_f32_e32 v4, v161, v11
	s_delay_alu instid0(VALU_DEP_4) | instskip(SKIP_4) | instid1(VALU_DEP_4)
	v_add_f32_e32 v2, v2, v5
	v_add_f32_e32 v1, 0, v1
	v_fma_f32 v3, v162, v12, -v3
	v_dual_mul_f32 v234, v180, v113 :: v_dual_mul_f32 v235, v182, v115
	v_fma_f32 v4, v160, v10, -v4
	v_add_f32_e32 v1, v1, v22
	v_dual_fmac_f32 v233, v179, v110 :: v_dual_mul_f32 v238, v188, v121
	v_mul_f32_e32 v239, v190, v123
	s_delay_alu instid0(VALU_DEP_3) | instskip(SKIP_3) | instid1(VALU_DEP_4)
	v_dual_add_f32 v2, v2, v4 :: v_dual_add_f32 v1, v1, v222
	v_mul_f32_e32 v4, v167, v17
	v_fmac_f32_e32 v223, v159, v8
	v_dual_fmac_f32 v231, v175, v26 :: v_dual_fmac_f32 v234, v181, v112
	v_add_f32_e32 v2, v2, v3
	s_delay_alu instid0(VALU_DEP_4) | instskip(SKIP_4) | instid1(VALU_DEP_4)
	v_fma_f32 v4, v166, v16, -v4
	v_mul_f32_e32 v5, v165, v15
	v_dual_add_f32 v1, v1, v223 :: v_dual_mul_f32 v242, v196, v129
	v_dual_mul_f32 v243, v198, v131 :: v_dual_mul_f32 v240, v192, v125
	v_mul_f32_e32 v241, v194, v127
	v_fma_f32 v5, v164, v14, -v5
	v_fmac_f32_e32 v225, v163, v12
	v_dual_fmac_f32 v230, v173, v24 :: v_dual_fmac_f32 v239, v191, v122
	v_dual_mul_f32 v244, v200, v133 :: v_dual_mul_f32 v245, v202, v135
	s_delay_alu instid0(VALU_DEP_4) | instskip(SKIP_3) | instid1(VALU_DEP_3)
	v_add_f32_e32 v2, v2, v5
	v_mul_f32_e32 v5, v171, v21
	v_dual_mul_f32 v248, v208, v141 :: v_dual_mul_f32 v249, v210, v143
	v_dual_mul_f32 v246, v204, v137 :: v_dual_mul_f32 v247, v206, v139
	v_fma_f32 v5, v170, v20, -v5
	v_dual_mul_f32 v3, v169, v19 :: v_dual_add_f32 v2, v2, v4
	v_mul_f32_e32 v4, v173, v25
	v_dual_fmac_f32 v232, v177, v108 :: v_dual_fmac_f32 v245, v203, v134
	s_delay_alu instid0(VALU_DEP_3) | instskip(SKIP_1) | instid1(VALU_DEP_4)
	v_fma_f32 v3, v168, v18, -v3
	v_add_f32_e32 v1, v1, v224
	v_fma_f32 v4, v172, v24, -v4
	v_dual_fmac_f32 v237, v187, v118 :: v_dual_fmac_f32 v240, v193, v124
	s_delay_alu instid0(VALU_DEP_4) | instskip(SKIP_3) | instid1(VALU_DEP_4)
	v_add_f32_e32 v2, v2, v3
	v_mul_f32_e32 v3, v175, v27
	v_dual_fmac_f32 v243, v199, v130 :: v_dual_fmac_f32 v246, v205, v136
	v_dual_mul_f32 v251, v214, v147 :: v_dual_mul_f32 v252, v216, v149
	v_add_f32_e32 v2, v2, v5
	v_add_f32_e32 v1, v1, v225
	v_fma_f32 v3, v174, v26, -v3
	s_delay_alu instid0(VALU_DEP_4) | instskip(NEXT) | instid1(VALU_DEP_3)
	v_dual_fmac_f32 v249, v211, v142 :: v_dual_fmac_f32 v252, v217, v148
	v_dual_add_f32 v2, v2, v4 :: v_dual_add_f32 v1, v1, v226
	v_mul_f32_e32 v4, v179, v111
	v_fmac_f32_e32 v229, v171, v20
	s_delay_alu instid0(VALU_DEP_3) | instskip(SKIP_1) | instid1(VALU_DEP_4)
	v_dual_fmac_f32 v251, v215, v146 :: v_dual_add_f32 v2, v2, v3
	v_mul_f32_e32 v3, v181, v113
	v_fma_f32 v4, v178, v110, -v4
	v_mul_f32_e32 v5, v177, v109
	v_dual_fmac_f32 v236, v185, v116 :: v_dual_fmac_f32 v253, v219, v150
	s_delay_alu instid0(VALU_DEP_4) | instskip(SKIP_1) | instid1(VALU_DEP_4)
	v_fma_f32 v3, v180, v112, -v3
	v_fmac_f32_e32 v238, v189, v120
	v_fma_f32 v5, v176, v108, -v5
	v_add_f32_e32 v1, v1, v227
	v_fmac_f32_e32 v242, v197, v128
	v_fmac_f32_e32 v244, v201, v132
	;; [unrolled: 1-line block ×3, first 2 shown]
	v_dual_add_f32 v2, v2, v5 :: v_dual_mul_f32 v5, v183, v115
	v_fmac_f32_e32 v250, v213, v144
	s_delay_alu instid0(VALU_DEP_2) | instskip(SKIP_3) | instid1(VALU_DEP_4)
	v_add_f32_e32 v2, v2, v4
	v_add_f32_e32 v1, v1, v228
	v_mul_f32_e32 v4, v185, v117
	v_fma_f32 v5, v182, v114, -v5
	v_dual_add_f32 v2, v2, v3 :: v_dual_fmac_f32 v235, v183, v114
	v_mul_f32_e32 v3, v187, v119
	s_delay_alu instid0(VALU_DEP_4) | instskip(NEXT) | instid1(VALU_DEP_3)
	v_fma_f32 v4, v184, v116, -v4
	v_add_f32_e32 v2, v2, v5
	v_add_f32_e32 v1, v1, v229
	s_delay_alu instid0(VALU_DEP_4) | instskip(NEXT) | instid1(VALU_DEP_3)
	v_fma_f32 v3, v186, v118, -v3
	v_dual_add_f32 v2, v2, v4 :: v_dual_mul_f32 v5, v189, v121
	s_delay_alu instid0(VALU_DEP_3) | instskip(NEXT) | instid1(VALU_DEP_2)
	v_dual_add_f32 v1, v1, v230 :: v_dual_mul_f32 v4, v191, v123
	v_add_f32_e32 v2, v2, v3
	s_delay_alu instid0(VALU_DEP_3) | instskip(NEXT) | instid1(VALU_DEP_3)
	v_fma_f32 v5, v188, v120, -v5
	v_add_f32_e32 v1, v1, v231
	v_mul_f32_e32 v3, v193, v125
	v_fma_f32 v4, v190, v122, -v4
	s_delay_alu instid0(VALU_DEP_4) | instskip(NEXT) | instid1(VALU_DEP_3)
	v_dual_add_f32 v2, v2, v5 :: v_dual_mul_f32 v5, v195, v127
	v_fma_f32 v3, v192, v124, -v3
	s_delay_alu instid0(VALU_DEP_2) | instskip(SKIP_3) | instid1(VALU_DEP_4)
	v_add_f32_e32 v2, v2, v4
	v_add_f32_e32 v1, v1, v232
	v_mul_f32_e32 v4, v197, v129
	v_fma_f32 v5, v194, v126, -v5
	v_dual_add_f32 v2, v2, v3 :: v_dual_fmac_f32 v241, v195, v126
	v_mul_f32_e32 v3, v199, v131
	s_delay_alu instid0(VALU_DEP_4) | instskip(NEXT) | instid1(VALU_DEP_3)
	v_fma_f32 v4, v196, v128, -v4
	v_add_f32_e32 v2, v2, v5
	v_add_f32_e32 v1, v1, v233
	s_delay_alu instid0(VALU_DEP_4) | instskip(NEXT) | instid1(VALU_DEP_3)
	v_fma_f32 v3, v198, v130, -v3
	v_dual_add_f32 v2, v2, v4 :: v_dual_mul_f32 v5, v201, v133
	s_delay_alu instid0(VALU_DEP_3) | instskip(NEXT) | instid1(VALU_DEP_2)
	v_dual_add_f32 v1, v1, v234 :: v_dual_mul_f32 v4, v203, v135
	v_add_f32_e32 v2, v2, v3
	s_delay_alu instid0(VALU_DEP_3) | instskip(NEXT) | instid1(VALU_DEP_3)
	v_fma_f32 v5, v200, v132, -v5
	v_add_f32_e32 v1, v1, v235
	v_mul_f32_e32 v3, v205, v137
	v_fma_f32 v4, v202, v134, -v4
	s_delay_alu instid0(VALU_DEP_4) | instskip(NEXT) | instid1(VALU_DEP_3)
	v_dual_add_f32 v2, v2, v5 :: v_dual_mul_f32 v5, v207, v139
	v_fma_f32 v3, v204, v136, -v3
	;; [unrolled: 25-line block ×3, first 2 shown]
	s_delay_alu instid0(VALU_DEP_2) | instskip(SKIP_1) | instid1(VALU_DEP_4)
	v_add_f32_e32 v2, v2, v4
	v_add_f32_e32 v1, v1, v240
	v_fma_f32 v4, v218, v150, -v5
	s_delay_alu instid0(VALU_DEP_2) | instskip(NEXT) | instid1(VALU_DEP_1)
	v_dual_add_f32 v2, v2, v3 :: v_dual_add_f32 v1, v1, v241
	v_dual_add_f32 v2, v2, v4 :: v_dual_add_f32 v1, v1, v242
	s_delay_alu instid0(VALU_DEP_1) | instskip(NEXT) | instid1(VALU_DEP_1)
	v_add_f32_e32 v1, v1, v243
	v_add_f32_e32 v1, v1, v244
	s_delay_alu instid0(VALU_DEP_1) | instskip(NEXT) | instid1(VALU_DEP_1)
	v_add_f32_e32 v1, v1, v245
	v_add_f32_e32 v1, v1, v246
	;; [unrolled: 3-line block ×5, first 2 shown]
	s_delay_alu instid0(VALU_DEP_1) | instskip(SKIP_1) | instid1(VALU_DEP_1)
	v_add_f32_e32 v3, v1, v253
	s_wait_loadcnt 0x0
	v_dual_sub_f32 v1, v220, v2 :: v_dual_sub_f32 v2, v221, v3
	scratch_store_b64 off, v[1:2], off offset:40
	v_cmpx_lt_u32_e32 4, v0
	s_cbranch_execz .LBB103_245
; %bb.244:
	scratch_load_b64 v[1:2], off, off offset:32
	v_mov_b32_e32 v3, 0
	s_delay_alu instid0(VALU_DEP_1)
	v_mov_b32_e32 v4, v3
	scratch_store_b64 off, v[3:4], off offset:32
	s_wait_loadcnt 0x0
	ds_store_b64 v23, v[1:2]
.LBB103_245:
	s_wait_alu 0xfffe
	s_or_b32 exec_lo, exec_lo, s0
	s_wait_storecnt_dscnt 0x0
	s_barrier_signal -1
	s_barrier_wait -1
	global_inv scope:SCOPE_SE
	s_clause 0x4
	scratch_load_b128 v[5:8], off, off offset:40
	scratch_load_b128 v[1:4], off, off offset:56
	;; [unrolled: 1-line block ×5, first 2 shown]
	v_mov_b32_e32 v21, 0
	ds_load_2addr_b64 v[24:27], v21 offset0:45 offset1:46
	ds_load_2addr_b64 v[108:111], v21 offset0:47 offset1:48
	ds_load_2addr_b64 v[112:115], v21 offset0:49 offset1:50
	scratch_load_b64 v[116:117], off, off offset:32
	s_mov_b32 s0, exec_lo
	s_wait_loadcnt_dscnt 0x502
	v_mul_f32_e32 v22, v25, v6
	v_dual_mul_f32 v118, v24, v6 :: v_dual_mul_f32 v119, v26, v8
	v_mul_f32_e32 v6, v27, v8
	s_delay_alu instid0(VALU_DEP_3) | instskip(NEXT) | instid1(VALU_DEP_3)
	v_fma_f32 v22, v24, v5, -v22
	v_dual_fmac_f32 v118, v25, v5 :: v_dual_fmac_f32 v119, v27, v7
	s_wait_loadcnt_dscnt 0x401
	v_mul_f32_e32 v25, v108, v2
	v_fma_f32 v24, v26, v7, -v6
	ds_load_2addr_b64 v[5:8], v21 offset0:51 offset1:52
	s_wait_loadcnt_dscnt 0x301
	v_dual_mul_f32 v26, v110, v4 :: v_dual_mul_f32 v27, v112, v10
	v_dual_mul_f32 v4, v111, v4 :: v_dual_fmac_f32 v25, v109, v1
	v_mul_f32_e32 v10, v113, v10
	s_delay_alu instid0(VALU_DEP_3)
	v_dual_mul_f32 v120, v114, v12 :: v_dual_fmac_f32 v27, v113, v9
	v_mul_f32_e32 v12, v115, v12
	v_mul_f32_e32 v2, v109, v2
	v_fmac_f32_e32 v26, v111, v3
	v_fma_f32 v109, v110, v3, -v4
	v_fma_f32 v110, v112, v9, -v10
	v_fmac_f32_e32 v120, v115, v11
	v_fma_f32 v111, v114, v11, -v12
	ds_load_2addr_b64 v[9:12], v21 offset0:53 offset1:54
	s_wait_loadcnt_dscnt 0x201
	v_mul_f32_e32 v113, v7, v16
	v_fma_f32 v108, v108, v1, -v2
	scratch_load_b128 v[1:4], off, off offset:120
	v_mul_f32_e32 v112, v5, v14
	v_mul_f32_e32 v14, v6, v14
	;; [unrolled: 1-line block ×3, first 2 shown]
	s_delay_alu instid0(VALU_DEP_3) | instskip(NEXT) | instid1(VALU_DEP_3)
	v_dual_fmac_f32 v113, v8, v15 :: v_dual_fmac_f32 v112, v6, v13
	v_fma_f32 v13, v5, v13, -v14
	s_delay_alu instid0(VALU_DEP_3)
	v_fma_f32 v14, v7, v15, -v16
	ds_load_2addr_b64 v[5:8], v21 offset0:55 offset1:56
	s_wait_loadcnt_dscnt 0x201
	v_mul_f32_e32 v15, v9, v18
	v_mul_f32_e32 v16, v10, v18
	;; [unrolled: 1-line block ×3, first 2 shown]
	s_delay_alu instid0(VALU_DEP_3) | instskip(NEXT) | instid1(VALU_DEP_3)
	v_dual_mul_f32 v20, v12, v20 :: v_dual_fmac_f32 v15, v10, v17
	v_fma_f32 v16, v9, v17, -v16
	s_delay_alu instid0(VALU_DEP_3) | instskip(NEXT) | instid1(VALU_DEP_3)
	v_fmac_f32_e32 v18, v12, v19
	v_fma_f32 v17, v11, v19, -v20
	scratch_load_b128 v[9:12], off, off offset:136
	s_wait_loadcnt_dscnt 0x100
	v_mul_f32_e32 v19, v5, v2
	v_mul_f32_e32 v2, v6, v2
	;; [unrolled: 1-line block ×3, first 2 shown]
	s_delay_alu instid0(VALU_DEP_3) | instskip(NEXT) | instid1(VALU_DEP_3)
	v_dual_mul_f32 v4, v8, v4 :: v_dual_fmac_f32 v19, v6, v1
	v_fma_f32 v114, v5, v1, -v2
	s_delay_alu instid0(VALU_DEP_3) | instskip(NEXT) | instid1(VALU_DEP_3)
	v_fmac_f32_e32 v20, v8, v3
	v_fma_f32 v115, v7, v3, -v4
	ds_load_2addr_b64 v[1:4], v21 offset0:57 offset1:58
	ds_load_2addr_b64 v[5:8], v21 offset0:59 offset1:60
	s_wait_loadcnt_dscnt 0x1
	v_mul_f32_e32 v121, v1, v10
	v_mul_f32_e32 v10, v2, v10
	s_delay_alu instid0(VALU_DEP_2) | instskip(NEXT) | instid1(VALU_DEP_2)
	v_dual_mul_f32 v122, v3, v12 :: v_dual_fmac_f32 v121, v2, v9
	v_fma_f32 v123, v1, v9, -v10
	v_mul_f32_e32 v1, v4, v12
	s_delay_alu instid0(VALU_DEP_3) | instskip(NEXT) | instid1(VALU_DEP_2)
	v_fmac_f32_e32 v122, v4, v11
	v_fma_f32 v124, v3, v11, -v1
	s_clause 0x1
	scratch_load_b128 v[1:4], off, off offset:152
	scratch_load_b128 v[9:12], off, off offset:168
	s_wait_loadcnt_dscnt 0x100
	v_mul_f32_e32 v125, v5, v2
	v_dual_mul_f32 v2, v6, v2 :: v_dual_mul_f32 v127, v7, v4
	s_delay_alu instid0(VALU_DEP_2) | instskip(NEXT) | instid1(VALU_DEP_2)
	v_fmac_f32_e32 v125, v6, v1
	v_fma_f32 v126, v5, v1, -v2
	v_mul_f32_e32 v1, v8, v4
	s_delay_alu instid0(VALU_DEP_4) | instskip(NEXT) | instid1(VALU_DEP_2)
	v_fmac_f32_e32 v127, v8, v3
	v_fma_f32 v128, v7, v3, -v1
	ds_load_2addr_b64 v[1:4], v21 offset0:61 offset1:62
	ds_load_2addr_b64 v[5:8], v21 offset0:63 offset1:64
	s_wait_loadcnt_dscnt 0x1
	v_mul_f32_e32 v129, v1, v10
	v_mul_f32_e32 v131, v3, v12
	s_delay_alu instid0(VALU_DEP_2) | instskip(NEXT) | instid1(VALU_DEP_2)
	v_fmac_f32_e32 v129, v2, v9
	v_dual_mul_f32 v2, v2, v10 :: v_dual_fmac_f32 v131, v4, v11
	s_delay_alu instid0(VALU_DEP_1) | instskip(SKIP_1) | instid1(VALU_DEP_1)
	v_fma_f32 v130, v1, v9, -v2
	v_mul_f32_e32 v1, v4, v12
	v_fma_f32 v132, v3, v11, -v1
	s_clause 0x1
	scratch_load_b128 v[1:4], off, off offset:184
	scratch_load_b128 v[9:12], off, off offset:200
	s_wait_loadcnt_dscnt 0x100
	v_mul_f32_e32 v133, v5, v2
	v_dual_mul_f32 v135, v7, v4 :: v_dual_mul_f32 v2, v6, v2
	s_delay_alu instid0(VALU_DEP_2) | instskip(NEXT) | instid1(VALU_DEP_2)
	v_fmac_f32_e32 v133, v6, v1
	v_fmac_f32_e32 v135, v8, v3
	s_delay_alu instid0(VALU_DEP_3) | instskip(SKIP_1) | instid1(VALU_DEP_1)
	v_fma_f32 v134, v5, v1, -v2
	v_mul_f32_e32 v1, v8, v4
	v_fma_f32 v136, v7, v3, -v1
	ds_load_2addr_b64 v[1:4], v21 offset0:65 offset1:66
	ds_load_2addr_b64 v[5:8], v21 offset0:67 offset1:68
	s_wait_loadcnt_dscnt 0x1
	v_mul_f32_e32 v137, v1, v10
	v_mul_f32_e32 v139, v3, v12
	s_delay_alu instid0(VALU_DEP_2) | instskip(NEXT) | instid1(VALU_DEP_2)
	v_fmac_f32_e32 v137, v2, v9
	v_dual_mul_f32 v2, v2, v10 :: v_dual_fmac_f32 v139, v4, v11
	s_delay_alu instid0(VALU_DEP_1) | instskip(SKIP_1) | instid1(VALU_DEP_1)
	v_fma_f32 v138, v1, v9, -v2
	v_mul_f32_e32 v1, v4, v12
	v_fma_f32 v140, v3, v11, -v1
	s_clause 0x1
	scratch_load_b128 v[1:4], off, off offset:216
	scratch_load_b128 v[9:12], off, off offset:232
	s_wait_loadcnt_dscnt 0x100
	v_mul_f32_e32 v141, v5, v2
	v_mul_f32_e32 v2, v6, v2
	s_delay_alu instid0(VALU_DEP_1) | instskip(SKIP_1) | instid1(VALU_DEP_1)
	v_fma_f32 v142, v5, v1, -v2
	v_add_f32_e32 v2, 0, v118
	v_add_f32_e32 v2, v2, v119
	s_delay_alu instid0(VALU_DEP_1) | instskip(NEXT) | instid1(VALU_DEP_1)
	v_add_f32_e32 v2, v2, v25
	v_add_f32_e32 v2, v2, v26
	s_delay_alu instid0(VALU_DEP_1) | instskip(SKIP_1) | instid1(VALU_DEP_2)
	v_add_f32_e32 v2, v2, v27
	v_fmac_f32_e32 v141, v6, v1
	v_add_f32_e32 v2, v2, v120
	s_delay_alu instid0(VALU_DEP_1) | instskip(NEXT) | instid1(VALU_DEP_1)
	v_add_f32_e32 v2, v2, v112
	v_dual_mul_f32 v143, v7, v4 :: v_dual_add_f32 v2, v2, v113
	s_delay_alu instid0(VALU_DEP_1) | instskip(NEXT) | instid1(VALU_DEP_1)
	v_dual_mul_f32 v1, v8, v4 :: v_dual_add_f32 v2, v2, v15
	v_fma_f32 v144, v7, v3, -v1
	v_add_f32_e32 v1, 0, v22
	s_delay_alu instid0(VALU_DEP_3) | instskip(NEXT) | instid1(VALU_DEP_2)
	v_add_f32_e32 v5, v2, v18
	v_add_f32_e32 v1, v1, v24
	s_delay_alu instid0(VALU_DEP_1) | instskip(NEXT) | instid1(VALU_DEP_1)
	v_add_f32_e32 v1, v1, v108
	v_add_f32_e32 v1, v1, v109
	scratch_load_b64 v[108:109], off, off offset:312
	v_add_f32_e32 v1, v1, v110
	s_delay_alu instid0(VALU_DEP_1) | instskip(NEXT) | instid1(VALU_DEP_1)
	v_add_f32_e32 v1, v1, v111
	v_add_f32_e32 v1, v1, v13
	;; [unrolled: 1-line block ×3, first 2 shown]
	s_delay_alu instid0(VALU_DEP_2) | instskip(NEXT) | instid1(VALU_DEP_2)
	v_add_f32_e32 v1, v1, v14
	v_add_f32_e32 v13, v13, v20
	s_delay_alu instid0(VALU_DEP_2) | instskip(NEXT) | instid1(VALU_DEP_2)
	v_add_f32_e32 v1, v1, v16
	v_add_f32_e32 v13, v13, v121
	v_fmac_f32_e32 v143, v8, v3
	s_delay_alu instid0(VALU_DEP_3) | instskip(NEXT) | instid1(VALU_DEP_3)
	v_add_f32_e32 v1, v1, v17
	v_add_f32_e32 v18, v13, v122
	s_delay_alu instid0(VALU_DEP_2)
	v_add_f32_e32 v6, v1, v114
	scratch_load_b128 v[1:4], off, off offset:248
	v_add_f32_e32 v18, v18, v125
	v_add_f32_e32 v14, v6, v115
	ds_load_2addr_b64 v[5:8], v21 offset0:69 offset1:70
	v_add_f32_e32 v18, v18, v127
	v_add_f32_e32 v14, v14, v123
	s_delay_alu instid0(VALU_DEP_2) | instskip(NEXT) | instid1(VALU_DEP_2)
	v_add_f32_e32 v24, v18, v129
	v_add_f32_e32 v17, v14, v124
	ds_load_2addr_b64 v[13:16], v21 offset0:71 offset1:72
	v_add_f32_e32 v24, v24, v131
	s_delay_alu instid0(VALU_DEP_1)
	v_add_f32_e32 v24, v24, v133
	s_wait_loadcnt_dscnt 0x201
	v_mul_f32_e32 v22, v5, v10
	v_mul_f32_e32 v10, v6, v10
	;; [unrolled: 1-line block ×3, first 2 shown]
	v_dual_mul_f32 v12, v8, v12 :: v_dual_add_f32 v17, v17, v126
	s_delay_alu instid0(VALU_DEP_4) | instskip(NEXT) | instid1(VALU_DEP_4)
	v_fmac_f32_e32 v22, v6, v9
	v_fma_f32 v113, v5, v9, -v10
	s_delay_alu instid0(VALU_DEP_4) | instskip(NEXT) | instid1(VALU_DEP_4)
	v_fmac_f32_e32 v112, v8, v11
	v_fma_f32 v114, v7, v11, -v12
	s_clause 0x1
	scratch_load_b128 v[5:8], off, off offset:264
	scratch_load_b128 v[9:12], off, off offset:280
	v_dual_add_f32 v17, v17, v128 :: v_dual_add_f32 v24, v24, v135
	s_wait_loadcnt_dscnt 0x200
	s_delay_alu instid0(VALU_DEP_1) | instskip(NEXT) | instid1(VALU_DEP_1)
	v_dual_add_f32 v17, v17, v130 :: v_dual_mul_f32 v118, v15, v4
	v_add_f32_e32 v25, v17, v132
	scratch_load_b128 v[17:20], off, off offset:296
	v_mul_f32_e32 v115, v13, v2
	v_mul_f32_e32 v2, v14, v2
	v_dual_fmac_f32 v118, v16, v3 :: v_dual_add_f32 v25, v25, v134
	v_mul_f32_e32 v4, v16, v4
	s_delay_alu instid0(VALU_DEP_3) | instskip(SKIP_1) | instid1(VALU_DEP_4)
	v_fma_f32 v119, v13, v1, -v2
	v_add_f32_e32 v13, v24, v137
	v_add_f32_e32 v25, v25, v136
	s_delay_alu instid0(VALU_DEP_4) | instskip(NEXT) | instid1(VALU_DEP_3)
	v_fma_f32 v120, v15, v3, -v4
	v_add_f32_e32 v24, v13, v139
	s_delay_alu instid0(VALU_DEP_1) | instskip(NEXT) | instid1(VALU_DEP_1)
	v_add_f32_e32 v111, v24, v141
	v_add_f32_e32 v122, v111, v143
	s_delay_alu instid0(VALU_DEP_1) | instskip(NEXT) | instid1(VALU_DEP_1)
	v_add_f32_e32 v22, v122, v22
	v_dual_add_f32 v25, v25, v138 :: v_dual_add_f32 v22, v22, v112
	s_delay_alu instid0(VALU_DEP_1)
	v_dual_fmac_f32 v115, v14, v1 :: v_dual_add_f32 v14, v25, v140
	ds_load_2addr_b64 v[1:4], v21 offset0:73 offset1:74
	ds_load_2addr_b64 v[24:27], v21 offset0:77 offset1:78
	v_add_f32_e32 v22, v22, v115
	v_add_f32_e32 v110, v14, v142
	ds_load_2addr_b64 v[13:16], v21 offset0:75 offset1:76
	v_add_f32_e32 v22, v22, v118
	v_add_f32_e32 v121, v110, v144
	ds_load_b64 v[110:111], v21 offset:632
	s_wait_loadcnt_dscnt 0x203
	v_dual_add_f32 v113, v121, v113 :: v_dual_mul_f32 v112, v3, v8
	s_delay_alu instid0(VALU_DEP_1)
	v_add_f32_e32 v113, v113, v114
	v_dual_mul_f32 v121, v1, v6 :: v_dual_mul_f32 v8, v4, v8
	v_mul_f32_e32 v6, v2, v6
	s_wait_loadcnt_dscnt 0x101
	v_dual_mul_f32 v114, v13, v10 :: v_dual_mul_f32 v115, v15, v12
	v_add_f32_e32 v113, v113, v119
	v_dual_fmac_f32 v121, v2, v5 :: v_dual_fmac_f32 v112, v4, v7
	v_fma_f32 v1, v1, v5, -v6
	v_fma_f32 v2, v3, v7, -v8
	s_delay_alu instid0(VALU_DEP_3) | instskip(SKIP_2) | instid1(VALU_DEP_3)
	v_dual_add_f32 v113, v113, v120 :: v_dual_add_f32 v4, v22, v121
	v_dual_mul_f32 v5, v16, v12 :: v_dual_fmac_f32 v114, v14, v9
	v_mul_f32_e32 v3, v14, v10
	v_add_f32_e32 v1, v113, v1
	s_wait_dscnt 0x0
	v_dual_fmac_f32 v115, v16, v11 :: v_dual_mul_f32 v118, v110, v109
	v_fma_f32 v5, v15, v11, -v5
	s_delay_alu instid0(VALU_DEP_3) | instskip(SKIP_1) | instid1(VALU_DEP_4)
	v_dual_add_f32 v1, v1, v2 :: v_dual_add_f32 v2, v4, v112
	v_fma_f32 v3, v13, v9, -v3
	v_fmac_f32_e32 v118, v111, v108
	s_delay_alu instid0(VALU_DEP_2) | instskip(SKIP_1) | instid1(VALU_DEP_1)
	v_dual_add_f32 v2, v2, v114 :: v_dual_add_f32 v1, v1, v3
	s_wait_loadcnt 0x0
	v_dual_add_f32 v2, v2, v115 :: v_dual_mul_f32 v3, v27, v20
	v_mul_f32_e32 v119, v24, v18
	v_mul_f32_e32 v4, v25, v18
	v_mul_f32_e32 v120, v26, v20
	s_delay_alu instid0(VALU_DEP_4) | instskip(NEXT) | instid1(VALU_DEP_4)
	v_fma_f32 v3, v26, v19, -v3
	v_fmac_f32_e32 v119, v25, v17
	s_delay_alu instid0(VALU_DEP_4) | instskip(NEXT) | instid1(VALU_DEP_4)
	v_fma_f32 v4, v24, v17, -v4
	v_dual_fmac_f32 v120, v27, v19 :: v_dual_add_f32 v1, v1, v5
	s_delay_alu instid0(VALU_DEP_3) | instskip(NEXT) | instid1(VALU_DEP_1)
	v_dual_add_f32 v2, v2, v119 :: v_dual_mul_f32 v5, v111, v109
	v_add_f32_e32 v2, v2, v120
	s_delay_alu instid0(VALU_DEP_3) | instskip(NEXT) | instid1(VALU_DEP_3)
	v_add_f32_e32 v1, v1, v4
	v_fma_f32 v4, v110, v108, -v5
	s_delay_alu instid0(VALU_DEP_2) | instskip(NEXT) | instid1(VALU_DEP_1)
	v_dual_add_f32 v2, v2, v118 :: v_dual_add_f32 v1, v1, v3
	v_sub_f32_e32 v2, v117, v2
	s_delay_alu instid0(VALU_DEP_2) | instskip(NEXT) | instid1(VALU_DEP_1)
	v_add_f32_e32 v1, v1, v4
	v_sub_f32_e32 v1, v116, v1
	scratch_store_b64 off, v[1:2], off offset:32
	v_cmpx_lt_u32_e32 3, v0
	s_cbranch_execz .LBB103_247
; %bb.246:
	scratch_load_b64 v[1:2], off, off offset:24
	v_mov_b32_e32 v22, v21
	scratch_store_b64 off, v[21:22], off offset:24
	s_wait_loadcnt 0x0
	ds_store_b64 v23, v[1:2]
.LBB103_247:
	s_wait_alu 0xfffe
	s_or_b32 exec_lo, exec_lo, s0
	s_wait_storecnt_dscnt 0x0
	s_barrier_signal -1
	s_barrier_wait -1
	global_inv scope:SCOPE_SE
	s_clause 0x4
	scratch_load_b128 v[5:8], off, off offset:32
	scratch_load_b128 v[1:4], off, off offset:48
	;; [unrolled: 1-line block ×5, first 2 shown]
	ds_load_b128 v[24:27], v21 offset:352
	ds_load_b128 v[108:111], v21 offset:368
	;; [unrolled: 1-line block ×3, first 2 shown]
	scratch_load_b64 v[116:117], off, off offset:24
	s_mov_b32 s0, exec_lo
	s_wait_loadcnt_dscnt 0x502
	v_dual_mul_f32 v22, v25, v6 :: v_dual_mul_f32 v119, v26, v8
	v_mul_f32_e32 v118, v24, v6
	v_mul_f32_e32 v6, v27, v8
	s_wait_loadcnt_dscnt 0x300
	v_mul_f32_e32 v120, v114, v12
	v_fma_f32 v22, v24, v5, -v22
	v_dual_fmac_f32 v119, v27, v7 :: v_dual_fmac_f32 v118, v25, v5
	v_mul_f32_e32 v27, v112, v10
	v_mul_f32_e32 v25, v108, v2
	v_fma_f32 v24, v26, v7, -v6
	ds_load_b128 v[5:8], v21 offset:400
	v_mul_f32_e32 v26, v110, v4
	v_dual_mul_f32 v4, v111, v4 :: v_dual_fmac_f32 v27, v113, v9
	v_mul_f32_e32 v10, v113, v10
	v_mul_f32_e32 v12, v115, v12
	;; [unrolled: 1-line block ×3, first 2 shown]
	v_dual_fmac_f32 v25, v109, v1 :: v_dual_fmac_f32 v26, v111, v3
	v_fma_f32 v109, v110, v3, -v4
	v_fma_f32 v110, v112, v9, -v10
	v_fmac_f32_e32 v120, v115, v11
	v_fma_f32 v111, v114, v11, -v12
	ds_load_b128 v[9:12], v21 offset:416
	s_wait_loadcnt_dscnt 0x201
	v_mul_f32_e32 v113, v7, v16
	v_fma_f32 v108, v108, v1, -v2
	scratch_load_b128 v[1:4], off, off offset:112
	v_mul_f32_e32 v112, v5, v14
	v_mul_f32_e32 v14, v6, v14
	;; [unrolled: 1-line block ×3, first 2 shown]
	s_delay_alu instid0(VALU_DEP_3) | instskip(NEXT) | instid1(VALU_DEP_3)
	v_dual_fmac_f32 v113, v8, v15 :: v_dual_fmac_f32 v112, v6, v13
	v_fma_f32 v13, v5, v13, -v14
	s_delay_alu instid0(VALU_DEP_3)
	v_fma_f32 v14, v7, v15, -v16
	ds_load_b128 v[5:8], v21 offset:432
	s_wait_loadcnt_dscnt 0x201
	v_mul_f32_e32 v15, v9, v18
	v_mul_f32_e32 v16, v10, v18
	;; [unrolled: 1-line block ×3, first 2 shown]
	s_delay_alu instid0(VALU_DEP_3) | instskip(NEXT) | instid1(VALU_DEP_3)
	v_dual_mul_f32 v20, v12, v20 :: v_dual_fmac_f32 v15, v10, v17
	v_fma_f32 v16, v9, v17, -v16
	s_delay_alu instid0(VALU_DEP_3) | instskip(NEXT) | instid1(VALU_DEP_3)
	v_fmac_f32_e32 v18, v12, v19
	v_fma_f32 v17, v11, v19, -v20
	scratch_load_b128 v[9:12], off, off offset:128
	s_wait_loadcnt_dscnt 0x100
	v_mul_f32_e32 v19, v5, v2
	v_mul_f32_e32 v2, v6, v2
	v_mul_f32_e32 v20, v7, v4
	s_delay_alu instid0(VALU_DEP_3) | instskip(NEXT) | instid1(VALU_DEP_3)
	v_dual_mul_f32 v4, v8, v4 :: v_dual_fmac_f32 v19, v6, v1
	v_fma_f32 v114, v5, v1, -v2
	s_delay_alu instid0(VALU_DEP_3) | instskip(NEXT) | instid1(VALU_DEP_3)
	v_fmac_f32_e32 v20, v8, v3
	v_fma_f32 v115, v7, v3, -v4
	ds_load_b128 v[1:4], v21 offset:448
	ds_load_b128 v[5:8], v21 offset:464
	s_wait_loadcnt_dscnt 0x1
	v_mul_f32_e32 v121, v1, v10
	v_mul_f32_e32 v10, v2, v10
	s_delay_alu instid0(VALU_DEP_2) | instskip(NEXT) | instid1(VALU_DEP_2)
	v_dual_mul_f32 v122, v3, v12 :: v_dual_fmac_f32 v121, v2, v9
	v_fma_f32 v123, v1, v9, -v10
	v_mul_f32_e32 v1, v4, v12
	s_delay_alu instid0(VALU_DEP_3) | instskip(NEXT) | instid1(VALU_DEP_2)
	v_fmac_f32_e32 v122, v4, v11
	v_fma_f32 v124, v3, v11, -v1
	s_clause 0x1
	scratch_load_b128 v[1:4], off, off offset:144
	scratch_load_b128 v[9:12], off, off offset:160
	s_wait_loadcnt_dscnt 0x100
	v_mul_f32_e32 v125, v5, v2
	v_dual_mul_f32 v2, v6, v2 :: v_dual_mul_f32 v127, v7, v4
	s_delay_alu instid0(VALU_DEP_2) | instskip(NEXT) | instid1(VALU_DEP_2)
	v_fmac_f32_e32 v125, v6, v1
	v_fma_f32 v126, v5, v1, -v2
	v_mul_f32_e32 v1, v8, v4
	s_delay_alu instid0(VALU_DEP_4) | instskip(NEXT) | instid1(VALU_DEP_2)
	v_fmac_f32_e32 v127, v8, v3
	v_fma_f32 v128, v7, v3, -v1
	ds_load_b128 v[1:4], v21 offset:480
	ds_load_b128 v[5:8], v21 offset:496
	s_wait_loadcnt_dscnt 0x1
	v_mul_f32_e32 v129, v1, v10
	v_mul_f32_e32 v131, v3, v12
	s_delay_alu instid0(VALU_DEP_2) | instskip(NEXT) | instid1(VALU_DEP_2)
	v_fmac_f32_e32 v129, v2, v9
	v_dual_mul_f32 v2, v2, v10 :: v_dual_fmac_f32 v131, v4, v11
	s_delay_alu instid0(VALU_DEP_1) | instskip(SKIP_1) | instid1(VALU_DEP_1)
	v_fma_f32 v130, v1, v9, -v2
	v_mul_f32_e32 v1, v4, v12
	v_fma_f32 v132, v3, v11, -v1
	s_clause 0x1
	scratch_load_b128 v[1:4], off, off offset:176
	scratch_load_b128 v[9:12], off, off offset:192
	s_wait_loadcnt_dscnt 0x100
	v_mul_f32_e32 v133, v5, v2
	v_dual_mul_f32 v2, v6, v2 :: v_dual_mul_f32 v135, v7, v4
	s_delay_alu instid0(VALU_DEP_2) | instskip(NEXT) | instid1(VALU_DEP_2)
	v_fmac_f32_e32 v133, v6, v1
	v_fma_f32 v134, v5, v1, -v2
	v_mul_f32_e32 v1, v8, v4
	s_delay_alu instid0(VALU_DEP_4) | instskip(NEXT) | instid1(VALU_DEP_2)
	v_fmac_f32_e32 v135, v8, v3
	v_fma_f32 v136, v7, v3, -v1
	ds_load_b128 v[1:4], v21 offset:512
	ds_load_b128 v[5:8], v21 offset:528
	s_wait_loadcnt_dscnt 0x1
	v_mul_f32_e32 v137, v1, v10
	v_mul_f32_e32 v139, v3, v12
	s_delay_alu instid0(VALU_DEP_2) | instskip(NEXT) | instid1(VALU_DEP_2)
	v_fmac_f32_e32 v137, v2, v9
	v_dual_mul_f32 v2, v2, v10 :: v_dual_fmac_f32 v139, v4, v11
	s_delay_alu instid0(VALU_DEP_1) | instskip(SKIP_1) | instid1(VALU_DEP_1)
	v_fma_f32 v138, v1, v9, -v2
	v_mul_f32_e32 v1, v4, v12
	;; [unrolled: 25-line block ×3, first 2 shown]
	v_fma_f32 v148, v3, v11, -v1
	s_clause 0x1
	scratch_load_b128 v[1:4], off, off offset:240
	scratch_load_b128 v[9:12], off, off offset:256
	s_wait_loadcnt_dscnt 0x100
	v_mul_f32_e32 v149, v5, v2
	v_mul_f32_e32 v2, v6, v2
	s_delay_alu instid0(VALU_DEP_1) | instskip(SKIP_1) | instid1(VALU_DEP_1)
	v_fma_f32 v150, v5, v1, -v2
	v_add_f32_e32 v2, 0, v118
	v_add_f32_e32 v2, v2, v119
	s_delay_alu instid0(VALU_DEP_1) | instskip(NEXT) | instid1(VALU_DEP_1)
	v_add_f32_e32 v2, v2, v25
	v_add_f32_e32 v2, v2, v26
	s_delay_alu instid0(VALU_DEP_1) | instskip(NEXT) | instid1(VALU_DEP_1)
	;; [unrolled: 3-line block ×4, first 2 shown]
	v_dual_add_f32 v2, v2, v15 :: v_dual_mul_f32 v151, v7, v4
	v_add_f32_e32 v2, v2, v18
	s_delay_alu instid0(VALU_DEP_1) | instskip(SKIP_2) | instid1(VALU_DEP_3)
	v_add_f32_e32 v2, v2, v19
	v_fmac_f32_e32 v149, v6, v1
	v_mul_f32_e32 v1, v8, v4
	v_dual_fmac_f32 v151, v8, v3 :: v_dual_add_f32 v2, v2, v20
	s_delay_alu instid0(VALU_DEP_2) | instskip(SKIP_1) | instid1(VALU_DEP_3)
	v_fma_f32 v152, v7, v3, -v1
	v_add_f32_e32 v1, 0, v22
	v_add_f32_e32 v5, v2, v121
	s_delay_alu instid0(VALU_DEP_2) | instskip(NEXT) | instid1(VALU_DEP_2)
	v_add_f32_e32 v1, v1, v24
	v_add_f32_e32 v5, v5, v122
	s_delay_alu instid0(VALU_DEP_2) | instskip(NEXT) | instid1(VALU_DEP_2)
	v_add_f32_e32 v1, v1, v108
	v_add_f32_e32 v5, v5, v125
	s_delay_alu instid0(VALU_DEP_2) | instskip(NEXT) | instid1(VALU_DEP_1)
	v_add_f32_e32 v1, v1, v109
	v_add_f32_e32 v1, v1, v110
	s_delay_alu instid0(VALU_DEP_1) | instskip(NEXT) | instid1(VALU_DEP_1)
	v_add_f32_e32 v1, v1, v111
	v_add_f32_e32 v1, v1, v13
	s_delay_alu instid0(VALU_DEP_1) | instskip(SKIP_1) | instid1(VALU_DEP_1)
	v_add_f32_e32 v1, v1, v14
	v_add_f32_e32 v14, v5, v127
	;; [unrolled: 1-line block ×3, first 2 shown]
	s_delay_alu instid0(VALU_DEP_1) | instskip(NEXT) | instid1(VALU_DEP_1)
	v_dual_add_f32 v14, v14, v131 :: v_dual_add_f32 v1, v1, v16
	v_add_f32_e32 v1, v1, v17
	s_delay_alu instid0(VALU_DEP_2) | instskip(NEXT) | instid1(VALU_DEP_2)
	v_add_f32_e32 v17, v14, v133
	v_add_f32_e32 v1, v1, v114
	s_delay_alu instid0(VALU_DEP_2) | instskip(NEXT) | instid1(VALU_DEP_2)
	v_add_f32_e32 v17, v17, v135
	;; [unrolled: 3-line block ×4, first 2 shown]
	v_add_f32_e32 v6, v1, v124
	ds_load_b128 v[1:4], v21 offset:576
	v_dual_add_f32 v25, v17, v141 :: v_dual_add_f32 v6, v6, v126
	s_delay_alu instid0(VALU_DEP_1)
	v_dual_add_f32 v112, v25, v143 :: v_dual_add_f32 v13, v6, v128
	ds_load_b128 v[5:8], v21 offset:592
	s_wait_loadcnt_dscnt 0x1
	v_mul_f32_e32 v22, v1, v10
	v_mul_f32_e32 v108, v3, v12
	;; [unrolled: 1-line block ×4, first 2 shown]
	s_delay_alu instid0(VALU_DEP_4) | instskip(NEXT) | instid1(VALU_DEP_4)
	v_fmac_f32_e32 v22, v2, v9
	v_fmac_f32_e32 v108, v4, v11
	s_delay_alu instid0(VALU_DEP_4) | instskip(NEXT) | instid1(VALU_DEP_4)
	v_fma_f32 v109, v1, v9, -v10
	v_fma_f32 v110, v3, v11, -v12
	s_clause 0x1
	scratch_load_b128 v[1:4], off, off offset:272
	scratch_load_b128 v[9:12], off, off offset:288
	v_add_f32_e32 v13, v13, v130
	s_delay_alu instid0(VALU_DEP_1) | instskip(NEXT) | instid1(VALU_DEP_1)
	v_add_f32_e32 v13, v13, v132
	v_add_f32_e32 v13, v13, v134
	s_delay_alu instid0(VALU_DEP_1) | instskip(SKIP_2) | instid1(VALU_DEP_1)
	v_add_f32_e32 v18, v13, v136
	scratch_load_b128 v[13:16], off, off offset:304
	v_add_f32_e32 v18, v18, v138
	v_add_f32_e32 v18, v18, v140
	s_delay_alu instid0(VALU_DEP_1)
	v_add_f32_e32 v24, v18, v142
	ds_load_b128 v[17:20], v21 offset:608
	v_add_f32_e32 v111, v24, v144
	ds_load_b128 v[24:27], v21 offset:624
	s_wait_loadcnt_dscnt 0x101
	v_dual_mul_f32 v113, v7, v4 :: v_dual_mul_f32 v114, v17, v10
	v_add_f32_e32 v21, v111, v146
	v_dual_add_f32 v111, v112, v145 :: v_dual_mul_f32 v112, v5, v2
	v_mul_f32_e32 v2, v6, v2
	v_mul_f32_e32 v4, v8, v4
	s_delay_alu instid0(VALU_DEP_4) | instskip(NEXT) | instid1(VALU_DEP_4)
	v_add_f32_e32 v21, v21, v148
	v_dual_fmac_f32 v113, v8, v3 :: v_dual_fmac_f32 v112, v6, v1
	s_delay_alu instid0(VALU_DEP_4) | instskip(SKIP_1) | instid1(VALU_DEP_4)
	v_fma_f32 v2, v5, v1, -v2
	v_mul_f32_e32 v6, v18, v10
	v_add_f32_e32 v21, v21, v150
	v_fma_f32 v3, v7, v3, -v4
	v_mul_f32_e32 v115, v19, v12
	v_mul_f32_e32 v4, v20, v12
	s_delay_alu instid0(VALU_DEP_4)
	v_dual_fmac_f32 v114, v18, v9 :: v_dual_add_f32 v21, v21, v152
	s_wait_loadcnt_dscnt 0x0
	v_dual_mul_f32 v118, v24, v14 :: v_dual_add_f32 v111, v111, v147
	v_fmac_f32_e32 v115, v20, v11
	v_fma_f32 v4, v19, v11, -v4
	v_add_f32_e32 v21, v21, v109
	s_delay_alu instid0(VALU_DEP_4) | instskip(SKIP_2) | instid1(VALU_DEP_4)
	v_fmac_f32_e32 v118, v25, v13
	v_add_f32_e32 v111, v111, v149
	v_mul_f32_e32 v109, v26, v16
	v_add_f32_e32 v1, v21, v110
	s_delay_alu instid0(VALU_DEP_3) | instskip(NEXT) | instid1(VALU_DEP_3)
	v_add_f32_e32 v111, v111, v151
	v_fmac_f32_e32 v109, v27, v15
	s_delay_alu instid0(VALU_DEP_3) | instskip(NEXT) | instid1(VALU_DEP_1)
	v_add_f32_e32 v1, v1, v2
	v_dual_add_f32 v22, v111, v22 :: v_dual_add_f32 v1, v1, v3
	v_mul_f32_e32 v3, v25, v14
	s_delay_alu instid0(VALU_DEP_2) | instskip(NEXT) | instid1(VALU_DEP_2)
	v_add_f32_e32 v5, v22, v108
	v_fma_f32 v3, v24, v13, -v3
	s_delay_alu instid0(VALU_DEP_2) | instskip(SKIP_1) | instid1(VALU_DEP_2)
	v_add_f32_e32 v2, v5, v112
	v_fma_f32 v5, v17, v9, -v6
	v_add_f32_e32 v2, v2, v113
	s_delay_alu instid0(VALU_DEP_2) | instskip(NEXT) | instid1(VALU_DEP_2)
	v_add_f32_e32 v1, v1, v5
	v_dual_mul_f32 v5, v27, v16 :: v_dual_add_f32 v2, v2, v114
	s_delay_alu instid0(VALU_DEP_2) | instskip(NEXT) | instid1(VALU_DEP_2)
	v_add_f32_e32 v1, v1, v4
	v_fma_f32 v4, v26, v15, -v5
	s_delay_alu instid0(VALU_DEP_3) | instskip(NEXT) | instid1(VALU_DEP_1)
	v_add_f32_e32 v2, v2, v115
	v_dual_add_f32 v1, v1, v3 :: v_dual_add_f32 v2, v2, v118
	s_delay_alu instid0(VALU_DEP_1) | instskip(NEXT) | instid1(VALU_DEP_1)
	v_dual_add_f32 v1, v1, v4 :: v_dual_add_f32 v2, v2, v109
	v_dual_sub_f32 v1, v116, v1 :: v_dual_sub_f32 v2, v117, v2
	scratch_store_b64 off, v[1:2], off offset:24
	v_cmpx_lt_u32_e32 2, v0
	s_cbranch_execz .LBB103_249
; %bb.248:
	scratch_load_b64 v[1:2], off, off offset:16
	v_mov_b32_e32 v3, 0
	s_delay_alu instid0(VALU_DEP_1)
	v_mov_b32_e32 v4, v3
	scratch_store_b64 off, v[3:4], off offset:16
	s_wait_loadcnt 0x0
	ds_store_b64 v23, v[1:2]
.LBB103_249:
	s_wait_alu 0xfffe
	s_or_b32 exec_lo, exec_lo, s0
	s_wait_storecnt_dscnt 0x0
	s_barrier_signal -1
	s_barrier_wait -1
	global_inv scope:SCOPE_SE
	s_clause 0x4
	scratch_load_b128 v[5:8], off, off offset:24
	scratch_load_b128 v[1:4], off, off offset:40
	;; [unrolled: 1-line block ×5, first 2 shown]
	v_mov_b32_e32 v21, 0
	ds_load_2addr_b64 v[24:27], v21 offset0:43 offset1:44
	ds_load_2addr_b64 v[108:111], v21 offset0:45 offset1:46
	ds_load_2addr_b64 v[112:115], v21 offset0:47 offset1:48
	scratch_load_b64 v[116:117], off, off offset:16
	s_mov_b32 s0, exec_lo
	s_wait_loadcnt_dscnt 0x502
	v_mul_f32_e32 v22, v25, v6
	v_dual_mul_f32 v118, v24, v6 :: v_dual_mul_f32 v119, v26, v8
	v_mul_f32_e32 v6, v27, v8
	s_delay_alu instid0(VALU_DEP_3) | instskip(NEXT) | instid1(VALU_DEP_3)
	v_fma_f32 v22, v24, v5, -v22
	v_dual_fmac_f32 v118, v25, v5 :: v_dual_fmac_f32 v119, v27, v7
	s_wait_loadcnt_dscnt 0x401
	v_mul_f32_e32 v25, v108, v2
	v_fma_f32 v24, v26, v7, -v6
	ds_load_2addr_b64 v[5:8], v21 offset0:49 offset1:50
	s_wait_loadcnt_dscnt 0x301
	v_dual_mul_f32 v26, v110, v4 :: v_dual_mul_f32 v27, v112, v10
	v_dual_mul_f32 v4, v111, v4 :: v_dual_fmac_f32 v25, v109, v1
	v_mul_f32_e32 v10, v113, v10
	s_delay_alu instid0(VALU_DEP_3)
	v_dual_mul_f32 v120, v114, v12 :: v_dual_fmac_f32 v27, v113, v9
	v_mul_f32_e32 v12, v115, v12
	v_mul_f32_e32 v2, v109, v2
	v_fmac_f32_e32 v26, v111, v3
	v_fma_f32 v109, v110, v3, -v4
	v_fma_f32 v110, v112, v9, -v10
	v_fmac_f32_e32 v120, v115, v11
	v_fma_f32 v111, v114, v11, -v12
	ds_load_2addr_b64 v[9:12], v21 offset0:51 offset1:52
	s_wait_loadcnt_dscnt 0x201
	v_mul_f32_e32 v113, v7, v16
	v_fma_f32 v108, v108, v1, -v2
	scratch_load_b128 v[1:4], off, off offset:104
	v_mul_f32_e32 v112, v5, v14
	v_mul_f32_e32 v14, v6, v14
	;; [unrolled: 1-line block ×3, first 2 shown]
	s_delay_alu instid0(VALU_DEP_3) | instskip(NEXT) | instid1(VALU_DEP_3)
	v_dual_fmac_f32 v113, v8, v15 :: v_dual_fmac_f32 v112, v6, v13
	v_fma_f32 v13, v5, v13, -v14
	s_delay_alu instid0(VALU_DEP_3)
	v_fma_f32 v14, v7, v15, -v16
	ds_load_2addr_b64 v[5:8], v21 offset0:53 offset1:54
	s_wait_loadcnt_dscnt 0x201
	v_mul_f32_e32 v15, v9, v18
	v_mul_f32_e32 v16, v10, v18
	;; [unrolled: 1-line block ×3, first 2 shown]
	s_delay_alu instid0(VALU_DEP_3) | instskip(NEXT) | instid1(VALU_DEP_3)
	v_dual_mul_f32 v20, v12, v20 :: v_dual_fmac_f32 v15, v10, v17
	v_fma_f32 v16, v9, v17, -v16
	s_delay_alu instid0(VALU_DEP_3) | instskip(NEXT) | instid1(VALU_DEP_3)
	v_fmac_f32_e32 v18, v12, v19
	v_fma_f32 v17, v11, v19, -v20
	scratch_load_b128 v[9:12], off, off offset:120
	s_wait_loadcnt_dscnt 0x100
	v_mul_f32_e32 v19, v5, v2
	v_mul_f32_e32 v2, v6, v2
	;; [unrolled: 1-line block ×3, first 2 shown]
	s_delay_alu instid0(VALU_DEP_3) | instskip(NEXT) | instid1(VALU_DEP_3)
	v_dual_mul_f32 v4, v8, v4 :: v_dual_fmac_f32 v19, v6, v1
	v_fma_f32 v114, v5, v1, -v2
	s_delay_alu instid0(VALU_DEP_3) | instskip(NEXT) | instid1(VALU_DEP_3)
	v_fmac_f32_e32 v20, v8, v3
	v_fma_f32 v115, v7, v3, -v4
	ds_load_2addr_b64 v[1:4], v21 offset0:55 offset1:56
	ds_load_2addr_b64 v[5:8], v21 offset0:57 offset1:58
	s_wait_loadcnt_dscnt 0x1
	v_mul_f32_e32 v121, v1, v10
	v_mul_f32_e32 v10, v2, v10
	s_delay_alu instid0(VALU_DEP_2) | instskip(NEXT) | instid1(VALU_DEP_2)
	v_dual_mul_f32 v122, v3, v12 :: v_dual_fmac_f32 v121, v2, v9
	v_fma_f32 v123, v1, v9, -v10
	v_mul_f32_e32 v1, v4, v12
	s_delay_alu instid0(VALU_DEP_3) | instskip(NEXT) | instid1(VALU_DEP_2)
	v_fmac_f32_e32 v122, v4, v11
	v_fma_f32 v124, v3, v11, -v1
	s_clause 0x1
	scratch_load_b128 v[1:4], off, off offset:136
	scratch_load_b128 v[9:12], off, off offset:152
	s_wait_loadcnt_dscnt 0x100
	v_mul_f32_e32 v125, v5, v2
	v_dual_mul_f32 v2, v6, v2 :: v_dual_mul_f32 v127, v7, v4
	s_delay_alu instid0(VALU_DEP_2) | instskip(NEXT) | instid1(VALU_DEP_2)
	v_fmac_f32_e32 v125, v6, v1
	v_fma_f32 v126, v5, v1, -v2
	v_mul_f32_e32 v1, v8, v4
	s_delay_alu instid0(VALU_DEP_4) | instskip(NEXT) | instid1(VALU_DEP_2)
	v_fmac_f32_e32 v127, v8, v3
	v_fma_f32 v128, v7, v3, -v1
	ds_load_2addr_b64 v[1:4], v21 offset0:59 offset1:60
	ds_load_2addr_b64 v[5:8], v21 offset0:61 offset1:62
	s_wait_loadcnt_dscnt 0x1
	v_mul_f32_e32 v129, v1, v10
	v_mul_f32_e32 v131, v3, v12
	s_delay_alu instid0(VALU_DEP_2) | instskip(NEXT) | instid1(VALU_DEP_2)
	v_fmac_f32_e32 v129, v2, v9
	v_dual_mul_f32 v2, v2, v10 :: v_dual_fmac_f32 v131, v4, v11
	s_delay_alu instid0(VALU_DEP_1) | instskip(SKIP_1) | instid1(VALU_DEP_1)
	v_fma_f32 v130, v1, v9, -v2
	v_mul_f32_e32 v1, v4, v12
	v_fma_f32 v132, v3, v11, -v1
	s_clause 0x1
	scratch_load_b128 v[1:4], off, off offset:168
	scratch_load_b128 v[9:12], off, off offset:184
	s_wait_loadcnt_dscnt 0x100
	v_mul_f32_e32 v133, v5, v2
	v_dual_mul_f32 v135, v7, v4 :: v_dual_mul_f32 v2, v6, v2
	s_delay_alu instid0(VALU_DEP_2) | instskip(NEXT) | instid1(VALU_DEP_2)
	v_fmac_f32_e32 v133, v6, v1
	v_fmac_f32_e32 v135, v8, v3
	s_delay_alu instid0(VALU_DEP_3) | instskip(SKIP_1) | instid1(VALU_DEP_1)
	v_fma_f32 v134, v5, v1, -v2
	v_mul_f32_e32 v1, v8, v4
	v_fma_f32 v136, v7, v3, -v1
	ds_load_2addr_b64 v[1:4], v21 offset0:63 offset1:64
	ds_load_2addr_b64 v[5:8], v21 offset0:65 offset1:66
	s_wait_loadcnt_dscnt 0x1
	v_mul_f32_e32 v137, v1, v10
	v_mul_f32_e32 v139, v3, v12
	s_delay_alu instid0(VALU_DEP_2) | instskip(NEXT) | instid1(VALU_DEP_2)
	v_fmac_f32_e32 v137, v2, v9
	v_dual_mul_f32 v2, v2, v10 :: v_dual_fmac_f32 v139, v4, v11
	s_delay_alu instid0(VALU_DEP_1) | instskip(SKIP_1) | instid1(VALU_DEP_1)
	v_fma_f32 v138, v1, v9, -v2
	v_mul_f32_e32 v1, v4, v12
	v_fma_f32 v140, v3, v11, -v1
	s_clause 0x1
	scratch_load_b128 v[1:4], off, off offset:200
	scratch_load_b128 v[9:12], off, off offset:216
	s_wait_loadcnt_dscnt 0x100
	v_mul_f32_e32 v141, v5, v2
	v_dual_mul_f32 v2, v6, v2 :: v_dual_mul_f32 v143, v7, v4
	s_delay_alu instid0(VALU_DEP_2) | instskip(NEXT) | instid1(VALU_DEP_2)
	v_fmac_f32_e32 v141, v6, v1
	v_fma_f32 v142, v5, v1, -v2
	v_mul_f32_e32 v1, v8, v4
	s_delay_alu instid0(VALU_DEP_4) | instskip(NEXT) | instid1(VALU_DEP_2)
	v_fmac_f32_e32 v143, v8, v3
	v_fma_f32 v144, v7, v3, -v1
	ds_load_2addr_b64 v[1:4], v21 offset0:67 offset1:68
	ds_load_2addr_b64 v[5:8], v21 offset0:69 offset1:70
	s_wait_loadcnt_dscnt 0x1
	v_mul_f32_e32 v145, v1, v10
	v_mul_f32_e32 v147, v3, v12
	s_delay_alu instid0(VALU_DEP_2) | instskip(NEXT) | instid1(VALU_DEP_2)
	v_fmac_f32_e32 v145, v2, v9
	v_dual_mul_f32 v2, v2, v10 :: v_dual_fmac_f32 v147, v4, v11
	s_delay_alu instid0(VALU_DEP_1) | instskip(SKIP_1) | instid1(VALU_DEP_1)
	v_fma_f32 v146, v1, v9, -v2
	v_mul_f32_e32 v1, v4, v12
	v_fma_f32 v148, v3, v11, -v1
	s_clause 0x1
	scratch_load_b128 v[1:4], off, off offset:232
	scratch_load_b128 v[9:12], off, off offset:248
	s_wait_loadcnt_dscnt 0x100
	v_mul_f32_e32 v149, v5, v2
	v_mul_f32_e32 v2, v6, v2
	s_delay_alu instid0(VALU_DEP_1) | instskip(SKIP_1) | instid1(VALU_DEP_1)
	v_fma_f32 v150, v5, v1, -v2
	v_add_f32_e32 v2, 0, v118
	v_add_f32_e32 v2, v2, v119
	s_delay_alu instid0(VALU_DEP_1) | instskip(NEXT) | instid1(VALU_DEP_1)
	v_add_f32_e32 v2, v2, v25
	v_add_f32_e32 v2, v2, v26
	s_delay_alu instid0(VALU_DEP_1) | instskip(NEXT) | instid1(VALU_DEP_1)
	;; [unrolled: 3-line block ×4, first 2 shown]
	v_add_f32_e32 v2, v2, v15
	v_add_f32_e32 v2, v2, v18
	s_delay_alu instid0(VALU_DEP_1) | instskip(SKIP_2) | instid1(VALU_DEP_3)
	v_add_f32_e32 v2, v2, v19
	v_fmac_f32_e32 v149, v6, v1
	v_mul_f32_e32 v1, v8, v4
	v_add_f32_e32 v2, v2, v20
	s_delay_alu instid0(VALU_DEP_2) | instskip(SKIP_1) | instid1(VALU_DEP_1)
	v_fma_f32 v152, v7, v3, -v1
	v_add_f32_e32 v1, 0, v22
	v_add_f32_e32 v1, v1, v24
	s_delay_alu instid0(VALU_DEP_1) | instskip(NEXT) | instid1(VALU_DEP_1)
	v_add_f32_e32 v1, v1, v108
	v_add_f32_e32 v1, v1, v109
	scratch_load_b64 v[108:109], off, off offset:312
	v_add_f32_e32 v1, v1, v110
	s_delay_alu instid0(VALU_DEP_1) | instskip(NEXT) | instid1(VALU_DEP_1)
	v_add_f32_e32 v1, v1, v111
	v_add_f32_e32 v1, v1, v13
	s_delay_alu instid0(VALU_DEP_1) | instskip(NEXT) | instid1(VALU_DEP_1)
	v_add_f32_e32 v1, v1, v14
	;; [unrolled: 3-line block ×5, first 2 shown]
	v_dual_mul_f32 v151, v7, v4 :: v_dual_add_f32 v6, v6, v126
	s_delay_alu instid0(VALU_DEP_1) | instskip(NEXT) | instid1(VALU_DEP_2)
	v_fmac_f32_e32 v151, v8, v3
	v_add_f32_e32 v13, v6, v128
	s_delay_alu instid0(VALU_DEP_1) | instskip(NEXT) | instid1(VALU_DEP_1)
	v_add_f32_e32 v13, v13, v130
	v_add_f32_e32 v13, v13, v132
	s_delay_alu instid0(VALU_DEP_1) | instskip(SKIP_4) | instid1(VALU_DEP_1)
	v_add_f32_e32 v13, v13, v134
	v_add_f32_e32 v5, v2, v121
	ds_load_2addr_b64 v[1:4], v21 offset0:71 offset1:72
	v_add_f32_e32 v18, v13, v136
	v_add_f32_e32 v5, v5, v122
	v_dual_add_f32 v18, v18, v138 :: v_dual_add_f32 v5, v5, v125
	s_delay_alu instid0(VALU_DEP_1) | instskip(NEXT) | instid1(VALU_DEP_2)
	v_add_f32_e32 v18, v18, v140
	v_add_f32_e32 v14, v5, v127
	ds_load_2addr_b64 v[5:8], v21 offset0:73 offset1:74
	v_add_f32_e32 v18, v18, v142
	v_add_f32_e32 v14, v14, v129
	s_wait_loadcnt_dscnt 0x101
	v_mul_f32_e32 v22, v1, v10
	v_mul_f32_e32 v10, v2, v10
	;; [unrolled: 1-line block ×4, first 2 shown]
	v_add_f32_e32 v14, v14, v131
	v_fmac_f32_e32 v22, v2, v9
	v_fma_f32 v113, v1, v9, -v10
	v_fmac_f32_e32 v112, v4, v11
	v_fma_f32 v114, v3, v11, -v12
	s_clause 0x1
	scratch_load_b128 v[1:4], off, off offset:264
	scratch_load_b128 v[9:12], off, off offset:280
	v_add_f32_e32 v17, v14, v133
	scratch_load_b128 v[13:16], off, off offset:296
	v_dual_add_f32 v18, v18, v144 :: v_dual_add_f32 v17, v17, v135
	s_delay_alu instid0(VALU_DEP_1) | instskip(NEXT) | instid1(VALU_DEP_1)
	v_dual_add_f32 v110, v18, v146 :: v_dual_add_f32 v17, v17, v137
	v_add_f32_e32 v115, v110, v148
	s_wait_loadcnt_dscnt 0x200
	s_delay_alu instid0(VALU_DEP_2) | instskip(NEXT) | instid1(VALU_DEP_1)
	v_dual_add_f32 v17, v17, v139 :: v_dual_mul_f32 v120, v7, v4
	v_dual_add_f32 v17, v17, v141 :: v_dual_mul_f32 v4, v8, v4
	s_delay_alu instid0(VALU_DEP_2) | instskip(NEXT) | instid1(VALU_DEP_2)
	v_dual_fmac_f32 v120, v8, v3 :: v_dual_mul_f32 v119, v5, v2
	v_add_f32_e32 v24, v17, v143
	ds_load_2addr_b64 v[17:20], v21 offset0:75 offset1:76
	v_mul_f32_e32 v2, v6, v2
	v_fmac_f32_e32 v119, v6, v1
	v_add_f32_e32 v115, v115, v150
	s_delay_alu instid0(VALU_DEP_3) | instskip(SKIP_1) | instid1(VALU_DEP_3)
	v_fma_f32 v2, v5, v1, -v2
	v_fma_f32 v1, v7, v3, -v4
	v_add_f32_e32 v115, v115, v152
	s_delay_alu instid0(VALU_DEP_1) | instskip(NEXT) | instid1(VALU_DEP_1)
	v_add_f32_e32 v113, v115, v113
	v_add_f32_e32 v113, v113, v114
	;; [unrolled: 1-line block ×3, first 2 shown]
	ds_load_2addr_b64 v[24:27], v21 offset0:77 offset1:78
	s_wait_loadcnt_dscnt 0x101
	v_mul_f32_e32 v3, v18, v10
	v_add_f32_e32 v2, v113, v2
	v_add_f32_e32 v118, v111, v147
	ds_load_b64 v[110:111], v21 offset:632
	v_fma_f32 v3, v17, v9, -v3
	v_add_f32_e32 v1, v2, v1
	v_add_f32_e32 v118, v118, v149
	s_delay_alu instid0(VALU_DEP_1) | instskip(NEXT) | instid1(VALU_DEP_1)
	v_add_f32_e32 v118, v118, v151
	v_add_f32_e32 v22, v118, v22
	s_wait_loadcnt_dscnt 0x1
	v_dual_mul_f32 v114, v26, v16 :: v_dual_mul_f32 v115, v17, v10
	v_mul_f32_e32 v118, v19, v12
	s_delay_alu instid0(VALU_DEP_3) | instskip(NEXT) | instid1(VALU_DEP_3)
	v_add_f32_e32 v22, v22, v112
	v_dual_fmac_f32 v114, v27, v15 :: v_dual_fmac_f32 v115, v18, v9
	s_wait_dscnt 0x0
	v_dual_mul_f32 v112, v110, v109 :: v_dual_mul_f32 v121, v24, v14
	s_delay_alu instid0(VALU_DEP_3) | instskip(SKIP_1) | instid1(VALU_DEP_3)
	v_add_f32_e32 v4, v22, v119
	v_fmac_f32_e32 v118, v20, v11
	v_dual_fmac_f32 v112, v111, v108 :: v_dual_fmac_f32 v121, v25, v13
	s_delay_alu instid0(VALU_DEP_3) | instskip(SKIP_1) | instid1(VALU_DEP_2)
	v_add_f32_e32 v2, v4, v120
	v_mul_f32_e32 v4, v25, v14
	v_dual_add_f32 v2, v2, v115 :: v_dual_mul_f32 v5, v20, v12
	s_delay_alu instid0(VALU_DEP_2) | instskip(NEXT) | instid1(VALU_DEP_2)
	v_fma_f32 v4, v24, v13, -v4
	v_add_f32_e32 v2, v2, v118
	s_delay_alu instid0(VALU_DEP_3) | instskip(NEXT) | instid1(VALU_DEP_2)
	v_fma_f32 v5, v19, v11, -v5
	v_dual_add_f32 v2, v2, v121 :: v_dual_add_f32 v1, v1, v3
	s_delay_alu instid0(VALU_DEP_1) | instskip(NEXT) | instid1(VALU_DEP_2)
	v_dual_mul_f32 v3, v27, v16 :: v_dual_add_f32 v2, v2, v114
	v_add_f32_e32 v1, v1, v5
	v_mul_f32_e32 v5, v111, v109
	s_delay_alu instid0(VALU_DEP_3) | instskip(NEXT) | instid1(VALU_DEP_4)
	v_fma_f32 v3, v26, v15, -v3
	v_add_f32_e32 v2, v2, v112
	s_delay_alu instid0(VALU_DEP_4) | instskip(NEXT) | instid1(VALU_DEP_4)
	v_add_f32_e32 v1, v1, v4
	v_fma_f32 v4, v110, v108, -v5
	s_delay_alu instid0(VALU_DEP_3) | instskip(NEXT) | instid1(VALU_DEP_3)
	v_sub_f32_e32 v2, v117, v2
	v_add_f32_e32 v1, v1, v3
	s_delay_alu instid0(VALU_DEP_1) | instskip(NEXT) | instid1(VALU_DEP_1)
	v_add_f32_e32 v1, v1, v4
	v_sub_f32_e32 v1, v116, v1
	scratch_store_b64 off, v[1:2], off offset:16
	v_cmpx_lt_u32_e32 1, v0
	s_cbranch_execz .LBB103_251
; %bb.250:
	scratch_load_b64 v[1:2], off, off offset:8
	v_mov_b32_e32 v22, v21
	scratch_store_b64 off, v[21:22], off offset:8
	s_wait_loadcnt 0x0
	ds_store_b64 v23, v[1:2]
.LBB103_251:
	s_wait_alu 0xfffe
	s_or_b32 exec_lo, exec_lo, s0
	s_wait_storecnt_dscnt 0x0
	s_barrier_signal -1
	s_barrier_wait -1
	global_inv scope:SCOPE_SE
	s_clause 0x4
	scratch_load_b128 v[5:8], off, off offset:16
	scratch_load_b128 v[1:4], off, off offset:32
	scratch_load_b128 v[9:12], off, off offset:48
	scratch_load_b128 v[13:16], off, off offset:64
	scratch_load_b128 v[17:20], off, off offset:80
	ds_load_b128 v[24:27], v21 offset:336
	ds_load_b128 v[108:111], v21 offset:352
	;; [unrolled: 1-line block ×3, first 2 shown]
	scratch_load_b64 v[116:117], off, off offset:8
	s_mov_b32 s0, exec_lo
	s_wait_loadcnt_dscnt 0x502
	v_dual_mul_f32 v22, v25, v6 :: v_dual_mul_f32 v119, v26, v8
	v_mul_f32_e32 v118, v24, v6
	v_mul_f32_e32 v6, v27, v8
	s_wait_loadcnt_dscnt 0x300
	v_mul_f32_e32 v120, v114, v12
	v_fma_f32 v22, v24, v5, -v22
	v_dual_fmac_f32 v119, v27, v7 :: v_dual_fmac_f32 v118, v25, v5
	v_mul_f32_e32 v27, v112, v10
	v_mul_f32_e32 v25, v108, v2
	v_fma_f32 v24, v26, v7, -v6
	ds_load_b128 v[5:8], v21 offset:384
	v_mul_f32_e32 v26, v110, v4
	v_dual_mul_f32 v4, v111, v4 :: v_dual_fmac_f32 v27, v113, v9
	v_mul_f32_e32 v10, v113, v10
	v_mul_f32_e32 v12, v115, v12
	;; [unrolled: 1-line block ×3, first 2 shown]
	v_dual_fmac_f32 v25, v109, v1 :: v_dual_fmac_f32 v26, v111, v3
	v_fma_f32 v109, v110, v3, -v4
	v_fma_f32 v110, v112, v9, -v10
	v_fmac_f32_e32 v120, v115, v11
	v_fma_f32 v111, v114, v11, -v12
	ds_load_b128 v[9:12], v21 offset:400
	s_wait_loadcnt_dscnt 0x201
	v_mul_f32_e32 v113, v7, v16
	v_fma_f32 v108, v108, v1, -v2
	scratch_load_b128 v[1:4], off, off offset:96
	v_mul_f32_e32 v112, v5, v14
	v_mul_f32_e32 v14, v6, v14
	v_mul_f32_e32 v16, v8, v16
	s_delay_alu instid0(VALU_DEP_3) | instskip(NEXT) | instid1(VALU_DEP_3)
	v_dual_fmac_f32 v113, v8, v15 :: v_dual_fmac_f32 v112, v6, v13
	v_fma_f32 v13, v5, v13, -v14
	s_delay_alu instid0(VALU_DEP_3)
	v_fma_f32 v14, v7, v15, -v16
	ds_load_b128 v[5:8], v21 offset:416
	s_wait_loadcnt_dscnt 0x201
	v_mul_f32_e32 v15, v9, v18
	v_mul_f32_e32 v16, v10, v18
	;; [unrolled: 1-line block ×3, first 2 shown]
	s_delay_alu instid0(VALU_DEP_3) | instskip(NEXT) | instid1(VALU_DEP_3)
	v_dual_mul_f32 v20, v12, v20 :: v_dual_fmac_f32 v15, v10, v17
	v_fma_f32 v16, v9, v17, -v16
	s_delay_alu instid0(VALU_DEP_3) | instskip(NEXT) | instid1(VALU_DEP_3)
	v_fmac_f32_e32 v18, v12, v19
	v_fma_f32 v17, v11, v19, -v20
	scratch_load_b128 v[9:12], off, off offset:112
	s_wait_loadcnt_dscnt 0x100
	v_mul_f32_e32 v19, v5, v2
	v_mul_f32_e32 v2, v6, v2
	;; [unrolled: 1-line block ×3, first 2 shown]
	s_delay_alu instid0(VALU_DEP_3) | instskip(NEXT) | instid1(VALU_DEP_3)
	v_dual_mul_f32 v4, v8, v4 :: v_dual_fmac_f32 v19, v6, v1
	v_fma_f32 v114, v5, v1, -v2
	s_delay_alu instid0(VALU_DEP_3) | instskip(NEXT) | instid1(VALU_DEP_3)
	v_fmac_f32_e32 v20, v8, v3
	v_fma_f32 v115, v7, v3, -v4
	ds_load_b128 v[1:4], v21 offset:432
	ds_load_b128 v[5:8], v21 offset:448
	s_wait_loadcnt_dscnt 0x1
	v_mul_f32_e32 v121, v1, v10
	v_mul_f32_e32 v10, v2, v10
	s_delay_alu instid0(VALU_DEP_2) | instskip(NEXT) | instid1(VALU_DEP_2)
	v_dual_mul_f32 v122, v3, v12 :: v_dual_fmac_f32 v121, v2, v9
	v_fma_f32 v123, v1, v9, -v10
	v_mul_f32_e32 v1, v4, v12
	s_delay_alu instid0(VALU_DEP_3) | instskip(NEXT) | instid1(VALU_DEP_2)
	v_fmac_f32_e32 v122, v4, v11
	v_fma_f32 v124, v3, v11, -v1
	s_clause 0x1
	scratch_load_b128 v[1:4], off, off offset:128
	scratch_load_b128 v[9:12], off, off offset:144
	s_wait_loadcnt_dscnt 0x100
	v_mul_f32_e32 v125, v5, v2
	v_dual_mul_f32 v2, v6, v2 :: v_dual_mul_f32 v127, v7, v4
	s_delay_alu instid0(VALU_DEP_2) | instskip(NEXT) | instid1(VALU_DEP_2)
	v_fmac_f32_e32 v125, v6, v1
	v_fma_f32 v126, v5, v1, -v2
	v_mul_f32_e32 v1, v8, v4
	s_delay_alu instid0(VALU_DEP_4) | instskip(NEXT) | instid1(VALU_DEP_2)
	v_fmac_f32_e32 v127, v8, v3
	v_fma_f32 v128, v7, v3, -v1
	ds_load_b128 v[1:4], v21 offset:464
	ds_load_b128 v[5:8], v21 offset:480
	s_wait_loadcnt_dscnt 0x1
	v_mul_f32_e32 v129, v1, v10
	v_mul_f32_e32 v131, v3, v12
	s_delay_alu instid0(VALU_DEP_2) | instskip(NEXT) | instid1(VALU_DEP_2)
	v_fmac_f32_e32 v129, v2, v9
	v_dual_mul_f32 v2, v2, v10 :: v_dual_fmac_f32 v131, v4, v11
	s_delay_alu instid0(VALU_DEP_1) | instskip(SKIP_1) | instid1(VALU_DEP_1)
	v_fma_f32 v130, v1, v9, -v2
	v_mul_f32_e32 v1, v4, v12
	v_fma_f32 v132, v3, v11, -v1
	s_clause 0x1
	scratch_load_b128 v[1:4], off, off offset:160
	scratch_load_b128 v[9:12], off, off offset:176
	s_wait_loadcnt_dscnt 0x100
	v_mul_f32_e32 v133, v5, v2
	v_dual_mul_f32 v2, v6, v2 :: v_dual_mul_f32 v135, v7, v4
	s_delay_alu instid0(VALU_DEP_2) | instskip(NEXT) | instid1(VALU_DEP_2)
	v_fmac_f32_e32 v133, v6, v1
	v_fma_f32 v134, v5, v1, -v2
	v_mul_f32_e32 v1, v8, v4
	s_delay_alu instid0(VALU_DEP_4) | instskip(NEXT) | instid1(VALU_DEP_2)
	v_fmac_f32_e32 v135, v8, v3
	v_fma_f32 v136, v7, v3, -v1
	ds_load_b128 v[1:4], v21 offset:496
	ds_load_b128 v[5:8], v21 offset:512
	s_wait_loadcnt_dscnt 0x1
	v_mul_f32_e32 v137, v1, v10
	v_mul_f32_e32 v139, v3, v12
	s_delay_alu instid0(VALU_DEP_2) | instskip(NEXT) | instid1(VALU_DEP_2)
	v_fmac_f32_e32 v137, v2, v9
	v_dual_mul_f32 v2, v2, v10 :: v_dual_fmac_f32 v139, v4, v11
	s_delay_alu instid0(VALU_DEP_1) | instskip(SKIP_1) | instid1(VALU_DEP_1)
	v_fma_f32 v138, v1, v9, -v2
	v_mul_f32_e32 v1, v4, v12
	;; [unrolled: 25-line block ×3, first 2 shown]
	v_fma_f32 v148, v3, v11, -v1
	s_clause 0x1
	scratch_load_b128 v[1:4], off, off offset:224
	scratch_load_b128 v[9:12], off, off offset:240
	s_wait_loadcnt_dscnt 0x100
	v_mul_f32_e32 v149, v5, v2
	v_mul_f32_e32 v2, v6, v2
	s_delay_alu instid0(VALU_DEP_1) | instskip(SKIP_1) | instid1(VALU_DEP_1)
	v_fma_f32 v150, v5, v1, -v2
	v_add_f32_e32 v2, 0, v118
	v_add_f32_e32 v2, v2, v119
	s_delay_alu instid0(VALU_DEP_1) | instskip(NEXT) | instid1(VALU_DEP_1)
	v_add_f32_e32 v2, v2, v25
	v_add_f32_e32 v2, v2, v26
	s_delay_alu instid0(VALU_DEP_1) | instskip(NEXT) | instid1(VALU_DEP_1)
	;; [unrolled: 3-line block ×4, first 2 shown]
	v_dual_add_f32 v2, v2, v15 :: v_dual_mul_f32 v151, v7, v4
	v_add_f32_e32 v2, v2, v18
	s_delay_alu instid0(VALU_DEP_1) | instskip(SKIP_1) | instid1(VALU_DEP_2)
	v_add_f32_e32 v2, v2, v19
	v_fmac_f32_e32 v149, v6, v1
	v_dual_fmac_f32 v151, v8, v3 :: v_dual_add_f32 v2, v2, v20
	s_delay_alu instid0(VALU_DEP_1) | instskip(NEXT) | instid1(VALU_DEP_1)
	v_dual_mul_f32 v1, v8, v4 :: v_dual_add_f32 v2, v2, v121
	v_fma_f32 v152, v7, v3, -v1
	v_add_f32_e32 v1, 0, v22
	s_delay_alu instid0(VALU_DEP_3) | instskip(NEXT) | instid1(VALU_DEP_2)
	v_add_f32_e32 v5, v2, v122
	v_add_f32_e32 v1, v1, v24
	s_delay_alu instid0(VALU_DEP_1) | instskip(NEXT) | instid1(VALU_DEP_1)
	v_add_f32_e32 v1, v1, v108
	v_add_f32_e32 v1, v1, v109
	s_delay_alu instid0(VALU_DEP_1) | instskip(NEXT) | instid1(VALU_DEP_1)
	v_add_f32_e32 v1, v1, v110
	v_add_f32_e32 v1, v1, v111
	s_delay_alu instid0(VALU_DEP_1) | instskip(SKIP_1) | instid1(VALU_DEP_2)
	v_add_f32_e32 v1, v1, v13
	v_add_f32_e32 v13, v5, v125
	;; [unrolled: 1-line block ×3, first 2 shown]
	s_delay_alu instid0(VALU_DEP_2) | instskip(NEXT) | instid1(VALU_DEP_1)
	v_add_f32_e32 v13, v13, v127
	v_add_f32_e32 v13, v13, v129
	s_delay_alu instid0(VALU_DEP_1) | instskip(NEXT) | instid1(VALU_DEP_1)
	v_add_f32_e32 v18, v13, v131
	v_dual_add_f32 v18, v18, v133 :: v_dual_add_f32 v1, v1, v16
	s_delay_alu instid0(VALU_DEP_1) | instskip(NEXT) | instid1(VALU_DEP_1)
	v_add_f32_e32 v18, v18, v135
	v_add_f32_e32 v24, v18, v137
	s_delay_alu instid0(VALU_DEP_1) | instskip(NEXT) | instid1(VALU_DEP_1)
	v_dual_add_f32 v1, v1, v17 :: v_dual_add_f32 v24, v24, v139
	v_add_f32_e32 v1, v1, v114
	s_delay_alu instid0(VALU_DEP_1) | instskip(NEXT) | instid1(VALU_DEP_1)
	v_add_f32_e32 v1, v1, v115
	v_add_f32_e32 v1, v1, v123
	s_delay_alu instid0(VALU_DEP_1) | instskip(NEXT) | instid1(VALU_DEP_1)
	v_add_f32_e32 v1, v1, v124
	v_add_f32_e32 v6, v1, v126
	ds_load_b128 v[1:4], v21 offset:560
	v_add_f32_e32 v24, v24, v141
	v_add_f32_e32 v14, v6, v128
	scratch_load_b128 v[5:8], off, off offset:256
	v_add_f32_e32 v14, v14, v130
	s_delay_alu instid0(VALU_DEP_1)
	v_add_f32_e32 v17, v14, v132
	ds_load_b128 v[13:16], v21 offset:576
	s_wait_loadcnt_dscnt 0x101
	v_mul_f32_e32 v22, v1, v10
	v_mul_f32_e32 v10, v2, v10
	;; [unrolled: 1-line block ×4, first 2 shown]
	s_delay_alu instid0(VALU_DEP_4) | instskip(NEXT) | instid1(VALU_DEP_4)
	v_fmac_f32_e32 v22, v2, v9
	v_fma_f32 v109, v1, v9, -v10
	s_delay_alu instid0(VALU_DEP_4) | instskip(NEXT) | instid1(VALU_DEP_4)
	v_fmac_f32_e32 v108, v4, v11
	v_fma_f32 v110, v3, v11, -v12
	s_clause 0x1
	scratch_load_b128 v[1:4], off, off offset:272
	scratch_load_b128 v[9:12], off, off offset:288
	s_wait_loadcnt_dscnt 0x200
	v_mul_f32_e32 v111, v13, v6
	v_mul_f32_e32 v6, v14, v6
	;; [unrolled: 1-line block ×3, first 2 shown]
	s_delay_alu instid0(VALU_DEP_3) | instskip(NEXT) | instid1(VALU_DEP_3)
	v_dual_mul_f32 v8, v16, v8 :: v_dual_fmac_f32 v111, v14, v5
	v_fma_f32 v113, v13, v5, -v6
	s_delay_alu instid0(VALU_DEP_3) | instskip(NEXT) | instid1(VALU_DEP_3)
	v_fmac_f32_e32 v112, v16, v7
	v_fma_f32 v114, v15, v7, -v8
	ds_load_b128 v[5:8], v21 offset:592
	v_add_f32_e32 v17, v17, v134
	v_add_f32_e32 v13, v24, v143
	s_delay_alu instid0(VALU_DEP_2) | instskip(NEXT) | instid1(VALU_DEP_1)
	v_add_f32_e32 v17, v17, v136
	v_add_f32_e32 v17, v17, v138
	s_delay_alu instid0(VALU_DEP_1) | instskip(SKIP_2) | instid1(VALU_DEP_1)
	v_add_f32_e32 v25, v17, v140
	scratch_load_b128 v[17:20], off, off offset:304
	v_add_f32_e32 v25, v25, v142
	v_add_f32_e32 v25, v25, v144
	s_delay_alu instid0(VALU_DEP_1)
	v_add_f32_e32 v24, v25, v146
	v_add_f32_e32 v25, v13, v145
	ds_load_b128 v[13:16], v21 offset:608
	v_dual_add_f32 v115, v24, v148 :: v_dual_add_f32 v118, v25, v147
	ds_load_b128 v[24:27], v21 offset:624
	v_add_f32_e32 v21, v115, v150
	s_delay_alu instid0(VALU_DEP_1) | instskip(SKIP_2) | instid1(VALU_DEP_1)
	v_add_f32_e32 v21, v21, v152
	s_wait_loadcnt_dscnt 0x101
	v_mul_f32_e32 v119, v15, v12
	v_fmac_f32_e32 v119, v16, v11
	s_delay_alu instid0(VALU_DEP_3) | instskip(NEXT) | instid1(VALU_DEP_1)
	v_add_f32_e32 v21, v21, v109
	v_add_f32_e32 v21, v21, v110
	s_wait_loadcnt_dscnt 0x0
	s_delay_alu instid0(VALU_DEP_1) | instskip(SKIP_2) | instid1(VALU_DEP_3)
	v_dual_add_f32 v21, v21, v113 :: v_dual_mul_f32 v110, v26, v20
	v_dual_add_f32 v115, v118, v149 :: v_dual_mul_f32 v118, v5, v2
	v_mul_f32_e32 v2, v6, v2
	v_fmac_f32_e32 v110, v27, v19
	s_delay_alu instid0(VALU_DEP_3)
	v_add_f32_e32 v115, v115, v151
	v_mul_f32_e32 v109, v7, v4
	v_mul_f32_e32 v4, v8, v4
	v_fma_f32 v2, v5, v1, -v2
	v_fmac_f32_e32 v118, v6, v1
	v_add_f32_e32 v22, v115, v22
	v_add_f32_e32 v1, v21, v114
	v_dual_mul_f32 v6, v14, v10 :: v_dual_fmac_f32 v109, v8, v3
	v_fma_f32 v3, v7, v3, -v4
	s_delay_alu instid0(VALU_DEP_4) | instskip(SKIP_2) | instid1(VALU_DEP_3)
	v_add_f32_e32 v22, v22, v108
	v_mul_f32_e32 v108, v24, v18
	v_dual_add_f32 v1, v1, v2 :: v_dual_mul_f32 v4, v16, v12
	v_add_f32_e32 v22, v22, v111
	s_delay_alu instid0(VALU_DEP_3) | instskip(SKIP_1) | instid1(VALU_DEP_4)
	v_fmac_f32_e32 v108, v25, v17
	v_mul_f32_e32 v115, v13, v10
	v_add_f32_e32 v1, v1, v3
	v_mul_f32_e32 v3, v25, v18
	v_add_f32_e32 v5, v22, v112
	v_fma_f32 v4, v15, v11, -v4
	v_fmac_f32_e32 v115, v14, v9
	s_delay_alu instid0(VALU_DEP_4) | instskip(NEXT) | instid1(VALU_DEP_4)
	v_fma_f32 v3, v24, v17, -v3
	v_add_f32_e32 v2, v5, v118
	v_fma_f32 v5, v13, v9, -v6
	s_delay_alu instid0(VALU_DEP_2) | instskip(NEXT) | instid1(VALU_DEP_2)
	v_add_f32_e32 v2, v2, v109
	v_add_f32_e32 v1, v1, v5
	s_delay_alu instid0(VALU_DEP_2) | instskip(NEXT) | instid1(VALU_DEP_2)
	v_dual_mul_f32 v5, v27, v20 :: v_dual_add_f32 v2, v2, v115
	v_add_f32_e32 v1, v1, v4
	s_delay_alu instid0(VALU_DEP_2) | instskip(NEXT) | instid1(VALU_DEP_3)
	v_fma_f32 v4, v26, v19, -v5
	v_add_f32_e32 v2, v2, v119
	s_delay_alu instid0(VALU_DEP_1) | instskip(NEXT) | instid1(VALU_DEP_1)
	v_dual_add_f32 v1, v1, v3 :: v_dual_add_f32 v2, v2, v108
	v_dual_add_f32 v1, v1, v4 :: v_dual_add_f32 v2, v2, v110
	s_delay_alu instid0(VALU_DEP_1)
	v_dual_sub_f32 v1, v116, v1 :: v_dual_sub_f32 v2, v117, v2
	scratch_store_b64 off, v[1:2], off offset:8
	v_cmpx_ne_u32_e32 0, v0
	s_cbranch_execz .LBB103_253
; %bb.252:
	scratch_load_b64 v[0:1], off, off
	v_mov_b32_e32 v2, 0
	s_delay_alu instid0(VALU_DEP_1)
	v_mov_b32_e32 v3, v2
	scratch_store_b64 off, v[2:3], off
	s_wait_loadcnt 0x0
	ds_store_b64 v23, v[0:1]
.LBB103_253:
	s_wait_alu 0xfffe
	s_or_b32 exec_lo, exec_lo, s0
	s_wait_storecnt_dscnt 0x0
	s_barrier_signal -1
	s_barrier_wait -1
	global_inv scope:SCOPE_SE
	s_clause 0x6
	scratch_load_b128 v[0:3], off, off offset:8
	scratch_load_b128 v[4:7], off, off offset:24
	;; [unrolled: 1-line block ×7, first 2 shown]
	v_mov_b32_e32 v108, 0
	scratch_load_b64 v[117:118], off, off
	s_and_b32 vcc_lo, exec_lo, s12
	ds_load_2addr_b64 v[109:112], v108 offset0:41 offset1:42
	ds_load_2addr_b64 v[113:116], v108 offset0:43 offset1:44
	s_wait_loadcnt_dscnt 0x701
	v_mul_f32_e32 v119, v110, v1
	v_dual_mul_f32 v120, v109, v1 :: v_dual_mul_f32 v121, v111, v3
	v_mul_f32_e32 v1, v112, v3
	s_delay_alu instid0(VALU_DEP_3) | instskip(NEXT) | instid1(VALU_DEP_3)
	v_fma_f32 v109, v109, v0, -v119
	v_dual_fmac_f32 v120, v110, v0 :: v_dual_fmac_f32 v121, v112, v2
	s_wait_loadcnt_dscnt 0x600
	v_mul_f32_e32 v112, v115, v7
	v_fma_f32 v110, v111, v2, -v1
	ds_load_2addr_b64 v[0:3], v108 offset0:45 offset1:46
	v_mul_f32_e32 v111, v113, v5
	v_mul_f32_e32 v5, v114, v5
	;; [unrolled: 1-line block ×3, first 2 shown]
	s_delay_alu instid0(VALU_DEP_3) | instskip(NEXT) | instid1(VALU_DEP_3)
	v_dual_fmac_f32 v112, v116, v6 :: v_dual_fmac_f32 v111, v114, v4
	v_fma_f32 v113, v113, v4, -v5
	s_delay_alu instid0(VALU_DEP_3)
	v_fma_f32 v114, v115, v6, -v7
	ds_load_2addr_b64 v[4:7], v108 offset0:47 offset1:48
	s_wait_loadcnt_dscnt 0x501
	v_dual_mul_f32 v115, v0, v9 :: v_dual_mul_f32 v116, v2, v11
	v_mul_f32_e32 v9, v1, v9
	v_mul_f32_e32 v11, v3, v11
	s_delay_alu instid0(VALU_DEP_3) | instskip(NEXT) | instid1(VALU_DEP_3)
	v_dual_fmac_f32 v115, v1, v8 :: v_dual_fmac_f32 v116, v3, v10
	v_fma_f32 v119, v0, v8, -v9
	s_delay_alu instid0(VALU_DEP_3)
	v_fma_f32 v122, v2, v10, -v11
	ds_load_2addr_b64 v[0:3], v108 offset0:49 offset1:50
	s_wait_loadcnt_dscnt 0x401
	v_mul_f32_e32 v123, v4, v13
	v_dual_mul_f32 v8, v5, v13 :: v_dual_mul_f32 v13, v6, v15
	v_mul_f32_e32 v9, v7, v15
	s_delay_alu instid0(VALU_DEP_3) | instskip(NEXT) | instid1(VALU_DEP_3)
	v_fmac_f32_e32 v123, v5, v12
	v_fma_f32 v12, v4, v12, -v8
	s_delay_alu instid0(VALU_DEP_4) | instskip(NEXT) | instid1(VALU_DEP_4)
	v_fmac_f32_e32 v13, v7, v14
	v_fma_f32 v14, v6, v14, -v9
	ds_load_2addr_b64 v[4:7], v108 offset0:51 offset1:52
	s_wait_loadcnt_dscnt 0x301
	v_mul_f32_e32 v15, v0, v17
	v_dual_mul_f32 v8, v1, v17 :: v_dual_mul_f32 v17, v2, v19
	v_mul_f32_e32 v9, v3, v19
	s_delay_alu instid0(VALU_DEP_3) | instskip(NEXT) | instid1(VALU_DEP_3)
	v_fmac_f32_e32 v15, v1, v16
	v_fma_f32 v16, v0, v16, -v8
	s_delay_alu instid0(VALU_DEP_4) | instskip(NEXT) | instid1(VALU_DEP_4)
	v_fmac_f32_e32 v17, v3, v18
	v_fma_f32 v18, v2, v18, -v9
	ds_load_2addr_b64 v[0:3], v108 offset0:53 offset1:54
	s_wait_loadcnt_dscnt 0x201
	v_mul_f32_e32 v19, v4, v21
	v_dual_mul_f32 v8, v5, v21 :: v_dual_mul_f32 v21, v6, v23
	v_mul_f32_e32 v9, v7, v23
	s_delay_alu instid0(VALU_DEP_3) | instskip(NEXT) | instid1(VALU_DEP_3)
	v_fmac_f32_e32 v19, v5, v20
	v_fma_f32 v20, v4, v20, -v8
	s_delay_alu instid0(VALU_DEP_4) | instskip(NEXT) | instid1(VALU_DEP_4)
	v_fmac_f32_e32 v21, v7, v22
	v_fma_f32 v22, v6, v22, -v9
	ds_load_2addr_b64 v[4:7], v108 offset0:55 offset1:56
	s_wait_loadcnt_dscnt 0x101
	v_mul_f32_e32 v23, v0, v25
	v_dual_mul_f32 v8, v1, v25 :: v_dual_mul_f32 v25, v2, v27
	v_mul_f32_e32 v9, v3, v27
	s_delay_alu instid0(VALU_DEP_3) | instskip(NEXT) | instid1(VALU_DEP_3)
	v_fmac_f32_e32 v23, v1, v24
	v_fma_f32 v24, v0, v24, -v8
	s_delay_alu instid0(VALU_DEP_4) | instskip(NEXT) | instid1(VALU_DEP_4)
	v_fmac_f32_e32 v25, v3, v26
	v_fma_f32 v26, v2, v26, -v9
	s_clause 0x1
	scratch_load_b128 v[0:3], off, off offset:120
	scratch_load_b128 v[8:11], off, off offset:136
	s_wait_loadcnt_dscnt 0x100
	v_mul_f32_e32 v27, v4, v1
	v_mul_f32_e32 v125, v6, v3
	s_delay_alu instid0(VALU_DEP_2) | instskip(SKIP_1) | instid1(VALU_DEP_3)
	v_fmac_f32_e32 v27, v5, v0
	v_mul_f32_e32 v1, v5, v1
	v_fmac_f32_e32 v125, v7, v2
	s_delay_alu instid0(VALU_DEP_2) | instskip(SKIP_1) | instid1(VALU_DEP_1)
	v_fma_f32 v124, v4, v0, -v1
	v_mul_f32_e32 v0, v7, v3
	v_fma_f32 v126, v6, v2, -v0
	ds_load_2addr_b64 v[0:3], v108 offset0:57 offset1:58
	ds_load_2addr_b64 v[4:7], v108 offset0:59 offset1:60
	s_wait_loadcnt_dscnt 0x1
	v_mul_f32_e32 v127, v0, v9
	v_mul_f32_e32 v129, v2, v11
	s_delay_alu instid0(VALU_DEP_2) | instskip(SKIP_1) | instid1(VALU_DEP_3)
	v_fmac_f32_e32 v127, v1, v8
	v_mul_f32_e32 v1, v1, v9
	v_fmac_f32_e32 v129, v3, v10
	s_delay_alu instid0(VALU_DEP_2) | instskip(SKIP_1) | instid1(VALU_DEP_1)
	v_fma_f32 v128, v0, v8, -v1
	v_mul_f32_e32 v0, v3, v11
	v_fma_f32 v130, v2, v10, -v0
	s_clause 0x1
	scratch_load_b128 v[0:3], off, off offset:152
	scratch_load_b128 v[8:11], off, off offset:168
	s_wait_loadcnt_dscnt 0x100
	v_mul_f32_e32 v131, v4, v1
	v_mul_f32_e32 v1, v5, v1
	;; [unrolled: 1-line block ×3, first 2 shown]
	s_delay_alu instid0(VALU_DEP_3) | instskip(NEXT) | instid1(VALU_DEP_3)
	v_fmac_f32_e32 v131, v5, v0
	v_fma_f32 v132, v4, v0, -v1
	v_mul_f32_e32 v0, v7, v3
	s_delay_alu instid0(VALU_DEP_4) | instskip(NEXT) | instid1(VALU_DEP_2)
	v_fmac_f32_e32 v133, v7, v2
	v_fma_f32 v134, v6, v2, -v0
	ds_load_2addr_b64 v[0:3], v108 offset0:61 offset1:62
	ds_load_2addr_b64 v[4:7], v108 offset0:63 offset1:64
	s_wait_loadcnt_dscnt 0x1
	v_mul_f32_e32 v135, v0, v9
	v_mul_f32_e32 v137, v2, v11
	s_delay_alu instid0(VALU_DEP_2) | instskip(SKIP_1) | instid1(VALU_DEP_3)
	v_fmac_f32_e32 v135, v1, v8
	v_mul_f32_e32 v1, v1, v9
	v_fmac_f32_e32 v137, v3, v10
	s_delay_alu instid0(VALU_DEP_2) | instskip(SKIP_1) | instid1(VALU_DEP_1)
	v_fma_f32 v136, v0, v8, -v1
	v_mul_f32_e32 v0, v3, v11
	v_fma_f32 v138, v2, v10, -v0
	s_clause 0x1
	scratch_load_b128 v[0:3], off, off offset:184
	scratch_load_b128 v[8:11], off, off offset:200
	s_wait_loadcnt_dscnt 0x100
	v_mul_f32_e32 v139, v4, v1
	v_mul_f32_e32 v1, v5, v1
	;; [unrolled: 1-line block ×3, first 2 shown]
	s_delay_alu instid0(VALU_DEP_3) | instskip(NEXT) | instid1(VALU_DEP_3)
	v_fmac_f32_e32 v139, v5, v0
	v_fma_f32 v140, v4, v0, -v1
	v_mul_f32_e32 v0, v7, v3
	s_delay_alu instid0(VALU_DEP_4) | instskip(NEXT) | instid1(VALU_DEP_2)
	v_fmac_f32_e32 v141, v7, v2
	v_fma_f32 v142, v6, v2, -v0
	ds_load_2addr_b64 v[0:3], v108 offset0:65 offset1:66
	ds_load_2addr_b64 v[4:7], v108 offset0:67 offset1:68
	s_wait_loadcnt_dscnt 0x1
	v_mul_f32_e32 v143, v0, v9
	v_mul_f32_e32 v145, v2, v11
	s_delay_alu instid0(VALU_DEP_2) | instskip(SKIP_1) | instid1(VALU_DEP_3)
	v_fmac_f32_e32 v143, v1, v8
	v_mul_f32_e32 v1, v1, v9
	v_fmac_f32_e32 v145, v3, v10
	s_delay_alu instid0(VALU_DEP_2) | instskip(SKIP_1) | instid1(VALU_DEP_1)
	v_fma_f32 v144, v0, v8, -v1
	v_mul_f32_e32 v0, v3, v11
	v_fma_f32 v146, v2, v10, -v0
	s_clause 0x1
	scratch_load_b128 v[0:3], off, off offset:216
	scratch_load_b128 v[8:11], off, off offset:232
	s_wait_loadcnt_dscnt 0x100
	v_mul_f32_e32 v147, v4, v1
	v_mul_f32_e32 v1, v5, v1
	;; [unrolled: 1-line block ×3, first 2 shown]
	s_delay_alu instid0(VALU_DEP_3) | instskip(NEXT) | instid1(VALU_DEP_3)
	v_fmac_f32_e32 v147, v5, v0
	v_fma_f32 v148, v4, v0, -v1
	v_dual_mul_f32 v0, v7, v3 :: v_dual_add_f32 v1, 0, v120
	s_delay_alu instid0(VALU_DEP_4) | instskip(NEXT) | instid1(VALU_DEP_2)
	v_fmac_f32_e32 v149, v7, v2
	v_fma_f32 v150, v6, v2, -v0
	v_add_f32_e32 v0, 0, v109
	s_delay_alu instid0(VALU_DEP_1) | instskip(NEXT) | instid1(VALU_DEP_1)
	v_dual_add_f32 v1, v1, v121 :: v_dual_add_f32 v0, v0, v110
	v_dual_add_f32 v1, v1, v111 :: v_dual_add_f32 v0, v0, v113
	s_delay_alu instid0(VALU_DEP_1) | instskip(NEXT) | instid1(VALU_DEP_1)
	v_dual_add_f32 v1, v1, v112 :: v_dual_add_f32 v0, v0, v114
	v_add_f32_e32 v1, v1, v115
	s_delay_alu instid0(VALU_DEP_1) | instskip(NEXT) | instid1(VALU_DEP_1)
	v_dual_add_f32 v0, v0, v119 :: v_dual_add_f32 v1, v1, v116
	v_dual_add_f32 v0, v0, v122 :: v_dual_add_f32 v1, v1, v123
	s_delay_alu instid0(VALU_DEP_1) | instskip(NEXT) | instid1(VALU_DEP_1)
	v_dual_add_f32 v0, v0, v12 :: v_dual_add_f32 v1, v1, v13
	v_dual_add_f32 v0, v0, v14 :: v_dual_add_f32 v1, v1, v15
	;; [unrolled: 3-line block ×3, first 2 shown]
	s_delay_alu instid0(VALU_DEP_1) | instskip(NEXT) | instid1(VALU_DEP_1)
	v_dual_add_f32 v0, v0, v20 :: v_dual_add_f32 v1, v1, v21
	v_add_f32_e32 v0, v0, v22
	s_delay_alu instid0(VALU_DEP_2) | instskip(NEXT) | instid1(VALU_DEP_2)
	v_add_f32_e32 v4, v1, v23
	v_add_f32_e32 v0, v0, v24
	s_delay_alu instid0(VALU_DEP_2)
	v_add_f32_e32 v12, v4, v25
	scratch_load_b64 v[24:25], off, off offset:312
	v_add_f32_e32 v5, v0, v26
	scratch_load_b128 v[0:3], off, off offset:248
	v_dual_add_f32 v12, v12, v27 :: v_dual_add_f32 v13, v5, v124
	ds_load_2addr_b64 v[4:7], v108 offset0:69 offset1:70
	v_dual_add_f32 v12, v12, v125 :: v_dual_add_f32 v13, v13, v126
	s_delay_alu instid0(VALU_DEP_1) | instskip(SKIP_2) | instid1(VALU_DEP_1)
	v_dual_add_f32 v17, v12, v127 :: v_dual_add_f32 v16, v13, v128
	ds_load_2addr_b64 v[12:15], v108 offset0:71 offset1:72
	v_dual_add_f32 v17, v17, v129 :: v_dual_add_f32 v16, v16, v130
	v_dual_add_f32 v17, v17, v131 :: v_dual_add_f32 v16, v16, v132
	s_wait_loadcnt_dscnt 0x201
	v_mul_f32_e32 v109, v4, v9
	v_dual_mul_f32 v9, v5, v9 :: v_dual_mul_f32 v110, v6, v11
	s_delay_alu instid0(VALU_DEP_3) | instskip(NEXT) | instid1(VALU_DEP_3)
	v_dual_mul_f32 v11, v7, v11 :: v_dual_add_f32 v16, v16, v134
	v_fmac_f32_e32 v109, v5, v8
	s_delay_alu instid0(VALU_DEP_3) | instskip(NEXT) | instid1(VALU_DEP_4)
	v_fma_f32 v111, v4, v8, -v9
	v_fmac_f32_e32 v110, v7, v10
	s_delay_alu instid0(VALU_DEP_4)
	v_fma_f32 v112, v6, v10, -v11
	s_clause 0x1
	scratch_load_b128 v[4:7], off, off offset:264
	scratch_load_b128 v[8:11], off, off offset:280
	v_dual_add_f32 v20, v17, v133 :: v_dual_add_f32 v21, v16, v136
	scratch_load_b128 v[16:19], off, off offset:296
	v_dual_add_f32 v20, v20, v135 :: v_dual_add_f32 v21, v21, v138
	s_delay_alu instid0(VALU_DEP_1) | instskip(NEXT) | instid1(VALU_DEP_1)
	v_dual_add_f32 v20, v20, v137 :: v_dual_add_f32 v21, v21, v140
	v_dual_add_f32 v20, v20, v139 :: v_dual_add_f32 v21, v21, v142
	s_wait_loadcnt_dscnt 0x300
	v_mul_f32_e32 v113, v12, v1
	v_dual_mul_f32 v1, v13, v1 :: v_dual_mul_f32 v114, v14, v3
	v_mul_f32_e32 v3, v15, v3
	s_delay_alu instid0(VALU_DEP_3) | instskip(NEXT) | instid1(VALU_DEP_3)
	v_fmac_f32_e32 v113, v13, v0
	v_fma_f32 v115, v12, v0, -v1
	v_dual_add_f32 v12, v20, v141 :: v_dual_add_f32 v13, v21, v144
	v_fmac_f32_e32 v114, v15, v2
	v_fma_f32 v116, v14, v2, -v3
	ds_load_2addr_b64 v[0:3], v108 offset0:73 offset1:74
	v_add_f32_e32 v20, v12, v143
	v_add_f32_e32 v26, v13, v146
	ds_load_2addr_b64 v[12:15], v108 offset0:75 offset1:76
	v_add_f32_e32 v27, v20, v145
	v_add_f32_e32 v119, v26, v148
	;; [unrolled: 3-line block ×3, first 2 shown]
	ds_load_b64 v[26:27], v108 offset:632
	v_dual_add_f32 v120, v120, v149 :: v_dual_add_f32 v111, v119, v111
	s_delay_alu instid0(VALU_DEP_1) | instskip(NEXT) | instid1(VALU_DEP_2)
	v_add_f32_e32 v109, v120, v109
	v_add_f32_e32 v111, v111, v112
	s_wait_loadcnt_dscnt 0x203
	v_mul_f32_e32 v121, v0, v5
	v_mul_f32_e32 v5, v1, v5
	;; [unrolled: 1-line block ×3, first 2 shown]
	v_add_f32_e32 v109, v109, v110
	v_add_f32_e32 v111, v111, v115
	v_mul_f32_e32 v7, v3, v7
	v_fmac_f32_e32 v121, v1, v4
	v_fma_f32 v0, v0, v4, -v5
	v_add_f32_e32 v109, v109, v113
	s_wait_loadcnt_dscnt 0x102
	v_dual_add_f32 v1, v111, v116 :: v_dual_mul_f32 v112, v12, v9
	v_mul_f32_e32 v5, v13, v9
	v_fmac_f32_e32 v119, v3, v6
	v_add_f32_e32 v4, v109, v114
	v_fma_f32 v2, v2, v6, -v7
	v_add_f32_e32 v0, v1, v0
	v_mul_f32_e32 v110, v14, v11
	v_mul_f32_e32 v3, v15, v11
	v_dual_add_f32 v1, v4, v121 :: v_dual_fmac_f32 v112, v13, v8
	v_fma_f32 v4, v12, v8, -v5
	v_add_f32_e32 v0, v0, v2
	s_wait_loadcnt_dscnt 0x1
	s_delay_alu instid0(VALU_DEP_3)
	v_dual_mul_f32 v120, v20, v17 :: v_dual_add_f32 v1, v1, v119
	v_mul_f32_e32 v2, v21, v17
	v_fmac_f32_e32 v110, v15, v10
	v_fma_f32 v3, v14, v10, -v3
	v_add_f32_e32 v0, v0, v4
	v_add_f32_e32 v1, v1, v112
	v_mul_f32_e32 v115, v22, v19
	v_mul_f32_e32 v4, v23, v19
	v_fmac_f32_e32 v120, v21, v16
	v_fma_f32 v2, v20, v16, -v2
	v_dual_add_f32 v0, v0, v3 :: v_dual_add_f32 v1, v1, v110
	s_wait_dscnt 0x0
	v_mul_f32_e32 v113, v26, v25
	v_mul_f32_e32 v3, v27, v25
	v_fmac_f32_e32 v115, v23, v18
	v_fma_f32 v4, v22, v18, -v4
	v_dual_add_f32 v0, v0, v2 :: v_dual_add_f32 v1, v1, v120
	v_fmac_f32_e32 v113, v27, v24
	v_fma_f32 v2, v26, v24, -v3
	s_delay_alu instid0(VALU_DEP_3) | instskip(NEXT) | instid1(VALU_DEP_1)
	v_dual_add_f32 v0, v0, v4 :: v_dual_add_f32 v1, v1, v115
	v_dual_add_f32 v0, v0, v2 :: v_dual_add_f32 v1, v1, v113
	s_delay_alu instid0(VALU_DEP_1)
	v_dual_sub_f32 v0, v117, v0 :: v_dual_sub_f32 v1, v118, v1
	scratch_store_b64 off, v[0:1], off
	s_wait_alu 0xfffe
	s_cbranch_vccz .LBB103_332
; %bb.254:
	global_load_b32 v0, v108, s[2:3] offset:152
	s_wait_loadcnt 0x0
	v_cmp_ne_u32_e32 vcc_lo, 39, v0
	s_cbranch_vccz .LBB103_256
; %bb.255:
	v_lshlrev_b32_e32 v0, 3, v0
	s_delay_alu instid0(VALU_DEP_1)
	v_mov_b32_e32 v4, v0
	scratch_load_b64 v[0:1], v4, off offset:-8
	scratch_load_b64 v[2:3], off, off offset:304
	s_wait_loadcnt 0x1
	scratch_store_b64 off, v[0:1], off offset:304
	s_wait_loadcnt 0x0
	scratch_store_b64 v4, v[2:3], off offset:-8
.LBB103_256:
	v_mov_b32_e32 v0, 0
	global_load_b32 v1, v0, s[2:3] offset:148
	s_wait_loadcnt 0x0
	v_cmp_eq_u32_e32 vcc_lo, 38, v1
	s_cbranch_vccnz .LBB103_258
; %bb.257:
	v_lshlrev_b32_e32 v1, 3, v1
	s_delay_alu instid0(VALU_DEP_1)
	v_mov_b32_e32 v5, v1
	scratch_load_b64 v[1:2], v5, off offset:-8
	scratch_load_b64 v[3:4], off, off offset:296
	s_wait_loadcnt 0x1
	scratch_store_b64 off, v[1:2], off offset:296
	s_wait_loadcnt 0x0
	scratch_store_b64 v5, v[3:4], off offset:-8
.LBB103_258:
	global_load_b32 v0, v0, s[2:3] offset:144
	s_wait_loadcnt 0x0
	v_cmp_eq_u32_e32 vcc_lo, 37, v0
	s_cbranch_vccnz .LBB103_260
; %bb.259:
	v_lshlrev_b32_e32 v0, 3, v0
	s_delay_alu instid0(VALU_DEP_1)
	v_mov_b32_e32 v4, v0
	scratch_load_b64 v[0:1], v4, off offset:-8
	scratch_load_b64 v[2:3], off, off offset:288
	s_wait_loadcnt 0x1
	scratch_store_b64 off, v[0:1], off offset:288
	s_wait_loadcnt 0x0
	scratch_store_b64 v4, v[2:3], off offset:-8
.LBB103_260:
	v_mov_b32_e32 v0, 0
	global_load_b32 v1, v0, s[2:3] offset:140
	s_wait_loadcnt 0x0
	v_cmp_eq_u32_e32 vcc_lo, 36, v1
	s_cbranch_vccnz .LBB103_262
; %bb.261:
	v_lshlrev_b32_e32 v1, 3, v1
	s_delay_alu instid0(VALU_DEP_1)
	v_mov_b32_e32 v5, v1
	scratch_load_b64 v[1:2], v5, off offset:-8
	scratch_load_b64 v[3:4], off, off offset:280
	s_wait_loadcnt 0x1
	scratch_store_b64 off, v[1:2], off offset:280
	s_wait_loadcnt 0x0
	scratch_store_b64 v5, v[3:4], off offset:-8
.LBB103_262:
	global_load_b32 v0, v0, s[2:3] offset:136
	s_wait_loadcnt 0x0
	v_cmp_eq_u32_e32 vcc_lo, 35, v0
	s_cbranch_vccnz .LBB103_264
; %bb.263:
	v_lshlrev_b32_e32 v0, 3, v0
	s_delay_alu instid0(VALU_DEP_1)
	v_mov_b32_e32 v4, v0
	scratch_load_b64 v[0:1], v4, off offset:-8
	scratch_load_b64 v[2:3], off, off offset:272
	s_wait_loadcnt 0x1
	scratch_store_b64 off, v[0:1], off offset:272
	s_wait_loadcnt 0x0
	scratch_store_b64 v4, v[2:3], off offset:-8
.LBB103_264:
	;; [unrolled: 31-line block ×18, first 2 shown]
	v_mov_b32_e32 v0, 0
	global_load_b32 v1, v0, s[2:3] offset:4
	s_wait_loadcnt 0x0
	v_cmp_eq_u32_e32 vcc_lo, 2, v1
	s_cbranch_vccnz .LBB103_330
; %bb.329:
	v_lshlrev_b32_e32 v1, 3, v1
	s_delay_alu instid0(VALU_DEP_1)
	v_mov_b32_e32 v5, v1
	scratch_load_b64 v[1:2], v5, off offset:-8
	scratch_load_b64 v[3:4], off, off offset:8
	s_wait_loadcnt 0x1
	scratch_store_b64 off, v[1:2], off offset:8
	s_wait_loadcnt 0x0
	scratch_store_b64 v5, v[3:4], off offset:-8
.LBB103_330:
	global_load_b32 v0, v0, s[2:3]
	s_wait_loadcnt 0x0
	v_cmp_eq_u32_e32 vcc_lo, 1, v0
	s_cbranch_vccnz .LBB103_332
; %bb.331:
	v_lshlrev_b32_e32 v0, 3, v0
	s_delay_alu instid0(VALU_DEP_1)
	v_mov_b32_e32 v4, v0
	scratch_load_b64 v[0:1], v4, off offset:-8
	scratch_load_b64 v[2:3], off, off
	s_wait_loadcnt 0x1
	scratch_store_b64 off, v[0:1], off
	s_wait_loadcnt 0x0
	scratch_store_b64 v4, v[2:3], off offset:-8
.LBB103_332:
	scratch_load_b64 v[0:1], off, off
	s_wait_loadcnt 0x0
	flat_store_b64 v[28:29], v[0:1]
	scratch_load_b64 v[0:1], off, off offset:8
	s_wait_loadcnt 0x0
	flat_store_b64 v[30:31], v[0:1]
	scratch_load_b64 v[0:1], off, off offset:16
	;; [unrolled: 3-line block ×39, first 2 shown]
	s_wait_loadcnt 0x0
	flat_store_b64 v[106:107], v[0:1]
	s_nop 0
	s_sendmsg sendmsg(MSG_DEALLOC_VGPRS)
	s_endpgm
	.section	.rodata,"a",@progbits
	.p2align	6, 0x0
	.amdhsa_kernel _ZN9rocsolver6v33100L18getri_kernel_smallILi40E19rocblas_complex_numIfEPKPS3_EEvT1_iilPiilS8_bb
		.amdhsa_group_segment_fixed_size 644
		.amdhsa_private_segment_fixed_size 336
		.amdhsa_kernarg_size 60
		.amdhsa_user_sgpr_count 2
		.amdhsa_user_sgpr_dispatch_ptr 0
		.amdhsa_user_sgpr_queue_ptr 0
		.amdhsa_user_sgpr_kernarg_segment_ptr 1
		.amdhsa_user_sgpr_dispatch_id 0
		.amdhsa_user_sgpr_private_segment_size 0
		.amdhsa_wavefront_size32 1
		.amdhsa_uses_dynamic_stack 0
		.amdhsa_enable_private_segment 1
		.amdhsa_system_sgpr_workgroup_id_x 1
		.amdhsa_system_sgpr_workgroup_id_y 0
		.amdhsa_system_sgpr_workgroup_id_z 0
		.amdhsa_system_sgpr_workgroup_info 0
		.amdhsa_system_vgpr_workitem_id 0
		.amdhsa_next_free_vgpr 254
		.amdhsa_next_free_sgpr 19
		.amdhsa_reserve_vcc 1
		.amdhsa_float_round_mode_32 0
		.amdhsa_float_round_mode_16_64 0
		.amdhsa_float_denorm_mode_32 3
		.amdhsa_float_denorm_mode_16_64 3
		.amdhsa_fp16_overflow 0
		.amdhsa_workgroup_processor_mode 1
		.amdhsa_memory_ordered 1
		.amdhsa_forward_progress 1
		.amdhsa_inst_pref_size 255
		.amdhsa_round_robin_scheduling 0
		.amdhsa_exception_fp_ieee_invalid_op 0
		.amdhsa_exception_fp_denorm_src 0
		.amdhsa_exception_fp_ieee_div_zero 0
		.amdhsa_exception_fp_ieee_overflow 0
		.amdhsa_exception_fp_ieee_underflow 0
		.amdhsa_exception_fp_ieee_inexact 0
		.amdhsa_exception_int_div_zero 0
	.end_amdhsa_kernel
	.section	.text._ZN9rocsolver6v33100L18getri_kernel_smallILi40E19rocblas_complex_numIfEPKPS3_EEvT1_iilPiilS8_bb,"axG",@progbits,_ZN9rocsolver6v33100L18getri_kernel_smallILi40E19rocblas_complex_numIfEPKPS3_EEvT1_iilPiilS8_bb,comdat
.Lfunc_end103:
	.size	_ZN9rocsolver6v33100L18getri_kernel_smallILi40E19rocblas_complex_numIfEPKPS3_EEvT1_iilPiilS8_bb, .Lfunc_end103-_ZN9rocsolver6v33100L18getri_kernel_smallILi40E19rocblas_complex_numIfEPKPS3_EEvT1_iilPiilS8_bb
                                        ; -- End function
	.set _ZN9rocsolver6v33100L18getri_kernel_smallILi40E19rocblas_complex_numIfEPKPS3_EEvT1_iilPiilS8_bb.num_vgpr, 254
	.set _ZN9rocsolver6v33100L18getri_kernel_smallILi40E19rocblas_complex_numIfEPKPS3_EEvT1_iilPiilS8_bb.num_agpr, 0
	.set _ZN9rocsolver6v33100L18getri_kernel_smallILi40E19rocblas_complex_numIfEPKPS3_EEvT1_iilPiilS8_bb.numbered_sgpr, 19
	.set _ZN9rocsolver6v33100L18getri_kernel_smallILi40E19rocblas_complex_numIfEPKPS3_EEvT1_iilPiilS8_bb.num_named_barrier, 0
	.set _ZN9rocsolver6v33100L18getri_kernel_smallILi40E19rocblas_complex_numIfEPKPS3_EEvT1_iilPiilS8_bb.private_seg_size, 336
	.set _ZN9rocsolver6v33100L18getri_kernel_smallILi40E19rocblas_complex_numIfEPKPS3_EEvT1_iilPiilS8_bb.uses_vcc, 1
	.set _ZN9rocsolver6v33100L18getri_kernel_smallILi40E19rocblas_complex_numIfEPKPS3_EEvT1_iilPiilS8_bb.uses_flat_scratch, 1
	.set _ZN9rocsolver6v33100L18getri_kernel_smallILi40E19rocblas_complex_numIfEPKPS3_EEvT1_iilPiilS8_bb.has_dyn_sized_stack, 0
	.set _ZN9rocsolver6v33100L18getri_kernel_smallILi40E19rocblas_complex_numIfEPKPS3_EEvT1_iilPiilS8_bb.has_recursion, 0
	.set _ZN9rocsolver6v33100L18getri_kernel_smallILi40E19rocblas_complex_numIfEPKPS3_EEvT1_iilPiilS8_bb.has_indirect_call, 0
	.section	.AMDGPU.csdata,"",@progbits
; Kernel info:
; codeLenInByte = 58832
; TotalNumSgprs: 21
; NumVgprs: 254
; ScratchSize: 336
; MemoryBound: 0
; FloatMode: 240
; IeeeMode: 1
; LDSByteSize: 644 bytes/workgroup (compile time only)
; SGPRBlocks: 0
; VGPRBlocks: 31
; NumSGPRsForWavesPerEU: 21
; NumVGPRsForWavesPerEU: 254
; Occupancy: 5
; WaveLimiterHint : 1
; COMPUTE_PGM_RSRC2:SCRATCH_EN: 1
; COMPUTE_PGM_RSRC2:USER_SGPR: 2
; COMPUTE_PGM_RSRC2:TRAP_HANDLER: 0
; COMPUTE_PGM_RSRC2:TGID_X_EN: 1
; COMPUTE_PGM_RSRC2:TGID_Y_EN: 0
; COMPUTE_PGM_RSRC2:TGID_Z_EN: 0
; COMPUTE_PGM_RSRC2:TIDIG_COMP_CNT: 0
	.section	.text._ZN9rocsolver6v33100L18getri_kernel_smallILi41E19rocblas_complex_numIfEPKPS3_EEvT1_iilPiilS8_bb,"axG",@progbits,_ZN9rocsolver6v33100L18getri_kernel_smallILi41E19rocblas_complex_numIfEPKPS3_EEvT1_iilPiilS8_bb,comdat
	.globl	_ZN9rocsolver6v33100L18getri_kernel_smallILi41E19rocblas_complex_numIfEPKPS3_EEvT1_iilPiilS8_bb ; -- Begin function _ZN9rocsolver6v33100L18getri_kernel_smallILi41E19rocblas_complex_numIfEPKPS3_EEvT1_iilPiilS8_bb
	.p2align	8
	.type	_ZN9rocsolver6v33100L18getri_kernel_smallILi41E19rocblas_complex_numIfEPKPS3_EEvT1_iilPiilS8_bb,@function
_ZN9rocsolver6v33100L18getri_kernel_smallILi41E19rocblas_complex_numIfEPKPS3_EEvT1_iilPiilS8_bb: ; @_ZN9rocsolver6v33100L18getri_kernel_smallILi41E19rocblas_complex_numIfEPKPS3_EEvT1_iilPiilS8_bb
; %bb.0:
	s_mov_b32 s2, exec_lo
	v_cmpx_gt_u32_e32 41, v0
	s_cbranch_execz .LBB104_178
; %bb.1:
	s_clause 0x1
	s_load_b32 s13, s[0:1], 0x38
	s_load_b64 s[2:3], s[0:1], 0x0
	s_mov_b32 s8, ttmp9
	s_load_b128 s[4:7], s[0:1], 0x28
	s_wait_kmcnt 0x0
	s_bitcmp1_b32 s13, 8
	s_cselect_b32 s12, -1, 0
	s_ashr_i32 s9, ttmp9, 31
	s_delay_alu instid0(SALU_CYCLE_1) | instskip(NEXT) | instid1(SALU_CYCLE_1)
	s_lshl_b64 s[10:11], s[8:9], 3
	s_add_nc_u64 s[2:3], s[2:3], s[10:11]
	s_load_b64 s[10:11], s[2:3], 0x0
	s_bfe_u32 s2, s13, 0x10008
	s_delay_alu instid0(SALU_CYCLE_1)
	s_cmp_eq_u32 s2, 0
                                        ; implicit-def: $sgpr2_sgpr3
	s_cbranch_scc1 .LBB104_3
; %bb.2:
	s_load_b96 s[16:18], s[0:1], 0x18
	s_mul_u64 s[2:3], s[4:5], s[8:9]
	s_delay_alu instid0(SALU_CYCLE_1)
	s_lshl_b64 s[2:3], s[2:3], 2
	s_wait_kmcnt 0x0
	s_ashr_i32 s5, s18, 31
	s_mov_b32 s4, s18
	s_add_nc_u64 s[2:3], s[16:17], s[2:3]
	s_lshl_b64 s[4:5], s[4:5], 2
	s_delay_alu instid0(SALU_CYCLE_1)
	s_add_nc_u64 s[2:3], s[2:3], s[4:5]
.LBB104_3:
	s_clause 0x1
	s_load_b64 s[4:5], s[0:1], 0x8
	s_load_b32 s13, s[0:1], 0x38
	v_lshlrev_b32_e32 v7, 3, v0
	s_wait_kmcnt 0x0
	s_ashr_i32 s1, s4, 31
	s_mov_b32 s0, s4
	v_add3_u32 v3, s5, s5, v0
	s_lshl_b64 s[0:1], s[0:1], 3
	s_delay_alu instid0(SALU_CYCLE_1)
	s_add_nc_u64 s[0:1], s[10:11], s[0:1]
	s_ashr_i32 s11, s5, 31
	v_add_co_u32 v24, s4, s0, v7
	s_wait_alu 0xf1ff
	v_add_co_ci_u32_e64 v25, null, s1, 0, s4
	s_mov_b32 s10, s5
	v_ashrrev_i32_e32 v4, 31, v3
	s_lshl_b64 s[10:11], s[10:11], 3
	flat_load_b64 v[1:2], v[24:25]
	v_add_co_u32 v26, vcc_lo, v24, s10
	s_delay_alu instid0(VALU_DEP_1) | instskip(SKIP_3) | instid1(VALU_DEP_2)
	v_add_co_ci_u32_e64 v27, null, s11, v25, vcc_lo
	v_lshlrev_b64_e32 v[4:5], 3, v[3:4]
	v_add_nc_u32_e32 v3, s5, v3
	s_bitcmp0_b32 s13, 0
	v_add_co_u32 v28, vcc_lo, s0, v4
	s_wait_alu 0xfffd
	s_delay_alu instid0(VALU_DEP_3) | instskip(SKIP_1) | instid1(VALU_DEP_1)
	v_add_co_ci_u32_e64 v29, null, s1, v5, vcc_lo
	v_ashrrev_i32_e32 v4, 31, v3
	v_lshlrev_b64_e32 v[4:5], 3, v[3:4]
	v_add_nc_u32_e32 v3, s5, v3
	s_delay_alu instid0(VALU_DEP_2) | instskip(SKIP_1) | instid1(VALU_DEP_3)
	v_add_co_u32 v30, vcc_lo, s0, v4
	s_wait_alu 0xfffd
	v_add_co_ci_u32_e64 v31, null, s1, v5, vcc_lo
	s_delay_alu instid0(VALU_DEP_3) | instskip(NEXT) | instid1(VALU_DEP_1)
	v_ashrrev_i32_e32 v4, 31, v3
	v_lshlrev_b64_e32 v[4:5], 3, v[3:4]
	v_add_nc_u32_e32 v3, s5, v3
	s_delay_alu instid0(VALU_DEP_2) | instskip(SKIP_1) | instid1(VALU_DEP_3)
	v_add_co_u32 v32, vcc_lo, s0, v4
	s_wait_alu 0xfffd
	v_add_co_ci_u32_e64 v33, null, s1, v5, vcc_lo
	s_delay_alu instid0(VALU_DEP_3) | instskip(NEXT) | instid1(VALU_DEP_1)
	v_ashrrev_i32_e32 v4, 31, v3
	v_lshlrev_b64_e32 v[4:5], 3, v[3:4]
	v_add_nc_u32_e32 v3, s5, v3
	s_delay_alu instid0(VALU_DEP_2) | instskip(SKIP_1) | instid1(VALU_DEP_3)
	v_add_co_u32 v34, vcc_lo, s0, v4
	s_wait_alu 0xfffd
	v_add_co_ci_u32_e64 v35, null, s1, v5, vcc_lo
	s_delay_alu instid0(VALU_DEP_3) | instskip(NEXT) | instid1(VALU_DEP_1)
	v_ashrrev_i32_e32 v4, 31, v3
	v_lshlrev_b64_e32 v[4:5], 3, v[3:4]
	v_add_nc_u32_e32 v3, s5, v3
	s_delay_alu instid0(VALU_DEP_2) | instskip(SKIP_1) | instid1(VALU_DEP_3)
	v_add_co_u32 v36, vcc_lo, s0, v4
	s_wait_alu 0xfffd
	v_add_co_ci_u32_e64 v37, null, s1, v5, vcc_lo
	s_delay_alu instid0(VALU_DEP_3) | instskip(NEXT) | instid1(VALU_DEP_1)
	v_ashrrev_i32_e32 v4, 31, v3
	v_lshlrev_b64_e32 v[4:5], 3, v[3:4]
	v_add_nc_u32_e32 v3, s5, v3
	s_delay_alu instid0(VALU_DEP_2) | instskip(SKIP_1) | instid1(VALU_DEP_3)
	v_add_co_u32 v38, vcc_lo, s0, v4
	s_wait_alu 0xfffd
	v_add_co_ci_u32_e64 v39, null, s1, v5, vcc_lo
	s_delay_alu instid0(VALU_DEP_3) | instskip(NEXT) | instid1(VALU_DEP_1)
	v_ashrrev_i32_e32 v4, 31, v3
	v_lshlrev_b64_e32 v[4:5], 3, v[3:4]
	v_add_nc_u32_e32 v3, s5, v3
	s_delay_alu instid0(VALU_DEP_2) | instskip(SKIP_1) | instid1(VALU_DEP_3)
	v_add_co_u32 v40, vcc_lo, s0, v4
	s_wait_alu 0xfffd
	v_add_co_ci_u32_e64 v41, null, s1, v5, vcc_lo
	s_delay_alu instid0(VALU_DEP_3) | instskip(NEXT) | instid1(VALU_DEP_1)
	v_ashrrev_i32_e32 v4, 31, v3
	v_lshlrev_b64_e32 v[4:5], 3, v[3:4]
	v_add_nc_u32_e32 v3, s5, v3
	s_delay_alu instid0(VALU_DEP_2) | instskip(SKIP_1) | instid1(VALU_DEP_3)
	v_add_co_u32 v42, vcc_lo, s0, v4
	s_wait_alu 0xfffd
	v_add_co_ci_u32_e64 v43, null, s1, v5, vcc_lo
	s_delay_alu instid0(VALU_DEP_3) | instskip(NEXT) | instid1(VALU_DEP_1)
	v_ashrrev_i32_e32 v4, 31, v3
	v_lshlrev_b64_e32 v[4:5], 3, v[3:4]
	v_add_nc_u32_e32 v3, s5, v3
	s_delay_alu instid0(VALU_DEP_2) | instskip(SKIP_1) | instid1(VALU_DEP_3)
	v_add_co_u32 v44, vcc_lo, s0, v4
	s_wait_alu 0xfffd
	v_add_co_ci_u32_e64 v45, null, s1, v5, vcc_lo
	s_delay_alu instid0(VALU_DEP_3) | instskip(NEXT) | instid1(VALU_DEP_1)
	v_ashrrev_i32_e32 v4, 31, v3
	v_lshlrev_b64_e32 v[4:5], 3, v[3:4]
	v_add_nc_u32_e32 v3, s5, v3
	s_delay_alu instid0(VALU_DEP_2) | instskip(SKIP_1) | instid1(VALU_DEP_3)
	v_add_co_u32 v46, vcc_lo, s0, v4
	s_wait_alu 0xfffd
	v_add_co_ci_u32_e64 v47, null, s1, v5, vcc_lo
	s_delay_alu instid0(VALU_DEP_3) | instskip(NEXT) | instid1(VALU_DEP_1)
	v_ashrrev_i32_e32 v4, 31, v3
	v_lshlrev_b64_e32 v[4:5], 3, v[3:4]
	v_add_nc_u32_e32 v3, s5, v3
	s_delay_alu instid0(VALU_DEP_2) | instskip(SKIP_1) | instid1(VALU_DEP_3)
	v_add_co_u32 v48, vcc_lo, s0, v4
	s_wait_alu 0xfffd
	v_add_co_ci_u32_e64 v49, null, s1, v5, vcc_lo
	s_delay_alu instid0(VALU_DEP_3) | instskip(NEXT) | instid1(VALU_DEP_1)
	v_ashrrev_i32_e32 v4, 31, v3
	v_lshlrev_b64_e32 v[4:5], 3, v[3:4]
	v_add_nc_u32_e32 v3, s5, v3
	s_delay_alu instid0(VALU_DEP_2) | instskip(SKIP_1) | instid1(VALU_DEP_3)
	v_add_co_u32 v50, vcc_lo, s0, v4
	s_wait_alu 0xfffd
	v_add_co_ci_u32_e64 v51, null, s1, v5, vcc_lo
	s_delay_alu instid0(VALU_DEP_3) | instskip(NEXT) | instid1(VALU_DEP_1)
	v_ashrrev_i32_e32 v4, 31, v3
	v_lshlrev_b64_e32 v[4:5], 3, v[3:4]
	v_add_nc_u32_e32 v3, s5, v3
	s_delay_alu instid0(VALU_DEP_2) | instskip(SKIP_1) | instid1(VALU_DEP_3)
	v_add_co_u32 v52, vcc_lo, s0, v4
	s_wait_alu 0xfffd
	v_add_co_ci_u32_e64 v53, null, s1, v5, vcc_lo
	s_delay_alu instid0(VALU_DEP_3) | instskip(NEXT) | instid1(VALU_DEP_1)
	v_ashrrev_i32_e32 v4, 31, v3
	v_lshlrev_b64_e32 v[4:5], 3, v[3:4]
	v_add_nc_u32_e32 v3, s5, v3
	s_delay_alu instid0(VALU_DEP_2) | instskip(SKIP_1) | instid1(VALU_DEP_3)
	v_add_co_u32 v54, vcc_lo, s0, v4
	s_wait_alu 0xfffd
	v_add_co_ci_u32_e64 v55, null, s1, v5, vcc_lo
	s_delay_alu instid0(VALU_DEP_3) | instskip(NEXT) | instid1(VALU_DEP_1)
	v_ashrrev_i32_e32 v4, 31, v3
	v_lshlrev_b64_e32 v[4:5], 3, v[3:4]
	v_add_nc_u32_e32 v3, s5, v3
	s_delay_alu instid0(VALU_DEP_2) | instskip(SKIP_1) | instid1(VALU_DEP_3)
	v_add_co_u32 v56, vcc_lo, s0, v4
	s_wait_alu 0xfffd
	v_add_co_ci_u32_e64 v57, null, s1, v5, vcc_lo
	s_delay_alu instid0(VALU_DEP_3) | instskip(NEXT) | instid1(VALU_DEP_1)
	v_ashrrev_i32_e32 v4, 31, v3
	v_lshlrev_b64_e32 v[4:5], 3, v[3:4]
	v_add_nc_u32_e32 v3, s5, v3
	s_delay_alu instid0(VALU_DEP_2) | instskip(SKIP_1) | instid1(VALU_DEP_3)
	v_add_co_u32 v58, vcc_lo, s0, v4
	s_wait_alu 0xfffd
	v_add_co_ci_u32_e64 v59, null, s1, v5, vcc_lo
	s_delay_alu instid0(VALU_DEP_3) | instskip(NEXT) | instid1(VALU_DEP_1)
	v_ashrrev_i32_e32 v4, 31, v3
	v_lshlrev_b64_e32 v[4:5], 3, v[3:4]
	v_add_nc_u32_e32 v3, s5, v3
	s_delay_alu instid0(VALU_DEP_2) | instskip(SKIP_1) | instid1(VALU_DEP_3)
	v_add_co_u32 v60, vcc_lo, s0, v4
	s_wait_alu 0xfffd
	v_add_co_ci_u32_e64 v61, null, s1, v5, vcc_lo
	s_delay_alu instid0(VALU_DEP_3) | instskip(NEXT) | instid1(VALU_DEP_1)
	v_ashrrev_i32_e32 v4, 31, v3
	v_lshlrev_b64_e32 v[4:5], 3, v[3:4]
	v_add_nc_u32_e32 v3, s5, v3
	s_delay_alu instid0(VALU_DEP_2) | instskip(SKIP_1) | instid1(VALU_DEP_3)
	v_add_co_u32 v62, vcc_lo, s0, v4
	s_wait_alu 0xfffd
	v_add_co_ci_u32_e64 v63, null, s1, v5, vcc_lo
	s_delay_alu instid0(VALU_DEP_3) | instskip(NEXT) | instid1(VALU_DEP_1)
	v_ashrrev_i32_e32 v4, 31, v3
	v_lshlrev_b64_e32 v[4:5], 3, v[3:4]
	v_add_nc_u32_e32 v3, s5, v3
	s_delay_alu instid0(VALU_DEP_2) | instskip(SKIP_1) | instid1(VALU_DEP_3)
	v_add_co_u32 v64, vcc_lo, s0, v4
	s_wait_alu 0xfffd
	v_add_co_ci_u32_e64 v65, null, s1, v5, vcc_lo
	s_delay_alu instid0(VALU_DEP_3) | instskip(NEXT) | instid1(VALU_DEP_1)
	v_ashrrev_i32_e32 v4, 31, v3
	v_lshlrev_b64_e32 v[4:5], 3, v[3:4]
	v_add_nc_u32_e32 v3, s5, v3
	s_delay_alu instid0(VALU_DEP_2) | instskip(SKIP_1) | instid1(VALU_DEP_3)
	v_add_co_u32 v66, vcc_lo, s0, v4
	s_wait_alu 0xfffd
	v_add_co_ci_u32_e64 v67, null, s1, v5, vcc_lo
	s_delay_alu instid0(VALU_DEP_3) | instskip(NEXT) | instid1(VALU_DEP_1)
	v_ashrrev_i32_e32 v4, 31, v3
	v_lshlrev_b64_e32 v[4:5], 3, v[3:4]
	v_add_nc_u32_e32 v3, s5, v3
	s_delay_alu instid0(VALU_DEP_2) | instskip(SKIP_1) | instid1(VALU_DEP_3)
	v_add_co_u32 v68, vcc_lo, s0, v4
	s_wait_alu 0xfffd
	v_add_co_ci_u32_e64 v69, null, s1, v5, vcc_lo
	s_delay_alu instid0(VALU_DEP_3) | instskip(NEXT) | instid1(VALU_DEP_1)
	v_ashrrev_i32_e32 v4, 31, v3
	v_lshlrev_b64_e32 v[4:5], 3, v[3:4]
	s_wait_loadcnt_dscnt 0x0
	scratch_store_b64 off, v[1:2], off
	flat_load_b64 v[1:2], v[26:27]
	v_add_nc_u32_e32 v3, s5, v3
	v_add_co_u32 v70, vcc_lo, s0, v4
	s_wait_alu 0xfffd
	v_add_co_ci_u32_e64 v71, null, s1, v5, vcc_lo
	s_delay_alu instid0(VALU_DEP_3) | instskip(NEXT) | instid1(VALU_DEP_1)
	v_ashrrev_i32_e32 v4, 31, v3
	v_lshlrev_b64_e32 v[4:5], 3, v[3:4]
	v_add_nc_u32_e32 v3, s5, v3
	s_delay_alu instid0(VALU_DEP_2) | instskip(SKIP_1) | instid1(VALU_DEP_3)
	v_add_co_u32 v72, vcc_lo, s0, v4
	s_wait_alu 0xfffd
	v_add_co_ci_u32_e64 v73, null, s1, v5, vcc_lo
	s_delay_alu instid0(VALU_DEP_3) | instskip(NEXT) | instid1(VALU_DEP_1)
	v_ashrrev_i32_e32 v4, 31, v3
	v_lshlrev_b64_e32 v[4:5], 3, v[3:4]
	v_add_nc_u32_e32 v3, s5, v3
	s_delay_alu instid0(VALU_DEP_2) | instskip(SKIP_1) | instid1(VALU_DEP_3)
	v_add_co_u32 v74, vcc_lo, s0, v4
	s_wait_alu 0xfffd
	v_add_co_ci_u32_e64 v75, null, s1, v5, vcc_lo
	s_delay_alu instid0(VALU_DEP_3) | instskip(NEXT) | instid1(VALU_DEP_1)
	v_ashrrev_i32_e32 v4, 31, v3
	v_lshlrev_b64_e32 v[4:5], 3, v[3:4]
	v_add_nc_u32_e32 v3, s5, v3
	s_delay_alu instid0(VALU_DEP_2) | instskip(SKIP_1) | instid1(VALU_DEP_3)
	v_add_co_u32 v76, vcc_lo, s0, v4
	s_wait_alu 0xfffd
	v_add_co_ci_u32_e64 v77, null, s1, v5, vcc_lo
	s_delay_alu instid0(VALU_DEP_3) | instskip(NEXT) | instid1(VALU_DEP_1)
	v_ashrrev_i32_e32 v4, 31, v3
	v_lshlrev_b64_e32 v[4:5], 3, v[3:4]
	v_add_nc_u32_e32 v3, s5, v3
	s_delay_alu instid0(VALU_DEP_2) | instskip(SKIP_1) | instid1(VALU_DEP_3)
	v_add_co_u32 v78, vcc_lo, s0, v4
	s_wait_alu 0xfffd
	v_add_co_ci_u32_e64 v79, null, s1, v5, vcc_lo
	s_delay_alu instid0(VALU_DEP_3) | instskip(NEXT) | instid1(VALU_DEP_1)
	v_ashrrev_i32_e32 v4, 31, v3
	v_lshlrev_b64_e32 v[4:5], 3, v[3:4]
	v_add_nc_u32_e32 v3, s5, v3
	s_delay_alu instid0(VALU_DEP_2) | instskip(SKIP_1) | instid1(VALU_DEP_3)
	v_add_co_u32 v80, vcc_lo, s0, v4
	s_wait_alu 0xfffd
	v_add_co_ci_u32_e64 v81, null, s1, v5, vcc_lo
	s_delay_alu instid0(VALU_DEP_3) | instskip(NEXT) | instid1(VALU_DEP_1)
	v_ashrrev_i32_e32 v4, 31, v3
	v_lshlrev_b64_e32 v[4:5], 3, v[3:4]
	v_add_nc_u32_e32 v3, s5, v3
	s_delay_alu instid0(VALU_DEP_2) | instskip(SKIP_1) | instid1(VALU_DEP_3)
	v_add_co_u32 v82, vcc_lo, s0, v4
	s_wait_alu 0xfffd
	v_add_co_ci_u32_e64 v83, null, s1, v5, vcc_lo
	s_delay_alu instid0(VALU_DEP_3) | instskip(NEXT) | instid1(VALU_DEP_1)
	v_ashrrev_i32_e32 v4, 31, v3
	v_lshlrev_b64_e32 v[4:5], 3, v[3:4]
	v_add_nc_u32_e32 v3, s5, v3
	s_delay_alu instid0(VALU_DEP_2) | instskip(SKIP_1) | instid1(VALU_DEP_3)
	v_add_co_u32 v84, vcc_lo, s0, v4
	s_wait_alu 0xfffd
	v_add_co_ci_u32_e64 v85, null, s1, v5, vcc_lo
	s_delay_alu instid0(VALU_DEP_3) | instskip(NEXT) | instid1(VALU_DEP_1)
	v_ashrrev_i32_e32 v4, 31, v3
	v_lshlrev_b64_e32 v[4:5], 3, v[3:4]
	v_add_nc_u32_e32 v3, s5, v3
	s_delay_alu instid0(VALU_DEP_2) | instskip(SKIP_1) | instid1(VALU_DEP_3)
	v_add_co_u32 v86, vcc_lo, s0, v4
	s_wait_alu 0xfffd
	v_add_co_ci_u32_e64 v87, null, s1, v5, vcc_lo
	s_delay_alu instid0(VALU_DEP_3) | instskip(NEXT) | instid1(VALU_DEP_1)
	v_ashrrev_i32_e32 v4, 31, v3
	v_lshlrev_b64_e32 v[4:5], 3, v[3:4]
	v_add_nc_u32_e32 v3, s5, v3
	s_delay_alu instid0(VALU_DEP_2) | instskip(SKIP_1) | instid1(VALU_DEP_3)
	v_add_co_u32 v88, vcc_lo, s0, v4
	s_wait_alu 0xfffd
	v_add_co_ci_u32_e64 v89, null, s1, v5, vcc_lo
	s_delay_alu instid0(VALU_DEP_3) | instskip(NEXT) | instid1(VALU_DEP_1)
	v_ashrrev_i32_e32 v4, 31, v3
	v_lshlrev_b64_e32 v[4:5], 3, v[3:4]
	v_add_nc_u32_e32 v3, s5, v3
	s_delay_alu instid0(VALU_DEP_2) | instskip(SKIP_1) | instid1(VALU_DEP_3)
	v_add_co_u32 v90, vcc_lo, s0, v4
	s_wait_alu 0xfffd
	v_add_co_ci_u32_e64 v91, null, s1, v5, vcc_lo
	s_delay_alu instid0(VALU_DEP_3) | instskip(NEXT) | instid1(VALU_DEP_1)
	v_ashrrev_i32_e32 v4, 31, v3
	v_lshlrev_b64_e32 v[4:5], 3, v[3:4]
	v_add_nc_u32_e32 v3, s5, v3
	s_delay_alu instid0(VALU_DEP_2) | instskip(SKIP_1) | instid1(VALU_DEP_3)
	v_add_co_u32 v92, vcc_lo, s0, v4
	s_wait_alu 0xfffd
	v_add_co_ci_u32_e64 v93, null, s1, v5, vcc_lo
	s_delay_alu instid0(VALU_DEP_3) | instskip(NEXT) | instid1(VALU_DEP_1)
	v_ashrrev_i32_e32 v4, 31, v3
	v_lshlrev_b64_e32 v[4:5], 3, v[3:4]
	v_add_nc_u32_e32 v3, s5, v3
	s_delay_alu instid0(VALU_DEP_2) | instskip(SKIP_1) | instid1(VALU_DEP_3)
	v_add_co_u32 v94, vcc_lo, s0, v4
	s_wait_alu 0xfffd
	v_add_co_ci_u32_e64 v95, null, s1, v5, vcc_lo
	s_delay_alu instid0(VALU_DEP_3) | instskip(NEXT) | instid1(VALU_DEP_1)
	v_ashrrev_i32_e32 v4, 31, v3
	v_lshlrev_b64_e32 v[4:5], 3, v[3:4]
	v_add_nc_u32_e32 v3, s5, v3
	s_delay_alu instid0(VALU_DEP_2) | instskip(SKIP_1) | instid1(VALU_DEP_3)
	v_add_co_u32 v96, vcc_lo, s0, v4
	s_wait_alu 0xfffd
	v_add_co_ci_u32_e64 v97, null, s1, v5, vcc_lo
	s_delay_alu instid0(VALU_DEP_3) | instskip(NEXT) | instid1(VALU_DEP_1)
	v_ashrrev_i32_e32 v4, 31, v3
	v_lshlrev_b64_e32 v[4:5], 3, v[3:4]
	v_add_nc_u32_e32 v3, s5, v3
	s_delay_alu instid0(VALU_DEP_2) | instskip(SKIP_1) | instid1(VALU_DEP_3)
	v_add_co_u32 v98, vcc_lo, s0, v4
	s_wait_alu 0xfffd
	v_add_co_ci_u32_e64 v99, null, s1, v5, vcc_lo
	s_delay_alu instid0(VALU_DEP_3) | instskip(NEXT) | instid1(VALU_DEP_1)
	v_ashrrev_i32_e32 v4, 31, v3
	v_lshlrev_b64_e32 v[4:5], 3, v[3:4]
	v_add_nc_u32_e32 v3, s5, v3
	s_delay_alu instid0(VALU_DEP_2) | instskip(SKIP_1) | instid1(VALU_DEP_3)
	v_add_co_u32 v100, vcc_lo, s0, v4
	s_wait_alu 0xfffd
	v_add_co_ci_u32_e64 v101, null, s1, v5, vcc_lo
	s_delay_alu instid0(VALU_DEP_3) | instskip(NEXT) | instid1(VALU_DEP_1)
	v_ashrrev_i32_e32 v4, 31, v3
	v_lshlrev_b64_e32 v[4:5], 3, v[3:4]
	v_add_nc_u32_e32 v3, s5, v3
	s_delay_alu instid0(VALU_DEP_2) | instskip(SKIP_1) | instid1(VALU_DEP_3)
	v_add_co_u32 v102, vcc_lo, s0, v4
	s_wait_alu 0xfffd
	v_add_co_ci_u32_e64 v103, null, s1, v5, vcc_lo
	s_delay_alu instid0(VALU_DEP_3) | instskip(NEXT) | instid1(VALU_DEP_1)
	v_ashrrev_i32_e32 v4, 31, v3
	v_lshlrev_b64_e32 v[3:4], 3, v[3:4]
	s_delay_alu instid0(VALU_DEP_1) | instskip(SKIP_1) | instid1(VALU_DEP_2)
	v_add_co_u32 v104, vcc_lo, s0, v3
	s_wait_alu 0xfffd
	v_add_co_ci_u32_e64 v105, null, s1, v4, vcc_lo
	s_mov_b32 s1, -1
	s_wait_loadcnt_dscnt 0x0
	scratch_store_b64 off, v[1:2], off offset:8
	flat_load_b64 v[1:2], v[28:29]
	s_wait_loadcnt_dscnt 0x0
	scratch_store_b64 off, v[1:2], off offset:16
	flat_load_b64 v[1:2], v[30:31]
	;; [unrolled: 3-line block ×39, first 2 shown]
	s_wait_loadcnt_dscnt 0x0
	scratch_store_b64 off, v[1:2], off offset:320
	s_cbranch_scc1 .LBB104_176
; %bb.4:
	v_cmp_eq_u32_e64 s0, 0, v0
	s_and_saveexec_b32 s1, s0
; %bb.5:
	v_mov_b32_e32 v1, 0
	ds_store_b32 v1, v1 offset:328
; %bb.6:
	s_wait_alu 0xfffe
	s_or_b32 exec_lo, exec_lo, s1
	s_wait_storecnt_dscnt 0x0
	s_barrier_signal -1
	s_barrier_wait -1
	global_inv scope:SCOPE_SE
	scratch_load_b64 v[1:2], v7, off
	s_wait_loadcnt 0x0
	v_cmp_eq_f32_e32 vcc_lo, 0, v1
	v_cmp_eq_f32_e64 s1, 0, v2
	s_and_b32 s1, vcc_lo, s1
	s_wait_alu 0xfffe
	s_and_saveexec_b32 s4, s1
	s_cbranch_execz .LBB104_10
; %bb.7:
	v_mov_b32_e32 v1, 0
	s_mov_b32 s5, 0
	ds_load_b32 v2, v1 offset:328
	s_wait_dscnt 0x0
	v_readfirstlane_b32 s1, v2
	v_add_nc_u32_e32 v2, 1, v0
	s_cmp_eq_u32 s1, 0
	s_delay_alu instid0(VALU_DEP_1)
	v_cmp_gt_i32_e32 vcc_lo, s1, v2
	s_cselect_b32 s10, -1, 0
	s_wait_alu 0xfffe
	s_or_b32 s10, s10, vcc_lo
	s_wait_alu 0xfffe
	s_and_b32 exec_lo, exec_lo, s10
	s_cbranch_execz .LBB104_10
; %bb.8:
	v_mov_b32_e32 v3, s1
.LBB104_9:                              ; =>This Inner Loop Header: Depth=1
	ds_cmpstore_rtn_b32 v3, v1, v2, v3 offset:328
	s_wait_dscnt 0x0
	v_cmp_ne_u32_e32 vcc_lo, 0, v3
	v_cmp_le_i32_e64 s1, v3, v2
	s_and_b32 s1, vcc_lo, s1
	s_wait_alu 0xfffe
	s_and_b32 s1, exec_lo, s1
	s_wait_alu 0xfffe
	s_or_b32 s5, s1, s5
	s_wait_alu 0xfffe
	s_and_not1_b32 exec_lo, exec_lo, s5
	s_cbranch_execnz .LBB104_9
.LBB104_10:
	s_wait_alu 0xfffe
	s_or_b32 exec_lo, exec_lo, s4
	v_mov_b32_e32 v1, 0
	s_barrier_signal -1
	s_barrier_wait -1
	global_inv scope:SCOPE_SE
	ds_load_b32 v2, v1 offset:328
	s_and_saveexec_b32 s1, s0
	s_cbranch_execz .LBB104_12
; %bb.11:
	s_lshl_b64 s[4:5], s[8:9], 2
	s_wait_alu 0xfffe
	s_add_nc_u64 s[4:5], s[6:7], s[4:5]
	s_wait_dscnt 0x0
	global_store_b32 v1, v2, s[4:5]
.LBB104_12:
	s_wait_alu 0xfffe
	s_or_b32 exec_lo, exec_lo, s1
	s_wait_dscnt 0x0
	v_cmp_ne_u32_e32 vcc_lo, 0, v2
	s_mov_b32 s1, 0
	s_cbranch_vccnz .LBB104_176
; %bb.13:
	v_mov_b32_e32 v8, v7
                                        ; implicit-def: $vgpr3
                                        ; implicit-def: $vgpr5
	scratch_load_b64 v[1:2], v8, off
	s_wait_loadcnt 0x0
	v_cmp_ngt_f32_e64 s1, |v1|, |v2|
	s_wait_alu 0xfffe
	s_and_saveexec_b32 s4, s1
	s_wait_alu 0xfffe
	s_xor_b32 s1, exec_lo, s4
	s_cbranch_execz .LBB104_15
; %bb.14:
	v_div_scale_f32 v3, null, v2, v2, v1
	v_div_scale_f32 v6, vcc_lo, v1, v2, v1
	s_delay_alu instid0(VALU_DEP_2) | instskip(NEXT) | instid1(TRANS32_DEP_1)
	v_rcp_f32_e32 v4, v3
	v_fma_f32 v5, -v3, v4, 1.0
	s_delay_alu instid0(VALU_DEP_1) | instskip(NEXT) | instid1(VALU_DEP_1)
	v_fmac_f32_e32 v4, v5, v4
	v_mul_f32_e32 v5, v6, v4
	s_delay_alu instid0(VALU_DEP_1) | instskip(NEXT) | instid1(VALU_DEP_1)
	v_fma_f32 v9, -v3, v5, v6
	v_fmac_f32_e32 v5, v9, v4
	s_delay_alu instid0(VALU_DEP_1) | instskip(SKIP_1) | instid1(VALU_DEP_1)
	v_fma_f32 v3, -v3, v5, v6
	s_wait_alu 0xfffd
	v_div_fmas_f32 v3, v3, v4, v5
	s_delay_alu instid0(VALU_DEP_1) | instskip(NEXT) | instid1(VALU_DEP_1)
	v_div_fixup_f32 v3, v3, v2, v1
	v_fmac_f32_e32 v2, v1, v3
	s_delay_alu instid0(VALU_DEP_1) | instskip(NEXT) | instid1(VALU_DEP_1)
	v_div_scale_f32 v1, null, v2, v2, 1.0
	v_rcp_f32_e32 v4, v1
	s_delay_alu instid0(TRANS32_DEP_1) | instskip(NEXT) | instid1(VALU_DEP_1)
	v_fma_f32 v5, -v1, v4, 1.0
	v_fmac_f32_e32 v4, v5, v4
	v_div_scale_f32 v5, vcc_lo, 1.0, v2, 1.0
	s_delay_alu instid0(VALU_DEP_1) | instskip(NEXT) | instid1(VALU_DEP_1)
	v_mul_f32_e32 v6, v5, v4
	v_fma_f32 v9, -v1, v6, v5
	s_delay_alu instid0(VALU_DEP_1) | instskip(NEXT) | instid1(VALU_DEP_1)
	v_fmac_f32_e32 v6, v9, v4
	v_fma_f32 v1, -v1, v6, v5
	s_wait_alu 0xfffd
	s_delay_alu instid0(VALU_DEP_1) | instskip(NEXT) | instid1(VALU_DEP_1)
	v_div_fmas_f32 v1, v1, v4, v6
	v_div_fixup_f32 v1, v1, v2, 1.0
	s_delay_alu instid0(VALU_DEP_1) | instskip(SKIP_1) | instid1(VALU_DEP_2)
	v_mul_f32_e32 v3, v3, v1
	v_xor_b32_e32 v4, 0x80000000, v1
                                        ; implicit-def: $vgpr1_vgpr2
	v_xor_b32_e32 v5, 0x80000000, v3
.LBB104_15:
	s_wait_alu 0xfffe
	s_and_not1_saveexec_b32 s1, s1
	s_cbranch_execz .LBB104_17
; %bb.16:
	v_div_scale_f32 v3, null, v1, v1, v2
	v_div_scale_f32 v6, vcc_lo, v2, v1, v2
	s_delay_alu instid0(VALU_DEP_2) | instskip(NEXT) | instid1(TRANS32_DEP_1)
	v_rcp_f32_e32 v4, v3
	v_fma_f32 v5, -v3, v4, 1.0
	s_delay_alu instid0(VALU_DEP_1) | instskip(NEXT) | instid1(VALU_DEP_1)
	v_fmac_f32_e32 v4, v5, v4
	v_mul_f32_e32 v5, v6, v4
	s_delay_alu instid0(VALU_DEP_1) | instskip(NEXT) | instid1(VALU_DEP_1)
	v_fma_f32 v9, -v3, v5, v6
	v_fmac_f32_e32 v5, v9, v4
	s_delay_alu instid0(VALU_DEP_1) | instskip(SKIP_1) | instid1(VALU_DEP_1)
	v_fma_f32 v3, -v3, v5, v6
	s_wait_alu 0xfffd
	v_div_fmas_f32 v3, v3, v4, v5
	s_delay_alu instid0(VALU_DEP_1) | instskip(NEXT) | instid1(VALU_DEP_1)
	v_div_fixup_f32 v4, v3, v1, v2
	v_fmac_f32_e32 v1, v2, v4
	s_delay_alu instid0(VALU_DEP_1) | instskip(SKIP_1) | instid1(VALU_DEP_2)
	v_div_scale_f32 v2, null, v1, v1, 1.0
	v_div_scale_f32 v6, vcc_lo, 1.0, v1, 1.0
	v_rcp_f32_e32 v3, v2
	s_delay_alu instid0(TRANS32_DEP_1) | instskip(NEXT) | instid1(VALU_DEP_1)
	v_fma_f32 v5, -v2, v3, 1.0
	v_fmac_f32_e32 v3, v5, v3
	s_delay_alu instid0(VALU_DEP_1) | instskip(NEXT) | instid1(VALU_DEP_1)
	v_mul_f32_e32 v5, v6, v3
	v_fma_f32 v9, -v2, v5, v6
	s_delay_alu instid0(VALU_DEP_1) | instskip(NEXT) | instid1(VALU_DEP_1)
	v_fmac_f32_e32 v5, v9, v3
	v_fma_f32 v2, -v2, v5, v6
	s_wait_alu 0xfffd
	s_delay_alu instid0(VALU_DEP_1) | instskip(NEXT) | instid1(VALU_DEP_1)
	v_div_fmas_f32 v2, v2, v3, v5
	v_div_fixup_f32 v3, v2, v1, 1.0
	s_delay_alu instid0(VALU_DEP_1)
	v_xor_b32_e32 v5, 0x80000000, v3
	v_mul_f32_e64 v4, v4, -v3
.LBB104_17:
	s_wait_alu 0xfffe
	s_or_b32 exec_lo, exec_lo, s1
	scratch_store_b64 v8, v[3:4], off
	scratch_load_b64 v[2:3], off, off offset:8
	v_xor_b32_e32 v6, 0x80000000, v4
	v_add_nc_u32_e32 v1, 0x150, v7
	s_wait_loadcnt 0x0
	ds_store_2addr_b64 v7, v[5:6], v[2:3] offset1:42
	s_wait_storecnt_dscnt 0x0
	s_barrier_signal -1
	s_barrier_wait -1
	global_inv scope:SCOPE_SE
	s_and_saveexec_b32 s1, s0
	s_cbranch_execz .LBB104_19
; %bb.18:
	scratch_load_b64 v[2:3], v8, off
	ds_load_b64 v[4:5], v1
	v_mov_b32_e32 v6, 0
	ds_load_b64 v[9:10], v6 offset:8
	s_wait_loadcnt_dscnt 0x1
	v_mul_f32_e32 v6, v4, v3
	v_mul_f32_e32 v3, v5, v3
	s_delay_alu instid0(VALU_DEP_2) | instskip(NEXT) | instid1(VALU_DEP_2)
	v_fmac_f32_e32 v6, v5, v2
	v_fma_f32 v2, v4, v2, -v3
	s_delay_alu instid0(VALU_DEP_2) | instskip(NEXT) | instid1(VALU_DEP_2)
	v_add_f32_e32 v4, 0, v6
	v_add_f32_e32 v2, 0, v2
	s_wait_dscnt 0x0
	s_delay_alu instid0(VALU_DEP_2) | instskip(NEXT) | instid1(VALU_DEP_2)
	v_mul_f32_e32 v5, v4, v10
	v_mul_f32_e32 v3, v2, v10
	s_delay_alu instid0(VALU_DEP_2) | instskip(NEXT) | instid1(VALU_DEP_2)
	v_fma_f32 v2, v2, v9, -v5
	v_fmac_f32_e32 v3, v4, v9
	scratch_store_b64 off, v[2:3], off offset:8
.LBB104_19:
	s_wait_alu 0xfffe
	s_or_b32 exec_lo, exec_lo, s1
	s_wait_loadcnt 0x0
	s_wait_storecnt 0x0
	s_barrier_signal -1
	s_barrier_wait -1
	global_inv scope:SCOPE_SE
	scratch_load_b64 v[2:3], off, off offset:16
	s_mov_b32 s1, exec_lo
	s_wait_loadcnt 0x0
	ds_store_b64 v1, v[2:3]
	s_wait_dscnt 0x0
	s_barrier_signal -1
	s_barrier_wait -1
	global_inv scope:SCOPE_SE
	v_cmpx_gt_u32_e32 2, v0
	s_cbranch_execz .LBB104_23
; %bb.20:
	scratch_load_b64 v[2:3], v8, off
	ds_load_b64 v[4:5], v1
	s_wait_loadcnt_dscnt 0x0
	v_mul_f32_e32 v6, v5, v3
	v_mul_f32_e32 v9, v4, v3
	s_delay_alu instid0(VALU_DEP_2) | instskip(NEXT) | instid1(VALU_DEP_2)
	v_fma_f32 v3, v4, v2, -v6
	v_fmac_f32_e32 v9, v5, v2
	s_delay_alu instid0(VALU_DEP_1)
	v_dual_add_f32 v3, 0, v3 :: v_dual_add_f32 v2, 0, v9
	s_and_saveexec_b32 s4, s0
	s_cbranch_execz .LBB104_22
; %bb.21:
	scratch_load_b64 v[4:5], off, off offset:8
	v_mov_b32_e32 v6, 0
	ds_load_b64 v[9:10], v6 offset:344
	s_wait_loadcnt_dscnt 0x0
	v_mul_f32_e32 v6, v9, v5
	v_mul_f32_e32 v5, v10, v5
	s_delay_alu instid0(VALU_DEP_2) | instskip(NEXT) | instid1(VALU_DEP_2)
	v_fmac_f32_e32 v6, v10, v4
	v_fma_f32 v4, v9, v4, -v5
	s_delay_alu instid0(VALU_DEP_1)
	v_dual_add_f32 v2, v2, v6 :: v_dual_add_f32 v3, v3, v4
.LBB104_22:
	s_wait_alu 0xfffe
	s_or_b32 exec_lo, exec_lo, s4
	v_mov_b32_e32 v4, 0
	ds_load_b64 v[4:5], v4 offset:16
	s_wait_dscnt 0x0
	v_mul_f32_e32 v9, v2, v5
	v_mul_f32_e32 v6, v3, v5
	s_delay_alu instid0(VALU_DEP_2) | instskip(NEXT) | instid1(VALU_DEP_2)
	v_fma_f32 v5, v3, v4, -v9
	v_fmac_f32_e32 v6, v2, v4
	scratch_store_b64 off, v[5:6], off offset:16
.LBB104_23:
	s_wait_alu 0xfffe
	s_or_b32 exec_lo, exec_lo, s1
	s_wait_loadcnt 0x0
	s_wait_storecnt 0x0
	s_barrier_signal -1
	s_barrier_wait -1
	global_inv scope:SCOPE_SE
	scratch_load_b64 v[3:4], off, off offset:24
	v_add_nc_u32_e32 v2, -1, v0
	s_mov_b32 s0, exec_lo
	s_wait_loadcnt 0x0
	ds_store_b64 v1, v[3:4]
	s_wait_dscnt 0x0
	s_barrier_signal -1
	s_barrier_wait -1
	global_inv scope:SCOPE_SE
	v_cmpx_gt_u32_e32 3, v0
	s_cbranch_execz .LBB104_27
; %bb.24:
	v_dual_mov_b32 v3, 0 :: v_dual_add_nc_u32 v4, -1, v0
	v_dual_mov_b32 v6, v7 :: v_dual_add_nc_u32 v5, 0x150, v7
	v_mov_b32_e32 v9, 0
	s_mov_b32 s1, 0
.LBB104_25:                             ; =>This Inner Loop Header: Depth=1
	scratch_load_b64 v[10:11], v6, off
	ds_load_b64 v[12:13], v5
	v_add_nc_u32_e32 v4, 1, v4
	v_add_nc_u32_e32 v5, 8, v5
	s_delay_alu instid0(VALU_DEP_2)
	v_cmp_lt_u32_e32 vcc_lo, 1, v4
	s_wait_alu 0xfffe
	s_or_b32 s1, vcc_lo, s1
	s_wait_loadcnt_dscnt 0x0
	v_mul_f32_e32 v14, v13, v11
	v_mul_f32_e32 v11, v12, v11
	s_delay_alu instid0(VALU_DEP_2) | instskip(NEXT) | instid1(VALU_DEP_2)
	v_fma_f32 v12, v12, v10, -v14
	v_fmac_f32_e32 v11, v13, v10
	s_delay_alu instid0(VALU_DEP_2) | instskip(NEXT) | instid1(VALU_DEP_2)
	v_dual_add_f32 v9, v9, v12 :: v_dual_add_nc_u32 v6, 8, v6
	v_add_f32_e32 v3, v3, v11
	s_wait_alu 0xfffe
	s_and_not1_b32 exec_lo, exec_lo, s1
	s_cbranch_execnz .LBB104_25
; %bb.26:
	s_or_b32 exec_lo, exec_lo, s1
	v_mov_b32_e32 v4, 0
	ds_load_b64 v[4:5], v4 offset:24
	s_wait_dscnt 0x0
	v_mul_f32_e32 v10, v3, v5
	v_mul_f32_e32 v6, v9, v5
	s_delay_alu instid0(VALU_DEP_2) | instskip(NEXT) | instid1(VALU_DEP_2)
	v_fma_f32 v5, v9, v4, -v10
	v_fmac_f32_e32 v6, v3, v4
	scratch_store_b64 off, v[5:6], off offset:24
.LBB104_27:
	s_wait_alu 0xfffe
	s_or_b32 exec_lo, exec_lo, s0
	s_wait_loadcnt 0x0
	s_wait_storecnt 0x0
	s_barrier_signal -1
	s_barrier_wait -1
	global_inv scope:SCOPE_SE
	scratch_load_b64 v[3:4], off, off offset:32
	s_mov_b32 s0, exec_lo
	s_wait_loadcnt 0x0
	ds_store_b64 v1, v[3:4]
	s_wait_dscnt 0x0
	s_barrier_signal -1
	s_barrier_wait -1
	global_inv scope:SCOPE_SE
	v_cmpx_gt_u32_e32 4, v0
	s_cbranch_execz .LBB104_31
; %bb.28:
	v_dual_mov_b32 v3, 0 :: v_dual_add_nc_u32 v4, -1, v0
	v_dual_mov_b32 v6, v7 :: v_dual_add_nc_u32 v5, 0x150, v7
	v_mov_b32_e32 v9, 0
	s_mov_b32 s1, 0
.LBB104_29:                             ; =>This Inner Loop Header: Depth=1
	scratch_load_b64 v[10:11], v6, off
	ds_load_b64 v[12:13], v5
	v_add_nc_u32_e32 v4, 1, v4
	v_add_nc_u32_e32 v5, 8, v5
	s_delay_alu instid0(VALU_DEP_2)
	v_cmp_lt_u32_e32 vcc_lo, 2, v4
	s_wait_alu 0xfffe
	s_or_b32 s1, vcc_lo, s1
	s_wait_loadcnt_dscnt 0x0
	v_mul_f32_e32 v14, v13, v11
	v_mul_f32_e32 v11, v12, v11
	s_delay_alu instid0(VALU_DEP_2) | instskip(NEXT) | instid1(VALU_DEP_2)
	v_fma_f32 v12, v12, v10, -v14
	v_fmac_f32_e32 v11, v13, v10
	s_delay_alu instid0(VALU_DEP_2) | instskip(NEXT) | instid1(VALU_DEP_2)
	v_dual_add_f32 v9, v9, v12 :: v_dual_add_nc_u32 v6, 8, v6
	v_add_f32_e32 v3, v3, v11
	s_wait_alu 0xfffe
	s_and_not1_b32 exec_lo, exec_lo, s1
	s_cbranch_execnz .LBB104_29
; %bb.30:
	s_or_b32 exec_lo, exec_lo, s1
	v_mov_b32_e32 v4, 0
	ds_load_b64 v[4:5], v4 offset:32
	s_wait_dscnt 0x0
	v_mul_f32_e32 v10, v3, v5
	v_mul_f32_e32 v6, v9, v5
	s_delay_alu instid0(VALU_DEP_2) | instskip(NEXT) | instid1(VALU_DEP_2)
	v_fma_f32 v5, v9, v4, -v10
	v_fmac_f32_e32 v6, v3, v4
	scratch_store_b64 off, v[5:6], off offset:32
.LBB104_31:
	s_wait_alu 0xfffe
	s_or_b32 exec_lo, exec_lo, s0
	s_wait_loadcnt 0x0
	s_wait_storecnt 0x0
	s_barrier_signal -1
	s_barrier_wait -1
	global_inv scope:SCOPE_SE
	scratch_load_b64 v[3:4], off, off offset:40
	;; [unrolled: 55-line block ×19, first 2 shown]
	s_mov_b32 s0, exec_lo
	s_wait_loadcnt 0x0
	ds_store_b64 v1, v[3:4]
	s_wait_dscnt 0x0
	s_barrier_signal -1
	s_barrier_wait -1
	global_inv scope:SCOPE_SE
	v_cmpx_gt_u32_e32 22, v0
	s_cbranch_execz .LBB104_103
; %bb.100:
	v_dual_mov_b32 v3, 0 :: v_dual_add_nc_u32 v4, -1, v0
	v_dual_mov_b32 v6, v7 :: v_dual_add_nc_u32 v5, 0x150, v7
	v_mov_b32_e32 v9, 0
	s_mov_b32 s1, 0
.LBB104_101:                            ; =>This Inner Loop Header: Depth=1
	scratch_load_b64 v[10:11], v6, off
	ds_load_b64 v[12:13], v5
	v_add_nc_u32_e32 v4, 1, v4
	v_add_nc_u32_e32 v5, 8, v5
	s_delay_alu instid0(VALU_DEP_2)
	v_cmp_lt_u32_e32 vcc_lo, 20, v4
	s_wait_alu 0xfffe
	s_or_b32 s1, vcc_lo, s1
	s_wait_loadcnt_dscnt 0x0
	v_mul_f32_e32 v14, v13, v11
	v_mul_f32_e32 v11, v12, v11
	s_delay_alu instid0(VALU_DEP_2) | instskip(NEXT) | instid1(VALU_DEP_2)
	v_fma_f32 v12, v12, v10, -v14
	v_fmac_f32_e32 v11, v13, v10
	s_delay_alu instid0(VALU_DEP_2) | instskip(NEXT) | instid1(VALU_DEP_2)
	v_dual_add_f32 v9, v9, v12 :: v_dual_add_nc_u32 v6, 8, v6
	v_add_f32_e32 v3, v3, v11
	s_wait_alu 0xfffe
	s_and_not1_b32 exec_lo, exec_lo, s1
	s_cbranch_execnz .LBB104_101
; %bb.102:
	s_or_b32 exec_lo, exec_lo, s1
	v_mov_b32_e32 v4, 0
	ds_load_b64 v[4:5], v4 offset:176
	s_wait_dscnt 0x0
	v_mul_f32_e32 v10, v3, v5
	v_mul_f32_e32 v6, v9, v5
	s_delay_alu instid0(VALU_DEP_2) | instskip(NEXT) | instid1(VALU_DEP_2)
	v_fma_f32 v5, v9, v4, -v10
	v_fmac_f32_e32 v6, v3, v4
	scratch_store_b64 off, v[5:6], off offset:176
.LBB104_103:
	s_wait_alu 0xfffe
	s_or_b32 exec_lo, exec_lo, s0
	s_wait_loadcnt 0x0
	s_wait_storecnt 0x0
	s_barrier_signal -1
	s_barrier_wait -1
	global_inv scope:SCOPE_SE
	scratch_load_b64 v[3:4], off, off offset:184
	s_mov_b32 s0, exec_lo
	s_wait_loadcnt 0x0
	ds_store_b64 v1, v[3:4]
	s_wait_dscnt 0x0
	s_barrier_signal -1
	s_barrier_wait -1
	global_inv scope:SCOPE_SE
	v_cmpx_gt_u32_e32 23, v0
	s_cbranch_execz .LBB104_107
; %bb.104:
	v_dual_mov_b32 v3, 0 :: v_dual_add_nc_u32 v4, -1, v0
	v_dual_mov_b32 v6, v7 :: v_dual_add_nc_u32 v5, 0x150, v7
	v_mov_b32_e32 v9, 0
	s_mov_b32 s1, 0
.LBB104_105:                            ; =>This Inner Loop Header: Depth=1
	scratch_load_b64 v[10:11], v6, off
	ds_load_b64 v[12:13], v5
	v_add_nc_u32_e32 v4, 1, v4
	v_add_nc_u32_e32 v5, 8, v5
	s_delay_alu instid0(VALU_DEP_2)
	v_cmp_lt_u32_e32 vcc_lo, 21, v4
	s_wait_alu 0xfffe
	s_or_b32 s1, vcc_lo, s1
	s_wait_loadcnt_dscnt 0x0
	v_mul_f32_e32 v14, v13, v11
	v_mul_f32_e32 v11, v12, v11
	s_delay_alu instid0(VALU_DEP_2) | instskip(NEXT) | instid1(VALU_DEP_2)
	v_fma_f32 v12, v12, v10, -v14
	v_fmac_f32_e32 v11, v13, v10
	s_delay_alu instid0(VALU_DEP_2) | instskip(NEXT) | instid1(VALU_DEP_2)
	v_dual_add_f32 v9, v9, v12 :: v_dual_add_nc_u32 v6, 8, v6
	v_add_f32_e32 v3, v3, v11
	s_wait_alu 0xfffe
	s_and_not1_b32 exec_lo, exec_lo, s1
	s_cbranch_execnz .LBB104_105
; %bb.106:
	s_or_b32 exec_lo, exec_lo, s1
	v_mov_b32_e32 v4, 0
	ds_load_b64 v[4:5], v4 offset:184
	s_wait_dscnt 0x0
	v_mul_f32_e32 v10, v3, v5
	v_mul_f32_e32 v6, v9, v5
	s_delay_alu instid0(VALU_DEP_2) | instskip(NEXT) | instid1(VALU_DEP_2)
	v_fma_f32 v5, v9, v4, -v10
	v_fmac_f32_e32 v6, v3, v4
	scratch_store_b64 off, v[5:6], off offset:184
.LBB104_107:
	s_wait_alu 0xfffe
	s_or_b32 exec_lo, exec_lo, s0
	s_wait_loadcnt 0x0
	s_wait_storecnt 0x0
	s_barrier_signal -1
	s_barrier_wait -1
	global_inv scope:SCOPE_SE
	scratch_load_b64 v[3:4], off, off offset:192
	;; [unrolled: 55-line block ×17, first 2 shown]
	s_mov_b32 s0, exec_lo
	s_wait_loadcnt 0x0
	ds_store_b64 v1, v[3:4]
	s_wait_dscnt 0x0
	s_barrier_signal -1
	s_barrier_wait -1
	global_inv scope:SCOPE_SE
	v_cmpx_gt_u32_e32 39, v0
	s_cbranch_execz .LBB104_171
; %bb.168:
	v_dual_mov_b32 v3, 0 :: v_dual_add_nc_u32 v4, -1, v0
	v_dual_mov_b32 v6, v7 :: v_dual_add_nc_u32 v5, 0x150, v7
	v_mov_b32_e32 v7, 0
	s_mov_b32 s1, 0
.LBB104_169:                            ; =>This Inner Loop Header: Depth=1
	scratch_load_b64 v[9:10], v6, off
	ds_load_b64 v[11:12], v5
	v_add_nc_u32_e32 v6, 8, v6
	v_add_nc_u32_e32 v4, 1, v4
	;; [unrolled: 1-line block ×3, first 2 shown]
	s_delay_alu instid0(VALU_DEP_2)
	v_cmp_lt_u32_e32 vcc_lo, 37, v4
	s_wait_alu 0xfffe
	s_or_b32 s1, vcc_lo, s1
	s_wait_loadcnt_dscnt 0x0
	v_mul_f32_e32 v13, v12, v10
	v_mul_f32_e32 v10, v11, v10
	s_delay_alu instid0(VALU_DEP_2) | instskip(NEXT) | instid1(VALU_DEP_1)
	v_fma_f32 v11, v11, v9, -v13
	v_dual_fmac_f32 v10, v12, v9 :: v_dual_add_f32 v7, v7, v11
	s_delay_alu instid0(VALU_DEP_1)
	v_add_f32_e32 v3, v3, v10
	s_wait_alu 0xfffe
	s_and_not1_b32 exec_lo, exec_lo, s1
	s_cbranch_execnz .LBB104_169
; %bb.170:
	s_or_b32 exec_lo, exec_lo, s1
	v_mov_b32_e32 v4, 0
	ds_load_b64 v[4:5], v4 offset:312
	s_wait_dscnt 0x0
	v_mul_f32_e32 v9, v3, v5
	v_mul_f32_e32 v6, v7, v5
	s_delay_alu instid0(VALU_DEP_2) | instskip(NEXT) | instid1(VALU_DEP_2)
	v_fma_f32 v5, v7, v4, -v9
	v_fmac_f32_e32 v6, v3, v4
	scratch_store_b64 off, v[5:6], off offset:312
.LBB104_171:
	s_wait_alu 0xfffe
	s_or_b32 exec_lo, exec_lo, s0
	s_wait_loadcnt 0x0
	s_wait_storecnt 0x0
	s_barrier_signal -1
	s_barrier_wait -1
	global_inv scope:SCOPE_SE
	scratch_load_b64 v[3:4], off, off offset:320
	s_mov_b32 s0, exec_lo
	s_wait_loadcnt 0x0
	ds_store_b64 v1, v[3:4]
	s_wait_dscnt 0x0
	s_barrier_signal -1
	s_barrier_wait -1
	global_inv scope:SCOPE_SE
	v_cmpx_ne_u32_e32 40, v0
	s_cbranch_execz .LBB104_175
; %bb.172:
	v_dual_mov_b32 v3, 0 :: v_dual_mov_b32 v4, 0
	s_mov_b32 s1, 0
.LBB104_173:                            ; =>This Inner Loop Header: Depth=1
	scratch_load_b64 v[5:6], v8, off
	ds_load_b64 v[9:10], v1
	v_add_nc_u32_e32 v2, 1, v2
	v_add_nc_u32_e32 v1, 8, v1
	;; [unrolled: 1-line block ×3, first 2 shown]
	s_delay_alu instid0(VALU_DEP_3)
	v_cmp_lt_u32_e32 vcc_lo, 38, v2
	s_wait_alu 0xfffe
	s_or_b32 s1, vcc_lo, s1
	s_wait_loadcnt_dscnt 0x0
	v_mul_f32_e32 v7, v10, v6
	v_mul_f32_e32 v6, v9, v6
	s_delay_alu instid0(VALU_DEP_2) | instskip(NEXT) | instid1(VALU_DEP_2)
	v_fma_f32 v7, v9, v5, -v7
	v_fmac_f32_e32 v6, v10, v5
	s_delay_alu instid0(VALU_DEP_1)
	v_dual_add_f32 v4, v4, v7 :: v_dual_add_f32 v3, v3, v6
	s_wait_alu 0xfffe
	s_and_not1_b32 exec_lo, exec_lo, s1
	s_cbranch_execnz .LBB104_173
; %bb.174:
	s_or_b32 exec_lo, exec_lo, s1
	v_mov_b32_e32 v1, 0
	ds_load_b64 v[1:2], v1 offset:320
	s_wait_dscnt 0x0
	v_mul_f32_e32 v6, v3, v2
	v_mul_f32_e32 v5, v4, v2
	s_delay_alu instid0(VALU_DEP_2) | instskip(NEXT) | instid1(VALU_DEP_2)
	v_fma_f32 v4, v4, v1, -v6
	v_fmac_f32_e32 v5, v3, v1
	scratch_store_b64 off, v[4:5], off offset:320
.LBB104_175:
	s_wait_alu 0xfffe
	s_or_b32 exec_lo, exec_lo, s0
	s_mov_b32 s1, -1
	s_wait_loadcnt 0x0
	s_wait_storecnt 0x0
	s_barrier_signal -1
	s_barrier_wait -1
	global_inv scope:SCOPE_SE
.LBB104_176:
	s_wait_alu 0xfffe
	s_and_b32 vcc_lo, exec_lo, s1
	s_wait_alu 0xfffe
	s_cbranch_vccz .LBB104_178
; %bb.177:
	v_mov_b32_e32 v1, 0
	s_lshl_b64 s[0:1], s[8:9], 2
	s_wait_alu 0xfffe
	s_add_nc_u64 s[0:1], s[6:7], s[0:1]
	global_load_b32 v1, v1, s[0:1]
	s_wait_loadcnt 0x0
	v_cmp_ne_u32_e32 vcc_lo, 0, v1
	s_cbranch_vccz .LBB104_179
.LBB104_178:
	s_nop 0
	s_sendmsg sendmsg(MSG_DEALLOC_VGPRS)
	s_endpgm
.LBB104_179:
	v_lshl_add_u32 v23, v0, 3, 0x150
	s_mov_b32 s0, exec_lo
	v_cmpx_eq_u32_e32 40, v0
	s_cbranch_execz .LBB104_181
; %bb.180:
	scratch_load_b64 v[1:2], off, off offset:312
	v_mov_b32_e32 v3, 0
	s_delay_alu instid0(VALU_DEP_1)
	v_mov_b32_e32 v4, v3
	scratch_store_b64 off, v[3:4], off offset:312
	s_wait_loadcnt 0x0
	ds_store_b64 v23, v[1:2]
.LBB104_181:
	s_wait_alu 0xfffe
	s_or_b32 exec_lo, exec_lo, s0
	s_wait_storecnt_dscnt 0x0
	s_barrier_signal -1
	s_barrier_wait -1
	global_inv scope:SCOPE_SE
	s_clause 0x1
	scratch_load_b64 v[2:3], off, off offset:320
	scratch_load_b64 v[4:5], off, off offset:312
	v_mov_b32_e32 v1, 0
	s_mov_b32 s0, exec_lo
	ds_load_b64 v[6:7], v1 offset:656
	s_wait_loadcnt_dscnt 0x100
	v_mul_f32_e32 v8, v7, v3
	v_mul_f32_e32 v3, v6, v3
	s_delay_alu instid0(VALU_DEP_2) | instskip(NEXT) | instid1(VALU_DEP_2)
	v_fma_f32 v6, v6, v2, -v8
	v_fmac_f32_e32 v3, v7, v2
	s_delay_alu instid0(VALU_DEP_1) | instskip(SKIP_1) | instid1(VALU_DEP_1)
	v_dual_add_f32 v2, 0, v6 :: v_dual_add_f32 v3, 0, v3
	s_wait_loadcnt 0x0
	v_dual_sub_f32 v2, v4, v2 :: v_dual_sub_f32 v3, v5, v3
	scratch_store_b64 off, v[2:3], off offset:312
	v_cmpx_lt_u32_e32 38, v0
	s_cbranch_execz .LBB104_183
; %bb.182:
	scratch_load_b64 v[3:4], off, off offset:304
	v_mov_b32_e32 v2, v1
	scratch_store_b64 off, v[1:2], off offset:304
	s_wait_loadcnt 0x0
	ds_store_b64 v23, v[3:4]
.LBB104_183:
	s_wait_alu 0xfffe
	s_or_b32 exec_lo, exec_lo, s0
	s_wait_storecnt_dscnt 0x0
	s_barrier_signal -1
	s_barrier_wait -1
	global_inv scope:SCOPE_SE
	s_clause 0x1
	scratch_load_b128 v[2:5], off, off offset:312
	scratch_load_b64 v[10:11], off, off offset:304
	ds_load_2addr_b64 v[6:9], v1 offset0:81 offset1:82
	s_mov_b32 s0, exec_lo
	s_wait_loadcnt_dscnt 0x100
	v_dual_mul_f32 v1, v7, v3 :: v_dual_mul_f32 v12, v8, v5
	v_mul_f32_e32 v3, v6, v3
	s_delay_alu instid0(VALU_DEP_2) | instskip(NEXT) | instid1(VALU_DEP_2)
	v_fma_f32 v1, v6, v2, -v1
	v_dual_fmac_f32 v12, v9, v4 :: v_dual_fmac_f32 v3, v7, v2
	s_delay_alu instid0(VALU_DEP_2) | instskip(NEXT) | instid1(VALU_DEP_2)
	v_add_f32_e32 v1, 0, v1
	v_add_f32_e32 v3, 0, v3
	v_mul_f32_e32 v5, v9, v5
	s_delay_alu instid0(VALU_DEP_1) | instskip(NEXT) | instid1(VALU_DEP_1)
	v_fma_f32 v2, v8, v4, -v5
	v_dual_add_f32 v1, v1, v2 :: v_dual_add_f32 v2, v3, v12
	s_wait_loadcnt 0x0
	s_delay_alu instid0(VALU_DEP_1)
	v_dual_sub_f32 v1, v10, v1 :: v_dual_sub_f32 v2, v11, v2
	scratch_store_b64 off, v[1:2], off offset:304
	v_cmpx_lt_u32_e32 37, v0
	s_cbranch_execz .LBB104_185
; %bb.184:
	scratch_load_b64 v[1:2], off, off offset:296
	v_mov_b32_e32 v3, 0
	s_delay_alu instid0(VALU_DEP_1)
	v_mov_b32_e32 v4, v3
	scratch_store_b64 off, v[3:4], off offset:296
	s_wait_loadcnt 0x0
	ds_store_b64 v23, v[1:2]
.LBB104_185:
	s_wait_alu 0xfffe
	s_or_b32 exec_lo, exec_lo, s0
	s_wait_storecnt_dscnt 0x0
	s_barrier_signal -1
	s_barrier_wait -1
	global_inv scope:SCOPE_SE
	s_clause 0x2
	scratch_load_b128 v[2:5], off, off offset:304
	scratch_load_b64 v[10:11], off, off offset:320
	scratch_load_b64 v[12:13], off, off offset:296
	v_mov_b32_e32 v1, 0
	ds_load_b128 v[6:9], v1 offset:640
	ds_load_b64 v[14:15], v1 offset:656
	s_mov_b32 s0, exec_lo
	s_wait_loadcnt_dscnt 0x201
	v_dual_mul_f32 v16, v7, v3 :: v_dual_mul_f32 v17, v8, v5
	s_wait_loadcnt_dscnt 0x100
	v_mul_f32_e32 v18, v14, v11
	v_mul_f32_e32 v3, v6, v3
	;; [unrolled: 1-line block ×3, first 2 shown]
	v_fma_f32 v6, v6, v2, -v16
	s_delay_alu instid0(VALU_DEP_4) | instskip(NEXT) | instid1(VALU_DEP_4)
	v_fmac_f32_e32 v18, v15, v10
	v_fmac_f32_e32 v3, v7, v2
	v_mul_f32_e32 v2, v15, v11
	s_delay_alu instid0(VALU_DEP_1) | instskip(SKIP_3) | instid1(VALU_DEP_1)
	v_fma_f32 v2, v14, v10, -v2
	v_fmac_f32_e32 v17, v9, v4
	v_fma_f32 v4, v8, v4, -v5
	v_add_f32_e32 v5, 0, v6
	v_add_f32_e32 v4, v5, v4
	s_delay_alu instid0(VALU_DEP_1) | instskip(SKIP_1) | instid1(VALU_DEP_1)
	v_dual_add_f32 v2, v4, v2 :: v_dual_add_f32 v3, 0, v3
	s_wait_loadcnt 0x0
	v_dual_sub_f32 v2, v12, v2 :: v_dual_add_f32 v3, v3, v17
	s_delay_alu instid0(VALU_DEP_1) | instskip(NEXT) | instid1(VALU_DEP_1)
	v_add_f32_e32 v3, v3, v18
	v_sub_f32_e32 v3, v13, v3
	scratch_store_b64 off, v[2:3], off offset:296
	v_cmpx_lt_u32_e32 36, v0
	s_cbranch_execz .LBB104_187
; %bb.186:
	scratch_load_b64 v[3:4], off, off offset:288
	v_mov_b32_e32 v2, v1
	scratch_store_b64 off, v[1:2], off offset:288
	s_wait_loadcnt 0x0
	ds_store_b64 v23, v[3:4]
.LBB104_187:
	s_wait_alu 0xfffe
	s_or_b32 exec_lo, exec_lo, s0
	s_wait_storecnt_dscnt 0x0
	s_barrier_signal -1
	s_barrier_wait -1
	global_inv scope:SCOPE_SE
	s_clause 0x2
	scratch_load_b128 v[2:5], off, off offset:296
	scratch_load_b128 v[6:9], off, off offset:312
	scratch_load_b64 v[18:19], off, off offset:288
	ds_load_2addr_b64 v[10:13], v1 offset0:79 offset1:80
	ds_load_2addr_b64 v[14:17], v1 offset0:81 offset1:82
	s_mov_b32 s0, exec_lo
	s_wait_loadcnt_dscnt 0x201
	v_dual_mul_f32 v1, v10, v3 :: v_dual_mul_f32 v20, v12, v5
	s_wait_loadcnt_dscnt 0x100
	v_dual_mul_f32 v3, v11, v3 :: v_dual_mul_f32 v22, v16, v9
	v_mul_f32_e32 v5, v13, v5
	s_delay_alu instid0(VALU_DEP_3) | instskip(NEXT) | instid1(VALU_DEP_3)
	v_dual_mul_f32 v21, v14, v7 :: v_dual_fmac_f32 v20, v13, v4
	v_fma_f32 v3, v10, v2, -v3
	s_delay_alu instid0(VALU_DEP_4) | instskip(SKIP_2) | instid1(VALU_DEP_4)
	v_dual_fmac_f32 v1, v11, v2 :: v_dual_fmac_f32 v22, v17, v8
	v_mul_f32_e32 v2, v15, v7
	v_fma_f32 v4, v12, v4, -v5
	v_add_f32_e32 v3, 0, v3
	v_fmac_f32_e32 v21, v15, v6
	s_delay_alu instid0(VALU_DEP_4) | instskip(NEXT) | instid1(VALU_DEP_3)
	v_fma_f32 v2, v14, v6, -v2
	v_add_f32_e32 v3, v3, v4
	s_delay_alu instid0(VALU_DEP_1) | instskip(NEXT) | instid1(VALU_DEP_1)
	v_dual_add_f32 v1, 0, v1 :: v_dual_add_f32 v2, v3, v2
	v_add_f32_e32 v1, v1, v20
	s_delay_alu instid0(VALU_DEP_1) | instskip(NEXT) | instid1(VALU_DEP_1)
	v_add_f32_e32 v1, v1, v21
	v_add_f32_e32 v3, v1, v22
	v_mul_f32_e32 v5, v17, v9
	s_delay_alu instid0(VALU_DEP_1) | instskip(NEXT) | instid1(VALU_DEP_1)
	v_fma_f32 v4, v16, v8, -v5
	v_add_f32_e32 v2, v2, v4
	s_wait_loadcnt 0x0
	s_delay_alu instid0(VALU_DEP_1)
	v_dual_sub_f32 v1, v18, v2 :: v_dual_sub_f32 v2, v19, v3
	scratch_store_b64 off, v[1:2], off offset:288
	v_cmpx_lt_u32_e32 35, v0
	s_cbranch_execz .LBB104_189
; %bb.188:
	scratch_load_b64 v[1:2], off, off offset:280
	v_mov_b32_e32 v3, 0
	s_delay_alu instid0(VALU_DEP_1)
	v_mov_b32_e32 v4, v3
	scratch_store_b64 off, v[3:4], off offset:280
	s_wait_loadcnt 0x0
	ds_store_b64 v23, v[1:2]
.LBB104_189:
	s_wait_alu 0xfffe
	s_or_b32 exec_lo, exec_lo, s0
	s_wait_storecnt_dscnt 0x0
	s_barrier_signal -1
	s_barrier_wait -1
	global_inv scope:SCOPE_SE
	s_clause 0x3
	scratch_load_b128 v[2:5], off, off offset:288
	scratch_load_b128 v[6:9], off, off offset:304
	scratch_load_b64 v[18:19], off, off offset:320
	scratch_load_b64 v[20:21], off, off offset:280
	v_mov_b32_e32 v1, 0
	ds_load_b128 v[10:13], v1 offset:624
	ds_load_b128 v[14:17], v1 offset:640
	ds_load_b64 v[106:107], v1 offset:656
	s_mov_b32 s0, exec_lo
	s_wait_loadcnt_dscnt 0x302
	v_mul_f32_e32 v22, v10, v3
	v_dual_mul_f32 v108, v12, v5 :: v_dual_mul_f32 v3, v11, v3
	v_mul_f32_e32 v5, v13, v5
	s_wait_loadcnt_dscnt 0x100
	s_delay_alu instid0(VALU_DEP_3)
	v_dual_mul_f32 v111, v106, v19 :: v_dual_fmac_f32 v22, v11, v2
	v_dual_mul_f32 v109, v14, v7 :: v_dual_mul_f32 v110, v16, v9
	v_fma_f32 v3, v10, v2, -v3
	v_mul_f32_e32 v2, v15, v7
	v_fmac_f32_e32 v108, v13, v4
	v_fma_f32 v4, v12, v4, -v5
	v_dual_add_f32 v5, 0, v22 :: v_dual_fmac_f32 v110, v17, v8
	v_add_f32_e32 v3, 0, v3
	v_fma_f32 v2, v14, v6, -v2
	v_fmac_f32_e32 v109, v15, v6
	v_fmac_f32_e32 v111, v107, v18
	s_delay_alu instid0(VALU_DEP_4) | instskip(SKIP_2) | instid1(VALU_DEP_3)
	v_add_f32_e32 v3, v3, v4
	v_mul_f32_e32 v7, v17, v9
	v_add_f32_e32 v4, v5, v108
	v_add_f32_e32 v2, v3, v2
	s_delay_alu instid0(VALU_DEP_3) | instskip(NEXT) | instid1(VALU_DEP_1)
	v_fma_f32 v6, v16, v8, -v7
	v_dual_add_f32 v3, v4, v109 :: v_dual_add_f32 v2, v2, v6
	v_mul_f32_e32 v5, v107, v19
	s_delay_alu instid0(VALU_DEP_2) | instskip(NEXT) | instid1(VALU_DEP_2)
	v_add_f32_e32 v3, v3, v110
	v_fma_f32 v4, v106, v18, -v5
	s_delay_alu instid0(VALU_DEP_1) | instskip(SKIP_1) | instid1(VALU_DEP_1)
	v_dual_add_f32 v2, v2, v4 :: v_dual_add_f32 v3, v3, v111
	s_wait_loadcnt 0x0
	v_dual_sub_f32 v2, v20, v2 :: v_dual_sub_f32 v3, v21, v3
	scratch_store_b64 off, v[2:3], off offset:280
	v_cmpx_lt_u32_e32 34, v0
	s_cbranch_execz .LBB104_191
; %bb.190:
	scratch_load_b64 v[3:4], off, off offset:272
	v_mov_b32_e32 v2, v1
	scratch_store_b64 off, v[1:2], off offset:272
	s_wait_loadcnt 0x0
	ds_store_b64 v23, v[3:4]
.LBB104_191:
	s_wait_alu 0xfffe
	s_or_b32 exec_lo, exec_lo, s0
	s_wait_storecnt_dscnt 0x0
	s_barrier_signal -1
	s_barrier_wait -1
	global_inv scope:SCOPE_SE
	s_clause 0x3
	scratch_load_b128 v[2:5], off, off offset:280
	scratch_load_b128 v[6:9], off, off offset:296
	;; [unrolled: 1-line block ×3, first 2 shown]
	scratch_load_b64 v[110:111], off, off offset:272
	ds_load_2addr_b64 v[14:17], v1 offset0:77 offset1:78
	ds_load_2addr_b64 v[18:21], v1 offset0:79 offset1:80
	;; [unrolled: 1-line block ×3, first 2 shown]
	s_mov_b32 s0, exec_lo
	s_wait_loadcnt_dscnt 0x302
	v_dual_mul_f32 v1, v14, v3 :: v_dual_mul_f32 v22, v16, v5
	v_mul_f32_e32 v3, v15, v3
	s_wait_loadcnt_dscnt 0x201
	v_dual_mul_f32 v5, v17, v5 :: v_dual_mul_f32 v112, v18, v7
	s_delay_alu instid0(VALU_DEP_3) | instskip(NEXT) | instid1(VALU_DEP_3)
	v_dual_mul_f32 v113, v20, v9 :: v_dual_fmac_f32 v22, v17, v4
	v_fma_f32 v3, v14, v2, -v3
	v_fmac_f32_e32 v1, v15, v2
	v_mul_f32_e32 v2, v19, v7
	v_fma_f32 v4, v16, v4, -v5
	s_delay_alu instid0(VALU_DEP_4)
	v_dual_fmac_f32 v112, v19, v6 :: v_dual_add_f32 v3, 0, v3
	s_wait_loadcnt_dscnt 0x100
	v_dual_mul_f32 v114, v106, v11 :: v_dual_mul_f32 v115, v108, v13
	v_fma_f32 v2, v18, v6, -v2
	v_fmac_f32_e32 v113, v21, v8
	v_add_f32_e32 v3, v3, v4
	s_delay_alu instid0(VALU_DEP_4) | instskip(SKIP_1) | instid1(VALU_DEP_3)
	v_dual_mul_f32 v5, v21, v9 :: v_dual_fmac_f32 v114, v107, v10
	v_dual_fmac_f32 v115, v109, v12 :: v_dual_mul_f32 v4, v107, v11
	v_add_f32_e32 v2, v3, v2
	s_delay_alu instid0(VALU_DEP_3) | instskip(SKIP_1) | instid1(VALU_DEP_4)
	v_fma_f32 v5, v20, v8, -v5
	v_mul_f32_e32 v3, v109, v13
	v_fma_f32 v4, v106, v10, -v4
	s_delay_alu instid0(VALU_DEP_3) | instskip(SKIP_1) | instid1(VALU_DEP_4)
	v_add_f32_e32 v2, v2, v5
	v_add_f32_e32 v1, 0, v1
	v_fma_f32 v3, v108, v12, -v3
	s_delay_alu instid0(VALU_DEP_2) | instskip(NEXT) | instid1(VALU_DEP_1)
	v_dual_add_f32 v2, v2, v4 :: v_dual_add_f32 v1, v1, v22
	v_dual_add_f32 v2, v2, v3 :: v_dual_add_f32 v1, v1, v112
	s_delay_alu instid0(VALU_DEP_1) | instskip(NEXT) | instid1(VALU_DEP_1)
	v_add_f32_e32 v1, v1, v113
	v_add_f32_e32 v1, v1, v114
	s_delay_alu instid0(VALU_DEP_1) | instskip(SKIP_1) | instid1(VALU_DEP_1)
	v_add_f32_e32 v3, v1, v115
	s_wait_loadcnt 0x0
	v_dual_sub_f32 v1, v110, v2 :: v_dual_sub_f32 v2, v111, v3
	scratch_store_b64 off, v[1:2], off offset:272
	v_cmpx_lt_u32_e32 33, v0
	s_cbranch_execz .LBB104_193
; %bb.192:
	scratch_load_b64 v[1:2], off, off offset:264
	v_mov_b32_e32 v3, 0
	s_delay_alu instid0(VALU_DEP_1)
	v_mov_b32_e32 v4, v3
	scratch_store_b64 off, v[3:4], off offset:264
	s_wait_loadcnt 0x0
	ds_store_b64 v23, v[1:2]
.LBB104_193:
	s_wait_alu 0xfffe
	s_or_b32 exec_lo, exec_lo, s0
	s_wait_storecnt_dscnt 0x0
	s_barrier_signal -1
	s_barrier_wait -1
	global_inv scope:SCOPE_SE
	s_clause 0x4
	scratch_load_b128 v[2:5], off, off offset:272
	scratch_load_b128 v[6:9], off, off offset:288
	;; [unrolled: 1-line block ×3, first 2 shown]
	scratch_load_b64 v[110:111], off, off offset:320
	scratch_load_b64 v[112:113], off, off offset:264
	v_mov_b32_e32 v1, 0
	ds_load_b128 v[14:17], v1 offset:608
	ds_load_b128 v[18:21], v1 offset:624
	ds_load_b128 v[106:109], v1 offset:640
	ds_load_b64 v[114:115], v1 offset:656
	s_mov_b32 s0, exec_lo
	s_wait_loadcnt_dscnt 0x403
	v_mul_f32_e32 v22, v14, v3
	s_wait_loadcnt_dscnt 0x302
	v_dual_mul_f32 v118, v20, v9 :: v_dual_mul_f32 v3, v15, v3
	v_dual_mul_f32 v116, v16, v5 :: v_dual_mul_f32 v117, v18, v7
	v_mul_f32_e32 v5, v17, v5
	s_wait_loadcnt_dscnt 0x100
	v_dual_mul_f32 v121, v114, v111 :: v_dual_fmac_f32 v22, v15, v2
	v_fma_f32 v3, v14, v2, -v3
	v_mul_f32_e32 v2, v19, v7
	v_fmac_f32_e32 v116, v17, v4
	v_fma_f32 v4, v16, v4, -v5
	v_dual_add_f32 v5, 0, v22 :: v_dual_fmac_f32 v118, v21, v8
	v_add_f32_e32 v3, 0, v3
	v_fma_f32 v2, v18, v6, -v2
	v_fmac_f32_e32 v117, v19, v6
	v_dual_mul_f32 v119, v106, v11 :: v_dual_mul_f32 v120, v108, v13
	s_delay_alu instid0(VALU_DEP_4) | instskip(SKIP_1) | instid1(VALU_DEP_3)
	v_add_f32_e32 v3, v3, v4
	v_mul_f32_e32 v7, v21, v9
	v_dual_add_f32 v4, v5, v116 :: v_dual_fmac_f32 v119, v107, v10
	s_delay_alu instid0(VALU_DEP_4) | instskip(NEXT) | instid1(VALU_DEP_4)
	v_fmac_f32_e32 v120, v109, v12
	v_add_f32_e32 v2, v3, v2
	s_delay_alu instid0(VALU_DEP_4) | instskip(SKIP_3) | instid1(VALU_DEP_4)
	v_fma_f32 v6, v20, v8, -v7
	v_mul_f32_e32 v5, v107, v11
	v_add_f32_e32 v3, v4, v117
	v_mul_f32_e32 v4, v109, v13
	v_add_f32_e32 v2, v2, v6
	s_delay_alu instid0(VALU_DEP_4) | instskip(SKIP_3) | instid1(VALU_DEP_4)
	v_fma_f32 v5, v106, v10, -v5
	v_mul_f32_e32 v6, v115, v111
	v_add_f32_e32 v3, v3, v118
	v_fma_f32 v4, v108, v12, -v4
	v_add_f32_e32 v2, v2, v5
	s_delay_alu instid0(VALU_DEP_4) | instskip(NEXT) | instid1(VALU_DEP_2)
	v_fma_f32 v5, v114, v110, -v6
	v_dual_add_f32 v3, v3, v119 :: v_dual_add_f32 v2, v2, v4
	s_delay_alu instid0(VALU_DEP_1) | instskip(SKIP_1) | instid1(VALU_DEP_1)
	v_dual_fmac_f32 v121, v115, v110 :: v_dual_add_f32 v2, v2, v5
	s_wait_loadcnt 0x0
	v_dual_add_f32 v3, v3, v120 :: v_dual_sub_f32 v2, v112, v2
	s_delay_alu instid0(VALU_DEP_1) | instskip(NEXT) | instid1(VALU_DEP_1)
	v_add_f32_e32 v3, v3, v121
	v_sub_f32_e32 v3, v113, v3
	scratch_store_b64 off, v[2:3], off offset:264
	v_cmpx_lt_u32_e32 32, v0
	s_cbranch_execz .LBB104_195
; %bb.194:
	scratch_load_b64 v[3:4], off, off offset:256
	v_mov_b32_e32 v2, v1
	scratch_store_b64 off, v[1:2], off offset:256
	s_wait_loadcnt 0x0
	ds_store_b64 v23, v[3:4]
.LBB104_195:
	s_wait_alu 0xfffe
	s_or_b32 exec_lo, exec_lo, s0
	s_wait_storecnt_dscnt 0x0
	s_barrier_signal -1
	s_barrier_wait -1
	global_inv scope:SCOPE_SE
	s_clause 0x4
	scratch_load_b128 v[2:5], off, off offset:264
	scratch_load_b128 v[6:9], off, off offset:280
	;; [unrolled: 1-line block ×4, first 2 shown]
	scratch_load_b64 v[118:119], off, off offset:256
	ds_load_2addr_b64 v[18:21], v1 offset0:75 offset1:76
	ds_load_2addr_b64 v[106:109], v1 offset0:77 offset1:78
	;; [unrolled: 1-line block ×4, first 2 shown]
	s_mov_b32 s0, exec_lo
	s_wait_loadcnt_dscnt 0x403
	v_dual_mul_f32 v1, v18, v3 :: v_dual_mul_f32 v22, v20, v5
	v_mul_f32_e32 v3, v19, v3
	s_wait_loadcnt_dscnt 0x302
	v_dual_mul_f32 v5, v21, v5 :: v_dual_mul_f32 v120, v106, v7
	s_delay_alu instid0(VALU_DEP_3) | instskip(NEXT) | instid1(VALU_DEP_3)
	v_dual_mul_f32 v121, v108, v9 :: v_dual_fmac_f32 v22, v21, v4
	v_fma_f32 v3, v18, v2, -v3
	v_fmac_f32_e32 v1, v19, v2
	v_mul_f32_e32 v2, v107, v7
	v_fma_f32 v4, v20, v4, -v5
	s_delay_alu instid0(VALU_DEP_4)
	v_dual_fmac_f32 v120, v107, v6 :: v_dual_add_f32 v3, 0, v3
	s_wait_loadcnt_dscnt 0x201
	v_dual_mul_f32 v122, v110, v11 :: v_dual_mul_f32 v123, v112, v13
	v_fma_f32 v2, v106, v6, -v2
	s_wait_loadcnt_dscnt 0x100
	v_dual_mul_f32 v124, v114, v15 :: v_dual_mul_f32 v125, v116, v17
	v_add_f32_e32 v3, v3, v4
	v_mul_f32_e32 v5, v109, v9
	v_dual_fmac_f32 v121, v109, v8 :: v_dual_fmac_f32 v122, v111, v10
	v_mul_f32_e32 v4, v111, v11
	s_delay_alu instid0(VALU_DEP_4) | instskip(NEXT) | instid1(VALU_DEP_4)
	v_add_f32_e32 v2, v3, v2
	v_fma_f32 v5, v108, v8, -v5
	v_mul_f32_e32 v3, v113, v13
	v_fmac_f32_e32 v125, v117, v16
	v_fma_f32 v4, v110, v10, -v4
	v_fmac_f32_e32 v124, v115, v14
	v_add_f32_e32 v2, v2, v5
	v_add_f32_e32 v1, 0, v1
	v_mul_f32_e32 v5, v115, v15
	v_fma_f32 v3, v112, v12, -v3
	s_delay_alu instid0(VALU_DEP_3) | instskip(SKIP_1) | instid1(VALU_DEP_4)
	v_dual_add_f32 v2, v2, v4 :: v_dual_add_f32 v1, v1, v22
	v_mul_f32_e32 v4, v117, v17
	v_fma_f32 v5, v114, v14, -v5
	s_delay_alu instid0(VALU_DEP_3) | instskip(SKIP_1) | instid1(VALU_DEP_4)
	v_dual_add_f32 v2, v2, v3 :: v_dual_add_f32 v1, v1, v120
	v_fmac_f32_e32 v123, v113, v12
	v_fma_f32 v3, v116, v16, -v4
	s_delay_alu instid0(VALU_DEP_3) | instskip(NEXT) | instid1(VALU_DEP_1)
	v_add_f32_e32 v2, v2, v5
	v_dual_add_f32 v1, v1, v121 :: v_dual_add_f32 v2, v2, v3
	s_delay_alu instid0(VALU_DEP_1) | instskip(NEXT) | instid1(VALU_DEP_1)
	v_add_f32_e32 v1, v1, v122
	v_add_f32_e32 v1, v1, v123
	s_delay_alu instid0(VALU_DEP_1) | instskip(NEXT) | instid1(VALU_DEP_1)
	v_add_f32_e32 v1, v1, v124
	v_add_f32_e32 v3, v1, v125
	s_wait_loadcnt 0x0
	s_delay_alu instid0(VALU_DEP_1)
	v_dual_sub_f32 v1, v118, v2 :: v_dual_sub_f32 v2, v119, v3
	scratch_store_b64 off, v[1:2], off offset:256
	v_cmpx_lt_u32_e32 31, v0
	s_cbranch_execz .LBB104_197
; %bb.196:
	scratch_load_b64 v[1:2], off, off offset:248
	v_mov_b32_e32 v3, 0
	s_delay_alu instid0(VALU_DEP_1)
	v_mov_b32_e32 v4, v3
	scratch_store_b64 off, v[3:4], off offset:248
	s_wait_loadcnt 0x0
	ds_store_b64 v23, v[1:2]
.LBB104_197:
	s_wait_alu 0xfffe
	s_or_b32 exec_lo, exec_lo, s0
	s_wait_storecnt_dscnt 0x0
	s_barrier_signal -1
	s_barrier_wait -1
	global_inv scope:SCOPE_SE
	s_clause 0x5
	scratch_load_b128 v[2:5], off, off offset:256
	scratch_load_b128 v[6:9], off, off offset:272
	;; [unrolled: 1-line block ×4, first 2 shown]
	scratch_load_b64 v[118:119], off, off offset:320
	scratch_load_b64 v[120:121], off, off offset:248
	v_mov_b32_e32 v1, 0
	ds_load_b128 v[18:21], v1 offset:592
	ds_load_b128 v[106:109], v1 offset:608
	;; [unrolled: 1-line block ×4, first 2 shown]
	ds_load_b64 v[122:123], v1 offset:656
	s_mov_b32 s0, exec_lo
	s_wait_loadcnt_dscnt 0x504
	v_mul_f32_e32 v22, v18, v3
	s_wait_loadcnt_dscnt 0x302
	v_dual_mul_f32 v3, v19, v3 :: v_dual_mul_f32 v128, v112, v13
	v_dual_mul_f32 v124, v20, v5 :: v_dual_mul_f32 v125, v106, v7
	v_mul_f32_e32 v5, v21, v5
	s_delay_alu instid0(VALU_DEP_3) | instskip(SKIP_3) | instid1(VALU_DEP_3)
	v_fma_f32 v3, v18, v2, -v3
	s_wait_loadcnt_dscnt 0x100
	v_dual_mul_f32 v131, v122, v119 :: v_dual_fmac_f32 v22, v19, v2
	v_mul_f32_e32 v2, v107, v7
	v_dual_fmac_f32 v124, v21, v4 :: v_dual_add_f32 v3, 0, v3
	v_fma_f32 v4, v20, v4, -v5
	v_dual_mul_f32 v126, v108, v9 :: v_dual_mul_f32 v127, v110, v11
	v_add_f32_e32 v5, 0, v22
	v_fma_f32 v2, v106, v6, -v2
	s_delay_alu instid0(VALU_DEP_4) | instskip(SKIP_3) | instid1(VALU_DEP_4)
	v_add_f32_e32 v3, v3, v4
	v_mul_f32_e32 v7, v109, v9
	v_dual_fmac_f32 v126, v109, v8 :: v_dual_fmac_f32 v125, v107, v6
	v_add_f32_e32 v4, v5, v124
	v_add_f32_e32 v2, v3, v2
	s_delay_alu instid0(VALU_DEP_4)
	v_fma_f32 v6, v108, v8, -v7
	v_mul_f32_e32 v5, v111, v11
	v_dual_fmac_f32 v127, v111, v10 :: v_dual_fmac_f32 v128, v113, v12
	v_add_f32_e32 v3, v4, v125
	v_mul_f32_e32 v4, v113, v13
	v_add_f32_e32 v2, v2, v6
	v_fma_f32 v5, v110, v10, -v5
	v_mul_f32_e32 v6, v115, v15
	v_add_f32_e32 v3, v3, v126
	v_fma_f32 v4, v112, v12, -v4
	v_dual_mul_f32 v129, v114, v15 :: v_dual_mul_f32 v130, v116, v17
	s_delay_alu instid0(VALU_DEP_3) | instskip(SKIP_2) | instid1(VALU_DEP_4)
	v_dual_add_f32 v2, v2, v5 :: v_dual_add_f32 v3, v3, v127
	v_mul_f32_e32 v5, v117, v17
	v_fma_f32 v6, v114, v14, -v6
	v_dual_fmac_f32 v129, v115, v14 :: v_dual_fmac_f32 v130, v117, v16
	s_delay_alu instid0(VALU_DEP_4) | instskip(SKIP_3) | instid1(VALU_DEP_4)
	v_add_f32_e32 v2, v2, v4
	v_add_f32_e32 v3, v3, v128
	v_mul_f32_e32 v4, v123, v119
	v_fma_f32 v5, v116, v16, -v5
	v_add_f32_e32 v2, v2, v6
	v_fmac_f32_e32 v131, v123, v118
	s_delay_alu instid0(VALU_DEP_4) | instskip(NEXT) | instid1(VALU_DEP_3)
	v_fma_f32 v4, v122, v118, -v4
	v_add_f32_e32 v2, v2, v5
	s_delay_alu instid0(VALU_DEP_1) | instskip(NEXT) | instid1(VALU_DEP_1)
	v_dual_add_f32 v3, v3, v129 :: v_dual_add_f32 v2, v2, v4
	v_add_f32_e32 v3, v3, v130
	s_wait_loadcnt 0x0
	s_delay_alu instid0(VALU_DEP_1) | instskip(NEXT) | instid1(VALU_DEP_1)
	v_dual_sub_f32 v2, v120, v2 :: v_dual_add_f32 v3, v3, v131
	v_sub_f32_e32 v3, v121, v3
	scratch_store_b64 off, v[2:3], off offset:248
	v_cmpx_lt_u32_e32 30, v0
	s_cbranch_execz .LBB104_199
; %bb.198:
	scratch_load_b64 v[3:4], off, off offset:240
	v_mov_b32_e32 v2, v1
	scratch_store_b64 off, v[1:2], off offset:240
	s_wait_loadcnt 0x0
	ds_store_b64 v23, v[3:4]
.LBB104_199:
	s_wait_alu 0xfffe
	s_or_b32 exec_lo, exec_lo, s0
	s_wait_storecnt_dscnt 0x0
	s_barrier_signal -1
	s_barrier_wait -1
	global_inv scope:SCOPE_SE
	s_clause 0x5
	scratch_load_b128 v[2:5], off, off offset:248
	scratch_load_b128 v[6:9], off, off offset:264
	;; [unrolled: 1-line block ×5, first 2 shown]
	scratch_load_b64 v[126:127], off, off offset:240
	ds_load_2addr_b64 v[106:109], v1 offset0:73 offset1:74
	ds_load_2addr_b64 v[110:113], v1 offset0:75 offset1:76
	;; [unrolled: 1-line block ×5, first 2 shown]
	s_mov_b32 s0, exec_lo
	s_wait_loadcnt_dscnt 0x504
	v_dual_mul_f32 v1, v106, v3 :: v_dual_mul_f32 v22, v108, v5
	v_mul_f32_e32 v3, v107, v3
	s_wait_loadcnt_dscnt 0x403
	v_dual_mul_f32 v5, v109, v5 :: v_dual_mul_f32 v128, v110, v7
	s_delay_alu instid0(VALU_DEP_3) | instskip(NEXT) | instid1(VALU_DEP_3)
	v_dual_mul_f32 v129, v112, v9 :: v_dual_fmac_f32 v22, v109, v4
	v_fma_f32 v3, v106, v2, -v3
	v_fmac_f32_e32 v1, v107, v2
	v_mul_f32_e32 v2, v111, v7
	v_fma_f32 v4, v108, v4, -v5
	s_delay_alu instid0(VALU_DEP_4)
	v_dual_fmac_f32 v128, v111, v6 :: v_dual_add_f32 v3, 0, v3
	s_wait_loadcnt_dscnt 0x100
	v_dual_mul_f32 v134, v122, v19 :: v_dual_mul_f32 v135, v124, v21
	v_fma_f32 v2, v110, v6, -v2
	v_dual_mul_f32 v130, v114, v11 :: v_dual_mul_f32 v131, v116, v13
	v_add_f32_e32 v3, v3, v4
	v_dual_mul_f32 v5, v113, v9 :: v_dual_mul_f32 v132, v118, v15
	v_dual_mul_f32 v133, v120, v17 :: v_dual_mul_f32 v4, v115, v11
	s_delay_alu instid0(VALU_DEP_3) | instskip(NEXT) | instid1(VALU_DEP_3)
	v_add_f32_e32 v2, v3, v2
	v_fma_f32 v5, v112, v8, -v5
	v_dual_mul_f32 v3, v117, v13 :: v_dual_fmac_f32 v134, v123, v18
	s_delay_alu instid0(VALU_DEP_4) | instskip(SKIP_1) | instid1(VALU_DEP_4)
	v_fma_f32 v4, v114, v10, -v4
	v_dual_fmac_f32 v129, v113, v8 :: v_dual_fmac_f32 v130, v115, v10
	v_add_f32_e32 v2, v2, v5
	v_add_f32_e32 v1, 0, v1
	v_fma_f32 v3, v116, v12, -v3
	v_dual_fmac_f32 v132, v119, v14 :: v_dual_fmac_f32 v133, v121, v16
	s_delay_alu instid0(VALU_DEP_3) | instskip(SKIP_1) | instid1(VALU_DEP_2)
	v_dual_add_f32 v2, v2, v4 :: v_dual_add_f32 v1, v1, v22
	v_mul_f32_e32 v4, v121, v17
	v_dual_fmac_f32 v135, v125, v20 :: v_dual_add_f32 v2, v2, v3
	s_delay_alu instid0(VALU_DEP_3) | instskip(NEXT) | instid1(VALU_DEP_3)
	v_add_f32_e32 v1, v1, v128
	v_fma_f32 v4, v120, v16, -v4
	v_mul_f32_e32 v5, v119, v15
	v_mul_f32_e32 v3, v123, v19
	s_delay_alu instid0(VALU_DEP_4) | instskip(NEXT) | instid1(VALU_DEP_3)
	v_add_f32_e32 v1, v1, v129
	v_fma_f32 v5, v118, v14, -v5
	v_fmac_f32_e32 v131, v117, v12
	s_delay_alu instid0(VALU_DEP_4) | instskip(NEXT) | instid1(VALU_DEP_3)
	v_fma_f32 v3, v122, v18, -v3
	v_add_f32_e32 v2, v2, v5
	s_delay_alu instid0(VALU_DEP_1) | instskip(SKIP_1) | instid1(VALU_DEP_2)
	v_dual_mul_f32 v5, v125, v21 :: v_dual_add_f32 v2, v2, v4
	v_add_f32_e32 v1, v1, v130
	v_fma_f32 v4, v124, v20, -v5
	s_delay_alu instid0(VALU_DEP_3) | instskip(NEXT) | instid1(VALU_DEP_1)
	v_add_f32_e32 v2, v2, v3
	v_dual_add_f32 v1, v1, v131 :: v_dual_add_f32 v2, v2, v4
	s_delay_alu instid0(VALU_DEP_1) | instskip(NEXT) | instid1(VALU_DEP_1)
	v_add_f32_e32 v1, v1, v132
	v_add_f32_e32 v1, v1, v133
	s_delay_alu instid0(VALU_DEP_1) | instskip(NEXT) | instid1(VALU_DEP_1)
	v_add_f32_e32 v1, v1, v134
	v_add_f32_e32 v3, v1, v135
	s_wait_loadcnt 0x0
	s_delay_alu instid0(VALU_DEP_1)
	v_dual_sub_f32 v1, v126, v2 :: v_dual_sub_f32 v2, v127, v3
	scratch_store_b64 off, v[1:2], off offset:240
	v_cmpx_lt_u32_e32 29, v0
	s_cbranch_execz .LBB104_201
; %bb.200:
	scratch_load_b64 v[1:2], off, off offset:232
	v_mov_b32_e32 v3, 0
	s_delay_alu instid0(VALU_DEP_1)
	v_mov_b32_e32 v4, v3
	scratch_store_b64 off, v[3:4], off offset:232
	s_wait_loadcnt 0x0
	ds_store_b64 v23, v[1:2]
.LBB104_201:
	s_wait_alu 0xfffe
	s_or_b32 exec_lo, exec_lo, s0
	s_wait_storecnt_dscnt 0x0
	s_barrier_signal -1
	s_barrier_wait -1
	global_inv scope:SCOPE_SE
	s_clause 0x6
	scratch_load_b128 v[2:5], off, off offset:240
	scratch_load_b128 v[6:9], off, off offset:256
	;; [unrolled: 1-line block ×5, first 2 shown]
	scratch_load_b64 v[126:127], off, off offset:320
	scratch_load_b64 v[128:129], off, off offset:232
	v_mov_b32_e32 v1, 0
	ds_load_b128 v[106:109], v1 offset:576
	ds_load_b128 v[110:113], v1 offset:592
	;; [unrolled: 1-line block ×5, first 2 shown]
	ds_load_b64 v[130:131], v1 offset:656
	s_mov_b32 s0, exec_lo
	s_wait_loadcnt_dscnt 0x605
	v_mul_f32_e32 v22, v106, v3
	v_dual_mul_f32 v3, v107, v3 :: v_dual_mul_f32 v132, v108, v5
	s_wait_loadcnt_dscnt 0x302
	v_dual_mul_f32 v133, v110, v7 :: v_dual_mul_f32 v138, v120, v17
	v_mul_f32_e32 v5, v109, v5
	s_delay_alu instid0(VALU_DEP_3) | instskip(SKIP_3) | instid1(VALU_DEP_3)
	v_fma_f32 v3, v106, v2, -v3
	s_wait_loadcnt_dscnt 0x100
	v_dual_mul_f32 v141, v130, v127 :: v_dual_fmac_f32 v22, v107, v2
	v_mul_f32_e32 v2, v111, v7
	v_dual_fmac_f32 v132, v109, v4 :: v_dual_add_f32 v3, 0, v3
	v_fma_f32 v4, v108, v4, -v5
	v_dual_mul_f32 v134, v112, v9 :: v_dual_mul_f32 v135, v114, v11
	v_add_f32_e32 v5, 0, v22
	v_fma_f32 v2, v110, v6, -v2
	s_delay_alu instid0(VALU_DEP_4) | instskip(SKIP_3) | instid1(VALU_DEP_4)
	v_add_f32_e32 v3, v3, v4
	v_mul_f32_e32 v7, v113, v9
	v_dual_fmac_f32 v134, v113, v8 :: v_dual_fmac_f32 v133, v111, v6
	v_add_f32_e32 v4, v5, v132
	v_add_f32_e32 v2, v3, v2
	s_delay_alu instid0(VALU_DEP_4)
	v_fma_f32 v6, v112, v8, -v7
	v_dual_mul_f32 v5, v115, v11 :: v_dual_mul_f32 v136, v116, v13
	v_mul_f32_e32 v137, v118, v15
	v_add_f32_e32 v3, v4, v133
	v_mul_f32_e32 v4, v117, v13
	v_add_f32_e32 v2, v2, v6
	v_fma_f32 v5, v114, v10, -v5
	v_dual_fmac_f32 v135, v115, v10 :: v_dual_fmac_f32 v136, v117, v12
	v_mul_f32_e32 v6, v119, v15
	s_delay_alu instid0(VALU_DEP_3) | instskip(SKIP_2) | instid1(VALU_DEP_4)
	v_dual_add_f32 v3, v3, v134 :: v_dual_add_f32 v2, v2, v5
	v_fma_f32 v4, v116, v12, -v4
	v_mul_f32_e32 v5, v121, v17
	v_fma_f32 v6, v118, v14, -v6
	s_delay_alu instid0(VALU_DEP_4) | instskip(SKIP_3) | instid1(VALU_DEP_4)
	v_add_f32_e32 v3, v3, v135
	v_dual_mul_f32 v139, v122, v19 :: v_dual_mul_f32 v140, v124, v21
	v_dual_add_f32 v2, v2, v4 :: v_dual_fmac_f32 v137, v119, v14
	v_fmac_f32_e32 v138, v121, v16
	v_add_f32_e32 v3, v3, v136
	v_mul_f32_e32 v4, v123, v19
	v_fma_f32 v5, v120, v16, -v5
	v_add_f32_e32 v2, v2, v6
	v_dual_mul_f32 v6, v125, v21 :: v_dual_fmac_f32 v139, v123, v18
	v_dual_add_f32 v3, v3, v137 :: v_dual_fmac_f32 v140, v125, v20
	v_fma_f32 v4, v122, v18, -v4
	s_delay_alu instid0(VALU_DEP_4) | instskip(NEXT) | instid1(VALU_DEP_4)
	v_add_f32_e32 v2, v2, v5
	v_fma_f32 v6, v124, v20, -v6
	s_delay_alu instid0(VALU_DEP_4) | instskip(NEXT) | instid1(VALU_DEP_3)
	v_add_f32_e32 v3, v3, v138
	v_dual_mul_f32 v5, v131, v127 :: v_dual_add_f32 v2, v2, v4
	s_delay_alu instid0(VALU_DEP_2) | instskip(NEXT) | instid1(VALU_DEP_2)
	v_add_f32_e32 v3, v3, v139
	v_fma_f32 v4, v130, v126, -v5
	s_delay_alu instid0(VALU_DEP_3) | instskip(NEXT) | instid1(VALU_DEP_1)
	v_add_f32_e32 v2, v2, v6
	v_dual_fmac_f32 v141, v131, v126 :: v_dual_add_f32 v2, v2, v4
	s_wait_loadcnt 0x0
	s_delay_alu instid0(VALU_DEP_1) | instskip(NEXT) | instid1(VALU_DEP_1)
	v_dual_add_f32 v3, v3, v140 :: v_dual_sub_f32 v2, v128, v2
	v_add_f32_e32 v3, v3, v141
	s_delay_alu instid0(VALU_DEP_1)
	v_sub_f32_e32 v3, v129, v3
	scratch_store_b64 off, v[2:3], off offset:232
	v_cmpx_lt_u32_e32 28, v0
	s_cbranch_execz .LBB104_203
; %bb.202:
	scratch_load_b64 v[3:4], off, off offset:224
	v_mov_b32_e32 v2, v1
	scratch_store_b64 off, v[1:2], off offset:224
	s_wait_loadcnt 0x0
	ds_store_b64 v23, v[3:4]
.LBB104_203:
	s_wait_alu 0xfffe
	s_or_b32 exec_lo, exec_lo, s0
	s_wait_storecnt_dscnt 0x0
	s_barrier_signal -1
	s_barrier_wait -1
	global_inv scope:SCOPE_SE
	s_clause 0x6
	scratch_load_b128 v[2:5], off, off offset:232
	scratch_load_b128 v[6:9], off, off offset:248
	;; [unrolled: 1-line block ×6, first 2 shown]
	scratch_load_b64 v[134:135], off, off offset:224
	ds_load_2addr_b64 v[110:113], v1 offset0:71 offset1:72
	ds_load_2addr_b64 v[114:117], v1 offset0:73 offset1:74
	;; [unrolled: 1-line block ×6, first 2 shown]
	s_mov_b32 s0, exec_lo
	s_wait_loadcnt_dscnt 0x605
	v_dual_mul_f32 v1, v110, v3 :: v_dual_mul_f32 v22, v112, v5
	v_mul_f32_e32 v3, v111, v3
	s_wait_loadcnt_dscnt 0x504
	v_dual_mul_f32 v5, v113, v5 :: v_dual_mul_f32 v136, v114, v7
	s_delay_alu instid0(VALU_DEP_3) | instskip(NEXT) | instid1(VALU_DEP_3)
	v_dual_mul_f32 v137, v116, v9 :: v_dual_fmac_f32 v22, v113, v4
	v_fma_f32 v3, v110, v2, -v3
	v_fmac_f32_e32 v1, v111, v2
	v_mul_f32_e32 v2, v115, v7
	v_fma_f32 v4, v112, v4, -v5
	s_delay_alu instid0(VALU_DEP_4)
	v_dual_fmac_f32 v136, v115, v6 :: v_dual_add_f32 v3, 0, v3
	s_wait_loadcnt_dscnt 0x201
	v_dual_mul_f32 v142, v126, v19 :: v_dual_mul_f32 v143, v128, v21
	v_fma_f32 v2, v114, v6, -v2
	v_dual_mul_f32 v138, v118, v11 :: v_dual_mul_f32 v139, v120, v13
	v_add_f32_e32 v3, v3, v4
	v_dual_mul_f32 v5, v117, v9 :: v_dual_mul_f32 v140, v122, v15
	v_dual_mul_f32 v141, v124, v17 :: v_dual_mul_f32 v4, v119, v11
	s_delay_alu instid0(VALU_DEP_3) | instskip(NEXT) | instid1(VALU_DEP_3)
	v_add_f32_e32 v2, v3, v2
	v_fma_f32 v5, v116, v8, -v5
	v_dual_mul_f32 v3, v121, v13 :: v_dual_fmac_f32 v142, v127, v18
	s_delay_alu instid0(VALU_DEP_4) | instskip(SKIP_1) | instid1(VALU_DEP_4)
	v_fma_f32 v4, v118, v10, -v4
	v_dual_fmac_f32 v137, v117, v8 :: v_dual_fmac_f32 v138, v119, v10
	v_add_f32_e32 v2, v2, v5
	v_add_f32_e32 v1, 0, v1
	v_fma_f32 v3, v120, v12, -v3
	v_fmac_f32_e32 v140, v123, v14
	s_wait_loadcnt_dscnt 0x100
	v_dual_mul_f32 v144, v130, v107 :: v_dual_mul_f32 v145, v132, v109
	v_dual_add_f32 v1, v1, v22 :: v_dual_add_f32 v2, v2, v4
	v_mul_f32_e32 v4, v125, v17
	v_fmac_f32_e32 v143, v129, v20
	s_delay_alu instid0(VALU_DEP_4) | instskip(NEXT) | instid1(VALU_DEP_4)
	v_fmac_f32_e32 v145, v133, v108
	v_dual_add_f32 v1, v1, v136 :: v_dual_add_f32 v2, v2, v3
	s_delay_alu instid0(VALU_DEP_4) | instskip(SKIP_1) | instid1(VALU_DEP_3)
	v_fma_f32 v4, v124, v16, -v4
	v_mul_f32_e32 v5, v123, v15
	v_dual_fmac_f32 v144, v131, v106 :: v_dual_add_f32 v1, v1, v137
	s_delay_alu instid0(VALU_DEP_2) | instskip(SKIP_1) | instid1(VALU_DEP_2)
	v_fma_f32 v5, v122, v14, -v5
	v_fmac_f32_e32 v139, v121, v12
	v_dual_add_f32 v1, v1, v138 :: v_dual_add_f32 v2, v2, v5
	s_delay_alu instid0(VALU_DEP_1) | instskip(SKIP_1) | instid1(VALU_DEP_3)
	v_add_f32_e32 v2, v2, v4
	v_mul_f32_e32 v4, v131, v107
	v_add_f32_e32 v1, v1, v139
	s_delay_alu instid0(VALU_DEP_2) | instskip(SKIP_1) | instid1(VALU_DEP_1)
	v_fma_f32 v4, v130, v106, -v4
	v_mul_f32_e32 v5, v129, v21
	v_fma_f32 v5, v128, v20, -v5
	v_mul_f32_e32 v3, v127, v19
	s_delay_alu instid0(VALU_DEP_1) | instskip(NEXT) | instid1(VALU_DEP_1)
	v_fma_f32 v3, v126, v18, -v3
	v_dual_fmac_f32 v141, v125, v16 :: v_dual_add_f32 v2, v2, v3
	v_mul_f32_e32 v3, v133, v109
	s_delay_alu instid0(VALU_DEP_2) | instskip(NEXT) | instid1(VALU_DEP_2)
	v_add_f32_e32 v2, v2, v5
	v_fma_f32 v3, v132, v108, -v3
	s_delay_alu instid0(VALU_DEP_2) | instskip(NEXT) | instid1(VALU_DEP_1)
	v_add_f32_e32 v2, v2, v4
	v_dual_add_f32 v1, v1, v140 :: v_dual_add_f32 v2, v2, v3
	s_delay_alu instid0(VALU_DEP_1) | instskip(NEXT) | instid1(VALU_DEP_1)
	v_add_f32_e32 v1, v1, v141
	v_add_f32_e32 v1, v1, v142
	s_delay_alu instid0(VALU_DEP_1) | instskip(NEXT) | instid1(VALU_DEP_1)
	v_add_f32_e32 v1, v1, v143
	v_add_f32_e32 v1, v1, v144
	s_delay_alu instid0(VALU_DEP_1) | instskip(SKIP_1) | instid1(VALU_DEP_1)
	v_add_f32_e32 v3, v1, v145
	s_wait_loadcnt 0x0
	v_dual_sub_f32 v1, v134, v2 :: v_dual_sub_f32 v2, v135, v3
	scratch_store_b64 off, v[1:2], off offset:224
	v_cmpx_lt_u32_e32 27, v0
	s_cbranch_execz .LBB104_205
; %bb.204:
	scratch_load_b64 v[1:2], off, off offset:216
	v_mov_b32_e32 v3, 0
	s_delay_alu instid0(VALU_DEP_1)
	v_mov_b32_e32 v4, v3
	scratch_store_b64 off, v[3:4], off offset:216
	s_wait_loadcnt 0x0
	ds_store_b64 v23, v[1:2]
.LBB104_205:
	s_wait_alu 0xfffe
	s_or_b32 exec_lo, exec_lo, s0
	s_wait_storecnt_dscnt 0x0
	s_barrier_signal -1
	s_barrier_wait -1
	global_inv scope:SCOPE_SE
	s_clause 0x7
	scratch_load_b128 v[2:5], off, off offset:224
	scratch_load_b128 v[6:9], off, off offset:240
	;; [unrolled: 1-line block ×6, first 2 shown]
	scratch_load_b64 v[134:135], off, off offset:320
	scratch_load_b64 v[136:137], off, off offset:216
	v_mov_b32_e32 v1, 0
	ds_load_b128 v[110:113], v1 offset:560
	ds_load_b128 v[114:117], v1 offset:576
	;; [unrolled: 1-line block ×6, first 2 shown]
	ds_load_b64 v[138:139], v1 offset:656
	s_mov_b32 s0, exec_lo
	s_wait_loadcnt_dscnt 0x706
	v_mul_f32_e32 v22, v110, v3
	v_dual_mul_f32 v3, v111, v3 :: v_dual_mul_f32 v140, v112, v5
	s_wait_loadcnt_dscnt 0x302
	v_dual_mul_f32 v141, v114, v7 :: v_dual_mul_f32 v148, v128, v21
	v_mul_f32_e32 v5, v113, v5
	s_wait_loadcnt_dscnt 0x100
	v_dual_mul_f32 v151, v138, v135 :: v_dual_fmac_f32 v22, v111, v2
	v_fma_f32 v3, v110, v2, -v3
	v_dual_mul_f32 v142, v116, v9 :: v_dual_mul_f32 v143, v118, v11
	v_mul_f32_e32 v2, v115, v7
	s_delay_alu instid0(VALU_DEP_3) | instskip(SKIP_1) | instid1(VALU_DEP_4)
	v_dual_fmac_f32 v140, v113, v4 :: v_dual_add_f32 v3, 0, v3
	v_fma_f32 v4, v112, v4, -v5
	v_dual_add_f32 v5, 0, v22 :: v_dual_fmac_f32 v142, v117, v8
	v_fmac_f32_e32 v141, v115, v6
	v_fma_f32 v2, v114, v6, -v2
	s_delay_alu instid0(VALU_DEP_4) | instskip(SKIP_3) | instid1(VALU_DEP_4)
	v_add_f32_e32 v3, v3, v4
	v_mul_f32_e32 v7, v117, v9
	v_add_f32_e32 v4, v5, v140
	v_dual_mul_f32 v144, v120, v13 :: v_dual_mul_f32 v145, v122, v15
	v_add_f32_e32 v2, v3, v2
	s_delay_alu instid0(VALU_DEP_4)
	v_fma_f32 v6, v116, v8, -v7
	v_mul_f32_e32 v5, v119, v11
	v_add_f32_e32 v3, v4, v141
	v_dual_mul_f32 v4, v121, v13 :: v_dual_fmac_f32 v143, v119, v10
	v_fmac_f32_e32 v144, v121, v12
	v_add_f32_e32 v2, v2, v6
	v_fma_f32 v5, v118, v10, -v5
	v_mul_f32_e32 v6, v123, v15
	v_add_f32_e32 v3, v3, v142
	v_fma_f32 v4, v120, v12, -v4
	v_dual_mul_f32 v146, v124, v17 :: v_dual_mul_f32 v147, v126, v19
	s_delay_alu instid0(VALU_DEP_3) | instskip(SKIP_1) | instid1(VALU_DEP_3)
	v_dual_add_f32 v2, v2, v5 :: v_dual_add_f32 v3, v3, v143
	v_mul_f32_e32 v5, v125, v17
	v_dual_fmac_f32 v145, v123, v14 :: v_dual_fmac_f32 v146, v125, v16
	v_fma_f32 v6, v122, v14, -v6
	s_delay_alu instid0(VALU_DEP_4) | instskip(SKIP_4) | instid1(VALU_DEP_4)
	v_add_f32_e32 v2, v2, v4
	v_add_f32_e32 v3, v3, v144
	v_mul_f32_e32 v4, v127, v19
	v_fma_f32 v5, v124, v16, -v5
	v_fmac_f32_e32 v147, v127, v18
	v_dual_add_f32 v2, v2, v6 :: v_dual_add_f32 v3, v3, v145
	v_fmac_f32_e32 v148, v129, v20
	v_mul_f32_e32 v6, v129, v21
	v_fma_f32 v4, v126, v18, -v4
	s_delay_alu instid0(VALU_DEP_4) | instskip(SKIP_1) | instid1(VALU_DEP_2)
	v_dual_add_f32 v2, v2, v5 :: v_dual_add_f32 v3, v3, v146
	v_dual_mul_f32 v149, v130, v107 :: v_dual_mul_f32 v150, v132, v109
	v_dual_mul_f32 v5, v131, v107 :: v_dual_add_f32 v2, v2, v4
	v_fma_f32 v6, v128, v20, -v6
	s_delay_alu instid0(VALU_DEP_4) | instskip(NEXT) | instid1(VALU_DEP_4)
	v_dual_add_f32 v3, v3, v147 :: v_dual_mul_f32 v4, v133, v109
	v_dual_fmac_f32 v149, v131, v106 :: v_dual_fmac_f32 v150, v133, v108
	s_delay_alu instid0(VALU_DEP_4) | instskip(NEXT) | instid1(VALU_DEP_3)
	v_fma_f32 v5, v130, v106, -v5
	v_dual_add_f32 v2, v2, v6 :: v_dual_add_f32 v3, v3, v148
	v_mul_f32_e32 v6, v139, v135
	v_fma_f32 v4, v132, v108, -v4
	s_delay_alu instid0(VALU_DEP_3) | instskip(NEXT) | instid1(VALU_DEP_4)
	v_dual_fmac_f32 v151, v139, v134 :: v_dual_add_f32 v2, v2, v5
	v_add_f32_e32 v3, v3, v149
	s_delay_alu instid0(VALU_DEP_4) | instskip(NEXT) | instid1(VALU_DEP_2)
	v_fma_f32 v5, v138, v134, -v6
	v_dual_add_f32 v2, v2, v4 :: v_dual_add_f32 v3, v3, v150
	s_delay_alu instid0(VALU_DEP_1) | instskip(SKIP_1) | instid1(VALU_DEP_1)
	v_dual_add_f32 v2, v2, v5 :: v_dual_add_f32 v3, v3, v151
	s_wait_loadcnt 0x0
	v_dual_sub_f32 v2, v136, v2 :: v_dual_sub_f32 v3, v137, v3
	scratch_store_b64 off, v[2:3], off offset:216
	v_cmpx_lt_u32_e32 26, v0
	s_cbranch_execz .LBB104_207
; %bb.206:
	scratch_load_b64 v[3:4], off, off offset:208
	v_mov_b32_e32 v2, v1
	scratch_store_b64 off, v[1:2], off offset:208
	s_wait_loadcnt 0x0
	ds_store_b64 v23, v[3:4]
.LBB104_207:
	s_wait_alu 0xfffe
	s_or_b32 exec_lo, exec_lo, s0
	s_wait_storecnt_dscnt 0x0
	s_barrier_signal -1
	s_barrier_wait -1
	global_inv scope:SCOPE_SE
	s_clause 0x7
	scratch_load_b128 v[2:5], off, off offset:216
	scratch_load_b128 v[6:9], off, off offset:232
	;; [unrolled: 1-line block ×7, first 2 shown]
	scratch_load_b64 v[142:143], off, off offset:208
	ds_load_2addr_b64 v[114:117], v1 offset0:69 offset1:70
	ds_load_2addr_b64 v[118:121], v1 offset0:71 offset1:72
	;; [unrolled: 1-line block ×7, first 2 shown]
	s_mov_b32 s0, exec_lo
	s_wait_loadcnt_dscnt 0x706
	v_dual_mul_f32 v1, v114, v3 :: v_dual_mul_f32 v22, v116, v5
	v_mul_f32_e32 v3, v115, v3
	s_wait_loadcnt_dscnt 0x605
	v_dual_mul_f32 v5, v117, v5 :: v_dual_mul_f32 v144, v118, v7
	s_delay_alu instid0(VALU_DEP_3) | instskip(NEXT) | instid1(VALU_DEP_3)
	v_dual_mul_f32 v145, v120, v9 :: v_dual_fmac_f32 v22, v117, v4
	v_fma_f32 v3, v114, v2, -v3
	v_fmac_f32_e32 v1, v115, v2
	v_mul_f32_e32 v2, v119, v7
	v_fma_f32 v4, v116, v4, -v5
	s_delay_alu instid0(VALU_DEP_4)
	v_dual_fmac_f32 v144, v119, v6 :: v_dual_add_f32 v3, 0, v3
	s_wait_loadcnt_dscnt 0x302
	v_dual_mul_f32 v150, v130, v19 :: v_dual_mul_f32 v151, v132, v21
	v_fma_f32 v2, v118, v6, -v2
	v_dual_mul_f32 v146, v122, v11 :: v_dual_mul_f32 v147, v124, v13
	v_add_f32_e32 v3, v3, v4
	v_dual_mul_f32 v5, v121, v9 :: v_dual_mul_f32 v148, v126, v15
	v_dual_mul_f32 v149, v128, v17 :: v_dual_mul_f32 v4, v123, v11
	s_delay_alu instid0(VALU_DEP_3) | instskip(NEXT) | instid1(VALU_DEP_3)
	v_add_f32_e32 v2, v3, v2
	v_fma_f32 v5, v120, v8, -v5
	v_dual_mul_f32 v3, v125, v13 :: v_dual_fmac_f32 v150, v131, v18
	s_delay_alu instid0(VALU_DEP_4) | instskip(SKIP_1) | instid1(VALU_DEP_4)
	v_fma_f32 v4, v122, v10, -v4
	v_dual_fmac_f32 v145, v121, v8 :: v_dual_fmac_f32 v146, v123, v10
	v_add_f32_e32 v2, v2, v5
	v_add_f32_e32 v1, 0, v1
	v_fma_f32 v3, v124, v12, -v3
	v_fmac_f32_e32 v148, v127, v14
	s_wait_loadcnt_dscnt 0x201
	v_dual_mul_f32 v152, v134, v107 :: v_dual_mul_f32 v153, v136, v109
	v_dual_add_f32 v1, v1, v22 :: v_dual_add_f32 v2, v2, v4
	v_mul_f32_e32 v4, v129, v17
	s_wait_loadcnt_dscnt 0x100
	v_dual_mul_f32 v154, v138, v111 :: v_dual_mul_f32 v155, v140, v113
	s_delay_alu instid0(VALU_DEP_3) | instskip(NEXT) | instid1(VALU_DEP_3)
	v_dual_add_f32 v1, v1, v144 :: v_dual_add_f32 v2, v2, v3
	v_fma_f32 v4, v128, v16, -v4
	v_mul_f32_e32 v5, v127, v15
	v_fmac_f32_e32 v153, v137, v108
	s_delay_alu instid0(VALU_DEP_4) | instskip(SKIP_1) | instid1(VALU_DEP_4)
	v_add_f32_e32 v1, v1, v145
	v_dual_fmac_f32 v155, v141, v112 :: v_dual_fmac_f32 v152, v135, v106
	v_fma_f32 v5, v126, v14, -v5
	v_fmac_f32_e32 v147, v125, v12
	s_delay_alu instid0(VALU_DEP_4) | instskip(SKIP_1) | instid1(VALU_DEP_4)
	v_add_f32_e32 v1, v1, v146
	v_fmac_f32_e32 v154, v139, v110
	v_add_f32_e32 v2, v2, v5
	s_delay_alu instid0(VALU_DEP_1) | instskip(SKIP_2) | instid1(VALU_DEP_2)
	v_add_f32_e32 v2, v2, v4
	v_mul_f32_e32 v4, v135, v107
	v_add_f32_e32 v1, v1, v147
	v_fma_f32 v4, v134, v106, -v4
	v_mul_f32_e32 v5, v133, v21
	s_delay_alu instid0(VALU_DEP_3) | instskip(NEXT) | instid1(VALU_DEP_2)
	v_add_f32_e32 v1, v1, v148
	v_fma_f32 v5, v132, v20, -v5
	v_mul_f32_e32 v3, v131, v19
	s_delay_alu instid0(VALU_DEP_1) | instskip(NEXT) | instid1(VALU_DEP_1)
	v_fma_f32 v3, v130, v18, -v3
	v_dual_fmac_f32 v149, v129, v16 :: v_dual_add_f32 v2, v2, v3
	v_mul_f32_e32 v3, v137, v109
	s_delay_alu instid0(VALU_DEP_2) | instskip(NEXT) | instid1(VALU_DEP_2)
	v_dual_add_f32 v2, v2, v5 :: v_dual_mul_f32 v5, v139, v111
	v_fma_f32 v3, v136, v108, -v3
	s_delay_alu instid0(VALU_DEP_2) | instskip(SKIP_1) | instid1(VALU_DEP_4)
	v_dual_add_f32 v2, v2, v4 :: v_dual_add_f32 v1, v1, v149
	v_mul_f32_e32 v4, v141, v113
	v_fma_f32 v5, v138, v110, -v5
	s_delay_alu instid0(VALU_DEP_3) | instskip(NEXT) | instid1(VALU_DEP_3)
	v_dual_add_f32 v2, v2, v3 :: v_dual_fmac_f32 v151, v133, v20
	v_fma_f32 v3, v140, v112, -v4
	s_delay_alu instid0(VALU_DEP_2) | instskip(NEXT) | instid1(VALU_DEP_1)
	v_dual_add_f32 v2, v2, v5 :: v_dual_add_f32 v1, v1, v150
	v_add_f32_e32 v2, v2, v3
	s_delay_alu instid0(VALU_DEP_2) | instskip(NEXT) | instid1(VALU_DEP_1)
	v_add_f32_e32 v1, v1, v151
	v_add_f32_e32 v1, v1, v152
	s_delay_alu instid0(VALU_DEP_1) | instskip(NEXT) | instid1(VALU_DEP_1)
	v_add_f32_e32 v1, v1, v153
	v_add_f32_e32 v1, v1, v154
	s_delay_alu instid0(VALU_DEP_1) | instskip(SKIP_1) | instid1(VALU_DEP_1)
	v_add_f32_e32 v3, v1, v155
	s_wait_loadcnt 0x0
	v_dual_sub_f32 v1, v142, v2 :: v_dual_sub_f32 v2, v143, v3
	scratch_store_b64 off, v[1:2], off offset:208
	v_cmpx_lt_u32_e32 25, v0
	s_cbranch_execz .LBB104_209
; %bb.208:
	scratch_load_b64 v[1:2], off, off offset:200
	v_mov_b32_e32 v3, 0
	s_delay_alu instid0(VALU_DEP_1)
	v_mov_b32_e32 v4, v3
	scratch_store_b64 off, v[3:4], off offset:200
	s_wait_loadcnt 0x0
	ds_store_b64 v23, v[1:2]
.LBB104_209:
	s_wait_alu 0xfffe
	s_or_b32 exec_lo, exec_lo, s0
	s_wait_storecnt_dscnt 0x0
	s_barrier_signal -1
	s_barrier_wait -1
	global_inv scope:SCOPE_SE
	s_clause 0x8
	scratch_load_b128 v[2:5], off, off offset:208
	scratch_load_b128 v[6:9], off, off offset:224
	;; [unrolled: 1-line block ×7, first 2 shown]
	scratch_load_b64 v[142:143], off, off offset:320
	scratch_load_b64 v[144:145], off, off offset:200
	v_mov_b32_e32 v1, 0
	ds_load_b128 v[114:117], v1 offset:544
	ds_load_b128 v[118:121], v1 offset:560
	;; [unrolled: 1-line block ×7, first 2 shown]
	ds_load_b64 v[146:147], v1 offset:656
	s_mov_b32 s0, exec_lo
	s_wait_loadcnt_dscnt 0x807
	v_mul_f32_e32 v22, v114, v3
	v_dual_mul_f32 v3, v115, v3 :: v_dual_mul_f32 v148, v116, v5
	s_wait_loadcnt_dscnt 0x706
	v_mul_f32_e32 v149, v118, v7
	v_mul_f32_e32 v5, v117, v5
	s_wait_loadcnt_dscnt 0x302
	v_mul_f32_e32 v158, v136, v109
	v_fma_f32 v3, v114, v2, -v3
	s_wait_loadcnt_dscnt 0x100
	v_dual_mul_f32 v161, v146, v143 :: v_dual_fmac_f32 v22, v115, v2
	v_mul_f32_e32 v2, v119, v7
	s_delay_alu instid0(VALU_DEP_3) | instskip(SKIP_4) | instid1(VALU_DEP_4)
	v_dual_fmac_f32 v148, v117, v4 :: v_dual_add_f32 v3, 0, v3
	v_fma_f32 v4, v116, v4, -v5
	v_dual_mul_f32 v150, v120, v9 :: v_dual_mul_f32 v151, v122, v11
	v_add_f32_e32 v5, 0, v22
	v_fma_f32 v2, v118, v6, -v2
	v_add_f32_e32 v3, v3, v4
	v_mul_f32_e32 v7, v121, v9
	v_dual_fmac_f32 v150, v121, v8 :: v_dual_fmac_f32 v149, v119, v6
	v_add_f32_e32 v4, v5, v148
	s_delay_alu instid0(VALU_DEP_4) | instskip(NEXT) | instid1(VALU_DEP_4)
	v_add_f32_e32 v2, v3, v2
	v_fma_f32 v6, v120, v8, -v7
	v_dual_mul_f32 v5, v123, v11 :: v_dual_mul_f32 v152, v124, v13
	v_mul_f32_e32 v153, v126, v15
	v_add_f32_e32 v3, v4, v149
	v_mul_f32_e32 v4, v125, v13
	v_add_f32_e32 v2, v2, v6
	v_fma_f32 v5, v122, v10, -v5
	v_dual_fmac_f32 v151, v123, v10 :: v_dual_fmac_f32 v152, v125, v12
	v_mul_f32_e32 v6, v127, v15
	s_delay_alu instid0(VALU_DEP_3) | instskip(SKIP_2) | instid1(VALU_DEP_4)
	v_dual_add_f32 v3, v3, v150 :: v_dual_add_f32 v2, v2, v5
	v_fma_f32 v4, v124, v12, -v4
	v_mul_f32_e32 v5, v129, v17
	v_fma_f32 v6, v126, v14, -v6
	s_delay_alu instid0(VALU_DEP_4) | instskip(SKIP_3) | instid1(VALU_DEP_4)
	v_dual_add_f32 v3, v3, v151 :: v_dual_mul_f32 v154, v128, v17
	v_mul_f32_e32 v155, v130, v19
	v_add_f32_e32 v2, v2, v4
	v_dual_mul_f32 v156, v132, v21 :: v_dual_mul_f32 v157, v134, v107
	v_dual_fmac_f32 v153, v127, v14 :: v_dual_fmac_f32 v154, v129, v16
	s_delay_alu instid0(VALU_DEP_3) | instskip(SKIP_3) | instid1(VALU_DEP_4)
	v_dual_add_f32 v3, v3, v152 :: v_dual_add_f32 v2, v2, v6
	v_mul_f32_e32 v4, v131, v19
	v_fma_f32 v5, v128, v16, -v5
	v_dual_mul_f32 v6, v133, v21 :: v_dual_fmac_f32 v155, v131, v18
	v_dual_add_f32 v3, v3, v153 :: v_dual_fmac_f32 v156, v133, v20
	s_delay_alu instid0(VALU_DEP_4) | instskip(NEXT) | instid1(VALU_DEP_4)
	v_fma_f32 v4, v130, v18, -v4
	v_add_f32_e32 v2, v2, v5
	s_delay_alu instid0(VALU_DEP_4) | instskip(NEXT) | instid1(VALU_DEP_4)
	v_fma_f32 v6, v132, v20, -v6
	v_add_f32_e32 v3, v3, v154
	v_mul_f32_e32 v5, v135, v107
	v_dual_mul_f32 v159, v138, v111 :: v_dual_mul_f32 v160, v140, v113
	s_delay_alu instid0(VALU_DEP_3) | instskip(SKIP_1) | instid1(VALU_DEP_4)
	v_dual_add_f32 v2, v2, v4 :: v_dual_add_f32 v3, v3, v155
	v_mul_f32_e32 v4, v137, v109
	v_fma_f32 v5, v134, v106, -v5
	v_dual_fmac_f32 v157, v135, v106 :: v_dual_fmac_f32 v158, v137, v108
	s_delay_alu instid0(VALU_DEP_4) | instskip(SKIP_2) | instid1(VALU_DEP_3)
	v_dual_add_f32 v2, v2, v6 :: v_dual_add_f32 v3, v3, v156
	v_mul_f32_e32 v6, v139, v111
	v_fma_f32 v4, v136, v108, -v4
	v_dual_fmac_f32 v159, v139, v110 :: v_dual_add_f32 v2, v2, v5
	s_delay_alu instid0(VALU_DEP_4) | instskip(SKIP_3) | instid1(VALU_DEP_4)
	v_add_f32_e32 v3, v3, v157
	v_mul_f32_e32 v5, v141, v113
	v_fma_f32 v6, v138, v110, -v6
	v_fmac_f32_e32 v160, v141, v112
	v_dual_add_f32 v2, v2, v4 :: v_dual_add_f32 v3, v3, v158
	v_mul_f32_e32 v4, v147, v143
	v_fma_f32 v5, v140, v112, -v5
	s_delay_alu instid0(VALU_DEP_3) | instskip(SKIP_1) | instid1(VALU_DEP_4)
	v_dual_add_f32 v2, v2, v6 :: v_dual_add_f32 v3, v3, v159
	v_fmac_f32_e32 v161, v147, v142
	v_fma_f32 v4, v146, v142, -v4
	s_delay_alu instid0(VALU_DEP_3) | instskip(NEXT) | instid1(VALU_DEP_1)
	v_add_f32_e32 v2, v2, v5
	v_add_f32_e32 v2, v2, v4
	s_wait_loadcnt 0x0
	s_delay_alu instid0(VALU_DEP_1) | instskip(NEXT) | instid1(VALU_DEP_1)
	v_dual_add_f32 v3, v3, v160 :: v_dual_sub_f32 v2, v144, v2
	v_add_f32_e32 v3, v3, v161
	s_delay_alu instid0(VALU_DEP_1)
	v_sub_f32_e32 v3, v145, v3
	scratch_store_b64 off, v[2:3], off offset:200
	v_cmpx_lt_u32_e32 24, v0
	s_cbranch_execz .LBB104_211
; %bb.210:
	scratch_load_b64 v[3:4], off, off offset:192
	v_mov_b32_e32 v2, v1
	scratch_store_b64 off, v[1:2], off offset:192
	s_wait_loadcnt 0x0
	ds_store_b64 v23, v[3:4]
.LBB104_211:
	s_wait_alu 0xfffe
	s_or_b32 exec_lo, exec_lo, s0
	s_wait_storecnt_dscnt 0x0
	s_barrier_signal -1
	s_barrier_wait -1
	global_inv scope:SCOPE_SE
	s_clause 0x8
	scratch_load_b128 v[2:5], off, off offset:200
	scratch_load_b128 v[6:9], off, off offset:216
	;; [unrolled: 1-line block ×8, first 2 shown]
	scratch_load_b64 v[150:151], off, off offset:192
	ds_load_2addr_b64 v[118:121], v1 offset0:67 offset1:68
	ds_load_2addr_b64 v[122:125], v1 offset0:69 offset1:70
	;; [unrolled: 1-line block ×8, first 2 shown]
	s_mov_b32 s0, exec_lo
	s_wait_loadcnt_dscnt 0x807
	v_dual_mul_f32 v1, v118, v3 :: v_dual_mul_f32 v22, v120, v5
	v_mul_f32_e32 v3, v119, v3
	s_wait_loadcnt_dscnt 0x706
	v_dual_mul_f32 v5, v121, v5 :: v_dual_mul_f32 v152, v122, v7
	s_delay_alu instid0(VALU_DEP_3) | instskip(NEXT) | instid1(VALU_DEP_3)
	v_dual_mul_f32 v153, v124, v9 :: v_dual_fmac_f32 v22, v121, v4
	v_fma_f32 v3, v118, v2, -v3
	v_fmac_f32_e32 v1, v119, v2
	v_mul_f32_e32 v2, v123, v7
	v_fma_f32 v4, v120, v4, -v5
	s_delay_alu instid0(VALU_DEP_4)
	v_dual_fmac_f32 v152, v123, v6 :: v_dual_add_f32 v3, 0, v3
	s_wait_loadcnt_dscnt 0x403
	v_dual_mul_f32 v158, v134, v19 :: v_dual_mul_f32 v159, v136, v21
	v_fma_f32 v2, v122, v6, -v2
	v_dual_mul_f32 v154, v126, v11 :: v_dual_mul_f32 v155, v128, v13
	v_add_f32_e32 v3, v3, v4
	v_dual_mul_f32 v5, v125, v9 :: v_dual_mul_f32 v156, v130, v15
	v_dual_mul_f32 v157, v132, v17 :: v_dual_mul_f32 v4, v127, v11
	s_delay_alu instid0(VALU_DEP_3) | instskip(NEXT) | instid1(VALU_DEP_3)
	v_add_f32_e32 v2, v3, v2
	v_fma_f32 v5, v124, v8, -v5
	v_dual_mul_f32 v3, v129, v13 :: v_dual_fmac_f32 v158, v135, v18
	s_delay_alu instid0(VALU_DEP_4) | instskip(SKIP_1) | instid1(VALU_DEP_4)
	v_fma_f32 v4, v126, v10, -v4
	v_dual_fmac_f32 v153, v125, v8 :: v_dual_fmac_f32 v154, v127, v10
	v_add_f32_e32 v2, v2, v5
	v_add_f32_e32 v1, 0, v1
	v_fma_f32 v3, v128, v12, -v3
	v_fmac_f32_e32 v156, v131, v14
	s_wait_loadcnt_dscnt 0x302
	v_dual_mul_f32 v160, v138, v107 :: v_dual_mul_f32 v161, v140, v109
	v_dual_add_f32 v1, v1, v22 :: v_dual_add_f32 v2, v2, v4
	v_mul_f32_e32 v4, v133, v17
	s_wait_loadcnt_dscnt 0x100
	v_dual_mul_f32 v164, v146, v115 :: v_dual_mul_f32 v165, v148, v117
	s_delay_alu instid0(VALU_DEP_3) | instskip(NEXT) | instid1(VALU_DEP_3)
	v_dual_add_f32 v1, v1, v152 :: v_dual_add_f32 v2, v2, v3
	v_fma_f32 v4, v132, v16, -v4
	v_mul_f32_e32 v5, v131, v15
	v_dual_mul_f32 v162, v142, v111 :: v_dual_mul_f32 v163, v144, v113
	s_delay_alu instid0(VALU_DEP_4) | instskip(SKIP_1) | instid1(VALU_DEP_4)
	v_add_f32_e32 v1, v1, v153
	v_fmac_f32_e32 v165, v149, v116
	v_fma_f32 v5, v130, v14, -v5
	v_dual_fmac_f32 v155, v129, v12 :: v_dual_fmac_f32 v160, v139, v106
	s_delay_alu instid0(VALU_DEP_4) | instskip(NEXT) | instid1(VALU_DEP_3)
	v_add_f32_e32 v1, v1, v154
	v_dual_fmac_f32 v163, v145, v112 :: v_dual_add_f32 v2, v2, v5
	v_fmac_f32_e32 v162, v143, v110
	v_fmac_f32_e32 v164, v147, v114
	s_delay_alu instid0(VALU_DEP_3) | instskip(SKIP_2) | instid1(VALU_DEP_2)
	v_add_f32_e32 v2, v2, v4
	v_mul_f32_e32 v4, v139, v107
	v_add_f32_e32 v1, v1, v155
	v_fma_f32 v4, v138, v106, -v4
	v_mul_f32_e32 v5, v137, v21
	s_delay_alu instid0(VALU_DEP_3) | instskip(NEXT) | instid1(VALU_DEP_2)
	v_add_f32_e32 v1, v1, v156
	v_fma_f32 v5, v136, v20, -v5
	v_mul_f32_e32 v3, v135, v19
	s_delay_alu instid0(VALU_DEP_1) | instskip(NEXT) | instid1(VALU_DEP_1)
	v_fma_f32 v3, v134, v18, -v3
	v_dual_fmac_f32 v157, v133, v16 :: v_dual_add_f32 v2, v2, v3
	v_mul_f32_e32 v3, v141, v109
	s_delay_alu instid0(VALU_DEP_2) | instskip(NEXT) | instid1(VALU_DEP_2)
	v_dual_add_f32 v2, v2, v5 :: v_dual_mul_f32 v5, v143, v111
	v_fma_f32 v3, v140, v108, -v3
	s_delay_alu instid0(VALU_DEP_2) | instskip(SKIP_1) | instid1(VALU_DEP_4)
	v_dual_add_f32 v2, v2, v4 :: v_dual_add_f32 v1, v1, v157
	v_mul_f32_e32 v4, v145, v113
	v_fma_f32 v5, v142, v110, -v5
	s_delay_alu instid0(VALU_DEP_3) | instskip(SKIP_1) | instid1(VALU_DEP_4)
	v_dual_add_f32 v2, v2, v3 :: v_dual_fmac_f32 v159, v137, v20
	v_mul_f32_e32 v3, v147, v115
	v_fma_f32 v4, v144, v112, -v4
	s_delay_alu instid0(VALU_DEP_3) | instskip(SKIP_1) | instid1(VALU_DEP_4)
	v_dual_add_f32 v2, v2, v5 :: v_dual_add_f32 v1, v1, v158
	v_mul_f32_e32 v5, v149, v117
	v_fma_f32 v3, v146, v114, -v3
	s_delay_alu instid0(VALU_DEP_3) | instskip(SKIP_1) | instid1(VALU_DEP_4)
	v_add_f32_e32 v2, v2, v4
	v_fmac_f32_e32 v161, v141, v108
	v_fma_f32 v4, v148, v116, -v5
	s_delay_alu instid0(VALU_DEP_3) | instskip(NEXT) | instid1(VALU_DEP_1)
	v_add_f32_e32 v2, v2, v3
	v_dual_add_f32 v1, v1, v159 :: v_dual_add_f32 v2, v2, v4
	s_delay_alu instid0(VALU_DEP_1) | instskip(NEXT) | instid1(VALU_DEP_1)
	v_add_f32_e32 v1, v1, v160
	v_add_f32_e32 v1, v1, v161
	s_delay_alu instid0(VALU_DEP_1) | instskip(NEXT) | instid1(VALU_DEP_1)
	v_add_f32_e32 v1, v1, v162
	v_add_f32_e32 v1, v1, v163
	;; [unrolled: 3-line block ×3, first 2 shown]
	s_wait_loadcnt 0x0
	s_delay_alu instid0(VALU_DEP_1)
	v_dual_sub_f32 v1, v150, v2 :: v_dual_sub_f32 v2, v151, v3
	scratch_store_b64 off, v[1:2], off offset:192
	v_cmpx_lt_u32_e32 23, v0
	s_cbranch_execz .LBB104_213
; %bb.212:
	scratch_load_b64 v[1:2], off, off offset:184
	v_mov_b32_e32 v3, 0
	s_delay_alu instid0(VALU_DEP_1)
	v_mov_b32_e32 v4, v3
	scratch_store_b64 off, v[3:4], off offset:184
	s_wait_loadcnt 0x0
	ds_store_b64 v23, v[1:2]
.LBB104_213:
	s_wait_alu 0xfffe
	s_or_b32 exec_lo, exec_lo, s0
	s_wait_storecnt_dscnt 0x0
	s_barrier_signal -1
	s_barrier_wait -1
	global_inv scope:SCOPE_SE
	s_clause 0x9
	scratch_load_b128 v[2:5], off, off offset:192
	scratch_load_b128 v[6:9], off, off offset:208
	;; [unrolled: 1-line block ×8, first 2 shown]
	scratch_load_b64 v[150:151], off, off offset:320
	scratch_load_b64 v[152:153], off, off offset:184
	v_mov_b32_e32 v1, 0
	ds_load_b128 v[118:121], v1 offset:528
	ds_load_b128 v[122:125], v1 offset:544
	;; [unrolled: 1-line block ×8, first 2 shown]
	ds_load_b64 v[154:155], v1 offset:656
	s_mov_b32 s0, exec_lo
	s_wait_loadcnt_dscnt 0x908
	v_mul_f32_e32 v22, v118, v3
	s_wait_loadcnt_dscnt 0x807
	v_dual_mul_f32 v156, v120, v5 :: v_dual_mul_f32 v157, v122, v7
	v_mul_f32_e32 v3, v119, v3
	s_delay_alu instid0(VALU_DEP_3)
	v_dual_mul_f32 v5, v121, v5 :: v_dual_fmac_f32 v22, v119, v2
	s_wait_loadcnt_dscnt 0x302
	v_mul_f32_e32 v168, v144, v113
	v_dual_mul_f32 v158, v124, v9 :: v_dual_mul_f32 v159, v126, v11
	s_wait_loadcnt_dscnt 0x100
	v_mul_f32_e32 v171, v154, v151
	v_fma_f32 v3, v118, v2, -v3
	v_mul_f32_e32 v2, v123, v7
	v_fmac_f32_e32 v156, v121, v4
	v_fma_f32 v4, v120, v4, -v5
	v_dual_add_f32 v5, 0, v22 :: v_dual_fmac_f32 v158, v125, v8
	v_add_f32_e32 v3, 0, v3
	v_fmac_f32_e32 v157, v123, v6
	v_fma_f32 v2, v122, v6, -v2
	v_dual_mul_f32 v160, v128, v13 :: v_dual_mul_f32 v161, v130, v15
	s_delay_alu instid0(VALU_DEP_4) | instskip(SKIP_2) | instid1(VALU_DEP_4)
	v_add_f32_e32 v3, v3, v4
	v_mul_f32_e32 v7, v125, v9
	v_dual_add_f32 v4, v5, v156 :: v_dual_fmac_f32 v159, v127, v10
	v_fmac_f32_e32 v160, v129, v12
	s_delay_alu instid0(VALU_DEP_4) | instskip(NEXT) | instid1(VALU_DEP_4)
	v_add_f32_e32 v2, v3, v2
	v_fma_f32 v6, v124, v8, -v7
	v_mul_f32_e32 v5, v127, v11
	v_add_f32_e32 v3, v4, v157
	v_mul_f32_e32 v4, v129, v13
	v_dual_mul_f32 v162, v132, v17 :: v_dual_mul_f32 v163, v134, v19
	v_add_f32_e32 v2, v2, v6
	v_fma_f32 v5, v126, v10, -v5
	v_mul_f32_e32 v6, v131, v15
	v_add_f32_e32 v3, v3, v158
	v_fma_f32 v4, v128, v12, -v4
	v_dual_fmac_f32 v161, v131, v14 :: v_dual_fmac_f32 v162, v133, v16
	s_delay_alu instid0(VALU_DEP_3) | instskip(SKIP_3) | instid1(VALU_DEP_4)
	v_dual_add_f32 v2, v2, v5 :: v_dual_add_f32 v3, v3, v159
	v_mul_f32_e32 v5, v133, v17
	v_fma_f32 v6, v130, v14, -v6
	v_dual_mul_f32 v164, v136, v21 :: v_dual_mul_f32 v165, v138, v107
	v_add_f32_e32 v2, v2, v4
	v_add_f32_e32 v3, v3, v160
	v_mul_f32_e32 v4, v135, v19
	v_fma_f32 v5, v132, v16, -v5
	v_fmac_f32_e32 v163, v135, v18
	s_delay_alu instid0(VALU_DEP_4) | instskip(SKIP_3) | instid1(VALU_DEP_4)
	v_dual_add_f32 v2, v2, v6 :: v_dual_add_f32 v3, v3, v161
	v_fmac_f32_e32 v164, v137, v20
	v_mul_f32_e32 v6, v137, v21
	v_fma_f32 v4, v134, v18, -v4
	v_dual_add_f32 v2, v2, v5 :: v_dual_add_f32 v3, v3, v162
	v_mul_f32_e32 v5, v139, v107
	s_delay_alu instid0(VALU_DEP_4) | instskip(SKIP_1) | instid1(VALU_DEP_4)
	v_fma_f32 v6, v136, v20, -v6
	v_dual_mul_f32 v166, v140, v109 :: v_dual_mul_f32 v167, v142, v111
	v_dual_add_f32 v2, v2, v4 :: v_dual_add_f32 v3, v3, v163
	v_dual_mul_f32 v4, v141, v109 :: v_dual_fmac_f32 v165, v139, v106
	s_delay_alu instid0(VALU_DEP_3) | instskip(SKIP_1) | instid1(VALU_DEP_4)
	v_fmac_f32_e32 v166, v141, v108
	v_fma_f32 v5, v138, v106, -v5
	v_dual_add_f32 v2, v2, v6 :: v_dual_add_f32 v3, v3, v164
	v_mul_f32_e32 v6, v143, v111
	v_fma_f32 v4, v140, v108, -v4
	s_delay_alu instid0(VALU_DEP_3) | instskip(NEXT) | instid1(VALU_DEP_4)
	v_dual_fmac_f32 v167, v143, v110 :: v_dual_add_f32 v2, v2, v5
	v_add_f32_e32 v3, v3, v165
	v_mul_f32_e32 v5, v145, v113
	v_fma_f32 v6, v142, v110, -v6
	v_dual_mul_f32 v169, v146, v115 :: v_dual_mul_f32 v170, v148, v117
	s_delay_alu instid0(VALU_DEP_4) | instskip(SKIP_3) | instid1(VALU_DEP_4)
	v_dual_add_f32 v2, v2, v4 :: v_dual_add_f32 v3, v3, v166
	v_fmac_f32_e32 v168, v145, v112
	v_mul_f32_e32 v4, v147, v115
	v_fma_f32 v5, v144, v112, -v5
	v_dual_add_f32 v2, v2, v6 :: v_dual_add_f32 v3, v3, v167
	v_dual_mul_f32 v6, v149, v117 :: v_dual_fmac_f32 v169, v147, v114
	s_delay_alu instid0(VALU_DEP_4) | instskip(NEXT) | instid1(VALU_DEP_3)
	v_fma_f32 v4, v146, v114, -v4
	v_dual_add_f32 v2, v2, v5 :: v_dual_add_f32 v3, v3, v168
	v_dual_mul_f32 v5, v155, v151 :: v_dual_fmac_f32 v170, v149, v116
	s_delay_alu instid0(VALU_DEP_4) | instskip(NEXT) | instid1(VALU_DEP_3)
	v_fma_f32 v6, v148, v116, -v6
	v_dual_add_f32 v2, v2, v4 :: v_dual_add_f32 v3, v3, v169
	s_delay_alu instid0(VALU_DEP_3) | instskip(NEXT) | instid1(VALU_DEP_2)
	v_fma_f32 v4, v154, v150, -v5
	v_add_f32_e32 v3, v3, v170
	s_delay_alu instid0(VALU_DEP_3) | instskip(NEXT) | instid1(VALU_DEP_1)
	v_add_f32_e32 v2, v2, v6
	v_dual_fmac_f32 v171, v155, v150 :: v_dual_add_f32 v2, v2, v4
	s_wait_loadcnt 0x0
	s_delay_alu instid0(VALU_DEP_1) | instskip(NEXT) | instid1(VALU_DEP_1)
	v_dual_add_f32 v3, v3, v171 :: v_dual_sub_f32 v2, v152, v2
	v_sub_f32_e32 v3, v153, v3
	scratch_store_b64 off, v[2:3], off offset:184
	v_cmpx_lt_u32_e32 22, v0
	s_cbranch_execz .LBB104_215
; %bb.214:
	scratch_load_b64 v[3:4], off, off offset:176
	v_mov_b32_e32 v2, v1
	scratch_store_b64 off, v[1:2], off offset:176
	s_wait_loadcnt 0x0
	ds_store_b64 v23, v[3:4]
.LBB104_215:
	s_wait_alu 0xfffe
	s_or_b32 exec_lo, exec_lo, s0
	s_wait_storecnt_dscnt 0x0
	s_barrier_signal -1
	s_barrier_wait -1
	global_inv scope:SCOPE_SE
	s_clause 0x9
	scratch_load_b128 v[2:5], off, off offset:184
	scratch_load_b128 v[6:9], off, off offset:200
	;; [unrolled: 1-line block ×9, first 2 shown]
	scratch_load_b64 v[158:159], off, off offset:176
	ds_load_2addr_b64 v[122:125], v1 offset0:65 offset1:66
	ds_load_2addr_b64 v[126:129], v1 offset0:67 offset1:68
	;; [unrolled: 1-line block ×9, first 2 shown]
	s_mov_b32 s0, exec_lo
	s_wait_loadcnt_dscnt 0x908
	v_dual_mul_f32 v1, v122, v3 :: v_dual_mul_f32 v22, v124, v5
	v_mul_f32_e32 v3, v123, v3
	s_wait_loadcnt_dscnt 0x807
	v_dual_mul_f32 v5, v125, v5 :: v_dual_mul_f32 v160, v126, v7
	s_delay_alu instid0(VALU_DEP_3) | instskip(NEXT) | instid1(VALU_DEP_3)
	v_dual_mul_f32 v161, v128, v9 :: v_dual_fmac_f32 v22, v125, v4
	v_fma_f32 v3, v122, v2, -v3
	v_fmac_f32_e32 v1, v123, v2
	v_mul_f32_e32 v2, v127, v7
	v_fma_f32 v4, v124, v4, -v5
	s_delay_alu instid0(VALU_DEP_4)
	v_dual_fmac_f32 v160, v127, v6 :: v_dual_add_f32 v3, 0, v3
	s_wait_loadcnt_dscnt 0x504
	v_dual_mul_f32 v166, v138, v19 :: v_dual_mul_f32 v167, v140, v21
	v_fma_f32 v2, v126, v6, -v2
	v_dual_mul_f32 v162, v130, v11 :: v_dual_mul_f32 v163, v132, v13
	v_add_f32_e32 v3, v3, v4
	v_dual_mul_f32 v5, v129, v9 :: v_dual_mul_f32 v164, v134, v15
	v_dual_mul_f32 v165, v136, v17 :: v_dual_mul_f32 v4, v131, v11
	s_delay_alu instid0(VALU_DEP_3) | instskip(NEXT) | instid1(VALU_DEP_3)
	v_add_f32_e32 v2, v3, v2
	v_fma_f32 v5, v128, v8, -v5
	v_dual_mul_f32 v3, v133, v13 :: v_dual_fmac_f32 v166, v139, v18
	s_delay_alu instid0(VALU_DEP_4) | instskip(SKIP_1) | instid1(VALU_DEP_4)
	v_fma_f32 v4, v130, v10, -v4
	v_dual_fmac_f32 v161, v129, v8 :: v_dual_fmac_f32 v162, v131, v10
	v_add_f32_e32 v2, v2, v5
	v_add_f32_e32 v1, 0, v1
	v_fma_f32 v3, v132, v12, -v3
	v_fmac_f32_e32 v164, v135, v14
	s_wait_loadcnt_dscnt 0x403
	v_dual_mul_f32 v168, v142, v107 :: v_dual_mul_f32 v169, v144, v109
	v_dual_add_f32 v1, v1, v22 :: v_dual_add_f32 v2, v2, v4
	v_mul_f32_e32 v4, v137, v17
	s_wait_loadcnt_dscnt 0x201
	v_dual_mul_f32 v172, v150, v115 :: v_dual_mul_f32 v173, v152, v117
	s_delay_alu instid0(VALU_DEP_3) | instskip(NEXT) | instid1(VALU_DEP_3)
	v_dual_add_f32 v1, v1, v160 :: v_dual_add_f32 v2, v2, v3
	v_fma_f32 v4, v136, v16, -v4
	v_mul_f32_e32 v5, v135, v15
	v_dual_mul_f32 v170, v146, v111 :: v_dual_mul_f32 v171, v148, v113
	s_wait_loadcnt_dscnt 0x100
	v_dual_add_f32 v1, v1, v161 :: v_dual_mul_f32 v174, v154, v119
	v_mul_f32_e32 v175, v156, v121
	v_fma_f32 v5, v134, v14, -v5
	v_fmac_f32_e32 v163, v133, v12
	s_delay_alu instid0(VALU_DEP_4) | instskip(SKIP_1) | instid1(VALU_DEP_4)
	v_add_f32_e32 v1, v1, v162
	v_dual_fmac_f32 v168, v143, v106 :: v_dual_fmac_f32 v169, v145, v108
	v_add_f32_e32 v2, v2, v5
	v_dual_fmac_f32 v170, v147, v110 :: v_dual_fmac_f32 v173, v153, v116
	v_dual_fmac_f32 v175, v157, v120 :: v_dual_fmac_f32 v172, v151, v114
	s_delay_alu instid0(VALU_DEP_3) | instskip(SKIP_2) | instid1(VALU_DEP_2)
	v_add_f32_e32 v2, v2, v4
	v_mul_f32_e32 v4, v143, v107
	v_dual_add_f32 v1, v1, v163 :: v_dual_fmac_f32 v174, v155, v118
	v_fma_f32 v4, v142, v106, -v4
	v_mul_f32_e32 v5, v141, v21
	s_delay_alu instid0(VALU_DEP_3) | instskip(NEXT) | instid1(VALU_DEP_2)
	v_add_f32_e32 v1, v1, v164
	v_fma_f32 v5, v140, v20, -v5
	v_mul_f32_e32 v3, v139, v19
	s_delay_alu instid0(VALU_DEP_1) | instskip(NEXT) | instid1(VALU_DEP_1)
	v_fma_f32 v3, v138, v18, -v3
	v_dual_fmac_f32 v165, v137, v16 :: v_dual_add_f32 v2, v2, v3
	v_mul_f32_e32 v3, v145, v109
	s_delay_alu instid0(VALU_DEP_2) | instskip(NEXT) | instid1(VALU_DEP_2)
	v_dual_add_f32 v2, v2, v5 :: v_dual_mul_f32 v5, v147, v111
	v_fma_f32 v3, v144, v108, -v3
	s_delay_alu instid0(VALU_DEP_2) | instskip(SKIP_1) | instid1(VALU_DEP_4)
	v_dual_add_f32 v2, v2, v4 :: v_dual_add_f32 v1, v1, v165
	v_mul_f32_e32 v4, v149, v113
	v_fma_f32 v5, v146, v110, -v5
	s_delay_alu instid0(VALU_DEP_3) | instskip(NEXT) | instid1(VALU_DEP_3)
	v_dual_add_f32 v2, v2, v3 :: v_dual_fmac_f32 v167, v141, v20
	v_fma_f32 v4, v148, v112, -v4
	s_delay_alu instid0(VALU_DEP_2) | instskip(SKIP_1) | instid1(VALU_DEP_2)
	v_add_f32_e32 v2, v2, v5
	v_mul_f32_e32 v5, v153, v117
	v_dual_add_f32 v1, v1, v166 :: v_dual_add_f32 v2, v2, v4
	s_delay_alu instid0(VALU_DEP_2) | instskip(SKIP_1) | instid1(VALU_DEP_3)
	v_fma_f32 v5, v152, v116, -v5
	v_mul_f32_e32 v3, v151, v115
	v_add_f32_e32 v1, v1, v167
	v_mul_f32_e32 v4, v155, v119
	s_delay_alu instid0(VALU_DEP_3) | instskip(NEXT) | instid1(VALU_DEP_3)
	v_fma_f32 v3, v150, v114, -v3
	v_add_f32_e32 v1, v1, v168
	s_delay_alu instid0(VALU_DEP_3) | instskip(NEXT) | instid1(VALU_DEP_3)
	v_fma_f32 v4, v154, v118, -v4
	v_dual_add_f32 v2, v2, v3 :: v_dual_mul_f32 v3, v157, v121
	s_delay_alu instid0(VALU_DEP_1) | instskip(NEXT) | instid1(VALU_DEP_4)
	v_add_f32_e32 v2, v2, v5
	v_add_f32_e32 v1, v1, v169
	s_delay_alu instid0(VALU_DEP_3) | instskip(NEXT) | instid1(VALU_DEP_3)
	v_fma_f32 v3, v156, v120, -v3
	v_add_f32_e32 v2, v2, v4
	v_fmac_f32_e32 v171, v149, v112
	s_delay_alu instid0(VALU_DEP_2) | instskip(NEXT) | instid1(VALU_DEP_1)
	v_dual_add_f32 v1, v1, v170 :: v_dual_add_f32 v2, v2, v3
	v_add_f32_e32 v1, v1, v171
	s_delay_alu instid0(VALU_DEP_1) | instskip(NEXT) | instid1(VALU_DEP_1)
	v_add_f32_e32 v1, v1, v172
	v_add_f32_e32 v1, v1, v173
	s_delay_alu instid0(VALU_DEP_1) | instskip(NEXT) | instid1(VALU_DEP_1)
	v_add_f32_e32 v1, v1, v174
	v_add_f32_e32 v3, v1, v175
	s_wait_loadcnt 0x0
	s_delay_alu instid0(VALU_DEP_1)
	v_dual_sub_f32 v1, v158, v2 :: v_dual_sub_f32 v2, v159, v3
	scratch_store_b64 off, v[1:2], off offset:176
	v_cmpx_lt_u32_e32 21, v0
	s_cbranch_execz .LBB104_217
; %bb.216:
	scratch_load_b64 v[1:2], off, off offset:168
	v_mov_b32_e32 v3, 0
	s_delay_alu instid0(VALU_DEP_1)
	v_mov_b32_e32 v4, v3
	scratch_store_b64 off, v[3:4], off offset:168
	s_wait_loadcnt 0x0
	ds_store_b64 v23, v[1:2]
.LBB104_217:
	s_wait_alu 0xfffe
	s_or_b32 exec_lo, exec_lo, s0
	s_wait_storecnt_dscnt 0x0
	s_barrier_signal -1
	s_barrier_wait -1
	global_inv scope:SCOPE_SE
	s_clause 0xa
	scratch_load_b128 v[2:5], off, off offset:176
	scratch_load_b128 v[6:9], off, off offset:192
	;; [unrolled: 1-line block ×9, first 2 shown]
	scratch_load_b64 v[158:159], off, off offset:320
	scratch_load_b64 v[160:161], off, off offset:168
	v_mov_b32_e32 v1, 0
	ds_load_b128 v[122:125], v1 offset:512
	ds_load_b128 v[126:129], v1 offset:528
	;; [unrolled: 1-line block ×9, first 2 shown]
	ds_load_b64 v[162:163], v1 offset:656
	s_mov_b32 s0, exec_lo
	s_wait_loadcnt_dscnt 0xa09
	v_mul_f32_e32 v22, v122, v3
	s_wait_loadcnt_dscnt 0x908
	v_dual_mul_f32 v164, v124, v5 :: v_dual_mul_f32 v165, v126, v7
	v_mul_f32_e32 v3, v123, v3
	s_delay_alu instid0(VALU_DEP_3)
	v_dual_mul_f32 v5, v125, v5 :: v_dual_fmac_f32 v22, v123, v2
	s_wait_loadcnt_dscnt 0x807
	v_dual_mul_f32 v166, v128, v9 :: v_dual_mul_f32 v167, v130, v11
	s_wait_loadcnt_dscnt 0x100
	v_dual_mul_f32 v178, v152, v117 :: v_dual_mul_f32 v181, v162, v159
	v_fma_f32 v3, v122, v2, -v3
	v_mul_f32_e32 v2, v127, v7
	v_fmac_f32_e32 v164, v125, v4
	v_fma_f32 v4, v124, v4, -v5
	v_dual_add_f32 v5, 0, v22 :: v_dual_fmac_f32 v166, v129, v8
	v_add_f32_e32 v3, 0, v3
	v_fmac_f32_e32 v165, v127, v6
	v_fma_f32 v2, v126, v6, -v2
	v_dual_mul_f32 v168, v132, v13 :: v_dual_mul_f32 v169, v134, v15
	s_delay_alu instid0(VALU_DEP_4) | instskip(SKIP_2) | instid1(VALU_DEP_4)
	v_add_f32_e32 v3, v3, v4
	v_mul_f32_e32 v7, v129, v9
	v_dual_add_f32 v4, v5, v164 :: v_dual_fmac_f32 v167, v131, v10
	v_fmac_f32_e32 v168, v133, v12
	s_delay_alu instid0(VALU_DEP_4) | instskip(NEXT) | instid1(VALU_DEP_4)
	v_add_f32_e32 v2, v3, v2
	v_fma_f32 v6, v128, v8, -v7
	v_mul_f32_e32 v5, v131, v11
	v_add_f32_e32 v3, v4, v165
	v_mul_f32_e32 v4, v133, v13
	v_dual_mul_f32 v170, v136, v17 :: v_dual_mul_f32 v171, v138, v19
	v_add_f32_e32 v2, v2, v6
	v_fma_f32 v5, v130, v10, -v5
	v_mul_f32_e32 v6, v135, v15
	v_add_f32_e32 v3, v3, v166
	v_fma_f32 v4, v132, v12, -v4
	v_dual_fmac_f32 v169, v135, v14 :: v_dual_fmac_f32 v170, v137, v16
	s_delay_alu instid0(VALU_DEP_3) | instskip(SKIP_3) | instid1(VALU_DEP_4)
	v_dual_add_f32 v2, v2, v5 :: v_dual_add_f32 v3, v3, v167
	v_mul_f32_e32 v5, v137, v17
	v_fma_f32 v6, v134, v14, -v6
	v_dual_mul_f32 v172, v140, v21 :: v_dual_mul_f32 v173, v142, v107
	v_add_f32_e32 v2, v2, v4
	v_add_f32_e32 v3, v3, v168
	v_mul_f32_e32 v4, v139, v19
	v_fma_f32 v5, v136, v16, -v5
	v_fmac_f32_e32 v171, v139, v18
	s_delay_alu instid0(VALU_DEP_4) | instskip(SKIP_3) | instid1(VALU_DEP_4)
	v_dual_add_f32 v2, v2, v6 :: v_dual_add_f32 v3, v3, v169
	v_fmac_f32_e32 v172, v141, v20
	v_mul_f32_e32 v6, v141, v21
	v_fma_f32 v4, v138, v18, -v4
	v_dual_add_f32 v2, v2, v5 :: v_dual_add_f32 v3, v3, v170
	v_mul_f32_e32 v5, v143, v107
	s_delay_alu instid0(VALU_DEP_4) | instskip(SKIP_1) | instid1(VALU_DEP_4)
	v_fma_f32 v6, v140, v20, -v6
	v_dual_mul_f32 v174, v144, v109 :: v_dual_mul_f32 v175, v146, v111
	v_dual_add_f32 v2, v2, v4 :: v_dual_add_f32 v3, v3, v171
	v_dual_mul_f32 v4, v145, v109 :: v_dual_fmac_f32 v173, v143, v106
	s_delay_alu instid0(VALU_DEP_3) | instskip(SKIP_1) | instid1(VALU_DEP_4)
	v_fmac_f32_e32 v174, v145, v108
	v_fma_f32 v5, v142, v106, -v5
	v_dual_add_f32 v2, v2, v6 :: v_dual_add_f32 v3, v3, v172
	v_mul_f32_e32 v6, v147, v111
	v_fma_f32 v4, v144, v108, -v4
	s_delay_alu instid0(VALU_DEP_3) | instskip(NEXT) | instid1(VALU_DEP_4)
	v_dual_fmac_f32 v175, v147, v110 :: v_dual_add_f32 v2, v2, v5
	v_add_f32_e32 v3, v3, v173
	v_dual_mul_f32 v176, v148, v113 :: v_dual_mul_f32 v177, v150, v115
	v_mul_f32_e32 v5, v149, v113
	v_fma_f32 v6, v146, v110, -v6
	s_delay_alu instid0(VALU_DEP_4) | instskip(NEXT) | instid1(VALU_DEP_4)
	v_dual_add_f32 v2, v2, v4 :: v_dual_add_f32 v3, v3, v174
	v_fmac_f32_e32 v176, v149, v112
	v_mul_f32_e32 v4, v151, v115
	v_fma_f32 v5, v148, v112, -v5
	s_delay_alu instid0(VALU_DEP_4) | instskip(SKIP_1) | instid1(VALU_DEP_4)
	v_dual_add_f32 v2, v2, v6 :: v_dual_add_f32 v3, v3, v175
	v_dual_mul_f32 v6, v153, v117 :: v_dual_fmac_f32 v177, v151, v114
	v_fma_f32 v4, v150, v114, -v4
	s_delay_alu instid0(VALU_DEP_3) | instskip(SKIP_3) | instid1(VALU_DEP_4)
	v_dual_add_f32 v2, v2, v5 :: v_dual_add_f32 v3, v3, v176
	v_dual_mul_f32 v179, v154, v119 :: v_dual_mul_f32 v180, v156, v121
	v_dual_mul_f32 v5, v155, v119 :: v_dual_fmac_f32 v178, v153, v116
	v_fma_f32 v6, v152, v116, -v6
	v_dual_add_f32 v2, v2, v4 :: v_dual_add_f32 v3, v3, v177
	s_delay_alu instid0(VALU_DEP_4) | instskip(NEXT) | instid1(VALU_DEP_4)
	v_dual_mul_f32 v4, v157, v121 :: v_dual_fmac_f32 v179, v155, v118
	v_fma_f32 v5, v154, v118, -v5
	s_delay_alu instid0(VALU_DEP_3) | instskip(NEXT) | instid1(VALU_DEP_4)
	v_dual_fmac_f32 v180, v157, v120 :: v_dual_add_f32 v3, v3, v178
	v_add_f32_e32 v2, v2, v6
	v_mul_f32_e32 v6, v163, v159
	v_fma_f32 v4, v156, v120, -v4
	v_fmac_f32_e32 v181, v163, v158
	s_delay_alu instid0(VALU_DEP_4) | instskip(NEXT) | instid1(VALU_DEP_4)
	v_dual_add_f32 v3, v3, v179 :: v_dual_add_f32 v2, v2, v5
	v_fma_f32 v5, v162, v158, -v6
	s_delay_alu instid0(VALU_DEP_2) | instskip(NEXT) | instid1(VALU_DEP_1)
	v_add_f32_e32 v3, v3, v180
	v_dual_add_f32 v2, v2, v4 :: v_dual_add_f32 v3, v3, v181
	s_wait_loadcnt 0x0
	s_delay_alu instid0(VALU_DEP_1) | instskip(NEXT) | instid1(VALU_DEP_1)
	v_dual_add_f32 v2, v2, v5 :: v_dual_sub_f32 v3, v161, v3
	v_sub_f32_e32 v2, v160, v2
	scratch_store_b64 off, v[2:3], off offset:168
	v_cmpx_lt_u32_e32 20, v0
	s_cbranch_execz .LBB104_219
; %bb.218:
	scratch_load_b64 v[3:4], off, off offset:160
	v_mov_b32_e32 v2, v1
	scratch_store_b64 off, v[1:2], off offset:160
	s_wait_loadcnt 0x0
	ds_store_b64 v23, v[3:4]
.LBB104_219:
	s_wait_alu 0xfffe
	s_or_b32 exec_lo, exec_lo, s0
	s_wait_storecnt_dscnt 0x0
	s_barrier_signal -1
	s_barrier_wait -1
	global_inv scope:SCOPE_SE
	s_clause 0xa
	scratch_load_b128 v[2:5], off, off offset:168
	scratch_load_b128 v[6:9], off, off offset:184
	;; [unrolled: 1-line block ×10, first 2 shown]
	scratch_load_b64 v[166:167], off, off offset:160
	ds_load_2addr_b64 v[126:129], v1 offset0:63 offset1:64
	ds_load_2addr_b64 v[130:133], v1 offset0:65 offset1:66
	;; [unrolled: 1-line block ×10, first 2 shown]
	s_mov_b32 s0, exec_lo
	s_wait_loadcnt_dscnt 0xa09
	v_dual_mul_f32 v1, v126, v3 :: v_dual_mul_f32 v22, v128, v5
	v_mul_f32_e32 v3, v127, v3
	s_wait_loadcnt_dscnt 0x908
	v_dual_mul_f32 v5, v129, v5 :: v_dual_mul_f32 v168, v130, v7
	s_delay_alu instid0(VALU_DEP_3) | instskip(NEXT) | instid1(VALU_DEP_3)
	v_dual_mul_f32 v169, v132, v9 :: v_dual_fmac_f32 v22, v129, v4
	v_fma_f32 v3, v126, v2, -v3
	v_fmac_f32_e32 v1, v127, v2
	v_mul_f32_e32 v2, v131, v7
	v_fma_f32 v4, v128, v4, -v5
	s_delay_alu instid0(VALU_DEP_4)
	v_dual_fmac_f32 v168, v131, v6 :: v_dual_add_f32 v3, 0, v3
	s_wait_loadcnt_dscnt 0x605
	v_dual_mul_f32 v174, v142, v19 :: v_dual_mul_f32 v175, v144, v21
	v_fma_f32 v2, v130, v6, -v2
	v_dual_mul_f32 v170, v134, v11 :: v_dual_mul_f32 v171, v136, v13
	v_add_f32_e32 v3, v3, v4
	v_dual_mul_f32 v5, v133, v9 :: v_dual_mul_f32 v172, v138, v15
	v_dual_mul_f32 v173, v140, v17 :: v_dual_mul_f32 v4, v135, v11
	s_delay_alu instid0(VALU_DEP_3) | instskip(NEXT) | instid1(VALU_DEP_3)
	v_add_f32_e32 v2, v3, v2
	v_fma_f32 v5, v132, v8, -v5
	v_dual_mul_f32 v3, v137, v13 :: v_dual_fmac_f32 v174, v143, v18
	s_delay_alu instid0(VALU_DEP_4) | instskip(SKIP_1) | instid1(VALU_DEP_4)
	v_fma_f32 v4, v134, v10, -v4
	v_dual_fmac_f32 v169, v133, v8 :: v_dual_fmac_f32 v170, v135, v10
	v_add_f32_e32 v2, v2, v5
	v_add_f32_e32 v1, 0, v1
	v_fma_f32 v3, v136, v12, -v3
	v_fmac_f32_e32 v172, v139, v14
	s_wait_loadcnt_dscnt 0x504
	v_dual_mul_f32 v176, v146, v107 :: v_dual_mul_f32 v177, v148, v109
	v_dual_add_f32 v1, v1, v22 :: v_dual_add_f32 v2, v2, v4
	v_mul_f32_e32 v4, v141, v17
	s_wait_loadcnt_dscnt 0x302
	v_dual_mul_f32 v180, v154, v115 :: v_dual_mul_f32 v181, v156, v117
	s_delay_alu instid0(VALU_DEP_3) | instskip(NEXT) | instid1(VALU_DEP_3)
	v_dual_add_f32 v1, v1, v168 :: v_dual_add_f32 v2, v2, v3
	v_fma_f32 v4, v140, v16, -v4
	v_mul_f32_e32 v5, v139, v15
	v_dual_mul_f32 v178, v150, v111 :: v_dual_mul_f32 v179, v152, v113
	s_wait_loadcnt_dscnt 0x201
	v_dual_add_f32 v1, v1, v169 :: v_dual_mul_f32 v182, v158, v119
	v_mul_f32_e32 v183, v160, v121
	v_fma_f32 v5, v138, v14, -v5
	v_fmac_f32_e32 v171, v137, v12
	s_delay_alu instid0(VALU_DEP_4) | instskip(SKIP_1) | instid1(VALU_DEP_4)
	v_add_f32_e32 v1, v1, v170
	v_dual_fmac_f32 v176, v147, v106 :: v_dual_fmac_f32 v177, v149, v108
	v_add_f32_e32 v2, v2, v5
	v_fmac_f32_e32 v178, v151, v110
	s_wait_loadcnt_dscnt 0x100
	v_dual_mul_f32 v184, v162, v123 :: v_dual_mul_f32 v185, v164, v125
	v_fmac_f32_e32 v179, v153, v112
	v_add_f32_e32 v2, v2, v4
	v_mul_f32_e32 v4, v147, v107
	s_delay_alu instid0(VALU_DEP_4) | instskip(SKIP_2) | instid1(VALU_DEP_4)
	v_dual_add_f32 v1, v1, v171 :: v_dual_fmac_f32 v184, v163, v122
	v_fmac_f32_e32 v181, v157, v116
	v_fmac_f32_e32 v183, v161, v120
	v_fma_f32 v4, v146, v106, -v4
	v_mul_f32_e32 v5, v145, v21
	v_add_f32_e32 v1, v1, v172
	v_dual_fmac_f32 v185, v165, v124 :: v_dual_fmac_f32 v180, v155, v114
	v_fmac_f32_e32 v182, v159, v118
	s_delay_alu instid0(VALU_DEP_4) | instskip(SKIP_1) | instid1(VALU_DEP_1)
	v_fma_f32 v5, v144, v20, -v5
	v_mul_f32_e32 v3, v143, v19
	v_fma_f32 v3, v142, v18, -v3
	s_delay_alu instid0(VALU_DEP_1) | instskip(SKIP_1) | instid1(VALU_DEP_2)
	v_dual_fmac_f32 v173, v141, v16 :: v_dual_add_f32 v2, v2, v3
	v_mul_f32_e32 v3, v149, v109
	v_dual_add_f32 v2, v2, v5 :: v_dual_mul_f32 v5, v151, v111
	s_delay_alu instid0(VALU_DEP_2) | instskip(NEXT) | instid1(VALU_DEP_2)
	v_fma_f32 v3, v148, v108, -v3
	v_dual_add_f32 v2, v2, v4 :: v_dual_add_f32 v1, v1, v173
	v_mul_f32_e32 v4, v153, v113
	s_delay_alu instid0(VALU_DEP_4) | instskip(NEXT) | instid1(VALU_DEP_3)
	v_fma_f32 v5, v150, v110, -v5
	v_dual_add_f32 v2, v2, v3 :: v_dual_fmac_f32 v175, v145, v20
	s_delay_alu instid0(VALU_DEP_3) | instskip(NEXT) | instid1(VALU_DEP_2)
	v_fma_f32 v4, v152, v112, -v4
	v_add_f32_e32 v2, v2, v5
	v_mul_f32_e32 v5, v157, v117
	s_delay_alu instid0(VALU_DEP_2) | instskip(NEXT) | instid1(VALU_DEP_2)
	v_dual_add_f32 v1, v1, v174 :: v_dual_add_f32 v2, v2, v4
	v_fma_f32 v5, v156, v116, -v5
	v_mul_f32_e32 v3, v155, v115
	s_delay_alu instid0(VALU_DEP_3) | instskip(SKIP_1) | instid1(VALU_DEP_3)
	v_add_f32_e32 v1, v1, v175
	v_mul_f32_e32 v4, v159, v119
	v_fma_f32 v3, v154, v114, -v3
	s_delay_alu instid0(VALU_DEP_3) | instskip(NEXT) | instid1(VALU_DEP_3)
	v_add_f32_e32 v1, v1, v176
	v_fma_f32 v4, v158, v118, -v4
	s_delay_alu instid0(VALU_DEP_3) | instskip(NEXT) | instid1(VALU_DEP_1)
	v_dual_add_f32 v2, v2, v3 :: v_dual_mul_f32 v3, v161, v121
	v_add_f32_e32 v2, v2, v5
	s_delay_alu instid0(VALU_DEP_4) | instskip(SKIP_1) | instid1(VALU_DEP_4)
	v_add_f32_e32 v1, v1, v177
	v_mul_f32_e32 v5, v163, v123
	v_fma_f32 v3, v160, v120, -v3
	s_delay_alu instid0(VALU_DEP_3) | instskip(SKIP_1) | instid1(VALU_DEP_4)
	v_dual_add_f32 v2, v2, v4 :: v_dual_add_f32 v1, v1, v178
	v_mul_f32_e32 v4, v165, v125
	v_fma_f32 v5, v162, v122, -v5
	s_delay_alu instid0(VALU_DEP_3) | instskip(NEXT) | instid1(VALU_DEP_4)
	v_add_f32_e32 v2, v2, v3
	v_add_f32_e32 v1, v1, v179
	s_delay_alu instid0(VALU_DEP_4) | instskip(NEXT) | instid1(VALU_DEP_2)
	v_fma_f32 v3, v164, v124, -v4
	v_dual_add_f32 v2, v2, v5 :: v_dual_add_f32 v1, v1, v180
	s_delay_alu instid0(VALU_DEP_1) | instskip(NEXT) | instid1(VALU_DEP_1)
	v_dual_add_f32 v2, v2, v3 :: v_dual_add_f32 v1, v1, v181
	v_add_f32_e32 v1, v1, v182
	s_delay_alu instid0(VALU_DEP_1) | instskip(NEXT) | instid1(VALU_DEP_1)
	v_add_f32_e32 v1, v1, v183
	v_add_f32_e32 v1, v1, v184
	s_delay_alu instid0(VALU_DEP_1) | instskip(SKIP_1) | instid1(VALU_DEP_1)
	v_add_f32_e32 v3, v1, v185
	s_wait_loadcnt 0x0
	v_dual_sub_f32 v1, v166, v2 :: v_dual_sub_f32 v2, v167, v3
	scratch_store_b64 off, v[1:2], off offset:160
	v_cmpx_lt_u32_e32 19, v0
	s_cbranch_execz .LBB104_221
; %bb.220:
	scratch_load_b64 v[1:2], off, off offset:152
	v_mov_b32_e32 v3, 0
	s_delay_alu instid0(VALU_DEP_1)
	v_mov_b32_e32 v4, v3
	scratch_store_b64 off, v[3:4], off offset:152
	s_wait_loadcnt 0x0
	ds_store_b64 v23, v[1:2]
.LBB104_221:
	s_wait_alu 0xfffe
	s_or_b32 exec_lo, exec_lo, s0
	s_wait_storecnt_dscnt 0x0
	s_barrier_signal -1
	s_barrier_wait -1
	global_inv scope:SCOPE_SE
	s_clause 0xb
	scratch_load_b128 v[2:5], off, off offset:160
	scratch_load_b128 v[6:9], off, off offset:176
	;; [unrolled: 1-line block ×10, first 2 shown]
	scratch_load_b64 v[166:167], off, off offset:320
	scratch_load_b64 v[168:169], off, off offset:152
	v_mov_b32_e32 v1, 0
	ds_load_b128 v[126:129], v1 offset:496
	ds_load_b128 v[130:133], v1 offset:512
	;; [unrolled: 1-line block ×10, first 2 shown]
	ds_load_b64 v[170:171], v1 offset:656
	s_mov_b32 s0, exec_lo
	s_wait_loadcnt_dscnt 0xb0a
	v_mul_f32_e32 v22, v126, v3
	s_wait_loadcnt_dscnt 0xa09
	v_dual_mul_f32 v172, v128, v5 :: v_dual_mul_f32 v173, v130, v7
	v_mul_f32_e32 v5, v129, v5
	v_dual_mul_f32 v3, v127, v3 :: v_dual_mul_f32 v174, v132, v9
	s_wait_loadcnt_dscnt 0x908
	v_dual_mul_f32 v175, v134, v11 :: v_dual_fmac_f32 v22, v127, v2
	s_wait_loadcnt_dscnt 0x302
	v_mul_f32_e32 v188, v160, v121
	v_fma_f32 v3, v126, v2, -v3
	s_wait_loadcnt_dscnt 0x100
	v_mul_f32_e32 v191, v170, v167
	v_mul_f32_e32 v2, v131, v7
	v_fmac_f32_e32 v172, v129, v4
	v_fma_f32 v4, v128, v4, -v5
	v_add_f32_e32 v3, 0, v3
	v_dual_add_f32 v5, 0, v22 :: v_dual_fmac_f32 v174, v133, v8
	v_fmac_f32_e32 v173, v131, v6
	v_fma_f32 v2, v130, v6, -v2
	s_delay_alu instid0(VALU_DEP_4) | instskip(SKIP_3) | instid1(VALU_DEP_4)
	v_add_f32_e32 v3, v3, v4
	v_mul_f32_e32 v7, v133, v9
	v_add_f32_e32 v4, v5, v172
	v_dual_mul_f32 v176, v136, v13 :: v_dual_mul_f32 v177, v138, v15
	v_add_f32_e32 v2, v3, v2
	s_delay_alu instid0(VALU_DEP_4)
	v_fma_f32 v6, v132, v8, -v7
	v_mul_f32_e32 v5, v135, v11
	v_add_f32_e32 v3, v4, v173
	v_dual_mul_f32 v4, v137, v13 :: v_dual_fmac_f32 v175, v135, v10
	v_fmac_f32_e32 v176, v137, v12
	v_add_f32_e32 v2, v2, v6
	v_fma_f32 v5, v134, v10, -v5
	v_mul_f32_e32 v6, v139, v15
	v_add_f32_e32 v3, v3, v174
	v_fma_f32 v4, v136, v12, -v4
	v_dual_mul_f32 v178, v140, v17 :: v_dual_mul_f32 v179, v142, v19
	s_delay_alu instid0(VALU_DEP_3) | instskip(SKIP_1) | instid1(VALU_DEP_3)
	v_dual_add_f32 v2, v2, v5 :: v_dual_add_f32 v3, v3, v175
	v_mul_f32_e32 v5, v141, v17
	v_dual_fmac_f32 v177, v139, v14 :: v_dual_fmac_f32 v178, v141, v16
	v_fma_f32 v6, v138, v14, -v6
	s_delay_alu instid0(VALU_DEP_4) | instskip(SKIP_4) | instid1(VALU_DEP_4)
	v_add_f32_e32 v2, v2, v4
	v_dual_add_f32 v3, v3, v176 :: v_dual_mul_f32 v180, v144, v21
	v_mul_f32_e32 v181, v146, v107
	v_mul_f32_e32 v4, v143, v19
	v_fma_f32 v5, v140, v16, -v5
	v_dual_add_f32 v2, v2, v6 :: v_dual_add_f32 v3, v3, v177
	v_fmac_f32_e32 v180, v145, v20
	v_dual_mul_f32 v6, v145, v21 :: v_dual_fmac_f32 v179, v143, v18
	v_fma_f32 v4, v142, v18, -v4
	s_delay_alu instid0(VALU_DEP_4) | instskip(SKIP_1) | instid1(VALU_DEP_4)
	v_dual_add_f32 v2, v2, v5 :: v_dual_add_f32 v3, v3, v178
	v_mul_f32_e32 v5, v147, v107
	v_fma_f32 v6, v144, v20, -v6
	v_dual_mul_f32 v182, v148, v109 :: v_dual_mul_f32 v183, v150, v111
	s_delay_alu instid0(VALU_DEP_4) | instskip(SKIP_1) | instid1(VALU_DEP_3)
	v_dual_add_f32 v2, v2, v4 :: v_dual_add_f32 v3, v3, v179
	v_dual_mul_f32 v4, v149, v109 :: v_dual_fmac_f32 v181, v147, v106
	v_fmac_f32_e32 v182, v149, v108
	v_fma_f32 v5, v146, v106, -v5
	s_delay_alu instid0(VALU_DEP_4) | instskip(SKIP_2) | instid1(VALU_DEP_3)
	v_dual_add_f32 v2, v2, v6 :: v_dual_add_f32 v3, v3, v180
	v_mul_f32_e32 v6, v151, v111
	v_fma_f32 v4, v148, v108, -v4
	v_dual_fmac_f32 v183, v151, v110 :: v_dual_add_f32 v2, v2, v5
	s_delay_alu instid0(VALU_DEP_4) | instskip(SKIP_3) | instid1(VALU_DEP_4)
	v_add_f32_e32 v3, v3, v181
	v_dual_mul_f32 v184, v152, v113 :: v_dual_mul_f32 v185, v154, v115
	v_mul_f32_e32 v5, v153, v113
	v_fma_f32 v6, v150, v110, -v6
	v_dual_add_f32 v2, v2, v4 :: v_dual_add_f32 v3, v3, v182
	s_delay_alu instid0(VALU_DEP_4) | instskip(SKIP_2) | instid1(VALU_DEP_4)
	v_fmac_f32_e32 v184, v153, v112
	v_mul_f32_e32 v4, v155, v115
	v_fma_f32 v5, v152, v112, -v5
	v_dual_add_f32 v2, v2, v6 :: v_dual_add_f32 v3, v3, v183
	v_dual_mul_f32 v186, v156, v117 :: v_dual_mul_f32 v187, v158, v119
	v_dual_mul_f32 v6, v157, v117 :: v_dual_fmac_f32 v185, v155, v114
	v_fma_f32 v4, v154, v114, -v4
	s_delay_alu instid0(VALU_DEP_4) | instskip(NEXT) | instid1(VALU_DEP_4)
	v_dual_add_f32 v2, v2, v5 :: v_dual_add_f32 v3, v3, v184
	v_dual_mul_f32 v5, v159, v119 :: v_dual_fmac_f32 v186, v157, v116
	s_delay_alu instid0(VALU_DEP_4) | instskip(NEXT) | instid1(VALU_DEP_3)
	v_fma_f32 v6, v156, v116, -v6
	v_dual_add_f32 v2, v2, v4 :: v_dual_add_f32 v3, v3, v185
	v_dual_mul_f32 v4, v161, v121 :: v_dual_fmac_f32 v187, v159, v118
	s_delay_alu instid0(VALU_DEP_4) | instskip(NEXT) | instid1(VALU_DEP_3)
	v_fma_f32 v5, v158, v118, -v5
	v_dual_fmac_f32 v188, v161, v120 :: v_dual_add_f32 v3, v3, v186
	s_delay_alu instid0(VALU_DEP_4) | instskip(SKIP_3) | instid1(VALU_DEP_4)
	v_add_f32_e32 v2, v2, v6
	v_dual_mul_f32 v189, v162, v123 :: v_dual_mul_f32 v190, v164, v125
	v_mul_f32_e32 v6, v163, v123
	v_fma_f32 v4, v160, v120, -v4
	v_dual_add_f32 v3, v3, v187 :: v_dual_add_f32 v2, v2, v5
	s_delay_alu instid0(VALU_DEP_4) | instskip(SKIP_2) | instid1(VALU_DEP_4)
	v_fmac_f32_e32 v189, v163, v122
	v_mul_f32_e32 v5, v165, v125
	v_fma_f32 v6, v162, v122, -v6
	v_add_f32_e32 v3, v3, v188
	v_add_f32_e32 v2, v2, v4
	v_mul_f32_e32 v4, v171, v167
	v_dual_fmac_f32 v190, v165, v124 :: v_dual_fmac_f32 v191, v171, v166
	v_fma_f32 v5, v164, v124, -v5
	s_delay_alu instid0(VALU_DEP_4) | instskip(NEXT) | instid1(VALU_DEP_4)
	v_dual_add_f32 v3, v3, v189 :: v_dual_add_f32 v2, v2, v6
	v_fma_f32 v4, v170, v166, -v4
	s_delay_alu instid0(VALU_DEP_2) | instskip(NEXT) | instid1(VALU_DEP_1)
	v_dual_add_f32 v3, v3, v190 :: v_dual_add_f32 v2, v2, v5
	v_dual_add_f32 v3, v3, v191 :: v_dual_add_f32 v2, v2, v4
	s_wait_loadcnt 0x0
	s_delay_alu instid0(VALU_DEP_1)
	v_dual_sub_f32 v3, v169, v3 :: v_dual_sub_f32 v2, v168, v2
	scratch_store_b64 off, v[2:3], off offset:152
	v_cmpx_lt_u32_e32 18, v0
	s_cbranch_execz .LBB104_223
; %bb.222:
	scratch_load_b64 v[3:4], off, off offset:144
	v_mov_b32_e32 v2, v1
	scratch_store_b64 off, v[1:2], off offset:144
	s_wait_loadcnt 0x0
	ds_store_b64 v23, v[3:4]
.LBB104_223:
	s_wait_alu 0xfffe
	s_or_b32 exec_lo, exec_lo, s0
	s_wait_storecnt_dscnt 0x0
	s_barrier_signal -1
	s_barrier_wait -1
	global_inv scope:SCOPE_SE
	s_clause 0xb
	scratch_load_b128 v[2:5], off, off offset:152
	scratch_load_b128 v[6:9], off, off offset:168
	;; [unrolled: 1-line block ×11, first 2 shown]
	scratch_load_b64 v[174:175], off, off offset:144
	ds_load_2addr_b64 v[130:133], v1 offset0:61 offset1:62
	ds_load_2addr_b64 v[134:137], v1 offset0:63 offset1:64
	;; [unrolled: 1-line block ×11, first 2 shown]
	s_mov_b32 s0, exec_lo
	s_wait_loadcnt_dscnt 0xb0a
	v_dual_mul_f32 v1, v130, v3 :: v_dual_mul_f32 v22, v132, v5
	v_mul_f32_e32 v3, v131, v3
	s_wait_loadcnt_dscnt 0xa09
	v_dual_mul_f32 v5, v133, v5 :: v_dual_mul_f32 v176, v134, v7
	s_delay_alu instid0(VALU_DEP_3) | instskip(NEXT) | instid1(VALU_DEP_3)
	v_dual_mul_f32 v177, v136, v9 :: v_dual_fmac_f32 v22, v133, v4
	v_fma_f32 v3, v130, v2, -v3
	v_fmac_f32_e32 v1, v131, v2
	v_mul_f32_e32 v2, v135, v7
	v_fma_f32 v4, v132, v4, -v5
	s_delay_alu instid0(VALU_DEP_4)
	v_dual_fmac_f32 v176, v135, v6 :: v_dual_add_f32 v3, 0, v3
	s_wait_loadcnt_dscnt 0x706
	v_dual_mul_f32 v182, v146, v19 :: v_dual_mul_f32 v183, v148, v21
	v_fma_f32 v2, v134, v6, -v2
	v_dual_mul_f32 v178, v138, v11 :: v_dual_mul_f32 v179, v140, v13
	v_add_f32_e32 v3, v3, v4
	v_dual_mul_f32 v5, v137, v9 :: v_dual_mul_f32 v180, v142, v15
	v_dual_mul_f32 v181, v144, v17 :: v_dual_mul_f32 v4, v139, v11
	s_delay_alu instid0(VALU_DEP_3) | instskip(NEXT) | instid1(VALU_DEP_3)
	v_add_f32_e32 v2, v3, v2
	v_fma_f32 v5, v136, v8, -v5
	v_dual_mul_f32 v3, v141, v13 :: v_dual_fmac_f32 v182, v147, v18
	s_delay_alu instid0(VALU_DEP_4) | instskip(SKIP_1) | instid1(VALU_DEP_4)
	v_fma_f32 v4, v138, v10, -v4
	v_dual_fmac_f32 v177, v137, v8 :: v_dual_fmac_f32 v178, v139, v10
	v_add_f32_e32 v2, v2, v5
	v_add_f32_e32 v1, 0, v1
	v_fma_f32 v3, v140, v12, -v3
	v_fmac_f32_e32 v180, v143, v14
	s_wait_loadcnt_dscnt 0x605
	v_dual_mul_f32 v184, v150, v107 :: v_dual_mul_f32 v185, v152, v109
	v_dual_add_f32 v1, v1, v22 :: v_dual_add_f32 v2, v2, v4
	v_mul_f32_e32 v4, v145, v17
	s_wait_loadcnt_dscnt 0x403
	v_dual_mul_f32 v188, v158, v115 :: v_dual_mul_f32 v189, v160, v117
	s_delay_alu instid0(VALU_DEP_3) | instskip(NEXT) | instid1(VALU_DEP_3)
	v_dual_add_f32 v1, v1, v176 :: v_dual_add_f32 v2, v2, v3
	v_fma_f32 v4, v144, v16, -v4
	v_mul_f32_e32 v5, v143, v15
	v_dual_mul_f32 v186, v154, v111 :: v_dual_mul_f32 v187, v156, v113
	s_wait_loadcnt_dscnt 0x100
	v_dual_add_f32 v1, v1, v177 :: v_dual_mul_f32 v194, v170, v127
	v_mul_f32_e32 v195, v172, v129
	v_fma_f32 v5, v142, v14, -v5
	v_fmac_f32_e32 v179, v141, v12
	s_delay_alu instid0(VALU_DEP_4)
	v_add_f32_e32 v1, v1, v178
	v_fmac_f32_e32 v184, v151, v106
	v_dual_mul_f32 v190, v162, v119 :: v_dual_mul_f32 v191, v164, v121
	v_add_f32_e32 v2, v2, v5
	v_dual_fmac_f32 v186, v155, v110 :: v_dual_fmac_f32 v185, v153, v108
	v_dual_mul_f32 v192, v166, v123 :: v_dual_mul_f32 v193, v168, v125
	s_delay_alu instid0(VALU_DEP_3) | instskip(SKIP_2) | instid1(VALU_DEP_4)
	v_add_f32_e32 v2, v2, v4
	v_mul_f32_e32 v4, v151, v107
	v_add_f32_e32 v1, v1, v179
	v_dual_fmac_f32 v187, v157, v112 :: v_dual_fmac_f32 v192, v167, v122
	v_fmac_f32_e32 v191, v165, v120
	s_delay_alu instid0(VALU_DEP_4) | instskip(SKIP_4) | instid1(VALU_DEP_4)
	v_fma_f32 v4, v150, v106, -v4
	v_mul_f32_e32 v5, v149, v21
	v_add_f32_e32 v1, v1, v180
	v_dual_fmac_f32 v193, v169, v124 :: v_dual_fmac_f32 v188, v159, v114
	v_fmac_f32_e32 v195, v173, v128
	v_fma_f32 v5, v148, v20, -v5
	v_mul_f32_e32 v3, v147, v19
	v_fmac_f32_e32 v194, v171, v126
	v_fmac_f32_e32 v190, v163, v118
	s_delay_alu instid0(VALU_DEP_3) | instskip(NEXT) | instid1(VALU_DEP_1)
	v_fma_f32 v3, v146, v18, -v3
	v_dual_fmac_f32 v181, v145, v16 :: v_dual_add_f32 v2, v2, v3
	v_mul_f32_e32 v3, v153, v109
	s_delay_alu instid0(VALU_DEP_2) | instskip(NEXT) | instid1(VALU_DEP_2)
	v_dual_add_f32 v2, v2, v5 :: v_dual_mul_f32 v5, v155, v111
	v_fma_f32 v3, v152, v108, -v3
	s_delay_alu instid0(VALU_DEP_2) | instskip(SKIP_1) | instid1(VALU_DEP_4)
	v_dual_add_f32 v2, v2, v4 :: v_dual_add_f32 v1, v1, v181
	v_mul_f32_e32 v4, v157, v113
	v_fma_f32 v5, v154, v110, -v5
	s_delay_alu instid0(VALU_DEP_3) | instskip(NEXT) | instid1(VALU_DEP_3)
	v_dual_add_f32 v2, v2, v3 :: v_dual_fmac_f32 v183, v149, v20
	v_fma_f32 v4, v156, v112, -v4
	s_delay_alu instid0(VALU_DEP_2) | instskip(SKIP_1) | instid1(VALU_DEP_2)
	v_add_f32_e32 v2, v2, v5
	v_mul_f32_e32 v5, v161, v117
	v_dual_add_f32 v1, v1, v182 :: v_dual_add_f32 v2, v2, v4
	s_delay_alu instid0(VALU_DEP_2) | instskip(SKIP_1) | instid1(VALU_DEP_3)
	v_fma_f32 v5, v160, v116, -v5
	v_mul_f32_e32 v3, v159, v115
	v_add_f32_e32 v1, v1, v183
	v_mul_f32_e32 v4, v163, v119
	s_delay_alu instid0(VALU_DEP_3) | instskip(NEXT) | instid1(VALU_DEP_3)
	v_fma_f32 v3, v158, v114, -v3
	v_add_f32_e32 v1, v1, v184
	s_delay_alu instid0(VALU_DEP_3) | instskip(NEXT) | instid1(VALU_DEP_3)
	v_fma_f32 v4, v162, v118, -v4
	v_add_f32_e32 v2, v2, v3
	s_delay_alu instid0(VALU_DEP_1) | instskip(NEXT) | instid1(VALU_DEP_4)
	v_add_f32_e32 v2, v2, v5
	v_add_f32_e32 v1, v1, v185
	s_delay_alu instid0(VALU_DEP_2) | instskip(SKIP_1) | instid1(VALU_DEP_2)
	v_dual_mul_f32 v5, v167, v123 :: v_dual_add_f32 v2, v2, v4
	v_mul_f32_e32 v4, v169, v125
	v_fma_f32 v5, v166, v122, -v5
	s_delay_alu instid0(VALU_DEP_2) | instskip(SKIP_1) | instid1(VALU_DEP_1)
	v_fma_f32 v4, v168, v124, -v4
	v_mul_f32_e32 v3, v165, v121
	v_fma_f32 v3, v164, v120, -v3
	s_delay_alu instid0(VALU_DEP_1) | instskip(NEXT) | instid1(VALU_DEP_1)
	v_dual_add_f32 v1, v1, v186 :: v_dual_add_f32 v2, v2, v3
	v_add_f32_e32 v1, v1, v187
	s_delay_alu instid0(VALU_DEP_2) | instskip(NEXT) | instid1(VALU_DEP_2)
	v_dual_mul_f32 v3, v171, v127 :: v_dual_add_f32 v2, v2, v5
	v_add_f32_e32 v1, v1, v188
	v_mul_f32_e32 v5, v173, v129
	s_delay_alu instid0(VALU_DEP_3) | instskip(NEXT) | instid1(VALU_DEP_4)
	v_fma_f32 v3, v170, v126, -v3
	v_add_f32_e32 v2, v2, v4
	v_fmac_f32_e32 v189, v161, v116
	s_delay_alu instid0(VALU_DEP_4) | instskip(NEXT) | instid1(VALU_DEP_2)
	v_fma_f32 v4, v172, v128, -v5
	v_dual_add_f32 v2, v2, v3 :: v_dual_add_f32 v1, v1, v189
	s_delay_alu instid0(VALU_DEP_1) | instskip(NEXT) | instid1(VALU_DEP_1)
	v_dual_add_f32 v2, v2, v4 :: v_dual_add_f32 v1, v1, v190
	v_add_f32_e32 v1, v1, v191
	s_delay_alu instid0(VALU_DEP_1) | instskip(NEXT) | instid1(VALU_DEP_1)
	v_add_f32_e32 v1, v1, v192
	v_add_f32_e32 v1, v1, v193
	s_delay_alu instid0(VALU_DEP_1) | instskip(NEXT) | instid1(VALU_DEP_1)
	v_add_f32_e32 v1, v1, v194
	v_add_f32_e32 v3, v1, v195
	s_wait_loadcnt 0x0
	s_delay_alu instid0(VALU_DEP_1)
	v_dual_sub_f32 v1, v174, v2 :: v_dual_sub_f32 v2, v175, v3
	scratch_store_b64 off, v[1:2], off offset:144
	v_cmpx_lt_u32_e32 17, v0
	s_cbranch_execz .LBB104_225
; %bb.224:
	scratch_load_b64 v[1:2], off, off offset:136
	v_mov_b32_e32 v3, 0
	s_delay_alu instid0(VALU_DEP_1)
	v_mov_b32_e32 v4, v3
	scratch_store_b64 off, v[3:4], off offset:136
	s_wait_loadcnt 0x0
	ds_store_b64 v23, v[1:2]
.LBB104_225:
	s_wait_alu 0xfffe
	s_or_b32 exec_lo, exec_lo, s0
	s_wait_storecnt_dscnt 0x0
	s_barrier_signal -1
	s_barrier_wait -1
	global_inv scope:SCOPE_SE
	s_clause 0xc
	scratch_load_b128 v[2:5], off, off offset:144
	scratch_load_b128 v[6:9], off, off offset:160
	;; [unrolled: 1-line block ×11, first 2 shown]
	scratch_load_b64 v[174:175], off, off offset:320
	scratch_load_b64 v[176:177], off, off offset:136
	v_mov_b32_e32 v1, 0
	ds_load_b128 v[130:133], v1 offset:480
	ds_load_b128 v[134:137], v1 offset:496
	;; [unrolled: 1-line block ×11, first 2 shown]
	ds_load_b64 v[178:179], v1 offset:656
	s_mov_b32 s0, exec_lo
	s_wait_loadcnt_dscnt 0xc0b
	v_mul_f32_e32 v22, v130, v3
	s_wait_loadcnt_dscnt 0xb0a
	v_dual_mul_f32 v180, v132, v5 :: v_dual_mul_f32 v181, v134, v7
	v_mul_f32_e32 v5, v133, v5
	s_wait_loadcnt_dscnt 0xa09
	v_dual_mul_f32 v182, v136, v9 :: v_dual_mul_f32 v183, v138, v11
	v_mul_f32_e32 v3, v131, v3
	v_fmac_f32_e32 v22, v131, v2
	s_wait_loadcnt_dscnt 0x908
	v_dual_mul_f32 v184, v140, v13 :: v_dual_mul_f32 v185, v142, v15
	s_wait_loadcnt_dscnt 0x100
	v_dual_mul_f32 v198, v168, v125 :: v_dual_mul_f32 v201, v178, v175
	v_fma_f32 v3, v130, v2, -v3
	v_mul_f32_e32 v2, v135, v7
	v_fmac_f32_e32 v180, v133, v4
	v_fma_f32 v4, v132, v4, -v5
	v_dual_add_f32 v5, 0, v22 :: v_dual_fmac_f32 v182, v137, v8
	v_add_f32_e32 v3, 0, v3
	v_fmac_f32_e32 v181, v135, v6
	v_fma_f32 v2, v134, v6, -v2
	v_dual_fmac_f32 v183, v139, v10 :: v_dual_fmac_f32 v184, v141, v12
	s_delay_alu instid0(VALU_DEP_4) | instskip(SKIP_3) | instid1(VALU_DEP_4)
	v_add_f32_e32 v3, v3, v4
	v_mul_f32_e32 v7, v137, v9
	v_add_f32_e32 v4, v5, v180
	v_dual_mul_f32 v186, v144, v17 :: v_dual_mul_f32 v187, v146, v19
	v_add_f32_e32 v2, v3, v2
	s_delay_alu instid0(VALU_DEP_4)
	v_fma_f32 v6, v136, v8, -v7
	v_mul_f32_e32 v5, v139, v11
	v_add_f32_e32 v3, v4, v181
	v_dual_mul_f32 v4, v141, v13 :: v_dual_fmac_f32 v185, v143, v14
	v_fmac_f32_e32 v186, v145, v16
	v_add_f32_e32 v2, v2, v6
	v_fma_f32 v5, v138, v10, -v5
	v_mul_f32_e32 v6, v143, v15
	v_add_f32_e32 v3, v3, v182
	v_fma_f32 v4, v140, v12, -v4
	v_dual_mul_f32 v188, v148, v21 :: v_dual_mul_f32 v189, v150, v107
	s_delay_alu instid0(VALU_DEP_3) | instskip(SKIP_2) | instid1(VALU_DEP_3)
	v_dual_add_f32 v2, v2, v5 :: v_dual_add_f32 v3, v3, v183
	v_mul_f32_e32 v5, v145, v17
	v_fma_f32 v6, v142, v14, -v6
	v_dual_fmac_f32 v187, v147, v18 :: v_dual_add_f32 v2, v2, v4
	s_delay_alu instid0(VALU_DEP_4) | instskip(SKIP_3) | instid1(VALU_DEP_4)
	v_add_f32_e32 v3, v3, v184
	v_mul_f32_e32 v4, v147, v19
	v_fma_f32 v5, v144, v16, -v5
	v_fmac_f32_e32 v188, v149, v20
	v_dual_add_f32 v2, v2, v6 :: v_dual_add_f32 v3, v3, v185
	v_mul_f32_e32 v6, v149, v21
	v_fma_f32 v4, v146, v18, -v4
	v_dual_mul_f32 v190, v152, v109 :: v_dual_mul_f32 v191, v154, v111
	s_delay_alu instid0(VALU_DEP_4) | instskip(SKIP_2) | instid1(VALU_DEP_4)
	v_dual_add_f32 v2, v2, v5 :: v_dual_add_f32 v3, v3, v186
	v_mul_f32_e32 v5, v151, v107
	v_fma_f32 v6, v148, v20, -v6
	v_dual_fmac_f32 v189, v151, v106 :: v_dual_fmac_f32 v190, v153, v108
	s_delay_alu instid0(VALU_DEP_4) | instskip(SKIP_3) | instid1(VALU_DEP_4)
	v_dual_add_f32 v2, v2, v4 :: v_dual_add_f32 v3, v3, v187
	v_mul_f32_e32 v4, v153, v109
	v_fma_f32 v5, v150, v106, -v5
	v_fmac_f32_e32 v191, v155, v110
	v_dual_add_f32 v2, v2, v6 :: v_dual_add_f32 v3, v3, v188
	v_mul_f32_e32 v6, v155, v111
	v_fma_f32 v4, v152, v108, -v4
	v_dual_mul_f32 v192, v156, v113 :: v_dual_mul_f32 v193, v158, v115
	s_delay_alu instid0(VALU_DEP_4) | instskip(SKIP_4) | instid1(VALU_DEP_4)
	v_add_f32_e32 v2, v2, v5
	v_add_f32_e32 v3, v3, v189
	v_mul_f32_e32 v5, v157, v113
	v_fma_f32 v6, v154, v110, -v6
	v_fmac_f32_e32 v192, v157, v112
	v_dual_add_f32 v2, v2, v4 :: v_dual_add_f32 v3, v3, v190
	v_mul_f32_e32 v4, v159, v115
	v_fma_f32 v5, v156, v112, -v5
	v_dual_mul_f32 v194, v160, v117 :: v_dual_mul_f32 v195, v162, v119
	s_delay_alu instid0(VALU_DEP_4) | instskip(SKIP_2) | instid1(VALU_DEP_3)
	v_dual_add_f32 v2, v2, v6 :: v_dual_add_f32 v3, v3, v191
	v_dual_mul_f32 v6, v161, v117 :: v_dual_fmac_f32 v193, v159, v114
	v_fma_f32 v4, v158, v114, -v4
	v_dual_add_f32 v2, v2, v5 :: v_dual_add_f32 v3, v3, v192
	v_dual_mul_f32 v196, v164, v121 :: v_dual_mul_f32 v197, v166, v123
	v_dual_mul_f32 v5, v163, v119 :: v_dual_fmac_f32 v194, v161, v116
	v_fma_f32 v6, v160, v116, -v6
	s_delay_alu instid0(VALU_DEP_4) | instskip(SKIP_1) | instid1(VALU_DEP_4)
	v_dual_add_f32 v2, v2, v4 :: v_dual_add_f32 v3, v3, v193
	v_dual_mul_f32 v4, v165, v121 :: v_dual_fmac_f32 v195, v163, v118
	v_fma_f32 v5, v162, v118, -v5
	s_delay_alu instid0(VALU_DEP_3) | instskip(NEXT) | instid1(VALU_DEP_4)
	v_dual_fmac_f32 v196, v165, v120 :: v_dual_add_f32 v3, v3, v194
	v_add_f32_e32 v2, v2, v6
	v_mul_f32_e32 v6, v167, v123
	v_fma_f32 v4, v164, v120, -v4
	v_fmac_f32_e32 v197, v167, v122
	s_delay_alu instid0(VALU_DEP_4) | instskip(SKIP_3) | instid1(VALU_DEP_4)
	v_dual_add_f32 v3, v3, v195 :: v_dual_add_f32 v2, v2, v5
	v_mul_f32_e32 v5, v169, v125
	v_fma_f32 v6, v166, v122, -v6
	v_dual_mul_f32 v199, v170, v127 :: v_dual_mul_f32 v200, v172, v129
	v_add_f32_e32 v3, v3, v196
	v_add_f32_e32 v2, v2, v4
	v_mul_f32_e32 v4, v171, v127
	s_delay_alu instid0(VALU_DEP_4) | instskip(SKIP_1) | instid1(VALU_DEP_4)
	v_dual_fmac_f32 v198, v169, v124 :: v_dual_fmac_f32 v199, v171, v126
	v_fma_f32 v5, v168, v124, -v5
	v_dual_add_f32 v3, v3, v197 :: v_dual_add_f32 v2, v2, v6
	v_mul_f32_e32 v6, v173, v129
	v_fma_f32 v4, v170, v126, -v4
	v_fmac_f32_e32 v201, v179, v174
	s_delay_alu instid0(VALU_DEP_4) | instskip(SKIP_2) | instid1(VALU_DEP_3)
	v_dual_add_f32 v3, v3, v198 :: v_dual_add_f32 v2, v2, v5
	v_dual_mul_f32 v5, v179, v175 :: v_dual_fmac_f32 v200, v173, v128
	v_fma_f32 v6, v172, v128, -v6
	v_dual_add_f32 v3, v3, v199 :: v_dual_add_f32 v2, v2, v4
	s_delay_alu instid0(VALU_DEP_3) | instskip(NEXT) | instid1(VALU_DEP_2)
	v_fma_f32 v4, v178, v174, -v5
	v_dual_add_f32 v3, v3, v200 :: v_dual_add_f32 v2, v2, v6
	s_delay_alu instid0(VALU_DEP_1) | instskip(SKIP_1) | instid1(VALU_DEP_1)
	v_dual_add_f32 v3, v3, v201 :: v_dual_add_f32 v2, v2, v4
	s_wait_loadcnt 0x0
	v_dual_sub_f32 v3, v177, v3 :: v_dual_sub_f32 v2, v176, v2
	scratch_store_b64 off, v[2:3], off offset:136
	v_cmpx_lt_u32_e32 16, v0
	s_cbranch_execz .LBB104_227
; %bb.226:
	scratch_load_b64 v[3:4], off, off offset:128
	v_mov_b32_e32 v2, v1
	scratch_store_b64 off, v[1:2], off offset:128
	s_wait_loadcnt 0x0
	ds_store_b64 v23, v[3:4]
.LBB104_227:
	s_wait_alu 0xfffe
	s_or_b32 exec_lo, exec_lo, s0
	s_wait_storecnt_dscnt 0x0
	s_barrier_signal -1
	s_barrier_wait -1
	global_inv scope:SCOPE_SE
	s_clause 0xc
	scratch_load_b128 v[2:5], off, off offset:136
	scratch_load_b128 v[6:9], off, off offset:152
	;; [unrolled: 1-line block ×12, first 2 shown]
	scratch_load_b64 v[182:183], off, off offset:128
	ds_load_2addr_b64 v[134:137], v1 offset0:59 offset1:60
	ds_load_2addr_b64 v[138:141], v1 offset0:61 offset1:62
	;; [unrolled: 1-line block ×12, first 2 shown]
	s_mov_b32 s0, exec_lo
	s_wait_loadcnt_dscnt 0xc0b
	v_dual_mul_f32 v1, v134, v3 :: v_dual_mul_f32 v22, v136, v5
	v_mul_f32_e32 v3, v135, v3
	s_wait_loadcnt_dscnt 0xb0a
	v_dual_mul_f32 v5, v137, v5 :: v_dual_mul_f32 v184, v138, v7
	s_delay_alu instid0(VALU_DEP_3) | instskip(NEXT) | instid1(VALU_DEP_3)
	v_dual_mul_f32 v185, v140, v9 :: v_dual_fmac_f32 v22, v137, v4
	v_fma_f32 v3, v134, v2, -v3
	v_fmac_f32_e32 v1, v135, v2
	v_mul_f32_e32 v2, v139, v7
	v_fma_f32 v4, v136, v4, -v5
	s_delay_alu instid0(VALU_DEP_4)
	v_dual_fmac_f32 v184, v139, v6 :: v_dual_add_f32 v3, 0, v3
	s_wait_loadcnt_dscnt 0x807
	v_dual_mul_f32 v190, v150, v19 :: v_dual_mul_f32 v191, v152, v21
	v_fma_f32 v2, v138, v6, -v2
	v_dual_mul_f32 v186, v142, v11 :: v_dual_mul_f32 v187, v144, v13
	v_add_f32_e32 v3, v3, v4
	v_dual_mul_f32 v5, v141, v9 :: v_dual_mul_f32 v188, v146, v15
	v_dual_mul_f32 v189, v148, v17 :: v_dual_mul_f32 v4, v143, v11
	s_delay_alu instid0(VALU_DEP_3) | instskip(NEXT) | instid1(VALU_DEP_3)
	v_add_f32_e32 v2, v3, v2
	v_fma_f32 v5, v140, v8, -v5
	v_dual_mul_f32 v3, v145, v13 :: v_dual_fmac_f32 v190, v151, v18
	s_delay_alu instid0(VALU_DEP_4) | instskip(SKIP_1) | instid1(VALU_DEP_4)
	v_fma_f32 v4, v142, v10, -v4
	v_dual_fmac_f32 v185, v141, v8 :: v_dual_fmac_f32 v186, v143, v10
	v_add_f32_e32 v2, v2, v5
	v_add_f32_e32 v1, 0, v1
	v_fma_f32 v3, v144, v12, -v3
	v_fmac_f32_e32 v188, v147, v14
	s_wait_loadcnt_dscnt 0x706
	v_dual_mul_f32 v192, v154, v107 :: v_dual_mul_f32 v193, v156, v109
	v_dual_add_f32 v1, v1, v22 :: v_dual_add_f32 v2, v2, v4
	v_mul_f32_e32 v4, v149, v17
	s_wait_loadcnt_dscnt 0x504
	v_dual_mul_f32 v196, v162, v115 :: v_dual_mul_f32 v197, v164, v117
	s_delay_alu instid0(VALU_DEP_3) | instskip(NEXT) | instid1(VALU_DEP_3)
	v_dual_add_f32 v1, v1, v184 :: v_dual_add_f32 v2, v2, v3
	v_fma_f32 v4, v148, v16, -v4
	v_mul_f32_e32 v5, v147, v15
	v_dual_mul_f32 v194, v158, v111 :: v_dual_mul_f32 v195, v160, v113
	s_wait_loadcnt_dscnt 0x201
	v_dual_add_f32 v1, v1, v185 :: v_dual_mul_f32 v202, v174, v127
	v_mul_f32_e32 v203, v176, v129
	v_fma_f32 v5, v146, v14, -v5
	v_fmac_f32_e32 v187, v145, v12
	s_delay_alu instid0(VALU_DEP_4)
	v_add_f32_e32 v1, v1, v186
	v_fmac_f32_e32 v192, v155, v106
	v_dual_mul_f32 v198, v166, v119 :: v_dual_mul_f32 v199, v168, v121
	v_add_f32_e32 v2, v2, v5
	v_dual_fmac_f32 v194, v159, v110 :: v_dual_fmac_f32 v193, v157, v108
	v_dual_mul_f32 v200, v170, v123 :: v_dual_mul_f32 v201, v172, v125
	s_delay_alu instid0(VALU_DEP_3) | instskip(SKIP_2) | instid1(VALU_DEP_4)
	v_add_f32_e32 v2, v2, v4
	v_mul_f32_e32 v4, v155, v107
	v_add_f32_e32 v1, v1, v187
	v_dual_fmac_f32 v195, v161, v112 :: v_dual_fmac_f32 v200, v171, v122
	v_fmac_f32_e32 v197, v165, v116
	s_delay_alu instid0(VALU_DEP_4) | instskip(SKIP_4) | instid1(VALU_DEP_3)
	v_fma_f32 v4, v154, v106, -v4
	v_mul_f32_e32 v5, v153, v21
	s_wait_loadcnt_dscnt 0x100
	v_dual_add_f32 v1, v1, v188 :: v_dual_mul_f32 v204, v178, v131
	v_dual_mul_f32 v205, v180, v133 :: v_dual_fmac_f32 v196, v163, v114
	v_fma_f32 v5, v152, v20, -v5
	v_mul_f32_e32 v3, v151, v19
	v_fmac_f32_e32 v203, v177, v128
	s_delay_alu instid0(VALU_DEP_4) | instskip(SKIP_1) | instid1(VALU_DEP_4)
	v_dual_fmac_f32 v205, v181, v132 :: v_dual_fmac_f32 v202, v175, v126
	v_fmac_f32_e32 v198, v167, v118
	v_fma_f32 v3, v150, v18, -v3
	v_dual_fmac_f32 v189, v149, v16 :: v_dual_fmac_f32 v204, v179, v130
	s_delay_alu instid0(VALU_DEP_2) | instskip(NEXT) | instid1(VALU_DEP_1)
	v_dual_add_f32 v2, v2, v3 :: v_dual_mul_f32 v3, v157, v109
	v_dual_add_f32 v2, v2, v5 :: v_dual_mul_f32 v5, v159, v111
	s_delay_alu instid0(VALU_DEP_2) | instskip(NEXT) | instid1(VALU_DEP_2)
	v_fma_f32 v3, v156, v108, -v3
	v_dual_add_f32 v2, v2, v4 :: v_dual_add_f32 v1, v1, v189
	v_mul_f32_e32 v4, v161, v113
	s_delay_alu instid0(VALU_DEP_4) | instskip(NEXT) | instid1(VALU_DEP_3)
	v_fma_f32 v5, v158, v110, -v5
	v_dual_add_f32 v2, v2, v3 :: v_dual_fmac_f32 v191, v153, v20
	s_delay_alu instid0(VALU_DEP_3) | instskip(NEXT) | instid1(VALU_DEP_2)
	v_fma_f32 v4, v160, v112, -v4
	v_add_f32_e32 v2, v2, v5
	v_mul_f32_e32 v5, v165, v117
	s_delay_alu instid0(VALU_DEP_2) | instskip(NEXT) | instid1(VALU_DEP_2)
	v_dual_add_f32 v1, v1, v190 :: v_dual_add_f32 v2, v2, v4
	v_fma_f32 v5, v164, v116, -v5
	v_mul_f32_e32 v3, v163, v115
	s_delay_alu instid0(VALU_DEP_3) | instskip(SKIP_1) | instid1(VALU_DEP_3)
	v_add_f32_e32 v1, v1, v191
	v_mul_f32_e32 v4, v167, v119
	v_fma_f32 v3, v162, v114, -v3
	s_delay_alu instid0(VALU_DEP_3) | instskip(NEXT) | instid1(VALU_DEP_3)
	v_add_f32_e32 v1, v1, v192
	v_fma_f32 v4, v166, v118, -v4
	s_delay_alu instid0(VALU_DEP_3) | instskip(NEXT) | instid1(VALU_DEP_1)
	v_add_f32_e32 v2, v2, v3
	v_add_f32_e32 v2, v2, v5
	s_delay_alu instid0(VALU_DEP_4) | instskip(NEXT) | instid1(VALU_DEP_2)
	v_add_f32_e32 v1, v1, v193
	v_dual_mul_f32 v5, v171, v123 :: v_dual_add_f32 v2, v2, v4
	v_mul_f32_e32 v4, v173, v125
	s_delay_alu instid0(VALU_DEP_2) | instskip(NEXT) | instid1(VALU_DEP_2)
	v_fma_f32 v5, v170, v122, -v5
	v_fma_f32 v4, v172, v124, -v4
	v_mul_f32_e32 v3, v169, v121
	s_delay_alu instid0(VALU_DEP_1) | instskip(NEXT) | instid1(VALU_DEP_1)
	v_fma_f32 v3, v168, v120, -v3
	v_dual_add_f32 v1, v1, v194 :: v_dual_add_f32 v2, v2, v3
	s_delay_alu instid0(VALU_DEP_1) | instskip(NEXT) | instid1(VALU_DEP_2)
	v_add_f32_e32 v1, v1, v195
	v_dual_mul_f32 v3, v175, v127 :: v_dual_add_f32 v2, v2, v5
	v_mul_f32_e32 v5, v177, v129
	s_delay_alu instid0(VALU_DEP_2) | instskip(NEXT) | instid1(VALU_DEP_3)
	v_fma_f32 v3, v174, v126, -v3
	v_add_f32_e32 v2, v2, v4
	v_dual_add_f32 v1, v1, v196 :: v_dual_mul_f32 v4, v179, v131
	s_delay_alu instid0(VALU_DEP_4) | instskip(NEXT) | instid1(VALU_DEP_2)
	v_fma_f32 v5, v176, v128, -v5
	v_dual_add_f32 v2, v2, v3 :: v_dual_add_f32 v1, v1, v197
	v_fmac_f32_e32 v199, v169, v120
	s_delay_alu instid0(VALU_DEP_4) | instskip(SKIP_1) | instid1(VALU_DEP_4)
	v_fma_f32 v4, v178, v130, -v4
	v_mul_f32_e32 v3, v181, v133
	v_dual_add_f32 v2, v2, v5 :: v_dual_add_f32 v1, v1, v198
	s_delay_alu instid0(VALU_DEP_2) | instskip(NEXT) | instid1(VALU_DEP_2)
	v_fma_f32 v3, v180, v132, -v3
	v_dual_add_f32 v2, v2, v4 :: v_dual_add_f32 v1, v1, v199
	s_delay_alu instid0(VALU_DEP_1) | instskip(NEXT) | instid1(VALU_DEP_2)
	v_dual_fmac_f32 v201, v173, v124 :: v_dual_add_f32 v2, v2, v3
	v_add_f32_e32 v1, v1, v200
	s_delay_alu instid0(VALU_DEP_1) | instskip(NEXT) | instid1(VALU_DEP_1)
	v_add_f32_e32 v1, v1, v201
	v_add_f32_e32 v1, v1, v202
	s_delay_alu instid0(VALU_DEP_1) | instskip(NEXT) | instid1(VALU_DEP_1)
	v_add_f32_e32 v1, v1, v203
	v_add_f32_e32 v1, v1, v204
	s_delay_alu instid0(VALU_DEP_1) | instskip(SKIP_1) | instid1(VALU_DEP_1)
	v_add_f32_e32 v3, v1, v205
	s_wait_loadcnt 0x0
	v_dual_sub_f32 v1, v182, v2 :: v_dual_sub_f32 v2, v183, v3
	scratch_store_b64 off, v[1:2], off offset:128
	v_cmpx_lt_u32_e32 15, v0
	s_cbranch_execz .LBB104_229
; %bb.228:
	scratch_load_b64 v[1:2], off, off offset:120
	v_mov_b32_e32 v3, 0
	s_delay_alu instid0(VALU_DEP_1)
	v_mov_b32_e32 v4, v3
	scratch_store_b64 off, v[3:4], off offset:120
	s_wait_loadcnt 0x0
	ds_store_b64 v23, v[1:2]
.LBB104_229:
	s_wait_alu 0xfffe
	s_or_b32 exec_lo, exec_lo, s0
	s_wait_storecnt_dscnt 0x0
	s_barrier_signal -1
	s_barrier_wait -1
	global_inv scope:SCOPE_SE
	s_clause 0xd
	scratch_load_b128 v[2:5], off, off offset:128
	scratch_load_b128 v[6:9], off, off offset:144
	;; [unrolled: 1-line block ×12, first 2 shown]
	scratch_load_b64 v[182:183], off, off offset:320
	scratch_load_b64 v[184:185], off, off offset:120
	v_mov_b32_e32 v1, 0
	ds_load_b128 v[134:137], v1 offset:464
	ds_load_b128 v[138:141], v1 offset:480
	ds_load_b128 v[142:145], v1 offset:496
	ds_load_b128 v[146:149], v1 offset:512
	ds_load_b128 v[150:153], v1 offset:528
	ds_load_b128 v[154:157], v1 offset:544
	ds_load_b128 v[158:161], v1 offset:560
	ds_load_b128 v[162:165], v1 offset:576
	ds_load_b128 v[166:169], v1 offset:592
	ds_load_b128 v[170:173], v1 offset:608
	ds_load_b128 v[174:177], v1 offset:624
	ds_load_b128 v[178:181], v1 offset:640
	ds_load_b64 v[186:187], v1 offset:656
	s_mov_b32 s0, exec_lo
	s_wait_loadcnt_dscnt 0xd0c
	v_mul_f32_e32 v22, v134, v3
	s_wait_loadcnt_dscnt 0xc0b
	v_dual_mul_f32 v188, v136, v5 :: v_dual_mul_f32 v189, v138, v7
	v_mul_f32_e32 v5, v137, v5
	s_wait_loadcnt_dscnt 0xb0a
	v_dual_mul_f32 v190, v140, v9 :: v_dual_mul_f32 v191, v142, v11
	v_dual_mul_f32 v3, v135, v3 :: v_dual_mul_f32 v192, v144, v13
	s_wait_loadcnt_dscnt 0xa09
	v_dual_mul_f32 v193, v146, v15 :: v_dual_fmac_f32 v22, v135, v2
	s_wait_loadcnt_dscnt 0x302
	v_mul_f32_e32 v208, v176, v129
	v_fma_f32 v3, v134, v2, -v3
	s_wait_loadcnt_dscnt 0x100
	v_mul_f32_e32 v211, v186, v183
	v_mul_f32_e32 v2, v139, v7
	v_fmac_f32_e32 v188, v137, v4
	v_fma_f32 v4, v136, v4, -v5
	v_add_f32_e32 v3, 0, v3
	v_dual_add_f32 v5, 0, v22 :: v_dual_fmac_f32 v190, v141, v8
	v_fmac_f32_e32 v189, v139, v6
	v_fma_f32 v2, v138, v6, -v2
	s_delay_alu instid0(VALU_DEP_4) | instskip(SKIP_3) | instid1(VALU_DEP_4)
	v_add_f32_e32 v3, v3, v4
	v_mul_f32_e32 v7, v141, v9
	v_dual_add_f32 v4, v5, v188 :: v_dual_fmac_f32 v191, v143, v10
	v_fmac_f32_e32 v192, v145, v12
	v_add_f32_e32 v2, v3, v2
	s_delay_alu instid0(VALU_DEP_4)
	v_fma_f32 v6, v140, v8, -v7
	v_mul_f32_e32 v5, v143, v11
	v_add_f32_e32 v3, v4, v189
	v_mul_f32_e32 v4, v145, v13
	v_dual_mul_f32 v194, v148, v17 :: v_dual_mul_f32 v195, v150, v19
	v_add_f32_e32 v2, v2, v6
	v_fma_f32 v5, v142, v10, -v5
	v_mul_f32_e32 v6, v147, v15
	v_add_f32_e32 v3, v3, v190
	v_fma_f32 v4, v144, v12, -v4
	v_dual_fmac_f32 v193, v147, v14 :: v_dual_fmac_f32 v194, v149, v16
	s_delay_alu instid0(VALU_DEP_3) | instskip(SKIP_3) | instid1(VALU_DEP_4)
	v_dual_add_f32 v2, v2, v5 :: v_dual_add_f32 v3, v3, v191
	v_mul_f32_e32 v5, v149, v17
	v_fma_f32 v6, v146, v14, -v6
	v_dual_mul_f32 v196, v152, v21 :: v_dual_mul_f32 v197, v154, v107
	v_add_f32_e32 v2, v2, v4
	v_add_f32_e32 v3, v3, v192
	v_mul_f32_e32 v4, v151, v19
	v_fma_f32 v5, v148, v16, -v5
	v_fmac_f32_e32 v195, v151, v18
	s_delay_alu instid0(VALU_DEP_4) | instskip(SKIP_3) | instid1(VALU_DEP_4)
	v_dual_add_f32 v2, v2, v6 :: v_dual_add_f32 v3, v3, v193
	v_fmac_f32_e32 v196, v153, v20
	v_mul_f32_e32 v6, v153, v21
	v_fma_f32 v4, v150, v18, -v4
	v_dual_add_f32 v2, v2, v5 :: v_dual_add_f32 v3, v3, v194
	v_mul_f32_e32 v5, v155, v107
	s_delay_alu instid0(VALU_DEP_4) | instskip(SKIP_1) | instid1(VALU_DEP_4)
	v_fma_f32 v6, v152, v20, -v6
	v_dual_mul_f32 v198, v156, v109 :: v_dual_mul_f32 v199, v158, v111
	v_dual_add_f32 v2, v2, v4 :: v_dual_add_f32 v3, v3, v195
	v_dual_mul_f32 v4, v157, v109 :: v_dual_fmac_f32 v197, v155, v106
	s_delay_alu instid0(VALU_DEP_3) | instskip(SKIP_1) | instid1(VALU_DEP_4)
	v_fmac_f32_e32 v198, v157, v108
	v_fma_f32 v5, v154, v106, -v5
	v_dual_add_f32 v2, v2, v6 :: v_dual_add_f32 v3, v3, v196
	v_mul_f32_e32 v6, v159, v111
	v_fma_f32 v4, v156, v108, -v4
	s_delay_alu instid0(VALU_DEP_3) | instskip(NEXT) | instid1(VALU_DEP_4)
	v_dual_fmac_f32 v199, v159, v110 :: v_dual_add_f32 v2, v2, v5
	v_add_f32_e32 v3, v3, v197
	v_dual_mul_f32 v200, v160, v113 :: v_dual_mul_f32 v201, v162, v115
	v_mul_f32_e32 v5, v161, v113
	v_fma_f32 v6, v158, v110, -v6
	s_delay_alu instid0(VALU_DEP_4) | instskip(NEXT) | instid1(VALU_DEP_4)
	v_dual_add_f32 v2, v2, v4 :: v_dual_add_f32 v3, v3, v198
	v_fmac_f32_e32 v200, v161, v112
	v_mul_f32_e32 v4, v163, v115
	v_fma_f32 v5, v160, v112, -v5
	s_delay_alu instid0(VALU_DEP_4) | instskip(SKIP_3) | instid1(VALU_DEP_4)
	v_dual_add_f32 v2, v2, v6 :: v_dual_add_f32 v3, v3, v199
	v_dual_mul_f32 v202, v164, v117 :: v_dual_mul_f32 v203, v166, v119
	v_dual_mul_f32 v6, v165, v117 :: v_dual_fmac_f32 v201, v163, v114
	v_fma_f32 v4, v162, v114, -v4
	v_dual_add_f32 v2, v2, v5 :: v_dual_add_f32 v3, v3, v200
	v_dual_mul_f32 v204, v168, v121 :: v_dual_mul_f32 v205, v170, v123
	v_dual_mul_f32 v5, v167, v119 :: v_dual_fmac_f32 v202, v165, v116
	v_fma_f32 v6, v164, v116, -v6
	s_delay_alu instid0(VALU_DEP_4) | instskip(SKIP_1) | instid1(VALU_DEP_4)
	v_dual_add_f32 v2, v2, v4 :: v_dual_add_f32 v3, v3, v201
	v_dual_mul_f32 v4, v169, v121 :: v_dual_fmac_f32 v203, v167, v118
	v_fma_f32 v5, v166, v118, -v5
	s_delay_alu instid0(VALU_DEP_3) | instskip(NEXT) | instid1(VALU_DEP_4)
	v_dual_fmac_f32 v204, v169, v120 :: v_dual_add_f32 v3, v3, v202
	v_add_f32_e32 v2, v2, v6
	v_mul_f32_e32 v6, v171, v123
	v_fma_f32 v4, v168, v120, -v4
	v_dual_mul_f32 v206, v172, v125 :: v_dual_mul_f32 v207, v174, v127
	s_delay_alu instid0(VALU_DEP_4) | instskip(SKIP_3) | instid1(VALU_DEP_4)
	v_dual_add_f32 v3, v3, v203 :: v_dual_add_f32 v2, v2, v5
	v_fmac_f32_e32 v205, v171, v122
	v_mul_f32_e32 v5, v173, v125
	v_fma_f32 v6, v170, v122, -v6
	v_add_f32_e32 v3, v3, v204
	v_add_f32_e32 v2, v2, v4
	v_mul_f32_e32 v4, v175, v127
	v_dual_fmac_f32 v206, v173, v124 :: v_dual_fmac_f32 v207, v175, v126
	v_fma_f32 v5, v172, v124, -v5
	s_delay_alu instid0(VALU_DEP_4) | instskip(SKIP_3) | instid1(VALU_DEP_4)
	v_dual_add_f32 v3, v3, v205 :: v_dual_add_f32 v2, v2, v6
	v_mul_f32_e32 v6, v177, v129
	v_fma_f32 v4, v174, v126, -v4
	v_dual_mul_f32 v209, v178, v131 :: v_dual_mul_f32 v210, v180, v133
	v_dual_add_f32 v2, v2, v5 :: v_dual_mul_f32 v5, v179, v131
	v_dual_add_f32 v3, v3, v206 :: v_dual_fmac_f32 v208, v177, v128
	v_fma_f32 v6, v176, v128, -v6
	s_delay_alu instid0(VALU_DEP_3) | instskip(NEXT) | instid1(VALU_DEP_3)
	v_dual_add_f32 v2, v2, v4 :: v_dual_fmac_f32 v209, v179, v130
	v_dual_add_f32 v3, v3, v207 :: v_dual_mul_f32 v4, v181, v133
	v_fma_f32 v5, v178, v130, -v5
	v_dual_fmac_f32 v210, v181, v132 :: v_dual_fmac_f32 v211, v187, v182
	s_delay_alu instid0(VALU_DEP_3) | instskip(SKIP_2) | instid1(VALU_DEP_3)
	v_dual_add_f32 v3, v3, v208 :: v_dual_add_f32 v2, v2, v6
	v_mul_f32_e32 v6, v187, v183
	v_fma_f32 v4, v180, v132, -v4
	v_add_f32_e32 v3, v3, v209
	s_delay_alu instid0(VALU_DEP_4) | instskip(NEXT) | instid1(VALU_DEP_4)
	v_add_f32_e32 v2, v2, v5
	v_fma_f32 v5, v186, v182, -v6
	s_delay_alu instid0(VALU_DEP_2) | instskip(NEXT) | instid1(VALU_DEP_1)
	v_dual_add_f32 v3, v3, v210 :: v_dual_add_f32 v2, v2, v4
	v_dual_add_f32 v3, v3, v211 :: v_dual_add_f32 v2, v2, v5
	s_wait_loadcnt 0x0
	s_delay_alu instid0(VALU_DEP_1)
	v_dual_sub_f32 v3, v185, v3 :: v_dual_sub_f32 v2, v184, v2
	scratch_store_b64 off, v[2:3], off offset:120
	v_cmpx_lt_u32_e32 14, v0
	s_cbranch_execz .LBB104_231
; %bb.230:
	scratch_load_b64 v[3:4], off, off offset:112
	v_mov_b32_e32 v2, v1
	scratch_store_b64 off, v[1:2], off offset:112
	s_wait_loadcnt 0x0
	ds_store_b64 v23, v[3:4]
.LBB104_231:
	s_wait_alu 0xfffe
	s_or_b32 exec_lo, exec_lo, s0
	s_wait_storecnt_dscnt 0x0
	s_barrier_signal -1
	s_barrier_wait -1
	global_inv scope:SCOPE_SE
	s_clause 0xd
	scratch_load_b128 v[2:5], off, off offset:120
	scratch_load_b128 v[6:9], off, off offset:136
	;; [unrolled: 1-line block ×13, first 2 shown]
	scratch_load_b64 v[190:191], off, off offset:112
	ds_load_2addr_b64 v[138:141], v1 offset0:57 offset1:58
	ds_load_2addr_b64 v[142:145], v1 offset0:59 offset1:60
	;; [unrolled: 1-line block ×13, first 2 shown]
	s_mov_b32 s0, exec_lo
	s_wait_loadcnt_dscnt 0xd0c
	v_dual_mul_f32 v1, v138, v3 :: v_dual_mul_f32 v22, v140, v5
	v_mul_f32_e32 v3, v139, v3
	s_wait_loadcnt_dscnt 0xc0b
	v_dual_mul_f32 v5, v141, v5 :: v_dual_mul_f32 v192, v142, v7
	s_delay_alu instid0(VALU_DEP_3) | instskip(NEXT) | instid1(VALU_DEP_3)
	v_dual_mul_f32 v193, v144, v9 :: v_dual_fmac_f32 v22, v141, v4
	v_fma_f32 v3, v138, v2, -v3
	v_fmac_f32_e32 v1, v139, v2
	v_mul_f32_e32 v2, v143, v7
	v_fma_f32 v4, v140, v4, -v5
	s_delay_alu instid0(VALU_DEP_4)
	v_dual_fmac_f32 v192, v143, v6 :: v_dual_add_f32 v3, 0, v3
	s_wait_loadcnt_dscnt 0x908
	v_dual_mul_f32 v198, v154, v19 :: v_dual_mul_f32 v199, v156, v21
	v_fma_f32 v2, v142, v6, -v2
	v_dual_mul_f32 v194, v146, v11 :: v_dual_mul_f32 v195, v148, v13
	v_add_f32_e32 v3, v3, v4
	v_dual_mul_f32 v5, v145, v9 :: v_dual_mul_f32 v196, v150, v15
	v_dual_mul_f32 v197, v152, v17 :: v_dual_mul_f32 v4, v147, v11
	s_delay_alu instid0(VALU_DEP_3) | instskip(NEXT) | instid1(VALU_DEP_3)
	v_add_f32_e32 v2, v3, v2
	v_fma_f32 v5, v144, v8, -v5
	v_dual_mul_f32 v3, v149, v13 :: v_dual_fmac_f32 v198, v155, v18
	s_delay_alu instid0(VALU_DEP_4) | instskip(SKIP_1) | instid1(VALU_DEP_4)
	v_fma_f32 v4, v146, v10, -v4
	v_dual_fmac_f32 v193, v145, v8 :: v_dual_fmac_f32 v194, v147, v10
	v_add_f32_e32 v2, v2, v5
	v_add_f32_e32 v1, 0, v1
	v_fma_f32 v3, v148, v12, -v3
	v_fmac_f32_e32 v196, v151, v14
	s_wait_loadcnt_dscnt 0x807
	v_dual_mul_f32 v200, v158, v107 :: v_dual_mul_f32 v201, v160, v109
	v_dual_add_f32 v1, v1, v22 :: v_dual_add_f32 v2, v2, v4
	v_mul_f32_e32 v4, v153, v17
	s_wait_loadcnt_dscnt 0x605
	v_dual_mul_f32 v204, v166, v115 :: v_dual_mul_f32 v205, v168, v117
	s_delay_alu instid0(VALU_DEP_3) | instskip(NEXT) | instid1(VALU_DEP_3)
	v_dual_add_f32 v1, v1, v192 :: v_dual_add_f32 v2, v2, v3
	v_fma_f32 v4, v152, v16, -v4
	v_mul_f32_e32 v5, v151, v15
	v_dual_mul_f32 v202, v162, v111 :: v_dual_mul_f32 v203, v164, v113
	s_wait_loadcnt_dscnt 0x302
	v_dual_add_f32 v1, v1, v193 :: v_dual_mul_f32 v210, v178, v127
	v_mul_f32_e32 v211, v180, v129
	v_fma_f32 v5, v150, v14, -v5
	v_fmac_f32_e32 v195, v149, v12
	s_delay_alu instid0(VALU_DEP_4)
	v_add_f32_e32 v1, v1, v194
	v_fmac_f32_e32 v200, v159, v106
	v_dual_mul_f32 v206, v170, v119 :: v_dual_mul_f32 v207, v172, v121
	v_add_f32_e32 v2, v2, v5
	v_dual_fmac_f32 v202, v163, v110 :: v_dual_fmac_f32 v201, v161, v108
	v_dual_mul_f32 v208, v174, v123 :: v_dual_mul_f32 v209, v176, v125
	s_delay_alu instid0(VALU_DEP_3) | instskip(SKIP_2) | instid1(VALU_DEP_4)
	v_add_f32_e32 v2, v2, v4
	v_mul_f32_e32 v4, v159, v107
	v_add_f32_e32 v1, v1, v195
	v_dual_fmac_f32 v203, v165, v112 :: v_dual_fmac_f32 v208, v175, v122
	v_fmac_f32_e32 v205, v169, v116
	s_delay_alu instid0(VALU_DEP_4) | instskip(SKIP_4) | instid1(VALU_DEP_3)
	v_fma_f32 v4, v158, v106, -v4
	v_mul_f32_e32 v5, v157, v21
	s_wait_loadcnt_dscnt 0x201
	v_dual_add_f32 v1, v1, v196 :: v_dual_mul_f32 v212, v182, v131
	v_dual_mul_f32 v213, v184, v133 :: v_dual_fmac_f32 v204, v167, v114
	v_fma_f32 v5, v156, v20, -v5
	v_mul_f32_e32 v3, v155, v19
	s_wait_loadcnt_dscnt 0x100
	v_dual_mul_f32 v214, v186, v135 :: v_dual_mul_f32 v215, v188, v137
	v_fmac_f32_e32 v211, v181, v128
	v_fmac_f32_e32 v213, v185, v132
	v_fma_f32 v3, v154, v18, -v3
	v_fmac_f32_e32 v197, v153, v16
	v_dual_fmac_f32 v215, v189, v136 :: v_dual_fmac_f32 v210, v179, v126
	v_fmac_f32_e32 v206, v171, v118
	s_delay_alu instid0(VALU_DEP_4) | instskip(SKIP_2) | instid1(VALU_DEP_3)
	v_dual_add_f32 v2, v2, v3 :: v_dual_mul_f32 v3, v161, v109
	v_fmac_f32_e32 v212, v183, v130
	v_fmac_f32_e32 v214, v187, v134
	v_dual_add_f32 v2, v2, v5 :: v_dual_mul_f32 v5, v163, v111
	s_delay_alu instid0(VALU_DEP_4) | instskip(NEXT) | instid1(VALU_DEP_2)
	v_fma_f32 v3, v160, v108, -v3
	v_dual_add_f32 v2, v2, v4 :: v_dual_add_f32 v1, v1, v197
	v_mul_f32_e32 v4, v165, v113
	s_delay_alu instid0(VALU_DEP_4) | instskip(NEXT) | instid1(VALU_DEP_3)
	v_fma_f32 v5, v162, v110, -v5
	v_dual_add_f32 v2, v2, v3 :: v_dual_fmac_f32 v199, v157, v20
	s_delay_alu instid0(VALU_DEP_3) | instskip(NEXT) | instid1(VALU_DEP_2)
	v_fma_f32 v4, v164, v112, -v4
	v_add_f32_e32 v2, v2, v5
	v_mul_f32_e32 v5, v169, v117
	s_delay_alu instid0(VALU_DEP_2) | instskip(NEXT) | instid1(VALU_DEP_2)
	v_dual_add_f32 v1, v1, v198 :: v_dual_add_f32 v2, v2, v4
	v_fma_f32 v5, v168, v116, -v5
	v_mul_f32_e32 v3, v167, v115
	s_delay_alu instid0(VALU_DEP_3) | instskip(SKIP_1) | instid1(VALU_DEP_3)
	v_add_f32_e32 v1, v1, v199
	v_mul_f32_e32 v4, v171, v119
	v_fma_f32 v3, v166, v114, -v3
	s_delay_alu instid0(VALU_DEP_3) | instskip(NEXT) | instid1(VALU_DEP_3)
	v_add_f32_e32 v1, v1, v200
	v_fma_f32 v4, v170, v118, -v4
	s_delay_alu instid0(VALU_DEP_3) | instskip(NEXT) | instid1(VALU_DEP_1)
	v_add_f32_e32 v2, v2, v3
	v_add_f32_e32 v2, v2, v5
	s_delay_alu instid0(VALU_DEP_4) | instskip(NEXT) | instid1(VALU_DEP_2)
	v_add_f32_e32 v1, v1, v201
	v_dual_mul_f32 v5, v175, v123 :: v_dual_add_f32 v2, v2, v4
	v_mul_f32_e32 v4, v177, v125
	s_delay_alu instid0(VALU_DEP_2) | instskip(NEXT) | instid1(VALU_DEP_2)
	v_fma_f32 v5, v174, v122, -v5
	v_fma_f32 v4, v176, v124, -v4
	v_mul_f32_e32 v3, v173, v121
	s_delay_alu instid0(VALU_DEP_1) | instskip(NEXT) | instid1(VALU_DEP_1)
	v_fma_f32 v3, v172, v120, -v3
	v_dual_add_f32 v1, v1, v202 :: v_dual_add_f32 v2, v2, v3
	s_delay_alu instid0(VALU_DEP_1) | instskip(NEXT) | instid1(VALU_DEP_2)
	v_add_f32_e32 v1, v1, v203
	v_dual_mul_f32 v3, v179, v127 :: v_dual_add_f32 v2, v2, v5
	v_mul_f32_e32 v5, v181, v129
	s_delay_alu instid0(VALU_DEP_2) | instskip(NEXT) | instid1(VALU_DEP_3)
	v_fma_f32 v3, v178, v126, -v3
	v_add_f32_e32 v2, v2, v4
	v_dual_add_f32 v1, v1, v204 :: v_dual_mul_f32 v4, v183, v131
	s_delay_alu instid0(VALU_DEP_4) | instskip(NEXT) | instid1(VALU_DEP_2)
	v_fma_f32 v5, v180, v128, -v5
	v_dual_add_f32 v2, v2, v3 :: v_dual_add_f32 v1, v1, v205
	v_fmac_f32_e32 v207, v173, v120
	v_mul_f32_e32 v3, v185, v133
	v_fma_f32 v4, v182, v130, -v4
	s_delay_alu instid0(VALU_DEP_4) | instskip(SKIP_1) | instid1(VALU_DEP_4)
	v_dual_add_f32 v2, v2, v5 :: v_dual_add_f32 v1, v1, v206
	v_mul_f32_e32 v5, v187, v135
	v_fma_f32 v3, v184, v132, -v3
	s_delay_alu instid0(VALU_DEP_3) | instskip(SKIP_1) | instid1(VALU_DEP_4)
	v_dual_add_f32 v2, v2, v4 :: v_dual_add_f32 v1, v1, v207
	v_fmac_f32_e32 v209, v177, v124
	v_fma_f32 v5, v186, v134, -v5
	v_mul_f32_e32 v4, v189, v137
	s_delay_alu instid0(VALU_DEP_4) | instskip(NEXT) | instid1(VALU_DEP_2)
	v_dual_add_f32 v2, v2, v3 :: v_dual_add_f32 v1, v1, v208
	v_fma_f32 v3, v188, v136, -v4
	s_delay_alu instid0(VALU_DEP_2) | instskip(NEXT) | instid1(VALU_DEP_1)
	v_add_f32_e32 v2, v2, v5
	v_dual_add_f32 v1, v1, v209 :: v_dual_add_f32 v2, v2, v3
	s_delay_alu instid0(VALU_DEP_1) | instskip(NEXT) | instid1(VALU_DEP_1)
	v_add_f32_e32 v1, v1, v210
	v_add_f32_e32 v1, v1, v211
	s_delay_alu instid0(VALU_DEP_1) | instskip(NEXT) | instid1(VALU_DEP_1)
	v_add_f32_e32 v1, v1, v212
	v_add_f32_e32 v1, v1, v213
	;; [unrolled: 3-line block ×3, first 2 shown]
	s_wait_loadcnt 0x0
	s_delay_alu instid0(VALU_DEP_1)
	v_dual_sub_f32 v1, v190, v2 :: v_dual_sub_f32 v2, v191, v3
	scratch_store_b64 off, v[1:2], off offset:112
	v_cmpx_lt_u32_e32 13, v0
	s_cbranch_execz .LBB104_233
; %bb.232:
	scratch_load_b64 v[1:2], off, off offset:104
	v_mov_b32_e32 v3, 0
	s_delay_alu instid0(VALU_DEP_1)
	v_mov_b32_e32 v4, v3
	scratch_store_b64 off, v[3:4], off offset:104
	s_wait_loadcnt 0x0
	ds_store_b64 v23, v[1:2]
.LBB104_233:
	s_wait_alu 0xfffe
	s_or_b32 exec_lo, exec_lo, s0
	s_wait_storecnt_dscnt 0x0
	s_barrier_signal -1
	s_barrier_wait -1
	global_inv scope:SCOPE_SE
	s_clause 0xe
	scratch_load_b128 v[2:5], off, off offset:112
	scratch_load_b128 v[6:9], off, off offset:128
	scratch_load_b128 v[10:13], off, off offset:144
	scratch_load_b128 v[14:17], off, off offset:160
	scratch_load_b128 v[18:21], off, off offset:176
	scratch_load_b128 v[106:109], off, off offset:192
	scratch_load_b128 v[110:113], off, off offset:208
	scratch_load_b128 v[114:117], off, off offset:224
	scratch_load_b128 v[118:121], off, off offset:240
	scratch_load_b128 v[122:125], off, off offset:256
	scratch_load_b128 v[126:129], off, off offset:272
	scratch_load_b128 v[130:133], off, off offset:288
	scratch_load_b128 v[134:137], off, off offset:304
	scratch_load_b64 v[190:191], off, off offset:320
	scratch_load_b64 v[192:193], off, off offset:104
	v_mov_b32_e32 v1, 0
	ds_load_b128 v[138:141], v1 offset:448
	ds_load_b128 v[142:145], v1 offset:464
	ds_load_b128 v[146:149], v1 offset:480
	ds_load_b128 v[150:153], v1 offset:496
	ds_load_b128 v[154:157], v1 offset:512
	ds_load_b128 v[158:161], v1 offset:528
	ds_load_b128 v[162:165], v1 offset:544
	ds_load_b128 v[166:169], v1 offset:560
	ds_load_b128 v[170:173], v1 offset:576
	ds_load_b128 v[174:177], v1 offset:592
	ds_load_b128 v[178:181], v1 offset:608
	ds_load_b128 v[182:185], v1 offset:624
	ds_load_b128 v[186:189], v1 offset:640
	ds_load_b64 v[194:195], v1 offset:656
	s_mov_b32 s0, exec_lo
	s_wait_loadcnt_dscnt 0xe0d
	v_mul_f32_e32 v22, v138, v3
	s_wait_loadcnt_dscnt 0xd0c
	v_dual_mul_f32 v196, v140, v5 :: v_dual_mul_f32 v197, v142, v7
	v_mul_f32_e32 v5, v141, v5
	s_wait_loadcnt_dscnt 0xc0b
	v_dual_mul_f32 v198, v144, v9 :: v_dual_mul_f32 v199, v146, v11
	s_wait_loadcnt_dscnt 0xb0a
	v_dual_mul_f32 v200, v148, v13 :: v_dual_mul_f32 v201, v150, v15
	v_mul_f32_e32 v3, v139, v3
	v_fmac_f32_e32 v22, v139, v2
	s_delay_alu instid0(VALU_DEP_3)
	v_dual_fmac_f32 v199, v147, v10 :: v_dual_fmac_f32 v200, v149, v12
	s_wait_loadcnt_dscnt 0x100
	v_dual_mul_f32 v218, v184, v133 :: v_dual_mul_f32 v221, v194, v191
	v_fma_f32 v3, v138, v2, -v3
	v_mul_f32_e32 v2, v143, v7
	v_fmac_f32_e32 v196, v141, v4
	v_fma_f32 v4, v140, v4, -v5
	v_dual_add_f32 v5, 0, v22 :: v_dual_fmac_f32 v198, v145, v8
	v_add_f32_e32 v3, 0, v3
	v_fmac_f32_e32 v197, v143, v6
	v_fma_f32 v2, v142, v6, -v2
	v_dual_mul_f32 v202, v152, v17 :: v_dual_mul_f32 v203, v154, v19
	s_delay_alu instid0(VALU_DEP_4) | instskip(SKIP_2) | instid1(VALU_DEP_4)
	v_add_f32_e32 v3, v3, v4
	v_mul_f32_e32 v7, v145, v9
	v_dual_add_f32 v4, v5, v196 :: v_dual_fmac_f32 v201, v151, v14
	v_fmac_f32_e32 v202, v153, v16
	s_delay_alu instid0(VALU_DEP_4) | instskip(NEXT) | instid1(VALU_DEP_4)
	v_add_f32_e32 v2, v3, v2
	v_fma_f32 v6, v144, v8, -v7
	v_mul_f32_e32 v5, v147, v11
	v_add_f32_e32 v3, v4, v197
	v_mul_f32_e32 v4, v149, v13
	v_dual_mul_f32 v204, v156, v21 :: v_dual_mul_f32 v205, v158, v107
	v_add_f32_e32 v2, v2, v6
	v_fma_f32 v5, v146, v10, -v5
	v_mul_f32_e32 v6, v151, v15
	v_add_f32_e32 v3, v3, v198
	v_fma_f32 v4, v148, v12, -v4
	v_dual_mul_f32 v206, v160, v109 :: v_dual_mul_f32 v207, v162, v111
	s_delay_alu instid0(VALU_DEP_3) | instskip(SKIP_2) | instid1(VALU_DEP_3)
	v_dual_add_f32 v2, v2, v5 :: v_dual_add_f32 v3, v3, v199
	v_mul_f32_e32 v5, v153, v17
	v_fma_f32 v6, v150, v14, -v6
	v_dual_fmac_f32 v203, v155, v18 :: v_dual_add_f32 v2, v2, v4
	s_delay_alu instid0(VALU_DEP_4) | instskip(SKIP_3) | instid1(VALU_DEP_4)
	v_add_f32_e32 v3, v3, v200
	v_mul_f32_e32 v4, v155, v19
	v_fma_f32 v5, v152, v16, -v5
	v_fmac_f32_e32 v204, v157, v20
	v_dual_add_f32 v2, v2, v6 :: v_dual_add_f32 v3, v3, v201
	v_mul_f32_e32 v6, v157, v21
	v_fma_f32 v4, v154, v18, -v4
	v_dual_fmac_f32 v205, v159, v106 :: v_dual_fmac_f32 v206, v161, v108
	s_delay_alu instid0(VALU_DEP_4) | instskip(SKIP_3) | instid1(VALU_DEP_4)
	v_dual_add_f32 v2, v2, v5 :: v_dual_add_f32 v3, v3, v202
	v_mul_f32_e32 v5, v159, v107
	v_fma_f32 v6, v156, v20, -v6
	v_dual_mul_f32 v208, v164, v113 :: v_dual_mul_f32 v209, v166, v115
	v_dual_add_f32 v2, v2, v4 :: v_dual_add_f32 v3, v3, v203
	v_mul_f32_e32 v4, v161, v109
	v_fma_f32 v5, v158, v106, -v5
	v_fmac_f32_e32 v207, v163, v110
	s_delay_alu instid0(VALU_DEP_4) | instskip(SKIP_3) | instid1(VALU_DEP_4)
	v_dual_add_f32 v2, v2, v6 :: v_dual_add_f32 v3, v3, v204
	v_mul_f32_e32 v6, v163, v111
	v_fma_f32 v4, v160, v108, -v4
	v_fmac_f32_e32 v208, v165, v112
	v_add_f32_e32 v2, v2, v5
	v_add_f32_e32 v3, v3, v205
	v_mul_f32_e32 v5, v165, v113
	v_fma_f32 v6, v162, v110, -v6
	v_dual_mul_f32 v210, v168, v117 :: v_dual_mul_f32 v211, v170, v119
	s_delay_alu instid0(VALU_DEP_4) | instskip(SKIP_3) | instid1(VALU_DEP_4)
	v_dual_add_f32 v2, v2, v4 :: v_dual_add_f32 v3, v3, v206
	v_mul_f32_e32 v4, v167, v115
	v_fma_f32 v5, v164, v112, -v5
	v_fmac_f32_e32 v209, v167, v114
	v_dual_add_f32 v2, v2, v6 :: v_dual_add_f32 v3, v3, v207
	v_mul_f32_e32 v6, v169, v117
	v_fma_f32 v4, v166, v114, -v4
	v_fmac_f32_e32 v210, v169, v116
	s_delay_alu instid0(VALU_DEP_4) | instskip(SKIP_2) | instid1(VALU_DEP_3)
	v_dual_add_f32 v2, v2, v5 :: v_dual_add_f32 v3, v3, v208
	v_dual_mul_f32 v5, v171, v119 :: v_dual_mul_f32 v212, v172, v121
	v_mul_f32_e32 v213, v174, v123
	v_dual_add_f32 v2, v2, v4 :: v_dual_add_f32 v3, v3, v209
	v_fma_f32 v6, v168, v116, -v6
	v_dual_mul_f32 v4, v173, v121 :: v_dual_fmac_f32 v211, v171, v118
	v_fma_f32 v5, v170, v118, -v5
	s_delay_alu instid0(VALU_DEP_4) | instskip(NEXT) | instid1(VALU_DEP_4)
	v_dual_add_f32 v3, v3, v210 :: v_dual_fmac_f32 v212, v173, v120
	v_add_f32_e32 v2, v2, v6
	v_mul_f32_e32 v6, v175, v123
	v_dual_mul_f32 v214, v176, v125 :: v_dual_mul_f32 v215, v178, v127
	s_delay_alu instid0(VALU_DEP_4) | instskip(SKIP_3) | instid1(VALU_DEP_4)
	v_add_f32_e32 v3, v3, v211
	v_fma_f32 v4, v172, v120, -v4
	v_dual_add_f32 v2, v2, v5 :: v_dual_fmac_f32 v213, v175, v122
	v_fma_f32 v6, v174, v122, -v6
	v_add_f32_e32 v3, v3, v212
	s_delay_alu instid0(VALU_DEP_3) | instskip(SKIP_1) | instid1(VALU_DEP_3)
	v_dual_mul_f32 v5, v177, v125 :: v_dual_add_f32 v2, v2, v4
	v_dual_fmac_f32 v214, v177, v124 :: v_dual_fmac_f32 v215, v179, v126
	v_add_f32_e32 v3, v3, v213
	v_dual_mul_f32 v216, v180, v129 :: v_dual_mul_f32 v217, v182, v131
	v_mul_f32_e32 v4, v179, v127
	v_fma_f32 v5, v176, v124, -v5
	v_add_f32_e32 v2, v2, v6
	v_dual_mul_f32 v6, v181, v129 :: v_dual_add_f32 v3, v3, v214
	s_delay_alu instid0(VALU_DEP_4) | instskip(SKIP_1) | instid1(VALU_DEP_4)
	v_fma_f32 v4, v178, v126, -v4
	v_fmac_f32_e32 v216, v181, v128
	v_dual_add_f32 v2, v2, v5 :: v_dual_mul_f32 v5, v183, v131
	s_delay_alu instid0(VALU_DEP_4) | instskip(SKIP_1) | instid1(VALU_DEP_3)
	v_add_f32_e32 v3, v3, v215
	v_fma_f32 v6, v180, v128, -v6
	v_dual_fmac_f32 v217, v183, v130 :: v_dual_add_f32 v2, v2, v4
	s_delay_alu instid0(VALU_DEP_3) | instskip(SKIP_2) | instid1(VALU_DEP_3)
	v_dual_mul_f32 v4, v185, v133 :: v_dual_add_f32 v3, v3, v216
	v_dual_mul_f32 v219, v186, v135 :: v_dual_mul_f32 v220, v188, v137
	v_fma_f32 v5, v182, v130, -v5
	v_dual_add_f32 v2, v2, v6 :: v_dual_add_f32 v3, v3, v217
	s_delay_alu instid0(VALU_DEP_3) | instskip(SKIP_2) | instid1(VALU_DEP_3)
	v_dual_fmac_f32 v218, v185, v132 :: v_dual_fmac_f32 v219, v187, v134
	v_mul_f32_e32 v6, v187, v135
	v_fma_f32 v4, v184, v132, -v4
	v_dual_add_f32 v2, v2, v5 :: v_dual_add_f32 v3, v3, v218
	v_mul_f32_e32 v5, v189, v137
	s_delay_alu instid0(VALU_DEP_4) | instskip(SKIP_1) | instid1(VALU_DEP_4)
	v_fma_f32 v6, v186, v134, -v6
	v_dual_fmac_f32 v220, v189, v136 :: v_dual_fmac_f32 v221, v195, v190
	v_dual_add_f32 v2, v2, v4 :: v_dual_add_f32 v3, v3, v219
	v_mul_f32_e32 v4, v195, v191
	v_fma_f32 v5, v188, v136, -v5
	s_delay_alu instid0(VALU_DEP_3) | instskip(NEXT) | instid1(VALU_DEP_3)
	v_dual_add_f32 v2, v2, v6 :: v_dual_add_f32 v3, v3, v220
	v_fma_f32 v4, v194, v190, -v4
	s_delay_alu instid0(VALU_DEP_2) | instskip(SKIP_1) | instid1(VALU_DEP_1)
	v_add_f32_e32 v3, v3, v221
	s_wait_loadcnt 0x0
	v_dual_add_f32 v2, v2, v5 :: v_dual_sub_f32 v3, v193, v3
	s_delay_alu instid0(VALU_DEP_1) | instskip(NEXT) | instid1(VALU_DEP_1)
	v_add_f32_e32 v2, v2, v4
	v_sub_f32_e32 v2, v192, v2
	scratch_store_b64 off, v[2:3], off offset:104
	v_cmpx_lt_u32_e32 12, v0
	s_cbranch_execz .LBB104_235
; %bb.234:
	scratch_load_b64 v[3:4], off, off offset:96
	v_mov_b32_e32 v2, v1
	scratch_store_b64 off, v[1:2], off offset:96
	s_wait_loadcnt 0x0
	ds_store_b64 v23, v[3:4]
.LBB104_235:
	s_wait_alu 0xfffe
	s_or_b32 exec_lo, exec_lo, s0
	s_wait_storecnt_dscnt 0x0
	s_barrier_signal -1
	s_barrier_wait -1
	global_inv scope:SCOPE_SE
	s_clause 0xe
	scratch_load_b128 v[2:5], off, off offset:104
	scratch_load_b128 v[6:9], off, off offset:120
	;; [unrolled: 1-line block ×14, first 2 shown]
	scratch_load_b64 v[198:199], off, off offset:96
	ds_load_2addr_b64 v[142:145], v1 offset0:55 offset1:56
	ds_load_2addr_b64 v[146:149], v1 offset0:57 offset1:58
	;; [unrolled: 1-line block ×14, first 2 shown]
	s_mov_b32 s0, exec_lo
	s_wait_loadcnt_dscnt 0xe0d
	v_dual_mul_f32 v1, v142, v3 :: v_dual_mul_f32 v22, v144, v5
	v_mul_f32_e32 v3, v143, v3
	s_wait_loadcnt_dscnt 0xd0c
	v_dual_mul_f32 v5, v145, v5 :: v_dual_mul_f32 v200, v146, v7
	s_delay_alu instid0(VALU_DEP_3) | instskip(NEXT) | instid1(VALU_DEP_3)
	v_dual_mul_f32 v201, v148, v9 :: v_dual_fmac_f32 v22, v145, v4
	v_fma_f32 v3, v142, v2, -v3
	v_fmac_f32_e32 v1, v143, v2
	v_mul_f32_e32 v2, v147, v7
	v_fma_f32 v4, v144, v4, -v5
	s_delay_alu instid0(VALU_DEP_4)
	v_dual_fmac_f32 v200, v147, v6 :: v_dual_add_f32 v3, 0, v3
	s_wait_loadcnt_dscnt 0xa09
	v_dual_mul_f32 v206, v158, v19 :: v_dual_mul_f32 v207, v160, v21
	v_fma_f32 v2, v146, v6, -v2
	v_dual_mul_f32 v202, v150, v11 :: v_dual_mul_f32 v203, v152, v13
	v_add_f32_e32 v3, v3, v4
	v_dual_mul_f32 v5, v149, v9 :: v_dual_mul_f32 v204, v154, v15
	v_dual_mul_f32 v205, v156, v17 :: v_dual_mul_f32 v4, v151, v11
	s_delay_alu instid0(VALU_DEP_3) | instskip(NEXT) | instid1(VALU_DEP_3)
	v_add_f32_e32 v2, v3, v2
	v_fma_f32 v5, v148, v8, -v5
	v_dual_mul_f32 v3, v153, v13 :: v_dual_fmac_f32 v206, v159, v18
	s_delay_alu instid0(VALU_DEP_4) | instskip(SKIP_1) | instid1(VALU_DEP_4)
	v_fma_f32 v4, v150, v10, -v4
	v_dual_fmac_f32 v201, v149, v8 :: v_dual_fmac_f32 v202, v151, v10
	v_add_f32_e32 v2, v2, v5
	v_add_f32_e32 v1, 0, v1
	v_fma_f32 v3, v152, v12, -v3
	v_fmac_f32_e32 v204, v155, v14
	s_wait_loadcnt_dscnt 0x908
	v_dual_mul_f32 v208, v162, v107 :: v_dual_mul_f32 v209, v164, v109
	v_dual_add_f32 v1, v1, v22 :: v_dual_add_f32 v2, v2, v4
	v_mul_f32_e32 v4, v157, v17
	s_wait_loadcnt_dscnt 0x706
	v_dual_mul_f32 v212, v170, v115 :: v_dual_mul_f32 v213, v172, v117
	s_delay_alu instid0(VALU_DEP_3) | instskip(NEXT) | instid1(VALU_DEP_3)
	v_dual_add_f32 v1, v1, v200 :: v_dual_add_f32 v2, v2, v3
	v_fma_f32 v4, v156, v16, -v4
	v_mul_f32_e32 v5, v155, v15
	v_dual_mul_f32 v210, v166, v111 :: v_dual_mul_f32 v211, v168, v113
	s_wait_loadcnt_dscnt 0x403
	v_dual_add_f32 v1, v1, v201 :: v_dual_mul_f32 v218, v182, v127
	v_mul_f32_e32 v219, v184, v129
	v_fma_f32 v5, v154, v14, -v5
	v_fmac_f32_e32 v203, v153, v12
	s_delay_alu instid0(VALU_DEP_4)
	v_add_f32_e32 v1, v1, v202
	v_fmac_f32_e32 v208, v163, v106
	v_dual_mul_f32 v214, v174, v119 :: v_dual_mul_f32 v215, v176, v121
	v_add_f32_e32 v2, v2, v5
	v_dual_fmac_f32 v210, v167, v110 :: v_dual_fmac_f32 v209, v165, v108
	v_dual_mul_f32 v216, v178, v123 :: v_dual_mul_f32 v217, v180, v125
	s_delay_alu instid0(VALU_DEP_3) | instskip(SKIP_2) | instid1(VALU_DEP_4)
	v_add_f32_e32 v2, v2, v4
	v_mul_f32_e32 v4, v163, v107
	v_add_f32_e32 v1, v1, v203
	v_dual_fmac_f32 v211, v169, v112 :: v_dual_fmac_f32 v216, v179, v122
	s_wait_loadcnt_dscnt 0x100
	v_dual_mul_f32 v224, v194, v139 :: v_dual_mul_f32 v225, v196, v141
	v_fma_f32 v4, v162, v106, -v4
	v_mul_f32_e32 v5, v161, v21
	v_dual_add_f32 v1, v1, v204 :: v_dual_fmac_f32 v212, v171, v114
	v_dual_fmac_f32 v213, v173, v116 :: v_dual_mul_f32 v220, v186, v131
	v_mul_f32_e32 v221, v188, v133
	s_delay_alu instid0(VALU_DEP_4) | instskip(SKIP_2) | instid1(VALU_DEP_4)
	v_fma_f32 v5, v160, v20, -v5
	v_mul_f32_e32 v3, v159, v19
	v_dual_mul_f32 v222, v190, v135 :: v_dual_mul_f32 v223, v192, v137
	v_fmac_f32_e32 v221, v189, v132
	v_fmac_f32_e32 v225, v197, v140
	s_delay_alu instid0(VALU_DEP_4) | instskip(SKIP_3) | instid1(VALU_DEP_4)
	v_fma_f32 v3, v158, v18, -v3
	v_fmac_f32_e32 v205, v157, v16
	v_dual_fmac_f32 v223, v193, v136 :: v_dual_fmac_f32 v218, v183, v126
	v_fmac_f32_e32 v214, v175, v118
	v_dual_add_f32 v2, v2, v3 :: v_dual_mul_f32 v3, v165, v109
	v_fmac_f32_e32 v224, v195, v138
	v_fmac_f32_e32 v220, v187, v130
	;; [unrolled: 1-line block ×3, first 2 shown]
	s_delay_alu instid0(VALU_DEP_4) | instskip(SKIP_1) | instid1(VALU_DEP_2)
	v_dual_add_f32 v2, v2, v5 :: v_dual_mul_f32 v5, v167, v111
	v_fma_f32 v3, v164, v108, -v3
	v_dual_add_f32 v2, v2, v4 :: v_dual_add_f32 v1, v1, v205
	v_mul_f32_e32 v4, v169, v113
	s_delay_alu instid0(VALU_DEP_4) | instskip(NEXT) | instid1(VALU_DEP_3)
	v_fma_f32 v5, v166, v110, -v5
	v_dual_add_f32 v2, v2, v3 :: v_dual_fmac_f32 v207, v161, v20
	s_delay_alu instid0(VALU_DEP_3) | instskip(NEXT) | instid1(VALU_DEP_2)
	v_fma_f32 v4, v168, v112, -v4
	v_add_f32_e32 v2, v2, v5
	v_mul_f32_e32 v5, v173, v117
	s_delay_alu instid0(VALU_DEP_2) | instskip(NEXT) | instid1(VALU_DEP_2)
	v_dual_add_f32 v1, v1, v206 :: v_dual_add_f32 v2, v2, v4
	v_fma_f32 v5, v172, v116, -v5
	v_mul_f32_e32 v3, v171, v115
	s_delay_alu instid0(VALU_DEP_3) | instskip(SKIP_1) | instid1(VALU_DEP_3)
	v_add_f32_e32 v1, v1, v207
	v_mul_f32_e32 v4, v175, v119
	v_fma_f32 v3, v170, v114, -v3
	s_delay_alu instid0(VALU_DEP_3) | instskip(NEXT) | instid1(VALU_DEP_3)
	v_add_f32_e32 v1, v1, v208
	v_fma_f32 v4, v174, v118, -v4
	s_delay_alu instid0(VALU_DEP_3) | instskip(NEXT) | instid1(VALU_DEP_1)
	v_add_f32_e32 v2, v2, v3
	v_add_f32_e32 v2, v2, v5
	s_delay_alu instid0(VALU_DEP_4) | instskip(NEXT) | instid1(VALU_DEP_2)
	v_add_f32_e32 v1, v1, v209
	v_dual_mul_f32 v5, v179, v123 :: v_dual_add_f32 v2, v2, v4
	v_mul_f32_e32 v4, v181, v125
	s_delay_alu instid0(VALU_DEP_2) | instskip(NEXT) | instid1(VALU_DEP_2)
	v_fma_f32 v5, v178, v122, -v5
	v_fma_f32 v4, v180, v124, -v4
	v_mul_f32_e32 v3, v177, v121
	s_delay_alu instid0(VALU_DEP_1) | instskip(NEXT) | instid1(VALU_DEP_1)
	v_fma_f32 v3, v176, v120, -v3
	v_dual_add_f32 v1, v1, v210 :: v_dual_add_f32 v2, v2, v3
	s_delay_alu instid0(VALU_DEP_1) | instskip(NEXT) | instid1(VALU_DEP_2)
	v_add_f32_e32 v1, v1, v211
	v_dual_mul_f32 v3, v183, v127 :: v_dual_add_f32 v2, v2, v5
	v_mul_f32_e32 v5, v185, v129
	s_delay_alu instid0(VALU_DEP_2) | instskip(NEXT) | instid1(VALU_DEP_3)
	v_fma_f32 v3, v182, v126, -v3
	v_add_f32_e32 v2, v2, v4
	v_dual_add_f32 v1, v1, v212 :: v_dual_mul_f32 v4, v187, v131
	s_delay_alu instid0(VALU_DEP_4) | instskip(NEXT) | instid1(VALU_DEP_2)
	v_fma_f32 v5, v184, v128, -v5
	v_dual_add_f32 v2, v2, v3 :: v_dual_add_f32 v1, v1, v213
	v_fmac_f32_e32 v215, v177, v120
	v_mul_f32_e32 v3, v189, v133
	v_fma_f32 v4, v186, v130, -v4
	s_delay_alu instid0(VALU_DEP_4) | instskip(SKIP_1) | instid1(VALU_DEP_4)
	v_dual_add_f32 v2, v2, v5 :: v_dual_add_f32 v1, v1, v214
	v_mul_f32_e32 v5, v191, v135
	v_fma_f32 v3, v188, v132, -v3
	s_delay_alu instid0(VALU_DEP_3) | instskip(SKIP_3) | instid1(VALU_DEP_4)
	v_dual_add_f32 v2, v2, v4 :: v_dual_add_f32 v1, v1, v215
	v_fmac_f32_e32 v217, v181, v124
	v_mul_f32_e32 v4, v193, v137
	v_fma_f32 v5, v190, v134, -v5
	v_dual_add_f32 v2, v2, v3 :: v_dual_add_f32 v1, v1, v216
	v_mul_f32_e32 v3, v195, v139
	s_delay_alu instid0(VALU_DEP_4) | instskip(NEXT) | instid1(VALU_DEP_3)
	v_fma_f32 v4, v192, v136, -v4
	v_add_f32_e32 v2, v2, v5
	s_delay_alu instid0(VALU_DEP_4) | instskip(SKIP_2) | instid1(VALU_DEP_4)
	v_add_f32_e32 v1, v1, v217
	v_mul_f32_e32 v5, v197, v141
	v_fma_f32 v3, v194, v138, -v3
	v_add_f32_e32 v2, v2, v4
	v_fmac_f32_e32 v219, v185, v128
	s_delay_alu instid0(VALU_DEP_4) | instskip(NEXT) | instid1(VALU_DEP_3)
	v_fma_f32 v4, v196, v140, -v5
	v_dual_add_f32 v2, v2, v3 :: v_dual_add_f32 v1, v1, v218
	s_delay_alu instid0(VALU_DEP_1) | instskip(NEXT) | instid1(VALU_DEP_1)
	v_dual_add_f32 v2, v2, v4 :: v_dual_add_f32 v1, v1, v219
	v_add_f32_e32 v1, v1, v220
	s_delay_alu instid0(VALU_DEP_1) | instskip(NEXT) | instid1(VALU_DEP_1)
	v_add_f32_e32 v1, v1, v221
	v_add_f32_e32 v1, v1, v222
	s_delay_alu instid0(VALU_DEP_1) | instskip(NEXT) | instid1(VALU_DEP_1)
	v_add_f32_e32 v1, v1, v223
	v_add_f32_e32 v1, v1, v224
	s_delay_alu instid0(VALU_DEP_1) | instskip(SKIP_1) | instid1(VALU_DEP_1)
	v_add_f32_e32 v3, v1, v225
	s_wait_loadcnt 0x0
	v_dual_sub_f32 v1, v198, v2 :: v_dual_sub_f32 v2, v199, v3
	scratch_store_b64 off, v[1:2], off offset:96
	v_cmpx_lt_u32_e32 11, v0
	s_cbranch_execz .LBB104_237
; %bb.236:
	scratch_load_b64 v[1:2], off, off offset:88
	v_mov_b32_e32 v3, 0
	s_delay_alu instid0(VALU_DEP_1)
	v_mov_b32_e32 v4, v3
	scratch_store_b64 off, v[3:4], off offset:88
	s_wait_loadcnt 0x0
	ds_store_b64 v23, v[1:2]
.LBB104_237:
	s_wait_alu 0xfffe
	s_or_b32 exec_lo, exec_lo, s0
	s_wait_storecnt_dscnt 0x0
	s_barrier_signal -1
	s_barrier_wait -1
	global_inv scope:SCOPE_SE
	s_clause 0xf
	scratch_load_b128 v[2:5], off, off offset:96
	scratch_load_b128 v[6:9], off, off offset:112
	scratch_load_b128 v[10:13], off, off offset:128
	scratch_load_b128 v[14:17], off, off offset:144
	scratch_load_b128 v[18:21], off, off offset:160
	scratch_load_b128 v[106:109], off, off offset:176
	scratch_load_b128 v[110:113], off, off offset:192
	scratch_load_b128 v[114:117], off, off offset:208
	scratch_load_b128 v[118:121], off, off offset:224
	scratch_load_b128 v[122:125], off, off offset:240
	scratch_load_b128 v[126:129], off, off offset:256
	scratch_load_b128 v[130:133], off, off offset:272
	scratch_load_b128 v[134:137], off, off offset:288
	scratch_load_b128 v[138:141], off, off offset:304
	scratch_load_b64 v[198:199], off, off offset:320
	scratch_load_b64 v[200:201], off, off offset:88
	v_mov_b32_e32 v1, 0
	ds_load_b128 v[142:145], v1 offset:432
	ds_load_b128 v[146:149], v1 offset:448
	;; [unrolled: 1-line block ×14, first 2 shown]
	ds_load_b64 v[202:203], v1 offset:656
	s_mov_b32 s0, exec_lo
	s_wait_loadcnt_dscnt 0xf0e
	v_mul_f32_e32 v22, v142, v3
	s_wait_loadcnt_dscnt 0xe0d
	v_dual_mul_f32 v204, v144, v5 :: v_dual_mul_f32 v205, v146, v7
	v_mul_f32_e32 v5, v145, v5
	s_wait_loadcnt_dscnt 0xd0c
	v_dual_mul_f32 v206, v148, v9 :: v_dual_mul_f32 v207, v150, v11
	s_wait_loadcnt_dscnt 0xc0b
	v_dual_mul_f32 v208, v152, v13 :: v_dual_mul_f32 v209, v154, v15
	v_dual_mul_f32 v3, v143, v3 :: v_dual_mul_f32 v210, v156, v17
	s_wait_loadcnt_dscnt 0xb0a
	v_dual_mul_f32 v211, v158, v19 :: v_dual_fmac_f32 v22, v143, v2
	s_wait_loadcnt_dscnt 0x302
	v_mul_f32_e32 v228, v192, v137
	v_fma_f32 v3, v142, v2, -v3
	s_wait_loadcnt_dscnt 0x100
	v_mul_f32_e32 v231, v202, v199
	v_mul_f32_e32 v2, v147, v7
	v_fmac_f32_e32 v204, v145, v4
	v_fma_f32 v4, v144, v4, -v5
	v_add_f32_e32 v3, 0, v3
	v_dual_add_f32 v5, 0, v22 :: v_dual_fmac_f32 v206, v149, v8
	v_fmac_f32_e32 v205, v147, v6
	v_fma_f32 v2, v146, v6, -v2
	s_delay_alu instid0(VALU_DEP_4) | instskip(SKIP_3) | instid1(VALU_DEP_4)
	v_add_f32_e32 v3, v3, v4
	v_mul_f32_e32 v7, v149, v9
	v_dual_add_f32 v4, v5, v204 :: v_dual_fmac_f32 v207, v151, v10
	v_fmac_f32_e32 v208, v153, v12
	v_add_f32_e32 v2, v3, v2
	s_delay_alu instid0(VALU_DEP_4)
	v_fma_f32 v6, v148, v8, -v7
	v_mul_f32_e32 v5, v151, v11
	v_add_f32_e32 v3, v4, v205
	v_dual_mul_f32 v4, v153, v13 :: v_dual_fmac_f32 v209, v155, v14
	v_fmac_f32_e32 v210, v157, v16
	v_add_f32_e32 v2, v2, v6
	v_fma_f32 v5, v150, v10, -v5
	v_mul_f32_e32 v6, v155, v15
	v_add_f32_e32 v3, v3, v206
	v_fma_f32 v4, v152, v12, -v4
	v_dual_mul_f32 v212, v160, v21 :: v_dual_mul_f32 v213, v162, v107
	s_delay_alu instid0(VALU_DEP_3) | instskip(SKIP_3) | instid1(VALU_DEP_4)
	v_dual_add_f32 v2, v2, v5 :: v_dual_add_f32 v3, v3, v207
	v_mul_f32_e32 v5, v157, v17
	v_fma_f32 v6, v154, v14, -v6
	v_dual_mul_f32 v214, v164, v109 :: v_dual_mul_f32 v215, v166, v111
	v_add_f32_e32 v2, v2, v4
	v_add_f32_e32 v3, v3, v208
	v_mul_f32_e32 v4, v159, v19
	v_fma_f32 v5, v156, v16, -v5
	v_fmac_f32_e32 v211, v159, v18
	s_delay_alu instid0(VALU_DEP_4) | instskip(SKIP_3) | instid1(VALU_DEP_4)
	v_dual_add_f32 v2, v2, v6 :: v_dual_add_f32 v3, v3, v209
	v_fmac_f32_e32 v212, v161, v20
	v_mul_f32_e32 v6, v161, v21
	v_fma_f32 v4, v158, v18, -v4
	v_dual_add_f32 v2, v2, v5 :: v_dual_add_f32 v3, v3, v210
	v_mul_f32_e32 v5, v163, v107
	s_delay_alu instid0(VALU_DEP_4) | instskip(SKIP_1) | instid1(VALU_DEP_4)
	v_fma_f32 v6, v160, v20, -v6
	v_dual_fmac_f32 v213, v163, v106 :: v_dual_fmac_f32 v214, v165, v108
	v_dual_add_f32 v2, v2, v4 :: v_dual_add_f32 v3, v3, v211
	v_mul_f32_e32 v4, v165, v109
	v_fma_f32 v5, v162, v106, -v5
	v_fmac_f32_e32 v215, v167, v110
	s_delay_alu instid0(VALU_DEP_4) | instskip(SKIP_3) | instid1(VALU_DEP_4)
	v_dual_add_f32 v2, v2, v6 :: v_dual_add_f32 v3, v3, v212
	v_mul_f32_e32 v6, v167, v111
	v_fma_f32 v4, v164, v108, -v4
	v_dual_mul_f32 v216, v168, v113 :: v_dual_mul_f32 v217, v170, v115
	v_add_f32_e32 v2, v2, v5
	v_add_f32_e32 v3, v3, v213
	v_mul_f32_e32 v5, v169, v113
	v_fma_f32 v6, v166, v110, -v6
	v_fmac_f32_e32 v216, v169, v112
	s_delay_alu instid0(VALU_DEP_4) | instskip(SKIP_3) | instid1(VALU_DEP_4)
	v_dual_add_f32 v2, v2, v4 :: v_dual_add_f32 v3, v3, v214
	v_mul_f32_e32 v4, v171, v115
	v_fma_f32 v5, v168, v112, -v5
	v_dual_mul_f32 v218, v172, v117 :: v_dual_mul_f32 v219, v174, v119
	v_dual_add_f32 v2, v2, v6 :: v_dual_add_f32 v3, v3, v215
	v_dual_mul_f32 v6, v173, v117 :: v_dual_fmac_f32 v217, v171, v114
	v_fma_f32 v4, v170, v114, -v4
	s_delay_alu instid0(VALU_DEP_3) | instskip(SKIP_3) | instid1(VALU_DEP_4)
	v_dual_add_f32 v2, v2, v5 :: v_dual_add_f32 v3, v3, v216
	v_dual_mul_f32 v220, v176, v121 :: v_dual_mul_f32 v221, v178, v123
	v_dual_mul_f32 v5, v175, v119 :: v_dual_fmac_f32 v218, v173, v116
	v_fma_f32 v6, v172, v116, -v6
	v_dual_add_f32 v2, v2, v4 :: v_dual_add_f32 v3, v3, v217
	v_dual_mul_f32 v4, v177, v121 :: v_dual_fmac_f32 v219, v175, v118
	s_delay_alu instid0(VALU_DEP_4) | instskip(NEXT) | instid1(VALU_DEP_3)
	v_fma_f32 v5, v174, v118, -v5
	v_dual_fmac_f32 v220, v177, v120 :: v_dual_add_f32 v3, v3, v218
	s_delay_alu instid0(VALU_DEP_4) | instskip(SKIP_3) | instid1(VALU_DEP_4)
	v_add_f32_e32 v2, v2, v6
	v_mul_f32_e32 v6, v179, v123
	v_fma_f32 v4, v176, v120, -v4
	v_dual_mul_f32 v222, v180, v125 :: v_dual_mul_f32 v223, v182, v127
	v_dual_add_f32 v3, v3, v219 :: v_dual_add_f32 v2, v2, v5
	v_fmac_f32_e32 v221, v179, v122
	v_mul_f32_e32 v5, v181, v125
	v_fma_f32 v6, v178, v122, -v6
	s_delay_alu instid0(VALU_DEP_4) | instskip(SKIP_4) | instid1(VALU_DEP_4)
	v_add_f32_e32 v3, v3, v220
	v_add_f32_e32 v2, v2, v4
	v_mul_f32_e32 v4, v183, v127
	v_dual_fmac_f32 v222, v181, v124 :: v_dual_fmac_f32 v223, v183, v126
	v_fma_f32 v5, v180, v124, -v5
	v_dual_add_f32 v3, v3, v221 :: v_dual_add_f32 v2, v2, v6
	v_dual_mul_f32 v224, v184, v129 :: v_dual_mul_f32 v225, v186, v131
	s_delay_alu instid0(VALU_DEP_2) | instskip(SKIP_1) | instid1(VALU_DEP_4)
	v_dual_mul_f32 v6, v185, v129 :: v_dual_add_f32 v3, v3, v222
	v_fma_f32 v4, v182, v126, -v4
	v_dual_add_f32 v2, v2, v5 :: v_dual_mul_f32 v5, v187, v131
	s_delay_alu instid0(VALU_DEP_3) | instskip(NEXT) | instid1(VALU_DEP_4)
	v_dual_fmac_f32 v224, v185, v128 :: v_dual_add_f32 v3, v3, v223
	v_fma_f32 v6, v184, v128, -v6
	s_delay_alu instid0(VALU_DEP_3) | instskip(SKIP_1) | instid1(VALU_DEP_4)
	v_dual_add_f32 v2, v2, v4 :: v_dual_fmac_f32 v225, v187, v130
	v_dual_mul_f32 v226, v188, v133 :: v_dual_mul_f32 v227, v190, v135
	v_dual_mul_f32 v4, v189, v133 :: v_dual_add_f32 v3, v3, v224
	v_fma_f32 v5, v186, v130, -v5
	s_delay_alu instid0(VALU_DEP_4)
	v_add_f32_e32 v2, v2, v6
	v_mul_f32_e32 v6, v191, v135
	v_dual_fmac_f32 v226, v189, v132 :: v_dual_fmac_f32 v227, v191, v134
	v_fma_f32 v4, v188, v132, -v4
	v_add_f32_e32 v3, v3, v225
	v_add_f32_e32 v2, v2, v5
	v_dual_mul_f32 v229, v194, v139 :: v_dual_mul_f32 v230, v196, v141
	v_mul_f32_e32 v5, v193, v137
	v_fma_f32 v6, v190, v134, -v6
	s_delay_alu instid0(VALU_DEP_4) | instskip(SKIP_3) | instid1(VALU_DEP_4)
	v_dual_add_f32 v3, v3, v226 :: v_dual_add_f32 v2, v2, v4
	v_mul_f32_e32 v4, v195, v139
	v_dual_fmac_f32 v228, v193, v136 :: v_dual_fmac_f32 v229, v195, v138
	v_fma_f32 v5, v192, v136, -v5
	v_dual_add_f32 v3, v3, v227 :: v_dual_add_f32 v2, v2, v6
	v_mul_f32_e32 v6, v197, v141
	v_fma_f32 v4, v194, v138, -v4
	v_fmac_f32_e32 v231, v203, v198
	s_delay_alu instid0(VALU_DEP_4) | instskip(SKIP_2) | instid1(VALU_DEP_3)
	v_dual_add_f32 v3, v3, v228 :: v_dual_add_f32 v2, v2, v5
	v_dual_mul_f32 v5, v203, v199 :: v_dual_fmac_f32 v230, v197, v140
	v_fma_f32 v6, v196, v140, -v6
	v_dual_add_f32 v3, v3, v229 :: v_dual_add_f32 v2, v2, v4
	s_delay_alu instid0(VALU_DEP_3) | instskip(NEXT) | instid1(VALU_DEP_2)
	v_fma_f32 v4, v202, v198, -v5
	v_add_f32_e32 v3, v3, v230
	s_delay_alu instid0(VALU_DEP_1) | instskip(SKIP_1) | instid1(VALU_DEP_1)
	v_dual_add_f32 v2, v2, v6 :: v_dual_add_f32 v3, v3, v231
	s_wait_loadcnt 0x0
	v_dual_add_f32 v2, v2, v4 :: v_dual_sub_f32 v3, v201, v3
	s_delay_alu instid0(VALU_DEP_1)
	v_sub_f32_e32 v2, v200, v2
	scratch_store_b64 off, v[2:3], off offset:88
	v_cmpx_lt_u32_e32 10, v0
	s_cbranch_execz .LBB104_239
; %bb.238:
	scratch_load_b64 v[3:4], off, off offset:80
	v_mov_b32_e32 v2, v1
	scratch_store_b64 off, v[1:2], off offset:80
	s_wait_loadcnt 0x0
	ds_store_b64 v23, v[3:4]
.LBB104_239:
	s_wait_alu 0xfffe
	s_or_b32 exec_lo, exec_lo, s0
	s_wait_storecnt_dscnt 0x0
	s_barrier_signal -1
	s_barrier_wait -1
	global_inv scope:SCOPE_SE
	s_clause 0xf
	scratch_load_b128 v[2:5], off, off offset:88
	scratch_load_b128 v[6:9], off, off offset:104
	;; [unrolled: 1-line block ×15, first 2 shown]
	scratch_load_b64 v[206:207], off, off offset:80
	ds_load_2addr_b64 v[146:149], v1 offset0:53 offset1:54
	ds_load_2addr_b64 v[150:153], v1 offset0:55 offset1:56
	;; [unrolled: 1-line block ×15, first 2 shown]
	s_mov_b32 s0, exec_lo
	s_wait_loadcnt_dscnt 0xf0e
	v_dual_mul_f32 v1, v146, v3 :: v_dual_mul_f32 v22, v148, v5
	v_mul_f32_e32 v3, v147, v3
	s_wait_loadcnt_dscnt 0xe0d
	v_dual_mul_f32 v5, v149, v5 :: v_dual_mul_f32 v208, v150, v7
	s_delay_alu instid0(VALU_DEP_3) | instskip(NEXT) | instid1(VALU_DEP_3)
	v_dual_mul_f32 v209, v152, v9 :: v_dual_fmac_f32 v22, v149, v4
	v_fma_f32 v3, v146, v2, -v3
	v_fmac_f32_e32 v1, v147, v2
	v_mul_f32_e32 v2, v151, v7
	v_fma_f32 v4, v148, v4, -v5
	s_delay_alu instid0(VALU_DEP_4)
	v_dual_fmac_f32 v208, v151, v6 :: v_dual_add_f32 v3, 0, v3
	s_wait_loadcnt_dscnt 0xb0a
	v_dual_mul_f32 v214, v162, v19 :: v_dual_mul_f32 v215, v164, v21
	v_fma_f32 v2, v150, v6, -v2
	v_dual_mul_f32 v210, v154, v11 :: v_dual_mul_f32 v211, v156, v13
	v_add_f32_e32 v3, v3, v4
	v_dual_mul_f32 v5, v153, v9 :: v_dual_mul_f32 v212, v158, v15
	v_dual_mul_f32 v213, v160, v17 :: v_dual_mul_f32 v4, v155, v11
	s_delay_alu instid0(VALU_DEP_3) | instskip(NEXT) | instid1(VALU_DEP_3)
	v_add_f32_e32 v2, v3, v2
	v_fma_f32 v5, v152, v8, -v5
	v_dual_mul_f32 v3, v157, v13 :: v_dual_fmac_f32 v214, v163, v18
	s_delay_alu instid0(VALU_DEP_4) | instskip(SKIP_1) | instid1(VALU_DEP_4)
	v_fma_f32 v4, v154, v10, -v4
	v_dual_fmac_f32 v209, v153, v8 :: v_dual_fmac_f32 v210, v155, v10
	v_add_f32_e32 v2, v2, v5
	v_add_f32_e32 v1, 0, v1
	v_fma_f32 v3, v156, v12, -v3
	v_fmac_f32_e32 v212, v159, v14
	s_wait_loadcnt_dscnt 0xa09
	v_dual_mul_f32 v216, v166, v107 :: v_dual_mul_f32 v217, v168, v109
	v_dual_add_f32 v1, v1, v22 :: v_dual_add_f32 v2, v2, v4
	v_mul_f32_e32 v4, v161, v17
	s_wait_loadcnt_dscnt 0x807
	v_dual_mul_f32 v220, v174, v115 :: v_dual_mul_f32 v221, v176, v117
	s_delay_alu instid0(VALU_DEP_3) | instskip(NEXT) | instid1(VALU_DEP_3)
	v_dual_add_f32 v1, v1, v208 :: v_dual_add_f32 v2, v2, v3
	v_fma_f32 v4, v160, v16, -v4
	v_mul_f32_e32 v5, v159, v15
	v_dual_mul_f32 v218, v170, v111 :: v_dual_mul_f32 v219, v172, v113
	s_wait_loadcnt_dscnt 0x504
	v_dual_add_f32 v1, v1, v209 :: v_dual_mul_f32 v226, v186, v127
	v_mul_f32_e32 v227, v188, v129
	v_fma_f32 v5, v158, v14, -v5
	v_fmac_f32_e32 v211, v157, v12
	s_delay_alu instid0(VALU_DEP_4)
	v_add_f32_e32 v1, v1, v210
	v_fmac_f32_e32 v216, v167, v106
	v_dual_mul_f32 v222, v178, v119 :: v_dual_mul_f32 v223, v180, v121
	v_add_f32_e32 v2, v2, v5
	v_dual_fmac_f32 v218, v171, v110 :: v_dual_fmac_f32 v217, v169, v108
	v_dual_mul_f32 v224, v182, v123 :: v_dual_mul_f32 v225, v184, v125
	s_delay_alu instid0(VALU_DEP_3) | instskip(SKIP_2) | instid1(VALU_DEP_4)
	v_add_f32_e32 v2, v2, v4
	v_mul_f32_e32 v4, v167, v107
	v_add_f32_e32 v1, v1, v211
	v_dual_fmac_f32 v219, v173, v112 :: v_dual_fmac_f32 v224, v183, v122
	s_wait_loadcnt_dscnt 0x201
	v_dual_mul_f32 v232, v198, v139 :: v_dual_mul_f32 v233, v200, v141
	v_fma_f32 v4, v166, v106, -v4
	v_mul_f32_e32 v5, v165, v21
	v_dual_add_f32 v1, v1, v212 :: v_dual_fmac_f32 v220, v175, v114
	v_dual_fmac_f32 v221, v177, v116 :: v_dual_mul_f32 v228, v190, v131
	v_mul_f32_e32 v229, v192, v133
	s_delay_alu instid0(VALU_DEP_4) | instskip(SKIP_4) | instid1(VALU_DEP_3)
	v_fma_f32 v5, v164, v20, -v5
	v_mul_f32_e32 v3, v163, v19
	s_wait_loadcnt_dscnt 0x100
	v_dual_mul_f32 v234, v202, v143 :: v_dual_mul_f32 v235, v204, v145
	v_dual_mul_f32 v230, v194, v135 :: v_dual_mul_f32 v231, v196, v137
	v_fma_f32 v3, v162, v18, -v3
	v_fmac_f32_e32 v213, v161, v16
	v_fmac_f32_e32 v227, v189, v128
	v_fmac_f32_e32 v233, v201, v140
	s_delay_alu instid0(VALU_DEP_4) | instskip(SKIP_3) | instid1(VALU_DEP_4)
	v_dual_fmac_f32 v231, v197, v136 :: v_dual_add_f32 v2, v2, v3
	v_mul_f32_e32 v3, v169, v109
	v_dual_fmac_f32 v235, v205, v144 :: v_dual_fmac_f32 v226, v187, v126
	v_fmac_f32_e32 v222, v179, v118
	v_dual_add_f32 v2, v2, v5 :: v_dual_mul_f32 v5, v171, v111
	s_delay_alu instid0(VALU_DEP_4) | instskip(SKIP_2) | instid1(VALU_DEP_4)
	v_fma_f32 v3, v168, v108, -v3
	v_fmac_f32_e32 v232, v199, v138
	v_fmac_f32_e32 v228, v191, v130
	v_dual_add_f32 v2, v2, v4 :: v_dual_add_f32 v1, v1, v213
	v_mul_f32_e32 v4, v173, v113
	v_fma_f32 v5, v170, v110, -v5
	v_fmac_f32_e32 v234, v203, v142
	s_delay_alu instid0(VALU_DEP_4) | instskip(NEXT) | instid1(VALU_DEP_4)
	v_dual_add_f32 v2, v2, v3 :: v_dual_fmac_f32 v215, v165, v20
	v_fma_f32 v4, v172, v112, -v4
	v_fmac_f32_e32 v230, v195, v134
	s_delay_alu instid0(VALU_DEP_3) | instskip(SKIP_1) | instid1(VALU_DEP_2)
	v_add_f32_e32 v2, v2, v5
	v_mul_f32_e32 v5, v177, v117
	v_dual_add_f32 v1, v1, v214 :: v_dual_add_f32 v2, v2, v4
	s_delay_alu instid0(VALU_DEP_2) | instskip(SKIP_1) | instid1(VALU_DEP_3)
	v_fma_f32 v5, v176, v116, -v5
	v_mul_f32_e32 v3, v175, v115
	v_add_f32_e32 v1, v1, v215
	v_mul_f32_e32 v4, v179, v119
	s_delay_alu instid0(VALU_DEP_3) | instskip(NEXT) | instid1(VALU_DEP_3)
	v_fma_f32 v3, v174, v114, -v3
	v_add_f32_e32 v1, v1, v216
	s_delay_alu instid0(VALU_DEP_3) | instskip(NEXT) | instid1(VALU_DEP_3)
	v_fma_f32 v4, v178, v118, -v4
	v_add_f32_e32 v2, v2, v3
	s_delay_alu instid0(VALU_DEP_1) | instskip(NEXT) | instid1(VALU_DEP_4)
	v_add_f32_e32 v2, v2, v5
	v_add_f32_e32 v1, v1, v217
	s_delay_alu instid0(VALU_DEP_2) | instskip(SKIP_1) | instid1(VALU_DEP_2)
	v_dual_mul_f32 v5, v183, v123 :: v_dual_add_f32 v2, v2, v4
	v_mul_f32_e32 v4, v185, v125
	v_fma_f32 v5, v182, v122, -v5
	s_delay_alu instid0(VALU_DEP_2) | instskip(SKIP_1) | instid1(VALU_DEP_1)
	v_fma_f32 v4, v184, v124, -v4
	v_mul_f32_e32 v3, v181, v121
	v_fma_f32 v3, v180, v120, -v3
	s_delay_alu instid0(VALU_DEP_1) | instskip(NEXT) | instid1(VALU_DEP_1)
	v_dual_add_f32 v1, v1, v218 :: v_dual_add_f32 v2, v2, v3
	v_add_f32_e32 v1, v1, v219
	s_delay_alu instid0(VALU_DEP_2) | instskip(SKIP_1) | instid1(VALU_DEP_2)
	v_dual_mul_f32 v3, v187, v127 :: v_dual_add_f32 v2, v2, v5
	v_mul_f32_e32 v5, v189, v129
	v_fma_f32 v3, v186, v126, -v3
	s_delay_alu instid0(VALU_DEP_3) | instskip(SKIP_1) | instid1(VALU_DEP_4)
	v_add_f32_e32 v2, v2, v4
	v_dual_add_f32 v1, v1, v220 :: v_dual_mul_f32 v4, v191, v131
	v_fma_f32 v5, v188, v128, -v5
	s_delay_alu instid0(VALU_DEP_2) | instskip(SKIP_3) | instid1(VALU_DEP_4)
	v_dual_add_f32 v2, v2, v3 :: v_dual_add_f32 v1, v1, v221
	v_fmac_f32_e32 v223, v181, v120
	v_mul_f32_e32 v3, v193, v133
	v_fma_f32 v4, v190, v130, -v4
	v_dual_add_f32 v2, v2, v5 :: v_dual_add_f32 v1, v1, v222
	v_mul_f32_e32 v5, v195, v135
	s_delay_alu instid0(VALU_DEP_4) | instskip(NEXT) | instid1(VALU_DEP_3)
	v_fma_f32 v3, v192, v132, -v3
	v_dual_add_f32 v2, v2, v4 :: v_dual_add_f32 v1, v1, v223
	v_fmac_f32_e32 v225, v185, v124
	v_mul_f32_e32 v4, v197, v137
	v_fma_f32 v5, v194, v134, -v5
	s_delay_alu instid0(VALU_DEP_4) | instskip(SKIP_1) | instid1(VALU_DEP_4)
	v_dual_add_f32 v2, v2, v3 :: v_dual_add_f32 v1, v1, v224
	v_mul_f32_e32 v3, v199, v139
	v_fma_f32 v4, v196, v136, -v4
	s_delay_alu instid0(VALU_DEP_3) | instskip(NEXT) | instid1(VALU_DEP_4)
	v_add_f32_e32 v2, v2, v5
	v_add_f32_e32 v1, v1, v225
	v_mul_f32_e32 v5, v201, v141
	v_fma_f32 v3, v198, v138, -v3
	s_delay_alu instid0(VALU_DEP_3) | instskip(SKIP_1) | instid1(VALU_DEP_4)
	v_dual_add_f32 v2, v2, v4 :: v_dual_add_f32 v1, v1, v226
	v_mul_f32_e32 v4, v203, v143
	v_fma_f32 v5, v200, v140, -v5
	s_delay_alu instid0(VALU_DEP_3) | instskip(NEXT) | instid1(VALU_DEP_4)
	v_add_f32_e32 v2, v2, v3
	v_add_f32_e32 v1, v1, v227
	v_mul_f32_e32 v3, v205, v145
	v_fma_f32 v4, v202, v142, -v4
	s_delay_alu instid0(VALU_DEP_3) | instskip(NEXT) | instid1(VALU_DEP_3)
	v_dual_add_f32 v2, v2, v5 :: v_dual_add_f32 v1, v1, v228
	v_fma_f32 v3, v204, v144, -v3
	s_delay_alu instid0(VALU_DEP_2) | instskip(NEXT) | instid1(VALU_DEP_1)
	v_add_f32_e32 v2, v2, v4
	v_dual_fmac_f32 v229, v193, v132 :: v_dual_add_f32 v2, v2, v3
	s_delay_alu instid0(VALU_DEP_1) | instskip(NEXT) | instid1(VALU_DEP_1)
	v_add_f32_e32 v1, v1, v229
	v_add_f32_e32 v1, v1, v230
	s_delay_alu instid0(VALU_DEP_1) | instskip(NEXT) | instid1(VALU_DEP_1)
	v_add_f32_e32 v1, v1, v231
	v_add_f32_e32 v1, v1, v232
	;; [unrolled: 3-line block ×3, first 2 shown]
	s_delay_alu instid0(VALU_DEP_1) | instskip(SKIP_1) | instid1(VALU_DEP_1)
	v_add_f32_e32 v3, v1, v235
	s_wait_loadcnt 0x0
	v_dual_sub_f32 v1, v206, v2 :: v_dual_sub_f32 v2, v207, v3
	scratch_store_b64 off, v[1:2], off offset:80
	v_cmpx_lt_u32_e32 9, v0
	s_cbranch_execz .LBB104_241
; %bb.240:
	scratch_load_b64 v[1:2], off, off offset:72
	v_mov_b32_e32 v3, 0
	s_delay_alu instid0(VALU_DEP_1)
	v_mov_b32_e32 v4, v3
	scratch_store_b64 off, v[3:4], off offset:72
	s_wait_loadcnt 0x0
	ds_store_b64 v23, v[1:2]
.LBB104_241:
	s_wait_alu 0xfffe
	s_or_b32 exec_lo, exec_lo, s0
	s_wait_storecnt_dscnt 0x0
	s_barrier_signal -1
	s_barrier_wait -1
	global_inv scope:SCOPE_SE
	s_clause 0x10
	scratch_load_b128 v[2:5], off, off offset:80
	scratch_load_b128 v[6:9], off, off offset:96
	;; [unrolled: 1-line block ×15, first 2 shown]
	scratch_load_b64 v[206:207], off, off offset:320
	scratch_load_b64 v[208:209], off, off offset:72
	v_mov_b32_e32 v1, 0
	ds_load_b128 v[146:149], v1 offset:416
	ds_load_b128 v[150:153], v1 offset:432
	;; [unrolled: 1-line block ×15, first 2 shown]
	ds_load_b64 v[210:211], v1 offset:656
	s_mov_b32 s0, exec_lo
	s_wait_loadcnt_dscnt 0x100f
	v_mul_f32_e32 v22, v146, v3
	s_wait_loadcnt_dscnt 0xf0e
	v_dual_mul_f32 v212, v148, v5 :: v_dual_mul_f32 v213, v150, v7
	v_mul_f32_e32 v5, v149, v5
	s_wait_loadcnt_dscnt 0xe0d
	v_dual_mul_f32 v214, v152, v9 :: v_dual_mul_f32 v215, v154, v11
	s_wait_loadcnt_dscnt 0xd0c
	v_dual_mul_f32 v216, v156, v13 :: v_dual_mul_f32 v217, v158, v15
	;; [unrolled: 2-line block ×3, first 2 shown]
	v_mul_f32_e32 v3, v147, v3
	v_fmac_f32_e32 v22, v147, v2
	v_dual_fmac_f32 v215, v155, v10 :: v_dual_fmac_f32 v216, v157, v12
	s_wait_loadcnt_dscnt 0x100
	v_dual_mul_f32 v238, v200, v141 :: v_dual_mul_f32 v241, v210, v207
	v_fma_f32 v3, v146, v2, -v3
	v_mul_f32_e32 v2, v151, v7
	v_fmac_f32_e32 v212, v149, v4
	v_fma_f32 v4, v148, v4, -v5
	v_dual_add_f32 v5, 0, v22 :: v_dual_fmac_f32 v214, v153, v8
	v_add_f32_e32 v3, 0, v3
	v_fmac_f32_e32 v213, v151, v6
	v_fma_f32 v2, v150, v6, -v2
	v_dual_fmac_f32 v217, v159, v14 :: v_dual_fmac_f32 v218, v161, v16
	s_delay_alu instid0(VALU_DEP_4) | instskip(SKIP_3) | instid1(VALU_DEP_4)
	v_add_f32_e32 v3, v3, v4
	v_mul_f32_e32 v7, v153, v9
	v_add_f32_e32 v4, v5, v212
	v_dual_mul_f32 v220, v164, v21 :: v_dual_mul_f32 v221, v166, v107
	v_add_f32_e32 v2, v3, v2
	s_delay_alu instid0(VALU_DEP_4)
	v_fma_f32 v6, v152, v8, -v7
	v_mul_f32_e32 v5, v155, v11
	v_add_f32_e32 v3, v4, v213
	v_mul_f32_e32 v4, v157, v13
	v_dual_mul_f32 v222, v168, v109 :: v_dual_mul_f32 v223, v170, v111
	v_add_f32_e32 v2, v2, v6
	v_fma_f32 v5, v154, v10, -v5
	v_mul_f32_e32 v6, v159, v15
	v_add_f32_e32 v3, v3, v214
	v_fma_f32 v4, v156, v12, -v4
	v_dual_fmac_f32 v221, v167, v106 :: v_dual_fmac_f32 v222, v169, v108
	s_delay_alu instid0(VALU_DEP_3) | instskip(SKIP_2) | instid1(VALU_DEP_3)
	v_dual_add_f32 v2, v2, v5 :: v_dual_add_f32 v3, v3, v215
	v_mul_f32_e32 v5, v161, v17
	v_fma_f32 v6, v158, v14, -v6
	v_dual_fmac_f32 v219, v163, v18 :: v_dual_add_f32 v2, v2, v4
	s_delay_alu instid0(VALU_DEP_4) | instskip(SKIP_3) | instid1(VALU_DEP_4)
	v_add_f32_e32 v3, v3, v216
	v_mul_f32_e32 v4, v163, v19
	v_fma_f32 v5, v160, v16, -v5
	v_fmac_f32_e32 v220, v165, v20
	v_dual_add_f32 v2, v2, v6 :: v_dual_add_f32 v3, v3, v217
	v_mul_f32_e32 v6, v165, v21
	v_fma_f32 v4, v162, v18, -v4
	v_dual_mul_f32 v224, v172, v113 :: v_dual_mul_f32 v225, v174, v115
	s_delay_alu instid0(VALU_DEP_4) | instskip(SKIP_3) | instid1(VALU_DEP_4)
	v_dual_add_f32 v2, v2, v5 :: v_dual_add_f32 v3, v3, v218
	v_mul_f32_e32 v5, v167, v107
	v_fma_f32 v6, v164, v20, -v6
	v_dual_mul_f32 v226, v176, v117 :: v_dual_mul_f32 v227, v178, v119
	v_dual_add_f32 v2, v2, v4 :: v_dual_add_f32 v3, v3, v219
	v_mul_f32_e32 v4, v169, v109
	v_fma_f32 v5, v166, v106, -v5
	v_fmac_f32_e32 v223, v171, v110
	s_delay_alu instid0(VALU_DEP_4) | instskip(SKIP_3) | instid1(VALU_DEP_4)
	v_dual_add_f32 v2, v2, v6 :: v_dual_add_f32 v3, v3, v220
	v_mul_f32_e32 v6, v171, v111
	v_fma_f32 v4, v168, v108, -v4
	v_fmac_f32_e32 v224, v173, v112
	v_add_f32_e32 v2, v2, v5
	v_add_f32_e32 v3, v3, v221
	v_mul_f32_e32 v5, v173, v113
	v_fma_f32 v6, v170, v110, -v6
	s_delay_alu instid0(VALU_DEP_4) | instskip(NEXT) | instid1(VALU_DEP_4)
	v_dual_fmac_f32 v225, v175, v114 :: v_dual_add_f32 v2, v2, v4
	v_add_f32_e32 v3, v3, v222
	v_mul_f32_e32 v4, v175, v115
	v_fma_f32 v5, v172, v112, -v5
	v_fmac_f32_e32 v226, v177, v116
	s_delay_alu instid0(VALU_DEP_4) | instskip(SKIP_3) | instid1(VALU_DEP_4)
	v_dual_add_f32 v2, v2, v6 :: v_dual_add_f32 v3, v3, v223
	v_mul_f32_e32 v6, v177, v117
	v_fma_f32 v4, v174, v114, -v4
	v_dual_mul_f32 v228, v180, v121 :: v_dual_mul_f32 v229, v182, v123
	v_dual_add_f32 v2, v2, v5 :: v_dual_add_f32 v3, v3, v224
	v_mul_f32_e32 v5, v179, v119
	v_fma_f32 v6, v176, v116, -v6
	s_delay_alu instid0(VALU_DEP_3) | instskip(NEXT) | instid1(VALU_DEP_4)
	v_dual_fmac_f32 v227, v179, v118 :: v_dual_add_f32 v2, v2, v4
	v_add_f32_e32 v3, v3, v225
	v_mul_f32_e32 v4, v181, v121
	v_fma_f32 v5, v178, v118, -v5
	v_fmac_f32_e32 v228, v181, v120
	v_dual_mul_f32 v230, v184, v125 :: v_dual_mul_f32 v231, v186, v127
	v_add_f32_e32 v3, v3, v226
	v_add_f32_e32 v2, v2, v6
	v_mul_f32_e32 v6, v183, v123
	v_fma_f32 v4, v180, v120, -v4
	v_fmac_f32_e32 v229, v183, v122
	s_delay_alu instid0(VALU_DEP_4) | instskip(NEXT) | instid1(VALU_DEP_4)
	v_dual_add_f32 v3, v3, v227 :: v_dual_add_f32 v2, v2, v5
	v_fma_f32 v6, v182, v122, -v6
	v_mul_f32_e32 v5, v185, v125
	v_dual_fmac_f32 v230, v185, v124 :: v_dual_fmac_f32 v231, v187, v126
	s_delay_alu instid0(VALU_DEP_4) | instskip(SKIP_3) | instid1(VALU_DEP_4)
	v_add_f32_e32 v3, v3, v228
	v_add_f32_e32 v2, v2, v4
	v_dual_mul_f32 v232, v188, v129 :: v_dual_mul_f32 v233, v190, v131
	v_mul_f32_e32 v4, v187, v127
	v_add_f32_e32 v3, v3, v229
	v_fma_f32 v5, v184, v124, -v5
	v_add_f32_e32 v2, v2, v6
	v_mul_f32_e32 v6, v189, v129
	v_fma_f32 v4, v186, v126, -v4
	v_dual_add_f32 v3, v3, v230 :: v_dual_fmac_f32 v232, v189, v128
	s_delay_alu instid0(VALU_DEP_4) | instskip(SKIP_1) | instid1(VALU_DEP_3)
	v_dual_add_f32 v2, v2, v5 :: v_dual_mul_f32 v5, v191, v131
	v_dual_mul_f32 v234, v192, v133 :: v_dual_mul_f32 v235, v194, v135
	v_add_f32_e32 v3, v3, v231
	v_fma_f32 v6, v188, v128, -v6
	s_delay_alu instid0(VALU_DEP_4) | instskip(NEXT) | instid1(VALU_DEP_3)
	v_dual_add_f32 v2, v2, v4 :: v_dual_fmac_f32 v233, v191, v130
	v_dual_mul_f32 v4, v193, v133 :: v_dual_add_f32 v3, v3, v232
	v_fma_f32 v5, v190, v130, -v5
	s_delay_alu instid0(VALU_DEP_3) | instskip(SKIP_1) | instid1(VALU_DEP_4)
	v_add_f32_e32 v2, v2, v6
	v_dual_fmac_f32 v234, v193, v132 :: v_dual_fmac_f32 v235, v195, v134
	v_add_f32_e32 v3, v3, v233
	v_dual_mul_f32 v236, v196, v137 :: v_dual_mul_f32 v237, v198, v139
	v_mul_f32_e32 v6, v195, v135
	v_fma_f32 v4, v192, v132, -v4
	s_delay_alu instid0(VALU_DEP_4) | instskip(SKIP_1) | instid1(VALU_DEP_4)
	v_dual_add_f32 v2, v2, v5 :: v_dual_add_f32 v3, v3, v234
	v_mul_f32_e32 v5, v197, v137
	v_fma_f32 v6, v194, v134, -v6
	v_dual_fmac_f32 v236, v197, v136 :: v_dual_fmac_f32 v237, v199, v138
	s_delay_alu instid0(VALU_DEP_4) | instskip(SKIP_3) | instid1(VALU_DEP_4)
	v_dual_add_f32 v2, v2, v4 :: v_dual_add_f32 v3, v3, v235
	v_mul_f32_e32 v4, v199, v139
	v_fma_f32 v5, v196, v136, -v5
	v_dual_mul_f32 v239, v202, v143 :: v_dual_mul_f32 v240, v204, v145
	v_dual_add_f32 v2, v2, v6 :: v_dual_add_f32 v3, v3, v236
	s_delay_alu instid0(VALU_DEP_4) | instskip(SKIP_2) | instid1(VALU_DEP_4)
	v_fma_f32 v4, v198, v138, -v4
	v_fmac_f32_e32 v238, v201, v140
	v_mul_f32_e32 v6, v201, v141
	v_dual_add_f32 v2, v2, v5 :: v_dual_fmac_f32 v239, v203, v142
	v_add_f32_e32 v3, v3, v237
	v_mul_f32_e32 v5, v203, v143
	s_delay_alu instid0(VALU_DEP_4) | instskip(NEXT) | instid1(VALU_DEP_4)
	v_fma_f32 v6, v200, v140, -v6
	v_add_f32_e32 v2, v2, v4
	v_dual_fmac_f32 v240, v205, v144 :: v_dual_fmac_f32 v241, v211, v206
	v_dual_add_f32 v3, v3, v238 :: v_dual_mul_f32 v4, v205, v145
	v_fma_f32 v5, v202, v142, -v5
	s_delay_alu instid0(VALU_DEP_2) | instskip(SKIP_1) | instid1(VALU_DEP_4)
	v_dual_add_f32 v3, v3, v239 :: v_dual_add_f32 v2, v2, v6
	v_mul_f32_e32 v6, v211, v207
	v_fma_f32 v4, v204, v144, -v4
	s_delay_alu instid0(VALU_DEP_3) | instskip(NEXT) | instid1(VALU_DEP_1)
	v_add_f32_e32 v3, v3, v240
	v_add_f32_e32 v3, v3, v241
	;; [unrolled: 1-line block ×3, first 2 shown]
	v_fma_f32 v5, v210, v206, -v6
	s_wait_loadcnt 0x0
	s_delay_alu instid0(VALU_DEP_2) | instskip(NEXT) | instid1(VALU_DEP_1)
	v_dual_sub_f32 v3, v209, v3 :: v_dual_add_f32 v2, v2, v4
	v_add_f32_e32 v2, v2, v5
	s_delay_alu instid0(VALU_DEP_1)
	v_sub_f32_e32 v2, v208, v2
	scratch_store_b64 off, v[2:3], off offset:72
	v_cmpx_lt_u32_e32 8, v0
	s_cbranch_execz .LBB104_243
; %bb.242:
	scratch_load_b64 v[3:4], off, off offset:64
	v_mov_b32_e32 v2, v1
	scratch_store_b64 off, v[1:2], off offset:64
	s_wait_loadcnt 0x0
	ds_store_b64 v23, v[3:4]
.LBB104_243:
	s_wait_alu 0xfffe
	s_or_b32 exec_lo, exec_lo, s0
	s_wait_storecnt_dscnt 0x0
	s_barrier_signal -1
	s_barrier_wait -1
	global_inv scope:SCOPE_SE
	s_clause 0x10
	scratch_load_b128 v[2:5], off, off offset:72
	scratch_load_b128 v[6:9], off, off offset:88
	;; [unrolled: 1-line block ×16, first 2 shown]
	scratch_load_b64 v[214:215], off, off offset:64
	ds_load_2addr_b64 v[150:153], v1 offset0:51 offset1:52
	ds_load_2addr_b64 v[154:157], v1 offset0:53 offset1:54
	;; [unrolled: 1-line block ×16, first 2 shown]
	s_mov_b32 s0, exec_lo
	s_wait_loadcnt_dscnt 0x100f
	v_dual_mul_f32 v1, v150, v3 :: v_dual_mul_f32 v22, v152, v5
	v_mul_f32_e32 v3, v151, v3
	s_wait_loadcnt_dscnt 0xf0e
	v_dual_mul_f32 v5, v153, v5 :: v_dual_mul_f32 v216, v154, v7
	s_delay_alu instid0(VALU_DEP_3) | instskip(NEXT) | instid1(VALU_DEP_3)
	v_dual_mul_f32 v217, v156, v9 :: v_dual_fmac_f32 v22, v153, v4
	v_fma_f32 v3, v150, v2, -v3
	v_fmac_f32_e32 v1, v151, v2
	v_mul_f32_e32 v2, v155, v7
	v_fma_f32 v4, v152, v4, -v5
	s_delay_alu instid0(VALU_DEP_4)
	v_dual_fmac_f32 v216, v155, v6 :: v_dual_add_f32 v3, 0, v3
	s_wait_loadcnt_dscnt 0xc0b
	v_dual_mul_f32 v222, v166, v19 :: v_dual_mul_f32 v223, v168, v21
	v_fma_f32 v2, v154, v6, -v2
	v_dual_mul_f32 v218, v158, v11 :: v_dual_mul_f32 v219, v160, v13
	v_add_f32_e32 v3, v3, v4
	v_dual_mul_f32 v5, v157, v9 :: v_dual_mul_f32 v220, v162, v15
	v_dual_mul_f32 v221, v164, v17 :: v_dual_mul_f32 v4, v159, v11
	s_delay_alu instid0(VALU_DEP_3) | instskip(NEXT) | instid1(VALU_DEP_3)
	v_add_f32_e32 v2, v3, v2
	v_fma_f32 v5, v156, v8, -v5
	v_dual_mul_f32 v3, v161, v13 :: v_dual_fmac_f32 v222, v167, v18
	s_delay_alu instid0(VALU_DEP_4) | instskip(SKIP_1) | instid1(VALU_DEP_4)
	v_fma_f32 v4, v158, v10, -v4
	v_dual_fmac_f32 v217, v157, v8 :: v_dual_fmac_f32 v218, v159, v10
	v_add_f32_e32 v2, v2, v5
	v_add_f32_e32 v1, 0, v1
	v_fma_f32 v3, v160, v12, -v3
	v_fmac_f32_e32 v220, v163, v14
	s_wait_loadcnt_dscnt 0xb0a
	v_dual_mul_f32 v224, v170, v107 :: v_dual_mul_f32 v225, v172, v109
	v_dual_add_f32 v1, v1, v22 :: v_dual_add_f32 v2, v2, v4
	v_mul_f32_e32 v4, v165, v17
	s_wait_loadcnt_dscnt 0x908
	v_dual_mul_f32 v228, v178, v115 :: v_dual_mul_f32 v229, v180, v117
	s_delay_alu instid0(VALU_DEP_3) | instskip(NEXT) | instid1(VALU_DEP_3)
	v_dual_add_f32 v1, v1, v216 :: v_dual_add_f32 v2, v2, v3
	v_fma_f32 v4, v164, v16, -v4
	v_mul_f32_e32 v5, v163, v15
	v_dual_mul_f32 v226, v174, v111 :: v_dual_mul_f32 v227, v176, v113
	s_wait_loadcnt_dscnt 0x605
	v_dual_add_f32 v1, v1, v217 :: v_dual_mul_f32 v234, v190, v127
	v_mul_f32_e32 v235, v192, v129
	v_fma_f32 v5, v162, v14, -v5
	v_fmac_f32_e32 v219, v161, v12
	s_delay_alu instid0(VALU_DEP_4)
	v_add_f32_e32 v1, v1, v218
	v_fmac_f32_e32 v224, v171, v106
	v_dual_mul_f32 v230, v182, v119 :: v_dual_mul_f32 v231, v184, v121
	v_add_f32_e32 v2, v2, v5
	v_dual_fmac_f32 v226, v175, v110 :: v_dual_fmac_f32 v225, v173, v108
	v_dual_mul_f32 v232, v186, v123 :: v_dual_mul_f32 v233, v188, v125
	s_delay_alu instid0(VALU_DEP_3) | instskip(SKIP_2) | instid1(VALU_DEP_4)
	v_add_f32_e32 v2, v2, v4
	v_mul_f32_e32 v4, v171, v107
	v_add_f32_e32 v1, v1, v219
	v_dual_fmac_f32 v227, v177, v112 :: v_dual_fmac_f32 v232, v187, v122
	s_wait_loadcnt_dscnt 0x302
	v_dual_mul_f32 v240, v202, v139 :: v_dual_mul_f32 v241, v204, v141
	v_fma_f32 v4, v170, v106, -v4
	v_mul_f32_e32 v5, v169, v21
	v_dual_add_f32 v1, v1, v220 :: v_dual_fmac_f32 v228, v179, v114
	v_dual_fmac_f32 v229, v181, v116 :: v_dual_mul_f32 v236, v194, v131
	v_mul_f32_e32 v237, v196, v133
	s_delay_alu instid0(VALU_DEP_4) | instskip(SKIP_4) | instid1(VALU_DEP_3)
	v_fma_f32 v5, v168, v20, -v5
	v_mul_f32_e32 v3, v167, v19
	s_wait_loadcnt_dscnt 0x201
	v_dual_mul_f32 v242, v206, v143 :: v_dual_mul_f32 v243, v208, v145
	v_dual_mul_f32 v238, v198, v135 :: v_dual_mul_f32 v239, v200, v137
	v_fma_f32 v3, v166, v18, -v3
	v_fmac_f32_e32 v221, v165, v16
	s_wait_loadcnt_dscnt 0x100
	v_dual_fmac_f32 v235, v193, v128 :: v_dual_mul_f32 v244, v210, v147
	s_delay_alu instid0(VALU_DEP_3) | instskip(SKIP_1) | instid1(VALU_DEP_3)
	v_dual_mul_f32 v245, v212, v149 :: v_dual_add_f32 v2, v2, v3
	v_mul_f32_e32 v3, v173, v109
	v_dual_fmac_f32 v237, v197, v132 :: v_dual_fmac_f32 v244, v211, v146
	s_delay_alu instid0(VALU_DEP_3) | instskip(SKIP_1) | instid1(VALU_DEP_4)
	v_dual_fmac_f32 v241, v205, v140 :: v_dual_add_f32 v2, v2, v5
	v_mul_f32_e32 v5, v175, v111
	v_fma_f32 v3, v172, v108, -v3
	v_dual_fmac_f32 v234, v191, v126 :: v_dual_fmac_f32 v243, v209, v144
	s_delay_alu instid0(VALU_DEP_4) | instskip(SKIP_3) | instid1(VALU_DEP_4)
	v_dual_add_f32 v2, v2, v4 :: v_dual_add_f32 v1, v1, v221
	v_mul_f32_e32 v4, v177, v113
	v_fma_f32 v5, v174, v110, -v5
	v_fmac_f32_e32 v230, v183, v118
	v_dual_add_f32 v2, v2, v3 :: v_dual_fmac_f32 v223, v169, v20
	s_delay_alu instid0(VALU_DEP_4) | instskip(SKIP_1) | instid1(VALU_DEP_3)
	v_fma_f32 v4, v176, v112, -v4
	v_dual_fmac_f32 v245, v213, v148 :: v_dual_fmac_f32 v240, v203, v138
	v_add_f32_e32 v2, v2, v5
	v_mul_f32_e32 v5, v181, v117
	v_add_f32_e32 v1, v1, v222
	v_fmac_f32_e32 v236, v195, v130
	v_fmac_f32_e32 v242, v207, v142
	v_add_f32_e32 v2, v2, v4
	v_fma_f32 v5, v180, v116, -v5
	v_mul_f32_e32 v3, v179, v115
	v_add_f32_e32 v1, v1, v223
	v_mul_f32_e32 v4, v183, v119
	v_fmac_f32_e32 v238, v199, v134
	s_delay_alu instid0(VALU_DEP_4) | instskip(NEXT) | instid1(VALU_DEP_4)
	v_fma_f32 v3, v178, v114, -v3
	v_add_f32_e32 v1, v1, v224
	s_delay_alu instid0(VALU_DEP_4) | instskip(NEXT) | instid1(VALU_DEP_3)
	v_fma_f32 v4, v182, v118, -v4
	v_add_f32_e32 v2, v2, v3
	s_delay_alu instid0(VALU_DEP_1) | instskip(NEXT) | instid1(VALU_DEP_4)
	v_add_f32_e32 v2, v2, v5
	v_add_f32_e32 v1, v1, v225
	s_delay_alu instid0(VALU_DEP_2) | instskip(SKIP_1) | instid1(VALU_DEP_2)
	v_dual_mul_f32 v5, v187, v123 :: v_dual_add_f32 v2, v2, v4
	v_mul_f32_e32 v4, v189, v125
	v_fma_f32 v5, v186, v122, -v5
	s_delay_alu instid0(VALU_DEP_2) | instskip(SKIP_1) | instid1(VALU_DEP_1)
	v_fma_f32 v4, v188, v124, -v4
	v_mul_f32_e32 v3, v185, v121
	v_fma_f32 v3, v184, v120, -v3
	s_delay_alu instid0(VALU_DEP_1) | instskip(NEXT) | instid1(VALU_DEP_1)
	v_dual_add_f32 v1, v1, v226 :: v_dual_add_f32 v2, v2, v3
	v_add_f32_e32 v1, v1, v227
	s_delay_alu instid0(VALU_DEP_2) | instskip(SKIP_1) | instid1(VALU_DEP_2)
	v_dual_mul_f32 v3, v191, v127 :: v_dual_add_f32 v2, v2, v5
	v_mul_f32_e32 v5, v193, v129
	v_fma_f32 v3, v190, v126, -v3
	s_delay_alu instid0(VALU_DEP_3) | instskip(SKIP_1) | instid1(VALU_DEP_4)
	v_add_f32_e32 v2, v2, v4
	v_dual_add_f32 v1, v1, v228 :: v_dual_mul_f32 v4, v195, v131
	v_fma_f32 v5, v192, v128, -v5
	s_delay_alu instid0(VALU_DEP_2) | instskip(SKIP_3) | instid1(VALU_DEP_4)
	v_dual_add_f32 v2, v2, v3 :: v_dual_add_f32 v1, v1, v229
	v_fmac_f32_e32 v231, v185, v120
	v_mul_f32_e32 v3, v197, v133
	v_fma_f32 v4, v194, v130, -v4
	v_dual_add_f32 v2, v2, v5 :: v_dual_add_f32 v1, v1, v230
	v_mul_f32_e32 v5, v199, v135
	s_delay_alu instid0(VALU_DEP_4) | instskip(NEXT) | instid1(VALU_DEP_3)
	v_fma_f32 v3, v196, v132, -v3
	v_dual_add_f32 v2, v2, v4 :: v_dual_add_f32 v1, v1, v231
	v_fmac_f32_e32 v233, v189, v124
	v_mul_f32_e32 v4, v201, v137
	v_fma_f32 v5, v198, v134, -v5
	s_delay_alu instid0(VALU_DEP_4) | instskip(SKIP_1) | instid1(VALU_DEP_4)
	v_dual_add_f32 v2, v2, v3 :: v_dual_add_f32 v1, v1, v232
	v_mul_f32_e32 v3, v203, v139
	v_fma_f32 v4, v200, v136, -v4
	s_delay_alu instid0(VALU_DEP_3) | instskip(NEXT) | instid1(VALU_DEP_4)
	v_add_f32_e32 v2, v2, v5
	v_add_f32_e32 v1, v1, v233
	v_mul_f32_e32 v5, v205, v141
	v_fma_f32 v3, v202, v138, -v3
	s_delay_alu instid0(VALU_DEP_3) | instskip(SKIP_1) | instid1(VALU_DEP_4)
	v_dual_add_f32 v2, v2, v4 :: v_dual_add_f32 v1, v1, v234
	v_mul_f32_e32 v4, v207, v143
	v_fma_f32 v5, v204, v140, -v5
	s_delay_alu instid0(VALU_DEP_3) | instskip(NEXT) | instid1(VALU_DEP_4)
	v_add_f32_e32 v2, v2, v3
	v_add_f32_e32 v1, v1, v235
	v_mul_f32_e32 v3, v209, v145
	v_fma_f32 v4, v206, v142, -v4
	s_delay_alu instid0(VALU_DEP_4) | instskip(NEXT) | instid1(VALU_DEP_3)
	v_dual_add_f32 v2, v2, v5 :: v_dual_mul_f32 v5, v211, v147
	v_fma_f32 v3, v208, v144, -v3
	s_delay_alu instid0(VALU_DEP_2) | instskip(SKIP_3) | instid1(VALU_DEP_4)
	v_add_f32_e32 v2, v2, v4
	v_add_f32_e32 v1, v1, v236
	v_mul_f32_e32 v4, v213, v149
	v_fma_f32 v5, v210, v146, -v5
	v_dual_add_f32 v2, v2, v3 :: v_dual_fmac_f32 v239, v201, v136
	s_delay_alu instid0(VALU_DEP_3) | instskip(NEXT) | instid1(VALU_DEP_2)
	v_fma_f32 v3, v212, v148, -v4
	v_add_f32_e32 v2, v2, v5
	s_delay_alu instid0(VALU_DEP_1) | instskip(NEXT) | instid1(VALU_DEP_1)
	v_dual_add_f32 v1, v1, v237 :: v_dual_add_f32 v2, v2, v3
	v_add_f32_e32 v1, v1, v238
	s_delay_alu instid0(VALU_DEP_1) | instskip(NEXT) | instid1(VALU_DEP_1)
	v_add_f32_e32 v1, v1, v239
	v_add_f32_e32 v1, v1, v240
	s_delay_alu instid0(VALU_DEP_1) | instskip(NEXT) | instid1(VALU_DEP_1)
	v_add_f32_e32 v1, v1, v241
	;; [unrolled: 3-line block ×3, first 2 shown]
	v_add_f32_e32 v1, v1, v244
	s_delay_alu instid0(VALU_DEP_1) | instskip(SKIP_1) | instid1(VALU_DEP_1)
	v_add_f32_e32 v3, v1, v245
	s_wait_loadcnt 0x0
	v_dual_sub_f32 v1, v214, v2 :: v_dual_sub_f32 v2, v215, v3
	scratch_store_b64 off, v[1:2], off offset:64
	v_cmpx_lt_u32_e32 7, v0
	s_cbranch_execz .LBB104_245
; %bb.244:
	scratch_load_b64 v[1:2], off, off offset:56
	v_mov_b32_e32 v3, 0
	s_delay_alu instid0(VALU_DEP_1)
	v_mov_b32_e32 v4, v3
	scratch_store_b64 off, v[3:4], off offset:56
	s_wait_loadcnt 0x0
	ds_store_b64 v23, v[1:2]
.LBB104_245:
	s_wait_alu 0xfffe
	s_or_b32 exec_lo, exec_lo, s0
	s_wait_storecnt_dscnt 0x0
	s_barrier_signal -1
	s_barrier_wait -1
	global_inv scope:SCOPE_SE
	s_clause 0x11
	scratch_load_b128 v[1:4], off, off offset:64
	scratch_load_b128 v[5:8], off, off offset:80
	;; [unrolled: 1-line block ×16, first 2 shown]
	scratch_load_b64 v[214:215], off, off offset:320
	scratch_load_b64 v[216:217], off, off offset:56
	v_mov_b32_e32 v21, 0
	ds_load_b128 v[150:153], v21 offset:400
	ds_load_b128 v[154:157], v21 offset:416
	ds_load_b128 v[158:161], v21 offset:432
	ds_load_b128 v[162:165], v21 offset:448
	ds_load_b128 v[166:169], v21 offset:464
	ds_load_b128 v[170:173], v21 offset:480
	ds_load_b128 v[174:177], v21 offset:496
	ds_load_b128 v[178:181], v21 offset:512
	ds_load_b128 v[182:185], v21 offset:528
	ds_load_b128 v[186:189], v21 offset:544
	ds_load_b128 v[190:193], v21 offset:560
	ds_load_b128 v[194:197], v21 offset:576
	ds_load_b128 v[198:201], v21 offset:592
	ds_load_b128 v[202:205], v21 offset:608
	ds_load_b128 v[206:209], v21 offset:624
	ds_load_b128 v[210:213], v21 offset:640
	ds_load_b64 v[218:219], v21 offset:656
	s_mov_b32 s0, exec_lo
	s_wait_loadcnt_dscnt 0x1110
	v_mul_f32_e32 v22, v150, v2
	v_mul_f32_e32 v2, v151, v2
	s_wait_loadcnt_dscnt 0x100f
	v_dual_mul_f32 v220, v152, v4 :: v_dual_mul_f32 v221, v154, v6
	v_mul_f32_e32 v4, v153, v4
	s_wait_loadcnt_dscnt 0xf0e
	v_dual_mul_f32 v222, v156, v8 :: v_dual_mul_f32 v223, v158, v10
	s_delay_alu instid0(VALU_DEP_3)
	v_fmac_f32_e32 v220, v153, v3
	v_fmac_f32_e32 v22, v151, v1
	v_fmac_f32_e32 v221, v155, v5
	v_fma_f32 v3, v152, v3, -v4
	v_dual_fmac_f32 v223, v159, v9 :: v_dual_mul_f32 v224, v160, v12
	s_wait_loadcnt_dscnt 0xe0d
	v_mul_f32_e32 v225, v162, v14
	v_add_f32_e32 v4, 0, v22
	s_wait_loadcnt_dscnt 0x100
	v_dual_mul_f32 v250, v212, v149 :: v_dual_mul_f32 v251, v218, v215
	v_fma_f32 v2, v150, v1, -v2
	v_dual_mul_f32 v1, v155, v6 :: v_dual_mul_f32 v6, v157, v8
	v_dual_fmac_f32 v222, v157, v7 :: v_dual_fmac_f32 v225, v163, v13
	s_delay_alu instid0(VALU_DEP_3) | instskip(NEXT) | instid1(VALU_DEP_3)
	v_add_f32_e32 v2, 0, v2
	v_fma_f32 v1, v154, v5, -v1
	s_delay_alu instid0(VALU_DEP_4) | instskip(SKIP_1) | instid1(VALU_DEP_4)
	v_fma_f32 v5, v156, v7, -v6
	v_dual_mul_f32 v226, v164, v16 :: v_dual_mul_f32 v227, v166, v18
	v_add_f32_e32 v2, v2, v3
	v_dual_mul_f32 v228, v168, v20 :: v_dual_mul_f32 v229, v170, v107
	v_fmac_f32_e32 v224, v161, v11
	s_delay_alu instid0(VALU_DEP_3) | instskip(SKIP_1) | instid1(VALU_DEP_4)
	v_dual_fmac_f32 v226, v165, v15 :: v_dual_add_f32 v1, v2, v1
	v_add_f32_e32 v3, v4, v220
	v_dual_fmac_f32 v229, v171, v106 :: v_dual_mul_f32 v230, v172, v109
	v_mul_f32_e32 v231, v174, v111
	s_delay_alu instid0(VALU_DEP_4) | instskip(NEXT) | instid1(VALU_DEP_4)
	v_add_f32_e32 v1, v1, v5
	v_dual_add_f32 v2, v3, v221 :: v_dual_mul_f32 v3, v161, v12
	v_dual_mul_f32 v5, v163, v14 :: v_dual_fmac_f32 v228, v169, v19
	s_delay_alu instid0(VALU_DEP_4) | instskip(SKIP_1) | instid1(VALU_DEP_4)
	v_dual_fmac_f32 v231, v175, v110 :: v_dual_mul_f32 v232, v176, v113
	v_mul_f32_e32 v233, v178, v115
	v_fma_f32 v3, v160, v11, -v3
	v_mul_f32_e32 v4, v159, v10
	v_fma_f32 v5, v162, v13, -v5
	v_dual_fmac_f32 v227, v167, v17 :: v_dual_fmac_f32 v230, v173, v108
	v_dual_mul_f32 v234, v180, v117 :: v_dual_mul_f32 v235, v182, v119
	s_delay_alu instid0(VALU_DEP_4) | instskip(SKIP_2) | instid1(VALU_DEP_4)
	v_fma_f32 v4, v158, v9, -v4
	v_fmac_f32_e32 v232, v177, v112
	v_dual_mul_f32 v236, v184, v121 :: v_dual_mul_f32 v237, v186, v123
	v_fmac_f32_e32 v235, v183, v118
	s_delay_alu instid0(VALU_DEP_4) | instskip(SKIP_3) | instid1(VALU_DEP_4)
	v_add_f32_e32 v1, v1, v4
	v_mul_f32_e32 v4, v165, v16
	v_fmac_f32_e32 v234, v181, v116
	v_dual_fmac_f32 v236, v185, v120 :: v_dual_fmac_f32 v237, v187, v122
	v_dual_add_f32 v1, v1, v3 :: v_dual_add_f32 v2, v2, v222
	v_mul_f32_e32 v3, v167, v18
	v_fma_f32 v4, v164, v15, -v4
	v_dual_mul_f32 v238, v188, v125 :: v_dual_mul_f32 v239, v190, v127
	s_delay_alu instid0(VALU_DEP_4) | instskip(SKIP_2) | instid1(VALU_DEP_4)
	v_dual_add_f32 v1, v1, v5 :: v_dual_add_f32 v2, v2, v223
	v_mul_f32_e32 v5, v169, v20
	v_fma_f32 v3, v166, v17, -v3
	v_dual_fmac_f32 v238, v189, v124 :: v_dual_fmac_f32 v239, v191, v126
	s_delay_alu instid0(VALU_DEP_4) | instskip(SKIP_4) | instid1(VALU_DEP_4)
	v_add_f32_e32 v1, v1, v4
	v_add_f32_e32 v2, v2, v224
	v_fma_f32 v5, v168, v19, -v5
	v_mul_f32_e32 v4, v171, v107
	v_fmac_f32_e32 v233, v179, v114
	v_dual_add_f32 v1, v1, v3 :: v_dual_add_f32 v2, v2, v225
	v_mul_f32_e32 v3, v173, v109
	s_delay_alu instid0(VALU_DEP_4) | instskip(SKIP_1) | instid1(VALU_DEP_4)
	v_fma_f32 v4, v170, v106, -v4
	v_dual_mul_f32 v240, v192, v129 :: v_dual_mul_f32 v241, v194, v131
	v_add_f32_e32 v1, v1, v5
	v_dual_mul_f32 v5, v175, v111 :: v_dual_add_f32 v2, v2, v226
	v_fma_f32 v3, v172, v108, -v3
	s_delay_alu instid0(VALU_DEP_4) | instskip(NEXT) | instid1(VALU_DEP_3)
	v_dual_fmac_f32 v240, v193, v128 :: v_dual_fmac_f32 v241, v195, v130
	v_dual_add_f32 v1, v1, v4 :: v_dual_add_f32 v2, v2, v227
	v_mul_f32_e32 v4, v177, v113
	v_fma_f32 v5, v174, v110, -v5
	v_dual_mul_f32 v242, v196, v133 :: v_dual_mul_f32 v243, v198, v135
	s_delay_alu instid0(VALU_DEP_4) | instskip(SKIP_2) | instid1(VALU_DEP_4)
	v_dual_add_f32 v2, v2, v228 :: v_dual_add_f32 v1, v1, v3
	v_mul_f32_e32 v3, v179, v115
	v_fma_f32 v4, v176, v112, -v4
	v_dual_fmac_f32 v242, v197, v132 :: v_dual_fmac_f32 v243, v199, v134
	s_delay_alu instid0(VALU_DEP_4) | instskip(SKIP_4) | instid1(VALU_DEP_4)
	v_add_f32_e32 v2, v2, v229
	v_add_f32_e32 v1, v1, v5
	v_mul_f32_e32 v5, v181, v117
	v_fma_f32 v3, v178, v114, -v3
	v_dual_mul_f32 v244, v200, v137 :: v_dual_mul_f32 v245, v202, v139
	v_dual_add_f32 v2, v2, v230 :: v_dual_add_f32 v1, v1, v4
	v_mul_f32_e32 v4, v183, v119
	v_fma_f32 v5, v180, v116, -v5
	v_dual_mul_f32 v246, v204, v141 :: v_dual_mul_f32 v247, v206, v143
	s_delay_alu instid0(VALU_DEP_4) | instskip(SKIP_2) | instid1(VALU_DEP_4)
	v_add_f32_e32 v2, v2, v231
	v_add_f32_e32 v1, v1, v3
	v_fma_f32 v4, v182, v118, -v4
	v_dual_fmac_f32 v245, v203, v138 :: v_dual_fmac_f32 v246, v205, v140
	s_delay_alu instid0(VALU_DEP_3) | instskip(SKIP_2) | instid1(VALU_DEP_3)
	v_dual_add_f32 v2, v2, v232 :: v_dual_add_f32 v1, v1, v5
	v_dual_mul_f32 v5, v187, v123 :: v_dual_mul_f32 v248, v208, v145
	v_mul_f32_e32 v249, v210, v147
	v_dual_add_f32 v2, v2, v233 :: v_dual_add_f32 v1, v1, v4
	v_mul_f32_e32 v3, v185, v121
	v_mul_f32_e32 v4, v189, v125
	v_fma_f32 v5, v186, v122, -v5
	s_delay_alu instid0(VALU_DEP_4) | instskip(SKIP_3) | instid1(VALU_DEP_4)
	v_add_f32_e32 v2, v2, v234
	v_dual_fmac_f32 v247, v207, v142 :: v_dual_fmac_f32 v248, v209, v144
	v_fma_f32 v3, v184, v120, -v3
	v_dual_fmac_f32 v249, v211, v146 :: v_dual_fmac_f32 v250, v213, v148
	v_dual_add_f32 v2, v2, v235 :: v_dual_fmac_f32 v251, v219, v214
	s_delay_alu instid0(VALU_DEP_3) | instskip(SKIP_2) | instid1(VALU_DEP_4)
	v_add_f32_e32 v1, v1, v3
	v_mul_f32_e32 v3, v191, v127
	v_fma_f32 v4, v188, v124, -v4
	v_add_f32_e32 v2, v2, v236
	v_fmac_f32_e32 v244, v201, v136
	s_delay_alu instid0(VALU_DEP_4) | instskip(NEXT) | instid1(VALU_DEP_3)
	v_fma_f32 v3, v190, v126, -v3
	v_add_f32_e32 v2, v2, v237
	v_add_f32_e32 v1, v1, v5
	s_delay_alu instid0(VALU_DEP_2) | instskip(NEXT) | instid1(VALU_DEP_2)
	v_dual_mul_f32 v5, v193, v129 :: v_dual_add_f32 v2, v2, v238
	v_dual_add_f32 v1, v1, v4 :: v_dual_mul_f32 v4, v195, v131
	s_delay_alu instid0(VALU_DEP_2) | instskip(NEXT) | instid1(VALU_DEP_3)
	v_fma_f32 v5, v192, v128, -v5
	v_add_f32_e32 v2, v2, v239
	s_delay_alu instid0(VALU_DEP_3) | instskip(SKIP_2) | instid1(VALU_DEP_4)
	v_add_f32_e32 v1, v1, v3
	v_mul_f32_e32 v3, v197, v133
	v_fma_f32 v4, v194, v130, -v4
	v_add_f32_e32 v2, v2, v240
	s_delay_alu instid0(VALU_DEP_3) | instskip(NEXT) | instid1(VALU_DEP_2)
	v_fma_f32 v3, v196, v132, -v3
	v_add_f32_e32 v2, v2, v241
	v_add_f32_e32 v1, v1, v5
	s_delay_alu instid0(VALU_DEP_2) | instskip(NEXT) | instid1(VALU_DEP_2)
	v_dual_mul_f32 v5, v199, v135 :: v_dual_add_f32 v2, v2, v242
	v_add_f32_e32 v1, v1, v4
	v_mul_f32_e32 v4, v201, v137
	s_delay_alu instid0(VALU_DEP_3) | instskip(NEXT) | instid1(VALU_DEP_4)
	v_fma_f32 v5, v198, v134, -v5
	v_add_f32_e32 v2, v2, v243
	s_delay_alu instid0(VALU_DEP_4) | instskip(SKIP_2) | instid1(VALU_DEP_3)
	v_add_f32_e32 v1, v1, v3
	v_mul_f32_e32 v3, v203, v139
	v_fma_f32 v4, v200, v136, -v4
	v_dual_add_f32 v2, v2, v244 :: v_dual_add_f32 v1, v1, v5
	s_delay_alu instid0(VALU_DEP_3) | instskip(SKIP_1) | instid1(VALU_DEP_3)
	v_fma_f32 v3, v202, v138, -v3
	v_mul_f32_e32 v5, v205, v141
	v_dual_add_f32 v2, v2, v245 :: v_dual_add_f32 v1, v1, v4
	v_mul_f32_e32 v4, v207, v143
	s_delay_alu instid0(VALU_DEP_3) | instskip(NEXT) | instid1(VALU_DEP_3)
	v_fma_f32 v5, v204, v140, -v5
	v_dual_add_f32 v2, v2, v246 :: v_dual_add_f32 v1, v1, v3
	v_mul_f32_e32 v3, v209, v145
	s_delay_alu instid0(VALU_DEP_4) | instskip(NEXT) | instid1(VALU_DEP_3)
	v_fma_f32 v4, v206, v142, -v4
	v_dual_add_f32 v2, v2, v247 :: v_dual_add_f32 v1, v1, v5
	v_mul_f32_e32 v5, v211, v147
	s_delay_alu instid0(VALU_DEP_4) | instskip(NEXT) | instid1(VALU_DEP_3)
	v_fma_f32 v3, v208, v144, -v3
	v_add_f32_e32 v2, v2, v248
	s_delay_alu instid0(VALU_DEP_4) | instskip(SKIP_2) | instid1(VALU_DEP_3)
	v_add_f32_e32 v1, v1, v4
	v_mul_f32_e32 v4, v213, v149
	v_fma_f32 v5, v210, v146, -v5
	v_dual_add_f32 v2, v2, v249 :: v_dual_add_f32 v1, v1, v3
	s_delay_alu instid0(VALU_DEP_3) | instskip(NEXT) | instid1(VALU_DEP_2)
	v_fma_f32 v4, v212, v148, -v4
	v_dual_add_f32 v2, v2, v250 :: v_dual_add_f32 v1, v1, v5
	s_delay_alu instid0(VALU_DEP_1) | instskip(SKIP_1) | instid1(VALU_DEP_3)
	v_add_f32_e32 v2, v2, v251
	v_mul_f32_e32 v3, v219, v215
	v_add_f32_e32 v1, v1, v4
	s_wait_loadcnt 0x0
	s_delay_alu instid0(VALU_DEP_3) | instskip(NEXT) | instid1(VALU_DEP_3)
	v_sub_f32_e32 v2, v217, v2
	v_fma_f32 v3, v218, v214, -v3
	s_delay_alu instid0(VALU_DEP_1) | instskip(NEXT) | instid1(VALU_DEP_1)
	v_add_f32_e32 v1, v1, v3
	v_sub_f32_e32 v1, v216, v1
	scratch_store_b64 off, v[1:2], off offset:56
	v_cmpx_lt_u32_e32 6, v0
	s_cbranch_execz .LBB104_247
; %bb.246:
	scratch_load_b64 v[1:2], off, off offset:48
	v_mov_b32_e32 v22, v21
	scratch_store_b64 off, v[21:22], off offset:48
	s_wait_loadcnt 0x0
	ds_store_b64 v23, v[1:2]
.LBB104_247:
	s_wait_alu 0xfffe
	s_or_b32 exec_lo, exec_lo, s0
	s_wait_storecnt_dscnt 0x0
	s_barrier_signal -1
	s_barrier_wait -1
	global_inv scope:SCOPE_SE
	s_clause 0x4
	scratch_load_b128 v[5:8], off, off offset:56
	scratch_load_b128 v[1:4], off, off offset:72
	;; [unrolled: 1-line block ×5, first 2 shown]
	ds_load_2addr_b64 v[106:109], v21 offset0:49 offset1:50
	ds_load_2addr_b64 v[110:113], v21 offset0:51 offset1:52
	;; [unrolled: 1-line block ×3, first 2 shown]
	scratch_load_b64 v[118:119], off, off offset:48
	s_mov_b32 s0, exec_lo
	s_wait_loadcnt_dscnt 0x502
	v_dual_mul_f32 v22, v107, v6 :: v_dual_mul_f32 v121, v108, v8
	v_mul_f32_e32 v120, v106, v6
	v_mul_f32_e32 v6, v109, v8
	s_wait_loadcnt_dscnt 0x300
	v_mul_f32_e32 v122, v116, v12
	v_fma_f32 v22, v106, v5, -v22
	v_dual_fmac_f32 v121, v109, v7 :: v_dual_fmac_f32 v120, v107, v5
	v_mul_f32_e32 v109, v114, v10
	v_mul_f32_e32 v107, v110, v2
	v_fma_f32 v106, v108, v7, -v6
	ds_load_2addr_b64 v[5:8], v21 offset0:55 offset1:56
	v_mul_f32_e32 v108, v112, v4
	v_dual_mul_f32 v4, v113, v4 :: v_dual_fmac_f32 v109, v115, v9
	v_mul_f32_e32 v10, v115, v10
	v_mul_f32_e32 v12, v117, v12
	v_mul_f32_e32 v2, v111, v2
	v_dual_fmac_f32 v107, v111, v1 :: v_dual_fmac_f32 v108, v113, v3
	v_fma_f32 v111, v112, v3, -v4
	v_fma_f32 v112, v114, v9, -v10
	v_fmac_f32_e32 v122, v117, v11
	v_fma_f32 v113, v116, v11, -v12
	ds_load_2addr_b64 v[9:12], v21 offset0:57 offset1:58
	s_wait_loadcnt_dscnt 0x201
	v_dual_mul_f32 v115, v7, v16 :: v_dual_mul_f32 v114, v5, v14
	s_delay_alu instid0(VALU_DEP_1)
	v_dual_mul_f32 v14, v6, v14 :: v_dual_fmac_f32 v115, v8, v15
	v_fma_f32 v110, v110, v1, -v2
	scratch_load_b128 v[1:4], off, off offset:136
	v_mul_f32_e32 v16, v8, v16
	v_fmac_f32_e32 v114, v6, v13
	v_fma_f32 v13, v5, v13, -v14
	s_delay_alu instid0(VALU_DEP_3)
	v_fma_f32 v14, v7, v15, -v16
	s_wait_loadcnt_dscnt 0x200
	v_mul_f32_e32 v15, v9, v18
	v_mul_f32_e32 v16, v10, v18
	;; [unrolled: 1-line block ×4, first 2 shown]
	ds_load_2addr_b64 v[5:8], v21 offset0:59 offset1:60
	v_fmac_f32_e32 v15, v10, v17
	v_fma_f32 v16, v9, v17, -v16
	v_fmac_f32_e32 v18, v12, v19
	v_fma_f32 v17, v11, v19, -v20
	scratch_load_b128 v[9:12], off, off offset:152
	s_wait_loadcnt_dscnt 0x100
	v_mul_f32_e32 v19, v5, v2
	v_mul_f32_e32 v2, v6, v2
	;; [unrolled: 1-line block ×3, first 2 shown]
	s_delay_alu instid0(VALU_DEP_3) | instskip(NEXT) | instid1(VALU_DEP_3)
	v_dual_mul_f32 v4, v8, v4 :: v_dual_fmac_f32 v19, v6, v1
	v_fma_f32 v116, v5, v1, -v2
	s_delay_alu instid0(VALU_DEP_3) | instskip(NEXT) | instid1(VALU_DEP_3)
	v_fmac_f32_e32 v20, v8, v3
	v_fma_f32 v117, v7, v3, -v4
	ds_load_2addr_b64 v[1:4], v21 offset0:61 offset1:62
	ds_load_2addr_b64 v[5:8], v21 offset0:63 offset1:64
	s_wait_loadcnt_dscnt 0x1
	v_mul_f32_e32 v123, v1, v10
	v_mul_f32_e32 v10, v2, v10
	s_delay_alu instid0(VALU_DEP_2) | instskip(NEXT) | instid1(VALU_DEP_2)
	v_dual_mul_f32 v124, v3, v12 :: v_dual_fmac_f32 v123, v2, v9
	v_fma_f32 v125, v1, v9, -v10
	v_mul_f32_e32 v1, v4, v12
	s_delay_alu instid0(VALU_DEP_3) | instskip(NEXT) | instid1(VALU_DEP_2)
	v_fmac_f32_e32 v124, v4, v11
	v_fma_f32 v126, v3, v11, -v1
	s_clause 0x1
	scratch_load_b128 v[1:4], off, off offset:168
	scratch_load_b128 v[9:12], off, off offset:184
	s_wait_loadcnt_dscnt 0x100
	v_mul_f32_e32 v127, v5, v2
	v_dual_mul_f32 v2, v6, v2 :: v_dual_mul_f32 v129, v7, v4
	s_delay_alu instid0(VALU_DEP_2) | instskip(NEXT) | instid1(VALU_DEP_2)
	v_fmac_f32_e32 v127, v6, v1
	v_fma_f32 v128, v5, v1, -v2
	v_mul_f32_e32 v1, v8, v4
	s_delay_alu instid0(VALU_DEP_4) | instskip(NEXT) | instid1(VALU_DEP_2)
	v_fmac_f32_e32 v129, v8, v3
	v_fma_f32 v130, v7, v3, -v1
	ds_load_2addr_b64 v[1:4], v21 offset0:65 offset1:66
	ds_load_2addr_b64 v[5:8], v21 offset0:67 offset1:68
	s_wait_loadcnt_dscnt 0x1
	v_mul_f32_e32 v131, v1, v10
	v_mul_f32_e32 v133, v3, v12
	s_delay_alu instid0(VALU_DEP_2) | instskip(NEXT) | instid1(VALU_DEP_2)
	v_fmac_f32_e32 v131, v2, v9
	v_dual_mul_f32 v2, v2, v10 :: v_dual_fmac_f32 v133, v4, v11
	s_delay_alu instid0(VALU_DEP_1) | instskip(SKIP_1) | instid1(VALU_DEP_1)
	v_fma_f32 v132, v1, v9, -v2
	v_mul_f32_e32 v1, v4, v12
	v_fma_f32 v134, v3, v11, -v1
	s_clause 0x1
	scratch_load_b128 v[1:4], off, off offset:200
	scratch_load_b128 v[9:12], off, off offset:216
	s_wait_loadcnt_dscnt 0x100
	v_mul_f32_e32 v135, v5, v2
	v_dual_mul_f32 v2, v6, v2 :: v_dual_mul_f32 v137, v7, v4
	s_delay_alu instid0(VALU_DEP_2) | instskip(NEXT) | instid1(VALU_DEP_2)
	v_fmac_f32_e32 v135, v6, v1
	v_fma_f32 v136, v5, v1, -v2
	v_mul_f32_e32 v1, v8, v4
	s_delay_alu instid0(VALU_DEP_4) | instskip(NEXT) | instid1(VALU_DEP_2)
	v_fmac_f32_e32 v137, v8, v3
	v_fma_f32 v138, v7, v3, -v1
	ds_load_2addr_b64 v[1:4], v21 offset0:69 offset1:70
	ds_load_2addr_b64 v[5:8], v21 offset0:71 offset1:72
	s_wait_loadcnt_dscnt 0x1
	v_mul_f32_e32 v139, v1, v10
	v_mul_f32_e32 v141, v3, v12
	s_delay_alu instid0(VALU_DEP_2) | instskip(NEXT) | instid1(VALU_DEP_2)
	v_fmac_f32_e32 v139, v2, v9
	v_dual_mul_f32 v2, v2, v10 :: v_dual_fmac_f32 v141, v4, v11
	s_delay_alu instid0(VALU_DEP_1) | instskip(SKIP_1) | instid1(VALU_DEP_1)
	v_fma_f32 v140, v1, v9, -v2
	v_mul_f32_e32 v1, v4, v12
	v_fma_f32 v142, v3, v11, -v1
	s_clause 0x1
	scratch_load_b128 v[1:4], off, off offset:232
	scratch_load_b128 v[9:12], off, off offset:248
	s_wait_loadcnt_dscnt 0x100
	v_mul_f32_e32 v143, v5, v2
	v_mul_f32_e32 v2, v6, v2
	s_delay_alu instid0(VALU_DEP_1) | instskip(SKIP_1) | instid1(VALU_DEP_1)
	v_fma_f32 v144, v5, v1, -v2
	v_add_f32_e32 v2, 0, v120
	v_add_f32_e32 v2, v2, v121
	s_delay_alu instid0(VALU_DEP_1) | instskip(SKIP_1) | instid1(VALU_DEP_2)
	v_add_f32_e32 v2, v2, v107
	v_fmac_f32_e32 v143, v6, v1
	v_add_f32_e32 v2, v2, v108
	s_delay_alu instid0(VALU_DEP_1) | instskip(NEXT) | instid1(VALU_DEP_1)
	v_dual_mul_f32 v145, v7, v4 :: v_dual_add_f32 v2, v2, v109
	v_dual_fmac_f32 v145, v8, v3 :: v_dual_add_f32 v2, v2, v122
	s_delay_alu instid0(VALU_DEP_1) | instskip(NEXT) | instid1(VALU_DEP_1)
	v_dual_mul_f32 v1, v8, v4 :: v_dual_add_f32 v2, v2, v114
	v_fma_f32 v146, v7, v3, -v1
	s_delay_alu instid0(VALU_DEP_2) | instskip(NEXT) | instid1(VALU_DEP_1)
	v_dual_add_f32 v1, 0, v22 :: v_dual_add_f32 v2, v2, v115
	v_dual_add_f32 v1, v1, v106 :: v_dual_add_f32 v2, v2, v15
	s_delay_alu instid0(VALU_DEP_1) | instskip(NEXT) | instid1(VALU_DEP_2)
	v_add_f32_e32 v1, v1, v110
	v_add_f32_e32 v5, v2, v18
	s_delay_alu instid0(VALU_DEP_2) | instskip(NEXT) | instid1(VALU_DEP_1)
	v_add_f32_e32 v1, v1, v111
	v_add_f32_e32 v1, v1, v112
	s_delay_alu instid0(VALU_DEP_1) | instskip(NEXT) | instid1(VALU_DEP_1)
	v_add_f32_e32 v1, v1, v113
	v_add_f32_e32 v1, v1, v13
	;; [unrolled: 1-line block ×3, first 2 shown]
	s_delay_alu instid0(VALU_DEP_1) | instskip(NEXT) | instid1(VALU_DEP_1)
	v_add_f32_e32 v13, v13, v20
	v_add_f32_e32 v13, v13, v123
	s_delay_alu instid0(VALU_DEP_1) | instskip(NEXT) | instid1(VALU_DEP_1)
	v_add_f32_e32 v18, v13, v124
	v_dual_add_f32 v18, v18, v127 :: v_dual_add_f32 v1, v1, v14
	s_delay_alu instid0(VALU_DEP_1) | instskip(NEXT) | instid1(VALU_DEP_1)
	v_dual_add_f32 v18, v18, v129 :: v_dual_add_f32 v1, v1, v16
	v_dual_add_f32 v106, v18, v131 :: v_dual_add_f32 v1, v1, v17
	s_delay_alu instid0(VALU_DEP_1) | instskip(NEXT) | instid1(VALU_DEP_2)
	v_add_f32_e32 v106, v106, v133
	v_add_f32_e32 v6, v1, v116
	ds_load_2addr_b64 v[1:4], v21 offset0:73 offset1:74
	v_add_f32_e32 v106, v106, v135
	v_add_f32_e32 v14, v6, v117
	scratch_load_b128 v[5:8], off, off offset:264
	v_add_f32_e32 v14, v14, v125
	s_delay_alu instid0(VALU_DEP_1)
	v_add_f32_e32 v17, v14, v126
	ds_load_2addr_b64 v[13:16], v21 offset0:75 offset1:76
	s_wait_loadcnt_dscnt 0x101
	v_mul_f32_e32 v22, v1, v10
	v_mul_f32_e32 v10, v2, v10
	;; [unrolled: 1-line block ×4, first 2 shown]
	s_delay_alu instid0(VALU_DEP_4) | instskip(NEXT) | instid1(VALU_DEP_4)
	v_fmac_f32_e32 v22, v2, v9
	v_fma_f32 v111, v1, v9, -v10
	s_delay_alu instid0(VALU_DEP_4) | instskip(NEXT) | instid1(VALU_DEP_4)
	v_fmac_f32_e32 v110, v4, v11
	v_fma_f32 v112, v3, v11, -v12
	s_clause 0x1
	scratch_load_b128 v[1:4], off, off offset:280
	scratch_load_b128 v[9:12], off, off offset:296
	s_wait_loadcnt_dscnt 0x200
	v_mul_f32_e32 v114, v15, v8
	v_add_f32_e32 v17, v17, v128
	v_mul_f32_e32 v113, v13, v6
	v_mul_f32_e32 v6, v14, v6
	;; [unrolled: 1-line block ×3, first 2 shown]
	s_delay_alu instid0(VALU_DEP_4) | instskip(NEXT) | instid1(VALU_DEP_3)
	v_dual_fmac_f32 v114, v16, v7 :: v_dual_add_f32 v17, v17, v130
	v_fma_f32 v115, v13, v5, -v6
	v_add_f32_e32 v13, v106, v137
	s_delay_alu instid0(VALU_DEP_4) | instskip(NEXT) | instid1(VALU_DEP_4)
	v_fma_f32 v116, v15, v7, -v8
	v_add_f32_e32 v17, v17, v132
	s_delay_alu instid0(VALU_DEP_1) | instskip(SKIP_2) | instid1(VALU_DEP_1)
	v_add_f32_e32 v107, v17, v134
	scratch_load_b128 v[17:20], off, off offset:312
	v_add_f32_e32 v107, v107, v136
	v_add_f32_e32 v107, v107, v138
	s_delay_alu instid0(VALU_DEP_1)
	v_dual_add_f32 v106, v107, v140 :: v_dual_fmac_f32 v113, v14, v5
	ds_load_2addr_b64 v[5:8], v21 offset0:77 offset1:78
	v_add_f32_e32 v107, v13, v139
	ds_load_2addr_b64 v[13:16], v21 offset0:79 offset1:80
	v_dual_add_f32 v117, v106, v142 :: v_dual_add_f32 v120, v107, v141
	ds_load_2addr_b64 v[106:109], v21 offset0:81 offset1:82
	v_add_f32_e32 v21, v117, v144
	s_wait_loadcnt_dscnt 0x202
	v_dual_add_f32 v117, v120, v143 :: v_dual_mul_f32 v120, v5, v2
	s_delay_alu instid0(VALU_DEP_1) | instskip(NEXT) | instid1(VALU_DEP_2)
	v_dual_mul_f32 v2, v6, v2 :: v_dual_add_f32 v117, v117, v145
	v_fmac_f32_e32 v120, v6, v1
	s_wait_loadcnt_dscnt 0x101
	v_mul_f32_e32 v6, v14, v10
	s_delay_alu instid0(VALU_DEP_3) | instskip(SKIP_2) | instid1(VALU_DEP_3)
	v_add_f32_e32 v22, v117, v22
	v_mul_f32_e32 v117, v13, v10
	v_fma_f32 v2, v5, v1, -v2
	v_add_f32_e32 v22, v22, v110
	s_delay_alu instid0(VALU_DEP_1) | instskip(SKIP_2) | instid1(VALU_DEP_1)
	v_add_f32_e32 v22, v22, v113
	s_wait_loadcnt_dscnt 0x0
	v_mul_f32_e32 v110, v106, v18
	v_dual_add_f32 v21, v21, v146 :: v_dual_fmac_f32 v110, v107, v17
	s_delay_alu instid0(VALU_DEP_1) | instskip(SKIP_2) | instid1(VALU_DEP_2)
	v_add_f32_e32 v21, v21, v111
	v_mul_f32_e32 v111, v7, v4
	v_mul_f32_e32 v4, v8, v4
	v_fmac_f32_e32 v111, v8, v3
	s_delay_alu instid0(VALU_DEP_2) | instskip(SKIP_3) | instid1(VALU_DEP_3)
	v_fma_f32 v3, v7, v3, -v4
	v_dual_mul_f32 v4, v16, v12 :: v_dual_fmac_f32 v117, v14, v9
	v_add_f32_e32 v21, v21, v112
	v_dual_mul_f32 v112, v108, v20 :: v_dual_add_f32 v5, v22, v114
	v_fma_f32 v4, v15, v11, -v4
	s_delay_alu instid0(VALU_DEP_3) | instskip(NEXT) | instid1(VALU_DEP_3)
	v_add_f32_e32 v21, v21, v115
	v_fmac_f32_e32 v112, v109, v19
	s_delay_alu instid0(VALU_DEP_2) | instskip(NEXT) | instid1(VALU_DEP_1)
	v_add_f32_e32 v1, v21, v116
	v_add_f32_e32 v1, v1, v2
	;; [unrolled: 1-line block ×3, first 2 shown]
	v_mul_f32_e32 v121, v15, v12
	v_fma_f32 v5, v13, v9, -v6
	s_delay_alu instid0(VALU_DEP_3) | instskip(NEXT) | instid1(VALU_DEP_1)
	v_add_f32_e32 v2, v2, v111
	v_dual_fmac_f32 v121, v16, v11 :: v_dual_add_f32 v2, v2, v117
	s_delay_alu instid0(VALU_DEP_1) | instskip(NEXT) | instid1(VALU_DEP_1)
	v_add_f32_e32 v2, v2, v121
	v_add_f32_e32 v2, v2, v110
	s_delay_alu instid0(VALU_DEP_1) | instskip(SKIP_1) | instid1(VALU_DEP_2)
	v_dual_add_f32 v2, v2, v112 :: v_dual_add_f32 v1, v1, v3
	v_mul_f32_e32 v3, v107, v18
	v_dual_sub_f32 v2, v119, v2 :: v_dual_add_f32 v1, v1, v5
	v_mul_f32_e32 v5, v109, v20
	s_delay_alu instid0(VALU_DEP_3) | instskip(NEXT) | instid1(VALU_DEP_3)
	v_fma_f32 v3, v106, v17, -v3
	v_add_f32_e32 v1, v1, v4
	s_delay_alu instid0(VALU_DEP_3) | instskip(NEXT) | instid1(VALU_DEP_2)
	v_fma_f32 v4, v108, v19, -v5
	v_add_f32_e32 v1, v1, v3
	s_delay_alu instid0(VALU_DEP_1) | instskip(NEXT) | instid1(VALU_DEP_1)
	v_add_f32_e32 v1, v1, v4
	v_sub_f32_e32 v1, v118, v1
	scratch_store_b64 off, v[1:2], off offset:48
	v_cmpx_lt_u32_e32 5, v0
	s_cbranch_execz .LBB104_249
; %bb.248:
	scratch_load_b64 v[1:2], off, off offset:40
	v_mov_b32_e32 v3, 0
	s_delay_alu instid0(VALU_DEP_1)
	v_mov_b32_e32 v4, v3
	scratch_store_b64 off, v[3:4], off offset:40
	s_wait_loadcnt 0x0
	ds_store_b64 v23, v[1:2]
.LBB104_249:
	s_wait_alu 0xfffe
	s_or_b32 exec_lo, exec_lo, s0
	s_wait_storecnt_dscnt 0x0
	s_barrier_signal -1
	s_barrier_wait -1
	global_inv scope:SCOPE_SE
	s_clause 0x4
	scratch_load_b128 v[5:8], off, off offset:48
	scratch_load_b128 v[1:4], off, off offset:64
	;; [unrolled: 1-line block ×5, first 2 shown]
	v_mov_b32_e32 v21, 0
	ds_load_b128 v[106:109], v21 offset:384
	ds_load_b128 v[110:113], v21 offset:400
	;; [unrolled: 1-line block ×3, first 2 shown]
	scratch_load_b64 v[118:119], off, off offset:40
	s_mov_b32 s0, exec_lo
	s_wait_loadcnt_dscnt 0x502
	v_mul_f32_e32 v22, v107, v6
	v_dual_mul_f32 v120, v106, v6 :: v_dual_mul_f32 v121, v108, v8
	v_mul_f32_e32 v6, v109, v8
	s_delay_alu instid0(VALU_DEP_3) | instskip(NEXT) | instid1(VALU_DEP_3)
	v_fma_f32 v22, v106, v5, -v22
	v_dual_fmac_f32 v120, v107, v5 :: v_dual_fmac_f32 v121, v109, v7
	s_wait_loadcnt_dscnt 0x401
	v_mul_f32_e32 v107, v110, v2
	v_fma_f32 v106, v108, v7, -v6
	ds_load_b128 v[5:8], v21 offset:432
	s_wait_loadcnt_dscnt 0x301
	v_dual_mul_f32 v108, v112, v4 :: v_dual_mul_f32 v109, v114, v10
	v_dual_mul_f32 v4, v113, v4 :: v_dual_fmac_f32 v107, v111, v1
	v_mul_f32_e32 v10, v115, v10
	s_delay_alu instid0(VALU_DEP_3)
	v_dual_mul_f32 v122, v116, v12 :: v_dual_fmac_f32 v109, v115, v9
	v_mul_f32_e32 v12, v117, v12
	v_mul_f32_e32 v2, v111, v2
	v_fmac_f32_e32 v108, v113, v3
	v_fma_f32 v111, v112, v3, -v4
	v_fma_f32 v112, v114, v9, -v10
	v_fmac_f32_e32 v122, v117, v11
	v_fma_f32 v113, v116, v11, -v12
	ds_load_b128 v[9:12], v21 offset:448
	s_wait_loadcnt_dscnt 0x201
	v_dual_mul_f32 v115, v7, v16 :: v_dual_mul_f32 v114, v5, v14
	v_mul_f32_e32 v14, v6, v14
	v_mul_f32_e32 v16, v8, v16
	s_delay_alu instid0(VALU_DEP_3)
	v_fmac_f32_e32 v115, v8, v15
	v_fma_f32 v110, v110, v1, -v2
	scratch_load_b128 v[1:4], off, off offset:128
	v_fmac_f32_e32 v114, v6, v13
	v_fma_f32 v13, v5, v13, -v14
	v_fma_f32 v14, v7, v15, -v16
	ds_load_b128 v[5:8], v21 offset:464
	s_wait_loadcnt_dscnt 0x201
	v_mul_f32_e32 v15, v9, v18
	v_mul_f32_e32 v16, v10, v18
	;; [unrolled: 1-line block ×3, first 2 shown]
	s_delay_alu instid0(VALU_DEP_3) | instskip(NEXT) | instid1(VALU_DEP_3)
	v_dual_mul_f32 v20, v12, v20 :: v_dual_fmac_f32 v15, v10, v17
	v_fma_f32 v16, v9, v17, -v16
	s_delay_alu instid0(VALU_DEP_3) | instskip(NEXT) | instid1(VALU_DEP_3)
	v_fmac_f32_e32 v18, v12, v19
	v_fma_f32 v17, v11, v19, -v20
	scratch_load_b128 v[9:12], off, off offset:144
	s_wait_loadcnt_dscnt 0x100
	v_mul_f32_e32 v19, v5, v2
	v_mul_f32_e32 v2, v6, v2
	;; [unrolled: 1-line block ×3, first 2 shown]
	s_delay_alu instid0(VALU_DEP_3) | instskip(NEXT) | instid1(VALU_DEP_3)
	v_dual_mul_f32 v4, v8, v4 :: v_dual_fmac_f32 v19, v6, v1
	v_fma_f32 v116, v5, v1, -v2
	s_delay_alu instid0(VALU_DEP_3) | instskip(NEXT) | instid1(VALU_DEP_3)
	v_fmac_f32_e32 v20, v8, v3
	v_fma_f32 v117, v7, v3, -v4
	ds_load_b128 v[1:4], v21 offset:480
	ds_load_b128 v[5:8], v21 offset:496
	s_wait_loadcnt_dscnt 0x1
	v_mul_f32_e32 v123, v1, v10
	v_mul_f32_e32 v10, v2, v10
	s_delay_alu instid0(VALU_DEP_2) | instskip(NEXT) | instid1(VALU_DEP_2)
	v_dual_mul_f32 v124, v3, v12 :: v_dual_fmac_f32 v123, v2, v9
	v_fma_f32 v125, v1, v9, -v10
	v_mul_f32_e32 v1, v4, v12
	s_delay_alu instid0(VALU_DEP_3) | instskip(NEXT) | instid1(VALU_DEP_2)
	v_fmac_f32_e32 v124, v4, v11
	v_fma_f32 v126, v3, v11, -v1
	s_clause 0x1
	scratch_load_b128 v[1:4], off, off offset:160
	scratch_load_b128 v[9:12], off, off offset:176
	s_wait_loadcnt_dscnt 0x100
	v_mul_f32_e32 v127, v5, v2
	v_dual_mul_f32 v2, v6, v2 :: v_dual_mul_f32 v129, v7, v4
	s_delay_alu instid0(VALU_DEP_2) | instskip(NEXT) | instid1(VALU_DEP_2)
	v_fmac_f32_e32 v127, v6, v1
	v_fma_f32 v128, v5, v1, -v2
	v_mul_f32_e32 v1, v8, v4
	s_delay_alu instid0(VALU_DEP_4) | instskip(NEXT) | instid1(VALU_DEP_2)
	v_fmac_f32_e32 v129, v8, v3
	v_fma_f32 v130, v7, v3, -v1
	ds_load_b128 v[1:4], v21 offset:512
	ds_load_b128 v[5:8], v21 offset:528
	s_wait_loadcnt_dscnt 0x1
	v_mul_f32_e32 v131, v1, v10
	v_mul_f32_e32 v133, v3, v12
	s_delay_alu instid0(VALU_DEP_2) | instskip(NEXT) | instid1(VALU_DEP_2)
	v_fmac_f32_e32 v131, v2, v9
	v_dual_mul_f32 v2, v2, v10 :: v_dual_fmac_f32 v133, v4, v11
	s_delay_alu instid0(VALU_DEP_1) | instskip(SKIP_1) | instid1(VALU_DEP_1)
	v_fma_f32 v132, v1, v9, -v2
	v_mul_f32_e32 v1, v4, v12
	v_fma_f32 v134, v3, v11, -v1
	s_clause 0x1
	scratch_load_b128 v[1:4], off, off offset:192
	scratch_load_b128 v[9:12], off, off offset:208
	s_wait_loadcnt_dscnt 0x100
	v_mul_f32_e32 v135, v5, v2
	v_dual_mul_f32 v137, v7, v4 :: v_dual_mul_f32 v2, v6, v2
	s_delay_alu instid0(VALU_DEP_2) | instskip(NEXT) | instid1(VALU_DEP_2)
	v_fmac_f32_e32 v135, v6, v1
	v_fmac_f32_e32 v137, v8, v3
	s_delay_alu instid0(VALU_DEP_3) | instskip(SKIP_1) | instid1(VALU_DEP_1)
	v_fma_f32 v136, v5, v1, -v2
	v_mul_f32_e32 v1, v8, v4
	v_fma_f32 v138, v7, v3, -v1
	ds_load_b128 v[1:4], v21 offset:544
	ds_load_b128 v[5:8], v21 offset:560
	s_wait_loadcnt_dscnt 0x1
	v_mul_f32_e32 v139, v1, v10
	v_mul_f32_e32 v141, v3, v12
	s_delay_alu instid0(VALU_DEP_2) | instskip(NEXT) | instid1(VALU_DEP_2)
	v_fmac_f32_e32 v139, v2, v9
	v_dual_mul_f32 v2, v2, v10 :: v_dual_fmac_f32 v141, v4, v11
	s_delay_alu instid0(VALU_DEP_1) | instskip(SKIP_1) | instid1(VALU_DEP_1)
	v_fma_f32 v140, v1, v9, -v2
	v_mul_f32_e32 v1, v4, v12
	v_fma_f32 v142, v3, v11, -v1
	s_clause 0x1
	scratch_load_b128 v[1:4], off, off offset:224
	scratch_load_b128 v[9:12], off, off offset:240
	s_wait_loadcnt_dscnt 0x100
	v_mul_f32_e32 v143, v5, v2
	v_mul_f32_e32 v2, v6, v2
	s_delay_alu instid0(VALU_DEP_1) | instskip(SKIP_1) | instid1(VALU_DEP_1)
	v_fma_f32 v144, v5, v1, -v2
	v_add_f32_e32 v2, 0, v120
	v_add_f32_e32 v2, v2, v121
	s_delay_alu instid0(VALU_DEP_1) | instskip(NEXT) | instid1(VALU_DEP_1)
	v_add_f32_e32 v2, v2, v107
	v_add_f32_e32 v2, v2, v108
	v_mul_f32_e32 v145, v7, v4
	v_fmac_f32_e32 v143, v6, v1
	s_delay_alu instid0(VALU_DEP_2) | instskip(NEXT) | instid1(VALU_DEP_1)
	v_dual_add_f32 v2, v2, v109 :: v_dual_fmac_f32 v145, v8, v3
	v_dual_add_f32 v2, v2, v122 :: v_dual_mul_f32 v1, v8, v4
	s_delay_alu instid0(VALU_DEP_1) | instskip(NEXT) | instid1(VALU_DEP_2)
	v_add_f32_e32 v2, v2, v114
	v_fma_f32 v146, v7, v3, -v1
	s_delay_alu instid0(VALU_DEP_2) | instskip(NEXT) | instid1(VALU_DEP_1)
	v_dual_add_f32 v1, 0, v22 :: v_dual_add_f32 v2, v2, v115
	v_dual_add_f32 v1, v1, v106 :: v_dual_add_f32 v2, v2, v15
	s_delay_alu instid0(VALU_DEP_1) | instskip(NEXT) | instid1(VALU_DEP_2)
	v_add_f32_e32 v1, v1, v110
	v_add_f32_e32 v5, v2, v18
	s_delay_alu instid0(VALU_DEP_2) | instskip(SKIP_2) | instid1(VALU_DEP_1)
	v_add_f32_e32 v1, v1, v111
	scratch_load_b64 v[110:111], off, off offset:320
	v_add_f32_e32 v1, v1, v112
	v_add_f32_e32 v1, v1, v113
	s_delay_alu instid0(VALU_DEP_1) | instskip(SKIP_1) | instid1(VALU_DEP_2)
	v_add_f32_e32 v1, v1, v13
	v_add_f32_e32 v13, v5, v19
	;; [unrolled: 1-line block ×3, first 2 shown]
	s_delay_alu instid0(VALU_DEP_2) | instskip(NEXT) | instid1(VALU_DEP_2)
	v_add_f32_e32 v13, v13, v20
	v_add_f32_e32 v1, v1, v16
	s_delay_alu instid0(VALU_DEP_2) | instskip(NEXT) | instid1(VALU_DEP_2)
	v_add_f32_e32 v13, v13, v123
	v_add_f32_e32 v1, v1, v17
	;; [unrolled: 3-line block ×3, first 2 shown]
	scratch_load_b128 v[1:4], off, off offset:256
	v_add_f32_e32 v18, v18, v127
	v_add_f32_e32 v14, v6, v117
	ds_load_b128 v[5:8], v21 offset:576
	v_add_f32_e32 v18, v18, v129
	v_add_f32_e32 v14, v14, v125
	s_delay_alu instid0(VALU_DEP_2) | instskip(NEXT) | instid1(VALU_DEP_2)
	v_add_f32_e32 v106, v18, v131
	v_add_f32_e32 v17, v14, v126
	ds_load_b128 v[13:16], v21 offset:592
	v_add_f32_e32 v106, v106, v133
	s_delay_alu instid0(VALU_DEP_1)
	v_add_f32_e32 v106, v106, v135
	s_wait_loadcnt_dscnt 0x201
	v_mul_f32_e32 v22, v5, v10
	v_mul_f32_e32 v10, v6, v10
	;; [unrolled: 1-line block ×4, first 2 shown]
	v_add_f32_e32 v106, v106, v137
	v_fmac_f32_e32 v22, v6, v9
	v_fma_f32 v115, v5, v9, -v10
	v_fmac_f32_e32 v114, v8, v11
	v_fma_f32 v116, v7, v11, -v12
	s_clause 0x1
	scratch_load_b128 v[5:8], off, off offset:272
	scratch_load_b128 v[9:12], off, off offset:288
	s_wait_loadcnt_dscnt 0x200
	v_mul_f32_e32 v120, v15, v4
	v_mul_f32_e32 v4, v16, v4
	v_add_f32_e32 v17, v17, v128
	v_mul_f32_e32 v117, v13, v2
	v_mul_f32_e32 v2, v14, v2
	v_fmac_f32_e32 v120, v16, v3
	v_fma_f32 v122, v15, v3, -v4
	v_add_f32_e32 v17, v17, v130
	s_delay_alu instid0(VALU_DEP_4) | instskip(SKIP_1) | instid1(VALU_DEP_3)
	v_fma_f32 v121, v13, v1, -v2
	v_add_f32_e32 v13, v106, v139
	v_add_f32_e32 v17, v17, v132
	s_delay_alu instid0(VALU_DEP_2) | instskip(NEXT) | instid1(VALU_DEP_2)
	v_add_f32_e32 v106, v13, v141
	v_add_f32_e32 v107, v17, v134
	scratch_load_b128 v[17:20], off, off offset:304
	v_add_f32_e32 v113, v106, v143
	s_delay_alu instid0(VALU_DEP_1) | instskip(NEXT) | instid1(VALU_DEP_1)
	v_dual_add_f32 v107, v107, v136 :: v_dual_add_f32 v124, v113, v145
	v_add_f32_e32 v107, v107, v138
	s_delay_alu instid0(VALU_DEP_1)
	v_dual_add_f32 v22, v124, v22 :: v_dual_add_f32 v107, v107, v140
	v_fmac_f32_e32 v117, v14, v1
	ds_load_b128 v[1:4], v21 offset:608
	v_add_f32_e32 v22, v22, v114
	v_add_f32_e32 v14, v107, v142
	ds_load_b128 v[106:109], v21 offset:640
	v_add_f32_e32 v22, v22, v117
	v_add_f32_e32 v112, v14, v144
	ds_load_b128 v[13:16], v21 offset:624
	v_dual_add_f32 v22, v22, v120 :: v_dual_add_f32 v123, v112, v146
	ds_load_b64 v[112:113], v21 offset:656
	v_add_f32_e32 v115, v123, v115
	s_wait_loadcnt_dscnt 0x203
	v_mul_f32_e32 v123, v1, v6
	v_mul_f32_e32 v6, v2, v6
	;; [unrolled: 1-line block ×3, first 2 shown]
	v_add_f32_e32 v115, v115, v116
	s_delay_alu instid0(VALU_DEP_4) | instskip(NEXT) | instid1(VALU_DEP_4)
	v_dual_mul_f32 v8, v4, v8 :: v_dual_fmac_f32 v123, v2, v5
	v_fma_f32 v1, v1, v5, -v6
	s_delay_alu instid0(VALU_DEP_4)
	v_fmac_f32_e32 v114, v4, v7
	s_wait_loadcnt_dscnt 0x101
	v_dual_mul_f32 v116, v13, v10 :: v_dual_add_f32 v115, v115, v121
	v_fma_f32 v2, v3, v7, -v8
	v_dual_add_f32 v4, v22, v123 :: v_dual_mul_f32 v117, v15, v12
	s_wait_dscnt 0x0
	s_delay_alu instid0(VALU_DEP_3) | instskip(SKIP_1) | instid1(VALU_DEP_2)
	v_dual_mul_f32 v120, v112, v111 :: v_dual_add_f32 v115, v115, v122
	v_dual_mul_f32 v5, v16, v12 :: v_dual_fmac_f32 v116, v14, v9
	v_dual_fmac_f32 v117, v16, v11 :: v_dual_fmac_f32 v120, v113, v110
	s_delay_alu instid0(VALU_DEP_3) | instskip(NEXT) | instid1(VALU_DEP_3)
	v_add_f32_e32 v1, v115, v1
	v_fma_f32 v5, v15, v11, -v5
	s_delay_alu instid0(VALU_DEP_2) | instskip(SKIP_3) | instid1(VALU_DEP_2)
	v_add_f32_e32 v1, v1, v2
	s_wait_loadcnt 0x0
	v_dual_mul_f32 v121, v106, v18 :: v_dual_mul_f32 v122, v108, v20
	v_mul_f32_e32 v3, v14, v10
	v_dual_fmac_f32 v121, v107, v17 :: v_dual_fmac_f32 v122, v109, v19
	s_delay_alu instid0(VALU_DEP_2) | instskip(SKIP_2) | instid1(VALU_DEP_2)
	v_fma_f32 v3, v13, v9, -v3
	v_add_f32_e32 v2, v4, v114
	v_mul_f32_e32 v4, v107, v18
	v_dual_add_f32 v2, v2, v116 :: v_dual_add_f32 v1, v1, v3
	v_mul_f32_e32 v3, v109, v20
	s_delay_alu instid0(VALU_DEP_3) | instskip(NEXT) | instid1(VALU_DEP_3)
	v_fma_f32 v4, v106, v17, -v4
	v_add_f32_e32 v2, v2, v117
	s_delay_alu instid0(VALU_DEP_3) | instskip(NEXT) | instid1(VALU_DEP_2)
	v_fma_f32 v3, v108, v19, -v3
	v_add_f32_e32 v2, v2, v121
	s_delay_alu instid0(VALU_DEP_1) | instskip(NEXT) | instid1(VALU_DEP_1)
	v_dual_add_f32 v1, v1, v5 :: v_dual_add_f32 v2, v2, v122
	v_dual_mul_f32 v5, v113, v111 :: v_dual_add_f32 v2, v2, v120
	s_delay_alu instid0(VALU_DEP_2) | instskip(NEXT) | instid1(VALU_DEP_2)
	v_add_f32_e32 v1, v1, v4
	v_fma_f32 v4, v112, v110, -v5
	s_delay_alu instid0(VALU_DEP_2) | instskip(NEXT) | instid1(VALU_DEP_1)
	v_dual_sub_f32 v2, v119, v2 :: v_dual_add_f32 v1, v1, v3
	v_add_f32_e32 v1, v1, v4
	s_delay_alu instid0(VALU_DEP_1)
	v_sub_f32_e32 v1, v118, v1
	scratch_store_b64 off, v[1:2], off offset:40
	v_cmpx_lt_u32_e32 4, v0
	s_cbranch_execz .LBB104_251
; %bb.250:
	scratch_load_b64 v[1:2], off, off offset:32
	v_mov_b32_e32 v22, v21
	scratch_store_b64 off, v[21:22], off offset:32
	s_wait_loadcnt 0x0
	ds_store_b64 v23, v[1:2]
.LBB104_251:
	s_wait_alu 0xfffe
	s_or_b32 exec_lo, exec_lo, s0
	s_wait_storecnt_dscnt 0x0
	s_barrier_signal -1
	s_barrier_wait -1
	global_inv scope:SCOPE_SE
	s_clause 0x4
	scratch_load_b128 v[5:8], off, off offset:40
	scratch_load_b128 v[1:4], off, off offset:56
	;; [unrolled: 1-line block ×5, first 2 shown]
	ds_load_2addr_b64 v[106:109], v21 offset0:47 offset1:48
	ds_load_2addr_b64 v[110:113], v21 offset0:49 offset1:50
	;; [unrolled: 1-line block ×3, first 2 shown]
	scratch_load_b64 v[118:119], off, off offset:32
	s_mov_b32 s0, exec_lo
	s_wait_loadcnt_dscnt 0x502
	v_dual_mul_f32 v22, v107, v6 :: v_dual_mul_f32 v121, v108, v8
	v_mul_f32_e32 v120, v106, v6
	v_mul_f32_e32 v6, v109, v8
	s_wait_loadcnt_dscnt 0x300
	v_mul_f32_e32 v122, v116, v12
	v_fma_f32 v22, v106, v5, -v22
	v_dual_fmac_f32 v121, v109, v7 :: v_dual_fmac_f32 v120, v107, v5
	v_mul_f32_e32 v109, v114, v10
	v_mul_f32_e32 v107, v110, v2
	v_fma_f32 v106, v108, v7, -v6
	ds_load_2addr_b64 v[5:8], v21 offset0:53 offset1:54
	v_mul_f32_e32 v108, v112, v4
	v_dual_mul_f32 v4, v113, v4 :: v_dual_fmac_f32 v109, v115, v9
	v_mul_f32_e32 v10, v115, v10
	v_mul_f32_e32 v12, v117, v12
	;; [unrolled: 1-line block ×3, first 2 shown]
	v_dual_fmac_f32 v107, v111, v1 :: v_dual_fmac_f32 v108, v113, v3
	v_fma_f32 v111, v112, v3, -v4
	v_fma_f32 v112, v114, v9, -v10
	v_fmac_f32_e32 v122, v117, v11
	v_fma_f32 v113, v116, v11, -v12
	ds_load_2addr_b64 v[9:12], v21 offset0:55 offset1:56
	s_wait_loadcnt_dscnt 0x201
	v_dual_mul_f32 v115, v7, v16 :: v_dual_mul_f32 v114, v5, v14
	s_delay_alu instid0(VALU_DEP_1)
	v_dual_mul_f32 v14, v6, v14 :: v_dual_fmac_f32 v115, v8, v15
	v_fma_f32 v110, v110, v1, -v2
	scratch_load_b128 v[1:4], off, off offset:120
	v_mul_f32_e32 v16, v8, v16
	v_fmac_f32_e32 v114, v6, v13
	v_fma_f32 v13, v5, v13, -v14
	s_delay_alu instid0(VALU_DEP_3)
	v_fma_f32 v14, v7, v15, -v16
	s_wait_loadcnt_dscnt 0x200
	v_mul_f32_e32 v15, v9, v18
	v_mul_f32_e32 v16, v10, v18
	;; [unrolled: 1-line block ×4, first 2 shown]
	ds_load_2addr_b64 v[5:8], v21 offset0:57 offset1:58
	v_fmac_f32_e32 v15, v10, v17
	v_fma_f32 v16, v9, v17, -v16
	v_fmac_f32_e32 v18, v12, v19
	v_fma_f32 v17, v11, v19, -v20
	scratch_load_b128 v[9:12], off, off offset:136
	s_wait_loadcnt_dscnt 0x100
	v_mul_f32_e32 v19, v5, v2
	v_mul_f32_e32 v2, v6, v2
	;; [unrolled: 1-line block ×3, first 2 shown]
	s_delay_alu instid0(VALU_DEP_3) | instskip(NEXT) | instid1(VALU_DEP_3)
	v_dual_mul_f32 v4, v8, v4 :: v_dual_fmac_f32 v19, v6, v1
	v_fma_f32 v116, v5, v1, -v2
	s_delay_alu instid0(VALU_DEP_3) | instskip(NEXT) | instid1(VALU_DEP_3)
	v_fmac_f32_e32 v20, v8, v3
	v_fma_f32 v117, v7, v3, -v4
	ds_load_2addr_b64 v[1:4], v21 offset0:59 offset1:60
	ds_load_2addr_b64 v[5:8], v21 offset0:61 offset1:62
	s_wait_loadcnt_dscnt 0x1
	v_mul_f32_e32 v123, v1, v10
	v_mul_f32_e32 v10, v2, v10
	s_delay_alu instid0(VALU_DEP_2) | instskip(NEXT) | instid1(VALU_DEP_2)
	v_dual_mul_f32 v124, v3, v12 :: v_dual_fmac_f32 v123, v2, v9
	v_fma_f32 v125, v1, v9, -v10
	v_mul_f32_e32 v1, v4, v12
	s_delay_alu instid0(VALU_DEP_3) | instskip(NEXT) | instid1(VALU_DEP_2)
	v_fmac_f32_e32 v124, v4, v11
	v_fma_f32 v126, v3, v11, -v1
	s_clause 0x1
	scratch_load_b128 v[1:4], off, off offset:152
	scratch_load_b128 v[9:12], off, off offset:168
	s_wait_loadcnt_dscnt 0x100
	v_mul_f32_e32 v127, v5, v2
	v_dual_mul_f32 v2, v6, v2 :: v_dual_mul_f32 v129, v7, v4
	s_delay_alu instid0(VALU_DEP_2) | instskip(NEXT) | instid1(VALU_DEP_2)
	v_fmac_f32_e32 v127, v6, v1
	v_fma_f32 v128, v5, v1, -v2
	v_mul_f32_e32 v1, v8, v4
	s_delay_alu instid0(VALU_DEP_4) | instskip(NEXT) | instid1(VALU_DEP_2)
	v_fmac_f32_e32 v129, v8, v3
	v_fma_f32 v130, v7, v3, -v1
	ds_load_2addr_b64 v[1:4], v21 offset0:63 offset1:64
	ds_load_2addr_b64 v[5:8], v21 offset0:65 offset1:66
	s_wait_loadcnt_dscnt 0x1
	v_mul_f32_e32 v131, v1, v10
	v_mul_f32_e32 v133, v3, v12
	s_delay_alu instid0(VALU_DEP_2) | instskip(NEXT) | instid1(VALU_DEP_2)
	v_fmac_f32_e32 v131, v2, v9
	v_dual_mul_f32 v2, v2, v10 :: v_dual_fmac_f32 v133, v4, v11
	s_delay_alu instid0(VALU_DEP_1) | instskip(SKIP_1) | instid1(VALU_DEP_1)
	v_fma_f32 v132, v1, v9, -v2
	v_mul_f32_e32 v1, v4, v12
	v_fma_f32 v134, v3, v11, -v1
	s_clause 0x1
	scratch_load_b128 v[1:4], off, off offset:184
	scratch_load_b128 v[9:12], off, off offset:200
	s_wait_loadcnt_dscnt 0x100
	v_mul_f32_e32 v135, v5, v2
	v_dual_mul_f32 v2, v6, v2 :: v_dual_mul_f32 v137, v7, v4
	s_delay_alu instid0(VALU_DEP_2) | instskip(NEXT) | instid1(VALU_DEP_2)
	v_fmac_f32_e32 v135, v6, v1
	v_fma_f32 v136, v5, v1, -v2
	v_mul_f32_e32 v1, v8, v4
	s_delay_alu instid0(VALU_DEP_4) | instskip(NEXT) | instid1(VALU_DEP_2)
	v_fmac_f32_e32 v137, v8, v3
	v_fma_f32 v138, v7, v3, -v1
	ds_load_2addr_b64 v[1:4], v21 offset0:67 offset1:68
	ds_load_2addr_b64 v[5:8], v21 offset0:69 offset1:70
	s_wait_loadcnt_dscnt 0x1
	v_mul_f32_e32 v139, v1, v10
	v_mul_f32_e32 v141, v3, v12
	s_delay_alu instid0(VALU_DEP_2) | instskip(NEXT) | instid1(VALU_DEP_2)
	v_fmac_f32_e32 v139, v2, v9
	v_dual_mul_f32 v2, v2, v10 :: v_dual_fmac_f32 v141, v4, v11
	s_delay_alu instid0(VALU_DEP_1) | instskip(SKIP_1) | instid1(VALU_DEP_1)
	v_fma_f32 v140, v1, v9, -v2
	v_mul_f32_e32 v1, v4, v12
	;; [unrolled: 25-line block ×3, first 2 shown]
	v_fma_f32 v150, v3, v11, -v1
	s_clause 0x1
	scratch_load_b128 v[1:4], off, off offset:248
	scratch_load_b128 v[9:12], off, off offset:264
	s_wait_loadcnt_dscnt 0x100
	v_mul_f32_e32 v151, v5, v2
	v_mul_f32_e32 v2, v6, v2
	s_delay_alu instid0(VALU_DEP_1) | instskip(SKIP_1) | instid1(VALU_DEP_1)
	v_fma_f32 v152, v5, v1, -v2
	v_add_f32_e32 v2, 0, v120
	v_add_f32_e32 v2, v2, v121
	s_delay_alu instid0(VALU_DEP_1) | instskip(NEXT) | instid1(VALU_DEP_1)
	v_add_f32_e32 v2, v2, v107
	v_add_f32_e32 v2, v2, v108
	s_delay_alu instid0(VALU_DEP_1) | instskip(NEXT) | instid1(VALU_DEP_1)
	;; [unrolled: 3-line block ×3, first 2 shown]
	v_add_f32_e32 v2, v2, v114
	v_add_f32_e32 v2, v2, v115
	s_delay_alu instid0(VALU_DEP_1) | instskip(SKIP_1) | instid1(VALU_DEP_2)
	v_add_f32_e32 v2, v2, v15
	v_fmac_f32_e32 v151, v6, v1
	v_dual_mul_f32 v153, v7, v4 :: v_dual_add_f32 v2, v2, v18
	s_delay_alu instid0(VALU_DEP_1) | instskip(NEXT) | instid1(VALU_DEP_1)
	v_dual_mul_f32 v1, v8, v4 :: v_dual_add_f32 v2, v2, v19
	v_fma_f32 v154, v7, v3, -v1
	v_add_f32_e32 v1, 0, v22
	s_delay_alu instid0(VALU_DEP_3) | instskip(NEXT) | instid1(VALU_DEP_2)
	v_dual_fmac_f32 v153, v8, v3 :: v_dual_add_f32 v2, v2, v20
	v_add_f32_e32 v1, v1, v106
	s_delay_alu instid0(VALU_DEP_2) | instskip(NEXT) | instid1(VALU_DEP_2)
	v_add_f32_e32 v5, v2, v123
	v_add_f32_e32 v1, v1, v110
	s_delay_alu instid0(VALU_DEP_2) | instskip(NEXT) | instid1(VALU_DEP_2)
	v_add_f32_e32 v5, v5, v124
	;; [unrolled: 3-line block ×3, first 2 shown]
	v_add_f32_e32 v1, v1, v112
	s_delay_alu instid0(VALU_DEP_1) | instskip(NEXT) | instid1(VALU_DEP_1)
	v_add_f32_e32 v1, v1, v113
	v_add_f32_e32 v1, v1, v13
	s_delay_alu instid0(VALU_DEP_1) | instskip(SKIP_1) | instid1(VALU_DEP_1)
	v_add_f32_e32 v1, v1, v14
	v_add_f32_e32 v14, v5, v129
	;; [unrolled: 1-line block ×3, first 2 shown]
	s_delay_alu instid0(VALU_DEP_1) | instskip(NEXT) | instid1(VALU_DEP_1)
	v_dual_add_f32 v14, v14, v133 :: v_dual_add_f32 v1, v1, v16
	v_add_f32_e32 v1, v1, v17
	s_delay_alu instid0(VALU_DEP_1) | instskip(NEXT) | instid1(VALU_DEP_1)
	v_add_f32_e32 v1, v1, v116
	v_add_f32_e32 v1, v1, v117
	s_delay_alu instid0(VALU_DEP_1) | instskip(NEXT) | instid1(VALU_DEP_1)
	v_add_f32_e32 v1, v1, v125
	v_add_f32_e32 v6, v1, v126
	ds_load_2addr_b64 v[1:4], v21 offset0:75 offset1:76
	v_add_f32_e32 v6, v6, v128
	s_delay_alu instid0(VALU_DEP_1)
	v_add_f32_e32 v13, v6, v130
	ds_load_2addr_b64 v[5:8], v21 offset0:77 offset1:78
	s_wait_loadcnt_dscnt 0x1
	v_mul_f32_e32 v22, v1, v10
	v_mul_f32_e32 v110, v3, v12
	;; [unrolled: 1-line block ×4, first 2 shown]
	s_delay_alu instid0(VALU_DEP_4) | instskip(NEXT) | instid1(VALU_DEP_4)
	v_fmac_f32_e32 v22, v2, v9
	v_fmac_f32_e32 v110, v4, v11
	s_delay_alu instid0(VALU_DEP_4) | instskip(NEXT) | instid1(VALU_DEP_4)
	v_fma_f32 v111, v1, v9, -v10
	v_fma_f32 v112, v3, v11, -v12
	s_clause 0x1
	scratch_load_b128 v[1:4], off, off offset:280
	scratch_load_b128 v[9:12], off, off offset:296
	v_add_f32_e32 v13, v13, v132
	v_add_f32_e32 v17, v14, v135
	s_delay_alu instid0(VALU_DEP_1) | instskip(SKIP_3) | instid1(VALU_DEP_2)
	v_add_f32_e32 v17, v17, v137
	s_wait_loadcnt_dscnt 0x100
	v_mul_f32_e32 v115, v7, v4
	v_mul_f32_e32 v4, v8, v4
	v_fmac_f32_e32 v115, v8, v3
	v_add_f32_e32 v13, v13, v134
	s_delay_alu instid0(VALU_DEP_3) | instskip(NEXT) | instid1(VALU_DEP_2)
	v_fma_f32 v3, v7, v3, -v4
	v_add_f32_e32 v13, v13, v136
	s_delay_alu instid0(VALU_DEP_1) | instskip(SKIP_2) | instid1(VALU_DEP_1)
	v_add_f32_e32 v18, v13, v138
	scratch_load_b128 v[13:16], off, off offset:312
	v_dual_add_f32 v17, v17, v139 :: v_dual_add_f32 v18, v18, v140
	v_dual_add_f32 v17, v17, v141 :: v_dual_add_f32 v18, v18, v142
	s_delay_alu instid0(VALU_DEP_1)
	v_dual_add_f32 v107, v17, v143 :: v_dual_add_f32 v106, v18, v144
	ds_load_2addr_b64 v[17:20], v21 offset0:79 offset1:80
	v_dual_add_f32 v114, v107, v145 :: v_dual_add_f32 v113, v106, v146
	ds_load_2addr_b64 v[106:109], v21 offset0:81 offset1:82
	v_add_f32_e32 v21, v113, v148
	v_dual_add_f32 v113, v114, v147 :: v_dual_mul_f32 v114, v5, v2
	v_mul_f32_e32 v2, v6, v2
	s_delay_alu instid0(VALU_DEP_2) | instskip(NEXT) | instid1(VALU_DEP_2)
	v_dual_add_f32 v21, v21, v150 :: v_dual_fmac_f32 v114, v6, v1
	v_fma_f32 v2, v5, v1, -v2
	s_delay_alu instid0(VALU_DEP_2) | instskip(SKIP_3) | instid1(VALU_DEP_3)
	v_add_f32_e32 v21, v21, v152
	s_wait_loadcnt_dscnt 0x101
	v_mul_f32_e32 v116, v17, v10
	v_dual_add_f32 v113, v113, v149 :: v_dual_mul_f32 v6, v18, v10
	v_dual_mul_f32 v4, v20, v12 :: v_dual_add_f32 v21, v21, v154
	s_delay_alu instid0(VALU_DEP_2) | instskip(NEXT) | instid1(VALU_DEP_2)
	v_dual_fmac_f32 v116, v18, v9 :: v_dual_add_f32 v113, v113, v151
	v_fma_f32 v4, v19, v11, -v4
	s_delay_alu instid0(VALU_DEP_3) | instskip(NEXT) | instid1(VALU_DEP_3)
	v_add_f32_e32 v21, v21, v111
	v_add_f32_e32 v113, v113, v153
	s_delay_alu instid0(VALU_DEP_2) | instskip(NEXT) | instid1(VALU_DEP_2)
	v_add_f32_e32 v1, v21, v112
	v_add_f32_e32 v22, v113, v22
	s_delay_alu instid0(VALU_DEP_2) | instskip(NEXT) | instid1(VALU_DEP_2)
	v_add_f32_e32 v1, v1, v2
	v_add_f32_e32 v5, v22, v110
	v_mul_f32_e32 v117, v19, v12
	s_delay_alu instid0(VALU_DEP_3) | instskip(NEXT) | instid1(VALU_DEP_3)
	v_add_f32_e32 v1, v1, v3
	v_add_f32_e32 v2, v5, v114
	v_fma_f32 v5, v17, v9, -v6
	s_delay_alu instid0(VALU_DEP_4) | instskip(NEXT) | instid1(VALU_DEP_2)
	v_fmac_f32_e32 v117, v20, v11
	v_dual_add_f32 v2, v2, v115 :: v_dual_add_f32 v1, v1, v5
	s_delay_alu instid0(VALU_DEP_1) | instskip(NEXT) | instid1(VALU_DEP_1)
	v_add_f32_e32 v2, v2, v116
	v_dual_add_f32 v1, v1, v4 :: v_dual_add_f32 v2, v2, v117
	s_wait_loadcnt_dscnt 0x0
	v_mul_f32_e32 v120, v106, v14
	v_mul_f32_e32 v3, v107, v14
	;; [unrolled: 1-line block ×3, first 2 shown]
	s_delay_alu instid0(VALU_DEP_3) | instskip(NEXT) | instid1(VALU_DEP_3)
	v_dual_mul_f32 v5, v109, v16 :: v_dual_fmac_f32 v120, v107, v13
	v_fma_f32 v3, v106, v13, -v3
	s_delay_alu instid0(VALU_DEP_3) | instskip(NEXT) | instid1(VALU_DEP_3)
	v_fmac_f32_e32 v111, v109, v15
	v_fma_f32 v4, v108, v15, -v5
	s_delay_alu instid0(VALU_DEP_3) | instskip(NEXT) | instid1(VALU_DEP_1)
	v_dual_add_f32 v2, v2, v120 :: v_dual_add_f32 v1, v1, v3
	v_dual_add_f32 v2, v2, v111 :: v_dual_add_f32 v1, v1, v4
	s_delay_alu instid0(VALU_DEP_1)
	v_dual_sub_f32 v2, v119, v2 :: v_dual_sub_f32 v1, v118, v1
	scratch_store_b64 off, v[1:2], off offset:32
	v_cmpx_lt_u32_e32 3, v0
	s_cbranch_execz .LBB104_253
; %bb.252:
	scratch_load_b64 v[1:2], off, off offset:24
	v_mov_b32_e32 v3, 0
	s_delay_alu instid0(VALU_DEP_1)
	v_mov_b32_e32 v4, v3
	scratch_store_b64 off, v[3:4], off offset:24
	s_wait_loadcnt 0x0
	ds_store_b64 v23, v[1:2]
.LBB104_253:
	s_wait_alu 0xfffe
	s_or_b32 exec_lo, exec_lo, s0
	s_wait_storecnt_dscnt 0x0
	s_barrier_signal -1
	s_barrier_wait -1
	global_inv scope:SCOPE_SE
	s_clause 0x4
	scratch_load_b128 v[5:8], off, off offset:32
	scratch_load_b128 v[1:4], off, off offset:48
	;; [unrolled: 1-line block ×5, first 2 shown]
	v_mov_b32_e32 v21, 0
	ds_load_b128 v[106:109], v21 offset:368
	ds_load_b128 v[110:113], v21 offset:384
	;; [unrolled: 1-line block ×3, first 2 shown]
	scratch_load_b64 v[118:119], off, off offset:24
	s_mov_b32 s0, exec_lo
	s_wait_loadcnt_dscnt 0x502
	v_mul_f32_e32 v22, v107, v6
	v_dual_mul_f32 v120, v106, v6 :: v_dual_mul_f32 v121, v108, v8
	v_mul_f32_e32 v6, v109, v8
	s_delay_alu instid0(VALU_DEP_3) | instskip(NEXT) | instid1(VALU_DEP_3)
	v_fma_f32 v22, v106, v5, -v22
	v_dual_fmac_f32 v120, v107, v5 :: v_dual_fmac_f32 v121, v109, v7
	s_wait_loadcnt_dscnt 0x401
	v_mul_f32_e32 v107, v110, v2
	v_fma_f32 v106, v108, v7, -v6
	ds_load_b128 v[5:8], v21 offset:416
	s_wait_loadcnt_dscnt 0x301
	v_dual_mul_f32 v108, v112, v4 :: v_dual_mul_f32 v109, v114, v10
	v_dual_mul_f32 v4, v113, v4 :: v_dual_fmac_f32 v107, v111, v1
	v_mul_f32_e32 v10, v115, v10
	s_delay_alu instid0(VALU_DEP_3)
	v_dual_mul_f32 v122, v116, v12 :: v_dual_fmac_f32 v109, v115, v9
	v_mul_f32_e32 v12, v117, v12
	v_mul_f32_e32 v2, v111, v2
	v_fmac_f32_e32 v108, v113, v3
	v_fma_f32 v111, v112, v3, -v4
	v_fma_f32 v112, v114, v9, -v10
	v_fmac_f32_e32 v122, v117, v11
	v_fma_f32 v113, v116, v11, -v12
	ds_load_b128 v[9:12], v21 offset:432
	s_wait_loadcnt_dscnt 0x201
	v_dual_mul_f32 v115, v7, v16 :: v_dual_mul_f32 v114, v5, v14
	v_mul_f32_e32 v14, v6, v14
	v_mul_f32_e32 v16, v8, v16
	s_delay_alu instid0(VALU_DEP_3)
	v_fmac_f32_e32 v115, v8, v15
	v_fma_f32 v110, v110, v1, -v2
	scratch_load_b128 v[1:4], off, off offset:112
	v_fmac_f32_e32 v114, v6, v13
	v_fma_f32 v13, v5, v13, -v14
	v_fma_f32 v14, v7, v15, -v16
	ds_load_b128 v[5:8], v21 offset:448
	s_wait_loadcnt_dscnt 0x201
	v_mul_f32_e32 v15, v9, v18
	v_mul_f32_e32 v16, v10, v18
	;; [unrolled: 1-line block ×3, first 2 shown]
	s_delay_alu instid0(VALU_DEP_3) | instskip(NEXT) | instid1(VALU_DEP_3)
	v_dual_mul_f32 v20, v12, v20 :: v_dual_fmac_f32 v15, v10, v17
	v_fma_f32 v16, v9, v17, -v16
	s_delay_alu instid0(VALU_DEP_3) | instskip(NEXT) | instid1(VALU_DEP_3)
	v_fmac_f32_e32 v18, v12, v19
	v_fma_f32 v17, v11, v19, -v20
	scratch_load_b128 v[9:12], off, off offset:128
	s_wait_loadcnt_dscnt 0x100
	v_mul_f32_e32 v19, v5, v2
	v_mul_f32_e32 v2, v6, v2
	v_mul_f32_e32 v20, v7, v4
	s_delay_alu instid0(VALU_DEP_3) | instskip(NEXT) | instid1(VALU_DEP_3)
	v_dual_mul_f32 v4, v8, v4 :: v_dual_fmac_f32 v19, v6, v1
	v_fma_f32 v116, v5, v1, -v2
	s_delay_alu instid0(VALU_DEP_3) | instskip(NEXT) | instid1(VALU_DEP_3)
	v_fmac_f32_e32 v20, v8, v3
	v_fma_f32 v117, v7, v3, -v4
	ds_load_b128 v[1:4], v21 offset:464
	ds_load_b128 v[5:8], v21 offset:480
	s_wait_loadcnt_dscnt 0x1
	v_mul_f32_e32 v123, v1, v10
	v_mul_f32_e32 v10, v2, v10
	s_delay_alu instid0(VALU_DEP_2) | instskip(NEXT) | instid1(VALU_DEP_2)
	v_dual_mul_f32 v124, v3, v12 :: v_dual_fmac_f32 v123, v2, v9
	v_fma_f32 v125, v1, v9, -v10
	v_mul_f32_e32 v1, v4, v12
	s_delay_alu instid0(VALU_DEP_3) | instskip(NEXT) | instid1(VALU_DEP_2)
	v_fmac_f32_e32 v124, v4, v11
	v_fma_f32 v126, v3, v11, -v1
	s_clause 0x1
	scratch_load_b128 v[1:4], off, off offset:144
	scratch_load_b128 v[9:12], off, off offset:160
	s_wait_loadcnt_dscnt 0x100
	v_mul_f32_e32 v127, v5, v2
	v_dual_mul_f32 v2, v6, v2 :: v_dual_mul_f32 v129, v7, v4
	s_delay_alu instid0(VALU_DEP_2) | instskip(NEXT) | instid1(VALU_DEP_2)
	v_fmac_f32_e32 v127, v6, v1
	v_fma_f32 v128, v5, v1, -v2
	v_mul_f32_e32 v1, v8, v4
	s_delay_alu instid0(VALU_DEP_4) | instskip(NEXT) | instid1(VALU_DEP_2)
	v_fmac_f32_e32 v129, v8, v3
	v_fma_f32 v130, v7, v3, -v1
	ds_load_b128 v[1:4], v21 offset:496
	ds_load_b128 v[5:8], v21 offset:512
	s_wait_loadcnt_dscnt 0x1
	v_mul_f32_e32 v131, v1, v10
	v_mul_f32_e32 v133, v3, v12
	s_delay_alu instid0(VALU_DEP_2) | instskip(NEXT) | instid1(VALU_DEP_2)
	v_fmac_f32_e32 v131, v2, v9
	v_dual_mul_f32 v2, v2, v10 :: v_dual_fmac_f32 v133, v4, v11
	s_delay_alu instid0(VALU_DEP_1) | instskip(SKIP_1) | instid1(VALU_DEP_1)
	v_fma_f32 v132, v1, v9, -v2
	v_mul_f32_e32 v1, v4, v12
	v_fma_f32 v134, v3, v11, -v1
	s_clause 0x1
	scratch_load_b128 v[1:4], off, off offset:176
	scratch_load_b128 v[9:12], off, off offset:192
	s_wait_loadcnt_dscnt 0x100
	v_mul_f32_e32 v135, v5, v2
	v_dual_mul_f32 v137, v7, v4 :: v_dual_mul_f32 v2, v6, v2
	s_delay_alu instid0(VALU_DEP_2) | instskip(NEXT) | instid1(VALU_DEP_2)
	v_fmac_f32_e32 v135, v6, v1
	v_fmac_f32_e32 v137, v8, v3
	s_delay_alu instid0(VALU_DEP_3) | instskip(SKIP_1) | instid1(VALU_DEP_1)
	v_fma_f32 v136, v5, v1, -v2
	v_mul_f32_e32 v1, v8, v4
	v_fma_f32 v138, v7, v3, -v1
	ds_load_b128 v[1:4], v21 offset:528
	ds_load_b128 v[5:8], v21 offset:544
	s_wait_loadcnt_dscnt 0x1
	v_mul_f32_e32 v139, v1, v10
	v_mul_f32_e32 v141, v3, v12
	s_delay_alu instid0(VALU_DEP_2) | instskip(NEXT) | instid1(VALU_DEP_2)
	v_fmac_f32_e32 v139, v2, v9
	v_dual_mul_f32 v2, v2, v10 :: v_dual_fmac_f32 v141, v4, v11
	s_delay_alu instid0(VALU_DEP_1) | instskip(SKIP_1) | instid1(VALU_DEP_1)
	v_fma_f32 v140, v1, v9, -v2
	v_mul_f32_e32 v1, v4, v12
	v_fma_f32 v142, v3, v11, -v1
	s_clause 0x1
	scratch_load_b128 v[1:4], off, off offset:208
	scratch_load_b128 v[9:12], off, off offset:224
	s_wait_loadcnt_dscnt 0x100
	v_mul_f32_e32 v143, v5, v2
	v_dual_mul_f32 v2, v6, v2 :: v_dual_mul_f32 v145, v7, v4
	s_delay_alu instid0(VALU_DEP_2) | instskip(NEXT) | instid1(VALU_DEP_2)
	v_fmac_f32_e32 v143, v6, v1
	v_fma_f32 v144, v5, v1, -v2
	v_mul_f32_e32 v1, v8, v4
	s_delay_alu instid0(VALU_DEP_4) | instskip(NEXT) | instid1(VALU_DEP_2)
	v_fmac_f32_e32 v145, v8, v3
	v_fma_f32 v146, v7, v3, -v1
	ds_load_b128 v[1:4], v21 offset:560
	ds_load_b128 v[5:8], v21 offset:576
	s_wait_loadcnt_dscnt 0x1
	v_mul_f32_e32 v147, v1, v10
	v_mul_f32_e32 v149, v3, v12
	s_delay_alu instid0(VALU_DEP_2) | instskip(NEXT) | instid1(VALU_DEP_2)
	v_fmac_f32_e32 v147, v2, v9
	v_dual_mul_f32 v2, v2, v10 :: v_dual_fmac_f32 v149, v4, v11
	s_delay_alu instid0(VALU_DEP_1) | instskip(SKIP_1) | instid1(VALU_DEP_1)
	v_fma_f32 v148, v1, v9, -v2
	v_mul_f32_e32 v1, v4, v12
	v_fma_f32 v150, v3, v11, -v1
	s_clause 0x1
	scratch_load_b128 v[1:4], off, off offset:240
	scratch_load_b128 v[9:12], off, off offset:256
	s_wait_loadcnt_dscnt 0x100
	v_mul_f32_e32 v151, v5, v2
	v_mul_f32_e32 v2, v6, v2
	s_delay_alu instid0(VALU_DEP_1) | instskip(SKIP_1) | instid1(VALU_DEP_1)
	v_fma_f32 v152, v5, v1, -v2
	v_add_f32_e32 v2, 0, v120
	v_add_f32_e32 v2, v2, v121
	s_delay_alu instid0(VALU_DEP_1) | instskip(NEXT) | instid1(VALU_DEP_1)
	v_add_f32_e32 v2, v2, v107
	v_add_f32_e32 v2, v2, v108
	s_delay_alu instid0(VALU_DEP_1) | instskip(NEXT) | instid1(VALU_DEP_1)
	;; [unrolled: 3-line block ×4, first 2 shown]
	v_dual_add_f32 v2, v2, v15 :: v_dual_mul_f32 v153, v7, v4
	v_add_f32_e32 v2, v2, v18
	s_delay_alu instid0(VALU_DEP_1) | instskip(NEXT) | instid1(VALU_DEP_3)
	v_add_f32_e32 v2, v2, v19
	v_fmac_f32_e32 v153, v8, v3
	v_fmac_f32_e32 v151, v6, v1
	s_delay_alu instid0(VALU_DEP_3) | instskip(NEXT) | instid1(VALU_DEP_1)
	v_add_f32_e32 v2, v2, v20
	v_add_f32_e32 v5, v2, v123
	s_delay_alu instid0(VALU_DEP_1) | instskip(NEXT) | instid1(VALU_DEP_1)
	v_add_f32_e32 v5, v5, v124
	v_add_f32_e32 v5, v5, v127
	v_mul_f32_e32 v1, v8, v4
	s_delay_alu instid0(VALU_DEP_1) | instskip(SKIP_1) | instid1(VALU_DEP_1)
	v_fma_f32 v154, v7, v3, -v1
	v_add_f32_e32 v1, 0, v22
	v_add_f32_e32 v1, v1, v106
	s_delay_alu instid0(VALU_DEP_1) | instskip(NEXT) | instid1(VALU_DEP_1)
	v_add_f32_e32 v1, v1, v110
	v_add_f32_e32 v1, v1, v111
	scratch_load_b64 v[110:111], off, off offset:320
	v_add_f32_e32 v1, v1, v112
	s_delay_alu instid0(VALU_DEP_1) | instskip(NEXT) | instid1(VALU_DEP_1)
	v_add_f32_e32 v1, v1, v113
	v_add_f32_e32 v1, v1, v13
	s_delay_alu instid0(VALU_DEP_1) | instskip(SKIP_1) | instid1(VALU_DEP_1)
	v_add_f32_e32 v1, v1, v14
	v_add_f32_e32 v14, v5, v129
	;; [unrolled: 1-line block ×3, first 2 shown]
	s_delay_alu instid0(VALU_DEP_1) | instskip(NEXT) | instid1(VALU_DEP_1)
	v_dual_add_f32 v14, v14, v133 :: v_dual_add_f32 v1, v1, v16
	v_add_f32_e32 v1, v1, v17
	s_delay_alu instid0(VALU_DEP_2) | instskip(NEXT) | instid1(VALU_DEP_2)
	v_add_f32_e32 v17, v14, v135
	v_add_f32_e32 v1, v1, v116
	s_delay_alu instid0(VALU_DEP_1) | instskip(NEXT) | instid1(VALU_DEP_1)
	v_add_f32_e32 v1, v1, v117
	v_add_f32_e32 v1, v1, v125
	s_delay_alu instid0(VALU_DEP_1) | instskip(SKIP_2) | instid1(VALU_DEP_1)
	v_add_f32_e32 v6, v1, v126
	ds_load_b128 v[1:4], v21 offset:592
	v_add_f32_e32 v6, v6, v128
	v_add_f32_e32 v13, v6, v130
	ds_load_b128 v[5:8], v21 offset:608
	s_wait_loadcnt_dscnt 0x101
	v_mul_f32_e32 v22, v1, v10
	v_mul_f32_e32 v10, v2, v10
	;; [unrolled: 1-line block ×4, first 2 shown]
	s_delay_alu instid0(VALU_DEP_4) | instskip(NEXT) | instid1(VALU_DEP_4)
	v_fmac_f32_e32 v22, v2, v9
	v_fma_f32 v115, v1, v9, -v10
	s_delay_alu instid0(VALU_DEP_4) | instskip(NEXT) | instid1(VALU_DEP_4)
	v_fmac_f32_e32 v114, v4, v11
	v_fma_f32 v116, v3, v11, -v12
	s_clause 0x1
	scratch_load_b128 v[1:4], off, off offset:272
	scratch_load_b128 v[9:12], off, off offset:288
	v_add_f32_e32 v17, v17, v137
	s_delay_alu instid0(VALU_DEP_1) | instskip(SKIP_1) | instid1(VALU_DEP_1)
	v_add_f32_e32 v17, v17, v139
	s_wait_loadcnt_dscnt 0x100
	v_dual_add_f32 v17, v17, v141 :: v_dual_mul_f32 v122, v7, v4
	v_mul_f32_e32 v121, v5, v2
	v_mul_f32_e32 v2, v6, v2
	;; [unrolled: 1-line block ×3, first 2 shown]
	s_delay_alu instid0(VALU_DEP_3) | instskip(NEXT) | instid1(VALU_DEP_3)
	v_dual_fmac_f32 v122, v8, v3 :: v_dual_fmac_f32 v121, v6, v1
	v_fma_f32 v2, v5, v1, -v2
	v_add_f32_e32 v17, v17, v143
	s_delay_alu instid0(VALU_DEP_4) | instskip(NEXT) | instid1(VALU_DEP_2)
	v_fma_f32 v1, v7, v3, -v4
	v_add_f32_e32 v106, v17, v145
	s_delay_alu instid0(VALU_DEP_1) | instskip(SKIP_2) | instid1(VALU_DEP_1)
	v_add_f32_e32 v113, v106, v147
	ds_load_b128 v[106:109], v21 offset:640
	v_add_f32_e32 v120, v113, v149
	v_add_f32_e32 v120, v120, v151
	s_delay_alu instid0(VALU_DEP_1) | instskip(NEXT) | instid1(VALU_DEP_1)
	v_dual_add_f32 v120, v120, v153 :: v_dual_add_f32 v13, v13, v132
	v_add_f32_e32 v22, v120, v22
	s_delay_alu instid0(VALU_DEP_2) | instskip(NEXT) | instid1(VALU_DEP_1)
	v_add_f32_e32 v13, v13, v134
	v_dual_add_f32 v22, v22, v114 :: v_dual_add_f32 v13, v13, v136
	s_delay_alu instid0(VALU_DEP_1) | instskip(SKIP_2) | instid1(VALU_DEP_1)
	v_add_f32_e32 v18, v13, v138
	scratch_load_b128 v[13:16], off, off offset:304
	v_add_f32_e32 v18, v18, v140
	v_add_f32_e32 v18, v18, v142
	s_delay_alu instid0(VALU_DEP_1) | instskip(NEXT) | instid1(VALU_DEP_1)
	v_add_f32_e32 v18, v18, v144
	v_add_f32_e32 v18, v18, v146
	s_delay_alu instid0(VALU_DEP_1)
	v_add_f32_e32 v112, v18, v148
	ds_load_b128 v[17:20], v21 offset:624
	v_add_f32_e32 v117, v112, v150
	ds_load_b64 v[112:113], v21 offset:656
	s_wait_loadcnt_dscnt 0x101
	v_dual_mul_f32 v120, v19, v12 :: v_dual_mul_f32 v3, v18, v10
	s_wait_dscnt 0x0
	v_mul_f32_e32 v114, v112, v111
	s_delay_alu instid0(VALU_DEP_2) | instskip(NEXT) | instid1(VALU_DEP_3)
	v_fma_f32 v3, v17, v9, -v3
	v_fmac_f32_e32 v120, v20, v11
	s_delay_alu instid0(VALU_DEP_3) | instskip(SKIP_1) | instid1(VALU_DEP_1)
	v_fmac_f32_e32 v114, v113, v110
	v_dual_add_f32 v4, v22, v121 :: v_dual_add_f32 v117, v117, v152
	v_add_f32_e32 v117, v117, v154
	s_delay_alu instid0(VALU_DEP_1) | instskip(SKIP_1) | instid1(VALU_DEP_2)
	v_add_f32_e32 v115, v117, v115
	v_mul_f32_e32 v117, v17, v10
	v_add_f32_e32 v115, v115, v116
	s_delay_alu instid0(VALU_DEP_1) | instskip(NEXT) | instid1(VALU_DEP_1)
	v_dual_fmac_f32 v117, v18, v9 :: v_dual_add_f32 v2, v115, v2
	v_dual_add_f32 v1, v2, v1 :: v_dual_add_f32 v2, v4, v122
	s_delay_alu instid0(VALU_DEP_1) | instskip(NEXT) | instid1(VALU_DEP_1)
	v_add_f32_e32 v2, v2, v117
	v_add_f32_e32 v2, v2, v120
	s_wait_loadcnt 0x0
	v_dual_mul_f32 v116, v108, v16 :: v_dual_mul_f32 v123, v106, v14
	v_mul_f32_e32 v4, v107, v14
	s_delay_alu instid0(VALU_DEP_2) | instskip(NEXT) | instid1(VALU_DEP_2)
	v_dual_fmac_f32 v116, v109, v15 :: v_dual_fmac_f32 v123, v107, v13
	v_fma_f32 v4, v106, v13, -v4
	s_delay_alu instid0(VALU_DEP_2) | instskip(SKIP_2) | instid1(VALU_DEP_3)
	v_add_f32_e32 v2, v2, v123
	v_add_f32_e32 v1, v1, v3
	v_mul_f32_e32 v3, v109, v16
	v_add_f32_e32 v2, v2, v116
	v_mul_f32_e32 v5, v20, v12
	s_delay_alu instid0(VALU_DEP_3) | instskip(NEXT) | instid1(VALU_DEP_3)
	v_fma_f32 v3, v108, v15, -v3
	v_add_f32_e32 v2, v2, v114
	s_delay_alu instid0(VALU_DEP_3) | instskip(NEXT) | instid1(VALU_DEP_1)
	v_fma_f32 v5, v19, v11, -v5
	v_dual_sub_f32 v2, v119, v2 :: v_dual_add_f32 v1, v1, v5
	v_mul_f32_e32 v5, v113, v111
	s_delay_alu instid0(VALU_DEP_2) | instskip(NEXT) | instid1(VALU_DEP_2)
	v_add_f32_e32 v1, v1, v4
	v_fma_f32 v4, v112, v110, -v5
	s_delay_alu instid0(VALU_DEP_2) | instskip(NEXT) | instid1(VALU_DEP_1)
	v_add_f32_e32 v1, v1, v3
	v_add_f32_e32 v1, v1, v4
	s_delay_alu instid0(VALU_DEP_1)
	v_sub_f32_e32 v1, v118, v1
	scratch_store_b64 off, v[1:2], off offset:24
	v_cmpx_lt_u32_e32 2, v0
	s_cbranch_execz .LBB104_255
; %bb.254:
	scratch_load_b64 v[1:2], off, off offset:16
	v_mov_b32_e32 v22, v21
	scratch_store_b64 off, v[21:22], off offset:16
	s_wait_loadcnt 0x0
	ds_store_b64 v23, v[1:2]
.LBB104_255:
	s_wait_alu 0xfffe
	s_or_b32 exec_lo, exec_lo, s0
	s_wait_storecnt_dscnt 0x0
	s_barrier_signal -1
	s_barrier_wait -1
	global_inv scope:SCOPE_SE
	s_clause 0x4
	scratch_load_b128 v[5:8], off, off offset:24
	scratch_load_b128 v[1:4], off, off offset:40
	;; [unrolled: 1-line block ×5, first 2 shown]
	ds_load_2addr_b64 v[106:109], v21 offset0:45 offset1:46
	ds_load_2addr_b64 v[110:113], v21 offset0:47 offset1:48
	;; [unrolled: 1-line block ×3, first 2 shown]
	scratch_load_b64 v[118:119], off, off offset:16
	s_mov_b32 s0, exec_lo
	s_wait_loadcnt_dscnt 0x502
	v_dual_mul_f32 v22, v107, v6 :: v_dual_mul_f32 v121, v108, v8
	v_mul_f32_e32 v120, v106, v6
	v_mul_f32_e32 v6, v109, v8
	s_wait_loadcnt_dscnt 0x300
	v_mul_f32_e32 v122, v116, v12
	v_fma_f32 v22, v106, v5, -v22
	v_dual_fmac_f32 v121, v109, v7 :: v_dual_fmac_f32 v120, v107, v5
	v_mul_f32_e32 v109, v114, v10
	v_mul_f32_e32 v107, v110, v2
	v_fma_f32 v106, v108, v7, -v6
	ds_load_2addr_b64 v[5:8], v21 offset0:51 offset1:52
	v_mul_f32_e32 v108, v112, v4
	v_dual_mul_f32 v4, v113, v4 :: v_dual_fmac_f32 v109, v115, v9
	v_mul_f32_e32 v10, v115, v10
	v_mul_f32_e32 v12, v117, v12
	;; [unrolled: 1-line block ×3, first 2 shown]
	v_dual_fmac_f32 v107, v111, v1 :: v_dual_fmac_f32 v108, v113, v3
	v_fma_f32 v111, v112, v3, -v4
	v_fma_f32 v112, v114, v9, -v10
	v_fmac_f32_e32 v122, v117, v11
	v_fma_f32 v113, v116, v11, -v12
	ds_load_2addr_b64 v[9:12], v21 offset0:53 offset1:54
	s_wait_loadcnt_dscnt 0x201
	v_dual_mul_f32 v115, v7, v16 :: v_dual_mul_f32 v114, v5, v14
	s_delay_alu instid0(VALU_DEP_1)
	v_dual_mul_f32 v14, v6, v14 :: v_dual_fmac_f32 v115, v8, v15
	v_fma_f32 v110, v110, v1, -v2
	scratch_load_b128 v[1:4], off, off offset:104
	v_mul_f32_e32 v16, v8, v16
	v_fmac_f32_e32 v114, v6, v13
	v_fma_f32 v13, v5, v13, -v14
	s_delay_alu instid0(VALU_DEP_3)
	v_fma_f32 v14, v7, v15, -v16
	s_wait_loadcnt_dscnt 0x200
	v_mul_f32_e32 v15, v9, v18
	v_mul_f32_e32 v16, v10, v18
	v_mul_f32_e32 v18, v11, v20
	v_mul_f32_e32 v20, v12, v20
	ds_load_2addr_b64 v[5:8], v21 offset0:55 offset1:56
	v_fmac_f32_e32 v15, v10, v17
	v_fma_f32 v16, v9, v17, -v16
	v_fmac_f32_e32 v18, v12, v19
	v_fma_f32 v17, v11, v19, -v20
	scratch_load_b128 v[9:12], off, off offset:120
	s_wait_loadcnt_dscnt 0x100
	v_mul_f32_e32 v19, v5, v2
	v_mul_f32_e32 v2, v6, v2
	v_mul_f32_e32 v20, v7, v4
	s_delay_alu instid0(VALU_DEP_3) | instskip(NEXT) | instid1(VALU_DEP_3)
	v_dual_mul_f32 v4, v8, v4 :: v_dual_fmac_f32 v19, v6, v1
	v_fma_f32 v116, v5, v1, -v2
	s_delay_alu instid0(VALU_DEP_3) | instskip(NEXT) | instid1(VALU_DEP_3)
	v_fmac_f32_e32 v20, v8, v3
	v_fma_f32 v117, v7, v3, -v4
	ds_load_2addr_b64 v[1:4], v21 offset0:57 offset1:58
	ds_load_2addr_b64 v[5:8], v21 offset0:59 offset1:60
	s_wait_loadcnt_dscnt 0x1
	v_mul_f32_e32 v123, v1, v10
	v_mul_f32_e32 v10, v2, v10
	s_delay_alu instid0(VALU_DEP_2) | instskip(NEXT) | instid1(VALU_DEP_2)
	v_dual_mul_f32 v124, v3, v12 :: v_dual_fmac_f32 v123, v2, v9
	v_fma_f32 v125, v1, v9, -v10
	v_mul_f32_e32 v1, v4, v12
	s_delay_alu instid0(VALU_DEP_3) | instskip(NEXT) | instid1(VALU_DEP_2)
	v_fmac_f32_e32 v124, v4, v11
	v_fma_f32 v126, v3, v11, -v1
	s_clause 0x1
	scratch_load_b128 v[1:4], off, off offset:136
	scratch_load_b128 v[9:12], off, off offset:152
	s_wait_loadcnt_dscnt 0x100
	v_mul_f32_e32 v127, v5, v2
	v_dual_mul_f32 v2, v6, v2 :: v_dual_mul_f32 v129, v7, v4
	s_delay_alu instid0(VALU_DEP_2) | instskip(NEXT) | instid1(VALU_DEP_2)
	v_fmac_f32_e32 v127, v6, v1
	v_fma_f32 v128, v5, v1, -v2
	v_mul_f32_e32 v1, v8, v4
	s_delay_alu instid0(VALU_DEP_4) | instskip(NEXT) | instid1(VALU_DEP_2)
	v_fmac_f32_e32 v129, v8, v3
	v_fma_f32 v130, v7, v3, -v1
	ds_load_2addr_b64 v[1:4], v21 offset0:61 offset1:62
	ds_load_2addr_b64 v[5:8], v21 offset0:63 offset1:64
	s_wait_loadcnt_dscnt 0x1
	v_mul_f32_e32 v131, v1, v10
	v_mul_f32_e32 v133, v3, v12
	s_delay_alu instid0(VALU_DEP_2) | instskip(NEXT) | instid1(VALU_DEP_2)
	v_fmac_f32_e32 v131, v2, v9
	v_dual_mul_f32 v2, v2, v10 :: v_dual_fmac_f32 v133, v4, v11
	s_delay_alu instid0(VALU_DEP_1) | instskip(SKIP_1) | instid1(VALU_DEP_1)
	v_fma_f32 v132, v1, v9, -v2
	v_mul_f32_e32 v1, v4, v12
	v_fma_f32 v134, v3, v11, -v1
	s_clause 0x1
	scratch_load_b128 v[1:4], off, off offset:168
	scratch_load_b128 v[9:12], off, off offset:184
	s_wait_loadcnt_dscnt 0x100
	v_mul_f32_e32 v135, v5, v2
	v_dual_mul_f32 v2, v6, v2 :: v_dual_mul_f32 v137, v7, v4
	s_delay_alu instid0(VALU_DEP_2) | instskip(NEXT) | instid1(VALU_DEP_2)
	v_fmac_f32_e32 v135, v6, v1
	v_fma_f32 v136, v5, v1, -v2
	v_mul_f32_e32 v1, v8, v4
	s_delay_alu instid0(VALU_DEP_4) | instskip(NEXT) | instid1(VALU_DEP_2)
	v_fmac_f32_e32 v137, v8, v3
	v_fma_f32 v138, v7, v3, -v1
	ds_load_2addr_b64 v[1:4], v21 offset0:65 offset1:66
	ds_load_2addr_b64 v[5:8], v21 offset0:67 offset1:68
	s_wait_loadcnt_dscnt 0x1
	v_mul_f32_e32 v139, v1, v10
	v_mul_f32_e32 v141, v3, v12
	s_delay_alu instid0(VALU_DEP_2) | instskip(NEXT) | instid1(VALU_DEP_2)
	v_fmac_f32_e32 v139, v2, v9
	v_dual_mul_f32 v2, v2, v10 :: v_dual_fmac_f32 v141, v4, v11
	s_delay_alu instid0(VALU_DEP_1) | instskip(SKIP_1) | instid1(VALU_DEP_1)
	v_fma_f32 v140, v1, v9, -v2
	v_mul_f32_e32 v1, v4, v12
	v_fma_f32 v142, v3, v11, -v1
	s_clause 0x1
	scratch_load_b128 v[1:4], off, off offset:200
	scratch_load_b128 v[9:12], off, off offset:216
	s_wait_loadcnt_dscnt 0x100
	v_mul_f32_e32 v143, v5, v2
	v_dual_mul_f32 v2, v6, v2 :: v_dual_mul_f32 v145, v7, v4
	s_delay_alu instid0(VALU_DEP_2) | instskip(NEXT) | instid1(VALU_DEP_2)
	v_fmac_f32_e32 v143, v6, v1
	v_fma_f32 v144, v5, v1, -v2
	v_mul_f32_e32 v1, v8, v4
	s_delay_alu instid0(VALU_DEP_4) | instskip(NEXT) | instid1(VALU_DEP_2)
	v_fmac_f32_e32 v145, v8, v3
	v_fma_f32 v146, v7, v3, -v1
	ds_load_2addr_b64 v[1:4], v21 offset0:69 offset1:70
	ds_load_2addr_b64 v[5:8], v21 offset0:71 offset1:72
	s_wait_loadcnt_dscnt 0x1
	v_mul_f32_e32 v147, v1, v10
	v_mul_f32_e32 v149, v3, v12
	s_delay_alu instid0(VALU_DEP_2) | instskip(NEXT) | instid1(VALU_DEP_2)
	v_fmac_f32_e32 v147, v2, v9
	v_dual_mul_f32 v2, v2, v10 :: v_dual_fmac_f32 v149, v4, v11
	s_delay_alu instid0(VALU_DEP_1) | instskip(SKIP_1) | instid1(VALU_DEP_1)
	v_fma_f32 v148, v1, v9, -v2
	v_mul_f32_e32 v1, v4, v12
	v_fma_f32 v150, v3, v11, -v1
	s_clause 0x1
	scratch_load_b128 v[1:4], off, off offset:232
	scratch_load_b128 v[9:12], off, off offset:248
	s_wait_loadcnt_dscnt 0x100
	v_mul_f32_e32 v151, v5, v2
	v_mul_f32_e32 v2, v6, v2
	s_delay_alu instid0(VALU_DEP_1) | instskip(SKIP_1) | instid1(VALU_DEP_1)
	v_fma_f32 v152, v5, v1, -v2
	v_add_f32_e32 v2, 0, v120
	v_add_f32_e32 v2, v2, v121
	s_delay_alu instid0(VALU_DEP_1) | instskip(NEXT) | instid1(VALU_DEP_1)
	v_add_f32_e32 v2, v2, v107
	v_add_f32_e32 v2, v2, v108
	s_delay_alu instid0(VALU_DEP_1) | instskip(NEXT) | instid1(VALU_DEP_1)
	;; [unrolled: 3-line block ×3, first 2 shown]
	v_add_f32_e32 v2, v2, v114
	v_add_f32_e32 v2, v2, v115
	s_delay_alu instid0(VALU_DEP_1) | instskip(SKIP_1) | instid1(VALU_DEP_2)
	v_dual_add_f32 v2, v2, v15 :: v_dual_mul_f32 v153, v7, v4
	v_fmac_f32_e32 v151, v6, v1
	v_dual_add_f32 v2, v2, v18 :: v_dual_mul_f32 v1, v8, v4
	s_delay_alu instid0(VALU_DEP_1) | instskip(NEXT) | instid1(VALU_DEP_4)
	v_add_f32_e32 v2, v2, v19
	v_fmac_f32_e32 v153, v8, v3
	s_delay_alu instid0(VALU_DEP_3) | instskip(NEXT) | instid1(VALU_DEP_3)
	v_fma_f32 v154, v7, v3, -v1
	v_dual_add_f32 v2, v2, v20 :: v_dual_add_f32 v1, 0, v22
	s_delay_alu instid0(VALU_DEP_1) | instskip(NEXT) | instid1(VALU_DEP_1)
	v_dual_add_f32 v2, v2, v123 :: v_dual_add_f32 v1, v1, v106
	v_add_f32_e32 v5, v2, v124
	s_delay_alu instid0(VALU_DEP_2) | instskip(NEXT) | instid1(VALU_DEP_1)
	v_add_f32_e32 v1, v1, v110
	v_add_f32_e32 v1, v1, v111
	s_delay_alu instid0(VALU_DEP_1) | instskip(NEXT) | instid1(VALU_DEP_1)
	v_add_f32_e32 v1, v1, v112
	v_add_f32_e32 v1, v1, v113
	s_delay_alu instid0(VALU_DEP_1) | instskip(SKIP_1) | instid1(VALU_DEP_2)
	v_add_f32_e32 v1, v1, v13
	v_add_f32_e32 v13, v5, v127
	;; [unrolled: 1-line block ×3, first 2 shown]
	s_delay_alu instid0(VALU_DEP_2) | instskip(NEXT) | instid1(VALU_DEP_1)
	v_add_f32_e32 v13, v13, v129
	v_add_f32_e32 v13, v13, v131
	s_delay_alu instid0(VALU_DEP_1) | instskip(NEXT) | instid1(VALU_DEP_1)
	v_add_f32_e32 v18, v13, v133
	v_dual_add_f32 v18, v18, v135 :: v_dual_add_f32 v1, v1, v16
	s_delay_alu instid0(VALU_DEP_1) | instskip(NEXT) | instid1(VALU_DEP_2)
	v_add_f32_e32 v18, v18, v137
	v_add_f32_e32 v1, v1, v17
	s_delay_alu instid0(VALU_DEP_1) | instskip(NEXT) | instid1(VALU_DEP_1)
	v_add_f32_e32 v1, v1, v116
	v_add_f32_e32 v1, v1, v117
	s_delay_alu instid0(VALU_DEP_1) | instskip(NEXT) | instid1(VALU_DEP_1)
	v_add_f32_e32 v1, v1, v125
	v_add_f32_e32 v1, v1, v126
	s_delay_alu instid0(VALU_DEP_1)
	v_add_f32_e32 v6, v1, v128
	ds_load_2addr_b64 v[1:4], v21 offset0:73 offset1:74
	v_add_f32_e32 v106, v18, v139
	v_add_f32_e32 v14, v6, v130
	scratch_load_b128 v[5:8], off, off offset:264
	v_add_f32_e32 v106, v106, v141
	v_add_f32_e32 v14, v14, v132
	s_delay_alu instid0(VALU_DEP_1)
	v_add_f32_e32 v17, v14, v134
	ds_load_2addr_b64 v[13:16], v21 offset0:75 offset1:76
	s_wait_loadcnt_dscnt 0x101
	v_mul_f32_e32 v22, v1, v10
	v_mul_f32_e32 v10, v2, v10
	;; [unrolled: 1-line block ×4, first 2 shown]
	v_add_f32_e32 v106, v106, v143
	v_fmac_f32_e32 v22, v2, v9
	v_fma_f32 v111, v1, v9, -v10
	v_fmac_f32_e32 v110, v4, v11
	v_fma_f32 v112, v3, v11, -v12
	s_clause 0x1
	scratch_load_b128 v[9:12], off, off offset:296
	scratch_load_b128 v[1:4], off, off offset:280
	v_add_f32_e32 v17, v17, v136
	s_wait_loadcnt_dscnt 0x200
	v_mul_f32_e32 v113, v13, v6
	v_mul_f32_e32 v6, v14, v6
	v_mul_f32_e32 v114, v15, v8
	s_delay_alu instid0(VALU_DEP_3) | instskip(SKIP_1) | instid1(VALU_DEP_4)
	v_dual_mul_f32 v8, v16, v8 :: v_dual_fmac_f32 v113, v14, v5
	v_add_f32_e32 v17, v17, v138
	v_fma_f32 v115, v13, v5, -v6
	s_delay_alu instid0(VALU_DEP_4) | instskip(NEXT) | instid1(VALU_DEP_4)
	v_fmac_f32_e32 v114, v16, v7
	v_fma_f32 v116, v15, v7, -v8
	ds_load_2addr_b64 v[5:8], v21 offset0:77 offset1:78
	v_add_f32_e32 v17, v17, v140
	s_delay_alu instid0(VALU_DEP_1) | instskip(SKIP_3) | instid1(VALU_DEP_1)
	v_add_f32_e32 v107, v17, v142
	scratch_load_b128 v[17:20], off, off offset:312
	v_add_f32_e32 v13, v106, v145
	v_add_f32_e32 v107, v107, v144
	;; [unrolled: 1-line block ×3, first 2 shown]
	s_delay_alu instid0(VALU_DEP_1)
	v_dual_add_f32 v106, v107, v148 :: v_dual_add_f32 v107, v13, v147
	ds_load_2addr_b64 v[13:16], v21 offset0:79 offset1:80
	v_dual_add_f32 v117, v106, v150 :: v_dual_add_f32 v120, v107, v149
	ds_load_2addr_b64 v[106:109], v21 offset0:81 offset1:82
	v_add_f32_e32 v21, v117, v152
	s_wait_loadcnt_dscnt 0x201
	v_mul_f32_e32 v121, v15, v12
	s_delay_alu instid0(VALU_DEP_1) | instskip(SKIP_2) | instid1(VALU_DEP_1)
	v_fmac_f32_e32 v121, v16, v11
	s_wait_loadcnt 0x1
	v_dual_add_f32 v117, v120, v151 :: v_dual_mul_f32 v120, v5, v2
	v_dual_mul_f32 v2, v6, v2 :: v_dual_add_f32 v117, v117, v153
	s_delay_alu instid0(VALU_DEP_2) | instskip(SKIP_2) | instid1(VALU_DEP_4)
	v_fmac_f32_e32 v120, v6, v1
	v_mul_f32_e32 v6, v14, v10
	v_add_f32_e32 v21, v21, v154
	v_fma_f32 v2, v5, v1, -v2
	v_add_f32_e32 v22, v117, v22
	v_mul_f32_e32 v117, v13, v10
	s_delay_alu instid0(VALU_DEP_2) | instskip(NEXT) | instid1(VALU_DEP_2)
	v_add_f32_e32 v22, v22, v110
	v_fmac_f32_e32 v117, v14, v9
	s_delay_alu instid0(VALU_DEP_2) | instskip(NEXT) | instid1(VALU_DEP_1)
	v_dual_add_f32 v21, v21, v111 :: v_dual_add_f32 v22, v22, v113
	v_add_f32_e32 v21, v21, v112
	s_delay_alu instid0(VALU_DEP_2) | instskip(NEXT) | instid1(VALU_DEP_2)
	v_add_f32_e32 v5, v22, v114
	v_add_f32_e32 v21, v21, v115
	s_delay_alu instid0(VALU_DEP_1) | instskip(NEXT) | instid1(VALU_DEP_1)
	v_add_f32_e32 v1, v21, v116
	v_add_f32_e32 v1, v1, v2
	s_delay_alu instid0(VALU_DEP_4)
	v_add_f32_e32 v2, v5, v120
	v_fma_f32 v5, v13, v9, -v6
	s_wait_loadcnt_dscnt 0x0
	v_mul_f32_e32 v112, v108, v20
	v_mul_f32_e32 v111, v7, v4
	;; [unrolled: 1-line block ×4, first 2 shown]
	s_delay_alu instid0(VALU_DEP_4) | instskip(NEXT) | instid1(VALU_DEP_4)
	v_fmac_f32_e32 v112, v109, v19
	v_fmac_f32_e32 v111, v8, v3
	s_delay_alu instid0(VALU_DEP_4) | instskip(SKIP_2) | instid1(VALU_DEP_4)
	v_fma_f32 v3, v7, v3, -v4
	v_mul_f32_e32 v4, v16, v12
	v_fmac_f32_e32 v110, v107, v17
	v_add_f32_e32 v2, v2, v111
	s_delay_alu instid0(VALU_DEP_4) | instskip(SKIP_2) | instid1(VALU_DEP_4)
	v_add_f32_e32 v1, v1, v3
	v_mul_f32_e32 v3, v107, v18
	v_fma_f32 v4, v15, v11, -v4
	v_add_f32_e32 v2, v2, v117
	s_delay_alu instid0(VALU_DEP_4) | instskip(SKIP_2) | instid1(VALU_DEP_3)
	v_add_f32_e32 v1, v1, v5
	v_mul_f32_e32 v5, v109, v20
	v_fma_f32 v3, v106, v17, -v3
	v_dual_add_f32 v2, v2, v121 :: v_dual_add_f32 v1, v1, v4
	s_delay_alu instid0(VALU_DEP_3) | instskip(NEXT) | instid1(VALU_DEP_2)
	v_fma_f32 v4, v108, v19, -v5
	v_dual_add_f32 v2, v2, v110 :: v_dual_add_f32 v1, v1, v3
	s_delay_alu instid0(VALU_DEP_1) | instskip(NEXT) | instid1(VALU_DEP_1)
	v_add_f32_e32 v2, v2, v112
	v_dual_add_f32 v1, v1, v4 :: v_dual_sub_f32 v2, v119, v2
	s_delay_alu instid0(VALU_DEP_1)
	v_sub_f32_e32 v1, v118, v1
	scratch_store_b64 off, v[1:2], off offset:16
	v_cmpx_lt_u32_e32 1, v0
	s_cbranch_execz .LBB104_257
; %bb.256:
	scratch_load_b64 v[1:2], off, off offset:8
	v_mov_b32_e32 v3, 0
	s_delay_alu instid0(VALU_DEP_1)
	v_mov_b32_e32 v4, v3
	scratch_store_b64 off, v[3:4], off offset:8
	s_wait_loadcnt 0x0
	ds_store_b64 v23, v[1:2]
.LBB104_257:
	s_wait_alu 0xfffe
	s_or_b32 exec_lo, exec_lo, s0
	s_wait_storecnt_dscnt 0x0
	s_barrier_signal -1
	s_barrier_wait -1
	global_inv scope:SCOPE_SE
	s_clause 0x4
	scratch_load_b128 v[5:8], off, off offset:16
	scratch_load_b128 v[1:4], off, off offset:32
	;; [unrolled: 1-line block ×5, first 2 shown]
	v_mov_b32_e32 v106, 0
	ds_load_b128 v[107:110], v106 offset:352
	ds_load_b128 v[111:114], v106 offset:368
	;; [unrolled: 1-line block ×3, first 2 shown]
	scratch_load_b64 v[21:22], off, off offset:8
	s_mov_b32 s0, exec_lo
	s_wait_loadcnt_dscnt 0x502
	v_mul_f32_e32 v119, v108, v6
	v_dual_mul_f32 v120, v107, v6 :: v_dual_mul_f32 v121, v109, v8
	v_mul_f32_e32 v6, v110, v8
	s_delay_alu instid0(VALU_DEP_3) | instskip(NEXT) | instid1(VALU_DEP_3)
	v_fma_f32 v107, v107, v5, -v119
	v_dual_fmac_f32 v120, v108, v5 :: v_dual_fmac_f32 v121, v110, v7
	s_delay_alu instid0(VALU_DEP_3)
	v_fma_f32 v108, v109, v7, -v6
	ds_load_b128 v[5:8], v106 offset:400
	s_wait_loadcnt_dscnt 0x402
	v_dual_mul_f32 v109, v111, v2 :: v_dual_mul_f32 v110, v113, v4
	s_wait_loadcnt_dscnt 0x301
	v_dual_mul_f32 v119, v115, v10 :: v_dual_mul_f32 v4, v114, v4
	v_mul_f32_e32 v10, v116, v10
	v_mul_f32_e32 v122, v117, v12
	;; [unrolled: 1-line block ×4, first 2 shown]
	v_dual_fmac_f32 v109, v112, v1 :: v_dual_fmac_f32 v110, v114, v3
	v_fma_f32 v112, v113, v3, -v4
	v_fmac_f32_e32 v119, v116, v9
	v_fma_f32 v113, v115, v9, -v10
	v_fmac_f32_e32 v122, v118, v11
	v_fma_f32 v114, v117, v11, -v12
	ds_load_b128 v[9:12], v106 offset:416
	s_wait_loadcnt_dscnt 0x201
	v_mul_f32_e32 v115, v5, v14
	v_mul_f32_e32 v14, v6, v14
	v_mul_f32_e32 v116, v7, v16
	s_delay_alu instid0(VALU_DEP_3)
	v_dual_mul_f32 v16, v8, v16 :: v_dual_fmac_f32 v115, v6, v13
	v_fma_f32 v111, v111, v1, -v2
	scratch_load_b128 v[1:4], off, off offset:96
	v_fma_f32 v13, v5, v13, -v14
	v_fmac_f32_e32 v116, v8, v15
	v_fma_f32 v14, v7, v15, -v16
	ds_load_b128 v[5:8], v106 offset:432
	s_wait_loadcnt_dscnt 0x201
	v_mul_f32_e32 v15, v9, v18
	v_mul_f32_e32 v16, v10, v18
	;; [unrolled: 1-line block ×3, first 2 shown]
	s_delay_alu instid0(VALU_DEP_3) | instskip(NEXT) | instid1(VALU_DEP_3)
	v_dual_mul_f32 v20, v12, v20 :: v_dual_fmac_f32 v15, v10, v17
	v_fma_f32 v16, v9, v17, -v16
	s_delay_alu instid0(VALU_DEP_3) | instskip(NEXT) | instid1(VALU_DEP_3)
	v_fmac_f32_e32 v18, v12, v19
	v_fma_f32 v17, v11, v19, -v20
	scratch_load_b128 v[9:12], off, off offset:112
	s_wait_loadcnt_dscnt 0x100
	v_mul_f32_e32 v19, v5, v2
	v_mul_f32_e32 v2, v6, v2
	;; [unrolled: 1-line block ×3, first 2 shown]
	s_delay_alu instid0(VALU_DEP_3) | instskip(NEXT) | instid1(VALU_DEP_3)
	v_dual_mul_f32 v4, v8, v4 :: v_dual_fmac_f32 v19, v6, v1
	v_fma_f32 v117, v5, v1, -v2
	s_delay_alu instid0(VALU_DEP_3) | instskip(NEXT) | instid1(VALU_DEP_3)
	v_fmac_f32_e32 v20, v8, v3
	v_fma_f32 v118, v7, v3, -v4
	ds_load_b128 v[1:4], v106 offset:448
	ds_load_b128 v[5:8], v106 offset:464
	s_wait_loadcnt_dscnt 0x1
	v_mul_f32_e32 v123, v1, v10
	v_mul_f32_e32 v10, v2, v10
	s_delay_alu instid0(VALU_DEP_2) | instskip(NEXT) | instid1(VALU_DEP_2)
	v_dual_mul_f32 v124, v3, v12 :: v_dual_fmac_f32 v123, v2, v9
	v_fma_f32 v125, v1, v9, -v10
	v_mul_f32_e32 v1, v4, v12
	s_delay_alu instid0(VALU_DEP_3) | instskip(NEXT) | instid1(VALU_DEP_2)
	v_fmac_f32_e32 v124, v4, v11
	v_fma_f32 v126, v3, v11, -v1
	s_clause 0x1
	scratch_load_b128 v[1:4], off, off offset:128
	scratch_load_b128 v[9:12], off, off offset:144
	s_wait_loadcnt_dscnt 0x100
	v_mul_f32_e32 v127, v5, v2
	v_dual_mul_f32 v2, v6, v2 :: v_dual_mul_f32 v129, v7, v4
	s_delay_alu instid0(VALU_DEP_2) | instskip(NEXT) | instid1(VALU_DEP_2)
	v_fmac_f32_e32 v127, v6, v1
	v_fma_f32 v128, v5, v1, -v2
	v_mul_f32_e32 v1, v8, v4
	s_delay_alu instid0(VALU_DEP_4) | instskip(NEXT) | instid1(VALU_DEP_2)
	v_fmac_f32_e32 v129, v8, v3
	v_fma_f32 v130, v7, v3, -v1
	ds_load_b128 v[1:4], v106 offset:480
	ds_load_b128 v[5:8], v106 offset:496
	s_wait_loadcnt_dscnt 0x1
	v_mul_f32_e32 v131, v1, v10
	v_mul_f32_e32 v133, v3, v12
	s_delay_alu instid0(VALU_DEP_2) | instskip(NEXT) | instid1(VALU_DEP_2)
	v_fmac_f32_e32 v131, v2, v9
	v_dual_mul_f32 v2, v2, v10 :: v_dual_fmac_f32 v133, v4, v11
	s_delay_alu instid0(VALU_DEP_1) | instskip(SKIP_1) | instid1(VALU_DEP_1)
	v_fma_f32 v132, v1, v9, -v2
	v_mul_f32_e32 v1, v4, v12
	v_fma_f32 v134, v3, v11, -v1
	s_clause 0x1
	scratch_load_b128 v[1:4], off, off offset:160
	scratch_load_b128 v[9:12], off, off offset:176
	s_wait_loadcnt_dscnt 0x100
	v_mul_f32_e32 v135, v5, v2
	v_dual_mul_f32 v137, v7, v4 :: v_dual_mul_f32 v2, v6, v2
	s_delay_alu instid0(VALU_DEP_2) | instskip(NEXT) | instid1(VALU_DEP_2)
	v_fmac_f32_e32 v135, v6, v1
	v_fmac_f32_e32 v137, v8, v3
	s_delay_alu instid0(VALU_DEP_3) | instskip(SKIP_1) | instid1(VALU_DEP_1)
	v_fma_f32 v136, v5, v1, -v2
	v_mul_f32_e32 v1, v8, v4
	v_fma_f32 v138, v7, v3, -v1
	ds_load_b128 v[1:4], v106 offset:512
	ds_load_b128 v[5:8], v106 offset:528
	s_wait_loadcnt_dscnt 0x1
	v_mul_f32_e32 v139, v1, v10
	v_mul_f32_e32 v141, v3, v12
	s_delay_alu instid0(VALU_DEP_2) | instskip(NEXT) | instid1(VALU_DEP_2)
	v_fmac_f32_e32 v139, v2, v9
	v_dual_mul_f32 v2, v2, v10 :: v_dual_fmac_f32 v141, v4, v11
	s_delay_alu instid0(VALU_DEP_1) | instskip(SKIP_1) | instid1(VALU_DEP_1)
	v_fma_f32 v140, v1, v9, -v2
	v_mul_f32_e32 v1, v4, v12
	v_fma_f32 v142, v3, v11, -v1
	s_clause 0x1
	scratch_load_b128 v[1:4], off, off offset:192
	scratch_load_b128 v[9:12], off, off offset:208
	s_wait_loadcnt_dscnt 0x100
	v_mul_f32_e32 v143, v5, v2
	v_dual_mul_f32 v2, v6, v2 :: v_dual_mul_f32 v145, v7, v4
	s_delay_alu instid0(VALU_DEP_2) | instskip(NEXT) | instid1(VALU_DEP_2)
	v_fmac_f32_e32 v143, v6, v1
	v_fma_f32 v144, v5, v1, -v2
	v_mul_f32_e32 v1, v8, v4
	s_delay_alu instid0(VALU_DEP_4) | instskip(NEXT) | instid1(VALU_DEP_2)
	v_fmac_f32_e32 v145, v8, v3
	v_fma_f32 v146, v7, v3, -v1
	ds_load_b128 v[1:4], v106 offset:544
	ds_load_b128 v[5:8], v106 offset:560
	s_wait_loadcnt_dscnt 0x1
	v_mul_f32_e32 v147, v1, v10
	v_mul_f32_e32 v149, v3, v12
	s_delay_alu instid0(VALU_DEP_2) | instskip(NEXT) | instid1(VALU_DEP_2)
	v_fmac_f32_e32 v147, v2, v9
	v_dual_mul_f32 v2, v2, v10 :: v_dual_fmac_f32 v149, v4, v11
	s_delay_alu instid0(VALU_DEP_1) | instskip(SKIP_1) | instid1(VALU_DEP_1)
	v_fma_f32 v148, v1, v9, -v2
	v_mul_f32_e32 v1, v4, v12
	v_fma_f32 v150, v3, v11, -v1
	s_clause 0x1
	scratch_load_b128 v[1:4], off, off offset:224
	scratch_load_b128 v[9:12], off, off offset:240
	s_wait_loadcnt_dscnt 0x100
	v_mul_f32_e32 v151, v5, v2
	v_mul_f32_e32 v2, v6, v2
	s_delay_alu instid0(VALU_DEP_1) | instskip(SKIP_1) | instid1(VALU_DEP_1)
	v_fma_f32 v152, v5, v1, -v2
	v_add_f32_e32 v2, 0, v120
	v_add_f32_e32 v2, v2, v121
	s_delay_alu instid0(VALU_DEP_1) | instskip(NEXT) | instid1(VALU_DEP_1)
	v_add_f32_e32 v2, v2, v109
	v_add_f32_e32 v2, v2, v110
	s_delay_alu instid0(VALU_DEP_1) | instskip(NEXT) | instid1(VALU_DEP_1)
	;; [unrolled: 3-line block ×4, first 2 shown]
	v_dual_add_f32 v2, v2, v15 :: v_dual_mul_f32 v153, v7, v4
	v_add_f32_e32 v2, v2, v18
	s_delay_alu instid0(VALU_DEP_1) | instskip(SKIP_1) | instid1(VALU_DEP_2)
	v_add_f32_e32 v2, v2, v19
	v_fmac_f32_e32 v151, v6, v1
	v_dual_fmac_f32 v153, v8, v3 :: v_dual_add_f32 v2, v2, v20
	s_delay_alu instid0(VALU_DEP_1) | instskip(NEXT) | instid1(VALU_DEP_1)
	v_dual_mul_f32 v1, v8, v4 :: v_dual_add_f32 v2, v2, v123
	v_fma_f32 v154, v7, v3, -v1
	v_add_f32_e32 v1, 0, v107
	s_delay_alu instid0(VALU_DEP_3) | instskip(NEXT) | instid1(VALU_DEP_2)
	v_add_f32_e32 v5, v2, v124
	v_add_f32_e32 v1, v1, v108
	s_delay_alu instid0(VALU_DEP_1) | instskip(NEXT) | instid1(VALU_DEP_1)
	v_add_f32_e32 v1, v1, v111
	v_add_f32_e32 v1, v1, v112
	scratch_load_b64 v[111:112], off, off offset:320
	v_add_f32_e32 v1, v1, v113
	s_delay_alu instid0(VALU_DEP_1) | instskip(NEXT) | instid1(VALU_DEP_1)
	v_add_f32_e32 v1, v1, v114
	v_add_f32_e32 v1, v1, v13
	;; [unrolled: 1-line block ×3, first 2 shown]
	s_delay_alu instid0(VALU_DEP_2) | instskip(NEXT) | instid1(VALU_DEP_2)
	v_add_f32_e32 v1, v1, v14
	v_add_f32_e32 v13, v13, v129
	s_delay_alu instid0(VALU_DEP_2) | instskip(NEXT) | instid1(VALU_DEP_2)
	v_add_f32_e32 v1, v1, v16
	v_add_f32_e32 v13, v13, v131
	;; [unrolled: 3-line block ×3, first 2 shown]
	s_delay_alu instid0(VALU_DEP_1) | instskip(NEXT) | instid1(VALU_DEP_1)
	v_dual_add_f32 v1, v1, v117 :: v_dual_add_f32 v18, v18, v135
	v_dual_add_f32 v1, v1, v118 :: v_dual_add_f32 v18, v18, v137
	s_delay_alu instid0(VALU_DEP_1) | instskip(NEXT) | instid1(VALU_DEP_1)
	v_add_f32_e32 v1, v1, v125
	v_add_f32_e32 v1, v1, v126
	s_delay_alu instid0(VALU_DEP_1) | instskip(SKIP_4) | instid1(VALU_DEP_1)
	v_add_f32_e32 v6, v1, v128
	scratch_load_b128 v[1:4], off, off offset:256
	v_add_f32_e32 v14, v6, v130
	ds_load_b128 v[5:8], v106 offset:576
	v_add_f32_e32 v14, v14, v132
	v_add_f32_e32 v17, v14, v134
	ds_load_b128 v[13:16], v106 offset:592
	s_wait_loadcnt_dscnt 0x201
	v_mul_f32_e32 v115, v5, v10
	v_mul_f32_e32 v10, v6, v10
	;; [unrolled: 1-line block ×3, first 2 shown]
	s_delay_alu instid0(VALU_DEP_3) | instskip(NEXT) | instid1(VALU_DEP_3)
	v_dual_mul_f32 v12, v8, v12 :: v_dual_fmac_f32 v115, v6, v9
	v_fma_f32 v117, v5, v9, -v10
	s_delay_alu instid0(VALU_DEP_3) | instskip(NEXT) | instid1(VALU_DEP_3)
	v_fmac_f32_e32 v116, v8, v11
	v_fma_f32 v118, v7, v11, -v12
	scratch_load_b128 v[9:12], off, off offset:288
	v_add_f32_e32 v107, v18, v139
	scratch_load_b128 v[5:8], off, off offset:272
	v_add_f32_e32 v107, v107, v141
	s_delay_alu instid0(VALU_DEP_1) | instskip(NEXT) | instid1(VALU_DEP_1)
	v_add_f32_e32 v107, v107, v143
	v_add_f32_e32 v107, v107, v145
	s_wait_loadcnt_dscnt 0x200
	v_mul_f32_e32 v119, v13, v2
	v_mul_f32_e32 v2, v14, v2
	;; [unrolled: 1-line block ×3, first 2 shown]
	s_delay_alu instid0(VALU_DEP_3) | instskip(NEXT) | instid1(VALU_DEP_3)
	v_dual_mul_f32 v4, v16, v4 :: v_dual_fmac_f32 v119, v14, v1
	v_fma_f32 v121, v13, v1, -v2
	v_add_f32_e32 v13, v107, v147
	s_delay_alu instid0(VALU_DEP_4) | instskip(NEXT) | instid1(VALU_DEP_4)
	v_fmac_f32_e32 v120, v16, v3
	v_fma_f32 v122, v15, v3, -v4
	ds_load_b128 v[1:4], v106 offset:608
	v_add_f32_e32 v17, v17, v136
	v_add_f32_e32 v107, v13, v149
	s_delay_alu instid0(VALU_DEP_1) | instskip(NEXT) | instid1(VALU_DEP_1)
	v_add_f32_e32 v114, v107, v151
	v_add_f32_e32 v124, v114, v153
	s_delay_alu instid0(VALU_DEP_1) | instskip(NEXT) | instid1(VALU_DEP_1)
	;; [unrolled: 3-line block ×3, first 2 shown]
	v_add_f32_e32 v115, v115, v119
	v_add_f32_e32 v115, v115, v120
	;; [unrolled: 1-line block ×3, first 2 shown]
	s_delay_alu instid0(VALU_DEP_1) | instskip(NEXT) | instid1(VALU_DEP_1)
	v_add_f32_e32 v17, v17, v140
	v_add_f32_e32 v108, v17, v142
	scratch_load_b128 v[17:20], off, off offset:304
	v_add_f32_e32 v108, v108, v144
	s_delay_alu instid0(VALU_DEP_1) | instskip(NEXT) | instid1(VALU_DEP_1)
	v_add_f32_e32 v108, v108, v146
	v_add_f32_e32 v108, v108, v148
	s_delay_alu instid0(VALU_DEP_1)
	v_add_f32_e32 v14, v108, v150
	ds_load_b128 v[107:110], v106 offset:640
	v_add_f32_e32 v113, v14, v152
	ds_load_b128 v[13:16], v106 offset:624
	s_wait_loadcnt_dscnt 0x102
	v_mul_f32_e32 v116, v3, v8
	v_dual_mul_f32 v8, v4, v8 :: v_dual_add_f32 v123, v113, v154
	ds_load_b64 v[113:114], v106 offset:656
	s_wait_dscnt 0x1
	v_dual_fmac_f32 v116, v4, v7 :: v_dual_mul_f32 v119, v15, v12
	s_wait_dscnt 0x0
	v_dual_mul_f32 v120, v113, v112 :: v_dual_add_f32 v117, v123, v117
	s_delay_alu instid0(VALU_DEP_2) | instskip(NEXT) | instid1(VALU_DEP_2)
	v_fmac_f32_e32 v119, v16, v11
	v_dual_fmac_f32 v120, v114, v111 :: v_dual_add_f32 v117, v117, v118
	v_mul_f32_e32 v123, v1, v6
	v_mul_f32_e32 v6, v2, v6
	;; [unrolled: 1-line block ×3, first 2 shown]
	s_delay_alu instid0(VALU_DEP_4) | instskip(NEXT) | instid1(VALU_DEP_4)
	v_add_f32_e32 v117, v117, v121
	v_fmac_f32_e32 v123, v2, v5
	s_delay_alu instid0(VALU_DEP_4) | instskip(SKIP_2) | instid1(VALU_DEP_4)
	v_fma_f32 v1, v1, v5, -v6
	v_fma_f32 v2, v3, v7, -v8
	v_mul_f32_e32 v3, v14, v10
	v_dual_add_f32 v117, v117, v122 :: v_dual_add_f32 v4, v115, v123
	v_dual_mul_f32 v5, v16, v12 :: v_dual_fmac_f32 v118, v14, v9
	s_delay_alu instid0(VALU_DEP_3) | instskip(NEXT) | instid1(VALU_DEP_3)
	v_fma_f32 v3, v13, v9, -v3
	v_add_f32_e32 v1, v117, v1
	s_delay_alu instid0(VALU_DEP_3) | instskip(NEXT) | instid1(VALU_DEP_2)
	v_fma_f32 v5, v15, v11, -v5
	v_dual_add_f32 v1, v1, v2 :: v_dual_add_f32 v2, v4, v116
	s_delay_alu instid0(VALU_DEP_1) | instskip(NEXT) | instid1(VALU_DEP_1)
	v_dual_add_f32 v1, v1, v3 :: v_dual_add_f32 v2, v2, v118
	v_dual_add_f32 v1, v1, v5 :: v_dual_add_f32 v2, v2, v119
	v_mul_f32_e32 v5, v114, v112
	s_wait_loadcnt 0x0
	v_mul_f32_e32 v121, v107, v18
	v_mul_f32_e32 v4, v108, v18
	;; [unrolled: 1-line block ×4, first 2 shown]
	s_delay_alu instid0(VALU_DEP_4) | instskip(NEXT) | instid1(VALU_DEP_4)
	v_fmac_f32_e32 v121, v108, v17
	v_fma_f32 v4, v107, v17, -v4
	s_delay_alu instid0(VALU_DEP_4) | instskip(NEXT) | instid1(VALU_DEP_4)
	v_fmac_f32_e32 v122, v110, v19
	v_fma_f32 v3, v109, v19, -v3
	s_delay_alu instid0(VALU_DEP_3) | instskip(SKIP_1) | instid1(VALU_DEP_2)
	v_dual_add_f32 v2, v2, v121 :: v_dual_add_f32 v1, v1, v4
	v_fma_f32 v4, v113, v111, -v5
	v_dual_add_f32 v2, v2, v122 :: v_dual_add_f32 v1, v1, v3
	s_delay_alu instid0(VALU_DEP_1) | instskip(NEXT) | instid1(VALU_DEP_1)
	v_add_f32_e32 v2, v2, v120
	v_dual_add_f32 v1, v1, v4 :: v_dual_sub_f32 v2, v22, v2
	s_delay_alu instid0(VALU_DEP_1)
	v_sub_f32_e32 v1, v21, v1
	scratch_store_b64 off, v[1:2], off offset:8
	v_cmpx_ne_u32_e32 0, v0
	s_cbranch_execz .LBB104_259
; %bb.258:
	scratch_load_b64 v[0:1], off, off
	v_mov_b32_e32 v107, v106
	scratch_store_b64 off, v[106:107], off
	s_wait_loadcnt 0x0
	ds_store_b64 v23, v[0:1]
.LBB104_259:
	s_wait_alu 0xfffe
	s_or_b32 exec_lo, exec_lo, s0
	s_wait_storecnt_dscnt 0x0
	s_barrier_signal -1
	s_barrier_wait -1
	global_inv scope:SCOPE_SE
	s_clause 0x6
	scratch_load_b128 v[0:3], off, off offset:8
	scratch_load_b128 v[4:7], off, off offset:24
	;; [unrolled: 1-line block ×7, first 2 shown]
	ds_load_2addr_b64 v[111:114], v106 offset0:43 offset1:44
	ds_load_2addr_b64 v[115:118], v106 offset0:45 offset1:46
	scratch_load_b64 v[119:120], off, off
	s_and_b32 vcc_lo, exec_lo, s12
	s_wait_loadcnt_dscnt 0x701
	v_mul_f32_e32 v121, v112, v1
	v_dual_mul_f32 v122, v111, v1 :: v_dual_mul_f32 v123, v113, v3
	s_delay_alu instid0(VALU_DEP_1) | instskip(NEXT) | instid1(VALU_DEP_2)
	v_dual_mul_f32 v1, v114, v3 :: v_dual_fmac_f32 v122, v112, v0
	v_fmac_f32_e32 v123, v114, v2
	s_delay_alu instid0(VALU_DEP_2)
	v_fma_f32 v112, v113, v2, -v1
	s_wait_loadcnt_dscnt 0x600
	v_mul_f32_e32 v114, v117, v7
	v_fma_f32 v111, v111, v0, -v121
	ds_load_2addr_b64 v[0:3], v106 offset0:47 offset1:48
	v_mul_f32_e32 v113, v115, v5
	v_mul_f32_e32 v5, v116, v5
	;; [unrolled: 1-line block ×3, first 2 shown]
	s_delay_alu instid0(VALU_DEP_3) | instskip(NEXT) | instid1(VALU_DEP_3)
	v_dual_fmac_f32 v114, v118, v6 :: v_dual_fmac_f32 v113, v116, v4
	v_fma_f32 v115, v115, v4, -v5
	s_delay_alu instid0(VALU_DEP_3)
	v_fma_f32 v116, v117, v6, -v7
	ds_load_2addr_b64 v[4:7], v106 offset0:49 offset1:50
	s_wait_loadcnt_dscnt 0x501
	v_mul_f32_e32 v117, v0, v9
	v_dual_mul_f32 v9, v1, v9 :: v_dual_mul_f32 v118, v2, v11
	v_mul_f32_e32 v11, v3, v11
	s_delay_alu instid0(VALU_DEP_3) | instskip(NEXT) | instid1(VALU_DEP_3)
	v_fmac_f32_e32 v117, v1, v8
	v_fma_f32 v121, v0, v8, -v9
	s_delay_alu instid0(VALU_DEP_4) | instskip(NEXT) | instid1(VALU_DEP_4)
	v_fmac_f32_e32 v118, v3, v10
	v_fma_f32 v124, v2, v10, -v11
	ds_load_2addr_b64 v[0:3], v106 offset0:51 offset1:52
	s_wait_loadcnt_dscnt 0x401
	v_mul_f32_e32 v125, v4, v13
	v_dual_mul_f32 v8, v5, v13 :: v_dual_mul_f32 v13, v6, v15
	v_mul_f32_e32 v9, v7, v15
	s_delay_alu instid0(VALU_DEP_3) | instskip(NEXT) | instid1(VALU_DEP_3)
	v_fmac_f32_e32 v125, v5, v12
	v_fma_f32 v12, v4, v12, -v8
	s_delay_alu instid0(VALU_DEP_4) | instskip(NEXT) | instid1(VALU_DEP_4)
	v_fmac_f32_e32 v13, v7, v14
	;; [unrolled: 11-line block ×4, first 2 shown]
	v_fma_f32 v22, v6, v22, -v9
	ds_load_2addr_b64 v[4:7], v106 offset0:57 offset1:58
	s_wait_loadcnt_dscnt 0x101
	v_mul_f32_e32 v23, v0, v108
	v_mul_f32_e32 v8, v1, v108
	;; [unrolled: 1-line block ×4, first 2 shown]
	s_delay_alu instid0(VALU_DEP_4) | instskip(NEXT) | instid1(VALU_DEP_4)
	v_fmac_f32_e32 v23, v1, v107
	v_fma_f32 v107, v0, v107, -v8
	s_delay_alu instid0(VALU_DEP_4) | instskip(NEXT) | instid1(VALU_DEP_4)
	v_fmac_f32_e32 v108, v3, v109
	v_fma_f32 v109, v2, v109, -v9
	s_clause 0x1
	scratch_load_b128 v[0:3], off, off offset:120
	scratch_load_b128 v[8:11], off, off offset:136
	s_wait_loadcnt_dscnt 0x100
	v_mul_f32_e32 v110, v4, v1
	v_mul_f32_e32 v1, v5, v1
	s_delay_alu instid0(VALU_DEP_2) | instskip(NEXT) | instid1(VALU_DEP_2)
	v_dual_mul_f32 v127, v6, v3 :: v_dual_fmac_f32 v110, v5, v0
	v_fma_f32 v126, v4, v0, -v1
	v_mul_f32_e32 v0, v7, v3
	s_delay_alu instid0(VALU_DEP_3) | instskip(NEXT) | instid1(VALU_DEP_2)
	v_fmac_f32_e32 v127, v7, v2
	v_fma_f32 v128, v6, v2, -v0
	ds_load_2addr_b64 v[0:3], v106 offset0:59 offset1:60
	ds_load_2addr_b64 v[4:7], v106 offset0:61 offset1:62
	s_wait_loadcnt_dscnt 0x1
	v_mul_f32_e32 v129, v0, v9
	v_mul_f32_e32 v131, v2, v11
	s_delay_alu instid0(VALU_DEP_2) | instskip(SKIP_1) | instid1(VALU_DEP_3)
	v_fmac_f32_e32 v129, v1, v8
	v_mul_f32_e32 v1, v1, v9
	v_fmac_f32_e32 v131, v3, v10
	s_delay_alu instid0(VALU_DEP_2) | instskip(SKIP_1) | instid1(VALU_DEP_1)
	v_fma_f32 v130, v0, v8, -v1
	v_mul_f32_e32 v0, v3, v11
	v_fma_f32 v132, v2, v10, -v0
	s_clause 0x1
	scratch_load_b128 v[0:3], off, off offset:152
	scratch_load_b128 v[8:11], off, off offset:168
	s_wait_loadcnt_dscnt 0x100
	v_mul_f32_e32 v133, v4, v1
	v_mul_f32_e32 v1, v5, v1
	;; [unrolled: 1-line block ×3, first 2 shown]
	s_delay_alu instid0(VALU_DEP_3) | instskip(NEXT) | instid1(VALU_DEP_3)
	v_fmac_f32_e32 v133, v5, v0
	v_fma_f32 v134, v4, v0, -v1
	v_mul_f32_e32 v0, v7, v3
	s_delay_alu instid0(VALU_DEP_4) | instskip(NEXT) | instid1(VALU_DEP_2)
	v_fmac_f32_e32 v135, v7, v2
	v_fma_f32 v136, v6, v2, -v0
	ds_load_2addr_b64 v[0:3], v106 offset0:63 offset1:64
	ds_load_2addr_b64 v[4:7], v106 offset0:65 offset1:66
	s_wait_loadcnt_dscnt 0x1
	v_mul_f32_e32 v137, v0, v9
	s_delay_alu instid0(VALU_DEP_1) | instskip(SKIP_2) | instid1(VALU_DEP_2)
	v_fmac_f32_e32 v137, v1, v8
	v_mul_f32_e32 v1, v1, v9
	v_mul_f32_e32 v139, v2, v11
	v_fma_f32 v138, v0, v8, -v1
	v_mul_f32_e32 v0, v3, v11
	s_delay_alu instid0(VALU_DEP_3) | instskip(NEXT) | instid1(VALU_DEP_2)
	v_fmac_f32_e32 v139, v3, v10
	v_fma_f32 v140, v2, v10, -v0
	s_clause 0x1
	scratch_load_b128 v[0:3], off, off offset:184
	scratch_load_b128 v[8:11], off, off offset:200
	s_wait_loadcnt_dscnt 0x100
	v_mul_f32_e32 v141, v4, v1
	v_mul_f32_e32 v1, v5, v1
	;; [unrolled: 1-line block ×3, first 2 shown]
	s_delay_alu instid0(VALU_DEP_3) | instskip(NEXT) | instid1(VALU_DEP_3)
	v_fmac_f32_e32 v141, v5, v0
	v_fma_f32 v142, v4, v0, -v1
	v_mul_f32_e32 v0, v7, v3
	s_delay_alu instid0(VALU_DEP_4) | instskip(NEXT) | instid1(VALU_DEP_2)
	v_fmac_f32_e32 v143, v7, v2
	v_fma_f32 v144, v6, v2, -v0
	ds_load_2addr_b64 v[0:3], v106 offset0:67 offset1:68
	ds_load_2addr_b64 v[4:7], v106 offset0:69 offset1:70
	s_wait_loadcnt_dscnt 0x1
	v_mul_f32_e32 v145, v0, v9
	v_mul_f32_e32 v147, v2, v11
	s_delay_alu instid0(VALU_DEP_2) | instskip(SKIP_1) | instid1(VALU_DEP_3)
	v_fmac_f32_e32 v145, v1, v8
	v_mul_f32_e32 v1, v1, v9
	v_fmac_f32_e32 v147, v3, v10
	s_delay_alu instid0(VALU_DEP_2) | instskip(SKIP_1) | instid1(VALU_DEP_1)
	v_fma_f32 v146, v0, v8, -v1
	v_mul_f32_e32 v0, v3, v11
	v_fma_f32 v148, v2, v10, -v0
	s_clause 0x1
	scratch_load_b128 v[0:3], off, off offset:216
	scratch_load_b128 v[8:11], off, off offset:232
	s_wait_loadcnt_dscnt 0x100
	v_mul_f32_e32 v149, v4, v1
	v_mul_f32_e32 v1, v5, v1
	;; [unrolled: 1-line block ×3, first 2 shown]
	s_delay_alu instid0(VALU_DEP_3) | instskip(NEXT) | instid1(VALU_DEP_3)
	v_fmac_f32_e32 v149, v5, v0
	v_fma_f32 v150, v4, v0, -v1
	v_dual_mul_f32 v0, v7, v3 :: v_dual_add_f32 v1, 0, v122
	s_delay_alu instid0(VALU_DEP_4) | instskip(NEXT) | instid1(VALU_DEP_2)
	v_fmac_f32_e32 v151, v7, v2
	v_fma_f32 v152, v6, v2, -v0
	v_add_f32_e32 v0, 0, v111
	s_delay_alu instid0(VALU_DEP_1) | instskip(NEXT) | instid1(VALU_DEP_1)
	v_dual_add_f32 v1, v1, v123 :: v_dual_add_f32 v0, v0, v112
	v_dual_add_f32 v1, v1, v113 :: v_dual_add_f32 v0, v0, v115
	s_delay_alu instid0(VALU_DEP_1) | instskip(NEXT) | instid1(VALU_DEP_1)
	v_dual_add_f32 v1, v1, v114 :: v_dual_add_f32 v0, v0, v116
	v_add_f32_e32 v1, v1, v117
	s_delay_alu instid0(VALU_DEP_1) | instskip(NEXT) | instid1(VALU_DEP_1)
	v_dual_add_f32 v0, v0, v121 :: v_dual_add_f32 v1, v1, v118
	v_dual_add_f32 v0, v0, v124 :: v_dual_add_f32 v1, v1, v125
	s_delay_alu instid0(VALU_DEP_1) | instskip(NEXT) | instid1(VALU_DEP_1)
	v_dual_add_f32 v0, v0, v12 :: v_dual_add_f32 v1, v1, v13
	v_dual_add_f32 v0, v0, v14 :: v_dual_add_f32 v1, v1, v15
	s_delay_alu instid0(VALU_DEP_1) | instskip(NEXT) | instid1(VALU_DEP_1)
	v_dual_add_f32 v0, v0, v16 :: v_dual_add_f32 v1, v1, v17
	v_dual_add_f32 v0, v0, v18 :: v_dual_add_f32 v1, v1, v19
	s_delay_alu instid0(VALU_DEP_1) | instskip(NEXT) | instid1(VALU_DEP_1)
	v_dual_add_f32 v0, v0, v20 :: v_dual_add_f32 v1, v1, v21
	v_dual_add_f32 v0, v0, v22 :: v_dual_add_f32 v1, v1, v23
	s_delay_alu instid0(VALU_DEP_1) | instskip(NEXT) | instid1(VALU_DEP_1)
	v_dual_add_f32 v0, v0, v107 :: v_dual_add_f32 v5, v1, v108
	v_dual_add_f32 v4, v0, v109 :: v_dual_add_f32 v13, v5, v110
	ds_load_2addr_b64 v[0:3], v106 offset0:71 offset1:72
	v_add_f32_e32 v12, v4, v126
	scratch_load_b128 v[4:7], off, off offset:248
	v_dual_add_f32 v13, v13, v127 :: v_dual_add_f32 v12, v12, v128
	s_delay_alu instid0(VALU_DEP_1) | instskip(NEXT) | instid1(VALU_DEP_2)
	v_add_f32_e32 v16, v13, v129
	v_add_f32_e32 v12, v12, v130
	s_delay_alu instid0(VALU_DEP_2) | instskip(NEXT) | instid1(VALU_DEP_2)
	v_add_f32_e32 v16, v16, v131
	v_add_f32_e32 v17, v12, v132
	ds_load_2addr_b64 v[12:15], v106 offset0:73 offset1:74
	s_wait_loadcnt_dscnt 0x101
	v_mul_f32_e32 v115, v0, v9
	v_dual_mul_f32 v9, v1, v9 :: v_dual_mul_f32 v116, v2, v11
	v_mul_f32_e32 v11, v3, v11
	v_add_f32_e32 v17, v17, v134
	s_delay_alu instid0(VALU_DEP_4) | instskip(NEXT) | instid1(VALU_DEP_4)
	v_fmac_f32_e32 v115, v1, v8
	v_fma_f32 v111, v0, v8, -v9
	v_fmac_f32_e32 v116, v3, v10
	v_fma_f32 v117, v2, v10, -v11
	scratch_load_b128 v[0:3], off, off offset:264
	v_dual_add_f32 v16, v16, v133 :: v_dual_add_f32 v17, v17, v136
	scratch_load_b128 v[8:11], off, off offset:280
	v_dual_add_f32 v16, v16, v135 :: v_dual_add_f32 v17, v17, v138
	s_delay_alu instid0(VALU_DEP_1) | instskip(NEXT) | instid1(VALU_DEP_1)
	v_add_f32_e32 v16, v16, v137
	v_dual_add_f32 v20, v17, v140 :: v_dual_add_f32 v21, v16, v139
	scratch_load_b128 v[16:19], off, off offset:296
	v_add_f32_e32 v107, v20, v142
	s_delay_alu instid0(VALU_DEP_1) | instskip(SKIP_1) | instid1(VALU_DEP_1)
	v_add_f32_e32 v107, v107, v144
	s_wait_loadcnt_dscnt 0x300
	v_dual_add_f32 v107, v107, v146 :: v_dual_mul_f32 v118, v12, v5
	v_add_f32_e32 v108, v21, v141
	scratch_load_b128 v[20:23], off, off offset:312
	v_mul_f32_e32 v5, v13, v5
	v_mul_f32_e32 v121, v14, v7
	v_mul_f32_e32 v7, v15, v7
	v_add_f32_e32 v108, v108, v143
	v_fmac_f32_e32 v118, v13, v4
	v_fma_f32 v122, v12, v4, -v5
	v_add_f32_e32 v12, v107, v148
	s_delay_alu instid0(VALU_DEP_4)
	v_dual_fmac_f32 v121, v15, v6 :: v_dual_add_f32 v108, v108, v145
	v_fma_f32 v123, v14, v6, -v7
	ds_load_2addr_b64 v[4:7], v106 offset0:75 offset1:76
	v_add_f32_e32 v107, v108, v147
	v_add_f32_e32 v108, v12, v150
	ds_load_2addr_b64 v[12:15], v106 offset0:77 offset1:78
	v_dual_add_f32 v107, v107, v149 :: v_dual_add_f32 v112, v108, v152
	s_delay_alu instid0(VALU_DEP_1)
	v_add_f32_e32 v124, v107, v151
	ds_load_2addr_b64 v[107:110], v106 offset0:79 offset1:80
	v_add_f32_e32 v125, v112, v111
	ds_load_2addr_b64 v[111:114], v106 offset0:81 offset1:82
	v_dual_add_f32 v106, v124, v115 :: v_dual_add_f32 v117, v125, v117
	s_wait_loadcnt_dscnt 0x303
	v_mul_f32_e32 v115, v4, v1
	s_delay_alu instid0(VALU_DEP_2) | instskip(SKIP_2) | instid1(VALU_DEP_3)
	v_dual_mul_f32 v1, v5, v1 :: v_dual_add_f32 v106, v106, v116
	v_mul_f32_e32 v124, v6, v3
	v_dual_add_f32 v116, v117, v122 :: v_dual_mul_f32 v3, v7, v3
	v_dual_fmac_f32 v115, v5, v0 :: v_dual_add_f32 v106, v106, v118
	s_delay_alu instid0(VALU_DEP_4) | instskip(NEXT) | instid1(VALU_DEP_3)
	v_fma_f32 v0, v4, v0, -v1
	v_add_f32_e32 v4, v116, v123
	s_wait_loadcnt_dscnt 0x202
	v_dual_mul_f32 v117, v12, v9 :: v_dual_fmac_f32 v124, v7, v2
	v_add_f32_e32 v5, v106, v121
	v_fma_f32 v1, v6, v2, -v3
	v_dual_mul_f32 v7, v13, v9 :: v_dual_add_f32 v0, v4, v0
	v_mul_f32_e32 v118, v14, v11
	s_delay_alu instid0(VALU_DEP_4)
	v_add_f32_e32 v4, v5, v115
	v_mul_f32_e32 v5, v15, v11
	v_fmac_f32_e32 v117, v13, v8
	v_fma_f32 v7, v12, v8, -v7
	v_add_f32_e32 v0, v0, v1
	s_wait_loadcnt_dscnt 0x101
	v_dual_add_f32 v1, v4, v124 :: v_dual_mul_f32 v2, v107, v17
	v_mul_f32_e32 v4, v108, v17
	v_fmac_f32_e32 v118, v15, v10
	v_fma_f32 v5, v14, v10, -v5
	s_delay_alu instid0(VALU_DEP_4) | instskip(SKIP_3) | instid1(VALU_DEP_4)
	v_dual_add_f32 v0, v0, v7 :: v_dual_add_f32 v1, v1, v117
	v_mul_f32_e32 v3, v109, v19
	v_dual_mul_f32 v7, v110, v19 :: v_dual_fmac_f32 v2, v108, v16
	v_fma_f32 v4, v107, v16, -v4
	v_dual_add_f32 v0, v0, v5 :: v_dual_add_f32 v1, v1, v118
	s_delay_alu instid0(VALU_DEP_4) | instskip(NEXT) | instid1(VALU_DEP_4)
	v_fmac_f32_e32 v3, v110, v18
	v_fma_f32 v7, v109, v18, -v7
	s_delay_alu instid0(VALU_DEP_3) | instskip(NEXT) | instid1(VALU_DEP_1)
	v_dual_add_f32 v0, v0, v4 :: v_dual_add_f32 v1, v1, v2
	v_add_f32_e32 v0, v0, v7
	s_wait_loadcnt_dscnt 0x0
	s_delay_alu instid0(VALU_DEP_2) | instskip(SKIP_3) | instid1(VALU_DEP_4)
	v_dual_add_f32 v1, v1, v3 :: v_dual_mul_f32 v6, v111, v21
	v_mul_f32_e32 v5, v112, v21
	v_mul_f32_e32 v9, v113, v23
	;; [unrolled: 1-line block ×3, first 2 shown]
	v_fmac_f32_e32 v6, v112, v20
	s_delay_alu instid0(VALU_DEP_4) | instskip(NEXT) | instid1(VALU_DEP_4)
	v_fma_f32 v4, v111, v20, -v5
	v_fmac_f32_e32 v9, v114, v22
	s_delay_alu instid0(VALU_DEP_4) | instskip(NEXT) | instid1(VALU_DEP_3)
	v_fma_f32 v2, v113, v22, -v2
	v_dual_add_f32 v1, v1, v6 :: v_dual_add_f32 v0, v0, v4
	s_delay_alu instid0(VALU_DEP_1) | instskip(NEXT) | instid1(VALU_DEP_1)
	v_dual_add_f32 v1, v1, v9 :: v_dual_add_f32 v0, v0, v2
	v_dual_sub_f32 v1, v120, v1 :: v_dual_sub_f32 v0, v119, v0
	scratch_store_b64 off, v[0:1], off
	s_wait_alu 0xfffe
	s_cbranch_vccz .LBB104_340
; %bb.260:
	v_mov_b32_e32 v0, 0
	global_load_b32 v1, v0, s[2:3] offset:156
	s_wait_loadcnt 0x0
	v_cmp_ne_u32_e32 vcc_lo, 40, v1
	s_cbranch_vccz .LBB104_262
; %bb.261:
	v_lshlrev_b32_e32 v1, 3, v1
	s_delay_alu instid0(VALU_DEP_1)
	v_mov_b32_e32 v5, v1
	scratch_load_b64 v[1:2], v5, off offset:-8
	scratch_load_b64 v[3:4], off, off offset:312
	s_wait_loadcnt 0x1
	scratch_store_b64 off, v[1:2], off offset:312
	s_wait_loadcnt 0x0
	scratch_store_b64 v5, v[3:4], off offset:-8
.LBB104_262:
	global_load_b32 v0, v0, s[2:3] offset:152
	s_wait_loadcnt 0x0
	v_cmp_eq_u32_e32 vcc_lo, 39, v0
	s_cbranch_vccnz .LBB104_264
; %bb.263:
	v_lshlrev_b32_e32 v0, 3, v0
	s_delay_alu instid0(VALU_DEP_1)
	v_mov_b32_e32 v4, v0
	scratch_load_b64 v[0:1], v4, off offset:-8
	scratch_load_b64 v[2:3], off, off offset:304
	s_wait_loadcnt 0x1
	scratch_store_b64 off, v[0:1], off offset:304
	s_wait_loadcnt 0x0
	scratch_store_b64 v4, v[2:3], off offset:-8
.LBB104_264:
	v_mov_b32_e32 v0, 0
	global_load_b32 v1, v0, s[2:3] offset:148
	s_wait_loadcnt 0x0
	v_cmp_eq_u32_e32 vcc_lo, 38, v1
	s_cbranch_vccnz .LBB104_266
; %bb.265:
	v_lshlrev_b32_e32 v1, 3, v1
	s_delay_alu instid0(VALU_DEP_1)
	v_mov_b32_e32 v5, v1
	scratch_load_b64 v[1:2], v5, off offset:-8
	scratch_load_b64 v[3:4], off, off offset:296
	s_wait_loadcnt 0x1
	scratch_store_b64 off, v[1:2], off offset:296
	s_wait_loadcnt 0x0
	scratch_store_b64 v5, v[3:4], off offset:-8
.LBB104_266:
	global_load_b32 v0, v0, s[2:3] offset:144
	s_wait_loadcnt 0x0
	v_cmp_eq_u32_e32 vcc_lo, 37, v0
	s_cbranch_vccnz .LBB104_268
; %bb.267:
	v_lshlrev_b32_e32 v0, 3, v0
	s_delay_alu instid0(VALU_DEP_1)
	v_mov_b32_e32 v4, v0
	scratch_load_b64 v[0:1], v4, off offset:-8
	scratch_load_b64 v[2:3], off, off offset:288
	s_wait_loadcnt 0x1
	scratch_store_b64 off, v[0:1], off offset:288
	s_wait_loadcnt 0x0
	scratch_store_b64 v4, v[2:3], off offset:-8
.LBB104_268:
	v_mov_b32_e32 v0, 0
	global_load_b32 v1, v0, s[2:3] offset:140
	s_wait_loadcnt 0x0
	v_cmp_eq_u32_e32 vcc_lo, 36, v1
	s_cbranch_vccnz .LBB104_270
; %bb.269:
	v_lshlrev_b32_e32 v1, 3, v1
	s_delay_alu instid0(VALU_DEP_1)
	v_mov_b32_e32 v5, v1
	scratch_load_b64 v[1:2], v5, off offset:-8
	scratch_load_b64 v[3:4], off, off offset:280
	s_wait_loadcnt 0x1
	scratch_store_b64 off, v[1:2], off offset:280
	s_wait_loadcnt 0x0
	scratch_store_b64 v5, v[3:4], off offset:-8
.LBB104_270:
	;; [unrolled: 31-line block ×19, first 2 shown]
	global_load_b32 v0, v0, s[2:3]
	s_wait_loadcnt 0x0
	v_cmp_eq_u32_e32 vcc_lo, 1, v0
	s_cbranch_vccnz .LBB104_340
; %bb.339:
	v_lshlrev_b32_e32 v0, 3, v0
	s_delay_alu instid0(VALU_DEP_1)
	v_mov_b32_e32 v4, v0
	scratch_load_b64 v[0:1], v4, off offset:-8
	scratch_load_b64 v[2:3], off, off
	s_wait_loadcnt 0x1
	scratch_store_b64 off, v[0:1], off
	s_wait_loadcnt 0x0
	scratch_store_b64 v4, v[2:3], off offset:-8
.LBB104_340:
	scratch_load_b64 v[0:1], off, off
	s_wait_loadcnt 0x0
	flat_store_b64 v[24:25], v[0:1]
	scratch_load_b64 v[0:1], off, off offset:8
	s_wait_loadcnt 0x0
	flat_store_b64 v[26:27], v[0:1]
	scratch_load_b64 v[0:1], off, off offset:16
	;; [unrolled: 3-line block ×40, first 2 shown]
	s_wait_loadcnt 0x0
	flat_store_b64 v[104:105], v[0:1]
	s_nop 0
	s_sendmsg sendmsg(MSG_DEALLOC_VGPRS)
	s_endpgm
	.section	.rodata,"a",@progbits
	.p2align	6, 0x0
	.amdhsa_kernel _ZN9rocsolver6v33100L18getri_kernel_smallILi41E19rocblas_complex_numIfEPKPS3_EEvT1_iilPiilS8_bb
		.amdhsa_group_segment_fixed_size 664
		.amdhsa_private_segment_fixed_size 336
		.amdhsa_kernarg_size 60
		.amdhsa_user_sgpr_count 2
		.amdhsa_user_sgpr_dispatch_ptr 0
		.amdhsa_user_sgpr_queue_ptr 0
		.amdhsa_user_sgpr_kernarg_segment_ptr 1
		.amdhsa_user_sgpr_dispatch_id 0
		.amdhsa_user_sgpr_private_segment_size 0
		.amdhsa_wavefront_size32 1
		.amdhsa_uses_dynamic_stack 0
		.amdhsa_enable_private_segment 1
		.amdhsa_system_sgpr_workgroup_id_x 1
		.amdhsa_system_sgpr_workgroup_id_y 0
		.amdhsa_system_sgpr_workgroup_id_z 0
		.amdhsa_system_sgpr_workgroup_info 0
		.amdhsa_system_vgpr_workitem_id 0
		.amdhsa_next_free_vgpr 252
		.amdhsa_next_free_sgpr 19
		.amdhsa_reserve_vcc 1
		.amdhsa_float_round_mode_32 0
		.amdhsa_float_round_mode_16_64 0
		.amdhsa_float_denorm_mode_32 3
		.amdhsa_float_denorm_mode_16_64 3
		.amdhsa_fp16_overflow 0
		.amdhsa_workgroup_processor_mode 1
		.amdhsa_memory_ordered 1
		.amdhsa_forward_progress 1
		.amdhsa_inst_pref_size 255
		.amdhsa_round_robin_scheduling 0
		.amdhsa_exception_fp_ieee_invalid_op 0
		.amdhsa_exception_fp_denorm_src 0
		.amdhsa_exception_fp_ieee_div_zero 0
		.amdhsa_exception_fp_ieee_overflow 0
		.amdhsa_exception_fp_ieee_underflow 0
		.amdhsa_exception_fp_ieee_inexact 0
		.amdhsa_exception_int_div_zero 0
	.end_amdhsa_kernel
	.section	.text._ZN9rocsolver6v33100L18getri_kernel_smallILi41E19rocblas_complex_numIfEPKPS3_EEvT1_iilPiilS8_bb,"axG",@progbits,_ZN9rocsolver6v33100L18getri_kernel_smallILi41E19rocblas_complex_numIfEPKPS3_EEvT1_iilPiilS8_bb,comdat
.Lfunc_end104:
	.size	_ZN9rocsolver6v33100L18getri_kernel_smallILi41E19rocblas_complex_numIfEPKPS3_EEvT1_iilPiilS8_bb, .Lfunc_end104-_ZN9rocsolver6v33100L18getri_kernel_smallILi41E19rocblas_complex_numIfEPKPS3_EEvT1_iilPiilS8_bb
                                        ; -- End function
	.set _ZN9rocsolver6v33100L18getri_kernel_smallILi41E19rocblas_complex_numIfEPKPS3_EEvT1_iilPiilS8_bb.num_vgpr, 252
	.set _ZN9rocsolver6v33100L18getri_kernel_smallILi41E19rocblas_complex_numIfEPKPS3_EEvT1_iilPiilS8_bb.num_agpr, 0
	.set _ZN9rocsolver6v33100L18getri_kernel_smallILi41E19rocblas_complex_numIfEPKPS3_EEvT1_iilPiilS8_bb.numbered_sgpr, 19
	.set _ZN9rocsolver6v33100L18getri_kernel_smallILi41E19rocblas_complex_numIfEPKPS3_EEvT1_iilPiilS8_bb.num_named_barrier, 0
	.set _ZN9rocsolver6v33100L18getri_kernel_smallILi41E19rocblas_complex_numIfEPKPS3_EEvT1_iilPiilS8_bb.private_seg_size, 336
	.set _ZN9rocsolver6v33100L18getri_kernel_smallILi41E19rocblas_complex_numIfEPKPS3_EEvT1_iilPiilS8_bb.uses_vcc, 1
	.set _ZN9rocsolver6v33100L18getri_kernel_smallILi41E19rocblas_complex_numIfEPKPS3_EEvT1_iilPiilS8_bb.uses_flat_scratch, 1
	.set _ZN9rocsolver6v33100L18getri_kernel_smallILi41E19rocblas_complex_numIfEPKPS3_EEvT1_iilPiilS8_bb.has_dyn_sized_stack, 0
	.set _ZN9rocsolver6v33100L18getri_kernel_smallILi41E19rocblas_complex_numIfEPKPS3_EEvT1_iilPiilS8_bb.has_recursion, 0
	.set _ZN9rocsolver6v33100L18getri_kernel_smallILi41E19rocblas_complex_numIfEPKPS3_EEvT1_iilPiilS8_bb.has_indirect_call, 0
	.section	.AMDGPU.csdata,"",@progbits
; Kernel info:
; codeLenInByte = 61460
; TotalNumSgprs: 21
; NumVgprs: 252
; ScratchSize: 336
; MemoryBound: 0
; FloatMode: 240
; IeeeMode: 1
; LDSByteSize: 664 bytes/workgroup (compile time only)
; SGPRBlocks: 0
; VGPRBlocks: 31
; NumSGPRsForWavesPerEU: 21
; NumVGPRsForWavesPerEU: 252
; Occupancy: 5
; WaveLimiterHint : 1
; COMPUTE_PGM_RSRC2:SCRATCH_EN: 1
; COMPUTE_PGM_RSRC2:USER_SGPR: 2
; COMPUTE_PGM_RSRC2:TRAP_HANDLER: 0
; COMPUTE_PGM_RSRC2:TGID_X_EN: 1
; COMPUTE_PGM_RSRC2:TGID_Y_EN: 0
; COMPUTE_PGM_RSRC2:TGID_Z_EN: 0
; COMPUTE_PGM_RSRC2:TIDIG_COMP_CNT: 0
	.section	.text._ZN9rocsolver6v33100L18getri_kernel_smallILi42E19rocblas_complex_numIfEPKPS3_EEvT1_iilPiilS8_bb,"axG",@progbits,_ZN9rocsolver6v33100L18getri_kernel_smallILi42E19rocblas_complex_numIfEPKPS3_EEvT1_iilPiilS8_bb,comdat
	.globl	_ZN9rocsolver6v33100L18getri_kernel_smallILi42E19rocblas_complex_numIfEPKPS3_EEvT1_iilPiilS8_bb ; -- Begin function _ZN9rocsolver6v33100L18getri_kernel_smallILi42E19rocblas_complex_numIfEPKPS3_EEvT1_iilPiilS8_bb
	.p2align	8
	.type	_ZN9rocsolver6v33100L18getri_kernel_smallILi42E19rocblas_complex_numIfEPKPS3_EEvT1_iilPiilS8_bb,@function
_ZN9rocsolver6v33100L18getri_kernel_smallILi42E19rocblas_complex_numIfEPKPS3_EEvT1_iilPiilS8_bb: ; @_ZN9rocsolver6v33100L18getri_kernel_smallILi42E19rocblas_complex_numIfEPKPS3_EEvT1_iilPiilS8_bb
; %bb.0:
	s_mov_b32 s2, exec_lo
	v_cmpx_gt_u32_e32 42, v0
	s_cbranch_execz .LBB105_182
; %bb.1:
	s_clause 0x1
	s_load_b32 s13, s[0:1], 0x38
	s_load_b64 s[2:3], s[0:1], 0x0
	s_mov_b32 s8, ttmp9
	s_load_b128 s[4:7], s[0:1], 0x28
	s_wait_kmcnt 0x0
	s_bitcmp1_b32 s13, 8
	s_cselect_b32 s12, -1, 0
	s_ashr_i32 s9, ttmp9, 31
	s_delay_alu instid0(SALU_CYCLE_1) | instskip(NEXT) | instid1(SALU_CYCLE_1)
	s_lshl_b64 s[10:11], s[8:9], 3
	s_add_nc_u64 s[2:3], s[2:3], s[10:11]
	s_load_b64 s[10:11], s[2:3], 0x0
	s_bfe_u32 s2, s13, 0x10008
	s_delay_alu instid0(SALU_CYCLE_1)
	s_cmp_eq_u32 s2, 0
                                        ; implicit-def: $sgpr2_sgpr3
	s_cbranch_scc1 .LBB105_3
; %bb.2:
	s_load_b96 s[16:18], s[0:1], 0x18
	s_mul_u64 s[2:3], s[4:5], s[8:9]
	s_delay_alu instid0(SALU_CYCLE_1)
	s_lshl_b64 s[2:3], s[2:3], 2
	s_wait_kmcnt 0x0
	s_ashr_i32 s5, s18, 31
	s_mov_b32 s4, s18
	s_add_nc_u64 s[2:3], s[16:17], s[2:3]
	s_lshl_b64 s[4:5], s[4:5], 2
	s_delay_alu instid0(SALU_CYCLE_1)
	s_add_nc_u64 s[2:3], s[2:3], s[4:5]
.LBB105_3:
	s_clause 0x1
	s_load_b64 s[4:5], s[0:1], 0x8
	s_load_b32 s13, s[0:1], 0x38
	v_lshlrev_b32_e32 v7, 3, v0
	s_wait_kmcnt 0x0
	s_ashr_i32 s1, s4, 31
	s_mov_b32 s0, s4
	v_add3_u32 v3, s5, s5, v0
	s_lshl_b64 s[0:1], s[0:1], 3
	s_delay_alu instid0(SALU_CYCLE_1)
	s_add_nc_u64 s[0:1], s[10:11], s[0:1]
	s_ashr_i32 s11, s5, 31
	v_add_co_u32 v28, s4, s0, v7
	s_wait_alu 0xf1ff
	v_add_co_ci_u32_e64 v29, null, s1, 0, s4
	s_mov_b32 s10, s5
	v_ashrrev_i32_e32 v4, 31, v3
	s_lshl_b64 s[10:11], s[10:11], 3
	flat_load_b64 v[1:2], v[28:29]
	v_add_co_u32 v30, vcc_lo, v28, s10
	s_delay_alu instid0(VALU_DEP_1) | instskip(SKIP_3) | instid1(VALU_DEP_2)
	v_add_co_ci_u32_e64 v31, null, s11, v29, vcc_lo
	v_lshlrev_b64_e32 v[4:5], 3, v[3:4]
	v_add_nc_u32_e32 v3, s5, v3
	s_bitcmp0_b32 s13, 0
	v_add_co_u32 v32, vcc_lo, s0, v4
	s_wait_alu 0xfffd
	s_delay_alu instid0(VALU_DEP_3) | instskip(SKIP_1) | instid1(VALU_DEP_1)
	v_add_co_ci_u32_e64 v33, null, s1, v5, vcc_lo
	v_ashrrev_i32_e32 v4, 31, v3
	v_lshlrev_b64_e32 v[4:5], 3, v[3:4]
	v_add_nc_u32_e32 v3, s5, v3
	s_delay_alu instid0(VALU_DEP_2) | instskip(SKIP_1) | instid1(VALU_DEP_3)
	v_add_co_u32 v34, vcc_lo, s0, v4
	s_wait_alu 0xfffd
	v_add_co_ci_u32_e64 v35, null, s1, v5, vcc_lo
	s_delay_alu instid0(VALU_DEP_3) | instskip(NEXT) | instid1(VALU_DEP_1)
	v_ashrrev_i32_e32 v4, 31, v3
	v_lshlrev_b64_e32 v[4:5], 3, v[3:4]
	v_add_nc_u32_e32 v3, s5, v3
	s_delay_alu instid0(VALU_DEP_2) | instskip(SKIP_1) | instid1(VALU_DEP_3)
	v_add_co_u32 v36, vcc_lo, s0, v4
	s_wait_alu 0xfffd
	v_add_co_ci_u32_e64 v37, null, s1, v5, vcc_lo
	s_delay_alu instid0(VALU_DEP_3) | instskip(NEXT) | instid1(VALU_DEP_1)
	;; [unrolled: 8-line block ×20, first 2 shown]
	v_ashrrev_i32_e32 v4, 31, v3
	v_lshlrev_b64_e32 v[4:5], 3, v[3:4]
	s_wait_loadcnt_dscnt 0x0
	scratch_store_b64 off, v[1:2], off
	flat_load_b64 v[1:2], v[30:31]
	v_add_nc_u32_e32 v3, s5, v3
	v_add_co_u32 v74, vcc_lo, s0, v4
	s_wait_alu 0xfffd
	v_add_co_ci_u32_e64 v75, null, s1, v5, vcc_lo
	s_delay_alu instid0(VALU_DEP_3) | instskip(NEXT) | instid1(VALU_DEP_1)
	v_ashrrev_i32_e32 v4, 31, v3
	v_lshlrev_b64_e32 v[4:5], 3, v[3:4]
	v_add_nc_u32_e32 v3, s5, v3
	s_delay_alu instid0(VALU_DEP_2) | instskip(SKIP_1) | instid1(VALU_DEP_3)
	v_add_co_u32 v76, vcc_lo, s0, v4
	s_wait_alu 0xfffd
	v_add_co_ci_u32_e64 v77, null, s1, v5, vcc_lo
	s_delay_alu instid0(VALU_DEP_3) | instskip(NEXT) | instid1(VALU_DEP_1)
	v_ashrrev_i32_e32 v4, 31, v3
	v_lshlrev_b64_e32 v[4:5], 3, v[3:4]
	v_add_nc_u32_e32 v3, s5, v3
	s_delay_alu instid0(VALU_DEP_2) | instskip(SKIP_1) | instid1(VALU_DEP_3)
	;; [unrolled: 8-line block ×17, first 2 shown]
	v_add_co_u32 v108, vcc_lo, s0, v4
	s_wait_alu 0xfffd
	v_add_co_ci_u32_e64 v109, null, s1, v5, vcc_lo
	s_delay_alu instid0(VALU_DEP_3) | instskip(NEXT) | instid1(VALU_DEP_1)
	v_ashrrev_i32_e32 v4, 31, v3
	v_lshlrev_b64_e32 v[3:4], 3, v[3:4]
	s_delay_alu instid0(VALU_DEP_1) | instskip(SKIP_1) | instid1(VALU_DEP_2)
	v_add_co_u32 v110, vcc_lo, s0, v3
	s_wait_alu 0xfffd
	v_add_co_ci_u32_e64 v111, null, s1, v4, vcc_lo
	s_mov_b32 s1, -1
	s_wait_loadcnt_dscnt 0x0
	scratch_store_b64 off, v[1:2], off offset:8
	flat_load_b64 v[1:2], v[32:33]
	s_wait_loadcnt_dscnt 0x0
	scratch_store_b64 off, v[1:2], off offset:16
	flat_load_b64 v[1:2], v[34:35]
	;; [unrolled: 3-line block ×40, first 2 shown]
	s_wait_loadcnt_dscnt 0x0
	scratch_store_b64 off, v[1:2], off offset:328
	s_cbranch_scc1 .LBB105_180
; %bb.4:
	v_cmp_eq_u32_e64 s0, 0, v0
	s_and_saveexec_b32 s1, s0
; %bb.5:
	v_mov_b32_e32 v1, 0
	ds_store_b32 v1, v1 offset:672
; %bb.6:
	s_wait_alu 0xfffe
	s_or_b32 exec_lo, exec_lo, s1
	s_wait_storecnt_dscnt 0x0
	s_barrier_signal -1
	s_barrier_wait -1
	global_inv scope:SCOPE_SE
	scratch_load_b64 v[1:2], v7, off
	s_wait_loadcnt 0x0
	v_cmp_eq_f32_e32 vcc_lo, 0, v1
	v_cmp_eq_f32_e64 s1, 0, v2
	s_and_b32 s1, vcc_lo, s1
	s_wait_alu 0xfffe
	s_and_saveexec_b32 s4, s1
	s_cbranch_execz .LBB105_10
; %bb.7:
	v_mov_b32_e32 v1, 0
	s_mov_b32 s5, 0
	ds_load_b32 v2, v1 offset:672
	s_wait_dscnt 0x0
	v_readfirstlane_b32 s1, v2
	v_add_nc_u32_e32 v2, 1, v0
	s_cmp_eq_u32 s1, 0
	s_delay_alu instid0(VALU_DEP_1)
	v_cmp_gt_i32_e32 vcc_lo, s1, v2
	s_cselect_b32 s10, -1, 0
	s_wait_alu 0xfffe
	s_or_b32 s10, s10, vcc_lo
	s_wait_alu 0xfffe
	s_and_b32 exec_lo, exec_lo, s10
	s_cbranch_execz .LBB105_10
; %bb.8:
	v_mov_b32_e32 v3, s1
.LBB105_9:                              ; =>This Inner Loop Header: Depth=1
	ds_cmpstore_rtn_b32 v3, v1, v2, v3 offset:672
	s_wait_dscnt 0x0
	v_cmp_ne_u32_e32 vcc_lo, 0, v3
	v_cmp_le_i32_e64 s1, v3, v2
	s_and_b32 s1, vcc_lo, s1
	s_wait_alu 0xfffe
	s_and_b32 s1, exec_lo, s1
	s_wait_alu 0xfffe
	s_or_b32 s5, s1, s5
	s_wait_alu 0xfffe
	s_and_not1_b32 exec_lo, exec_lo, s5
	s_cbranch_execnz .LBB105_9
.LBB105_10:
	s_wait_alu 0xfffe
	s_or_b32 exec_lo, exec_lo, s4
	v_mov_b32_e32 v1, 0
	s_barrier_signal -1
	s_barrier_wait -1
	global_inv scope:SCOPE_SE
	ds_load_b32 v2, v1 offset:672
	s_and_saveexec_b32 s1, s0
	s_cbranch_execz .LBB105_12
; %bb.11:
	s_lshl_b64 s[4:5], s[8:9], 2
	s_wait_alu 0xfffe
	s_add_nc_u64 s[4:5], s[6:7], s[4:5]
	s_wait_dscnt 0x0
	global_store_b32 v1, v2, s[4:5]
.LBB105_12:
	s_wait_alu 0xfffe
	s_or_b32 exec_lo, exec_lo, s1
	s_wait_dscnt 0x0
	v_cmp_ne_u32_e32 vcc_lo, 0, v2
	s_mov_b32 s1, 0
	s_cbranch_vccnz .LBB105_180
; %bb.13:
	v_mov_b32_e32 v8, v7
                                        ; implicit-def: $vgpr3
                                        ; implicit-def: $vgpr5
	scratch_load_b64 v[1:2], v8, off
	s_wait_loadcnt 0x0
	v_cmp_ngt_f32_e64 s1, |v1|, |v2|
	s_wait_alu 0xfffe
	s_and_saveexec_b32 s4, s1
	s_wait_alu 0xfffe
	s_xor_b32 s1, exec_lo, s4
	s_cbranch_execz .LBB105_15
; %bb.14:
	v_div_scale_f32 v3, null, v2, v2, v1
	v_div_scale_f32 v6, vcc_lo, v1, v2, v1
	s_delay_alu instid0(VALU_DEP_2) | instskip(NEXT) | instid1(TRANS32_DEP_1)
	v_rcp_f32_e32 v4, v3
	v_fma_f32 v5, -v3, v4, 1.0
	s_delay_alu instid0(VALU_DEP_1) | instskip(NEXT) | instid1(VALU_DEP_1)
	v_fmac_f32_e32 v4, v5, v4
	v_mul_f32_e32 v5, v6, v4
	s_delay_alu instid0(VALU_DEP_1) | instskip(NEXT) | instid1(VALU_DEP_1)
	v_fma_f32 v9, -v3, v5, v6
	v_fmac_f32_e32 v5, v9, v4
	s_delay_alu instid0(VALU_DEP_1) | instskip(SKIP_1) | instid1(VALU_DEP_1)
	v_fma_f32 v3, -v3, v5, v6
	s_wait_alu 0xfffd
	v_div_fmas_f32 v3, v3, v4, v5
	s_delay_alu instid0(VALU_DEP_1) | instskip(NEXT) | instid1(VALU_DEP_1)
	v_div_fixup_f32 v3, v3, v2, v1
	v_fmac_f32_e32 v2, v1, v3
	s_delay_alu instid0(VALU_DEP_1) | instskip(NEXT) | instid1(VALU_DEP_1)
	v_div_scale_f32 v1, null, v2, v2, 1.0
	v_rcp_f32_e32 v4, v1
	s_delay_alu instid0(TRANS32_DEP_1) | instskip(NEXT) | instid1(VALU_DEP_1)
	v_fma_f32 v5, -v1, v4, 1.0
	v_fmac_f32_e32 v4, v5, v4
	v_div_scale_f32 v5, vcc_lo, 1.0, v2, 1.0
	s_delay_alu instid0(VALU_DEP_1) | instskip(NEXT) | instid1(VALU_DEP_1)
	v_mul_f32_e32 v6, v5, v4
	v_fma_f32 v9, -v1, v6, v5
	s_delay_alu instid0(VALU_DEP_1) | instskip(NEXT) | instid1(VALU_DEP_1)
	v_fmac_f32_e32 v6, v9, v4
	v_fma_f32 v1, -v1, v6, v5
	s_wait_alu 0xfffd
	s_delay_alu instid0(VALU_DEP_1) | instskip(NEXT) | instid1(VALU_DEP_1)
	v_div_fmas_f32 v1, v1, v4, v6
	v_div_fixup_f32 v1, v1, v2, 1.0
	s_delay_alu instid0(VALU_DEP_1) | instskip(SKIP_1) | instid1(VALU_DEP_2)
	v_mul_f32_e32 v3, v3, v1
	v_xor_b32_e32 v4, 0x80000000, v1
                                        ; implicit-def: $vgpr1_vgpr2
	v_xor_b32_e32 v5, 0x80000000, v3
.LBB105_15:
	s_wait_alu 0xfffe
	s_and_not1_saveexec_b32 s1, s1
	s_cbranch_execz .LBB105_17
; %bb.16:
	v_div_scale_f32 v3, null, v1, v1, v2
	v_div_scale_f32 v6, vcc_lo, v2, v1, v2
	s_delay_alu instid0(VALU_DEP_2) | instskip(NEXT) | instid1(TRANS32_DEP_1)
	v_rcp_f32_e32 v4, v3
	v_fma_f32 v5, -v3, v4, 1.0
	s_delay_alu instid0(VALU_DEP_1) | instskip(NEXT) | instid1(VALU_DEP_1)
	v_fmac_f32_e32 v4, v5, v4
	v_mul_f32_e32 v5, v6, v4
	s_delay_alu instid0(VALU_DEP_1) | instskip(NEXT) | instid1(VALU_DEP_1)
	v_fma_f32 v9, -v3, v5, v6
	v_fmac_f32_e32 v5, v9, v4
	s_delay_alu instid0(VALU_DEP_1) | instskip(SKIP_1) | instid1(VALU_DEP_1)
	v_fma_f32 v3, -v3, v5, v6
	s_wait_alu 0xfffd
	v_div_fmas_f32 v3, v3, v4, v5
	s_delay_alu instid0(VALU_DEP_1) | instskip(NEXT) | instid1(VALU_DEP_1)
	v_div_fixup_f32 v4, v3, v1, v2
	v_fmac_f32_e32 v1, v2, v4
	s_delay_alu instid0(VALU_DEP_1) | instskip(SKIP_1) | instid1(VALU_DEP_2)
	v_div_scale_f32 v2, null, v1, v1, 1.0
	v_div_scale_f32 v6, vcc_lo, 1.0, v1, 1.0
	v_rcp_f32_e32 v3, v2
	s_delay_alu instid0(TRANS32_DEP_1) | instskip(NEXT) | instid1(VALU_DEP_1)
	v_fma_f32 v5, -v2, v3, 1.0
	v_fmac_f32_e32 v3, v5, v3
	s_delay_alu instid0(VALU_DEP_1) | instskip(NEXT) | instid1(VALU_DEP_1)
	v_mul_f32_e32 v5, v6, v3
	v_fma_f32 v9, -v2, v5, v6
	s_delay_alu instid0(VALU_DEP_1) | instskip(NEXT) | instid1(VALU_DEP_1)
	v_fmac_f32_e32 v5, v9, v3
	v_fma_f32 v2, -v2, v5, v6
	s_wait_alu 0xfffd
	s_delay_alu instid0(VALU_DEP_1) | instskip(NEXT) | instid1(VALU_DEP_1)
	v_div_fmas_f32 v2, v2, v3, v5
	v_div_fixup_f32 v3, v2, v1, 1.0
	s_delay_alu instid0(VALU_DEP_1)
	v_xor_b32_e32 v5, 0x80000000, v3
	v_mul_f32_e64 v4, v4, -v3
.LBB105_17:
	s_wait_alu 0xfffe
	s_or_b32 exec_lo, exec_lo, s1
	scratch_store_b64 v8, v[3:4], off
	scratch_load_b64 v[2:3], off, off offset:8
	v_xor_b32_e32 v6, 0x80000000, v4
	v_add_nc_u32_e32 v1, 0x150, v7
	s_wait_loadcnt 0x0
	ds_store_2addr_b64 v7, v[5:6], v[2:3] offset1:42
	s_wait_storecnt_dscnt 0x0
	s_barrier_signal -1
	s_barrier_wait -1
	global_inv scope:SCOPE_SE
	s_and_saveexec_b32 s1, s0
	s_cbranch_execz .LBB105_19
; %bb.18:
	scratch_load_b64 v[2:3], v8, off
	ds_load_b64 v[4:5], v1
	v_mov_b32_e32 v6, 0
	ds_load_b64 v[9:10], v6 offset:8
	s_wait_loadcnt_dscnt 0x1
	v_mul_f32_e32 v6, v4, v3
	v_mul_f32_e32 v3, v5, v3
	s_delay_alu instid0(VALU_DEP_2) | instskip(NEXT) | instid1(VALU_DEP_2)
	v_fmac_f32_e32 v6, v5, v2
	v_fma_f32 v2, v4, v2, -v3
	s_delay_alu instid0(VALU_DEP_2) | instskip(NEXT) | instid1(VALU_DEP_2)
	v_add_f32_e32 v4, 0, v6
	v_add_f32_e32 v2, 0, v2
	s_wait_dscnt 0x0
	s_delay_alu instid0(VALU_DEP_2) | instskip(NEXT) | instid1(VALU_DEP_2)
	v_mul_f32_e32 v5, v4, v10
	v_mul_f32_e32 v3, v2, v10
	s_delay_alu instid0(VALU_DEP_2) | instskip(NEXT) | instid1(VALU_DEP_2)
	v_fma_f32 v2, v2, v9, -v5
	v_fmac_f32_e32 v3, v4, v9
	scratch_store_b64 off, v[2:3], off offset:8
.LBB105_19:
	s_wait_alu 0xfffe
	s_or_b32 exec_lo, exec_lo, s1
	s_wait_loadcnt 0x0
	s_wait_storecnt 0x0
	s_barrier_signal -1
	s_barrier_wait -1
	global_inv scope:SCOPE_SE
	scratch_load_b64 v[2:3], off, off offset:16
	s_mov_b32 s1, exec_lo
	s_wait_loadcnt 0x0
	ds_store_b64 v1, v[2:3]
	s_wait_dscnt 0x0
	s_barrier_signal -1
	s_barrier_wait -1
	global_inv scope:SCOPE_SE
	v_cmpx_gt_u32_e32 2, v0
	s_cbranch_execz .LBB105_23
; %bb.20:
	scratch_load_b64 v[2:3], v8, off
	ds_load_b64 v[4:5], v1
	s_wait_loadcnt_dscnt 0x0
	v_mul_f32_e32 v6, v5, v3
	v_mul_f32_e32 v9, v4, v3
	s_delay_alu instid0(VALU_DEP_2) | instskip(NEXT) | instid1(VALU_DEP_2)
	v_fma_f32 v3, v4, v2, -v6
	v_fmac_f32_e32 v9, v5, v2
	s_delay_alu instid0(VALU_DEP_1)
	v_dual_add_f32 v3, 0, v3 :: v_dual_add_f32 v2, 0, v9
	s_and_saveexec_b32 s4, s0
	s_cbranch_execz .LBB105_22
; %bb.21:
	scratch_load_b64 v[4:5], off, off offset:8
	v_mov_b32_e32 v6, 0
	ds_load_b64 v[9:10], v6 offset:344
	s_wait_loadcnt_dscnt 0x0
	v_mul_f32_e32 v6, v9, v5
	v_mul_f32_e32 v5, v10, v5
	s_delay_alu instid0(VALU_DEP_2) | instskip(NEXT) | instid1(VALU_DEP_2)
	v_fmac_f32_e32 v6, v10, v4
	v_fma_f32 v4, v9, v4, -v5
	s_delay_alu instid0(VALU_DEP_1)
	v_dual_add_f32 v2, v2, v6 :: v_dual_add_f32 v3, v3, v4
.LBB105_22:
	s_wait_alu 0xfffe
	s_or_b32 exec_lo, exec_lo, s4
	v_mov_b32_e32 v4, 0
	ds_load_b64 v[4:5], v4 offset:16
	s_wait_dscnt 0x0
	v_mul_f32_e32 v9, v2, v5
	v_mul_f32_e32 v6, v3, v5
	s_delay_alu instid0(VALU_DEP_2) | instskip(NEXT) | instid1(VALU_DEP_2)
	v_fma_f32 v5, v3, v4, -v9
	v_fmac_f32_e32 v6, v2, v4
	scratch_store_b64 off, v[5:6], off offset:16
.LBB105_23:
	s_wait_alu 0xfffe
	s_or_b32 exec_lo, exec_lo, s1
	s_wait_loadcnt 0x0
	s_wait_storecnt 0x0
	s_barrier_signal -1
	s_barrier_wait -1
	global_inv scope:SCOPE_SE
	scratch_load_b64 v[3:4], off, off offset:24
	v_add_nc_u32_e32 v2, -1, v0
	s_mov_b32 s0, exec_lo
	s_wait_loadcnt 0x0
	ds_store_b64 v1, v[3:4]
	s_wait_dscnt 0x0
	s_barrier_signal -1
	s_barrier_wait -1
	global_inv scope:SCOPE_SE
	v_cmpx_gt_u32_e32 3, v0
	s_cbranch_execz .LBB105_27
; %bb.24:
	v_dual_mov_b32 v3, 0 :: v_dual_add_nc_u32 v4, -1, v0
	v_dual_mov_b32 v6, v7 :: v_dual_add_nc_u32 v5, 0x150, v7
	v_mov_b32_e32 v9, 0
	s_mov_b32 s1, 0
.LBB105_25:                             ; =>This Inner Loop Header: Depth=1
	scratch_load_b64 v[10:11], v6, off
	ds_load_b64 v[12:13], v5
	v_add_nc_u32_e32 v4, 1, v4
	v_add_nc_u32_e32 v5, 8, v5
	s_delay_alu instid0(VALU_DEP_2)
	v_cmp_lt_u32_e32 vcc_lo, 1, v4
	s_wait_alu 0xfffe
	s_or_b32 s1, vcc_lo, s1
	s_wait_loadcnt_dscnt 0x0
	v_mul_f32_e32 v14, v13, v11
	v_mul_f32_e32 v11, v12, v11
	s_delay_alu instid0(VALU_DEP_2) | instskip(NEXT) | instid1(VALU_DEP_2)
	v_fma_f32 v12, v12, v10, -v14
	v_fmac_f32_e32 v11, v13, v10
	s_delay_alu instid0(VALU_DEP_2) | instskip(NEXT) | instid1(VALU_DEP_2)
	v_dual_add_f32 v9, v9, v12 :: v_dual_add_nc_u32 v6, 8, v6
	v_add_f32_e32 v3, v3, v11
	s_wait_alu 0xfffe
	s_and_not1_b32 exec_lo, exec_lo, s1
	s_cbranch_execnz .LBB105_25
; %bb.26:
	s_or_b32 exec_lo, exec_lo, s1
	v_mov_b32_e32 v4, 0
	ds_load_b64 v[4:5], v4 offset:24
	s_wait_dscnt 0x0
	v_mul_f32_e32 v10, v3, v5
	v_mul_f32_e32 v6, v9, v5
	s_delay_alu instid0(VALU_DEP_2) | instskip(NEXT) | instid1(VALU_DEP_2)
	v_fma_f32 v5, v9, v4, -v10
	v_fmac_f32_e32 v6, v3, v4
	scratch_store_b64 off, v[5:6], off offset:24
.LBB105_27:
	s_wait_alu 0xfffe
	s_or_b32 exec_lo, exec_lo, s0
	s_wait_loadcnt 0x0
	s_wait_storecnt 0x0
	s_barrier_signal -1
	s_barrier_wait -1
	global_inv scope:SCOPE_SE
	scratch_load_b64 v[3:4], off, off offset:32
	s_mov_b32 s0, exec_lo
	s_wait_loadcnt 0x0
	ds_store_b64 v1, v[3:4]
	s_wait_dscnt 0x0
	s_barrier_signal -1
	s_barrier_wait -1
	global_inv scope:SCOPE_SE
	v_cmpx_gt_u32_e32 4, v0
	s_cbranch_execz .LBB105_31
; %bb.28:
	v_dual_mov_b32 v3, 0 :: v_dual_add_nc_u32 v4, -1, v0
	v_dual_mov_b32 v6, v7 :: v_dual_add_nc_u32 v5, 0x150, v7
	v_mov_b32_e32 v9, 0
	s_mov_b32 s1, 0
.LBB105_29:                             ; =>This Inner Loop Header: Depth=1
	scratch_load_b64 v[10:11], v6, off
	ds_load_b64 v[12:13], v5
	v_add_nc_u32_e32 v4, 1, v4
	v_add_nc_u32_e32 v5, 8, v5
	s_delay_alu instid0(VALU_DEP_2)
	v_cmp_lt_u32_e32 vcc_lo, 2, v4
	s_wait_alu 0xfffe
	s_or_b32 s1, vcc_lo, s1
	s_wait_loadcnt_dscnt 0x0
	v_mul_f32_e32 v14, v13, v11
	v_mul_f32_e32 v11, v12, v11
	s_delay_alu instid0(VALU_DEP_2) | instskip(NEXT) | instid1(VALU_DEP_2)
	v_fma_f32 v12, v12, v10, -v14
	v_fmac_f32_e32 v11, v13, v10
	s_delay_alu instid0(VALU_DEP_2) | instskip(NEXT) | instid1(VALU_DEP_2)
	v_dual_add_f32 v9, v9, v12 :: v_dual_add_nc_u32 v6, 8, v6
	v_add_f32_e32 v3, v3, v11
	s_wait_alu 0xfffe
	s_and_not1_b32 exec_lo, exec_lo, s1
	s_cbranch_execnz .LBB105_29
; %bb.30:
	s_or_b32 exec_lo, exec_lo, s1
	v_mov_b32_e32 v4, 0
	ds_load_b64 v[4:5], v4 offset:32
	s_wait_dscnt 0x0
	v_mul_f32_e32 v10, v3, v5
	v_mul_f32_e32 v6, v9, v5
	s_delay_alu instid0(VALU_DEP_2) | instskip(NEXT) | instid1(VALU_DEP_2)
	v_fma_f32 v5, v9, v4, -v10
	v_fmac_f32_e32 v6, v3, v4
	scratch_store_b64 off, v[5:6], off offset:32
.LBB105_31:
	s_wait_alu 0xfffe
	s_or_b32 exec_lo, exec_lo, s0
	s_wait_loadcnt 0x0
	s_wait_storecnt 0x0
	s_barrier_signal -1
	s_barrier_wait -1
	global_inv scope:SCOPE_SE
	scratch_load_b64 v[3:4], off, off offset:40
	;; [unrolled: 55-line block ×19, first 2 shown]
	s_mov_b32 s0, exec_lo
	s_wait_loadcnt 0x0
	ds_store_b64 v1, v[3:4]
	s_wait_dscnt 0x0
	s_barrier_signal -1
	s_barrier_wait -1
	global_inv scope:SCOPE_SE
	v_cmpx_gt_u32_e32 22, v0
	s_cbranch_execz .LBB105_103
; %bb.100:
	v_dual_mov_b32 v3, 0 :: v_dual_add_nc_u32 v4, -1, v0
	v_dual_mov_b32 v6, v7 :: v_dual_add_nc_u32 v5, 0x150, v7
	v_mov_b32_e32 v9, 0
	s_mov_b32 s1, 0
.LBB105_101:                            ; =>This Inner Loop Header: Depth=1
	scratch_load_b64 v[10:11], v6, off
	ds_load_b64 v[12:13], v5
	v_add_nc_u32_e32 v4, 1, v4
	v_add_nc_u32_e32 v5, 8, v5
	s_delay_alu instid0(VALU_DEP_2)
	v_cmp_lt_u32_e32 vcc_lo, 20, v4
	s_wait_alu 0xfffe
	s_or_b32 s1, vcc_lo, s1
	s_wait_loadcnt_dscnt 0x0
	v_mul_f32_e32 v14, v13, v11
	v_mul_f32_e32 v11, v12, v11
	s_delay_alu instid0(VALU_DEP_2) | instskip(NEXT) | instid1(VALU_DEP_2)
	v_fma_f32 v12, v12, v10, -v14
	v_fmac_f32_e32 v11, v13, v10
	s_delay_alu instid0(VALU_DEP_2) | instskip(NEXT) | instid1(VALU_DEP_2)
	v_dual_add_f32 v9, v9, v12 :: v_dual_add_nc_u32 v6, 8, v6
	v_add_f32_e32 v3, v3, v11
	s_wait_alu 0xfffe
	s_and_not1_b32 exec_lo, exec_lo, s1
	s_cbranch_execnz .LBB105_101
; %bb.102:
	s_or_b32 exec_lo, exec_lo, s1
	v_mov_b32_e32 v4, 0
	ds_load_b64 v[4:5], v4 offset:176
	s_wait_dscnt 0x0
	v_mul_f32_e32 v10, v3, v5
	v_mul_f32_e32 v6, v9, v5
	s_delay_alu instid0(VALU_DEP_2) | instskip(NEXT) | instid1(VALU_DEP_2)
	v_fma_f32 v5, v9, v4, -v10
	v_fmac_f32_e32 v6, v3, v4
	scratch_store_b64 off, v[5:6], off offset:176
.LBB105_103:
	s_wait_alu 0xfffe
	s_or_b32 exec_lo, exec_lo, s0
	s_wait_loadcnt 0x0
	s_wait_storecnt 0x0
	s_barrier_signal -1
	s_barrier_wait -1
	global_inv scope:SCOPE_SE
	scratch_load_b64 v[3:4], off, off offset:184
	s_mov_b32 s0, exec_lo
	s_wait_loadcnt 0x0
	ds_store_b64 v1, v[3:4]
	s_wait_dscnt 0x0
	s_barrier_signal -1
	s_barrier_wait -1
	global_inv scope:SCOPE_SE
	v_cmpx_gt_u32_e32 23, v0
	s_cbranch_execz .LBB105_107
; %bb.104:
	v_dual_mov_b32 v3, 0 :: v_dual_add_nc_u32 v4, -1, v0
	v_dual_mov_b32 v6, v7 :: v_dual_add_nc_u32 v5, 0x150, v7
	v_mov_b32_e32 v9, 0
	s_mov_b32 s1, 0
.LBB105_105:                            ; =>This Inner Loop Header: Depth=1
	scratch_load_b64 v[10:11], v6, off
	ds_load_b64 v[12:13], v5
	v_add_nc_u32_e32 v4, 1, v4
	v_add_nc_u32_e32 v5, 8, v5
	s_delay_alu instid0(VALU_DEP_2)
	v_cmp_lt_u32_e32 vcc_lo, 21, v4
	s_wait_alu 0xfffe
	s_or_b32 s1, vcc_lo, s1
	s_wait_loadcnt_dscnt 0x0
	v_mul_f32_e32 v14, v13, v11
	v_mul_f32_e32 v11, v12, v11
	s_delay_alu instid0(VALU_DEP_2) | instskip(NEXT) | instid1(VALU_DEP_2)
	v_fma_f32 v12, v12, v10, -v14
	v_fmac_f32_e32 v11, v13, v10
	s_delay_alu instid0(VALU_DEP_2) | instskip(NEXT) | instid1(VALU_DEP_2)
	v_dual_add_f32 v9, v9, v12 :: v_dual_add_nc_u32 v6, 8, v6
	v_add_f32_e32 v3, v3, v11
	s_wait_alu 0xfffe
	s_and_not1_b32 exec_lo, exec_lo, s1
	s_cbranch_execnz .LBB105_105
; %bb.106:
	s_or_b32 exec_lo, exec_lo, s1
	v_mov_b32_e32 v4, 0
	ds_load_b64 v[4:5], v4 offset:184
	s_wait_dscnt 0x0
	v_mul_f32_e32 v10, v3, v5
	v_mul_f32_e32 v6, v9, v5
	s_delay_alu instid0(VALU_DEP_2) | instskip(NEXT) | instid1(VALU_DEP_2)
	v_fma_f32 v5, v9, v4, -v10
	v_fmac_f32_e32 v6, v3, v4
	scratch_store_b64 off, v[5:6], off offset:184
.LBB105_107:
	s_wait_alu 0xfffe
	s_or_b32 exec_lo, exec_lo, s0
	s_wait_loadcnt 0x0
	s_wait_storecnt 0x0
	s_barrier_signal -1
	s_barrier_wait -1
	global_inv scope:SCOPE_SE
	scratch_load_b64 v[3:4], off, off offset:192
	;; [unrolled: 55-line block ×18, first 2 shown]
	s_mov_b32 s0, exec_lo
	s_wait_loadcnt 0x0
	ds_store_b64 v1, v[3:4]
	s_wait_dscnt 0x0
	s_barrier_signal -1
	s_barrier_wait -1
	global_inv scope:SCOPE_SE
	v_cmpx_gt_u32_e32 40, v0
	s_cbranch_execz .LBB105_175
; %bb.172:
	v_dual_mov_b32 v3, 0 :: v_dual_add_nc_u32 v4, -1, v0
	v_dual_mov_b32 v6, v7 :: v_dual_add_nc_u32 v5, 0x150, v7
	v_mov_b32_e32 v7, 0
	s_mov_b32 s1, 0
.LBB105_173:                            ; =>This Inner Loop Header: Depth=1
	scratch_load_b64 v[9:10], v6, off
	ds_load_b64 v[11:12], v5
	v_add_nc_u32_e32 v6, 8, v6
	v_add_nc_u32_e32 v4, 1, v4
	;; [unrolled: 1-line block ×3, first 2 shown]
	s_delay_alu instid0(VALU_DEP_2)
	v_cmp_lt_u32_e32 vcc_lo, 38, v4
	s_wait_alu 0xfffe
	s_or_b32 s1, vcc_lo, s1
	s_wait_loadcnt_dscnt 0x0
	v_mul_f32_e32 v13, v12, v10
	v_mul_f32_e32 v10, v11, v10
	s_delay_alu instid0(VALU_DEP_2) | instskip(NEXT) | instid1(VALU_DEP_1)
	v_fma_f32 v11, v11, v9, -v13
	v_dual_fmac_f32 v10, v12, v9 :: v_dual_add_f32 v7, v7, v11
	s_delay_alu instid0(VALU_DEP_1)
	v_add_f32_e32 v3, v3, v10
	s_wait_alu 0xfffe
	s_and_not1_b32 exec_lo, exec_lo, s1
	s_cbranch_execnz .LBB105_173
; %bb.174:
	s_or_b32 exec_lo, exec_lo, s1
	v_mov_b32_e32 v4, 0
	ds_load_b64 v[4:5], v4 offset:320
	s_wait_dscnt 0x0
	v_mul_f32_e32 v9, v3, v5
	v_mul_f32_e32 v6, v7, v5
	s_delay_alu instid0(VALU_DEP_2) | instskip(NEXT) | instid1(VALU_DEP_2)
	v_fma_f32 v5, v7, v4, -v9
	v_fmac_f32_e32 v6, v3, v4
	scratch_store_b64 off, v[5:6], off offset:320
.LBB105_175:
	s_wait_alu 0xfffe
	s_or_b32 exec_lo, exec_lo, s0
	s_wait_loadcnt 0x0
	s_wait_storecnt 0x0
	s_barrier_signal -1
	s_barrier_wait -1
	global_inv scope:SCOPE_SE
	scratch_load_b64 v[3:4], off, off offset:328
	s_mov_b32 s0, exec_lo
	s_wait_loadcnt 0x0
	ds_store_b64 v1, v[3:4]
	s_wait_dscnt 0x0
	s_barrier_signal -1
	s_barrier_wait -1
	global_inv scope:SCOPE_SE
	v_cmpx_ne_u32_e32 41, v0
	s_cbranch_execz .LBB105_179
; %bb.176:
	v_dual_mov_b32 v3, 0 :: v_dual_mov_b32 v4, 0
	s_mov_b32 s1, 0
.LBB105_177:                            ; =>This Inner Loop Header: Depth=1
	scratch_load_b64 v[5:6], v8, off
	ds_load_b64 v[9:10], v1
	v_add_nc_u32_e32 v2, 1, v2
	v_add_nc_u32_e32 v1, 8, v1
	;; [unrolled: 1-line block ×3, first 2 shown]
	s_delay_alu instid0(VALU_DEP_3)
	v_cmp_lt_u32_e32 vcc_lo, 39, v2
	s_wait_alu 0xfffe
	s_or_b32 s1, vcc_lo, s1
	s_wait_loadcnt_dscnt 0x0
	v_mul_f32_e32 v7, v10, v6
	v_mul_f32_e32 v6, v9, v6
	s_delay_alu instid0(VALU_DEP_2) | instskip(NEXT) | instid1(VALU_DEP_2)
	v_fma_f32 v7, v9, v5, -v7
	v_fmac_f32_e32 v6, v10, v5
	s_delay_alu instid0(VALU_DEP_1)
	v_dual_add_f32 v4, v4, v7 :: v_dual_add_f32 v3, v3, v6
	s_wait_alu 0xfffe
	s_and_not1_b32 exec_lo, exec_lo, s1
	s_cbranch_execnz .LBB105_177
; %bb.178:
	s_or_b32 exec_lo, exec_lo, s1
	v_mov_b32_e32 v1, 0
	ds_load_b64 v[1:2], v1 offset:328
	s_wait_dscnt 0x0
	v_mul_f32_e32 v6, v3, v2
	v_mul_f32_e32 v5, v4, v2
	s_delay_alu instid0(VALU_DEP_2) | instskip(NEXT) | instid1(VALU_DEP_2)
	v_fma_f32 v4, v4, v1, -v6
	v_fmac_f32_e32 v5, v3, v1
	scratch_store_b64 off, v[4:5], off offset:328
.LBB105_179:
	s_wait_alu 0xfffe
	s_or_b32 exec_lo, exec_lo, s0
	s_mov_b32 s1, -1
	s_wait_loadcnt 0x0
	s_wait_storecnt 0x0
	s_barrier_signal -1
	s_barrier_wait -1
	global_inv scope:SCOPE_SE
.LBB105_180:
	s_wait_alu 0xfffe
	s_and_b32 vcc_lo, exec_lo, s1
	s_wait_alu 0xfffe
	s_cbranch_vccz .LBB105_182
; %bb.181:
	v_mov_b32_e32 v1, 0
	s_lshl_b64 s[0:1], s[8:9], 2
	s_wait_alu 0xfffe
	s_add_nc_u64 s[0:1], s[6:7], s[0:1]
	global_load_b32 v1, v1, s[0:1]
	s_wait_loadcnt 0x0
	v_cmp_ne_u32_e32 vcc_lo, 0, v1
	s_cbranch_vccz .LBB105_183
.LBB105_182:
	s_nop 0
	s_sendmsg sendmsg(MSG_DEALLOC_VGPRS)
	s_endpgm
.LBB105_183:
	v_lshl_add_u32 v23, v0, 3, 0x150
	s_mov_b32 s0, exec_lo
	v_cmpx_eq_u32_e32 41, v0
	s_cbranch_execz .LBB105_185
; %bb.184:
	scratch_load_b64 v[1:2], off, off offset:320
	v_mov_b32_e32 v3, 0
	s_delay_alu instid0(VALU_DEP_1)
	v_mov_b32_e32 v4, v3
	scratch_store_b64 off, v[3:4], off offset:320
	s_wait_loadcnt 0x0
	ds_store_b64 v23, v[1:2]
.LBB105_185:
	s_wait_alu 0xfffe
	s_or_b32 exec_lo, exec_lo, s0
	s_wait_storecnt_dscnt 0x0
	s_barrier_signal -1
	s_barrier_wait -1
	global_inv scope:SCOPE_SE
	s_clause 0x1
	scratch_load_b64 v[2:3], off, off offset:328
	scratch_load_b64 v[4:5], off, off offset:320
	v_mov_b32_e32 v1, 0
	s_mov_b32 s0, exec_lo
	ds_load_b64 v[6:7], v1 offset:664
	s_wait_loadcnt_dscnt 0x100
	v_mul_f32_e32 v8, v7, v3
	v_mul_f32_e32 v3, v6, v3
	s_delay_alu instid0(VALU_DEP_2) | instskip(NEXT) | instid1(VALU_DEP_2)
	v_fma_f32 v6, v6, v2, -v8
	v_fmac_f32_e32 v3, v7, v2
	s_delay_alu instid0(VALU_DEP_1) | instskip(SKIP_1) | instid1(VALU_DEP_1)
	v_dual_add_f32 v2, 0, v6 :: v_dual_add_f32 v3, 0, v3
	s_wait_loadcnt 0x0
	v_dual_sub_f32 v2, v4, v2 :: v_dual_sub_f32 v3, v5, v3
	scratch_store_b64 off, v[2:3], off offset:320
	v_cmpx_lt_u32_e32 39, v0
	s_cbranch_execz .LBB105_187
; %bb.186:
	scratch_load_b64 v[3:4], off, off offset:312
	v_mov_b32_e32 v2, v1
	scratch_store_b64 off, v[1:2], off offset:312
	s_wait_loadcnt 0x0
	ds_store_b64 v23, v[3:4]
.LBB105_187:
	s_wait_alu 0xfffe
	s_or_b32 exec_lo, exec_lo, s0
	s_wait_storecnt_dscnt 0x0
	s_barrier_signal -1
	s_barrier_wait -1
	global_inv scope:SCOPE_SE
	s_clause 0x1
	scratch_load_b128 v[2:5], off, off offset:320
	scratch_load_b64 v[10:11], off, off offset:312
	ds_load_b128 v[6:9], v1 offset:656
	s_mov_b32 s0, exec_lo
	s_wait_loadcnt_dscnt 0x100
	v_dual_mul_f32 v1, v7, v3 :: v_dual_mul_f32 v12, v8, v5
	v_mul_f32_e32 v3, v6, v3
	s_delay_alu instid0(VALU_DEP_2) | instskip(NEXT) | instid1(VALU_DEP_2)
	v_fma_f32 v1, v6, v2, -v1
	v_dual_fmac_f32 v12, v9, v4 :: v_dual_fmac_f32 v3, v7, v2
	s_delay_alu instid0(VALU_DEP_2) | instskip(NEXT) | instid1(VALU_DEP_2)
	v_add_f32_e32 v1, 0, v1
	v_add_f32_e32 v3, 0, v3
	v_mul_f32_e32 v5, v9, v5
	s_delay_alu instid0(VALU_DEP_1) | instskip(NEXT) | instid1(VALU_DEP_1)
	v_fma_f32 v2, v8, v4, -v5
	v_dual_add_f32 v1, v1, v2 :: v_dual_add_f32 v2, v3, v12
	s_wait_loadcnt 0x0
	s_delay_alu instid0(VALU_DEP_1)
	v_dual_sub_f32 v1, v10, v1 :: v_dual_sub_f32 v2, v11, v2
	scratch_store_b64 off, v[1:2], off offset:312
	v_cmpx_lt_u32_e32 38, v0
	s_cbranch_execz .LBB105_189
; %bb.188:
	scratch_load_b64 v[1:2], off, off offset:304
	v_mov_b32_e32 v3, 0
	s_delay_alu instid0(VALU_DEP_1)
	v_mov_b32_e32 v4, v3
	scratch_store_b64 off, v[3:4], off offset:304
	s_wait_loadcnt 0x0
	ds_store_b64 v23, v[1:2]
.LBB105_189:
	s_wait_alu 0xfffe
	s_or_b32 exec_lo, exec_lo, s0
	s_wait_storecnt_dscnt 0x0
	s_barrier_signal -1
	s_barrier_wait -1
	global_inv scope:SCOPE_SE
	s_clause 0x2
	scratch_load_b128 v[2:5], off, off offset:312
	scratch_load_b64 v[10:11], off, off offset:328
	scratch_load_b64 v[12:13], off, off offset:304
	v_mov_b32_e32 v1, 0
	ds_load_2addr_b64 v[6:9], v1 offset0:81 offset1:82
	ds_load_b64 v[14:15], v1 offset:664
	s_mov_b32 s0, exec_lo
	s_wait_loadcnt_dscnt 0x201
	v_dual_mul_f32 v16, v7, v3 :: v_dual_mul_f32 v17, v8, v5
	s_wait_loadcnt_dscnt 0x100
	v_mul_f32_e32 v18, v14, v11
	v_mul_f32_e32 v3, v6, v3
	;; [unrolled: 1-line block ×3, first 2 shown]
	v_fma_f32 v6, v6, v2, -v16
	s_delay_alu instid0(VALU_DEP_4) | instskip(NEXT) | instid1(VALU_DEP_4)
	v_fmac_f32_e32 v18, v15, v10
	v_fmac_f32_e32 v3, v7, v2
	v_mul_f32_e32 v2, v15, v11
	s_delay_alu instid0(VALU_DEP_1) | instskip(SKIP_3) | instid1(VALU_DEP_1)
	v_fma_f32 v2, v14, v10, -v2
	v_fmac_f32_e32 v17, v9, v4
	v_fma_f32 v4, v8, v4, -v5
	v_add_f32_e32 v5, 0, v6
	v_add_f32_e32 v4, v5, v4
	s_delay_alu instid0(VALU_DEP_1) | instskip(SKIP_1) | instid1(VALU_DEP_1)
	v_dual_add_f32 v2, v4, v2 :: v_dual_add_f32 v3, 0, v3
	s_wait_loadcnt 0x0
	v_dual_sub_f32 v2, v12, v2 :: v_dual_add_f32 v3, v3, v17
	s_delay_alu instid0(VALU_DEP_1) | instskip(NEXT) | instid1(VALU_DEP_1)
	v_add_f32_e32 v3, v3, v18
	v_sub_f32_e32 v3, v13, v3
	scratch_store_b64 off, v[2:3], off offset:304
	v_cmpx_lt_u32_e32 37, v0
	s_cbranch_execz .LBB105_191
; %bb.190:
	scratch_load_b64 v[3:4], off, off offset:296
	v_mov_b32_e32 v2, v1
	scratch_store_b64 off, v[1:2], off offset:296
	s_wait_loadcnt 0x0
	ds_store_b64 v23, v[3:4]
.LBB105_191:
	s_wait_alu 0xfffe
	s_or_b32 exec_lo, exec_lo, s0
	s_wait_storecnt_dscnt 0x0
	s_barrier_signal -1
	s_barrier_wait -1
	global_inv scope:SCOPE_SE
	s_clause 0x2
	scratch_load_b128 v[2:5], off, off offset:304
	scratch_load_b128 v[6:9], off, off offset:320
	scratch_load_b64 v[18:19], off, off offset:296
	ds_load_b128 v[10:13], v1 offset:640
	ds_load_b128 v[14:17], v1 offset:656
	s_mov_b32 s0, exec_lo
	s_wait_loadcnt_dscnt 0x201
	v_dual_mul_f32 v1, v10, v3 :: v_dual_mul_f32 v20, v12, v5
	s_wait_loadcnt_dscnt 0x100
	v_dual_mul_f32 v3, v11, v3 :: v_dual_mul_f32 v22, v16, v9
	v_mul_f32_e32 v5, v13, v5
	s_delay_alu instid0(VALU_DEP_3) | instskip(NEXT) | instid1(VALU_DEP_3)
	v_dual_mul_f32 v21, v14, v7 :: v_dual_fmac_f32 v20, v13, v4
	v_fma_f32 v3, v10, v2, -v3
	s_delay_alu instid0(VALU_DEP_4) | instskip(SKIP_2) | instid1(VALU_DEP_4)
	v_dual_fmac_f32 v1, v11, v2 :: v_dual_fmac_f32 v22, v17, v8
	v_mul_f32_e32 v2, v15, v7
	v_fma_f32 v4, v12, v4, -v5
	v_add_f32_e32 v3, 0, v3
	v_fmac_f32_e32 v21, v15, v6
	s_delay_alu instid0(VALU_DEP_4) | instskip(NEXT) | instid1(VALU_DEP_3)
	v_fma_f32 v2, v14, v6, -v2
	v_add_f32_e32 v3, v3, v4
	s_delay_alu instid0(VALU_DEP_1) | instskip(NEXT) | instid1(VALU_DEP_1)
	v_dual_add_f32 v1, 0, v1 :: v_dual_add_f32 v2, v3, v2
	v_add_f32_e32 v1, v1, v20
	s_delay_alu instid0(VALU_DEP_1) | instskip(NEXT) | instid1(VALU_DEP_1)
	v_add_f32_e32 v1, v1, v21
	v_add_f32_e32 v3, v1, v22
	v_mul_f32_e32 v5, v17, v9
	s_delay_alu instid0(VALU_DEP_1) | instskip(NEXT) | instid1(VALU_DEP_1)
	v_fma_f32 v4, v16, v8, -v5
	v_add_f32_e32 v2, v2, v4
	s_wait_loadcnt 0x0
	s_delay_alu instid0(VALU_DEP_1)
	v_dual_sub_f32 v1, v18, v2 :: v_dual_sub_f32 v2, v19, v3
	scratch_store_b64 off, v[1:2], off offset:296
	v_cmpx_lt_u32_e32 36, v0
	s_cbranch_execz .LBB105_193
; %bb.192:
	scratch_load_b64 v[1:2], off, off offset:288
	v_mov_b32_e32 v3, 0
	s_delay_alu instid0(VALU_DEP_1)
	v_mov_b32_e32 v4, v3
	scratch_store_b64 off, v[3:4], off offset:288
	s_wait_loadcnt 0x0
	ds_store_b64 v23, v[1:2]
.LBB105_193:
	s_wait_alu 0xfffe
	s_or_b32 exec_lo, exec_lo, s0
	s_wait_storecnt_dscnt 0x0
	s_barrier_signal -1
	s_barrier_wait -1
	global_inv scope:SCOPE_SE
	s_clause 0x3
	scratch_load_b128 v[2:5], off, off offset:296
	scratch_load_b128 v[6:9], off, off offset:312
	scratch_load_b64 v[18:19], off, off offset:328
	scratch_load_b64 v[20:21], off, off offset:288
	v_mov_b32_e32 v1, 0
	ds_load_2addr_b64 v[10:13], v1 offset0:79 offset1:80
	ds_load_2addr_b64 v[14:17], v1 offset0:81 offset1:82
	ds_load_b64 v[24:25], v1 offset:664
	s_mov_b32 s0, exec_lo
	s_wait_loadcnt_dscnt 0x302
	v_mul_f32_e32 v22, v10, v3
	v_dual_mul_f32 v26, v12, v5 :: v_dual_mul_f32 v3, v11, v3
	s_wait_loadcnt_dscnt 0x100
	v_mul_f32_e32 v113, v24, v19
	s_delay_alu instid0(VALU_DEP_3)
	v_dual_mul_f32 v5, v13, v5 :: v_dual_fmac_f32 v22, v11, v2
	v_dual_mul_f32 v27, v14, v7 :: v_dual_mul_f32 v112, v16, v9
	v_fma_f32 v3, v10, v2, -v3
	v_mul_f32_e32 v2, v15, v7
	v_fmac_f32_e32 v26, v13, v4
	v_fma_f32 v4, v12, v4, -v5
	v_dual_add_f32 v5, 0, v22 :: v_dual_fmac_f32 v112, v17, v8
	v_add_f32_e32 v3, 0, v3
	v_fma_f32 v2, v14, v6, -v2
	v_fmac_f32_e32 v27, v15, v6
	v_fmac_f32_e32 v113, v25, v18
	s_delay_alu instid0(VALU_DEP_4) | instskip(NEXT) | instid1(VALU_DEP_1)
	v_dual_add_f32 v3, v3, v4 :: v_dual_add_f32 v4, v5, v26
	v_dual_mul_f32 v7, v17, v9 :: v_dual_add_f32 v2, v3, v2
	s_delay_alu instid0(VALU_DEP_2) | instskip(NEXT) | instid1(VALU_DEP_2)
	v_add_f32_e32 v3, v4, v27
	v_fma_f32 v6, v16, v8, -v7
	s_delay_alu instid0(VALU_DEP_1) | instskip(NEXT) | instid1(VALU_DEP_1)
	v_dual_mul_f32 v5, v25, v19 :: v_dual_add_f32 v2, v2, v6
	v_fma_f32 v4, v24, v18, -v5
	s_delay_alu instid0(VALU_DEP_1) | instskip(SKIP_1) | instid1(VALU_DEP_1)
	v_add_f32_e32 v2, v2, v4
	s_wait_loadcnt 0x0
	v_dual_add_f32 v3, v3, v112 :: v_dual_sub_f32 v2, v20, v2
	s_delay_alu instid0(VALU_DEP_1) | instskip(NEXT) | instid1(VALU_DEP_1)
	v_add_f32_e32 v3, v3, v113
	v_sub_f32_e32 v3, v21, v3
	scratch_store_b64 off, v[2:3], off offset:288
	v_cmpx_lt_u32_e32 35, v0
	s_cbranch_execz .LBB105_195
; %bb.194:
	scratch_load_b64 v[3:4], off, off offset:280
	v_mov_b32_e32 v2, v1
	scratch_store_b64 off, v[1:2], off offset:280
	s_wait_loadcnt 0x0
	ds_store_b64 v23, v[3:4]
.LBB105_195:
	s_wait_alu 0xfffe
	s_or_b32 exec_lo, exec_lo, s0
	s_wait_storecnt_dscnt 0x0
	s_barrier_signal -1
	s_barrier_wait -1
	global_inv scope:SCOPE_SE
	s_clause 0x3
	scratch_load_b128 v[2:5], off, off offset:288
	scratch_load_b128 v[6:9], off, off offset:304
	;; [unrolled: 1-line block ×3, first 2 shown]
	scratch_load_b64 v[112:113], off, off offset:280
	ds_load_b128 v[14:17], v1 offset:624
	ds_load_b128 v[18:21], v1 offset:640
	ds_load_b128 v[24:27], v1 offset:656
	s_mov_b32 s0, exec_lo
	s_wait_loadcnt_dscnt 0x302
	v_dual_mul_f32 v1, v14, v3 :: v_dual_mul_f32 v22, v16, v5
	v_mul_f32_e32 v3, v15, v3
	s_wait_loadcnt_dscnt 0x201
	v_dual_mul_f32 v5, v17, v5 :: v_dual_mul_f32 v114, v18, v7
	s_delay_alu instid0(VALU_DEP_3) | instskip(NEXT) | instid1(VALU_DEP_3)
	v_dual_mul_f32 v115, v20, v9 :: v_dual_fmac_f32 v22, v17, v4
	v_fma_f32 v3, v14, v2, -v3
	v_fmac_f32_e32 v1, v15, v2
	v_mul_f32_e32 v2, v19, v7
	v_fma_f32 v4, v16, v4, -v5
	s_wait_loadcnt_dscnt 0x100
	v_dual_mul_f32 v116, v24, v11 :: v_dual_mul_f32 v117, v26, v13
	v_dual_add_f32 v3, 0, v3 :: v_dual_fmac_f32 v114, v19, v6
	v_fma_f32 v2, v18, v6, -v2
	s_delay_alu instid0(VALU_DEP_3) | instskip(NEXT) | instid1(VALU_DEP_3)
	v_dual_fmac_f32 v116, v25, v10 :: v_dual_fmac_f32 v117, v27, v12
	v_dual_add_f32 v3, v3, v4 :: v_dual_mul_f32 v4, v25, v11
	s_delay_alu instid0(VALU_DEP_1) | instskip(NEXT) | instid1(VALU_DEP_2)
	v_dual_add_f32 v1, 0, v1 :: v_dual_add_f32 v2, v3, v2
	v_fma_f32 v4, v24, v10, -v4
	v_mul_f32_e32 v5, v21, v9
	v_mul_f32_e32 v3, v27, v13
	s_delay_alu instid0(VALU_DEP_2) | instskip(SKIP_1) | instid1(VALU_DEP_3)
	v_fma_f32 v5, v20, v8, -v5
	v_add_f32_e32 v1, v1, v22
	v_fma_f32 v3, v26, v12, -v3
	s_delay_alu instid0(VALU_DEP_2) | instskip(NEXT) | instid1(VALU_DEP_1)
	v_dual_add_f32 v2, v2, v5 :: v_dual_add_f32 v1, v1, v114
	v_add_f32_e32 v2, v2, v4
	s_delay_alu instid0(VALU_DEP_1) | instskip(NEXT) | instid1(VALU_DEP_1)
	v_dual_fmac_f32 v115, v21, v8 :: v_dual_add_f32 v2, v2, v3
	v_add_f32_e32 v1, v1, v115
	s_delay_alu instid0(VALU_DEP_1) | instskip(NEXT) | instid1(VALU_DEP_1)
	v_add_f32_e32 v1, v1, v116
	v_add_f32_e32 v3, v1, v117
	s_wait_loadcnt 0x0
	s_delay_alu instid0(VALU_DEP_1)
	v_dual_sub_f32 v1, v112, v2 :: v_dual_sub_f32 v2, v113, v3
	scratch_store_b64 off, v[1:2], off offset:280
	v_cmpx_lt_u32_e32 34, v0
	s_cbranch_execz .LBB105_197
; %bb.196:
	scratch_load_b64 v[1:2], off, off offset:272
	v_mov_b32_e32 v3, 0
	s_delay_alu instid0(VALU_DEP_1)
	v_mov_b32_e32 v4, v3
	scratch_store_b64 off, v[3:4], off offset:272
	s_wait_loadcnt 0x0
	ds_store_b64 v23, v[1:2]
.LBB105_197:
	s_wait_alu 0xfffe
	s_or_b32 exec_lo, exec_lo, s0
	s_wait_storecnt_dscnt 0x0
	s_barrier_signal -1
	s_barrier_wait -1
	global_inv scope:SCOPE_SE
	s_clause 0x4
	scratch_load_b128 v[2:5], off, off offset:280
	scratch_load_b128 v[6:9], off, off offset:296
	;; [unrolled: 1-line block ×3, first 2 shown]
	scratch_load_b64 v[112:113], off, off offset:328
	scratch_load_b64 v[114:115], off, off offset:272
	v_mov_b32_e32 v1, 0
	ds_load_2addr_b64 v[14:17], v1 offset0:77 offset1:78
	ds_load_2addr_b64 v[18:21], v1 offset0:79 offset1:80
	;; [unrolled: 1-line block ×3, first 2 shown]
	ds_load_b64 v[116:117], v1 offset:664
	s_mov_b32 s0, exec_lo
	s_wait_loadcnt_dscnt 0x403
	v_mul_f32_e32 v22, v14, v3
	s_wait_loadcnt_dscnt 0x302
	v_dual_mul_f32 v120, v20, v9 :: v_dual_mul_f32 v3, v15, v3
	v_dual_mul_f32 v118, v16, v5 :: v_dual_mul_f32 v119, v18, v7
	s_wait_loadcnt_dscnt 0x100
	v_dual_mul_f32 v123, v116, v113 :: v_dual_fmac_f32 v22, v15, v2
	v_mul_f32_e32 v5, v17, v5
	v_fma_f32 v3, v14, v2, -v3
	v_mul_f32_e32 v2, v19, v7
	v_fmac_f32_e32 v118, v17, v4
	v_fmac_f32_e32 v120, v21, v8
	v_fma_f32 v4, v16, v4, -v5
	v_add_f32_e32 v3, 0, v3
	v_add_f32_e32 v5, 0, v22
	v_fma_f32 v2, v18, v6, -v2
	v_fmac_f32_e32 v119, v19, v6
	v_dual_mul_f32 v121, v24, v11 :: v_dual_mul_f32 v122, v26, v13
	s_delay_alu instid0(VALU_DEP_4) | instskip(SKIP_1) | instid1(VALU_DEP_3)
	v_dual_add_f32 v3, v3, v4 :: v_dual_add_f32 v4, v5, v118
	v_mul_f32_e32 v7, v21, v9
	v_dual_mul_f32 v5, v25, v11 :: v_dual_fmac_f32 v122, v27, v12
	s_delay_alu instid0(VALU_DEP_3) | instskip(NEXT) | instid1(VALU_DEP_3)
	v_add_f32_e32 v2, v3, v2
	v_fma_f32 v6, v20, v8, -v7
	s_delay_alu instid0(VALU_DEP_1) | instskip(SKIP_3) | instid1(VALU_DEP_3)
	v_add_f32_e32 v2, v2, v6
	v_dual_mul_f32 v6, v117, v113 :: v_dual_add_f32 v3, v4, v119
	v_mul_f32_e32 v4, v27, v13
	v_fma_f32 v5, v24, v10, -v5
	v_add_f32_e32 v3, v3, v120
	s_delay_alu instid0(VALU_DEP_2) | instskip(NEXT) | instid1(VALU_DEP_4)
	v_dual_fmac_f32 v121, v25, v10 :: v_dual_add_f32 v2, v2, v5
	v_fma_f32 v4, v26, v12, -v4
	v_fma_f32 v5, v116, v112, -v6
	s_delay_alu instid0(VALU_DEP_2) | instskip(SKIP_1) | instid1(VALU_DEP_2)
	v_dual_add_f32 v3, v3, v121 :: v_dual_add_f32 v2, v2, v4
	v_fmac_f32_e32 v123, v117, v112
	v_dual_add_f32 v3, v3, v122 :: v_dual_add_f32 v2, v2, v5
	s_wait_loadcnt 0x0
	s_delay_alu instid0(VALU_DEP_1) | instskip(NEXT) | instid1(VALU_DEP_1)
	v_dual_add_f32 v3, v3, v123 :: v_dual_sub_f32 v2, v114, v2
	v_sub_f32_e32 v3, v115, v3
	scratch_store_b64 off, v[2:3], off offset:272
	v_cmpx_lt_u32_e32 33, v0
	s_cbranch_execz .LBB105_199
; %bb.198:
	scratch_load_b64 v[3:4], off, off offset:264
	v_mov_b32_e32 v2, v1
	scratch_store_b64 off, v[1:2], off offset:264
	s_wait_loadcnt 0x0
	ds_store_b64 v23, v[3:4]
.LBB105_199:
	s_wait_alu 0xfffe
	s_or_b32 exec_lo, exec_lo, s0
	s_wait_storecnt_dscnt 0x0
	s_barrier_signal -1
	s_barrier_wait -1
	global_inv scope:SCOPE_SE
	s_clause 0x4
	scratch_load_b128 v[2:5], off, off offset:272
	scratch_load_b128 v[6:9], off, off offset:288
	;; [unrolled: 1-line block ×4, first 2 shown]
	scratch_load_b64 v[120:121], off, off offset:264
	ds_load_b128 v[18:21], v1 offset:608
	ds_load_b128 v[24:27], v1 offset:624
	;; [unrolled: 1-line block ×4, first 2 shown]
	s_mov_b32 s0, exec_lo
	s_wait_loadcnt_dscnt 0x403
	v_dual_mul_f32 v1, v18, v3 :: v_dual_mul_f32 v22, v20, v5
	v_mul_f32_e32 v3, v19, v3
	s_wait_loadcnt_dscnt 0x302
	v_dual_mul_f32 v122, v24, v7 :: v_dual_mul_f32 v123, v26, v9
	s_delay_alu instid0(VALU_DEP_3) | instskip(NEXT) | instid1(VALU_DEP_3)
	v_dual_fmac_f32 v1, v19, v2 :: v_dual_fmac_f32 v22, v21, v4
	v_fma_f32 v3, v18, v2, -v3
	v_mul_f32_e32 v2, v25, v7
	s_wait_loadcnt_dscnt 0x201
	v_dual_mul_f32 v124, v112, v11 :: v_dual_mul_f32 v125, v114, v13
	s_delay_alu instid0(VALU_DEP_3) | instskip(NEXT) | instid1(VALU_DEP_3)
	v_dual_fmac_f32 v122, v25, v6 :: v_dual_add_f32 v3, 0, v3
	v_fma_f32 v2, v24, v6, -v2
	v_mul_f32_e32 v5, v21, v5
	s_delay_alu instid0(VALU_DEP_4) | instskip(SKIP_2) | instid1(VALU_DEP_3)
	v_dual_fmac_f32 v124, v113, v10 :: v_dual_add_f32 v1, 0, v1
	s_wait_loadcnt_dscnt 0x100
	v_dual_mul_f32 v126, v116, v15 :: v_dual_mul_f32 v127, v118, v17
	v_fma_f32 v4, v20, v4, -v5
	v_mul_f32_e32 v5, v27, v9
	s_delay_alu instid0(VALU_DEP_3) | instskip(NEXT) | instid1(VALU_DEP_4)
	v_dual_fmac_f32 v123, v27, v8 :: v_dual_fmac_f32 v126, v117, v14
	v_fmac_f32_e32 v127, v119, v16
	s_delay_alu instid0(VALU_DEP_3) | instskip(SKIP_1) | instid1(VALU_DEP_1)
	v_fma_f32 v5, v26, v8, -v5
	v_dual_add_f32 v3, v3, v4 :: v_dual_mul_f32 v4, v113, v11
	v_add_f32_e32 v2, v3, v2
	v_mul_f32_e32 v3, v115, v13
	s_delay_alu instid0(VALU_DEP_3) | instskip(NEXT) | instid1(VALU_DEP_3)
	v_fma_f32 v4, v112, v10, -v4
	v_dual_add_f32 v2, v2, v5 :: v_dual_add_f32 v1, v1, v22
	v_mul_f32_e32 v5, v117, v15
	s_delay_alu instid0(VALU_DEP_4) | instskip(NEXT) | instid1(VALU_DEP_3)
	v_fma_f32 v3, v114, v12, -v3
	v_dual_add_f32 v2, v2, v4 :: v_dual_add_f32 v1, v1, v122
	v_mul_f32_e32 v4, v119, v17
	v_fmac_f32_e32 v125, v115, v12
	v_fma_f32 v5, v116, v14, -v5
	s_delay_alu instid0(VALU_DEP_4) | instskip(SKIP_2) | instid1(VALU_DEP_2)
	v_add_f32_e32 v2, v2, v3
	v_add_f32_e32 v1, v1, v123
	v_fma_f32 v3, v118, v16, -v4
	v_dual_add_f32 v2, v2, v5 :: v_dual_add_f32 v1, v1, v124
	s_delay_alu instid0(VALU_DEP_1) | instskip(NEXT) | instid1(VALU_DEP_1)
	v_dual_add_f32 v2, v2, v3 :: v_dual_add_f32 v1, v1, v125
	v_add_f32_e32 v1, v1, v126
	s_delay_alu instid0(VALU_DEP_1) | instskip(SKIP_1) | instid1(VALU_DEP_1)
	v_add_f32_e32 v3, v1, v127
	s_wait_loadcnt 0x0
	v_dual_sub_f32 v1, v120, v2 :: v_dual_sub_f32 v2, v121, v3
	scratch_store_b64 off, v[1:2], off offset:264
	v_cmpx_lt_u32_e32 32, v0
	s_cbranch_execz .LBB105_201
; %bb.200:
	scratch_load_b64 v[1:2], off, off offset:256
	v_mov_b32_e32 v3, 0
	s_delay_alu instid0(VALU_DEP_1)
	v_mov_b32_e32 v4, v3
	scratch_store_b64 off, v[3:4], off offset:256
	s_wait_loadcnt 0x0
	ds_store_b64 v23, v[1:2]
.LBB105_201:
	s_wait_alu 0xfffe
	s_or_b32 exec_lo, exec_lo, s0
	s_wait_storecnt_dscnt 0x0
	s_barrier_signal -1
	s_barrier_wait -1
	global_inv scope:SCOPE_SE
	s_clause 0x5
	scratch_load_b128 v[2:5], off, off offset:264
	scratch_load_b128 v[6:9], off, off offset:280
	;; [unrolled: 1-line block ×4, first 2 shown]
	scratch_load_b64 v[120:121], off, off offset:328
	scratch_load_b64 v[122:123], off, off offset:256
	v_mov_b32_e32 v1, 0
	ds_load_2addr_b64 v[18:21], v1 offset0:75 offset1:76
	ds_load_2addr_b64 v[24:27], v1 offset0:77 offset1:78
	;; [unrolled: 1-line block ×4, first 2 shown]
	ds_load_b64 v[124:125], v1 offset:664
	s_mov_b32 s0, exec_lo
	s_wait_loadcnt_dscnt 0x504
	v_mul_f32_e32 v22, v18, v3
	v_dual_mul_f32 v126, v20, v5 :: v_dual_mul_f32 v3, v19, v3
	s_wait_loadcnt_dscnt 0x403
	v_dual_mul_f32 v127, v24, v7 :: v_dual_mul_f32 v128, v26, v9
	v_mul_f32_e32 v5, v21, v5
	s_wait_loadcnt_dscnt 0x100
	v_dual_mul_f32 v133, v124, v121 :: v_dual_fmac_f32 v22, v19, v2
	v_fma_f32 v3, v18, v2, -v3
	v_mul_f32_e32 v2, v25, v7
	v_fmac_f32_e32 v126, v21, v4
	v_fmac_f32_e32 v128, v27, v8
	v_fma_f32 v4, v20, v4, -v5
	v_add_f32_e32 v3, 0, v3
	v_add_f32_e32 v5, 0, v22
	v_mul_f32_e32 v7, v27, v9
	v_fma_f32 v2, v24, v6, -v2
	v_fmac_f32_e32 v127, v25, v6
	s_delay_alu instid0(VALU_DEP_4) | instskip(SKIP_3) | instid1(VALU_DEP_4)
	v_dual_add_f32 v3, v3, v4 :: v_dual_add_f32 v4, v5, v126
	v_mul_f32_e32 v5, v113, v11
	v_fma_f32 v6, v26, v8, -v7
	v_dual_mul_f32 v129, v112, v11 :: v_dual_mul_f32 v130, v114, v13
	v_dual_add_f32 v2, v3, v2 :: v_dual_add_f32 v3, v4, v127
	v_mul_f32_e32 v4, v115, v13
	v_fma_f32 v5, v112, v10, -v5
	s_delay_alu instid0(VALU_DEP_4) | instskip(NEXT) | instid1(VALU_DEP_4)
	v_fmac_f32_e32 v130, v115, v12
	v_add_f32_e32 v2, v2, v6
	v_fmac_f32_e32 v129, v113, v10
	v_dual_add_f32 v3, v3, v128 :: v_dual_mul_f32 v6, v117, v15
	v_fma_f32 v4, v114, v12, -v4
	s_delay_alu instid0(VALU_DEP_4) | instskip(SKIP_1) | instid1(VALU_DEP_4)
	v_dual_add_f32 v2, v2, v5 :: v_dual_mul_f32 v131, v116, v15
	v_mul_f32_e32 v132, v118, v17
	v_add_f32_e32 v3, v3, v129
	v_fma_f32 v6, v116, v14, -v6
	s_delay_alu instid0(VALU_DEP_4) | instskip(NEXT) | instid1(VALU_DEP_4)
	v_dual_add_f32 v2, v2, v4 :: v_dual_mul_f32 v5, v119, v17
	v_dual_fmac_f32 v131, v117, v14 :: v_dual_fmac_f32 v132, v119, v16
	s_delay_alu instid0(VALU_DEP_4) | instskip(NEXT) | instid1(VALU_DEP_3)
	v_dual_add_f32 v3, v3, v130 :: v_dual_mul_f32 v4, v125, v121
	v_add_f32_e32 v2, v2, v6
	s_delay_alu instid0(VALU_DEP_4) | instskip(NEXT) | instid1(VALU_DEP_3)
	v_fma_f32 v5, v118, v16, -v5
	v_add_f32_e32 v3, v3, v131
	s_delay_alu instid0(VALU_DEP_4) | instskip(NEXT) | instid1(VALU_DEP_2)
	v_fma_f32 v4, v124, v120, -v4
	v_dual_add_f32 v2, v2, v5 :: v_dual_add_f32 v3, v3, v132
	s_delay_alu instid0(VALU_DEP_1) | instskip(SKIP_1) | instid1(VALU_DEP_1)
	v_add_f32_e32 v2, v2, v4
	s_wait_loadcnt 0x0
	v_dual_fmac_f32 v133, v125, v120 :: v_dual_sub_f32 v2, v122, v2
	s_delay_alu instid0(VALU_DEP_1) | instskip(NEXT) | instid1(VALU_DEP_1)
	v_add_f32_e32 v3, v3, v133
	v_sub_f32_e32 v3, v123, v3
	scratch_store_b64 off, v[2:3], off offset:256
	v_cmpx_lt_u32_e32 31, v0
	s_cbranch_execz .LBB105_203
; %bb.202:
	scratch_load_b64 v[3:4], off, off offset:248
	v_mov_b32_e32 v2, v1
	scratch_store_b64 off, v[1:2], off offset:248
	s_wait_loadcnt 0x0
	ds_store_b64 v23, v[3:4]
.LBB105_203:
	s_wait_alu 0xfffe
	s_or_b32 exec_lo, exec_lo, s0
	s_wait_storecnt_dscnt 0x0
	s_barrier_signal -1
	s_barrier_wait -1
	global_inv scope:SCOPE_SE
	s_clause 0x5
	scratch_load_b128 v[2:5], off, off offset:256
	scratch_load_b128 v[6:9], off, off offset:272
	;; [unrolled: 1-line block ×5, first 2 shown]
	scratch_load_b64 v[128:129], off, off offset:248
	ds_load_b128 v[24:27], v1 offset:592
	ds_load_b128 v[112:115], v1 offset:608
	;; [unrolled: 1-line block ×5, first 2 shown]
	s_mov_b32 s0, exec_lo
	s_wait_loadcnt_dscnt 0x504
	v_dual_mul_f32 v1, v24, v3 :: v_dual_mul_f32 v22, v26, v5
	v_mul_f32_e32 v3, v25, v3
	s_wait_loadcnt_dscnt 0x403
	v_dual_mul_f32 v5, v27, v5 :: v_dual_mul_f32 v130, v112, v7
	s_delay_alu instid0(VALU_DEP_3) | instskip(NEXT) | instid1(VALU_DEP_3)
	v_dual_mul_f32 v131, v114, v9 :: v_dual_fmac_f32 v22, v27, v4
	v_fma_f32 v3, v24, v2, -v3
	v_fmac_f32_e32 v1, v25, v2
	v_mul_f32_e32 v2, v113, v7
	v_fma_f32 v4, v26, v4, -v5
	s_wait_loadcnt_dscnt 0x302
	v_dual_mul_f32 v132, v116, v11 :: v_dual_mul_f32 v133, v118, v13
	v_dual_add_f32 v3, 0, v3 :: v_dual_fmac_f32 v130, v113, v6
	s_wait_loadcnt_dscnt 0x201
	v_dual_mul_f32 v134, v120, v15 :: v_dual_mul_f32 v135, v122, v17
	s_delay_alu instid0(VALU_DEP_3) | instskip(SKIP_1) | instid1(VALU_DEP_3)
	v_dual_mul_f32 v5, v115, v9 :: v_dual_fmac_f32 v132, v117, v10
	v_fma_f32 v2, v112, v6, -v2
	v_dual_add_f32 v3, v3, v4 :: v_dual_fmac_f32 v134, v121, v14
	s_delay_alu instid0(VALU_DEP_3)
	v_fma_f32 v5, v114, v8, -v5
	v_mul_f32_e32 v4, v117, v11
	s_wait_loadcnt_dscnt 0x100
	v_dual_mul_f32 v136, v124, v19 :: v_dual_mul_f32 v137, v126, v21
	v_add_f32_e32 v2, v3, v2
	v_mul_f32_e32 v3, v119, v13
	v_fma_f32 v4, v116, v10, -v4
	s_delay_alu instid0(VALU_DEP_4) | instskip(NEXT) | instid1(VALU_DEP_4)
	v_dual_fmac_f32 v136, v125, v18 :: v_dual_fmac_f32 v135, v123, v16
	v_add_f32_e32 v2, v2, v5
	v_add_f32_e32 v1, 0, v1
	v_fma_f32 v3, v118, v12, -v3
	v_fmac_f32_e32 v137, v127, v20
	s_delay_alu instid0(VALU_DEP_3) | instskip(SKIP_1) | instid1(VALU_DEP_2)
	v_dual_add_f32 v2, v2, v4 :: v_dual_add_f32 v1, v1, v22
	v_mul_f32_e32 v4, v123, v17
	v_dual_fmac_f32 v131, v115, v8 :: v_dual_add_f32 v2, v2, v3
	s_delay_alu instid0(VALU_DEP_3) | instskip(NEXT) | instid1(VALU_DEP_3)
	v_add_f32_e32 v1, v1, v130
	v_fma_f32 v4, v122, v16, -v4
	v_mul_f32_e32 v5, v121, v15
	v_mul_f32_e32 v3, v125, v19
	s_delay_alu instid0(VALU_DEP_4) | instskip(NEXT) | instid1(VALU_DEP_3)
	v_add_f32_e32 v1, v1, v131
	v_fma_f32 v5, v120, v14, -v5
	v_fmac_f32_e32 v133, v119, v12
	s_delay_alu instid0(VALU_DEP_4) | instskip(NEXT) | instid1(VALU_DEP_3)
	v_fma_f32 v3, v124, v18, -v3
	v_add_f32_e32 v2, v2, v5
	s_delay_alu instid0(VALU_DEP_1) | instskip(SKIP_1) | instid1(VALU_DEP_2)
	v_dual_mul_f32 v5, v127, v21 :: v_dual_add_f32 v2, v2, v4
	v_add_f32_e32 v1, v1, v132
	v_fma_f32 v4, v126, v20, -v5
	s_delay_alu instid0(VALU_DEP_2) | instskip(NEXT) | instid1(VALU_DEP_1)
	v_dual_add_f32 v2, v2, v3 :: v_dual_add_f32 v1, v1, v133
	v_dual_add_f32 v2, v2, v4 :: v_dual_add_f32 v1, v1, v134
	s_delay_alu instid0(VALU_DEP_1) | instskip(NEXT) | instid1(VALU_DEP_1)
	v_add_f32_e32 v1, v1, v135
	v_add_f32_e32 v1, v1, v136
	s_delay_alu instid0(VALU_DEP_1) | instskip(SKIP_1) | instid1(VALU_DEP_1)
	v_add_f32_e32 v3, v1, v137
	s_wait_loadcnt 0x0
	v_dual_sub_f32 v1, v128, v2 :: v_dual_sub_f32 v2, v129, v3
	scratch_store_b64 off, v[1:2], off offset:248
	v_cmpx_lt_u32_e32 30, v0
	s_cbranch_execz .LBB105_205
; %bb.204:
	scratch_load_b64 v[1:2], off, off offset:240
	v_mov_b32_e32 v3, 0
	s_delay_alu instid0(VALU_DEP_1)
	v_mov_b32_e32 v4, v3
	scratch_store_b64 off, v[3:4], off offset:240
	s_wait_loadcnt 0x0
	ds_store_b64 v23, v[1:2]
.LBB105_205:
	s_wait_alu 0xfffe
	s_or_b32 exec_lo, exec_lo, s0
	s_wait_storecnt_dscnt 0x0
	s_barrier_signal -1
	s_barrier_wait -1
	global_inv scope:SCOPE_SE
	s_clause 0x6
	scratch_load_b128 v[2:5], off, off offset:248
	scratch_load_b128 v[6:9], off, off offset:264
	;; [unrolled: 1-line block ×5, first 2 shown]
	scratch_load_b64 v[128:129], off, off offset:328
	scratch_load_b64 v[130:131], off, off offset:240
	v_mov_b32_e32 v1, 0
	ds_load_2addr_b64 v[24:27], v1 offset0:73 offset1:74
	ds_load_2addr_b64 v[112:115], v1 offset0:75 offset1:76
	;; [unrolled: 1-line block ×5, first 2 shown]
	ds_load_b64 v[132:133], v1 offset:664
	s_mov_b32 s0, exec_lo
	s_wait_loadcnt_dscnt 0x605
	v_mul_f32_e32 v22, v24, v3
	v_dual_mul_f32 v3, v25, v3 :: v_dual_mul_f32 v134, v26, v5
	s_wait_loadcnt_dscnt 0x302
	v_dual_mul_f32 v135, v112, v7 :: v_dual_mul_f32 v140, v122, v17
	v_mul_f32_e32 v5, v27, v5
	s_delay_alu instid0(VALU_DEP_3)
	v_fma_f32 v3, v24, v2, -v3
	v_dual_mul_f32 v136, v114, v9 :: v_dual_mul_f32 v137, v116, v11
	s_wait_loadcnt_dscnt 0x100
	v_dual_mul_f32 v143, v132, v129 :: v_dual_fmac_f32 v22, v25, v2
	v_mul_f32_e32 v2, v113, v7
	v_dual_fmac_f32 v134, v27, v4 :: v_dual_add_f32 v3, 0, v3
	v_fma_f32 v4, v26, v4, -v5
	s_delay_alu instid0(VALU_DEP_4) | instskip(SKIP_2) | instid1(VALU_DEP_4)
	v_dual_add_f32 v5, 0, v22 :: v_dual_fmac_f32 v136, v115, v8
	v_mul_f32_e32 v7, v115, v9
	v_fma_f32 v2, v112, v6, -v2
	v_add_f32_e32 v3, v3, v4
	v_fmac_f32_e32 v135, v113, v6
	v_add_f32_e32 v4, v5, v134
	v_mul_f32_e32 v5, v117, v11
	v_fma_f32 v6, v114, v8, -v7
	v_add_f32_e32 v2, v3, v2
	v_dual_mul_f32 v138, v118, v13 :: v_dual_mul_f32 v139, v120, v15
	v_dual_add_f32 v3, v4, v135 :: v_dual_mul_f32 v4, v119, v13
	v_fma_f32 v5, v116, v10, -v5
	s_delay_alu instid0(VALU_DEP_4)
	v_add_f32_e32 v2, v2, v6
	v_fmac_f32_e32 v137, v117, v10
	v_mul_f32_e32 v6, v121, v15
	v_fmac_f32_e32 v138, v119, v12
	v_add_f32_e32 v3, v3, v136
	v_fma_f32 v4, v118, v12, -v4
	v_add_f32_e32 v2, v2, v5
	v_mul_f32_e32 v5, v123, v17
	v_fma_f32 v6, v120, v14, -v6
	v_add_f32_e32 v3, v3, v137
	v_dual_fmac_f32 v139, v121, v14 :: v_dual_fmac_f32 v140, v123, v16
	v_add_f32_e32 v2, v2, v4
	v_mul_f32_e32 v4, v125, v19
	v_fma_f32 v5, v122, v16, -v5
	v_dual_mul_f32 v141, v124, v19 :: v_dual_mul_f32 v142, v126, v21
	s_delay_alu instid0(VALU_DEP_4) | instskip(SKIP_1) | instid1(VALU_DEP_3)
	v_add_f32_e32 v2, v2, v6
	v_add_f32_e32 v3, v3, v138
	v_dual_mul_f32 v6, v127, v21 :: v_dual_fmac_f32 v141, v125, v18
	v_fma_f32 v4, v124, v18, -v4
	s_delay_alu instid0(VALU_DEP_3) | instskip(SKIP_1) | instid1(VALU_DEP_4)
	v_dual_add_f32 v2, v2, v5 :: v_dual_add_f32 v3, v3, v139
	v_dual_mul_f32 v5, v133, v129 :: v_dual_fmac_f32 v142, v127, v20
	v_fma_f32 v6, v126, v20, -v6
	s_delay_alu instid0(VALU_DEP_3) | instskip(NEXT) | instid1(VALU_DEP_4)
	v_add_f32_e32 v2, v2, v4
	v_add_f32_e32 v3, v3, v140
	s_delay_alu instid0(VALU_DEP_4) | instskip(NEXT) | instid1(VALU_DEP_2)
	v_fma_f32 v4, v132, v128, -v5
	v_dual_add_f32 v2, v2, v6 :: v_dual_add_f32 v3, v3, v141
	s_delay_alu instid0(VALU_DEP_1) | instskip(SKIP_1) | instid1(VALU_DEP_1)
	v_dual_add_f32 v2, v2, v4 :: v_dual_add_f32 v3, v3, v142
	s_wait_loadcnt 0x0
	v_dual_fmac_f32 v143, v133, v128 :: v_dual_sub_f32 v2, v130, v2
	s_delay_alu instid0(VALU_DEP_1) | instskip(NEXT) | instid1(VALU_DEP_1)
	v_add_f32_e32 v3, v3, v143
	v_sub_f32_e32 v3, v131, v3
	scratch_store_b64 off, v[2:3], off offset:240
	v_cmpx_lt_u32_e32 29, v0
	s_cbranch_execz .LBB105_207
; %bb.206:
	scratch_load_b64 v[3:4], off, off offset:232
	v_mov_b32_e32 v2, v1
	scratch_store_b64 off, v[1:2], off offset:232
	s_wait_loadcnt 0x0
	ds_store_b64 v23, v[3:4]
.LBB105_207:
	s_wait_alu 0xfffe
	s_or_b32 exec_lo, exec_lo, s0
	s_wait_storecnt_dscnt 0x0
	s_barrier_signal -1
	s_barrier_wait -1
	global_inv scope:SCOPE_SE
	s_clause 0x6
	scratch_load_b128 v[2:5], off, off offset:240
	scratch_load_b128 v[6:9], off, off offset:256
	;; [unrolled: 1-line block ×6, first 2 shown]
	scratch_load_b64 v[136:137], off, off offset:232
	ds_load_b128 v[112:115], v1 offset:576
	ds_load_b128 v[116:119], v1 offset:592
	;; [unrolled: 1-line block ×6, first 2 shown]
	s_mov_b32 s0, exec_lo
	s_wait_loadcnt_dscnt 0x605
	v_dual_mul_f32 v1, v112, v3 :: v_dual_mul_f32 v22, v114, v5
	v_mul_f32_e32 v3, v113, v3
	s_wait_loadcnt_dscnt 0x504
	v_dual_mul_f32 v5, v115, v5 :: v_dual_mul_f32 v138, v116, v7
	v_mul_f32_e32 v139, v118, v9
	s_wait_loadcnt_dscnt 0x100
	v_mul_f32_e32 v146, v132, v25
	v_fma_f32 v3, v112, v2, -v3
	v_dual_mul_f32 v147, v134, v27 :: v_dual_fmac_f32 v22, v115, v4
	v_fmac_f32_e32 v1, v113, v2
	v_mul_f32_e32 v2, v117, v7
	v_fma_f32 v4, v114, v4, -v5
	v_dual_add_f32 v3, 0, v3 :: v_dual_fmac_f32 v138, v117, v6
	v_dual_mul_f32 v140, v120, v11 :: v_dual_mul_f32 v141, v122, v13
	v_dual_mul_f32 v142, v124, v15 :: v_dual_mul_f32 v143, v126, v17
	s_delay_alu instid0(VALU_DEP_2) | instskip(SKIP_1) | instid1(VALU_DEP_3)
	v_dual_mul_f32 v5, v119, v9 :: v_dual_fmac_f32 v140, v121, v10
	v_fma_f32 v2, v116, v6, -v2
	v_dual_add_f32 v3, v3, v4 :: v_dual_fmac_f32 v142, v125, v14
	s_delay_alu instid0(VALU_DEP_3) | instskip(SKIP_2) | instid1(VALU_DEP_4)
	v_fma_f32 v5, v118, v8, -v5
	v_mul_f32_e32 v4, v121, v11
	v_dual_mul_f32 v144, v128, v19 :: v_dual_mul_f32 v145, v130, v21
	v_add_f32_e32 v2, v3, v2
	v_mul_f32_e32 v3, v123, v13
	s_delay_alu instid0(VALU_DEP_4) | instskip(NEXT) | instid1(VALU_DEP_4)
	v_fma_f32 v4, v120, v10, -v4
	v_dual_fmac_f32 v144, v129, v18 :: v_dual_fmac_f32 v143, v127, v16
	s_delay_alu instid0(VALU_DEP_4) | instskip(SKIP_3) | instid1(VALU_DEP_4)
	v_add_f32_e32 v2, v2, v5
	v_add_f32_e32 v1, 0, v1
	v_fma_f32 v3, v122, v12, -v3
	v_fmac_f32_e32 v145, v131, v20
	v_dual_fmac_f32 v147, v135, v26 :: v_dual_add_f32 v2, v2, v4
	s_delay_alu instid0(VALU_DEP_4) | instskip(SKIP_2) | instid1(VALU_DEP_3)
	v_dual_add_f32 v1, v1, v22 :: v_dual_mul_f32 v4, v127, v17
	v_fmac_f32_e32 v139, v119, v8
	v_fmac_f32_e32 v146, v133, v24
	v_dual_add_f32 v2, v2, v3 :: v_dual_add_f32 v1, v1, v138
	s_delay_alu instid0(VALU_DEP_4) | instskip(SKIP_1) | instid1(VALU_DEP_3)
	v_fma_f32 v4, v126, v16, -v4
	v_mul_f32_e32 v5, v125, v15
	v_add_f32_e32 v1, v1, v139
	s_delay_alu instid0(VALU_DEP_2) | instskip(NEXT) | instid1(VALU_DEP_1)
	v_fma_f32 v5, v124, v14, -v5
	v_dual_fmac_f32 v141, v123, v12 :: v_dual_add_f32 v2, v2, v5
	s_delay_alu instid0(VALU_DEP_1) | instskip(NEXT) | instid1(VALU_DEP_1)
	v_dual_mul_f32 v5, v131, v21 :: v_dual_add_f32 v2, v2, v4
	v_fma_f32 v5, v130, v20, -v5
	v_mul_f32_e32 v3, v129, v19
	v_mul_f32_e32 v4, v133, v25
	s_delay_alu instid0(VALU_DEP_2) | instskip(SKIP_1) | instid1(VALU_DEP_3)
	v_fma_f32 v3, v128, v18, -v3
	v_add_f32_e32 v1, v1, v140
	v_fma_f32 v4, v132, v24, -v4
	s_delay_alu instid0(VALU_DEP_3) | instskip(NEXT) | instid1(VALU_DEP_1)
	v_add_f32_e32 v2, v2, v3
	v_dual_mul_f32 v3, v135, v27 :: v_dual_add_f32 v2, v2, v5
	s_delay_alu instid0(VALU_DEP_4) | instskip(NEXT) | instid1(VALU_DEP_2)
	v_add_f32_e32 v1, v1, v141
	v_fma_f32 v3, v134, v26, -v3
	s_delay_alu instid0(VALU_DEP_2) | instskip(NEXT) | instid1(VALU_DEP_1)
	v_dual_add_f32 v2, v2, v4 :: v_dual_add_f32 v1, v1, v142
	v_add_f32_e32 v2, v2, v3
	s_delay_alu instid0(VALU_DEP_2) | instskip(NEXT) | instid1(VALU_DEP_1)
	v_add_f32_e32 v1, v1, v143
	v_add_f32_e32 v1, v1, v144
	s_delay_alu instid0(VALU_DEP_1) | instskip(NEXT) | instid1(VALU_DEP_1)
	v_add_f32_e32 v1, v1, v145
	v_add_f32_e32 v1, v1, v146
	s_delay_alu instid0(VALU_DEP_1) | instskip(SKIP_1) | instid1(VALU_DEP_1)
	v_add_f32_e32 v3, v1, v147
	s_wait_loadcnt 0x0
	v_dual_sub_f32 v1, v136, v2 :: v_dual_sub_f32 v2, v137, v3
	scratch_store_b64 off, v[1:2], off offset:232
	v_cmpx_lt_u32_e32 28, v0
	s_cbranch_execz .LBB105_209
; %bb.208:
	scratch_load_b64 v[1:2], off, off offset:224
	v_mov_b32_e32 v3, 0
	s_delay_alu instid0(VALU_DEP_1)
	v_mov_b32_e32 v4, v3
	scratch_store_b64 off, v[3:4], off offset:224
	s_wait_loadcnt 0x0
	ds_store_b64 v23, v[1:2]
.LBB105_209:
	s_wait_alu 0xfffe
	s_or_b32 exec_lo, exec_lo, s0
	s_wait_storecnt_dscnt 0x0
	s_barrier_signal -1
	s_barrier_wait -1
	global_inv scope:SCOPE_SE
	s_clause 0x7
	scratch_load_b128 v[2:5], off, off offset:232
	scratch_load_b128 v[6:9], off, off offset:248
	;; [unrolled: 1-line block ×6, first 2 shown]
	scratch_load_b64 v[136:137], off, off offset:328
	scratch_load_b64 v[138:139], off, off offset:224
	v_mov_b32_e32 v1, 0
	ds_load_2addr_b64 v[112:115], v1 offset0:71 offset1:72
	ds_load_2addr_b64 v[116:119], v1 offset0:73 offset1:74
	;; [unrolled: 1-line block ×6, first 2 shown]
	ds_load_b64 v[140:141], v1 offset:664
	s_mov_b32 s0, exec_lo
	s_wait_loadcnt_dscnt 0x706
	v_mul_f32_e32 v22, v112, v3
	v_dual_mul_f32 v3, v113, v3 :: v_dual_mul_f32 v142, v114, v5
	s_wait_loadcnt_dscnt 0x302
	v_dual_mul_f32 v143, v116, v7 :: v_dual_mul_f32 v150, v130, v21
	v_mul_f32_e32 v5, v115, v5
	s_delay_alu instid0(VALU_DEP_3)
	v_fma_f32 v3, v112, v2, -v3
	v_dual_mul_f32 v144, v118, v9 :: v_dual_mul_f32 v145, v120, v11
	s_wait_loadcnt_dscnt 0x100
	v_dual_mul_f32 v153, v140, v137 :: v_dual_fmac_f32 v22, v113, v2
	v_mul_f32_e32 v2, v117, v7
	v_dual_fmac_f32 v142, v115, v4 :: v_dual_add_f32 v3, 0, v3
	v_fma_f32 v4, v114, v4, -v5
	s_delay_alu instid0(VALU_DEP_4) | instskip(SKIP_2) | instid1(VALU_DEP_4)
	v_dual_add_f32 v5, 0, v22 :: v_dual_fmac_f32 v144, v119, v8
	v_mul_f32_e32 v7, v119, v9
	v_fma_f32 v2, v116, v6, -v2
	v_add_f32_e32 v3, v3, v4
	v_fmac_f32_e32 v143, v117, v6
	v_add_f32_e32 v4, v5, v142
	v_mul_f32_e32 v5, v121, v11
	v_fma_f32 v6, v118, v8, -v7
	v_add_f32_e32 v2, v3, v2
	v_dual_mul_f32 v146, v122, v13 :: v_dual_mul_f32 v147, v124, v15
	v_dual_add_f32 v3, v4, v143 :: v_dual_mul_f32 v4, v123, v13
	v_fma_f32 v5, v120, v10, -v5
	s_delay_alu instid0(VALU_DEP_4)
	v_add_f32_e32 v2, v2, v6
	v_fmac_f32_e32 v145, v121, v10
	v_mul_f32_e32 v6, v125, v15
	v_fmac_f32_e32 v146, v123, v12
	v_add_f32_e32 v3, v3, v144
	v_fma_f32 v4, v122, v12, -v4
	v_add_f32_e32 v2, v2, v5
	v_dual_mul_f32 v148, v126, v17 :: v_dual_mul_f32 v149, v128, v19
	s_delay_alu instid0(VALU_DEP_4)
	v_add_f32_e32 v3, v3, v145
	v_mul_f32_e32 v5, v127, v17
	v_fma_f32 v6, v124, v14, -v6
	v_dual_add_f32 v2, v2, v4 :: v_dual_fmac_f32 v147, v125, v14
	v_fmac_f32_e32 v148, v127, v16
	v_mul_f32_e32 v4, v129, v19
	v_fma_f32 v5, v126, v16, -v5
	s_delay_alu instid0(VALU_DEP_4) | instskip(SKIP_3) | instid1(VALU_DEP_3)
	v_add_f32_e32 v2, v2, v6
	v_add_f32_e32 v3, v3, v146
	v_dual_mul_f32 v6, v131, v21 :: v_dual_fmac_f32 v149, v129, v18
	v_fma_f32 v4, v128, v18, -v4
	v_dual_add_f32 v2, v2, v5 :: v_dual_add_f32 v3, v3, v147
	s_delay_alu instid0(VALU_DEP_3) | instskip(SKIP_1) | instid1(VALU_DEP_3)
	v_fma_f32 v6, v130, v20, -v6
	v_dual_mul_f32 v151, v132, v25 :: v_dual_mul_f32 v152, v134, v27
	v_add_f32_e32 v2, v2, v4
	s_delay_alu instid0(VALU_DEP_4) | instskip(SKIP_1) | instid1(VALU_DEP_4)
	v_add_f32_e32 v3, v3, v148
	v_dual_mul_f32 v5, v133, v25 :: v_dual_fmac_f32 v150, v131, v20
	v_dual_mul_f32 v4, v135, v27 :: v_dual_fmac_f32 v151, v133, v24
	s_delay_alu instid0(VALU_DEP_3) | instskip(NEXT) | instid1(VALU_DEP_3)
	v_dual_add_f32 v2, v2, v6 :: v_dual_add_f32 v3, v3, v149
	v_fma_f32 v5, v132, v24, -v5
	v_mul_f32_e32 v6, v141, v137
	v_dual_fmac_f32 v152, v135, v26 :: v_dual_fmac_f32 v153, v141, v136
	s_delay_alu instid0(VALU_DEP_4) | instskip(SKIP_3) | instid1(VALU_DEP_4)
	v_add_f32_e32 v3, v3, v150
	v_fma_f32 v4, v134, v26, -v4
	v_add_f32_e32 v2, v2, v5
	v_fma_f32 v5, v140, v136, -v6
	v_add_f32_e32 v3, v3, v151
	s_delay_alu instid0(VALU_DEP_1) | instskip(NEXT) | instid1(VALU_DEP_1)
	v_add_f32_e32 v3, v3, v152
	v_dual_add_f32 v2, v2, v4 :: v_dual_add_f32 v3, v3, v153
	s_wait_loadcnt 0x0
	s_delay_alu instid0(VALU_DEP_1) | instskip(NEXT) | instid1(VALU_DEP_1)
	v_dual_add_f32 v2, v2, v5 :: v_dual_sub_f32 v3, v139, v3
	v_sub_f32_e32 v2, v138, v2
	scratch_store_b64 off, v[2:3], off offset:224
	v_cmpx_lt_u32_e32 27, v0
	s_cbranch_execz .LBB105_211
; %bb.210:
	scratch_load_b64 v[3:4], off, off offset:216
	v_mov_b32_e32 v2, v1
	scratch_store_b64 off, v[1:2], off offset:216
	s_wait_loadcnt 0x0
	ds_store_b64 v23, v[3:4]
.LBB105_211:
	s_wait_alu 0xfffe
	s_or_b32 exec_lo, exec_lo, s0
	s_wait_storecnt_dscnt 0x0
	s_barrier_signal -1
	s_barrier_wait -1
	global_inv scope:SCOPE_SE
	s_clause 0x7
	scratch_load_b128 v[2:5], off, off offset:224
	scratch_load_b128 v[6:9], off, off offset:240
	scratch_load_b128 v[10:13], off, off offset:256
	scratch_load_b128 v[14:17], off, off offset:272
	scratch_load_b128 v[18:21], off, off offset:288
	scratch_load_b128 v[24:27], off, off offset:304
	scratch_load_b128 v[112:115], off, off offset:320
	scratch_load_b64 v[144:145], off, off offset:216
	ds_load_b128 v[116:119], v1 offset:560
	ds_load_b128 v[120:123], v1 offset:576
	ds_load_b128 v[124:127], v1 offset:592
	ds_load_b128 v[128:131], v1 offset:608
	ds_load_b128 v[132:135], v1 offset:624
	ds_load_b128 v[136:139], v1 offset:640
	ds_load_b128 v[140:143], v1 offset:656
	s_mov_b32 s0, exec_lo
	s_wait_loadcnt_dscnt 0x706
	v_dual_mul_f32 v1, v116, v3 :: v_dual_mul_f32 v22, v118, v5
	v_mul_f32_e32 v3, v117, v3
	s_wait_loadcnt_dscnt 0x605
	v_dual_mul_f32 v5, v119, v5 :: v_dual_mul_f32 v146, v120, v7
	v_mul_f32_e32 v147, v122, v9
	s_wait_loadcnt_dscnt 0x201
	v_mul_f32_e32 v154, v136, v25
	v_fma_f32 v3, v116, v2, -v3
	s_wait_loadcnt_dscnt 0x100
	v_dual_mul_f32 v157, v142, v115 :: v_dual_fmac_f32 v22, v119, v4
	v_fmac_f32_e32 v1, v117, v2
	v_mul_f32_e32 v2, v121, v7
	v_fma_f32 v4, v118, v4, -v5
	v_dual_add_f32 v3, 0, v3 :: v_dual_fmac_f32 v146, v121, v6
	v_dual_mul_f32 v148, v124, v11 :: v_dual_mul_f32 v149, v126, v13
	v_dual_mul_f32 v150, v128, v15 :: v_dual_mul_f32 v151, v130, v17
	s_delay_alu instid0(VALU_DEP_2) | instskip(SKIP_1) | instid1(VALU_DEP_3)
	v_dual_mul_f32 v5, v123, v9 :: v_dual_fmac_f32 v148, v125, v10
	v_fma_f32 v2, v120, v6, -v2
	v_dual_add_f32 v3, v3, v4 :: v_dual_fmac_f32 v150, v129, v14
	s_delay_alu instid0(VALU_DEP_3) | instskip(SKIP_1) | instid1(VALU_DEP_3)
	v_fma_f32 v5, v122, v8, -v5
	v_dual_mul_f32 v152, v132, v19 :: v_dual_mul_f32 v153, v134, v21
	v_add_f32_e32 v2, v3, v2
	v_dual_mul_f32 v4, v125, v11 :: v_dual_mul_f32 v3, v127, v13
	s_delay_alu instid0(VALU_DEP_3) | instskip(NEXT) | instid1(VALU_DEP_3)
	v_dual_fmac_f32 v152, v133, v18 :: v_dual_fmac_f32 v151, v131, v16
	v_add_f32_e32 v2, v2, v5
	v_add_f32_e32 v1, 0, v1
	s_delay_alu instid0(VALU_DEP_4) | instskip(SKIP_2) | instid1(VALU_DEP_3)
	v_fma_f32 v4, v124, v10, -v4
	v_fma_f32 v3, v126, v12, -v3
	v_dual_mul_f32 v155, v138, v27 :: v_dual_mul_f32 v156, v140, v113
	v_dual_add_f32 v1, v1, v22 :: v_dual_add_f32 v2, v2, v4
	v_mul_f32_e32 v4, v131, v17
	v_fmac_f32_e32 v147, v123, v8
	s_delay_alu instid0(VALU_DEP_4) | instskip(NEXT) | instid1(VALU_DEP_4)
	v_fmac_f32_e32 v155, v139, v26
	v_dual_add_f32 v1, v1, v146 :: v_dual_add_f32 v2, v2, v3
	s_delay_alu instid0(VALU_DEP_4) | instskip(SKIP_2) | instid1(VALU_DEP_4)
	v_fma_f32 v4, v130, v16, -v4
	v_mul_f32_e32 v5, v129, v15
	v_fmac_f32_e32 v157, v143, v114
	v_add_f32_e32 v1, v1, v147
	v_fmac_f32_e32 v154, v137, v24
	v_fmac_f32_e32 v156, v141, v112
	v_fma_f32 v5, v128, v14, -v5
	s_delay_alu instid0(VALU_DEP_1) | instskip(NEXT) | instid1(VALU_DEP_1)
	v_dual_fmac_f32 v149, v127, v12 :: v_dual_add_f32 v2, v2, v5
	v_dual_mul_f32 v5, v135, v21 :: v_dual_add_f32 v2, v2, v4
	s_delay_alu instid0(VALU_DEP_1) | instskip(SKIP_2) | instid1(VALU_DEP_2)
	v_fma_f32 v5, v134, v20, -v5
	v_mul_f32_e32 v3, v133, v19
	v_mul_f32_e32 v4, v137, v25
	v_fma_f32 v3, v132, v18, -v3
	v_add_f32_e32 v1, v1, v148
	s_delay_alu instid0(VALU_DEP_3) | instskip(NEXT) | instid1(VALU_DEP_3)
	v_fma_f32 v4, v136, v24, -v4
	v_add_f32_e32 v2, v2, v3
	s_delay_alu instid0(VALU_DEP_1) | instskip(NEXT) | instid1(VALU_DEP_4)
	v_dual_mul_f32 v3, v139, v27 :: v_dual_add_f32 v2, v2, v5
	v_add_f32_e32 v1, v1, v149
	v_mul_f32_e32 v5, v141, v113
	s_delay_alu instid0(VALU_DEP_3) | instskip(NEXT) | instid1(VALU_DEP_3)
	v_fma_f32 v3, v138, v26, -v3
	v_dual_add_f32 v2, v2, v4 :: v_dual_add_f32 v1, v1, v150
	v_mul_f32_e32 v4, v143, v115
	v_fmac_f32_e32 v153, v135, v20
	v_fma_f32 v5, v140, v112, -v5
	s_delay_alu instid0(VALU_DEP_4) | instskip(SKIP_2) | instid1(VALU_DEP_2)
	v_add_f32_e32 v2, v2, v3
	v_add_f32_e32 v1, v1, v151
	v_fma_f32 v3, v142, v114, -v4
	v_dual_add_f32 v2, v2, v5 :: v_dual_add_f32 v1, v1, v152
	s_delay_alu instid0(VALU_DEP_1) | instskip(NEXT) | instid1(VALU_DEP_1)
	v_dual_add_f32 v2, v2, v3 :: v_dual_add_f32 v1, v1, v153
	v_add_f32_e32 v1, v1, v154
	s_delay_alu instid0(VALU_DEP_1) | instskip(NEXT) | instid1(VALU_DEP_1)
	v_add_f32_e32 v1, v1, v155
	v_add_f32_e32 v1, v1, v156
	s_delay_alu instid0(VALU_DEP_1) | instskip(SKIP_1) | instid1(VALU_DEP_1)
	v_add_f32_e32 v3, v1, v157
	s_wait_loadcnt 0x0
	v_dual_sub_f32 v1, v144, v2 :: v_dual_sub_f32 v2, v145, v3
	scratch_store_b64 off, v[1:2], off offset:216
	v_cmpx_lt_u32_e32 26, v0
	s_cbranch_execz .LBB105_213
; %bb.212:
	scratch_load_b64 v[1:2], off, off offset:208
	v_mov_b32_e32 v3, 0
	s_delay_alu instid0(VALU_DEP_1)
	v_mov_b32_e32 v4, v3
	scratch_store_b64 off, v[3:4], off offset:208
	s_wait_loadcnt 0x0
	ds_store_b64 v23, v[1:2]
.LBB105_213:
	s_wait_alu 0xfffe
	s_or_b32 exec_lo, exec_lo, s0
	s_wait_storecnt_dscnt 0x0
	s_barrier_signal -1
	s_barrier_wait -1
	global_inv scope:SCOPE_SE
	s_clause 0x8
	scratch_load_b128 v[2:5], off, off offset:216
	scratch_load_b128 v[6:9], off, off offset:232
	;; [unrolled: 1-line block ×7, first 2 shown]
	scratch_load_b64 v[144:145], off, off offset:328
	scratch_load_b64 v[146:147], off, off offset:208
	v_mov_b32_e32 v1, 0
	ds_load_2addr_b64 v[116:119], v1 offset0:69 offset1:70
	ds_load_2addr_b64 v[120:123], v1 offset0:71 offset1:72
	;; [unrolled: 1-line block ×7, first 2 shown]
	ds_load_b64 v[148:149], v1 offset:664
	s_mov_b32 s0, exec_lo
	s_wait_loadcnt_dscnt 0x807
	v_mul_f32_e32 v22, v116, v3
	v_dual_mul_f32 v3, v117, v3 :: v_dual_mul_f32 v150, v118, v5
	s_wait_loadcnt_dscnt 0x403
	v_dual_mul_f32 v151, v120, v7 :: v_dual_mul_f32 v158, v134, v21
	v_mul_f32_e32 v5, v119, v5
	s_delay_alu instid0(VALU_DEP_3)
	v_fma_f32 v3, v116, v2, -v3
	v_dual_mul_f32 v152, v122, v9 :: v_dual_mul_f32 v153, v124, v11
	s_wait_loadcnt_dscnt 0x100
	v_dual_mul_f32 v163, v148, v145 :: v_dual_fmac_f32 v22, v117, v2
	v_mul_f32_e32 v2, v121, v7
	v_dual_fmac_f32 v150, v119, v4 :: v_dual_add_f32 v3, 0, v3
	v_fma_f32 v4, v118, v4, -v5
	s_delay_alu instid0(VALU_DEP_4) | instskip(SKIP_2) | instid1(VALU_DEP_4)
	v_dual_add_f32 v5, 0, v22 :: v_dual_fmac_f32 v152, v123, v8
	v_mul_f32_e32 v7, v123, v9
	v_fma_f32 v2, v120, v6, -v2
	v_add_f32_e32 v3, v3, v4
	v_fmac_f32_e32 v151, v121, v6
	v_add_f32_e32 v4, v5, v150
	v_mul_f32_e32 v5, v125, v11
	v_fma_f32 v6, v122, v8, -v7
	v_add_f32_e32 v2, v3, v2
	v_dual_mul_f32 v154, v126, v13 :: v_dual_mul_f32 v155, v128, v15
	v_dual_add_f32 v3, v4, v151 :: v_dual_mul_f32 v4, v127, v13
	v_fma_f32 v5, v124, v10, -v5
	s_delay_alu instid0(VALU_DEP_4)
	v_add_f32_e32 v2, v2, v6
	v_fmac_f32_e32 v153, v125, v10
	v_mul_f32_e32 v6, v129, v15
	v_fmac_f32_e32 v154, v127, v12
	v_add_f32_e32 v3, v3, v152
	v_fma_f32 v4, v126, v12, -v4
	v_add_f32_e32 v2, v2, v5
	v_dual_mul_f32 v156, v130, v17 :: v_dual_mul_f32 v157, v132, v19
	s_delay_alu instid0(VALU_DEP_4)
	v_add_f32_e32 v3, v3, v153
	v_mul_f32_e32 v5, v131, v17
	v_fma_f32 v6, v128, v14, -v6
	v_dual_add_f32 v2, v2, v4 :: v_dual_fmac_f32 v155, v129, v14
	v_fmac_f32_e32 v156, v131, v16
	v_mul_f32_e32 v4, v133, v19
	v_fma_f32 v5, v130, v16, -v5
	s_delay_alu instid0(VALU_DEP_4) | instskip(SKIP_3) | instid1(VALU_DEP_3)
	v_add_f32_e32 v2, v2, v6
	v_add_f32_e32 v3, v3, v154
	v_dual_mul_f32 v6, v135, v21 :: v_dual_fmac_f32 v157, v133, v18
	v_fma_f32 v4, v132, v18, -v4
	v_dual_add_f32 v2, v2, v5 :: v_dual_add_f32 v3, v3, v155
	s_delay_alu instid0(VALU_DEP_3) | instskip(SKIP_1) | instid1(VALU_DEP_3)
	v_fma_f32 v6, v134, v20, -v6
	v_dual_mul_f32 v159, v136, v25 :: v_dual_mul_f32 v160, v138, v27
	v_add_f32_e32 v2, v2, v4
	s_delay_alu instid0(VALU_DEP_4) | instskip(SKIP_1) | instid1(VALU_DEP_4)
	v_add_f32_e32 v3, v3, v156
	v_dual_mul_f32 v5, v137, v25 :: v_dual_fmac_f32 v158, v135, v20
	v_dual_mul_f32 v4, v139, v27 :: v_dual_fmac_f32 v159, v137, v24
	s_delay_alu instid0(VALU_DEP_3) | instskip(NEXT) | instid1(VALU_DEP_3)
	v_dual_add_f32 v2, v2, v6 :: v_dual_add_f32 v3, v3, v157
	v_fma_f32 v5, v136, v24, -v5
	v_dual_mul_f32 v161, v140, v113 :: v_dual_mul_f32 v162, v142, v115
	s_delay_alu instid0(VALU_DEP_3) | instskip(NEXT) | instid1(VALU_DEP_2)
	v_dual_mul_f32 v6, v141, v113 :: v_dual_add_f32 v3, v3, v158
	v_dual_fmac_f32 v160, v139, v26 :: v_dual_fmac_f32 v161, v141, v112
	v_fma_f32 v4, v138, v26, -v4
	s_delay_alu instid0(VALU_DEP_3) | instskip(SKIP_3) | instid1(VALU_DEP_4)
	v_dual_add_f32 v2, v2, v5 :: v_dual_add_f32 v3, v3, v159
	v_mul_f32_e32 v5, v143, v115
	v_fma_f32 v6, v140, v112, -v6
	v_dual_fmac_f32 v162, v143, v114 :: v_dual_fmac_f32 v163, v149, v144
	v_add_f32_e32 v2, v2, v4
	v_dual_add_f32 v3, v3, v160 :: v_dual_mul_f32 v4, v149, v145
	v_fma_f32 v5, v142, v114, -v5
	s_delay_alu instid0(VALU_DEP_2) | instskip(NEXT) | instid1(VALU_DEP_3)
	v_dual_add_f32 v2, v2, v6 :: v_dual_add_f32 v3, v3, v161
	v_fma_f32 v4, v148, v144, -v4
	s_delay_alu instid0(VALU_DEP_2) | instskip(NEXT) | instid1(VALU_DEP_1)
	v_dual_add_f32 v2, v2, v5 :: v_dual_add_f32 v3, v3, v162
	v_dual_add_f32 v2, v2, v4 :: v_dual_add_f32 v3, v3, v163
	s_wait_loadcnt 0x0
	s_delay_alu instid0(VALU_DEP_1)
	v_dual_sub_f32 v2, v146, v2 :: v_dual_sub_f32 v3, v147, v3
	scratch_store_b64 off, v[2:3], off offset:208
	v_cmpx_lt_u32_e32 25, v0
	s_cbranch_execz .LBB105_215
; %bb.214:
	scratch_load_b64 v[3:4], off, off offset:200
	v_mov_b32_e32 v2, v1
	scratch_store_b64 off, v[1:2], off offset:200
	s_wait_loadcnt 0x0
	ds_store_b64 v23, v[3:4]
.LBB105_215:
	s_wait_alu 0xfffe
	s_or_b32 exec_lo, exec_lo, s0
	s_wait_storecnt_dscnt 0x0
	s_barrier_signal -1
	s_barrier_wait -1
	global_inv scope:SCOPE_SE
	s_clause 0x8
	scratch_load_b128 v[2:5], off, off offset:208
	scratch_load_b128 v[6:9], off, off offset:224
	;; [unrolled: 1-line block ×8, first 2 shown]
	scratch_load_b64 v[152:153], off, off offset:200
	ds_load_b128 v[120:123], v1 offset:544
	ds_load_b128 v[124:127], v1 offset:560
	;; [unrolled: 1-line block ×8, first 2 shown]
	s_mov_b32 s0, exec_lo
	s_wait_loadcnt_dscnt 0x807
	v_dual_mul_f32 v1, v120, v3 :: v_dual_mul_f32 v22, v122, v5
	v_mul_f32_e32 v3, v121, v3
	s_wait_loadcnt_dscnt 0x706
	v_dual_mul_f32 v5, v123, v5 :: v_dual_mul_f32 v154, v124, v7
	v_mul_f32_e32 v155, v126, v9
	s_wait_loadcnt_dscnt 0x201
	v_mul_f32_e32 v164, v144, v113
	v_fma_f32 v3, v120, v2, -v3
	s_wait_loadcnt_dscnt 0x100
	v_dual_mul_f32 v167, v150, v119 :: v_dual_fmac_f32 v22, v123, v4
	v_fmac_f32_e32 v1, v121, v2
	v_mul_f32_e32 v2, v125, v7
	v_fma_f32 v4, v122, v4, -v5
	v_dual_add_f32 v3, 0, v3 :: v_dual_fmac_f32 v154, v125, v6
	v_dual_mul_f32 v156, v128, v11 :: v_dual_mul_f32 v157, v130, v13
	v_dual_mul_f32 v158, v132, v15 :: v_dual_mul_f32 v159, v134, v17
	s_delay_alu instid0(VALU_DEP_2) | instskip(SKIP_1) | instid1(VALU_DEP_3)
	v_dual_mul_f32 v5, v127, v9 :: v_dual_fmac_f32 v156, v129, v10
	v_fma_f32 v2, v124, v6, -v2
	v_dual_add_f32 v3, v3, v4 :: v_dual_fmac_f32 v158, v133, v14
	s_delay_alu instid0(VALU_DEP_3) | instskip(SKIP_1) | instid1(VALU_DEP_3)
	v_fma_f32 v5, v126, v8, -v5
	v_dual_mul_f32 v160, v136, v19 :: v_dual_mul_f32 v161, v138, v21
	v_add_f32_e32 v2, v3, v2
	v_dual_mul_f32 v4, v129, v11 :: v_dual_mul_f32 v3, v131, v13
	s_delay_alu instid0(VALU_DEP_3) | instskip(SKIP_1) | instid1(VALU_DEP_4)
	v_fmac_f32_e32 v160, v137, v18
	v_dual_mul_f32 v162, v140, v25 :: v_dual_mul_f32 v163, v142, v27
	v_add_f32_e32 v2, v2, v5
	v_add_f32_e32 v1, 0, v1
	v_fma_f32 v4, v128, v10, -v4
	v_fma_f32 v3, v130, v12, -v3
	v_fmac_f32_e32 v159, v135, v16
	v_dual_mul_f32 v165, v146, v115 :: v_dual_mul_f32 v166, v148, v117
	s_delay_alu instid0(VALU_DEP_4) | instskip(SKIP_2) | instid1(VALU_DEP_4)
	v_dual_add_f32 v1, v1, v22 :: v_dual_add_f32 v2, v2, v4
	v_mul_f32_e32 v4, v135, v17
	v_fmac_f32_e32 v155, v127, v8
	v_dual_fmac_f32 v163, v143, v26 :: v_dual_fmac_f32 v166, v149, v116
	s_delay_alu instid0(VALU_DEP_4) | instskip(NEXT) | instid1(VALU_DEP_4)
	v_add_f32_e32 v1, v1, v154
	v_fma_f32 v4, v134, v16, -v4
	v_mul_f32_e32 v5, v133, v15
	v_dual_add_f32 v2, v2, v3 :: v_dual_fmac_f32 v165, v147, v114
	s_delay_alu instid0(VALU_DEP_4) | instskip(SKIP_1) | instid1(VALU_DEP_4)
	v_add_f32_e32 v1, v1, v155
	v_fmac_f32_e32 v162, v141, v24
	v_fma_f32 v5, v132, v14, -v5
	v_fmac_f32_e32 v157, v131, v12
	v_dual_fmac_f32 v167, v151, v118 :: v_dual_fmac_f32 v164, v145, v112
	s_delay_alu instid0(VALU_DEP_3) | instskip(NEXT) | instid1(VALU_DEP_1)
	v_add_f32_e32 v2, v2, v5
	v_dual_mul_f32 v5, v139, v21 :: v_dual_add_f32 v2, v2, v4
	s_delay_alu instid0(VALU_DEP_1) | instskip(SKIP_2) | instid1(VALU_DEP_2)
	v_fma_f32 v5, v138, v20, -v5
	v_mul_f32_e32 v3, v137, v19
	v_mul_f32_e32 v4, v141, v25
	v_fma_f32 v3, v136, v18, -v3
	v_add_f32_e32 v1, v1, v156
	s_delay_alu instid0(VALU_DEP_3) | instskip(NEXT) | instid1(VALU_DEP_3)
	v_fma_f32 v4, v140, v24, -v4
	v_add_f32_e32 v2, v2, v3
	s_delay_alu instid0(VALU_DEP_1) | instskip(NEXT) | instid1(VALU_DEP_4)
	v_dual_mul_f32 v3, v143, v27 :: v_dual_add_f32 v2, v2, v5
	v_add_f32_e32 v1, v1, v157
	s_delay_alu instid0(VALU_DEP_2) | instskip(NEXT) | instid1(VALU_DEP_2)
	v_fma_f32 v3, v142, v26, -v3
	v_dual_add_f32 v2, v2, v4 :: v_dual_add_f32 v1, v1, v158
	v_mul_f32_e32 v4, v147, v115
	s_delay_alu instid0(VALU_DEP_2) | instskip(SKIP_1) | instid1(VALU_DEP_3)
	v_dual_fmac_f32 v161, v139, v20 :: v_dual_add_f32 v2, v2, v3
	v_mul_f32_e32 v3, v149, v117
	v_fma_f32 v4, v146, v114, -v4
	v_mul_f32_e32 v5, v145, v113
	s_delay_alu instid0(VALU_DEP_3) | instskip(NEXT) | instid1(VALU_DEP_2)
	v_fma_f32 v3, v148, v116, -v3
	v_fma_f32 v5, v144, v112, -v5
	s_delay_alu instid0(VALU_DEP_1) | instskip(NEXT) | instid1(VALU_DEP_1)
	v_dual_add_f32 v1, v1, v159 :: v_dual_add_f32 v2, v2, v5
	v_dual_mul_f32 v5, v151, v119 :: v_dual_add_f32 v2, v2, v4
	s_delay_alu instid0(VALU_DEP_2) | instskip(NEXT) | instid1(VALU_DEP_2)
	v_add_f32_e32 v1, v1, v160
	v_fma_f32 v4, v150, v118, -v5
	s_delay_alu instid0(VALU_DEP_2) | instskip(NEXT) | instid1(VALU_DEP_1)
	v_dual_add_f32 v2, v2, v3 :: v_dual_add_f32 v1, v1, v161
	v_dual_add_f32 v2, v2, v4 :: v_dual_add_f32 v1, v1, v162
	s_delay_alu instid0(VALU_DEP_1) | instskip(NEXT) | instid1(VALU_DEP_1)
	v_add_f32_e32 v1, v1, v163
	v_add_f32_e32 v1, v1, v164
	s_delay_alu instid0(VALU_DEP_1) | instskip(NEXT) | instid1(VALU_DEP_1)
	v_add_f32_e32 v1, v1, v165
	v_add_f32_e32 v1, v1, v166
	s_delay_alu instid0(VALU_DEP_1) | instskip(SKIP_1) | instid1(VALU_DEP_1)
	v_add_f32_e32 v3, v1, v167
	s_wait_loadcnt 0x0
	v_dual_sub_f32 v1, v152, v2 :: v_dual_sub_f32 v2, v153, v3
	scratch_store_b64 off, v[1:2], off offset:200
	v_cmpx_lt_u32_e32 24, v0
	s_cbranch_execz .LBB105_217
; %bb.216:
	scratch_load_b64 v[1:2], off, off offset:192
	v_mov_b32_e32 v3, 0
	s_delay_alu instid0(VALU_DEP_1)
	v_mov_b32_e32 v4, v3
	scratch_store_b64 off, v[3:4], off offset:192
	s_wait_loadcnt 0x0
	ds_store_b64 v23, v[1:2]
.LBB105_217:
	s_wait_alu 0xfffe
	s_or_b32 exec_lo, exec_lo, s0
	s_wait_storecnt_dscnt 0x0
	s_barrier_signal -1
	s_barrier_wait -1
	global_inv scope:SCOPE_SE
	s_clause 0x9
	scratch_load_b128 v[2:5], off, off offset:200
	scratch_load_b128 v[6:9], off, off offset:216
	;; [unrolled: 1-line block ×8, first 2 shown]
	scratch_load_b64 v[152:153], off, off offset:328
	scratch_load_b64 v[154:155], off, off offset:192
	v_mov_b32_e32 v1, 0
	ds_load_2addr_b64 v[120:123], v1 offset0:67 offset1:68
	ds_load_2addr_b64 v[124:127], v1 offset0:69 offset1:70
	;; [unrolled: 1-line block ×8, first 2 shown]
	ds_load_b64 v[156:157], v1 offset:664
	s_mov_b32 s0, exec_lo
	s_wait_loadcnt_dscnt 0x908
	v_mul_f32_e32 v22, v120, v3
	v_dual_mul_f32 v3, v121, v3 :: v_dual_mul_f32 v158, v122, v5
	s_wait_loadcnt_dscnt 0x504
	v_dual_mul_f32 v159, v124, v7 :: v_dual_mul_f32 v166, v138, v21
	v_mul_f32_e32 v5, v123, v5
	s_delay_alu instid0(VALU_DEP_3)
	v_fma_f32 v3, v120, v2, -v3
	v_dual_mul_f32 v160, v126, v9 :: v_dual_mul_f32 v161, v128, v11
	s_wait_loadcnt_dscnt 0x100
	v_dual_mul_f32 v173, v156, v153 :: v_dual_fmac_f32 v22, v121, v2
	v_mul_f32_e32 v2, v125, v7
	v_dual_fmac_f32 v158, v123, v4 :: v_dual_add_f32 v3, 0, v3
	v_fma_f32 v4, v122, v4, -v5
	s_delay_alu instid0(VALU_DEP_4) | instskip(SKIP_2) | instid1(VALU_DEP_4)
	v_dual_add_f32 v5, 0, v22 :: v_dual_fmac_f32 v160, v127, v8
	v_mul_f32_e32 v7, v127, v9
	v_fma_f32 v2, v124, v6, -v2
	v_add_f32_e32 v3, v3, v4
	v_fmac_f32_e32 v159, v125, v6
	v_add_f32_e32 v4, v5, v158
	v_mul_f32_e32 v5, v129, v11
	v_fma_f32 v6, v126, v8, -v7
	v_add_f32_e32 v2, v3, v2
	v_dual_mul_f32 v162, v130, v13 :: v_dual_mul_f32 v163, v132, v15
	v_dual_add_f32 v3, v4, v159 :: v_dual_mul_f32 v4, v131, v13
	v_fma_f32 v5, v128, v10, -v5
	s_delay_alu instid0(VALU_DEP_4)
	v_add_f32_e32 v2, v2, v6
	v_fmac_f32_e32 v161, v129, v10
	v_mul_f32_e32 v6, v133, v15
	v_fmac_f32_e32 v162, v131, v12
	v_add_f32_e32 v3, v3, v160
	v_fma_f32 v4, v130, v12, -v4
	v_add_f32_e32 v2, v2, v5
	v_dual_mul_f32 v164, v134, v17 :: v_dual_mul_f32 v165, v136, v19
	s_delay_alu instid0(VALU_DEP_4)
	v_add_f32_e32 v3, v3, v161
	v_mul_f32_e32 v5, v135, v17
	v_fma_f32 v6, v132, v14, -v6
	v_dual_add_f32 v2, v2, v4 :: v_dual_fmac_f32 v163, v133, v14
	v_fmac_f32_e32 v164, v135, v16
	v_mul_f32_e32 v4, v137, v19
	v_fma_f32 v5, v134, v16, -v5
	s_delay_alu instid0(VALU_DEP_4) | instskip(SKIP_3) | instid1(VALU_DEP_3)
	v_add_f32_e32 v2, v2, v6
	v_add_f32_e32 v3, v3, v162
	v_dual_mul_f32 v6, v139, v21 :: v_dual_fmac_f32 v165, v137, v18
	v_fma_f32 v4, v136, v18, -v4
	v_dual_add_f32 v2, v2, v5 :: v_dual_add_f32 v3, v3, v163
	s_delay_alu instid0(VALU_DEP_3) | instskip(SKIP_1) | instid1(VALU_DEP_3)
	v_fma_f32 v6, v138, v20, -v6
	v_dual_mul_f32 v167, v140, v25 :: v_dual_mul_f32 v168, v142, v27
	v_add_f32_e32 v2, v2, v4
	s_delay_alu instid0(VALU_DEP_4) | instskip(SKIP_1) | instid1(VALU_DEP_4)
	v_add_f32_e32 v3, v3, v164
	v_dual_mul_f32 v5, v141, v25 :: v_dual_fmac_f32 v166, v139, v20
	v_dual_mul_f32 v4, v143, v27 :: v_dual_fmac_f32 v167, v141, v24
	s_delay_alu instid0(VALU_DEP_3) | instskip(NEXT) | instid1(VALU_DEP_3)
	v_dual_add_f32 v2, v2, v6 :: v_dual_add_f32 v3, v3, v165
	v_fma_f32 v5, v140, v24, -v5
	v_dual_mul_f32 v169, v144, v113 :: v_dual_mul_f32 v170, v146, v115
	s_delay_alu instid0(VALU_DEP_3) | instskip(NEXT) | instid1(VALU_DEP_2)
	v_dual_mul_f32 v6, v145, v113 :: v_dual_add_f32 v3, v3, v166
	v_dual_fmac_f32 v168, v143, v26 :: v_dual_fmac_f32 v169, v145, v112
	v_fma_f32 v4, v142, v26, -v4
	s_delay_alu instid0(VALU_DEP_3) | instskip(SKIP_3) | instid1(VALU_DEP_4)
	v_dual_add_f32 v2, v2, v5 :: v_dual_add_f32 v3, v3, v167
	v_mul_f32_e32 v5, v147, v115
	v_fma_f32 v6, v144, v112, -v6
	v_dual_mul_f32 v171, v148, v117 :: v_dual_mul_f32 v172, v150, v119
	v_add_f32_e32 v2, v2, v4
	v_dual_add_f32 v3, v3, v168 :: v_dual_mul_f32 v4, v149, v117
	s_delay_alu instid0(VALU_DEP_3) | instskip(SKIP_1) | instid1(VALU_DEP_3)
	v_dual_fmac_f32 v170, v147, v114 :: v_dual_fmac_f32 v171, v149, v116
	v_fma_f32 v5, v146, v114, -v5
	v_dual_add_f32 v2, v2, v6 :: v_dual_add_f32 v3, v3, v169
	v_mul_f32_e32 v6, v151, v119
	v_fma_f32 v4, v148, v116, -v4
	v_dual_fmac_f32 v172, v151, v118 :: v_dual_fmac_f32 v173, v157, v152
	s_delay_alu instid0(VALU_DEP_4) | instskip(SKIP_2) | instid1(VALU_DEP_3)
	v_dual_add_f32 v2, v2, v5 :: v_dual_add_f32 v3, v3, v170
	v_mul_f32_e32 v5, v157, v153
	v_fma_f32 v6, v150, v118, -v6
	v_dual_add_f32 v2, v2, v4 :: v_dual_add_f32 v3, v3, v171
	s_delay_alu instid0(VALU_DEP_3) | instskip(NEXT) | instid1(VALU_DEP_2)
	v_fma_f32 v4, v156, v152, -v5
	v_dual_add_f32 v2, v2, v6 :: v_dual_add_f32 v3, v3, v172
	s_delay_alu instid0(VALU_DEP_1) | instskip(SKIP_1) | instid1(VALU_DEP_1)
	v_dual_add_f32 v2, v2, v4 :: v_dual_add_f32 v3, v3, v173
	s_wait_loadcnt 0x0
	v_dual_sub_f32 v2, v154, v2 :: v_dual_sub_f32 v3, v155, v3
	scratch_store_b64 off, v[2:3], off offset:192
	v_cmpx_lt_u32_e32 23, v0
	s_cbranch_execz .LBB105_219
; %bb.218:
	scratch_load_b64 v[3:4], off, off offset:184
	v_mov_b32_e32 v2, v1
	scratch_store_b64 off, v[1:2], off offset:184
	s_wait_loadcnt 0x0
	ds_store_b64 v23, v[3:4]
.LBB105_219:
	s_wait_alu 0xfffe
	s_or_b32 exec_lo, exec_lo, s0
	s_wait_storecnt_dscnt 0x0
	s_barrier_signal -1
	s_barrier_wait -1
	global_inv scope:SCOPE_SE
	s_clause 0x9
	scratch_load_b128 v[2:5], off, off offset:192
	scratch_load_b128 v[6:9], off, off offset:208
	;; [unrolled: 1-line block ×9, first 2 shown]
	scratch_load_b64 v[160:161], off, off offset:184
	ds_load_b128 v[124:127], v1 offset:528
	ds_load_b128 v[128:131], v1 offset:544
	;; [unrolled: 1-line block ×9, first 2 shown]
	s_mov_b32 s0, exec_lo
	s_wait_loadcnt_dscnt 0x908
	v_dual_mul_f32 v1, v124, v3 :: v_dual_mul_f32 v22, v126, v5
	v_mul_f32_e32 v5, v127, v5
	v_mul_f32_e32 v3, v125, v3
	s_wait_loadcnt_dscnt 0x807
	v_dual_mul_f32 v162, v128, v7 :: v_dual_mul_f32 v163, v130, v9
	s_wait_loadcnt_dscnt 0x201
	v_dual_fmac_f32 v1, v125, v2 :: v_dual_mul_f32 v174, v152, v117
	v_fma_f32 v3, v124, v2, -v3
	s_wait_loadcnt_dscnt 0x100
	v_dual_mul_f32 v177, v158, v123 :: v_dual_fmac_f32 v22, v127, v4
	v_mul_f32_e32 v2, v129, v7
	v_fma_f32 v4, v126, v4, -v5
	v_dual_add_f32 v3, 0, v3 :: v_dual_fmac_f32 v162, v129, v6
	v_dual_mul_f32 v164, v132, v11 :: v_dual_mul_f32 v165, v134, v13
	v_dual_mul_f32 v166, v136, v15 :: v_dual_mul_f32 v167, v138, v17
	s_delay_alu instid0(VALU_DEP_2) | instskip(SKIP_1) | instid1(VALU_DEP_3)
	v_dual_mul_f32 v5, v131, v9 :: v_dual_fmac_f32 v164, v133, v10
	v_fma_f32 v2, v128, v6, -v2
	v_dual_add_f32 v3, v3, v4 :: v_dual_fmac_f32 v166, v137, v14
	s_delay_alu instid0(VALU_DEP_3) | instskip(SKIP_1) | instid1(VALU_DEP_3)
	v_fma_f32 v5, v130, v8, -v5
	v_dual_mul_f32 v168, v140, v19 :: v_dual_mul_f32 v169, v142, v21
	v_add_f32_e32 v2, v3, v2
	v_dual_mul_f32 v4, v133, v11 :: v_dual_mul_f32 v3, v135, v13
	s_delay_alu instid0(VALU_DEP_3) | instskip(SKIP_1) | instid1(VALU_DEP_4)
	v_fmac_f32_e32 v168, v141, v18
	v_dual_mul_f32 v170, v144, v25 :: v_dual_mul_f32 v171, v146, v27
	v_add_f32_e32 v2, v2, v5
	v_add_f32_e32 v1, 0, v1
	v_fma_f32 v4, v132, v10, -v4
	v_fma_f32 v3, v134, v12, -v3
	v_dual_fmac_f32 v167, v139, v16 :: v_dual_mul_f32 v172, v148, v113
	v_mul_f32_e32 v173, v150, v115
	s_delay_alu instid0(VALU_DEP_4) | instskip(SKIP_3) | instid1(VALU_DEP_4)
	v_dual_add_f32 v1, v1, v22 :: v_dual_add_f32 v2, v2, v4
	v_mul_f32_e32 v4, v139, v17
	v_fmac_f32_e32 v163, v131, v8
	v_dual_mul_f32 v175, v154, v119 :: v_dual_mul_f32 v176, v156, v121
	v_add_f32_e32 v1, v1, v162
	s_delay_alu instid0(VALU_DEP_4) | instskip(SKIP_2) | instid1(VALU_DEP_4)
	v_fma_f32 v4, v138, v16, -v4
	v_mul_f32_e32 v5, v137, v15
	v_dual_add_f32 v2, v2, v3 :: v_dual_fmac_f32 v173, v151, v114
	v_add_f32_e32 v1, v1, v163
	v_dual_fmac_f32 v171, v147, v26 :: v_dual_fmac_f32 v174, v153, v116
	s_delay_alu instid0(VALU_DEP_4) | instskip(SKIP_3) | instid1(VALU_DEP_4)
	v_fma_f32 v5, v136, v14, -v5
	v_fmac_f32_e32 v165, v135, v12
	v_dual_fmac_f32 v170, v145, v24 :: v_dual_fmac_f32 v177, v159, v122
	v_fmac_f32_e32 v172, v149, v112
	v_add_f32_e32 v2, v2, v5
	v_dual_mul_f32 v5, v143, v21 :: v_dual_fmac_f32 v176, v157, v120
	s_delay_alu instid0(VALU_DEP_2) | instskip(NEXT) | instid1(VALU_DEP_2)
	v_add_f32_e32 v2, v2, v4
	v_fma_f32 v5, v142, v20, -v5
	v_mul_f32_e32 v3, v141, v19
	v_mul_f32_e32 v4, v145, v25
	s_delay_alu instid0(VALU_DEP_2) | instskip(SKIP_1) | instid1(VALU_DEP_3)
	v_fma_f32 v3, v140, v18, -v3
	v_add_f32_e32 v1, v1, v164
	v_fma_f32 v4, v144, v24, -v4
	s_delay_alu instid0(VALU_DEP_3) | instskip(NEXT) | instid1(VALU_DEP_1)
	v_add_f32_e32 v2, v2, v3
	v_dual_mul_f32 v3, v147, v27 :: v_dual_add_f32 v2, v2, v5
	s_delay_alu instid0(VALU_DEP_4) | instskip(NEXT) | instid1(VALU_DEP_2)
	v_add_f32_e32 v1, v1, v165
	v_fma_f32 v3, v146, v26, -v3
	s_delay_alu instid0(VALU_DEP_2) | instskip(SKIP_1) | instid1(VALU_DEP_2)
	v_dual_add_f32 v2, v2, v4 :: v_dual_add_f32 v1, v1, v166
	v_mul_f32_e32 v4, v151, v115
	v_dual_fmac_f32 v169, v143, v20 :: v_dual_add_f32 v2, v2, v3
	v_mul_f32_e32 v3, v153, v117
	s_delay_alu instid0(VALU_DEP_3) | instskip(SKIP_1) | instid1(VALU_DEP_3)
	v_fma_f32 v4, v150, v114, -v4
	v_mul_f32_e32 v5, v149, v113
	v_fma_f32 v3, v152, v116, -v3
	s_delay_alu instid0(VALU_DEP_2) | instskip(NEXT) | instid1(VALU_DEP_1)
	v_fma_f32 v5, v148, v112, -v5
	v_dual_add_f32 v1, v1, v167 :: v_dual_add_f32 v2, v2, v5
	s_delay_alu instid0(VALU_DEP_1) | instskip(NEXT) | instid1(VALU_DEP_2)
	v_dual_mul_f32 v5, v155, v119 :: v_dual_add_f32 v2, v2, v4
	v_add_f32_e32 v1, v1, v168
	v_mul_f32_e32 v4, v157, v121
	s_delay_alu instid0(VALU_DEP_3) | instskip(NEXT) | instid1(VALU_DEP_4)
	v_fma_f32 v5, v154, v118, -v5
	v_dual_add_f32 v2, v2, v3 :: v_dual_fmac_f32 v175, v155, v118
	v_mul_f32_e32 v3, v159, v123
	s_delay_alu instid0(VALU_DEP_4) | instskip(NEXT) | instid1(VALU_DEP_3)
	v_fma_f32 v4, v156, v120, -v4
	v_add_f32_e32 v2, v2, v5
	v_add_f32_e32 v1, v1, v169
	s_delay_alu instid0(VALU_DEP_4) | instskip(NEXT) | instid1(VALU_DEP_2)
	v_fma_f32 v3, v158, v122, -v3
	v_dual_add_f32 v2, v2, v4 :: v_dual_add_f32 v1, v1, v170
	s_delay_alu instid0(VALU_DEP_1) | instskip(NEXT) | instid1(VALU_DEP_2)
	v_add_f32_e32 v2, v2, v3
	v_add_f32_e32 v1, v1, v171
	s_delay_alu instid0(VALU_DEP_1) | instskip(NEXT) | instid1(VALU_DEP_1)
	v_add_f32_e32 v1, v1, v172
	v_add_f32_e32 v1, v1, v173
	s_delay_alu instid0(VALU_DEP_1) | instskip(NEXT) | instid1(VALU_DEP_1)
	;; [unrolled: 3-line block ×3, first 2 shown]
	v_add_f32_e32 v1, v1, v176
	v_add_f32_e32 v3, v1, v177
	s_wait_loadcnt 0x0
	s_delay_alu instid0(VALU_DEP_1)
	v_dual_sub_f32 v1, v160, v2 :: v_dual_sub_f32 v2, v161, v3
	scratch_store_b64 off, v[1:2], off offset:184
	v_cmpx_lt_u32_e32 22, v0
	s_cbranch_execz .LBB105_221
; %bb.220:
	scratch_load_b64 v[1:2], off, off offset:176
	v_mov_b32_e32 v3, 0
	s_delay_alu instid0(VALU_DEP_1)
	v_mov_b32_e32 v4, v3
	scratch_store_b64 off, v[3:4], off offset:176
	s_wait_loadcnt 0x0
	ds_store_b64 v23, v[1:2]
.LBB105_221:
	s_wait_alu 0xfffe
	s_or_b32 exec_lo, exec_lo, s0
	s_wait_storecnt_dscnt 0x0
	s_barrier_signal -1
	s_barrier_wait -1
	global_inv scope:SCOPE_SE
	s_clause 0xa
	scratch_load_b128 v[2:5], off, off offset:184
	scratch_load_b128 v[6:9], off, off offset:200
	;; [unrolled: 1-line block ×9, first 2 shown]
	scratch_load_b64 v[160:161], off, off offset:328
	scratch_load_b64 v[162:163], off, off offset:176
	v_mov_b32_e32 v1, 0
	ds_load_2addr_b64 v[124:127], v1 offset0:65 offset1:66
	ds_load_2addr_b64 v[128:131], v1 offset0:67 offset1:68
	;; [unrolled: 1-line block ×9, first 2 shown]
	ds_load_b64 v[164:165], v1 offset:664
	s_mov_b32 s0, exec_lo
	s_wait_loadcnt_dscnt 0xa09
	v_mul_f32_e32 v22, v124, v3
	v_dual_mul_f32 v3, v125, v3 :: v_dual_mul_f32 v166, v126, v5
	s_wait_loadcnt_dscnt 0x605
	v_dual_mul_f32 v167, v128, v7 :: v_dual_mul_f32 v174, v142, v21
	v_mul_f32_e32 v5, v127, v5
	s_delay_alu instid0(VALU_DEP_3)
	v_fma_f32 v3, v124, v2, -v3
	v_dual_mul_f32 v168, v130, v9 :: v_dual_mul_f32 v169, v132, v11
	s_wait_loadcnt_dscnt 0x100
	v_dual_mul_f32 v183, v164, v161 :: v_dual_fmac_f32 v22, v125, v2
	v_mul_f32_e32 v2, v129, v7
	v_dual_fmac_f32 v166, v127, v4 :: v_dual_add_f32 v3, 0, v3
	v_fma_f32 v4, v126, v4, -v5
	s_delay_alu instid0(VALU_DEP_4) | instskip(SKIP_2) | instid1(VALU_DEP_4)
	v_dual_add_f32 v5, 0, v22 :: v_dual_fmac_f32 v168, v131, v8
	v_mul_f32_e32 v7, v131, v9
	v_fma_f32 v2, v128, v6, -v2
	v_add_f32_e32 v3, v3, v4
	v_fmac_f32_e32 v167, v129, v6
	v_add_f32_e32 v4, v5, v166
	v_mul_f32_e32 v5, v133, v11
	v_fma_f32 v6, v130, v8, -v7
	v_add_f32_e32 v2, v3, v2
	v_dual_mul_f32 v170, v134, v13 :: v_dual_mul_f32 v171, v136, v15
	v_dual_add_f32 v3, v4, v167 :: v_dual_mul_f32 v4, v135, v13
	v_fma_f32 v5, v132, v10, -v5
	s_delay_alu instid0(VALU_DEP_4)
	v_add_f32_e32 v2, v2, v6
	v_fmac_f32_e32 v169, v133, v10
	v_mul_f32_e32 v6, v137, v15
	v_fmac_f32_e32 v170, v135, v12
	v_add_f32_e32 v3, v3, v168
	v_fma_f32 v4, v134, v12, -v4
	v_add_f32_e32 v2, v2, v5
	v_dual_mul_f32 v172, v138, v17 :: v_dual_mul_f32 v173, v140, v19
	s_delay_alu instid0(VALU_DEP_4)
	v_add_f32_e32 v3, v3, v169
	v_mul_f32_e32 v5, v139, v17
	v_fma_f32 v6, v136, v14, -v6
	v_dual_add_f32 v2, v2, v4 :: v_dual_fmac_f32 v171, v137, v14
	v_fmac_f32_e32 v172, v139, v16
	v_mul_f32_e32 v4, v141, v19
	v_fma_f32 v5, v138, v16, -v5
	s_delay_alu instid0(VALU_DEP_4) | instskip(SKIP_3) | instid1(VALU_DEP_3)
	v_add_f32_e32 v2, v2, v6
	v_add_f32_e32 v3, v3, v170
	v_dual_mul_f32 v6, v143, v21 :: v_dual_fmac_f32 v173, v141, v18
	v_fma_f32 v4, v140, v18, -v4
	v_dual_add_f32 v2, v2, v5 :: v_dual_add_f32 v3, v3, v171
	s_delay_alu instid0(VALU_DEP_3) | instskip(SKIP_1) | instid1(VALU_DEP_3)
	v_fma_f32 v6, v142, v20, -v6
	v_dual_mul_f32 v175, v144, v25 :: v_dual_mul_f32 v176, v146, v27
	v_add_f32_e32 v2, v2, v4
	s_delay_alu instid0(VALU_DEP_4) | instskip(SKIP_1) | instid1(VALU_DEP_4)
	v_add_f32_e32 v3, v3, v172
	v_dual_mul_f32 v5, v145, v25 :: v_dual_fmac_f32 v174, v143, v20
	v_dual_mul_f32 v4, v147, v27 :: v_dual_fmac_f32 v175, v145, v24
	s_delay_alu instid0(VALU_DEP_3) | instskip(NEXT) | instid1(VALU_DEP_3)
	v_dual_add_f32 v2, v2, v6 :: v_dual_add_f32 v3, v3, v173
	v_fma_f32 v5, v144, v24, -v5
	v_dual_mul_f32 v177, v148, v113 :: v_dual_mul_f32 v178, v150, v115
	s_delay_alu instid0(VALU_DEP_3) | instskip(NEXT) | instid1(VALU_DEP_2)
	v_dual_mul_f32 v6, v149, v113 :: v_dual_add_f32 v3, v3, v174
	v_dual_fmac_f32 v176, v147, v26 :: v_dual_fmac_f32 v177, v149, v112
	v_fma_f32 v4, v146, v26, -v4
	s_delay_alu instid0(VALU_DEP_3) | instskip(SKIP_3) | instid1(VALU_DEP_4)
	v_dual_add_f32 v2, v2, v5 :: v_dual_add_f32 v3, v3, v175
	v_mul_f32_e32 v5, v151, v115
	v_fma_f32 v6, v148, v112, -v6
	v_dual_mul_f32 v179, v152, v117 :: v_dual_mul_f32 v180, v154, v119
	v_add_f32_e32 v2, v2, v4
	v_dual_add_f32 v3, v3, v176 :: v_dual_mul_f32 v4, v153, v117
	s_delay_alu instid0(VALU_DEP_3) | instskip(SKIP_1) | instid1(VALU_DEP_3)
	v_dual_fmac_f32 v178, v151, v114 :: v_dual_fmac_f32 v179, v153, v116
	v_fma_f32 v5, v150, v114, -v5
	v_dual_add_f32 v2, v2, v6 :: v_dual_add_f32 v3, v3, v177
	v_mul_f32_e32 v6, v155, v119
	v_fma_f32 v4, v152, v116, -v4
	v_dual_mul_f32 v181, v156, v121 :: v_dual_mul_f32 v182, v158, v123
	s_delay_alu instid0(VALU_DEP_4) | instskip(SKIP_1) | instid1(VALU_DEP_3)
	v_dual_add_f32 v2, v2, v5 :: v_dual_add_f32 v3, v3, v178
	v_dual_mul_f32 v5, v157, v121 :: v_dual_fmac_f32 v180, v155, v118
	v_fmac_f32_e32 v181, v157, v120
	v_fma_f32 v6, v154, v118, -v6
	s_delay_alu instid0(VALU_DEP_4) | instskip(SKIP_2) | instid1(VALU_DEP_3)
	v_dual_add_f32 v2, v2, v4 :: v_dual_add_f32 v3, v3, v179
	v_dual_mul_f32 v4, v159, v123 :: v_dual_fmac_f32 v183, v165, v160
	v_fma_f32 v5, v156, v120, -v5
	v_dual_add_f32 v2, v2, v6 :: v_dual_add_f32 v3, v3, v180
	v_fmac_f32_e32 v182, v159, v122
	s_delay_alu instid0(VALU_DEP_4) | instskip(NEXT) | instid1(VALU_DEP_3)
	v_fma_f32 v4, v158, v122, -v4
	v_add_f32_e32 v3, v3, v181
	s_delay_alu instid0(VALU_DEP_1) | instskip(SKIP_1) | instid1(VALU_DEP_2)
	v_dual_mul_f32 v6, v165, v161 :: v_dual_add_f32 v3, v3, v182
	v_add_f32_e32 v2, v2, v5
	v_fma_f32 v5, v164, v160, -v6
	s_delay_alu instid0(VALU_DEP_2) | instskip(SKIP_1) | instid1(VALU_DEP_1)
	v_dual_add_f32 v3, v3, v183 :: v_dual_add_f32 v2, v2, v4
	s_wait_loadcnt 0x0
	v_dual_sub_f32 v3, v163, v3 :: v_dual_add_f32 v2, v2, v5
	s_delay_alu instid0(VALU_DEP_1)
	v_sub_f32_e32 v2, v162, v2
	scratch_store_b64 off, v[2:3], off offset:176
	v_cmpx_lt_u32_e32 21, v0
	s_cbranch_execz .LBB105_223
; %bb.222:
	scratch_load_b64 v[3:4], off, off offset:168
	v_mov_b32_e32 v2, v1
	scratch_store_b64 off, v[1:2], off offset:168
	s_wait_loadcnt 0x0
	ds_store_b64 v23, v[3:4]
.LBB105_223:
	s_wait_alu 0xfffe
	s_or_b32 exec_lo, exec_lo, s0
	s_wait_storecnt_dscnt 0x0
	s_barrier_signal -1
	s_barrier_wait -1
	global_inv scope:SCOPE_SE
	s_clause 0xa
	scratch_load_b128 v[2:5], off, off offset:176
	scratch_load_b128 v[6:9], off, off offset:192
	;; [unrolled: 1-line block ×10, first 2 shown]
	scratch_load_b64 v[168:169], off, off offset:168
	ds_load_b128 v[128:131], v1 offset:512
	ds_load_b128 v[132:135], v1 offset:528
	;; [unrolled: 1-line block ×10, first 2 shown]
	s_mov_b32 s0, exec_lo
	s_wait_loadcnt_dscnt 0xa09
	v_dual_mul_f32 v1, v128, v3 :: v_dual_mul_f32 v22, v130, v5
	s_wait_loadcnt_dscnt 0x908
	v_dual_mul_f32 v5, v131, v5 :: v_dual_mul_f32 v170, v132, v7
	v_mul_f32_e32 v171, v134, v9
	v_mul_f32_e32 v3, v129, v3
	v_dual_fmac_f32 v1, v129, v2 :: v_dual_fmac_f32 v22, v131, v4
	s_wait_loadcnt_dscnt 0x100
	v_dual_mul_f32 v184, v160, v121 :: v_dual_mul_f32 v187, v166, v127
	s_delay_alu instid0(VALU_DEP_3) | instskip(SKIP_3) | instid1(VALU_DEP_4)
	v_fma_f32 v3, v128, v2, -v3
	v_mul_f32_e32 v2, v133, v7
	v_fma_f32 v4, v130, v4, -v5
	v_dual_mul_f32 v172, v136, v11 :: v_dual_mul_f32 v173, v138, v13
	v_dual_add_f32 v3, 0, v3 :: v_dual_fmac_f32 v170, v133, v6
	v_dual_mul_f32 v174, v140, v15 :: v_dual_mul_f32 v175, v142, v17
	s_delay_alu instid0(VALU_DEP_3) | instskip(SKIP_1) | instid1(VALU_DEP_3)
	v_dual_mul_f32 v5, v135, v9 :: v_dual_fmac_f32 v172, v137, v10
	v_fma_f32 v2, v132, v6, -v2
	v_dual_add_f32 v3, v3, v4 :: v_dual_fmac_f32 v174, v141, v14
	s_delay_alu instid0(VALU_DEP_3) | instskip(SKIP_1) | instid1(VALU_DEP_3)
	v_fma_f32 v5, v134, v8, -v5
	v_dual_mul_f32 v176, v144, v19 :: v_dual_mul_f32 v177, v146, v21
	v_add_f32_e32 v2, v3, v2
	v_dual_mul_f32 v3, v139, v13 :: v_dual_mul_f32 v4, v137, v11
	s_delay_alu instid0(VALU_DEP_3) | instskip(SKIP_1) | instid1(VALU_DEP_4)
	v_fmac_f32_e32 v176, v145, v18
	v_dual_mul_f32 v178, v148, v25 :: v_dual_mul_f32 v179, v150, v27
	v_add_f32_e32 v2, v2, v5
	v_add_f32_e32 v1, 0, v1
	v_fma_f32 v4, v136, v10, -v4
	v_fma_f32 v3, v138, v12, -v3
	v_dual_fmac_f32 v175, v143, v16 :: v_dual_mul_f32 v180, v152, v113
	v_mul_f32_e32 v181, v154, v115
	s_delay_alu instid0(VALU_DEP_4) | instskip(SKIP_3) | instid1(VALU_DEP_4)
	v_dual_add_f32 v1, v1, v22 :: v_dual_add_f32 v2, v2, v4
	v_mul_f32_e32 v4, v143, v17
	v_dual_fmac_f32 v171, v135, v8 :: v_dual_mul_f32 v182, v156, v117
	v_mul_f32_e32 v183, v158, v119
	v_add_f32_e32 v1, v1, v170
	s_delay_alu instid0(VALU_DEP_4) | instskip(SKIP_2) | instid1(VALU_DEP_4)
	v_fma_f32 v4, v142, v16, -v4
	v_mul_f32_e32 v5, v141, v15
	v_dual_add_f32 v2, v2, v3 :: v_dual_fmac_f32 v181, v155, v114
	v_add_f32_e32 v1, v1, v171
	v_dual_mul_f32 v185, v162, v123 :: v_dual_mul_f32 v186, v164, v125
	s_delay_alu instid0(VALU_DEP_4) | instskip(SKIP_3) | instid1(VALU_DEP_4)
	v_fma_f32 v5, v140, v14, -v5
	v_fmac_f32_e32 v173, v139, v12
	v_dual_fmac_f32 v178, v149, v24 :: v_dual_fmac_f32 v179, v151, v26
	v_fmac_f32_e32 v182, v157, v116
	v_add_f32_e32 v2, v2, v5
	v_mul_f32_e32 v5, v147, v21
	v_fmac_f32_e32 v185, v163, v122
	v_dual_fmac_f32 v187, v167, v126 :: v_dual_fmac_f32 v180, v153, v112
	s_delay_alu instid0(VALU_DEP_4) | instskip(NEXT) | instid1(VALU_DEP_4)
	v_add_f32_e32 v2, v2, v4
	v_fma_f32 v5, v146, v20, -v5
	v_mul_f32_e32 v3, v145, v19
	v_mul_f32_e32 v4, v149, v25
	v_fmac_f32_e32 v184, v161, v120
	v_fmac_f32_e32 v186, v165, v124
	s_delay_alu instid0(VALU_DEP_4) | instskip(SKIP_2) | instid1(VALU_DEP_3)
	v_fma_f32 v3, v144, v18, -v3
	v_add_f32_e32 v1, v1, v172
	v_fma_f32 v4, v148, v24, -v4
	v_add_f32_e32 v2, v2, v3
	s_delay_alu instid0(VALU_DEP_1) | instskip(NEXT) | instid1(VALU_DEP_4)
	v_dual_mul_f32 v3, v151, v27 :: v_dual_add_f32 v2, v2, v5
	v_add_f32_e32 v1, v1, v173
	s_delay_alu instid0(VALU_DEP_2) | instskip(NEXT) | instid1(VALU_DEP_2)
	v_fma_f32 v3, v150, v26, -v3
	v_dual_add_f32 v2, v2, v4 :: v_dual_add_f32 v1, v1, v174
	v_mul_f32_e32 v4, v155, v115
	s_delay_alu instid0(VALU_DEP_2) | instskip(SKIP_1) | instid1(VALU_DEP_3)
	v_dual_fmac_f32 v177, v147, v20 :: v_dual_add_f32 v2, v2, v3
	v_mul_f32_e32 v3, v157, v117
	v_fma_f32 v4, v154, v114, -v4
	v_mul_f32_e32 v5, v153, v113
	s_delay_alu instid0(VALU_DEP_3) | instskip(NEXT) | instid1(VALU_DEP_2)
	v_fma_f32 v3, v156, v116, -v3
	v_fma_f32 v5, v152, v112, -v5
	s_delay_alu instid0(VALU_DEP_1) | instskip(NEXT) | instid1(VALU_DEP_1)
	v_dual_add_f32 v1, v1, v175 :: v_dual_add_f32 v2, v2, v5
	v_dual_mul_f32 v5, v159, v119 :: v_dual_add_f32 v2, v2, v4
	s_delay_alu instid0(VALU_DEP_2) | instskip(SKIP_1) | instid1(VALU_DEP_3)
	v_add_f32_e32 v1, v1, v176
	v_mul_f32_e32 v4, v161, v121
	v_fma_f32 v5, v158, v118, -v5
	s_delay_alu instid0(VALU_DEP_4) | instskip(SKIP_1) | instid1(VALU_DEP_4)
	v_dual_add_f32 v2, v2, v3 :: v_dual_fmac_f32 v183, v159, v118
	v_mul_f32_e32 v3, v163, v123
	v_fma_f32 v4, v160, v120, -v4
	s_delay_alu instid0(VALU_DEP_3) | instskip(SKIP_1) | instid1(VALU_DEP_4)
	v_add_f32_e32 v2, v2, v5
	v_add_f32_e32 v1, v1, v177
	v_fma_f32 v3, v162, v122, -v3
	s_delay_alu instid0(VALU_DEP_2) | instskip(SKIP_1) | instid1(VALU_DEP_2)
	v_dual_add_f32 v2, v2, v4 :: v_dual_add_f32 v1, v1, v178
	v_dual_mul_f32 v4, v167, v127 :: v_dual_mul_f32 v5, v165, v125
	v_add_f32_e32 v2, v2, v3
	s_delay_alu instid0(VALU_DEP_2) | instskip(NEXT) | instid1(VALU_DEP_3)
	v_fma_f32 v3, v166, v126, -v4
	v_fma_f32 v5, v164, v124, -v5
	s_delay_alu instid0(VALU_DEP_1) | instskip(NEXT) | instid1(VALU_DEP_1)
	v_dual_add_f32 v1, v1, v179 :: v_dual_add_f32 v2, v2, v5
	v_dual_add_f32 v1, v1, v180 :: v_dual_add_f32 v2, v2, v3
	s_delay_alu instid0(VALU_DEP_1) | instskip(NEXT) | instid1(VALU_DEP_1)
	v_add_f32_e32 v1, v1, v181
	v_add_f32_e32 v1, v1, v182
	s_delay_alu instid0(VALU_DEP_1) | instskip(NEXT) | instid1(VALU_DEP_1)
	v_add_f32_e32 v1, v1, v183
	v_add_f32_e32 v1, v1, v184
	;; [unrolled: 3-line block ×3, first 2 shown]
	s_delay_alu instid0(VALU_DEP_1) | instskip(SKIP_1) | instid1(VALU_DEP_1)
	v_add_f32_e32 v3, v1, v187
	s_wait_loadcnt 0x0
	v_dual_sub_f32 v1, v168, v2 :: v_dual_sub_f32 v2, v169, v3
	scratch_store_b64 off, v[1:2], off offset:168
	v_cmpx_lt_u32_e32 20, v0
	s_cbranch_execz .LBB105_225
; %bb.224:
	scratch_load_b64 v[1:2], off, off offset:160
	v_mov_b32_e32 v3, 0
	s_delay_alu instid0(VALU_DEP_1)
	v_mov_b32_e32 v4, v3
	scratch_store_b64 off, v[3:4], off offset:160
	s_wait_loadcnt 0x0
	ds_store_b64 v23, v[1:2]
.LBB105_225:
	s_wait_alu 0xfffe
	s_or_b32 exec_lo, exec_lo, s0
	s_wait_storecnt_dscnt 0x0
	s_barrier_signal -1
	s_barrier_wait -1
	global_inv scope:SCOPE_SE
	s_clause 0xb
	scratch_load_b128 v[2:5], off, off offset:168
	scratch_load_b128 v[6:9], off, off offset:184
	;; [unrolled: 1-line block ×10, first 2 shown]
	scratch_load_b64 v[168:169], off, off offset:328
	scratch_load_b64 v[170:171], off, off offset:160
	v_mov_b32_e32 v1, 0
	ds_load_2addr_b64 v[128:131], v1 offset0:63 offset1:64
	ds_load_2addr_b64 v[132:135], v1 offset0:65 offset1:66
	ds_load_2addr_b64 v[136:139], v1 offset0:67 offset1:68
	ds_load_2addr_b64 v[140:143], v1 offset0:69 offset1:70
	ds_load_2addr_b64 v[144:147], v1 offset0:71 offset1:72
	ds_load_2addr_b64 v[148:151], v1 offset0:73 offset1:74
	ds_load_2addr_b64 v[152:155], v1 offset0:75 offset1:76
	ds_load_2addr_b64 v[156:159], v1 offset0:77 offset1:78
	ds_load_2addr_b64 v[160:163], v1 offset0:79 offset1:80
	ds_load_2addr_b64 v[164:167], v1 offset0:81 offset1:82
	ds_load_b64 v[172:173], v1 offset:664
	s_mov_b32 s0, exec_lo
	s_wait_loadcnt_dscnt 0xb0a
	v_mul_f32_e32 v22, v128, v3
	v_dual_mul_f32 v3, v129, v3 :: v_dual_mul_f32 v174, v130, v5
	s_wait_loadcnt_dscnt 0x706
	v_dual_mul_f32 v175, v132, v7 :: v_dual_mul_f32 v182, v146, v21
	v_mul_f32_e32 v5, v131, v5
	s_delay_alu instid0(VALU_DEP_3)
	v_fma_f32 v3, v128, v2, -v3
	v_dual_mul_f32 v176, v134, v9 :: v_dual_mul_f32 v177, v136, v11
	s_wait_loadcnt_dscnt 0x100
	v_dual_fmac_f32 v22, v129, v2 :: v_dual_mul_f32 v193, v172, v169
	v_mul_f32_e32 v2, v133, v7
	v_dual_fmac_f32 v174, v131, v4 :: v_dual_add_f32 v3, 0, v3
	v_fma_f32 v4, v130, v4, -v5
	s_delay_alu instid0(VALU_DEP_4) | instskip(SKIP_2) | instid1(VALU_DEP_4)
	v_dual_add_f32 v5, 0, v22 :: v_dual_fmac_f32 v176, v135, v8
	v_mul_f32_e32 v7, v135, v9
	v_fma_f32 v2, v132, v6, -v2
	v_add_f32_e32 v3, v3, v4
	v_fmac_f32_e32 v175, v133, v6
	v_add_f32_e32 v4, v5, v174
	v_mul_f32_e32 v5, v137, v11
	v_fma_f32 v6, v134, v8, -v7
	v_add_f32_e32 v2, v3, v2
	v_dual_mul_f32 v178, v138, v13 :: v_dual_mul_f32 v179, v140, v15
	v_dual_add_f32 v3, v4, v175 :: v_dual_mul_f32 v4, v139, v13
	v_fma_f32 v5, v136, v10, -v5
	s_delay_alu instid0(VALU_DEP_4)
	v_add_f32_e32 v2, v2, v6
	v_fmac_f32_e32 v177, v137, v10
	v_mul_f32_e32 v6, v141, v15
	v_fmac_f32_e32 v178, v139, v12
	v_add_f32_e32 v3, v3, v176
	v_fma_f32 v4, v138, v12, -v4
	v_add_f32_e32 v2, v2, v5
	v_dual_mul_f32 v180, v142, v17 :: v_dual_mul_f32 v181, v144, v19
	s_delay_alu instid0(VALU_DEP_4)
	v_add_f32_e32 v3, v3, v177
	v_mul_f32_e32 v5, v143, v17
	v_fma_f32 v6, v140, v14, -v6
	v_dual_add_f32 v2, v2, v4 :: v_dual_fmac_f32 v179, v141, v14
	v_fmac_f32_e32 v180, v143, v16
	v_mul_f32_e32 v4, v145, v19
	v_fma_f32 v5, v142, v16, -v5
	s_delay_alu instid0(VALU_DEP_4) | instskip(SKIP_3) | instid1(VALU_DEP_3)
	v_add_f32_e32 v2, v2, v6
	v_add_f32_e32 v3, v3, v178
	v_dual_mul_f32 v6, v147, v21 :: v_dual_fmac_f32 v181, v145, v18
	v_fma_f32 v4, v144, v18, -v4
	v_dual_add_f32 v2, v2, v5 :: v_dual_add_f32 v3, v3, v179
	s_delay_alu instid0(VALU_DEP_3) | instskip(SKIP_1) | instid1(VALU_DEP_3)
	v_fma_f32 v6, v146, v20, -v6
	v_dual_mul_f32 v183, v148, v25 :: v_dual_mul_f32 v184, v150, v27
	v_add_f32_e32 v2, v2, v4
	s_delay_alu instid0(VALU_DEP_4) | instskip(SKIP_1) | instid1(VALU_DEP_4)
	v_add_f32_e32 v3, v3, v180
	v_dual_mul_f32 v5, v149, v25 :: v_dual_fmac_f32 v182, v147, v20
	v_dual_mul_f32 v4, v151, v27 :: v_dual_fmac_f32 v183, v149, v24
	s_delay_alu instid0(VALU_DEP_3) | instskip(NEXT) | instid1(VALU_DEP_3)
	v_dual_add_f32 v2, v2, v6 :: v_dual_add_f32 v3, v3, v181
	v_fma_f32 v5, v148, v24, -v5
	v_dual_mul_f32 v185, v152, v113 :: v_dual_mul_f32 v186, v154, v115
	s_delay_alu instid0(VALU_DEP_3) | instskip(NEXT) | instid1(VALU_DEP_2)
	v_dual_mul_f32 v6, v153, v113 :: v_dual_add_f32 v3, v3, v182
	v_dual_fmac_f32 v184, v151, v26 :: v_dual_fmac_f32 v185, v153, v112
	v_fma_f32 v4, v150, v26, -v4
	s_delay_alu instid0(VALU_DEP_3) | instskip(SKIP_3) | instid1(VALU_DEP_4)
	v_dual_add_f32 v2, v2, v5 :: v_dual_add_f32 v3, v3, v183
	v_mul_f32_e32 v5, v155, v115
	v_fma_f32 v6, v152, v112, -v6
	v_dual_mul_f32 v187, v156, v117 :: v_dual_mul_f32 v188, v158, v119
	v_add_f32_e32 v2, v2, v4
	v_dual_add_f32 v3, v3, v184 :: v_dual_mul_f32 v4, v157, v117
	s_delay_alu instid0(VALU_DEP_3) | instskip(SKIP_1) | instid1(VALU_DEP_3)
	v_dual_fmac_f32 v186, v155, v114 :: v_dual_fmac_f32 v187, v157, v116
	v_fma_f32 v5, v154, v114, -v5
	v_dual_add_f32 v2, v2, v6 :: v_dual_add_f32 v3, v3, v185
	v_mul_f32_e32 v6, v159, v119
	v_fma_f32 v4, v156, v116, -v4
	v_dual_mul_f32 v189, v160, v121 :: v_dual_mul_f32 v190, v162, v123
	s_delay_alu instid0(VALU_DEP_4) | instskip(SKIP_1) | instid1(VALU_DEP_3)
	v_dual_add_f32 v2, v2, v5 :: v_dual_add_f32 v3, v3, v186
	v_dual_mul_f32 v5, v161, v121 :: v_dual_fmac_f32 v188, v159, v118
	v_fmac_f32_e32 v189, v161, v120
	v_fma_f32 v6, v158, v118, -v6
	s_delay_alu instid0(VALU_DEP_4) | instskip(SKIP_2) | instid1(VALU_DEP_3)
	v_dual_add_f32 v2, v2, v4 :: v_dual_add_f32 v3, v3, v187
	v_dual_mul_f32 v191, v164, v125 :: v_dual_mul_f32 v192, v166, v127
	v_mul_f32_e32 v4, v163, v123
	v_dual_add_f32 v2, v2, v6 :: v_dual_add_f32 v3, v3, v188
	v_fma_f32 v5, v160, v120, -v5
	v_dual_fmac_f32 v190, v163, v122 :: v_dual_fmac_f32 v193, v173, v168
	v_fmac_f32_e32 v191, v165, v124
	v_fma_f32 v4, v162, v122, -v4
	v_add_f32_e32 v3, v3, v189
	v_mul_f32_e32 v6, v165, v125
	v_dual_add_f32 v2, v2, v5 :: v_dual_mul_f32 v5, v167, v127
	v_fmac_f32_e32 v192, v167, v126
	s_delay_alu instid0(VALU_DEP_4) | instskip(NEXT) | instid1(VALU_DEP_4)
	v_add_f32_e32 v3, v3, v190
	v_fma_f32 v6, v164, v124, -v6
	s_delay_alu instid0(VALU_DEP_4) | instskip(SKIP_2) | instid1(VALU_DEP_3)
	v_add_f32_e32 v2, v2, v4
	v_mul_f32_e32 v4, v173, v169
	v_fma_f32 v5, v166, v126, -v5
	v_dual_add_f32 v3, v3, v191 :: v_dual_add_f32 v2, v2, v6
	s_delay_alu instid0(VALU_DEP_3) | instskip(NEXT) | instid1(VALU_DEP_2)
	v_fma_f32 v4, v172, v168, -v4
	v_add_f32_e32 v3, v3, v192
	s_delay_alu instid0(VALU_DEP_1) | instskip(SKIP_1) | instid1(VALU_DEP_1)
	v_add_f32_e32 v3, v3, v193
	s_wait_loadcnt 0x0
	v_dual_add_f32 v2, v2, v5 :: v_dual_sub_f32 v3, v171, v3
	s_delay_alu instid0(VALU_DEP_1) | instskip(NEXT) | instid1(VALU_DEP_1)
	v_add_f32_e32 v2, v2, v4
	v_sub_f32_e32 v2, v170, v2
	scratch_store_b64 off, v[2:3], off offset:160
	v_cmpx_lt_u32_e32 19, v0
	s_cbranch_execz .LBB105_227
; %bb.226:
	scratch_load_b64 v[3:4], off, off offset:152
	v_mov_b32_e32 v2, v1
	scratch_store_b64 off, v[1:2], off offset:152
	s_wait_loadcnt 0x0
	ds_store_b64 v23, v[3:4]
.LBB105_227:
	s_wait_alu 0xfffe
	s_or_b32 exec_lo, exec_lo, s0
	s_wait_storecnt_dscnt 0x0
	s_barrier_signal -1
	s_barrier_wait -1
	global_inv scope:SCOPE_SE
	s_clause 0xb
	scratch_load_b128 v[2:5], off, off offset:160
	scratch_load_b128 v[6:9], off, off offset:176
	;; [unrolled: 1-line block ×11, first 2 shown]
	scratch_load_b64 v[176:177], off, off offset:152
	ds_load_b128 v[132:135], v1 offset:496
	ds_load_b128 v[136:139], v1 offset:512
	;; [unrolled: 1-line block ×11, first 2 shown]
	s_mov_b32 s0, exec_lo
	s_wait_loadcnt_dscnt 0xb0a
	v_dual_mul_f32 v1, v132, v3 :: v_dual_mul_f32 v22, v134, v5
	s_wait_loadcnt_dscnt 0xa09
	v_dual_mul_f32 v5, v135, v5 :: v_dual_mul_f32 v178, v136, v7
	v_mul_f32_e32 v179, v138, v9
	v_mul_f32_e32 v3, v133, v3
	v_dual_fmac_f32 v1, v133, v2 :: v_dual_fmac_f32 v22, v135, v4
	s_wait_loadcnt_dscnt 0x908
	v_dual_mul_f32 v180, v140, v11 :: v_dual_mul_f32 v181, v142, v13
	s_wait_loadcnt_dscnt 0x201
	v_mul_f32_e32 v194, v168, v125
	v_fma_f32 v3, v132, v2, -v3
	s_wait_loadcnt_dscnt 0x100
	v_mul_f32_e32 v197, v174, v131
	v_mul_f32_e32 v2, v137, v7
	v_fma_f32 v4, v134, v4, -v5
	v_dual_mul_f32 v182, v144, v15 :: v_dual_mul_f32 v183, v146, v17
	v_dual_add_f32 v3, 0, v3 :: v_dual_fmac_f32 v178, v137, v6
	v_dual_mul_f32 v5, v139, v9 :: v_dual_fmac_f32 v180, v141, v10
	v_fma_f32 v2, v136, v6, -v2
	s_delay_alu instid0(VALU_DEP_3) | instskip(NEXT) | instid1(VALU_DEP_3)
	v_dual_add_f32 v3, v3, v4 :: v_dual_fmac_f32 v182, v145, v14
	v_fma_f32 v5, v138, v8, -v5
	v_dual_mul_f32 v184, v148, v19 :: v_dual_mul_f32 v185, v150, v21
	s_delay_alu instid0(VALU_DEP_3) | instskip(SKIP_3) | instid1(VALU_DEP_4)
	v_add_f32_e32 v2, v3, v2
	v_mul_f32_e32 v3, v143, v13
	v_dual_mul_f32 v186, v152, v25 :: v_dual_mul_f32 v187, v154, v27
	v_mul_f32_e32 v4, v141, v11
	v_add_f32_e32 v2, v2, v5
	v_dual_add_f32 v1, 0, v1 :: v_dual_fmac_f32 v184, v149, v18
	v_fma_f32 v3, v142, v12, -v3
	s_delay_alu instid0(VALU_DEP_4) | instskip(SKIP_1) | instid1(VALU_DEP_4)
	v_fma_f32 v4, v140, v10, -v4
	v_fmac_f32_e32 v183, v147, v16
	v_dual_add_f32 v1, v1, v22 :: v_dual_mul_f32 v188, v156, v113
	v_mul_f32_e32 v189, v158, v115
	s_delay_alu instid0(VALU_DEP_4) | instskip(NEXT) | instid1(VALU_DEP_3)
	v_add_f32_e32 v2, v2, v4
	v_dual_mul_f32 v4, v147, v17 :: v_dual_add_f32 v1, v1, v178
	v_dual_fmac_f32 v179, v139, v8 :: v_dual_mul_f32 v192, v164, v121
	v_mul_f32_e32 v193, v166, v123
	s_delay_alu instid0(VALU_DEP_3) | instskip(SKIP_4) | instid1(VALU_DEP_4)
	v_fma_f32 v4, v146, v16, -v4
	v_mul_f32_e32 v5, v145, v15
	v_add_f32_e32 v2, v2, v3
	v_dual_add_f32 v1, v1, v179 :: v_dual_mul_f32 v190, v160, v117
	v_mul_f32_e32 v191, v162, v119
	v_fma_f32 v5, v144, v14, -v5
	v_fmac_f32_e32 v181, v143, v12
	v_dual_fmac_f32 v186, v153, v24 :: v_dual_fmac_f32 v189, v159, v114
	v_dual_fmac_f32 v187, v155, v26 :: v_dual_fmac_f32 v190, v161, v116
	s_delay_alu instid0(VALU_DEP_4) | instskip(SKIP_2) | instid1(VALU_DEP_3)
	v_add_f32_e32 v2, v2, v5
	v_mul_f32_e32 v5, v151, v21
	v_dual_mul_f32 v195, v170, v127 :: v_dual_mul_f32 v196, v172, v129
	v_dual_fmac_f32 v193, v167, v122 :: v_dual_add_f32 v2, v2, v4
	s_delay_alu instid0(VALU_DEP_3) | instskip(SKIP_4) | instid1(VALU_DEP_4)
	v_fma_f32 v5, v150, v20, -v5
	v_mul_f32_e32 v3, v149, v19
	v_mul_f32_e32 v4, v153, v25
	v_dual_fmac_f32 v196, v173, v128 :: v_dual_fmac_f32 v195, v171, v126
	v_fmac_f32_e32 v188, v157, v112
	v_fma_f32 v3, v148, v18, -v3
	v_add_f32_e32 v1, v1, v180
	v_fma_f32 v4, v152, v24, -v4
	v_dual_fmac_f32 v197, v175, v130 :: v_dual_fmac_f32 v192, v165, v120
	s_delay_alu instid0(VALU_DEP_4) | instskip(SKIP_1) | instid1(VALU_DEP_2)
	v_add_f32_e32 v2, v2, v3
	v_dual_mul_f32 v3, v155, v27 :: v_dual_fmac_f32 v194, v169, v124
	v_add_f32_e32 v2, v2, v5
	v_add_f32_e32 v1, v1, v181
	s_delay_alu instid0(VALU_DEP_3) | instskip(NEXT) | instid1(VALU_DEP_2)
	v_fma_f32 v3, v154, v26, -v3
	v_dual_add_f32 v2, v2, v4 :: v_dual_add_f32 v1, v1, v182
	v_mul_f32_e32 v4, v159, v115
	s_delay_alu instid0(VALU_DEP_2) | instskip(SKIP_1) | instid1(VALU_DEP_3)
	v_dual_fmac_f32 v185, v151, v20 :: v_dual_add_f32 v2, v2, v3
	v_mul_f32_e32 v3, v161, v117
	v_fma_f32 v4, v158, v114, -v4
	v_mul_f32_e32 v5, v157, v113
	s_delay_alu instid0(VALU_DEP_3) | instskip(NEXT) | instid1(VALU_DEP_2)
	v_fma_f32 v3, v160, v116, -v3
	v_fma_f32 v5, v156, v112, -v5
	s_delay_alu instid0(VALU_DEP_1) | instskip(NEXT) | instid1(VALU_DEP_1)
	v_dual_add_f32 v1, v1, v183 :: v_dual_add_f32 v2, v2, v5
	v_dual_mul_f32 v5, v163, v119 :: v_dual_add_f32 v2, v2, v4
	s_delay_alu instid0(VALU_DEP_2) | instskip(SKIP_1) | instid1(VALU_DEP_3)
	v_add_f32_e32 v1, v1, v184
	v_mul_f32_e32 v4, v165, v121
	v_fma_f32 v5, v162, v118, -v5
	s_delay_alu instid0(VALU_DEP_4) | instskip(SKIP_1) | instid1(VALU_DEP_4)
	v_dual_add_f32 v2, v2, v3 :: v_dual_fmac_f32 v191, v163, v118
	v_mul_f32_e32 v3, v167, v123
	v_fma_f32 v4, v164, v120, -v4
	s_delay_alu instid0(VALU_DEP_3) | instskip(SKIP_1) | instid1(VALU_DEP_4)
	v_add_f32_e32 v2, v2, v5
	v_add_f32_e32 v1, v1, v185
	v_fma_f32 v3, v166, v122, -v3
	s_delay_alu instid0(VALU_DEP_3) | instskip(NEXT) | instid1(VALU_DEP_3)
	v_dual_add_f32 v2, v2, v4 :: v_dual_mul_f32 v5, v169, v125
	v_dual_add_f32 v1, v1, v186 :: v_dual_mul_f32 v4, v171, v127
	s_delay_alu instid0(VALU_DEP_2) | instskip(NEXT) | instid1(VALU_DEP_3)
	v_add_f32_e32 v2, v2, v3
	v_fma_f32 v5, v168, v124, -v5
	s_delay_alu instid0(VALU_DEP_3) | instskip(SKIP_2) | instid1(VALU_DEP_4)
	v_add_f32_e32 v1, v1, v187
	v_mul_f32_e32 v3, v173, v129
	v_fma_f32 v4, v170, v126, -v4
	v_dual_add_f32 v2, v2, v5 :: v_dual_mul_f32 v5, v175, v131
	s_delay_alu instid0(VALU_DEP_3) | instskip(NEXT) | instid1(VALU_DEP_2)
	v_fma_f32 v3, v172, v128, -v3
	v_add_f32_e32 v2, v2, v4
	v_add_f32_e32 v1, v1, v188
	s_delay_alu instid0(VALU_DEP_4) | instskip(NEXT) | instid1(VALU_DEP_2)
	v_fma_f32 v4, v174, v130, -v5
	v_dual_add_f32 v2, v2, v3 :: v_dual_add_f32 v1, v1, v189
	s_delay_alu instid0(VALU_DEP_1) | instskip(NEXT) | instid1(VALU_DEP_1)
	v_dual_add_f32 v2, v2, v4 :: v_dual_add_f32 v1, v1, v190
	v_add_f32_e32 v1, v1, v191
	s_delay_alu instid0(VALU_DEP_1) | instskip(NEXT) | instid1(VALU_DEP_1)
	v_add_f32_e32 v1, v1, v192
	v_add_f32_e32 v1, v1, v193
	s_delay_alu instid0(VALU_DEP_1) | instskip(NEXT) | instid1(VALU_DEP_1)
	v_add_f32_e32 v1, v1, v194
	;; [unrolled: 3-line block ×3, first 2 shown]
	v_add_f32_e32 v3, v1, v197
	s_wait_loadcnt 0x0
	s_delay_alu instid0(VALU_DEP_1)
	v_dual_sub_f32 v1, v176, v2 :: v_dual_sub_f32 v2, v177, v3
	scratch_store_b64 off, v[1:2], off offset:152
	v_cmpx_lt_u32_e32 18, v0
	s_cbranch_execz .LBB105_229
; %bb.228:
	scratch_load_b64 v[1:2], off, off offset:144
	v_mov_b32_e32 v3, 0
	s_delay_alu instid0(VALU_DEP_1)
	v_mov_b32_e32 v4, v3
	scratch_store_b64 off, v[3:4], off offset:144
	s_wait_loadcnt 0x0
	ds_store_b64 v23, v[1:2]
.LBB105_229:
	s_wait_alu 0xfffe
	s_or_b32 exec_lo, exec_lo, s0
	s_wait_storecnt_dscnt 0x0
	s_barrier_signal -1
	s_barrier_wait -1
	global_inv scope:SCOPE_SE
	s_clause 0xc
	scratch_load_b128 v[2:5], off, off offset:152
	scratch_load_b128 v[6:9], off, off offset:168
	;; [unrolled: 1-line block ×11, first 2 shown]
	scratch_load_b64 v[176:177], off, off offset:328
	scratch_load_b64 v[178:179], off, off offset:144
	v_mov_b32_e32 v1, 0
	ds_load_2addr_b64 v[132:135], v1 offset0:61 offset1:62
	ds_load_2addr_b64 v[136:139], v1 offset0:63 offset1:64
	;; [unrolled: 1-line block ×11, first 2 shown]
	ds_load_b64 v[180:181], v1 offset:664
	s_mov_b32 s0, exec_lo
	s_wait_loadcnt_dscnt 0xc0b
	v_mul_f32_e32 v22, v132, v3
	v_dual_mul_f32 v3, v133, v3 :: v_dual_mul_f32 v182, v134, v5
	s_wait_loadcnt_dscnt 0x807
	v_dual_mul_f32 v183, v136, v7 :: v_dual_mul_f32 v190, v150, v21
	v_mul_f32_e32 v5, v135, v5
	s_delay_alu instid0(VALU_DEP_3)
	v_fma_f32 v3, v132, v2, -v3
	v_dual_mul_f32 v184, v138, v9 :: v_dual_mul_f32 v185, v140, v11
	v_fmac_f32_e32 v22, v133, v2
	s_wait_loadcnt_dscnt 0x100
	v_dual_mul_f32 v2, v137, v7 :: v_dual_mul_f32 v203, v180, v177
	v_dual_fmac_f32 v182, v135, v4 :: v_dual_add_f32 v3, 0, v3
	v_fma_f32 v4, v134, v4, -v5
	v_dual_add_f32 v5, 0, v22 :: v_dual_fmac_f32 v184, v139, v8
	v_mul_f32_e32 v7, v139, v9
	v_fma_f32 v2, v136, v6, -v2
	s_delay_alu instid0(VALU_DEP_4)
	v_add_f32_e32 v3, v3, v4
	v_fmac_f32_e32 v183, v137, v6
	v_add_f32_e32 v4, v5, v182
	v_mul_f32_e32 v5, v141, v11
	v_fma_f32 v6, v138, v8, -v7
	v_add_f32_e32 v2, v3, v2
	v_dual_mul_f32 v186, v142, v13 :: v_dual_mul_f32 v187, v144, v15
	v_dual_add_f32 v3, v4, v183 :: v_dual_mul_f32 v4, v143, v13
	v_fma_f32 v5, v140, v10, -v5
	s_delay_alu instid0(VALU_DEP_4)
	v_add_f32_e32 v2, v2, v6
	v_fmac_f32_e32 v185, v141, v10
	v_mul_f32_e32 v6, v145, v15
	v_fmac_f32_e32 v186, v143, v12
	v_add_f32_e32 v3, v3, v184
	v_fma_f32 v4, v142, v12, -v4
	v_add_f32_e32 v2, v2, v5
	v_dual_mul_f32 v188, v146, v17 :: v_dual_mul_f32 v189, v148, v19
	s_delay_alu instid0(VALU_DEP_4)
	v_add_f32_e32 v3, v3, v185
	v_mul_f32_e32 v5, v147, v17
	v_fma_f32 v6, v144, v14, -v6
	v_dual_add_f32 v2, v2, v4 :: v_dual_fmac_f32 v187, v145, v14
	v_fmac_f32_e32 v188, v147, v16
	v_mul_f32_e32 v4, v149, v19
	v_fma_f32 v5, v146, v16, -v5
	s_delay_alu instid0(VALU_DEP_4) | instskip(SKIP_3) | instid1(VALU_DEP_3)
	v_add_f32_e32 v2, v2, v6
	v_add_f32_e32 v3, v3, v186
	v_dual_mul_f32 v6, v151, v21 :: v_dual_fmac_f32 v189, v149, v18
	v_fma_f32 v4, v148, v18, -v4
	v_dual_add_f32 v2, v2, v5 :: v_dual_add_f32 v3, v3, v187
	s_delay_alu instid0(VALU_DEP_3) | instskip(SKIP_1) | instid1(VALU_DEP_3)
	v_fma_f32 v6, v150, v20, -v6
	v_dual_mul_f32 v191, v152, v25 :: v_dual_mul_f32 v192, v154, v27
	v_add_f32_e32 v2, v2, v4
	s_delay_alu instid0(VALU_DEP_4) | instskip(SKIP_1) | instid1(VALU_DEP_4)
	v_add_f32_e32 v3, v3, v188
	v_dual_mul_f32 v5, v153, v25 :: v_dual_fmac_f32 v190, v151, v20
	v_dual_mul_f32 v4, v155, v27 :: v_dual_fmac_f32 v191, v153, v24
	s_delay_alu instid0(VALU_DEP_3) | instskip(NEXT) | instid1(VALU_DEP_3)
	v_dual_add_f32 v2, v2, v6 :: v_dual_add_f32 v3, v3, v189
	v_fma_f32 v5, v152, v24, -v5
	v_dual_mul_f32 v193, v156, v113 :: v_dual_mul_f32 v194, v158, v115
	s_delay_alu instid0(VALU_DEP_3) | instskip(NEXT) | instid1(VALU_DEP_2)
	v_dual_mul_f32 v6, v157, v113 :: v_dual_add_f32 v3, v3, v190
	v_dual_fmac_f32 v192, v155, v26 :: v_dual_fmac_f32 v193, v157, v112
	v_fma_f32 v4, v154, v26, -v4
	s_delay_alu instid0(VALU_DEP_3) | instskip(SKIP_3) | instid1(VALU_DEP_4)
	v_dual_add_f32 v2, v2, v5 :: v_dual_add_f32 v3, v3, v191
	v_mul_f32_e32 v5, v159, v115
	v_fma_f32 v6, v156, v112, -v6
	v_dual_mul_f32 v195, v160, v117 :: v_dual_mul_f32 v196, v162, v119
	v_add_f32_e32 v2, v2, v4
	v_dual_add_f32 v3, v3, v192 :: v_dual_mul_f32 v4, v161, v117
	s_delay_alu instid0(VALU_DEP_3) | instskip(SKIP_1) | instid1(VALU_DEP_3)
	v_dual_fmac_f32 v194, v159, v114 :: v_dual_fmac_f32 v195, v161, v116
	v_fma_f32 v5, v158, v114, -v5
	v_dual_add_f32 v2, v2, v6 :: v_dual_add_f32 v3, v3, v193
	v_mul_f32_e32 v6, v163, v119
	v_fma_f32 v4, v160, v116, -v4
	v_dual_mul_f32 v197, v164, v121 :: v_dual_mul_f32 v198, v166, v123
	s_delay_alu instid0(VALU_DEP_4) | instskip(SKIP_1) | instid1(VALU_DEP_3)
	v_dual_add_f32 v2, v2, v5 :: v_dual_add_f32 v3, v3, v194
	v_dual_mul_f32 v5, v165, v121 :: v_dual_fmac_f32 v196, v163, v118
	v_fmac_f32_e32 v197, v165, v120
	v_fma_f32 v6, v162, v118, -v6
	s_delay_alu instid0(VALU_DEP_4) | instskip(SKIP_2) | instid1(VALU_DEP_2)
	v_dual_add_f32 v2, v2, v4 :: v_dual_add_f32 v3, v3, v195
	v_dual_mul_f32 v199, v168, v125 :: v_dual_mul_f32 v200, v170, v127
	v_dual_mul_f32 v201, v172, v129 :: v_dual_mul_f32 v202, v174, v131
	v_dual_mul_f32 v4, v167, v123 :: v_dual_fmac_f32 v199, v169, v124
	v_fma_f32 v5, v164, v120, -v5
	v_dual_add_f32 v2, v2, v6 :: v_dual_add_f32 v3, v3, v196
	v_mul_f32_e32 v6, v169, v125
	v_dual_fmac_f32 v198, v167, v122 :: v_dual_fmac_f32 v201, v173, v128
	v_fma_f32 v4, v166, v122, -v4
	s_delay_alu instid0(VALU_DEP_4) | instskip(SKIP_3) | instid1(VALU_DEP_3)
	v_add_f32_e32 v3, v3, v197
	v_dual_add_f32 v2, v2, v5 :: v_dual_mul_f32 v5, v171, v127
	v_fma_f32 v6, v168, v124, -v6
	v_fmac_f32_e32 v200, v171, v126
	v_dual_add_f32 v3, v3, v198 :: v_dual_add_f32 v2, v2, v4
	v_mul_f32_e32 v4, v173, v129
	v_fma_f32 v5, v170, v126, -v5
	v_fmac_f32_e32 v202, v175, v130
	s_delay_alu instid0(VALU_DEP_4) | instskip(SKIP_2) | instid1(VALU_DEP_3)
	v_dual_add_f32 v3, v3, v199 :: v_dual_add_f32 v2, v2, v6
	v_dual_mul_f32 v6, v175, v131 :: v_dual_fmac_f32 v203, v181, v176
	v_fma_f32 v4, v172, v128, -v4
	v_add_f32_e32 v2, v2, v5
	v_mul_f32_e32 v5, v181, v177
	v_add_f32_e32 v3, v3, v200
	v_fma_f32 v6, v174, v130, -v6
	s_delay_alu instid0(VALU_DEP_2) | instskip(NEXT) | instid1(VALU_DEP_1)
	v_add_f32_e32 v3, v3, v201
	v_dual_add_f32 v3, v3, v202 :: v_dual_add_f32 v2, v2, v4
	v_fma_f32 v4, v180, v176, -v5
	s_delay_alu instid0(VALU_DEP_2) | instskip(SKIP_1) | instid1(VALU_DEP_1)
	v_dual_add_f32 v3, v3, v203 :: v_dual_add_f32 v2, v2, v6
	s_wait_loadcnt 0x0
	v_dual_sub_f32 v3, v179, v3 :: v_dual_add_f32 v2, v2, v4
	s_delay_alu instid0(VALU_DEP_1)
	v_sub_f32_e32 v2, v178, v2
	scratch_store_b64 off, v[2:3], off offset:144
	v_cmpx_lt_u32_e32 17, v0
	s_cbranch_execz .LBB105_231
; %bb.230:
	scratch_load_b64 v[3:4], off, off offset:136
	v_mov_b32_e32 v2, v1
	scratch_store_b64 off, v[1:2], off offset:136
	s_wait_loadcnt 0x0
	ds_store_b64 v23, v[3:4]
.LBB105_231:
	s_wait_alu 0xfffe
	s_or_b32 exec_lo, exec_lo, s0
	s_wait_storecnt_dscnt 0x0
	s_barrier_signal -1
	s_barrier_wait -1
	global_inv scope:SCOPE_SE
	s_clause 0xc
	scratch_load_b128 v[2:5], off, off offset:144
	scratch_load_b128 v[6:9], off, off offset:160
	;; [unrolled: 1-line block ×12, first 2 shown]
	scratch_load_b64 v[184:185], off, off offset:136
	ds_load_b128 v[136:139], v1 offset:480
	ds_load_b128 v[140:143], v1 offset:496
	;; [unrolled: 1-line block ×12, first 2 shown]
	s_mov_b32 s0, exec_lo
	s_wait_loadcnt_dscnt 0xc0b
	v_dual_mul_f32 v1, v136, v3 :: v_dual_mul_f32 v22, v138, v5
	s_wait_loadcnt_dscnt 0xb0a
	v_dual_mul_f32 v5, v139, v5 :: v_dual_mul_f32 v186, v140, v7
	v_mul_f32_e32 v187, v142, v9
	s_delay_alu instid0(VALU_DEP_3)
	v_fmac_f32_e32 v1, v137, v2
	v_dual_mul_f32 v3, v137, v3 :: v_dual_fmac_f32 v22, v139, v4
	s_wait_loadcnt_dscnt 0xa09
	v_dual_mul_f32 v188, v144, v11 :: v_dual_mul_f32 v189, v146, v13
	s_wait_loadcnt_dscnt 0x201
	v_mul_f32_e32 v204, v176, v129
	v_fma_f32 v3, v136, v2, -v3
	s_wait_loadcnt_dscnt 0x100
	v_mul_f32_e32 v207, v182, v135
	v_mul_f32_e32 v2, v141, v7
	v_fma_f32 v4, v138, v4, -v5
	v_dual_mul_f32 v190, v148, v15 :: v_dual_mul_f32 v191, v150, v17
	v_dual_add_f32 v3, 0, v3 :: v_dual_fmac_f32 v186, v141, v6
	v_dual_mul_f32 v5, v143, v9 :: v_dual_fmac_f32 v188, v145, v10
	v_fma_f32 v2, v140, v6, -v2
	s_delay_alu instid0(VALU_DEP_3) | instskip(NEXT) | instid1(VALU_DEP_3)
	v_dual_add_f32 v3, v3, v4 :: v_dual_fmac_f32 v190, v149, v14
	v_fma_f32 v5, v142, v8, -v5
	v_dual_mul_f32 v192, v152, v19 :: v_dual_mul_f32 v193, v154, v21
	s_delay_alu instid0(VALU_DEP_3) | instskip(SKIP_3) | instid1(VALU_DEP_4)
	v_add_f32_e32 v2, v3, v2
	v_mul_f32_e32 v3, v147, v13
	v_dual_mul_f32 v194, v156, v25 :: v_dual_mul_f32 v195, v158, v27
	v_mul_f32_e32 v4, v145, v11
	v_add_f32_e32 v2, v2, v5
	v_dual_add_f32 v1, 0, v1 :: v_dual_fmac_f32 v192, v153, v18
	v_fma_f32 v3, v146, v12, -v3
	s_delay_alu instid0(VALU_DEP_4) | instskip(SKIP_1) | instid1(VALU_DEP_4)
	v_fma_f32 v4, v144, v10, -v4
	v_fmac_f32_e32 v191, v151, v16
	v_dual_add_f32 v1, v1, v22 :: v_dual_mul_f32 v196, v160, v113
	v_mul_f32_e32 v197, v162, v115
	s_delay_alu instid0(VALU_DEP_4) | instskip(NEXT) | instid1(VALU_DEP_3)
	v_add_f32_e32 v2, v2, v4
	v_dual_mul_f32 v4, v151, v17 :: v_dual_add_f32 v1, v1, v186
	v_dual_fmac_f32 v187, v143, v8 :: v_dual_mul_f32 v200, v168, v121
	v_mul_f32_e32 v201, v170, v123
	s_delay_alu instid0(VALU_DEP_3) | instskip(SKIP_4) | instid1(VALU_DEP_4)
	v_fma_f32 v4, v150, v16, -v4
	v_mul_f32_e32 v5, v149, v15
	v_add_f32_e32 v2, v2, v3
	v_dual_add_f32 v1, v1, v187 :: v_dual_mul_f32 v198, v164, v117
	v_mul_f32_e32 v199, v166, v119
	v_fma_f32 v5, v148, v14, -v5
	v_fmac_f32_e32 v189, v147, v12
	v_dual_fmac_f32 v197, v163, v114 :: v_dual_fmac_f32 v194, v157, v24
	v_dual_mul_f32 v202, v172, v125 :: v_dual_mul_f32 v203, v174, v127
	s_delay_alu instid0(VALU_DEP_4) | instskip(SKIP_3) | instid1(VALU_DEP_3)
	v_add_f32_e32 v2, v2, v5
	v_mul_f32_e32 v5, v155, v21
	v_dual_fmac_f32 v195, v159, v26 :: v_dual_fmac_f32 v198, v165, v116
	v_dual_mul_f32 v205, v178, v131 :: v_dual_mul_f32 v206, v180, v133
	v_fma_f32 v5, v154, v20, -v5
	v_dual_mul_f32 v3, v153, v19 :: v_dual_add_f32 v2, v2, v4
	v_dual_mul_f32 v4, v157, v25 :: v_dual_fmac_f32 v203, v175, v126
	v_dual_fmac_f32 v201, v171, v122 :: v_dual_fmac_f32 v204, v177, v128
	s_delay_alu instid0(VALU_DEP_3) | instskip(SKIP_1) | instid1(VALU_DEP_4)
	v_fma_f32 v3, v152, v18, -v3
	v_add_f32_e32 v1, v1, v188
	v_fma_f32 v4, v156, v24, -v4
	v_dual_fmac_f32 v196, v161, v112 :: v_dual_fmac_f32 v207, v183, v134
	s_delay_alu instid0(VALU_DEP_4) | instskip(SKIP_3) | instid1(VALU_DEP_4)
	v_add_f32_e32 v2, v2, v3
	v_dual_mul_f32 v3, v159, v27 :: v_dual_fmac_f32 v200, v169, v120
	v_fmac_f32_e32 v202, v173, v124
	v_fmac_f32_e32 v206, v181, v132
	v_add_f32_e32 v2, v2, v5
	v_add_f32_e32 v1, v1, v189
	v_fma_f32 v3, v158, v26, -v3
	s_delay_alu instid0(VALU_DEP_2) | instskip(SKIP_1) | instid1(VALU_DEP_2)
	v_dual_add_f32 v2, v2, v4 :: v_dual_add_f32 v1, v1, v190
	v_mul_f32_e32 v4, v163, v115
	v_dual_fmac_f32 v193, v155, v20 :: v_dual_add_f32 v2, v2, v3
	v_mul_f32_e32 v3, v165, v117
	s_delay_alu instid0(VALU_DEP_3) | instskip(SKIP_1) | instid1(VALU_DEP_3)
	v_fma_f32 v4, v162, v114, -v4
	v_mul_f32_e32 v5, v161, v113
	v_fma_f32 v3, v164, v116, -v3
	s_delay_alu instid0(VALU_DEP_2) | instskip(NEXT) | instid1(VALU_DEP_1)
	v_fma_f32 v5, v160, v112, -v5
	v_dual_add_f32 v1, v1, v191 :: v_dual_add_f32 v2, v2, v5
	s_delay_alu instid0(VALU_DEP_1) | instskip(NEXT) | instid1(VALU_DEP_2)
	v_dual_mul_f32 v5, v167, v119 :: v_dual_add_f32 v2, v2, v4
	v_add_f32_e32 v1, v1, v192
	v_mul_f32_e32 v4, v169, v121
	s_delay_alu instid0(VALU_DEP_3) | instskip(NEXT) | instid1(VALU_DEP_4)
	v_fma_f32 v5, v166, v118, -v5
	v_dual_add_f32 v2, v2, v3 :: v_dual_fmac_f32 v199, v167, v118
	v_mul_f32_e32 v3, v171, v123
	s_delay_alu instid0(VALU_DEP_4) | instskip(NEXT) | instid1(VALU_DEP_3)
	v_fma_f32 v4, v168, v120, -v4
	v_add_f32_e32 v2, v2, v5
	v_add_f32_e32 v1, v1, v193
	s_delay_alu instid0(VALU_DEP_4) | instskip(NEXT) | instid1(VALU_DEP_3)
	v_fma_f32 v3, v170, v122, -v3
	v_dual_add_f32 v2, v2, v4 :: v_dual_mul_f32 v5, v173, v125
	s_delay_alu instid0(VALU_DEP_3) | instskip(NEXT) | instid1(VALU_DEP_2)
	v_dual_add_f32 v1, v1, v194 :: v_dual_mul_f32 v4, v175, v127
	v_add_f32_e32 v2, v2, v3
	s_delay_alu instid0(VALU_DEP_3) | instskip(NEXT) | instid1(VALU_DEP_3)
	v_fma_f32 v5, v172, v124, -v5
	v_add_f32_e32 v1, v1, v195
	v_mul_f32_e32 v3, v177, v129
	v_fma_f32 v4, v174, v126, -v4
	s_delay_alu instid0(VALU_DEP_4) | instskip(NEXT) | instid1(VALU_DEP_3)
	v_dual_add_f32 v2, v2, v5 :: v_dual_mul_f32 v5, v179, v131
	v_fma_f32 v3, v176, v128, -v3
	s_delay_alu instid0(VALU_DEP_2) | instskip(SKIP_3) | instid1(VALU_DEP_4)
	v_add_f32_e32 v2, v2, v4
	v_add_f32_e32 v1, v1, v196
	v_mul_f32_e32 v4, v181, v133
	v_fma_f32 v5, v178, v130, -v5
	v_dual_add_f32 v2, v2, v3 :: v_dual_fmac_f32 v205, v179, v130
	v_mul_f32_e32 v3, v183, v135
	s_delay_alu instid0(VALU_DEP_4) | instskip(NEXT) | instid1(VALU_DEP_3)
	v_fma_f32 v4, v180, v132, -v4
	v_add_f32_e32 v2, v2, v5
	v_add_f32_e32 v1, v1, v197
	s_delay_alu instid0(VALU_DEP_4) | instskip(NEXT) | instid1(VALU_DEP_2)
	v_fma_f32 v3, v182, v134, -v3
	v_dual_add_f32 v2, v2, v4 :: v_dual_add_f32 v1, v1, v198
	s_delay_alu instid0(VALU_DEP_1) | instskip(NEXT) | instid1(VALU_DEP_2)
	v_add_f32_e32 v2, v2, v3
	v_add_f32_e32 v1, v1, v199
	s_delay_alu instid0(VALU_DEP_1) | instskip(NEXT) | instid1(VALU_DEP_1)
	v_add_f32_e32 v1, v1, v200
	v_add_f32_e32 v1, v1, v201
	s_delay_alu instid0(VALU_DEP_1) | instskip(NEXT) | instid1(VALU_DEP_1)
	;; [unrolled: 3-line block ×4, first 2 shown]
	v_add_f32_e32 v1, v1, v206
	v_add_f32_e32 v3, v1, v207
	s_wait_loadcnt 0x0
	s_delay_alu instid0(VALU_DEP_1)
	v_dual_sub_f32 v1, v184, v2 :: v_dual_sub_f32 v2, v185, v3
	scratch_store_b64 off, v[1:2], off offset:136
	v_cmpx_lt_u32_e32 16, v0
	s_cbranch_execz .LBB105_233
; %bb.232:
	scratch_load_b64 v[1:2], off, off offset:128
	v_mov_b32_e32 v3, 0
	s_delay_alu instid0(VALU_DEP_1)
	v_mov_b32_e32 v4, v3
	scratch_store_b64 off, v[3:4], off offset:128
	s_wait_loadcnt 0x0
	ds_store_b64 v23, v[1:2]
.LBB105_233:
	s_wait_alu 0xfffe
	s_or_b32 exec_lo, exec_lo, s0
	s_wait_storecnt_dscnt 0x0
	s_barrier_signal -1
	s_barrier_wait -1
	global_inv scope:SCOPE_SE
	s_clause 0xd
	scratch_load_b128 v[2:5], off, off offset:136
	scratch_load_b128 v[6:9], off, off offset:152
	;; [unrolled: 1-line block ×12, first 2 shown]
	scratch_load_b64 v[184:185], off, off offset:328
	scratch_load_b64 v[186:187], off, off offset:128
	v_mov_b32_e32 v1, 0
	ds_load_2addr_b64 v[136:139], v1 offset0:59 offset1:60
	ds_load_2addr_b64 v[140:143], v1 offset0:61 offset1:62
	;; [unrolled: 1-line block ×12, first 2 shown]
	ds_load_b64 v[188:189], v1 offset:664
	s_mov_b32 s0, exec_lo
	s_wait_loadcnt_dscnt 0xd0c
	v_mul_f32_e32 v22, v136, v3
	v_dual_mul_f32 v3, v137, v3 :: v_dual_mul_f32 v190, v138, v5
	s_wait_loadcnt_dscnt 0x908
	v_dual_mul_f32 v191, v140, v7 :: v_dual_mul_f32 v198, v154, v21
	v_mul_f32_e32 v5, v139, v5
	s_delay_alu instid0(VALU_DEP_3) | instskip(SKIP_3) | instid1(VALU_DEP_4)
	v_fma_f32 v3, v136, v2, -v3
	v_dual_mul_f32 v192, v142, v9 :: v_dual_mul_f32 v193, v144, v11
	v_fmac_f32_e32 v22, v137, v2
	v_mul_f32_e32 v2, v141, v7
	v_dual_fmac_f32 v190, v139, v4 :: v_dual_add_f32 v3, 0, v3
	s_wait_loadcnt_dscnt 0x100
	v_mul_f32_e32 v213, v188, v185
	v_fma_f32 v4, v138, v4, -v5
	v_dual_add_f32 v5, 0, v22 :: v_dual_fmac_f32 v192, v143, v8
	v_mul_f32_e32 v7, v143, v9
	v_fma_f32 v2, v140, v6, -v2
	s_delay_alu instid0(VALU_DEP_4)
	v_add_f32_e32 v3, v3, v4
	v_fmac_f32_e32 v191, v141, v6
	v_add_f32_e32 v4, v5, v190
	v_mul_f32_e32 v5, v145, v11
	v_fma_f32 v6, v142, v8, -v7
	v_add_f32_e32 v2, v3, v2
	v_dual_mul_f32 v194, v146, v13 :: v_dual_mul_f32 v195, v148, v15
	v_dual_add_f32 v3, v4, v191 :: v_dual_mul_f32 v4, v147, v13
	v_fma_f32 v5, v144, v10, -v5
	s_delay_alu instid0(VALU_DEP_4)
	v_add_f32_e32 v2, v2, v6
	v_fmac_f32_e32 v193, v145, v10
	v_mul_f32_e32 v6, v149, v15
	v_fmac_f32_e32 v194, v147, v12
	v_add_f32_e32 v3, v3, v192
	v_fma_f32 v4, v146, v12, -v4
	v_add_f32_e32 v2, v2, v5
	v_dual_mul_f32 v196, v150, v17 :: v_dual_mul_f32 v197, v152, v19
	s_delay_alu instid0(VALU_DEP_4)
	v_add_f32_e32 v3, v3, v193
	v_mul_f32_e32 v5, v151, v17
	v_fma_f32 v6, v148, v14, -v6
	v_dual_add_f32 v2, v2, v4 :: v_dual_fmac_f32 v195, v149, v14
	v_fmac_f32_e32 v196, v151, v16
	v_mul_f32_e32 v4, v153, v19
	v_fma_f32 v5, v150, v16, -v5
	s_delay_alu instid0(VALU_DEP_4) | instskip(SKIP_3) | instid1(VALU_DEP_3)
	v_add_f32_e32 v2, v2, v6
	v_add_f32_e32 v3, v3, v194
	v_dual_mul_f32 v6, v155, v21 :: v_dual_fmac_f32 v197, v153, v18
	v_fma_f32 v4, v152, v18, -v4
	v_dual_add_f32 v2, v2, v5 :: v_dual_add_f32 v3, v3, v195
	s_delay_alu instid0(VALU_DEP_3) | instskip(SKIP_1) | instid1(VALU_DEP_3)
	v_fma_f32 v6, v154, v20, -v6
	v_dual_mul_f32 v199, v156, v25 :: v_dual_mul_f32 v200, v158, v27
	v_add_f32_e32 v2, v2, v4
	s_delay_alu instid0(VALU_DEP_4) | instskip(SKIP_1) | instid1(VALU_DEP_4)
	v_add_f32_e32 v3, v3, v196
	v_dual_mul_f32 v5, v157, v25 :: v_dual_fmac_f32 v198, v155, v20
	v_dual_mul_f32 v4, v159, v27 :: v_dual_fmac_f32 v199, v157, v24
	s_delay_alu instid0(VALU_DEP_3) | instskip(NEXT) | instid1(VALU_DEP_3)
	v_dual_add_f32 v2, v2, v6 :: v_dual_add_f32 v3, v3, v197
	v_fma_f32 v5, v156, v24, -v5
	v_dual_mul_f32 v201, v160, v113 :: v_dual_mul_f32 v202, v162, v115
	s_delay_alu instid0(VALU_DEP_3) | instskip(NEXT) | instid1(VALU_DEP_2)
	v_dual_mul_f32 v6, v161, v113 :: v_dual_add_f32 v3, v3, v198
	v_dual_fmac_f32 v200, v159, v26 :: v_dual_fmac_f32 v201, v161, v112
	v_fma_f32 v4, v158, v26, -v4
	s_delay_alu instid0(VALU_DEP_3) | instskip(SKIP_3) | instid1(VALU_DEP_4)
	v_dual_add_f32 v2, v2, v5 :: v_dual_add_f32 v3, v3, v199
	v_mul_f32_e32 v5, v163, v115
	v_fma_f32 v6, v160, v112, -v6
	v_dual_mul_f32 v203, v164, v117 :: v_dual_mul_f32 v204, v166, v119
	v_add_f32_e32 v2, v2, v4
	v_dual_add_f32 v3, v3, v200 :: v_dual_mul_f32 v4, v165, v117
	s_delay_alu instid0(VALU_DEP_3) | instskip(SKIP_1) | instid1(VALU_DEP_3)
	v_dual_fmac_f32 v202, v163, v114 :: v_dual_fmac_f32 v203, v165, v116
	v_fma_f32 v5, v162, v114, -v5
	v_dual_add_f32 v2, v2, v6 :: v_dual_add_f32 v3, v3, v201
	v_mul_f32_e32 v6, v167, v119
	v_fma_f32 v4, v164, v116, -v4
	v_dual_mul_f32 v205, v168, v121 :: v_dual_mul_f32 v206, v170, v123
	s_delay_alu instid0(VALU_DEP_4) | instskip(SKIP_1) | instid1(VALU_DEP_3)
	v_dual_add_f32 v2, v2, v5 :: v_dual_add_f32 v3, v3, v202
	v_dual_mul_f32 v5, v169, v121 :: v_dual_fmac_f32 v204, v167, v118
	v_fmac_f32_e32 v205, v169, v120
	v_fma_f32 v6, v166, v118, -v6
	s_delay_alu instid0(VALU_DEP_4) | instskip(SKIP_2) | instid1(VALU_DEP_2)
	v_dual_add_f32 v2, v2, v4 :: v_dual_add_f32 v3, v3, v203
	v_dual_mul_f32 v207, v172, v125 :: v_dual_mul_f32 v208, v174, v127
	v_dual_mul_f32 v209, v176, v129 :: v_dual_mul_f32 v210, v178, v131
	v_dual_mul_f32 v4, v171, v123 :: v_dual_fmac_f32 v207, v173, v124
	v_fma_f32 v5, v168, v120, -v5
	v_dual_add_f32 v2, v2, v6 :: v_dual_add_f32 v3, v3, v204
	v_mul_f32_e32 v6, v173, v125
	v_dual_fmac_f32 v206, v171, v122 :: v_dual_fmac_f32 v209, v177, v128
	v_fma_f32 v4, v170, v122, -v4
	s_delay_alu instid0(VALU_DEP_4) | instskip(SKIP_3) | instid1(VALU_DEP_3)
	v_add_f32_e32 v3, v3, v205
	v_dual_add_f32 v2, v2, v5 :: v_dual_mul_f32 v5, v175, v127
	v_fma_f32 v6, v172, v124, -v6
	v_fmac_f32_e32 v208, v175, v126
	v_dual_add_f32 v3, v3, v206 :: v_dual_add_f32 v2, v2, v4
	v_mul_f32_e32 v4, v177, v129
	v_fma_f32 v5, v174, v126, -v5
	v_dual_mul_f32 v211, v180, v133 :: v_dual_mul_f32 v212, v182, v135
	s_delay_alu instid0(VALU_DEP_4) | instskip(NEXT) | instid1(VALU_DEP_2)
	v_dual_add_f32 v3, v3, v207 :: v_dual_add_f32 v2, v2, v6
	v_dual_mul_f32 v6, v179, v131 :: v_dual_fmac_f32 v211, v181, v132
	v_dual_fmac_f32 v210, v179, v130 :: v_dual_fmac_f32 v213, v189, v184
	s_delay_alu instid0(VALU_DEP_3)
	v_add_f32_e32 v2, v2, v5
	v_mul_f32_e32 v5, v181, v133
	v_add_f32_e32 v3, v3, v208
	v_fma_f32 v6, v178, v130, -v6
	v_fma_f32 v4, v176, v128, -v4
	v_fmac_f32_e32 v212, v183, v134
	v_fma_f32 v5, v180, v132, -v5
	v_add_f32_e32 v3, v3, v209
	s_delay_alu instid0(VALU_DEP_1) | instskip(SKIP_1) | instid1(VALU_DEP_2)
	v_dual_add_f32 v3, v3, v210 :: v_dual_add_f32 v2, v2, v4
	v_mul_f32_e32 v4, v183, v135
	v_dual_add_f32 v3, v3, v211 :: v_dual_add_f32 v2, v2, v6
	v_mul_f32_e32 v6, v189, v185
	s_delay_alu instid0(VALU_DEP_3) | instskip(NEXT) | instid1(VALU_DEP_3)
	v_fma_f32 v4, v182, v134, -v4
	v_add_f32_e32 v3, v3, v212
	s_delay_alu instid0(VALU_DEP_1) | instskip(SKIP_3) | instid1(VALU_DEP_2)
	v_add_f32_e32 v3, v3, v213
	v_add_f32_e32 v2, v2, v5
	v_fma_f32 v5, v188, v184, -v6
	s_wait_loadcnt 0x0
	v_dual_sub_f32 v3, v187, v3 :: v_dual_add_f32 v2, v2, v4
	s_delay_alu instid0(VALU_DEP_1) | instskip(NEXT) | instid1(VALU_DEP_1)
	v_add_f32_e32 v2, v2, v5
	v_sub_f32_e32 v2, v186, v2
	scratch_store_b64 off, v[2:3], off offset:128
	v_cmpx_lt_u32_e32 15, v0
	s_cbranch_execz .LBB105_235
; %bb.234:
	scratch_load_b64 v[3:4], off, off offset:120
	v_mov_b32_e32 v2, v1
	scratch_store_b64 off, v[1:2], off offset:120
	s_wait_loadcnt 0x0
	ds_store_b64 v23, v[3:4]
.LBB105_235:
	s_wait_alu 0xfffe
	s_or_b32 exec_lo, exec_lo, s0
	s_wait_storecnt_dscnt 0x0
	s_barrier_signal -1
	s_barrier_wait -1
	global_inv scope:SCOPE_SE
	s_clause 0xd
	scratch_load_b128 v[2:5], off, off offset:128
	scratch_load_b128 v[6:9], off, off offset:144
	;; [unrolled: 1-line block ×13, first 2 shown]
	scratch_load_b64 v[192:193], off, off offset:120
	ds_load_b128 v[140:143], v1 offset:464
	ds_load_b128 v[144:147], v1 offset:480
	;; [unrolled: 1-line block ×13, first 2 shown]
	s_mov_b32 s0, exec_lo
	s_wait_loadcnt_dscnt 0xd0c
	v_dual_mul_f32 v1, v140, v3 :: v_dual_mul_f32 v22, v142, v5
	s_wait_loadcnt_dscnt 0xc0b
	v_dual_mul_f32 v5, v143, v5 :: v_dual_mul_f32 v194, v144, v7
	v_mul_f32_e32 v195, v146, v9
	s_wait_loadcnt_dscnt 0xb0a
	v_dual_fmac_f32 v1, v141, v2 :: v_dual_mul_f32 v196, v148, v11
	v_mul_f32_e32 v197, v150, v13
	v_dual_mul_f32 v3, v141, v3 :: v_dual_fmac_f32 v22, v143, v4
	s_wait_loadcnt_dscnt 0xa09
	v_dual_mul_f32 v198, v152, v15 :: v_dual_mul_f32 v199, v154, v17
	s_wait_loadcnt_dscnt 0x201
	v_mul_f32_e32 v214, v184, v133
	v_fma_f32 v3, v140, v2, -v3
	s_wait_loadcnt_dscnt 0x100
	v_mul_f32_e32 v217, v190, v139
	v_mul_f32_e32 v2, v145, v7
	v_fma_f32 v4, v142, v4, -v5
	v_dual_mul_f32 v5, v147, v9 :: v_dual_fmac_f32 v196, v149, v10
	v_dual_add_f32 v3, 0, v3 :: v_dual_fmac_f32 v194, v145, v6
	s_delay_alu instid0(VALU_DEP_4) | instskip(NEXT) | instid1(VALU_DEP_3)
	v_fma_f32 v2, v144, v6, -v2
	v_fma_f32 v5, v146, v8, -v5
	s_delay_alu instid0(VALU_DEP_3) | instskip(SKIP_2) | instid1(VALU_DEP_3)
	v_dual_fmac_f32 v198, v153, v14 :: v_dual_add_f32 v3, v3, v4
	v_dual_mul_f32 v200, v156, v19 :: v_dual_mul_f32 v201, v158, v21
	v_dual_mul_f32 v202, v160, v25 :: v_dual_mul_f32 v203, v162, v27
	v_add_f32_e32 v2, v3, v2
	s_delay_alu instid0(VALU_DEP_3) | instskip(SKIP_1) | instid1(VALU_DEP_3)
	v_dual_mul_f32 v3, v151, v13 :: v_dual_fmac_f32 v200, v157, v18
	v_dual_mul_f32 v4, v149, v11 :: v_dual_fmac_f32 v199, v155, v16
	v_add_f32_e32 v2, v2, v5
	v_add_f32_e32 v1, 0, v1
	s_delay_alu instid0(VALU_DEP_4) | instskip(NEXT) | instid1(VALU_DEP_4)
	v_fma_f32 v3, v150, v12, -v3
	v_fma_f32 v4, v148, v10, -v4
	v_dual_mul_f32 v204, v164, v113 :: v_dual_mul_f32 v205, v166, v115
	s_delay_alu instid0(VALU_DEP_4) | instskip(SKIP_1) | instid1(VALU_DEP_4)
	v_dual_add_f32 v1, v1, v22 :: v_dual_mul_f32 v208, v172, v121
	v_mul_f32_e32 v209, v174, v123
	v_add_f32_e32 v2, v2, v4
	s_delay_alu instid0(VALU_DEP_3) | instskip(SKIP_2) | instid1(VALU_DEP_3)
	v_dual_mul_f32 v4, v155, v17 :: v_dual_add_f32 v1, v1, v194
	v_dual_fmac_f32 v195, v147, v8 :: v_dual_mul_f32 v206, v168, v117
	v_mul_f32_e32 v207, v170, v119
	v_fma_f32 v4, v154, v16, -v4
	v_mul_f32_e32 v5, v153, v15
	v_add_f32_e32 v2, v2, v3
	v_add_f32_e32 v1, v1, v195
	v_dual_fmac_f32 v205, v167, v114 :: v_dual_mul_f32 v210, v176, v125
	v_mul_f32_e32 v211, v178, v127
	v_fma_f32 v5, v152, v14, -v5
	v_fmac_f32_e32 v197, v151, v12
	v_dual_fmac_f32 v202, v161, v24 :: v_dual_fmac_f32 v203, v163, v26
	v_fmac_f32_e32 v206, v169, v116
	s_delay_alu instid0(VALU_DEP_4) | instskip(SKIP_2) | instid1(VALU_DEP_3)
	v_add_f32_e32 v2, v2, v5
	v_mul_f32_e32 v5, v159, v21
	v_dual_mul_f32 v212, v180, v129 :: v_dual_mul_f32 v213, v182, v131
	v_dual_fmac_f32 v211, v179, v126 :: v_dual_add_f32 v2, v2, v4
	s_delay_alu instid0(VALU_DEP_3) | instskip(SKIP_4) | instid1(VALU_DEP_4)
	v_fma_f32 v5, v158, v20, -v5
	v_mul_f32_e32 v3, v157, v19
	v_dual_mul_f32 v4, v161, v25 :: v_dual_mul_f32 v215, v186, v135
	v_mul_f32_e32 v216, v188, v137
	v_fmac_f32_e32 v204, v165, v112
	v_fma_f32 v3, v156, v18, -v3
	v_add_f32_e32 v1, v1, v196
	v_fma_f32 v4, v160, v24, -v4
	v_dual_fmac_f32 v209, v175, v122 :: v_dual_fmac_f32 v212, v181, v128
	s_delay_alu instid0(VALU_DEP_4) | instskip(SKIP_3) | instid1(VALU_DEP_4)
	v_add_f32_e32 v2, v2, v3
	v_mul_f32_e32 v3, v163, v27
	v_fmac_f32_e32 v215, v187, v134
	v_dual_fmac_f32 v217, v191, v138 :: v_dual_fmac_f32 v208, v173, v120
	v_add_f32_e32 v2, v2, v5
	v_add_f32_e32 v1, v1, v197
	v_fma_f32 v3, v162, v26, -v3
	v_fmac_f32_e32 v210, v177, v124
	v_fmac_f32_e32 v214, v185, v132
	s_delay_alu instid0(VALU_DEP_4) | instskip(SKIP_3) | instid1(VALU_DEP_4)
	v_dual_add_f32 v2, v2, v4 :: v_dual_add_f32 v1, v1, v198
	v_mul_f32_e32 v4, v167, v115
	v_fmac_f32_e32 v201, v159, v20
	v_fmac_f32_e32 v216, v189, v136
	v_dual_add_f32 v2, v2, v3 :: v_dual_mul_f32 v3, v169, v117
	s_delay_alu instid0(VALU_DEP_4) | instskip(SKIP_1) | instid1(VALU_DEP_3)
	v_fma_f32 v4, v166, v114, -v4
	v_mul_f32_e32 v5, v165, v113
	v_fma_f32 v3, v168, v116, -v3
	s_delay_alu instid0(VALU_DEP_2) | instskip(NEXT) | instid1(VALU_DEP_1)
	v_fma_f32 v5, v164, v112, -v5
	v_dual_add_f32 v1, v1, v199 :: v_dual_add_f32 v2, v2, v5
	s_delay_alu instid0(VALU_DEP_1) | instskip(NEXT) | instid1(VALU_DEP_2)
	v_dual_mul_f32 v5, v171, v119 :: v_dual_add_f32 v2, v2, v4
	v_add_f32_e32 v1, v1, v200
	v_mul_f32_e32 v4, v173, v121
	s_delay_alu instid0(VALU_DEP_3) | instskip(NEXT) | instid1(VALU_DEP_4)
	v_fma_f32 v5, v170, v118, -v5
	v_dual_add_f32 v2, v2, v3 :: v_dual_fmac_f32 v207, v171, v118
	v_mul_f32_e32 v3, v175, v123
	s_delay_alu instid0(VALU_DEP_4) | instskip(NEXT) | instid1(VALU_DEP_3)
	v_fma_f32 v4, v172, v120, -v4
	v_add_f32_e32 v2, v2, v5
	v_add_f32_e32 v1, v1, v201
	s_delay_alu instid0(VALU_DEP_4) | instskip(NEXT) | instid1(VALU_DEP_3)
	v_fma_f32 v3, v174, v122, -v3
	v_dual_add_f32 v2, v2, v4 :: v_dual_mul_f32 v5, v177, v125
	s_delay_alu instid0(VALU_DEP_3) | instskip(NEXT) | instid1(VALU_DEP_2)
	v_dual_add_f32 v1, v1, v202 :: v_dual_mul_f32 v4, v179, v127
	v_add_f32_e32 v2, v2, v3
	s_delay_alu instid0(VALU_DEP_3) | instskip(NEXT) | instid1(VALU_DEP_3)
	v_fma_f32 v5, v176, v124, -v5
	v_add_f32_e32 v1, v1, v203
	v_mul_f32_e32 v3, v181, v129
	v_fma_f32 v4, v178, v126, -v4
	s_delay_alu instid0(VALU_DEP_4) | instskip(NEXT) | instid1(VALU_DEP_3)
	v_dual_add_f32 v2, v2, v5 :: v_dual_mul_f32 v5, v183, v131
	v_fma_f32 v3, v180, v128, -v3
	s_delay_alu instid0(VALU_DEP_2) | instskip(SKIP_3) | instid1(VALU_DEP_4)
	v_add_f32_e32 v2, v2, v4
	v_add_f32_e32 v1, v1, v204
	v_mul_f32_e32 v4, v185, v133
	v_fma_f32 v5, v182, v130, -v5
	v_dual_add_f32 v2, v2, v3 :: v_dual_fmac_f32 v213, v183, v130
	v_mul_f32_e32 v3, v187, v135
	s_delay_alu instid0(VALU_DEP_4) | instskip(NEXT) | instid1(VALU_DEP_3)
	v_fma_f32 v4, v184, v132, -v4
	v_add_f32_e32 v2, v2, v5
	v_add_f32_e32 v1, v1, v205
	s_delay_alu instid0(VALU_DEP_4) | instskip(NEXT) | instid1(VALU_DEP_2)
	v_fma_f32 v3, v186, v134, -v3
	v_dual_add_f32 v2, v2, v4 :: v_dual_add_f32 v1, v1, v206
	v_dual_mul_f32 v4, v191, v139 :: v_dual_mul_f32 v5, v189, v137
	s_delay_alu instid0(VALU_DEP_2) | instskip(NEXT) | instid1(VALU_DEP_2)
	v_add_f32_e32 v2, v2, v3
	v_fma_f32 v3, v190, v138, -v4
	s_delay_alu instid0(VALU_DEP_3) | instskip(NEXT) | instid1(VALU_DEP_1)
	v_fma_f32 v5, v188, v136, -v5
	v_dual_add_f32 v1, v1, v207 :: v_dual_add_f32 v2, v2, v5
	s_delay_alu instid0(VALU_DEP_1) | instskip(NEXT) | instid1(VALU_DEP_1)
	v_dual_add_f32 v1, v1, v208 :: v_dual_add_f32 v2, v2, v3
	v_add_f32_e32 v1, v1, v209
	s_delay_alu instid0(VALU_DEP_1) | instskip(NEXT) | instid1(VALU_DEP_1)
	v_add_f32_e32 v1, v1, v210
	v_add_f32_e32 v1, v1, v211
	s_delay_alu instid0(VALU_DEP_1) | instskip(NEXT) | instid1(VALU_DEP_1)
	v_add_f32_e32 v1, v1, v212
	;; [unrolled: 3-line block ×4, first 2 shown]
	v_add_f32_e32 v3, v1, v217
	s_wait_loadcnt 0x0
	s_delay_alu instid0(VALU_DEP_1)
	v_dual_sub_f32 v1, v192, v2 :: v_dual_sub_f32 v2, v193, v3
	scratch_store_b64 off, v[1:2], off offset:120
	v_cmpx_lt_u32_e32 14, v0
	s_cbranch_execz .LBB105_237
; %bb.236:
	scratch_load_b64 v[1:2], off, off offset:112
	v_mov_b32_e32 v3, 0
	s_delay_alu instid0(VALU_DEP_1)
	v_mov_b32_e32 v4, v3
	scratch_store_b64 off, v[3:4], off offset:112
	s_wait_loadcnt 0x0
	ds_store_b64 v23, v[1:2]
.LBB105_237:
	s_wait_alu 0xfffe
	s_or_b32 exec_lo, exec_lo, s0
	s_wait_storecnt_dscnt 0x0
	s_barrier_signal -1
	s_barrier_wait -1
	global_inv scope:SCOPE_SE
	s_clause 0xe
	scratch_load_b128 v[2:5], off, off offset:120
	scratch_load_b128 v[6:9], off, off offset:136
	;; [unrolled: 1-line block ×13, first 2 shown]
	scratch_load_b64 v[192:193], off, off offset:328
	scratch_load_b64 v[194:195], off, off offset:112
	v_mov_b32_e32 v1, 0
	ds_load_2addr_b64 v[140:143], v1 offset0:57 offset1:58
	ds_load_2addr_b64 v[144:147], v1 offset0:59 offset1:60
	;; [unrolled: 1-line block ×13, first 2 shown]
	ds_load_b64 v[196:197], v1 offset:664
	s_mov_b32 s0, exec_lo
	s_wait_loadcnt_dscnt 0xe0d
	v_mul_f32_e32 v22, v140, v3
	v_dual_mul_f32 v3, v141, v3 :: v_dual_mul_f32 v198, v142, v5
	s_wait_loadcnt_dscnt 0xa09
	v_dual_mul_f32 v199, v144, v7 :: v_dual_mul_f32 v206, v158, v21
	v_mul_f32_e32 v5, v143, v5
	s_delay_alu instid0(VALU_DEP_3) | instskip(SKIP_3) | instid1(VALU_DEP_4)
	v_fma_f32 v3, v140, v2, -v3
	v_dual_mul_f32 v200, v146, v9 :: v_dual_mul_f32 v201, v148, v11
	v_fmac_f32_e32 v22, v141, v2
	v_mul_f32_e32 v2, v145, v7
	v_dual_fmac_f32 v198, v143, v4 :: v_dual_add_f32 v3, 0, v3
	s_wait_loadcnt_dscnt 0x100
	v_mul_f32_e32 v223, v196, v193
	v_fma_f32 v4, v142, v4, -v5
	v_dual_add_f32 v5, 0, v22 :: v_dual_fmac_f32 v200, v147, v8
	v_mul_f32_e32 v7, v147, v9
	v_fma_f32 v2, v144, v6, -v2
	s_delay_alu instid0(VALU_DEP_4)
	v_add_f32_e32 v3, v3, v4
	v_fmac_f32_e32 v199, v145, v6
	v_add_f32_e32 v4, v5, v198
	v_mul_f32_e32 v5, v149, v11
	v_fma_f32 v6, v146, v8, -v7
	v_add_f32_e32 v2, v3, v2
	v_dual_mul_f32 v202, v150, v13 :: v_dual_mul_f32 v203, v152, v15
	v_dual_add_f32 v3, v4, v199 :: v_dual_mul_f32 v4, v151, v13
	v_fma_f32 v5, v148, v10, -v5
	s_delay_alu instid0(VALU_DEP_4)
	v_add_f32_e32 v2, v2, v6
	v_fmac_f32_e32 v201, v149, v10
	v_mul_f32_e32 v6, v153, v15
	v_fmac_f32_e32 v202, v151, v12
	v_add_f32_e32 v3, v3, v200
	v_fma_f32 v4, v150, v12, -v4
	v_add_f32_e32 v2, v2, v5
	v_dual_mul_f32 v204, v154, v17 :: v_dual_mul_f32 v205, v156, v19
	s_delay_alu instid0(VALU_DEP_4)
	v_add_f32_e32 v3, v3, v201
	v_mul_f32_e32 v5, v155, v17
	v_fma_f32 v6, v152, v14, -v6
	v_dual_add_f32 v2, v2, v4 :: v_dual_fmac_f32 v203, v153, v14
	v_fmac_f32_e32 v204, v155, v16
	v_mul_f32_e32 v4, v157, v19
	v_fma_f32 v5, v154, v16, -v5
	s_delay_alu instid0(VALU_DEP_4) | instskip(SKIP_3) | instid1(VALU_DEP_3)
	v_add_f32_e32 v2, v2, v6
	v_add_f32_e32 v3, v3, v202
	v_dual_mul_f32 v6, v159, v21 :: v_dual_fmac_f32 v205, v157, v18
	v_fma_f32 v4, v156, v18, -v4
	v_dual_add_f32 v2, v2, v5 :: v_dual_add_f32 v3, v3, v203
	s_delay_alu instid0(VALU_DEP_3) | instskip(SKIP_1) | instid1(VALU_DEP_3)
	v_fma_f32 v6, v158, v20, -v6
	v_dual_mul_f32 v207, v160, v25 :: v_dual_mul_f32 v208, v162, v27
	v_add_f32_e32 v2, v2, v4
	s_delay_alu instid0(VALU_DEP_4) | instskip(SKIP_1) | instid1(VALU_DEP_4)
	v_add_f32_e32 v3, v3, v204
	v_dual_mul_f32 v5, v161, v25 :: v_dual_fmac_f32 v206, v159, v20
	v_dual_mul_f32 v4, v163, v27 :: v_dual_fmac_f32 v207, v161, v24
	s_delay_alu instid0(VALU_DEP_3) | instskip(NEXT) | instid1(VALU_DEP_3)
	v_dual_add_f32 v2, v2, v6 :: v_dual_add_f32 v3, v3, v205
	v_fma_f32 v5, v160, v24, -v5
	v_dual_mul_f32 v209, v164, v113 :: v_dual_mul_f32 v210, v166, v115
	s_delay_alu instid0(VALU_DEP_3) | instskip(NEXT) | instid1(VALU_DEP_2)
	v_dual_mul_f32 v6, v165, v113 :: v_dual_add_f32 v3, v3, v206
	v_dual_fmac_f32 v208, v163, v26 :: v_dual_fmac_f32 v209, v165, v112
	v_fma_f32 v4, v162, v26, -v4
	s_delay_alu instid0(VALU_DEP_3) | instskip(SKIP_3) | instid1(VALU_DEP_4)
	v_dual_add_f32 v2, v2, v5 :: v_dual_add_f32 v3, v3, v207
	v_mul_f32_e32 v5, v167, v115
	v_fma_f32 v6, v164, v112, -v6
	v_dual_mul_f32 v211, v168, v117 :: v_dual_mul_f32 v212, v170, v119
	v_add_f32_e32 v2, v2, v4
	v_dual_add_f32 v3, v3, v208 :: v_dual_mul_f32 v4, v169, v117
	s_delay_alu instid0(VALU_DEP_3) | instskip(SKIP_1) | instid1(VALU_DEP_3)
	v_dual_fmac_f32 v210, v167, v114 :: v_dual_fmac_f32 v211, v169, v116
	v_fma_f32 v5, v166, v114, -v5
	v_dual_add_f32 v2, v2, v6 :: v_dual_add_f32 v3, v3, v209
	v_mul_f32_e32 v6, v171, v119
	v_fma_f32 v4, v168, v116, -v4
	v_dual_mul_f32 v213, v172, v121 :: v_dual_mul_f32 v214, v174, v123
	s_delay_alu instid0(VALU_DEP_4) | instskip(SKIP_1) | instid1(VALU_DEP_3)
	v_dual_add_f32 v2, v2, v5 :: v_dual_add_f32 v3, v3, v210
	v_dual_mul_f32 v5, v173, v121 :: v_dual_fmac_f32 v212, v171, v118
	v_fmac_f32_e32 v213, v173, v120
	v_fma_f32 v6, v170, v118, -v6
	s_delay_alu instid0(VALU_DEP_4) | instskip(SKIP_2) | instid1(VALU_DEP_2)
	v_dual_add_f32 v2, v2, v4 :: v_dual_add_f32 v3, v3, v211
	v_dual_mul_f32 v215, v176, v125 :: v_dual_mul_f32 v216, v178, v127
	v_dual_mul_f32 v217, v180, v129 :: v_dual_mul_f32 v218, v182, v131
	v_dual_mul_f32 v4, v175, v123 :: v_dual_fmac_f32 v215, v177, v124
	v_fma_f32 v5, v172, v120, -v5
	v_dual_add_f32 v2, v2, v6 :: v_dual_add_f32 v3, v3, v212
	v_mul_f32_e32 v6, v177, v125
	v_dual_fmac_f32 v214, v175, v122 :: v_dual_fmac_f32 v217, v181, v128
	v_fma_f32 v4, v174, v122, -v4
	s_delay_alu instid0(VALU_DEP_4) | instskip(SKIP_3) | instid1(VALU_DEP_3)
	v_add_f32_e32 v3, v3, v213
	v_dual_add_f32 v2, v2, v5 :: v_dual_mul_f32 v5, v179, v127
	v_fma_f32 v6, v176, v124, -v6
	v_dual_mul_f32 v221, v188, v137 :: v_dual_mul_f32 v222, v190, v139
	v_dual_add_f32 v3, v3, v214 :: v_dual_add_f32 v2, v2, v4
	v_mul_f32_e32 v4, v181, v129
	v_fmac_f32_e32 v216, v179, v126
	v_fma_f32 v5, v178, v126, -v5
	s_delay_alu instid0(VALU_DEP_4) | instskip(SKIP_3) | instid1(VALU_DEP_4)
	v_dual_add_f32 v3, v3, v215 :: v_dual_add_f32 v2, v2, v6
	v_dual_mul_f32 v219, v184, v133 :: v_dual_mul_f32 v220, v186, v135
	v_mul_f32_e32 v6, v183, v131
	v_dual_fmac_f32 v218, v183, v130 :: v_dual_fmac_f32 v221, v189, v136
	v_add_f32_e32 v2, v2, v5
	v_mul_f32_e32 v5, v185, v133
	v_add_f32_e32 v3, v3, v216
	v_fma_f32 v4, v180, v128, -v4
	v_fmac_f32_e32 v219, v185, v132
	v_fma_f32 v6, v182, v130, -v6
	v_fma_f32 v5, v184, v132, -v5
	v_add_f32_e32 v3, v3, v217
	v_dual_fmac_f32 v220, v187, v134 :: v_dual_fmac_f32 v223, v197, v192
	v_fmac_f32_e32 v222, v191, v138
	s_delay_alu instid0(VALU_DEP_3) | instskip(SKIP_1) | instid1(VALU_DEP_2)
	v_dual_add_f32 v3, v3, v218 :: v_dual_add_f32 v2, v2, v4
	v_mul_f32_e32 v4, v187, v135
	v_dual_add_f32 v3, v3, v219 :: v_dual_add_f32 v2, v2, v6
	v_mul_f32_e32 v6, v189, v137
	s_delay_alu instid0(VALU_DEP_3) | instskip(NEXT) | instid1(VALU_DEP_3)
	v_fma_f32 v4, v186, v134, -v4
	v_dual_add_f32 v3, v3, v220 :: v_dual_add_f32 v2, v2, v5
	v_mul_f32_e32 v5, v191, v139
	s_delay_alu instid0(VALU_DEP_4) | instskip(NEXT) | instid1(VALU_DEP_3)
	v_fma_f32 v6, v188, v136, -v6
	v_dual_add_f32 v3, v3, v221 :: v_dual_add_f32 v2, v2, v4
	v_mul_f32_e32 v4, v197, v193
	s_delay_alu instid0(VALU_DEP_4) | instskip(NEXT) | instid1(VALU_DEP_3)
	v_fma_f32 v5, v190, v138, -v5
	v_add_f32_e32 v3, v3, v222
	s_delay_alu instid0(VALU_DEP_4) | instskip(NEXT) | instid1(VALU_DEP_4)
	v_add_f32_e32 v2, v2, v6
	v_fma_f32 v4, v196, v192, -v4
	s_delay_alu instid0(VALU_DEP_2) | instskip(SKIP_1) | instid1(VALU_DEP_1)
	v_dual_add_f32 v3, v3, v223 :: v_dual_add_f32 v2, v2, v5
	s_wait_loadcnt 0x0
	v_dual_sub_f32 v3, v195, v3 :: v_dual_add_f32 v2, v2, v4
	s_delay_alu instid0(VALU_DEP_1)
	v_sub_f32_e32 v2, v194, v2
	scratch_store_b64 off, v[2:3], off offset:112
	v_cmpx_lt_u32_e32 13, v0
	s_cbranch_execz .LBB105_239
; %bb.238:
	scratch_load_b64 v[3:4], off, off offset:104
	v_mov_b32_e32 v2, v1
	scratch_store_b64 off, v[1:2], off offset:104
	s_wait_loadcnt 0x0
	ds_store_b64 v23, v[3:4]
.LBB105_239:
	s_wait_alu 0xfffe
	s_or_b32 exec_lo, exec_lo, s0
	s_wait_storecnt_dscnt 0x0
	s_barrier_signal -1
	s_barrier_wait -1
	global_inv scope:SCOPE_SE
	s_clause 0xe
	scratch_load_b128 v[2:5], off, off offset:112
	scratch_load_b128 v[6:9], off, off offset:128
	;; [unrolled: 1-line block ×14, first 2 shown]
	scratch_load_b64 v[200:201], off, off offset:104
	ds_load_b128 v[144:147], v1 offset:448
	ds_load_b128 v[148:151], v1 offset:464
	;; [unrolled: 1-line block ×14, first 2 shown]
	s_mov_b32 s0, exec_lo
	s_wait_loadcnt_dscnt 0xe0d
	v_dual_mul_f32 v1, v144, v3 :: v_dual_mul_f32 v22, v146, v5
	s_wait_loadcnt_dscnt 0xd0c
	v_dual_mul_f32 v5, v147, v5 :: v_dual_mul_f32 v202, v148, v7
	v_mul_f32_e32 v203, v150, v9
	s_wait_loadcnt_dscnt 0xc0b
	v_dual_fmac_f32 v1, v145, v2 :: v_dual_mul_f32 v204, v152, v11
	v_mul_f32_e32 v205, v154, v13
	v_dual_mul_f32 v3, v145, v3 :: v_dual_fmac_f32 v22, v147, v4
	s_wait_loadcnt_dscnt 0xb0a
	v_dual_mul_f32 v206, v156, v15 :: v_dual_mul_f32 v207, v158, v17
	s_wait_loadcnt_dscnt 0x201
	v_mul_f32_e32 v224, v192, v137
	v_fma_f32 v3, v144, v2, -v3
	s_wait_loadcnt_dscnt 0x100
	v_mul_f32_e32 v227, v198, v143
	v_mul_f32_e32 v2, v149, v7
	v_fma_f32 v4, v146, v4, -v5
	v_dual_mul_f32 v5, v151, v9 :: v_dual_fmac_f32 v204, v153, v10
	v_dual_add_f32 v3, 0, v3 :: v_dual_fmac_f32 v202, v149, v6
	s_delay_alu instid0(VALU_DEP_4) | instskip(NEXT) | instid1(VALU_DEP_3)
	v_fma_f32 v2, v148, v6, -v2
	v_fma_f32 v5, v150, v8, -v5
	s_delay_alu instid0(VALU_DEP_3) | instskip(SKIP_2) | instid1(VALU_DEP_3)
	v_dual_fmac_f32 v206, v157, v14 :: v_dual_add_f32 v3, v3, v4
	v_dual_mul_f32 v208, v160, v19 :: v_dual_mul_f32 v209, v162, v21
	v_dual_mul_f32 v210, v164, v25 :: v_dual_mul_f32 v211, v166, v27
	v_add_f32_e32 v2, v3, v2
	s_delay_alu instid0(VALU_DEP_3) | instskip(SKIP_1) | instid1(VALU_DEP_3)
	v_dual_mul_f32 v3, v155, v13 :: v_dual_fmac_f32 v208, v161, v18
	v_dual_fmac_f32 v207, v159, v16 :: v_dual_mul_f32 v4, v153, v11
	v_add_f32_e32 v2, v2, v5
	v_add_f32_e32 v1, 0, v1
	s_delay_alu instid0(VALU_DEP_4) | instskip(SKIP_2) | instid1(VALU_DEP_4)
	v_fma_f32 v3, v154, v12, -v3
	v_dual_mul_f32 v212, v168, v113 :: v_dual_mul_f32 v213, v170, v115
	v_fma_f32 v4, v152, v10, -v4
	v_dual_add_f32 v1, v1, v22 :: v_dual_mul_f32 v216, v176, v121
	v_dual_mul_f32 v217, v178, v123 :: v_dual_mul_f32 v214, v172, v117
	v_mul_f32_e32 v215, v174, v119
	s_delay_alu instid0(VALU_DEP_3) | instskip(SKIP_2) | instid1(VALU_DEP_3)
	v_dual_add_f32 v2, v2, v4 :: v_dual_add_f32 v1, v1, v202
	v_mul_f32_e32 v4, v159, v17
	v_fmac_f32_e32 v203, v151, v8
	v_dual_fmac_f32 v213, v171, v114 :: v_dual_add_f32 v2, v2, v3
	v_dual_mul_f32 v218, v180, v125 :: v_dual_mul_f32 v219, v182, v127
	s_delay_alu instid0(VALU_DEP_4) | instskip(SKIP_4) | instid1(VALU_DEP_4)
	v_fma_f32 v4, v158, v16, -v4
	v_mul_f32_e32 v5, v157, v15
	v_add_f32_e32 v1, v1, v203
	v_dual_fmac_f32 v211, v167, v26 :: v_dual_fmac_f32 v214, v173, v116
	v_fmac_f32_e32 v210, v165, v24
	v_fma_f32 v5, v156, v14, -v5
	v_dual_fmac_f32 v205, v155, v12 :: v_dual_mul_f32 v222, v188, v133
	v_dual_mul_f32 v223, v190, v135 :: v_dual_mul_f32 v220, v184, v129
	v_mul_f32_e32 v221, v186, v131
	s_delay_alu instid0(VALU_DEP_4) | instskip(SKIP_3) | instid1(VALU_DEP_4)
	v_add_f32_e32 v2, v2, v5
	v_mul_f32_e32 v5, v163, v21
	v_fmac_f32_e32 v219, v183, v126
	v_dual_fmac_f32 v217, v179, v122 :: v_dual_fmac_f32 v220, v185, v128
	v_add_f32_e32 v2, v2, v4
	s_delay_alu instid0(VALU_DEP_4) | instskip(SKIP_4) | instid1(VALU_DEP_4)
	v_fma_f32 v5, v162, v20, -v5
	v_mul_f32_e32 v3, v161, v19
	v_mul_f32_e32 v4, v165, v25
	v_dual_fmac_f32 v212, v169, v112 :: v_dual_mul_f32 v225, v194, v139
	v_mul_f32_e32 v226, v196, v141
	v_fma_f32 v3, v160, v18, -v3
	v_add_f32_e32 v1, v1, v204
	v_fma_f32 v4, v164, v24, -v4
	s_delay_alu instid0(VALU_DEP_4) | instskip(NEXT) | instid1(VALU_DEP_4)
	v_dual_fmac_f32 v223, v191, v134 :: v_dual_fmac_f32 v226, v197, v140
	v_add_f32_e32 v2, v2, v3
	v_mul_f32_e32 v3, v167, v27
	v_fmac_f32_e32 v225, v195, v138
	v_dual_fmac_f32 v227, v199, v142 :: v_dual_fmac_f32 v216, v177, v120
	s_delay_alu instid0(VALU_DEP_4) | instskip(SKIP_4) | instid1(VALU_DEP_4)
	v_add_f32_e32 v2, v2, v5
	v_add_f32_e32 v1, v1, v205
	v_fma_f32 v3, v166, v26, -v3
	v_fmac_f32_e32 v218, v181, v124
	v_fmac_f32_e32 v222, v189, v132
	v_dual_add_f32 v2, v2, v4 :: v_dual_add_f32 v1, v1, v206
	v_mul_f32_e32 v4, v171, v115
	v_fmac_f32_e32 v209, v163, v20
	v_fmac_f32_e32 v224, v193, v136
	s_delay_alu instid0(VALU_DEP_4) | instskip(NEXT) | instid1(VALU_DEP_4)
	v_dual_add_f32 v2, v2, v3 :: v_dual_mul_f32 v3, v173, v117
	v_fma_f32 v4, v170, v114, -v4
	v_mul_f32_e32 v5, v169, v113
	s_delay_alu instid0(VALU_DEP_3) | instskip(NEXT) | instid1(VALU_DEP_2)
	v_fma_f32 v3, v172, v116, -v3
	v_fma_f32 v5, v168, v112, -v5
	s_delay_alu instid0(VALU_DEP_1) | instskip(NEXT) | instid1(VALU_DEP_1)
	v_dual_add_f32 v1, v1, v207 :: v_dual_add_f32 v2, v2, v5
	v_dual_mul_f32 v5, v175, v119 :: v_dual_add_f32 v2, v2, v4
	s_delay_alu instid0(VALU_DEP_2) | instskip(SKIP_1) | instid1(VALU_DEP_3)
	v_add_f32_e32 v1, v1, v208
	v_mul_f32_e32 v4, v177, v121
	v_fma_f32 v5, v174, v118, -v5
	s_delay_alu instid0(VALU_DEP_4) | instskip(SKIP_1) | instid1(VALU_DEP_4)
	v_dual_add_f32 v2, v2, v3 :: v_dual_fmac_f32 v215, v175, v118
	v_mul_f32_e32 v3, v179, v123
	v_fma_f32 v4, v176, v120, -v4
	s_delay_alu instid0(VALU_DEP_3) | instskip(SKIP_1) | instid1(VALU_DEP_4)
	v_add_f32_e32 v2, v2, v5
	v_add_f32_e32 v1, v1, v209
	v_fma_f32 v3, v178, v122, -v3
	s_delay_alu instid0(VALU_DEP_3) | instskip(NEXT) | instid1(VALU_DEP_3)
	v_dual_add_f32 v2, v2, v4 :: v_dual_mul_f32 v5, v181, v125
	v_dual_add_f32 v1, v1, v210 :: v_dual_mul_f32 v4, v183, v127
	s_delay_alu instid0(VALU_DEP_2) | instskip(NEXT) | instid1(VALU_DEP_3)
	v_add_f32_e32 v2, v2, v3
	v_fma_f32 v5, v180, v124, -v5
	s_delay_alu instid0(VALU_DEP_3) | instskip(SKIP_2) | instid1(VALU_DEP_4)
	v_add_f32_e32 v1, v1, v211
	v_mul_f32_e32 v3, v185, v129
	v_fma_f32 v4, v182, v126, -v4
	v_dual_add_f32 v2, v2, v5 :: v_dual_mul_f32 v5, v187, v131
	s_delay_alu instid0(VALU_DEP_3) | instskip(NEXT) | instid1(VALU_DEP_2)
	v_fma_f32 v3, v184, v128, -v3
	v_add_f32_e32 v2, v2, v4
	v_add_f32_e32 v1, v1, v212
	v_mul_f32_e32 v4, v189, v133
	v_fma_f32 v5, v186, v130, -v5
	s_delay_alu instid0(VALU_DEP_4) | instskip(SKIP_1) | instid1(VALU_DEP_4)
	v_dual_add_f32 v2, v2, v3 :: v_dual_fmac_f32 v221, v187, v130
	v_mul_f32_e32 v3, v191, v135
	v_fma_f32 v4, v188, v132, -v4
	s_delay_alu instid0(VALU_DEP_3) | instskip(SKIP_1) | instid1(VALU_DEP_4)
	v_add_f32_e32 v2, v2, v5
	v_add_f32_e32 v1, v1, v213
	v_fma_f32 v3, v190, v134, -v3
	s_delay_alu instid0(VALU_DEP_3) | instskip(NEXT) | instid1(VALU_DEP_3)
	v_dual_add_f32 v2, v2, v4 :: v_dual_mul_f32 v5, v193, v137
	v_dual_add_f32 v1, v1, v214 :: v_dual_mul_f32 v4, v195, v139
	s_delay_alu instid0(VALU_DEP_2) | instskip(NEXT) | instid1(VALU_DEP_3)
	v_add_f32_e32 v2, v2, v3
	v_fma_f32 v5, v192, v136, -v5
	s_delay_alu instid0(VALU_DEP_3) | instskip(SKIP_2) | instid1(VALU_DEP_4)
	v_add_f32_e32 v1, v1, v215
	v_mul_f32_e32 v3, v197, v141
	v_fma_f32 v4, v194, v138, -v4
	v_dual_add_f32 v2, v2, v5 :: v_dual_mul_f32 v5, v199, v143
	s_delay_alu instid0(VALU_DEP_3) | instskip(NEXT) | instid1(VALU_DEP_2)
	v_fma_f32 v3, v196, v140, -v3
	v_add_f32_e32 v2, v2, v4
	v_add_f32_e32 v1, v1, v216
	s_delay_alu instid0(VALU_DEP_4) | instskip(NEXT) | instid1(VALU_DEP_2)
	v_fma_f32 v4, v198, v142, -v5
	v_dual_add_f32 v2, v2, v3 :: v_dual_add_f32 v1, v1, v217
	s_delay_alu instid0(VALU_DEP_1) | instskip(NEXT) | instid1(VALU_DEP_1)
	v_dual_add_f32 v2, v2, v4 :: v_dual_add_f32 v1, v1, v218
	v_add_f32_e32 v1, v1, v219
	s_delay_alu instid0(VALU_DEP_1) | instskip(NEXT) | instid1(VALU_DEP_1)
	v_add_f32_e32 v1, v1, v220
	v_add_f32_e32 v1, v1, v221
	s_delay_alu instid0(VALU_DEP_1) | instskip(NEXT) | instid1(VALU_DEP_1)
	v_add_f32_e32 v1, v1, v222
	;; [unrolled: 3-line block ×4, first 2 shown]
	v_add_f32_e32 v3, v1, v227
	s_wait_loadcnt 0x0
	s_delay_alu instid0(VALU_DEP_1)
	v_dual_sub_f32 v1, v200, v2 :: v_dual_sub_f32 v2, v201, v3
	scratch_store_b64 off, v[1:2], off offset:104
	v_cmpx_lt_u32_e32 12, v0
	s_cbranch_execz .LBB105_241
; %bb.240:
	scratch_load_b64 v[1:2], off, off offset:96
	v_mov_b32_e32 v3, 0
	s_delay_alu instid0(VALU_DEP_1)
	v_mov_b32_e32 v4, v3
	scratch_store_b64 off, v[3:4], off offset:96
	s_wait_loadcnt 0x0
	ds_store_b64 v23, v[1:2]
.LBB105_241:
	s_wait_alu 0xfffe
	s_or_b32 exec_lo, exec_lo, s0
	s_wait_storecnt_dscnt 0x0
	s_barrier_signal -1
	s_barrier_wait -1
	global_inv scope:SCOPE_SE
	s_clause 0xf
	scratch_load_b128 v[2:5], off, off offset:104
	scratch_load_b128 v[6:9], off, off offset:120
	;; [unrolled: 1-line block ×14, first 2 shown]
	scratch_load_b64 v[200:201], off, off offset:328
	scratch_load_b64 v[202:203], off, off offset:96
	v_mov_b32_e32 v1, 0
	ds_load_2addr_b64 v[144:147], v1 offset0:55 offset1:56
	ds_load_2addr_b64 v[148:151], v1 offset0:57 offset1:58
	;; [unrolled: 1-line block ×14, first 2 shown]
	ds_load_b64 v[204:205], v1 offset:664
	s_mov_b32 s0, exec_lo
	s_wait_loadcnt_dscnt 0xf0e
	v_mul_f32_e32 v22, v144, v3
	v_dual_mul_f32 v3, v145, v3 :: v_dual_mul_f32 v206, v146, v5
	s_wait_loadcnt_dscnt 0xb0a
	v_dual_mul_f32 v207, v148, v7 :: v_dual_mul_f32 v214, v162, v21
	v_mul_f32_e32 v5, v147, v5
	s_delay_alu instid0(VALU_DEP_3)
	v_fma_f32 v3, v144, v2, -v3
	v_dual_mul_f32 v208, v150, v9 :: v_dual_mul_f32 v209, v152, v11
	v_fmac_f32_e32 v206, v147, v4
	v_fmac_f32_e32 v22, v145, v2
	v_mul_f32_e32 v2, v149, v7
	v_fma_f32 v4, v146, v4, -v5
	v_add_f32_e32 v3, 0, v3
	s_wait_loadcnt_dscnt 0x100
	v_mul_f32_e32 v233, v204, v201
	v_dual_add_f32 v5, 0, v22 :: v_dual_fmac_f32 v208, v151, v8
	v_mul_f32_e32 v7, v151, v9
	v_fma_f32 v2, v148, v6, -v2
	v_add_f32_e32 v3, v3, v4
	v_fmac_f32_e32 v207, v149, v6
	v_add_f32_e32 v4, v5, v206
	v_mul_f32_e32 v5, v153, v11
	v_fma_f32 v6, v150, v8, -v7
	v_add_f32_e32 v2, v3, v2
	v_dual_mul_f32 v210, v154, v13 :: v_dual_mul_f32 v211, v156, v15
	v_dual_add_f32 v3, v4, v207 :: v_dual_mul_f32 v4, v155, v13
	v_fma_f32 v5, v152, v10, -v5
	s_delay_alu instid0(VALU_DEP_4)
	v_add_f32_e32 v2, v2, v6
	v_fmac_f32_e32 v209, v153, v10
	v_mul_f32_e32 v6, v157, v15
	v_fmac_f32_e32 v210, v155, v12
	v_add_f32_e32 v3, v3, v208
	v_fma_f32 v4, v154, v12, -v4
	v_add_f32_e32 v2, v2, v5
	v_dual_mul_f32 v212, v158, v17 :: v_dual_mul_f32 v213, v160, v19
	s_delay_alu instid0(VALU_DEP_4)
	v_add_f32_e32 v3, v3, v209
	v_mul_f32_e32 v5, v159, v17
	v_fma_f32 v6, v156, v14, -v6
	v_dual_add_f32 v2, v2, v4 :: v_dual_fmac_f32 v211, v157, v14
	v_fmac_f32_e32 v212, v159, v16
	v_mul_f32_e32 v4, v161, v19
	v_fma_f32 v5, v158, v16, -v5
	s_delay_alu instid0(VALU_DEP_4) | instskip(SKIP_3) | instid1(VALU_DEP_3)
	v_add_f32_e32 v2, v2, v6
	v_add_f32_e32 v3, v3, v210
	v_dual_mul_f32 v6, v163, v21 :: v_dual_fmac_f32 v213, v161, v18
	v_fma_f32 v4, v160, v18, -v4
	v_dual_add_f32 v2, v2, v5 :: v_dual_add_f32 v3, v3, v211
	s_delay_alu instid0(VALU_DEP_3) | instskip(SKIP_1) | instid1(VALU_DEP_3)
	v_fma_f32 v6, v162, v20, -v6
	v_dual_mul_f32 v215, v164, v25 :: v_dual_mul_f32 v216, v166, v27
	v_add_f32_e32 v2, v2, v4
	s_delay_alu instid0(VALU_DEP_4) | instskip(SKIP_1) | instid1(VALU_DEP_4)
	v_add_f32_e32 v3, v3, v212
	v_dual_mul_f32 v5, v165, v25 :: v_dual_fmac_f32 v214, v163, v20
	v_dual_mul_f32 v4, v167, v27 :: v_dual_fmac_f32 v215, v165, v24
	s_delay_alu instid0(VALU_DEP_3) | instskip(NEXT) | instid1(VALU_DEP_3)
	v_dual_add_f32 v2, v2, v6 :: v_dual_add_f32 v3, v3, v213
	v_fma_f32 v5, v164, v24, -v5
	v_dual_mul_f32 v217, v168, v113 :: v_dual_mul_f32 v218, v170, v115
	s_delay_alu instid0(VALU_DEP_3) | instskip(NEXT) | instid1(VALU_DEP_2)
	v_dual_mul_f32 v6, v169, v113 :: v_dual_add_f32 v3, v3, v214
	v_dual_fmac_f32 v216, v167, v26 :: v_dual_fmac_f32 v217, v169, v112
	v_fma_f32 v4, v166, v26, -v4
	s_delay_alu instid0(VALU_DEP_3) | instskip(SKIP_3) | instid1(VALU_DEP_4)
	v_dual_add_f32 v2, v2, v5 :: v_dual_add_f32 v3, v3, v215
	v_mul_f32_e32 v5, v171, v115
	v_fma_f32 v6, v168, v112, -v6
	v_dual_mul_f32 v219, v172, v117 :: v_dual_mul_f32 v220, v174, v119
	v_add_f32_e32 v2, v2, v4
	v_dual_add_f32 v3, v3, v216 :: v_dual_mul_f32 v4, v173, v117
	s_delay_alu instid0(VALU_DEP_3) | instskip(SKIP_1) | instid1(VALU_DEP_3)
	v_dual_fmac_f32 v218, v171, v114 :: v_dual_fmac_f32 v219, v173, v116
	v_fma_f32 v5, v170, v114, -v5
	v_dual_add_f32 v2, v2, v6 :: v_dual_add_f32 v3, v3, v217
	v_mul_f32_e32 v6, v175, v119
	v_fma_f32 v4, v172, v116, -v4
	v_dual_mul_f32 v221, v176, v121 :: v_dual_mul_f32 v222, v178, v123
	s_delay_alu instid0(VALU_DEP_4) | instskip(SKIP_1) | instid1(VALU_DEP_3)
	v_dual_add_f32 v2, v2, v5 :: v_dual_add_f32 v3, v3, v218
	v_dual_mul_f32 v5, v177, v121 :: v_dual_fmac_f32 v220, v175, v118
	v_fmac_f32_e32 v221, v177, v120
	v_fma_f32 v6, v174, v118, -v6
	s_delay_alu instid0(VALU_DEP_4) | instskip(SKIP_2) | instid1(VALU_DEP_2)
	v_dual_add_f32 v2, v2, v4 :: v_dual_add_f32 v3, v3, v219
	v_dual_mul_f32 v223, v180, v125 :: v_dual_mul_f32 v224, v182, v127
	v_dual_mul_f32 v225, v184, v129 :: v_dual_mul_f32 v226, v186, v131
	v_dual_mul_f32 v4, v179, v123 :: v_dual_fmac_f32 v223, v181, v124
	v_fma_f32 v5, v176, v120, -v5
	v_dual_add_f32 v2, v2, v6 :: v_dual_add_f32 v3, v3, v220
	v_mul_f32_e32 v6, v181, v125
	v_dual_fmac_f32 v222, v179, v122 :: v_dual_fmac_f32 v225, v185, v128
	v_fma_f32 v4, v178, v122, -v4
	s_delay_alu instid0(VALU_DEP_4) | instskip(SKIP_3) | instid1(VALU_DEP_3)
	v_add_f32_e32 v3, v3, v221
	v_dual_add_f32 v2, v2, v5 :: v_dual_mul_f32 v5, v183, v127
	v_fma_f32 v6, v180, v124, -v6
	v_dual_mul_f32 v229, v192, v137 :: v_dual_mul_f32 v230, v194, v139
	v_dual_add_f32 v3, v3, v222 :: v_dual_add_f32 v2, v2, v4
	v_mul_f32_e32 v4, v185, v129
	v_fmac_f32_e32 v224, v183, v126
	v_fma_f32 v5, v182, v126, -v5
	s_delay_alu instid0(VALU_DEP_4) | instskip(SKIP_3) | instid1(VALU_DEP_4)
	v_dual_add_f32 v3, v3, v223 :: v_dual_add_f32 v2, v2, v6
	v_dual_mul_f32 v227, v188, v133 :: v_dual_mul_f32 v228, v190, v135
	v_mul_f32_e32 v6, v187, v131
	v_dual_fmac_f32 v226, v187, v130 :: v_dual_fmac_f32 v229, v193, v136
	v_add_f32_e32 v2, v2, v5
	v_mul_f32_e32 v5, v189, v133
	v_add_f32_e32 v3, v3, v224
	v_fma_f32 v4, v184, v128, -v4
	v_fmac_f32_e32 v227, v189, v132
	v_fma_f32 v6, v186, v130, -v6
	v_dual_mul_f32 v231, v196, v141 :: v_dual_mul_f32 v232, v198, v143
	v_add_f32_e32 v3, v3, v225
	v_fma_f32 v5, v188, v132, -v5
	s_delay_alu instid0(VALU_DEP_3) | instskip(NEXT) | instid1(VALU_DEP_4)
	v_dual_fmac_f32 v228, v191, v134 :: v_dual_fmac_f32 v231, v197, v140
	v_fmac_f32_e32 v232, v199, v142
	s_delay_alu instid0(VALU_DEP_4) | instskip(SKIP_2) | instid1(VALU_DEP_3)
	v_dual_add_f32 v3, v3, v226 :: v_dual_add_f32 v2, v2, v4
	v_mul_f32_e32 v4, v191, v135
	v_dual_fmac_f32 v230, v195, v138 :: v_dual_fmac_f32 v233, v205, v200
	v_dual_add_f32 v3, v3, v227 :: v_dual_add_f32 v2, v2, v6
	v_mul_f32_e32 v6, v193, v137
	s_delay_alu instid0(VALU_DEP_4) | instskip(NEXT) | instid1(VALU_DEP_3)
	v_fma_f32 v4, v190, v134, -v4
	v_dual_add_f32 v2, v2, v5 :: v_dual_mul_f32 v5, v195, v139
	s_delay_alu instid0(VALU_DEP_3) | instskip(NEXT) | instid1(VALU_DEP_2)
	v_fma_f32 v6, v192, v136, -v6
	v_add_f32_e32 v2, v2, v4
	s_delay_alu instid0(VALU_DEP_3) | instskip(NEXT) | instid1(VALU_DEP_2)
	v_fma_f32 v5, v194, v138, -v5
	v_add_f32_e32 v2, v2, v6
	v_mul_f32_e32 v6, v199, v143
	s_delay_alu instid0(VALU_DEP_2) | instskip(SKIP_2) | instid1(VALU_DEP_4)
	v_add_f32_e32 v2, v2, v5
	v_mul_f32_e32 v5, v205, v201
	v_add_f32_e32 v3, v3, v228
	v_fma_f32 v6, v198, v142, -v6
	s_delay_alu instid0(VALU_DEP_2) | instskip(NEXT) | instid1(VALU_DEP_1)
	v_add_f32_e32 v3, v3, v229
	v_dual_mul_f32 v4, v197, v141 :: v_dual_add_f32 v3, v3, v230
	s_delay_alu instid0(VALU_DEP_1) | instskip(NEXT) | instid1(VALU_DEP_2)
	v_fma_f32 v4, v196, v140, -v4
	v_add_f32_e32 v3, v3, v231
	s_delay_alu instid0(VALU_DEP_1) | instskip(NEXT) | instid1(VALU_DEP_3)
	v_add_f32_e32 v3, v3, v232
	v_add_f32_e32 v2, v2, v4
	v_fma_f32 v4, v204, v200, -v5
	s_delay_alu instid0(VALU_DEP_2) | instskip(SKIP_1) | instid1(VALU_DEP_1)
	v_dual_add_f32 v3, v3, v233 :: v_dual_add_f32 v2, v2, v6
	s_wait_loadcnt 0x0
	v_dual_sub_f32 v3, v203, v3 :: v_dual_add_f32 v2, v2, v4
	s_delay_alu instid0(VALU_DEP_1)
	v_sub_f32_e32 v2, v202, v2
	scratch_store_b64 off, v[2:3], off offset:96
	v_cmpx_lt_u32_e32 11, v0
	s_cbranch_execz .LBB105_243
; %bb.242:
	scratch_load_b64 v[3:4], off, off offset:88
	v_mov_b32_e32 v2, v1
	scratch_store_b64 off, v[1:2], off offset:88
	s_wait_loadcnt 0x0
	ds_store_b64 v23, v[3:4]
.LBB105_243:
	s_wait_alu 0xfffe
	s_or_b32 exec_lo, exec_lo, s0
	s_wait_storecnt_dscnt 0x0
	s_barrier_signal -1
	s_barrier_wait -1
	global_inv scope:SCOPE_SE
	s_clause 0xf
	scratch_load_b128 v[2:5], off, off offset:96
	scratch_load_b128 v[6:9], off, off offset:112
	;; [unrolled: 1-line block ×15, first 2 shown]
	scratch_load_b64 v[208:209], off, off offset:88
	ds_load_b128 v[148:151], v1 offset:432
	ds_load_b128 v[152:155], v1 offset:448
	;; [unrolled: 1-line block ×15, first 2 shown]
	s_mov_b32 s0, exec_lo
	s_wait_loadcnt_dscnt 0xf0e
	v_dual_mul_f32 v1, v148, v3 :: v_dual_mul_f32 v22, v150, v5
	s_wait_loadcnt_dscnt 0xe0d
	v_dual_mul_f32 v5, v151, v5 :: v_dual_mul_f32 v210, v152, v7
	v_mul_f32_e32 v211, v154, v9
	s_wait_loadcnt_dscnt 0xd0c
	v_dual_fmac_f32 v1, v149, v2 :: v_dual_mul_f32 v212, v156, v11
	s_wait_loadcnt_dscnt 0xc0b
	v_dual_mul_f32 v213, v158, v13 :: v_dual_mul_f32 v214, v160, v15
	v_mul_f32_e32 v215, v162, v17
	v_dual_mul_f32 v3, v149, v3 :: v_dual_fmac_f32 v22, v151, v4
	s_wait_loadcnt_dscnt 0xb0a
	v_dual_mul_f32 v216, v164, v19 :: v_dual_mul_f32 v217, v166, v21
	s_wait_loadcnt_dscnt 0x201
	v_mul_f32_e32 v234, v200, v141
	v_fma_f32 v3, v148, v2, -v3
	s_wait_loadcnt_dscnt 0x100
	v_mul_f32_e32 v237, v206, v147
	v_mul_f32_e32 v2, v153, v7
	v_fma_f32 v4, v150, v4, -v5
	v_dual_mul_f32 v5, v155, v9 :: v_dual_fmac_f32 v212, v157, v10
	v_dual_add_f32 v3, 0, v3 :: v_dual_fmac_f32 v210, v153, v6
	s_delay_alu instid0(VALU_DEP_4) | instskip(NEXT) | instid1(VALU_DEP_3)
	v_fma_f32 v2, v152, v6, -v2
	v_fma_f32 v5, v154, v8, -v5
	s_delay_alu instid0(VALU_DEP_3) | instskip(SKIP_2) | instid1(VALU_DEP_3)
	v_dual_fmac_f32 v214, v161, v14 :: v_dual_add_f32 v3, v3, v4
	v_dual_mul_f32 v218, v168, v25 :: v_dual_mul_f32 v219, v170, v27
	v_dual_fmac_f32 v216, v165, v18 :: v_dual_fmac_f32 v215, v163, v16
	v_add_f32_e32 v2, v3, v2
	v_mul_f32_e32 v3, v159, v13
	v_dual_mul_f32 v220, v172, v113 :: v_dual_mul_f32 v221, v174, v115
	v_mul_f32_e32 v4, v157, v11
	s_delay_alu instid0(VALU_DEP_4) | instskip(SKIP_4) | instid1(VALU_DEP_4)
	v_add_f32_e32 v2, v2, v5
	v_add_f32_e32 v1, 0, v1
	v_fma_f32 v3, v158, v12, -v3
	v_dual_mul_f32 v224, v180, v121 :: v_dual_mul_f32 v225, v182, v123
	v_fma_f32 v4, v156, v10, -v4
	v_dual_add_f32 v1, v1, v22 :: v_dual_mul_f32 v222, v176, v117
	v_mul_f32_e32 v223, v178, v119
	s_delay_alu instid0(VALU_DEP_3) | instskip(NEXT) | instid1(VALU_DEP_3)
	v_dual_fmac_f32 v221, v175, v114 :: v_dual_add_f32 v2, v2, v4
	v_dual_add_f32 v1, v1, v210 :: v_dual_mul_f32 v4, v163, v17
	v_dual_fmac_f32 v211, v155, v8 :: v_dual_mul_f32 v226, v184, v125
	v_mul_f32_e32 v227, v186, v127
	s_delay_alu instid0(VALU_DEP_4) | instskip(NEXT) | instid1(VALU_DEP_4)
	v_add_f32_e32 v2, v2, v3
	v_fma_f32 v4, v162, v16, -v4
	v_mul_f32_e32 v5, v161, v15
	v_add_f32_e32 v1, v1, v211
	v_dual_fmac_f32 v219, v171, v26 :: v_dual_fmac_f32 v222, v177, v116
	v_dual_mul_f32 v230, v192, v133 :: v_dual_mul_f32 v231, v194, v135
	s_delay_alu instid0(VALU_DEP_4) | instskip(SKIP_3) | instid1(VALU_DEP_4)
	v_fma_f32 v5, v160, v14, -v5
	v_fmac_f32_e32 v213, v159, v12
	v_fmac_f32_e32 v218, v169, v24
	v_dual_mul_f32 v228, v188, v129 :: v_dual_mul_f32 v229, v190, v131
	v_add_f32_e32 v2, v2, v5
	v_mul_f32_e32 v5, v167, v21
	v_dual_fmac_f32 v227, v187, v126 :: v_dual_mul_f32 v232, v196, v137
	v_mul_f32_e32 v233, v198, v139
	s_delay_alu instid0(VALU_DEP_4) | instskip(NEXT) | instid1(VALU_DEP_4)
	v_add_f32_e32 v2, v2, v4
	v_fma_f32 v5, v166, v20, -v5
	v_mul_f32_e32 v3, v165, v19
	v_mul_f32_e32 v4, v169, v25
	v_dual_fmac_f32 v220, v173, v112 :: v_dual_mul_f32 v235, v202, v143
	v_mul_f32_e32 v236, v204, v145
	s_delay_alu instid0(VALU_DEP_4) | instskip(SKIP_3) | instid1(VALU_DEP_4)
	v_fma_f32 v3, v164, v18, -v3
	v_add_f32_e32 v1, v1, v212
	v_fma_f32 v4, v168, v24, -v4
	v_dual_fmac_f32 v225, v183, v122 :: v_dual_fmac_f32 v228, v189, v128
	v_add_f32_e32 v2, v2, v3
	v_mul_f32_e32 v3, v171, v27
	v_fmac_f32_e32 v233, v199, v138
	v_dual_fmac_f32 v231, v195, v134 :: v_dual_fmac_f32 v234, v201, v140
	s_delay_alu instid0(VALU_DEP_4) | instskip(SKIP_3) | instid1(VALU_DEP_3)
	v_add_f32_e32 v2, v2, v5
	v_add_f32_e32 v1, v1, v213
	v_fma_f32 v3, v170, v26, -v3
	v_dual_fmac_f32 v237, v207, v146 :: v_dual_fmac_f32 v224, v181, v120
	v_dual_add_f32 v2, v2, v4 :: v_dual_add_f32 v1, v1, v214
	v_mul_f32_e32 v4, v175, v115
	v_fmac_f32_e32 v217, v167, v20
	v_fmac_f32_e32 v226, v185, v124
	s_delay_alu instid0(VALU_DEP_4) | instskip(NEXT) | instid1(VALU_DEP_4)
	v_dual_add_f32 v2, v2, v3 :: v_dual_mul_f32 v3, v177, v117
	v_fma_f32 v4, v174, v114, -v4
	v_mul_f32_e32 v5, v173, v113
	v_fmac_f32_e32 v230, v193, v132
	v_fmac_f32_e32 v232, v197, v136
	v_fma_f32 v3, v176, v116, -v3
	v_fmac_f32_e32 v236, v205, v144
	v_fma_f32 v5, v172, v112, -v5
	s_delay_alu instid0(VALU_DEP_1) | instskip(NEXT) | instid1(VALU_DEP_1)
	v_dual_add_f32 v1, v1, v215 :: v_dual_add_f32 v2, v2, v5
	v_dual_mul_f32 v5, v179, v119 :: v_dual_add_f32 v2, v2, v4
	s_delay_alu instid0(VALU_DEP_2) | instskip(SKIP_1) | instid1(VALU_DEP_3)
	v_add_f32_e32 v1, v1, v216
	v_mul_f32_e32 v4, v181, v121
	v_fma_f32 v5, v178, v118, -v5
	s_delay_alu instid0(VALU_DEP_4) | instskip(SKIP_1) | instid1(VALU_DEP_4)
	v_dual_add_f32 v2, v2, v3 :: v_dual_fmac_f32 v223, v179, v118
	v_mul_f32_e32 v3, v183, v123
	v_fma_f32 v4, v180, v120, -v4
	s_delay_alu instid0(VALU_DEP_3) | instskip(SKIP_1) | instid1(VALU_DEP_4)
	v_add_f32_e32 v2, v2, v5
	v_add_f32_e32 v1, v1, v217
	v_fma_f32 v3, v182, v122, -v3
	s_delay_alu instid0(VALU_DEP_3) | instskip(NEXT) | instid1(VALU_DEP_3)
	v_dual_add_f32 v2, v2, v4 :: v_dual_mul_f32 v5, v185, v125
	v_dual_add_f32 v1, v1, v218 :: v_dual_mul_f32 v4, v187, v127
	s_delay_alu instid0(VALU_DEP_2) | instskip(NEXT) | instid1(VALU_DEP_3)
	v_add_f32_e32 v2, v2, v3
	v_fma_f32 v5, v184, v124, -v5
	s_delay_alu instid0(VALU_DEP_3) | instskip(SKIP_2) | instid1(VALU_DEP_4)
	v_add_f32_e32 v1, v1, v219
	v_mul_f32_e32 v3, v189, v129
	v_fma_f32 v4, v186, v126, -v4
	v_dual_add_f32 v2, v2, v5 :: v_dual_mul_f32 v5, v191, v131
	s_delay_alu instid0(VALU_DEP_3) | instskip(NEXT) | instid1(VALU_DEP_2)
	v_fma_f32 v3, v188, v128, -v3
	v_add_f32_e32 v2, v2, v4
	v_add_f32_e32 v1, v1, v220
	v_mul_f32_e32 v4, v193, v133
	v_fma_f32 v5, v190, v130, -v5
	s_delay_alu instid0(VALU_DEP_4) | instskip(SKIP_1) | instid1(VALU_DEP_4)
	v_dual_add_f32 v2, v2, v3 :: v_dual_fmac_f32 v229, v191, v130
	v_mul_f32_e32 v3, v195, v135
	v_fma_f32 v4, v192, v132, -v4
	s_delay_alu instid0(VALU_DEP_3) | instskip(SKIP_1) | instid1(VALU_DEP_4)
	v_add_f32_e32 v2, v2, v5
	v_add_f32_e32 v1, v1, v221
	v_fma_f32 v3, v194, v134, -v3
	s_delay_alu instid0(VALU_DEP_3) | instskip(NEXT) | instid1(VALU_DEP_3)
	v_dual_add_f32 v2, v2, v4 :: v_dual_mul_f32 v5, v197, v137
	v_dual_add_f32 v1, v1, v222 :: v_dual_mul_f32 v4, v199, v139
	s_delay_alu instid0(VALU_DEP_2) | instskip(NEXT) | instid1(VALU_DEP_3)
	v_add_f32_e32 v2, v2, v3
	v_fma_f32 v5, v196, v136, -v5
	s_delay_alu instid0(VALU_DEP_3) | instskip(SKIP_2) | instid1(VALU_DEP_4)
	v_add_f32_e32 v1, v1, v223
	v_mul_f32_e32 v3, v201, v141
	v_fma_f32 v4, v198, v138, -v4
	v_dual_add_f32 v2, v2, v5 :: v_dual_mul_f32 v5, v203, v143
	s_delay_alu instid0(VALU_DEP_3) | instskip(NEXT) | instid1(VALU_DEP_2)
	v_fma_f32 v3, v200, v140, -v3
	v_add_f32_e32 v2, v2, v4
	v_add_f32_e32 v1, v1, v224
	v_mul_f32_e32 v4, v205, v145
	v_fma_f32 v5, v202, v142, -v5
	s_delay_alu instid0(VALU_DEP_4) | instskip(SKIP_1) | instid1(VALU_DEP_4)
	v_dual_add_f32 v2, v2, v3 :: v_dual_fmac_f32 v235, v203, v142
	v_mul_f32_e32 v3, v207, v147
	v_fma_f32 v4, v204, v144, -v4
	s_delay_alu instid0(VALU_DEP_3) | instskip(SKIP_1) | instid1(VALU_DEP_4)
	v_add_f32_e32 v2, v2, v5
	v_add_f32_e32 v1, v1, v225
	v_fma_f32 v3, v206, v146, -v3
	s_delay_alu instid0(VALU_DEP_2) | instskip(NEXT) | instid1(VALU_DEP_1)
	v_dual_add_f32 v2, v2, v4 :: v_dual_add_f32 v1, v1, v226
	v_add_f32_e32 v2, v2, v3
	s_delay_alu instid0(VALU_DEP_2) | instskip(NEXT) | instid1(VALU_DEP_1)
	v_add_f32_e32 v1, v1, v227
	v_add_f32_e32 v1, v1, v228
	s_delay_alu instid0(VALU_DEP_1) | instskip(NEXT) | instid1(VALU_DEP_1)
	v_add_f32_e32 v1, v1, v229
	v_add_f32_e32 v1, v1, v230
	s_delay_alu instid0(VALU_DEP_1) | instskip(NEXT) | instid1(VALU_DEP_1)
	;; [unrolled: 3-line block ×4, first 2 shown]
	v_add_f32_e32 v1, v1, v235
	v_add_f32_e32 v1, v1, v236
	s_delay_alu instid0(VALU_DEP_1) | instskip(SKIP_1) | instid1(VALU_DEP_1)
	v_add_f32_e32 v3, v1, v237
	s_wait_loadcnt 0x0
	v_dual_sub_f32 v1, v208, v2 :: v_dual_sub_f32 v2, v209, v3
	scratch_store_b64 off, v[1:2], off offset:88
	v_cmpx_lt_u32_e32 10, v0
	s_cbranch_execz .LBB105_245
; %bb.244:
	scratch_load_b64 v[1:2], off, off offset:80
	v_mov_b32_e32 v3, 0
	s_delay_alu instid0(VALU_DEP_1)
	v_mov_b32_e32 v4, v3
	scratch_store_b64 off, v[3:4], off offset:80
	s_wait_loadcnt 0x0
	ds_store_b64 v23, v[1:2]
.LBB105_245:
	s_wait_alu 0xfffe
	s_or_b32 exec_lo, exec_lo, s0
	s_wait_storecnt_dscnt 0x0
	s_barrier_signal -1
	s_barrier_wait -1
	global_inv scope:SCOPE_SE
	s_clause 0x10
	scratch_load_b128 v[2:5], off, off offset:88
	scratch_load_b128 v[6:9], off, off offset:104
	;; [unrolled: 1-line block ×15, first 2 shown]
	scratch_load_b64 v[208:209], off, off offset:328
	scratch_load_b64 v[210:211], off, off offset:80
	v_mov_b32_e32 v1, 0
	ds_load_2addr_b64 v[148:151], v1 offset0:53 offset1:54
	ds_load_2addr_b64 v[152:155], v1 offset0:55 offset1:56
	;; [unrolled: 1-line block ×15, first 2 shown]
	ds_load_b64 v[212:213], v1 offset:664
	s_mov_b32 s0, exec_lo
	s_wait_loadcnt_dscnt 0x100f
	v_mul_f32_e32 v22, v148, v3
	v_dual_mul_f32 v3, v149, v3 :: v_dual_mul_f32 v214, v150, v5
	s_wait_loadcnt_dscnt 0xc0b
	v_dual_mul_f32 v215, v152, v7 :: v_dual_mul_f32 v222, v166, v21
	v_mul_f32_e32 v5, v151, v5
	s_delay_alu instid0(VALU_DEP_3) | instskip(SKIP_1) | instid1(VALU_DEP_4)
	v_fma_f32 v3, v148, v2, -v3
	v_dual_mul_f32 v216, v154, v9 :: v_dual_mul_f32 v217, v156, v11
	v_dual_fmac_f32 v214, v151, v4 :: v_dual_fmac_f32 v215, v153, v6
	v_fmac_f32_e32 v22, v149, v2
	v_mul_f32_e32 v2, v153, v7
	v_fma_f32 v4, v150, v4, -v5
	v_add_f32_e32 v3, 0, v3
	s_wait_loadcnt_dscnt 0x100
	v_mul_f32_e32 v243, v212, v209
	v_dual_add_f32 v5, 0, v22 :: v_dual_fmac_f32 v216, v155, v8
	v_mul_f32_e32 v7, v155, v9
	v_fma_f32 v2, v152, v6, -v2
	s_delay_alu instid0(VALU_DEP_3) | instskip(SKIP_1) | instid1(VALU_DEP_4)
	v_dual_add_f32 v3, v3, v4 :: v_dual_add_f32 v4, v5, v214
	v_mul_f32_e32 v5, v157, v11
	v_fma_f32 v6, v154, v8, -v7
	v_dual_mul_f32 v218, v158, v13 :: v_dual_mul_f32 v219, v160, v15
	s_delay_alu instid0(VALU_DEP_4) | instskip(SKIP_2) | instid1(VALU_DEP_4)
	v_dual_add_f32 v2, v3, v2 :: v_dual_add_f32 v3, v4, v215
	v_mul_f32_e32 v4, v159, v13
	v_fma_f32 v5, v156, v10, -v5
	v_fmac_f32_e32 v218, v159, v12
	s_delay_alu instid0(VALU_DEP_4) | instskip(SKIP_3) | instid1(VALU_DEP_4)
	v_add_f32_e32 v2, v2, v6
	v_fmac_f32_e32 v217, v157, v10
	v_dual_add_f32 v3, v3, v216 :: v_dual_mul_f32 v6, v161, v15
	v_fma_f32 v4, v158, v12, -v4
	v_add_f32_e32 v2, v2, v5
	v_dual_mul_f32 v220, v162, v17 :: v_dual_mul_f32 v221, v164, v19
	s_delay_alu instid0(VALU_DEP_4)
	v_add_f32_e32 v3, v3, v217
	v_mul_f32_e32 v5, v163, v17
	v_fma_f32 v6, v160, v14, -v6
	v_dual_add_f32 v2, v2, v4 :: v_dual_fmac_f32 v219, v161, v14
	v_fmac_f32_e32 v220, v163, v16
	v_mul_f32_e32 v4, v165, v19
	v_fma_f32 v5, v162, v16, -v5
	s_delay_alu instid0(VALU_DEP_4) | instskip(SKIP_3) | instid1(VALU_DEP_3)
	v_add_f32_e32 v2, v2, v6
	v_add_f32_e32 v3, v3, v218
	v_dual_mul_f32 v6, v167, v21 :: v_dual_fmac_f32 v221, v165, v18
	v_fma_f32 v4, v164, v18, -v4
	v_dual_add_f32 v2, v2, v5 :: v_dual_add_f32 v3, v3, v219
	s_delay_alu instid0(VALU_DEP_3) | instskip(SKIP_1) | instid1(VALU_DEP_3)
	v_fma_f32 v6, v166, v20, -v6
	v_dual_mul_f32 v223, v168, v25 :: v_dual_mul_f32 v224, v170, v27
	v_add_f32_e32 v2, v2, v4
	s_delay_alu instid0(VALU_DEP_4) | instskip(SKIP_1) | instid1(VALU_DEP_4)
	v_add_f32_e32 v3, v3, v220
	v_dual_mul_f32 v5, v169, v25 :: v_dual_fmac_f32 v222, v167, v20
	v_dual_mul_f32 v4, v171, v27 :: v_dual_fmac_f32 v223, v169, v24
	s_delay_alu instid0(VALU_DEP_3) | instskip(NEXT) | instid1(VALU_DEP_3)
	v_dual_add_f32 v2, v2, v6 :: v_dual_add_f32 v3, v3, v221
	v_fma_f32 v5, v168, v24, -v5
	v_dual_mul_f32 v225, v172, v113 :: v_dual_mul_f32 v226, v174, v115
	s_delay_alu instid0(VALU_DEP_3) | instskip(NEXT) | instid1(VALU_DEP_2)
	v_dual_mul_f32 v6, v173, v113 :: v_dual_add_f32 v3, v3, v222
	v_dual_fmac_f32 v224, v171, v26 :: v_dual_fmac_f32 v225, v173, v112
	v_fma_f32 v4, v170, v26, -v4
	s_delay_alu instid0(VALU_DEP_3) | instskip(SKIP_3) | instid1(VALU_DEP_4)
	v_dual_add_f32 v2, v2, v5 :: v_dual_add_f32 v3, v3, v223
	v_mul_f32_e32 v5, v175, v115
	v_fma_f32 v6, v172, v112, -v6
	v_dual_mul_f32 v227, v176, v117 :: v_dual_mul_f32 v228, v178, v119
	v_add_f32_e32 v2, v2, v4
	v_dual_add_f32 v3, v3, v224 :: v_dual_mul_f32 v4, v177, v117
	s_delay_alu instid0(VALU_DEP_3) | instskip(SKIP_1) | instid1(VALU_DEP_3)
	v_dual_fmac_f32 v226, v175, v114 :: v_dual_fmac_f32 v227, v177, v116
	v_fma_f32 v5, v174, v114, -v5
	v_dual_add_f32 v2, v2, v6 :: v_dual_add_f32 v3, v3, v225
	v_mul_f32_e32 v6, v179, v119
	v_fma_f32 v4, v176, v116, -v4
	v_dual_mul_f32 v229, v180, v121 :: v_dual_mul_f32 v230, v182, v123
	s_delay_alu instid0(VALU_DEP_4) | instskip(SKIP_1) | instid1(VALU_DEP_3)
	v_dual_add_f32 v2, v2, v5 :: v_dual_add_f32 v3, v3, v226
	v_dual_mul_f32 v5, v181, v121 :: v_dual_fmac_f32 v228, v179, v118
	v_fmac_f32_e32 v229, v181, v120
	v_fma_f32 v6, v178, v118, -v6
	s_delay_alu instid0(VALU_DEP_4) | instskip(SKIP_2) | instid1(VALU_DEP_2)
	v_dual_add_f32 v2, v2, v4 :: v_dual_add_f32 v3, v3, v227
	v_dual_mul_f32 v231, v184, v125 :: v_dual_mul_f32 v232, v186, v127
	v_dual_mul_f32 v233, v188, v129 :: v_dual_mul_f32 v234, v190, v131
	v_dual_mul_f32 v4, v183, v123 :: v_dual_fmac_f32 v231, v185, v124
	v_fma_f32 v5, v180, v120, -v5
	v_dual_add_f32 v2, v2, v6 :: v_dual_add_f32 v3, v3, v228
	v_mul_f32_e32 v6, v185, v125
	v_dual_fmac_f32 v230, v183, v122 :: v_dual_fmac_f32 v233, v189, v128
	v_fma_f32 v4, v182, v122, -v4
	s_delay_alu instid0(VALU_DEP_4) | instskip(SKIP_3) | instid1(VALU_DEP_3)
	v_add_f32_e32 v3, v3, v229
	v_dual_add_f32 v2, v2, v5 :: v_dual_mul_f32 v5, v187, v127
	v_fma_f32 v6, v184, v124, -v6
	v_dual_mul_f32 v237, v196, v137 :: v_dual_mul_f32 v238, v198, v139
	v_dual_add_f32 v3, v3, v230 :: v_dual_add_f32 v2, v2, v4
	v_mul_f32_e32 v4, v189, v129
	v_fmac_f32_e32 v232, v187, v126
	v_fma_f32 v5, v186, v126, -v5
	s_delay_alu instid0(VALU_DEP_4) | instskip(SKIP_3) | instid1(VALU_DEP_4)
	v_dual_add_f32 v3, v3, v231 :: v_dual_add_f32 v2, v2, v6
	v_dual_mul_f32 v235, v192, v133 :: v_dual_mul_f32 v236, v194, v135
	v_mul_f32_e32 v6, v191, v131
	v_dual_fmac_f32 v234, v191, v130 :: v_dual_fmac_f32 v237, v197, v136
	v_add_f32_e32 v2, v2, v5
	v_mul_f32_e32 v5, v193, v133
	v_add_f32_e32 v3, v3, v232
	v_fma_f32 v4, v188, v128, -v4
	v_fmac_f32_e32 v235, v193, v132
	v_fma_f32 v6, v190, v130, -v6
	v_dual_mul_f32 v239, v200, v141 :: v_dual_mul_f32 v240, v202, v143
	v_add_f32_e32 v3, v3, v233
	v_fma_f32 v5, v192, v132, -v5
	s_delay_alu instid0(VALU_DEP_3) | instskip(NEXT) | instid1(VALU_DEP_4)
	v_dual_fmac_f32 v236, v195, v134 :: v_dual_fmac_f32 v239, v201, v140
	v_fmac_f32_e32 v240, v203, v142
	s_delay_alu instid0(VALU_DEP_4) | instskip(SKIP_2) | instid1(VALU_DEP_3)
	v_dual_add_f32 v3, v3, v234 :: v_dual_add_f32 v2, v2, v4
	v_dual_mul_f32 v4, v195, v135 :: v_dual_mul_f32 v241, v204, v145
	v_mul_f32_e32 v242, v206, v147
	v_dual_add_f32 v3, v3, v235 :: v_dual_add_f32 v2, v2, v6
	v_mul_f32_e32 v6, v197, v137
	s_delay_alu instid0(VALU_DEP_4) | instskip(SKIP_1) | instid1(VALU_DEP_4)
	v_fma_f32 v4, v194, v134, -v4
	v_dual_fmac_f32 v238, v199, v138 :: v_dual_fmac_f32 v241, v205, v144
	v_dual_add_f32 v2, v2, v5 :: v_dual_mul_f32 v5, v199, v139
	s_delay_alu instid0(VALU_DEP_4) | instskip(SKIP_1) | instid1(VALU_DEP_3)
	v_fma_f32 v6, v196, v136, -v6
	v_dual_fmac_f32 v242, v207, v146 :: v_dual_fmac_f32 v243, v213, v208
	v_add_f32_e32 v2, v2, v4
	s_delay_alu instid0(VALU_DEP_4) | instskip(NEXT) | instid1(VALU_DEP_2)
	v_fma_f32 v5, v198, v138, -v5
	v_add_f32_e32 v2, v2, v6
	v_mul_f32_e32 v6, v203, v143
	s_delay_alu instid0(VALU_DEP_2) | instskip(SKIP_2) | instid1(VALU_DEP_4)
	v_add_f32_e32 v2, v2, v5
	v_mul_f32_e32 v5, v205, v145
	v_add_f32_e32 v3, v3, v236
	v_fma_f32 v6, v202, v142, -v6
	s_delay_alu instid0(VALU_DEP_3) | instskip(NEXT) | instid1(VALU_DEP_3)
	v_fma_f32 v5, v204, v144, -v5
	v_add_f32_e32 v3, v3, v237
	s_delay_alu instid0(VALU_DEP_1) | instskip(NEXT) | instid1(VALU_DEP_1)
	v_dual_mul_f32 v4, v201, v141 :: v_dual_add_f32 v3, v3, v238
	v_fma_f32 v4, v200, v140, -v4
	s_delay_alu instid0(VALU_DEP_2) | instskip(NEXT) | instid1(VALU_DEP_1)
	v_add_f32_e32 v3, v3, v239
	v_add_f32_e32 v3, v3, v240
	s_delay_alu instid0(VALU_DEP_3) | instskip(SKIP_1) | instid1(VALU_DEP_3)
	v_add_f32_e32 v2, v2, v4
	v_mul_f32_e32 v4, v207, v147
	v_add_f32_e32 v3, v3, v241
	s_delay_alu instid0(VALU_DEP_2) | instskip(NEXT) | instid1(VALU_DEP_2)
	v_fma_f32 v4, v206, v146, -v4
	v_add_f32_e32 v3, v3, v242
	s_delay_alu instid0(VALU_DEP_1) | instskip(SKIP_2) | instid1(VALU_DEP_2)
	v_dual_add_f32 v2, v2, v6 :: v_dual_add_f32 v3, v3, v243
	v_mul_f32_e32 v6, v213, v209
	s_wait_loadcnt 0x0
	v_dual_add_f32 v2, v2, v5 :: v_dual_sub_f32 v3, v211, v3
	s_delay_alu instid0(VALU_DEP_2) | instskip(NEXT) | instid1(VALU_DEP_2)
	v_fma_f32 v5, v212, v208, -v6
	v_add_f32_e32 v2, v2, v4
	s_delay_alu instid0(VALU_DEP_1) | instskip(NEXT) | instid1(VALU_DEP_1)
	v_add_f32_e32 v2, v2, v5
	v_sub_f32_e32 v2, v210, v2
	scratch_store_b64 off, v[2:3], off offset:80
	v_cmpx_lt_u32_e32 9, v0
	s_cbranch_execz .LBB105_247
; %bb.246:
	scratch_load_b64 v[3:4], off, off offset:72
	v_mov_b32_e32 v2, v1
	scratch_store_b64 off, v[1:2], off offset:72
	s_wait_loadcnt 0x0
	ds_store_b64 v23, v[3:4]
.LBB105_247:
	s_wait_alu 0xfffe
	s_or_b32 exec_lo, exec_lo, s0
	s_wait_storecnt_dscnt 0x0
	s_barrier_signal -1
	s_barrier_wait -1
	global_inv scope:SCOPE_SE
	s_clause 0x10
	scratch_load_b128 v[2:5], off, off offset:80
	scratch_load_b128 v[6:9], off, off offset:96
	;; [unrolled: 1-line block ×16, first 2 shown]
	scratch_load_b64 v[216:217], off, off offset:72
	ds_load_b128 v[152:155], v1 offset:416
	ds_load_b128 v[156:159], v1 offset:432
	;; [unrolled: 1-line block ×16, first 2 shown]
	s_mov_b32 s0, exec_lo
	s_wait_loadcnt_dscnt 0x100f
	v_dual_mul_f32 v1, v152, v3 :: v_dual_mul_f32 v22, v154, v5
	s_wait_loadcnt_dscnt 0xf0e
	v_dual_mul_f32 v5, v155, v5 :: v_dual_mul_f32 v218, v156, v7
	v_mul_f32_e32 v219, v158, v9
	s_wait_loadcnt_dscnt 0xe0d
	v_dual_fmac_f32 v1, v153, v2 :: v_dual_mul_f32 v220, v160, v11
	s_wait_loadcnt_dscnt 0xd0c
	v_dual_mul_f32 v221, v162, v13 :: v_dual_mul_f32 v222, v164, v15
	v_mul_f32_e32 v223, v166, v17
	v_dual_mul_f32 v3, v153, v3 :: v_dual_fmac_f32 v22, v155, v4
	s_wait_loadcnt_dscnt 0xc0b
	v_dual_mul_f32 v224, v168, v19 :: v_dual_mul_f32 v225, v170, v21
	s_wait_loadcnt_dscnt 0x201
	v_mul_f32_e32 v244, v208, v145
	v_fma_f32 v3, v152, v2, -v3
	s_wait_loadcnt_dscnt 0x100
	v_mul_f32_e32 v247, v214, v151
	v_mul_f32_e32 v2, v157, v7
	v_fma_f32 v4, v154, v4, -v5
	v_dual_mul_f32 v5, v159, v9 :: v_dual_fmac_f32 v220, v161, v10
	v_dual_add_f32 v3, 0, v3 :: v_dual_fmac_f32 v218, v157, v6
	s_delay_alu instid0(VALU_DEP_4) | instskip(NEXT) | instid1(VALU_DEP_3)
	v_fma_f32 v2, v156, v6, -v2
	v_fma_f32 v5, v158, v8, -v5
	s_delay_alu instid0(VALU_DEP_3) | instskip(SKIP_2) | instid1(VALU_DEP_3)
	v_dual_fmac_f32 v222, v165, v14 :: v_dual_add_f32 v3, v3, v4
	v_dual_mul_f32 v226, v172, v25 :: v_dual_mul_f32 v227, v174, v27
	v_dual_fmac_f32 v223, v167, v16 :: v_dual_fmac_f32 v224, v169, v18
	v_add_f32_e32 v2, v3, v2
	v_mul_f32_e32 v3, v163, v13
	v_dual_mul_f32 v228, v176, v113 :: v_dual_mul_f32 v229, v178, v115
	v_mul_f32_e32 v4, v161, v11
	s_delay_alu instid0(VALU_DEP_4) | instskip(SKIP_4) | instid1(VALU_DEP_4)
	v_add_f32_e32 v2, v2, v5
	v_add_f32_e32 v1, 0, v1
	v_fma_f32 v3, v162, v12, -v3
	v_dual_mul_f32 v232, v184, v121 :: v_dual_mul_f32 v233, v186, v123
	v_fma_f32 v4, v160, v10, -v4
	v_dual_add_f32 v1, v1, v22 :: v_dual_mul_f32 v230, v180, v117
	v_mul_f32_e32 v231, v182, v119
	s_delay_alu instid0(VALU_DEP_3) | instskip(NEXT) | instid1(VALU_DEP_3)
	v_dual_fmac_f32 v229, v179, v114 :: v_dual_add_f32 v2, v2, v4
	v_dual_add_f32 v1, v1, v218 :: v_dual_mul_f32 v4, v167, v17
	v_dual_fmac_f32 v219, v159, v8 :: v_dual_mul_f32 v234, v188, v125
	v_mul_f32_e32 v235, v190, v127
	s_delay_alu instid0(VALU_DEP_4) | instskip(NEXT) | instid1(VALU_DEP_4)
	v_add_f32_e32 v2, v2, v3
	v_fma_f32 v4, v166, v16, -v4
	v_mul_f32_e32 v5, v165, v15
	v_add_f32_e32 v1, v1, v219
	v_dual_fmac_f32 v227, v175, v26 :: v_dual_fmac_f32 v230, v181, v116
	v_dual_mul_f32 v238, v196, v133 :: v_dual_mul_f32 v239, v198, v135
	s_delay_alu instid0(VALU_DEP_4) | instskip(SKIP_3) | instid1(VALU_DEP_4)
	v_fma_f32 v5, v164, v14, -v5
	v_fmac_f32_e32 v221, v163, v12
	v_fmac_f32_e32 v226, v173, v24
	v_dual_mul_f32 v236, v192, v129 :: v_dual_mul_f32 v237, v194, v131
	v_add_f32_e32 v2, v2, v5
	v_mul_f32_e32 v5, v171, v21
	v_dual_fmac_f32 v235, v191, v126 :: v_dual_mul_f32 v240, v200, v137
	v_mul_f32_e32 v241, v202, v139
	s_delay_alu instid0(VALU_DEP_4) | instskip(NEXT) | instid1(VALU_DEP_4)
	v_add_f32_e32 v2, v2, v4
	v_fma_f32 v5, v170, v20, -v5
	v_mul_f32_e32 v3, v169, v19
	v_mul_f32_e32 v4, v173, v25
	v_dual_mul_f32 v242, v204, v141 :: v_dual_mul_f32 v243, v206, v143
	v_fmac_f32_e32 v228, v177, v112
	s_delay_alu instid0(VALU_DEP_4) | instskip(SKIP_3) | instid1(VALU_DEP_4)
	v_fma_f32 v3, v168, v18, -v3
	v_add_f32_e32 v1, v1, v220
	v_fma_f32 v4, v172, v24, -v4
	v_dual_fmac_f32 v233, v187, v122 :: v_dual_fmac_f32 v236, v193, v128
	v_add_f32_e32 v2, v2, v3
	v_mul_f32_e32 v3, v175, v27
	v_fmac_f32_e32 v241, v203, v138
	v_dual_mul_f32 v245, v210, v147 :: v_dual_mul_f32 v246, v212, v149
	s_delay_alu instid0(VALU_DEP_4) | instskip(SKIP_3) | instid1(VALU_DEP_3)
	v_add_f32_e32 v2, v2, v5
	v_add_f32_e32 v1, v1, v221
	v_fma_f32 v3, v174, v26, -v3
	v_dual_fmac_f32 v239, v199, v134 :: v_dual_fmac_f32 v242, v205, v140
	v_dual_add_f32 v2, v2, v4 :: v_dual_add_f32 v1, v1, v222
	v_mul_f32_e32 v4, v179, v115
	v_fmac_f32_e32 v225, v171, v20
	s_delay_alu instid0(VALU_DEP_3) | instskip(SKIP_1) | instid1(VALU_DEP_4)
	v_dual_fmac_f32 v245, v211, v146 :: v_dual_add_f32 v2, v2, v3
	v_mul_f32_e32 v3, v181, v117
	v_fma_f32 v4, v178, v114, -v4
	v_mul_f32_e32 v5, v177, v113
	v_dual_fmac_f32 v232, v185, v120 :: v_dual_fmac_f32 v247, v215, v150
	s_delay_alu instid0(VALU_DEP_4) | instskip(SKIP_1) | instid1(VALU_DEP_4)
	v_fma_f32 v3, v180, v116, -v3
	v_fmac_f32_e32 v234, v189, v124
	v_fma_f32 v5, v176, v112, -v5
	v_add_f32_e32 v1, v1, v223
	v_fmac_f32_e32 v238, v197, v132
	v_fmac_f32_e32 v240, v201, v136
	v_fmac_f32_e32 v244, v209, v144
	v_dual_add_f32 v2, v2, v5 :: v_dual_mul_f32 v5, v183, v119
	v_fmac_f32_e32 v246, v213, v148
	s_delay_alu instid0(VALU_DEP_2) | instskip(SKIP_3) | instid1(VALU_DEP_4)
	v_add_f32_e32 v2, v2, v4
	v_add_f32_e32 v1, v1, v224
	v_mul_f32_e32 v4, v185, v121
	v_fma_f32 v5, v182, v118, -v5
	v_dual_add_f32 v2, v2, v3 :: v_dual_fmac_f32 v231, v183, v118
	v_mul_f32_e32 v3, v187, v123
	s_delay_alu instid0(VALU_DEP_4) | instskip(NEXT) | instid1(VALU_DEP_3)
	v_fma_f32 v4, v184, v120, -v4
	v_add_f32_e32 v2, v2, v5
	v_add_f32_e32 v1, v1, v225
	s_delay_alu instid0(VALU_DEP_4) | instskip(NEXT) | instid1(VALU_DEP_3)
	v_fma_f32 v3, v186, v122, -v3
	v_dual_add_f32 v2, v2, v4 :: v_dual_mul_f32 v5, v189, v125
	s_delay_alu instid0(VALU_DEP_3) | instskip(NEXT) | instid1(VALU_DEP_2)
	v_dual_add_f32 v1, v1, v226 :: v_dual_mul_f32 v4, v191, v127
	v_add_f32_e32 v2, v2, v3
	s_delay_alu instid0(VALU_DEP_3) | instskip(NEXT) | instid1(VALU_DEP_3)
	v_fma_f32 v5, v188, v124, -v5
	v_add_f32_e32 v1, v1, v227
	v_mul_f32_e32 v3, v193, v129
	v_fma_f32 v4, v190, v126, -v4
	s_delay_alu instid0(VALU_DEP_4) | instskip(NEXT) | instid1(VALU_DEP_3)
	v_dual_add_f32 v2, v2, v5 :: v_dual_mul_f32 v5, v195, v131
	v_fma_f32 v3, v192, v128, -v3
	s_delay_alu instid0(VALU_DEP_2) | instskip(SKIP_3) | instid1(VALU_DEP_4)
	v_add_f32_e32 v2, v2, v4
	v_add_f32_e32 v1, v1, v228
	v_mul_f32_e32 v4, v197, v133
	v_fma_f32 v5, v194, v130, -v5
	v_dual_add_f32 v2, v2, v3 :: v_dual_fmac_f32 v237, v195, v130
	v_mul_f32_e32 v3, v199, v135
	s_delay_alu instid0(VALU_DEP_4) | instskip(NEXT) | instid1(VALU_DEP_3)
	v_fma_f32 v4, v196, v132, -v4
	v_add_f32_e32 v2, v2, v5
	v_add_f32_e32 v1, v1, v229
	s_delay_alu instid0(VALU_DEP_4) | instskip(NEXT) | instid1(VALU_DEP_3)
	v_fma_f32 v3, v198, v134, -v3
	v_dual_add_f32 v2, v2, v4 :: v_dual_mul_f32 v5, v201, v137
	s_delay_alu instid0(VALU_DEP_3) | instskip(NEXT) | instid1(VALU_DEP_2)
	v_dual_add_f32 v1, v1, v230 :: v_dual_mul_f32 v4, v203, v139
	v_add_f32_e32 v2, v2, v3
	s_delay_alu instid0(VALU_DEP_3) | instskip(NEXT) | instid1(VALU_DEP_3)
	v_fma_f32 v5, v200, v136, -v5
	v_add_f32_e32 v1, v1, v231
	v_mul_f32_e32 v3, v205, v141
	v_fma_f32 v4, v202, v138, -v4
	s_delay_alu instid0(VALU_DEP_4) | instskip(NEXT) | instid1(VALU_DEP_3)
	v_dual_add_f32 v2, v2, v5 :: v_dual_mul_f32 v5, v207, v143
	v_fma_f32 v3, v204, v140, -v3
	s_delay_alu instid0(VALU_DEP_2) | instskip(SKIP_3) | instid1(VALU_DEP_4)
	v_add_f32_e32 v2, v2, v4
	v_add_f32_e32 v1, v1, v232
	v_mul_f32_e32 v4, v209, v145
	v_fma_f32 v5, v206, v142, -v5
	v_dual_add_f32 v2, v2, v3 :: v_dual_fmac_f32 v243, v207, v142
	v_mul_f32_e32 v3, v211, v147
	s_delay_alu instid0(VALU_DEP_4) | instskip(NEXT) | instid1(VALU_DEP_3)
	v_fma_f32 v4, v208, v144, -v4
	v_add_f32_e32 v2, v2, v5
	v_add_f32_e32 v1, v1, v233
	s_delay_alu instid0(VALU_DEP_4) | instskip(NEXT) | instid1(VALU_DEP_2)
	v_fma_f32 v3, v210, v146, -v3
	v_dual_add_f32 v2, v2, v4 :: v_dual_add_f32 v1, v1, v234
	v_dual_mul_f32 v4, v215, v151 :: v_dual_mul_f32 v5, v213, v149
	s_delay_alu instid0(VALU_DEP_2) | instskip(NEXT) | instid1(VALU_DEP_2)
	v_add_f32_e32 v2, v2, v3
	v_fma_f32 v3, v214, v150, -v4
	s_delay_alu instid0(VALU_DEP_3) | instskip(NEXT) | instid1(VALU_DEP_1)
	v_fma_f32 v5, v212, v148, -v5
	v_dual_add_f32 v1, v1, v235 :: v_dual_add_f32 v2, v2, v5
	s_delay_alu instid0(VALU_DEP_1) | instskip(NEXT) | instid1(VALU_DEP_1)
	v_dual_add_f32 v1, v1, v236 :: v_dual_add_f32 v2, v2, v3
	v_add_f32_e32 v1, v1, v237
	s_delay_alu instid0(VALU_DEP_1) | instskip(NEXT) | instid1(VALU_DEP_1)
	v_add_f32_e32 v1, v1, v238
	v_add_f32_e32 v1, v1, v239
	s_delay_alu instid0(VALU_DEP_1) | instskip(NEXT) | instid1(VALU_DEP_1)
	v_add_f32_e32 v1, v1, v240
	;; [unrolled: 3-line block ×5, first 2 shown]
	v_add_f32_e32 v3, v1, v247
	s_wait_loadcnt 0x0
	s_delay_alu instid0(VALU_DEP_1)
	v_dual_sub_f32 v1, v216, v2 :: v_dual_sub_f32 v2, v217, v3
	scratch_store_b64 off, v[1:2], off offset:72
	v_cmpx_lt_u32_e32 8, v0
	s_cbranch_execz .LBB105_249
; %bb.248:
	scratch_load_b64 v[1:2], off, off offset:64
	v_mov_b32_e32 v3, 0
	s_delay_alu instid0(VALU_DEP_1)
	v_mov_b32_e32 v4, v3
	scratch_store_b64 off, v[3:4], off offset:64
	s_wait_loadcnt 0x0
	ds_store_b64 v23, v[1:2]
.LBB105_249:
	s_wait_alu 0xfffe
	s_or_b32 exec_lo, exec_lo, s0
	s_wait_storecnt_dscnt 0x0
	s_barrier_signal -1
	s_barrier_wait -1
	global_inv scope:SCOPE_SE
	s_clause 0x11
	scratch_load_b128 v[1:4], off, off offset:72
	scratch_load_b128 v[5:8], off, off offset:88
	;; [unrolled: 1-line block ×16, first 2 shown]
	scratch_load_b64 v[216:217], off, off offset:328
	scratch_load_b64 v[218:219], off, off offset:64
	v_mov_b32_e32 v21, 0
	ds_load_2addr_b64 v[152:155], v21 offset0:51 offset1:52
	ds_load_2addr_b64 v[156:159], v21 offset0:53 offset1:54
	ds_load_2addr_b64 v[160:163], v21 offset0:55 offset1:56
	ds_load_2addr_b64 v[164:167], v21 offset0:57 offset1:58
	ds_load_2addr_b64 v[168:171], v21 offset0:59 offset1:60
	ds_load_2addr_b64 v[172:175], v21 offset0:61 offset1:62
	ds_load_2addr_b64 v[176:179], v21 offset0:63 offset1:64
	ds_load_2addr_b64 v[180:183], v21 offset0:65 offset1:66
	ds_load_2addr_b64 v[184:187], v21 offset0:67 offset1:68
	ds_load_2addr_b64 v[188:191], v21 offset0:69 offset1:70
	ds_load_2addr_b64 v[192:195], v21 offset0:71 offset1:72
	ds_load_2addr_b64 v[196:199], v21 offset0:73 offset1:74
	ds_load_2addr_b64 v[200:203], v21 offset0:75 offset1:76
	ds_load_2addr_b64 v[204:207], v21 offset0:77 offset1:78
	ds_load_2addr_b64 v[208:211], v21 offset0:79 offset1:80
	ds_load_2addr_b64 v[212:215], v21 offset0:81 offset1:82
	ds_load_b64 v[220:221], v21 offset:664
	s_mov_b32 s0, exec_lo
	s_wait_loadcnt_dscnt 0x1110
	v_mul_f32_e32 v22, v152, v2
	v_mul_f32_e32 v2, v153, v2
	s_wait_loadcnt_dscnt 0x100f
	v_dual_mul_f32 v222, v154, v4 :: v_dual_mul_f32 v223, v156, v6
	v_mul_f32_e32 v4, v155, v4
	s_wait_loadcnt_dscnt 0xf0e
	v_dual_mul_f32 v224, v158, v8 :: v_dual_mul_f32 v225, v160, v10
	s_delay_alu instid0(VALU_DEP_3)
	v_fmac_f32_e32 v222, v155, v3
	v_fmac_f32_e32 v22, v153, v1
	;; [unrolled: 1-line block ×3, first 2 shown]
	v_fma_f32 v3, v154, v3, -v4
	v_dual_fmac_f32 v225, v161, v9 :: v_dual_mul_f32 v226, v162, v12
	s_wait_loadcnt_dscnt 0xe0d
	v_mul_f32_e32 v227, v164, v14
	v_add_f32_e32 v4, 0, v22
	s_wait_loadcnt_dscnt 0x100
	v_dual_mul_f32 v252, v214, v151 :: v_dual_mul_f32 v253, v220, v217
	v_fma_f32 v2, v152, v1, -v2
	v_dual_mul_f32 v1, v157, v6 :: v_dual_fmac_f32 v226, v163, v11
	v_dual_mul_f32 v228, v166, v16 :: v_dual_mul_f32 v229, v168, v18
	s_delay_alu instid0(VALU_DEP_3) | instskip(NEXT) | instid1(VALU_DEP_3)
	v_add_f32_e32 v2, 0, v2
	v_fma_f32 v1, v156, v5, -v1
	v_dual_mul_f32 v230, v170, v20 :: v_dual_mul_f32 v231, v172, v25
	s_delay_alu instid0(VALU_DEP_4) | instskip(NEXT) | instid1(VALU_DEP_4)
	v_fmac_f32_e32 v228, v167, v15
	v_add_f32_e32 v2, v2, v3
	v_dual_mul_f32 v232, v174, v27 :: v_dual_mul_f32 v233, v176, v113
	s_delay_alu instid0(VALU_DEP_4) | instskip(NEXT) | instid1(VALU_DEP_3)
	v_dual_fmac_f32 v231, v173, v24 :: v_dual_fmac_f32 v230, v171, v19
	v_dual_add_f32 v1, v2, v1 :: v_dual_mul_f32 v6, v159, v8
	v_add_f32_e32 v3, v4, v222
	v_mul_f32_e32 v4, v161, v10
	v_dual_fmac_f32 v227, v165, v13 :: v_dual_fmac_f32 v232, v175, v26
	v_fmac_f32_e32 v233, v177, v112
	v_fma_f32 v5, v158, v7, -v6
	v_add_f32_e32 v2, v3, v223
	v_mul_f32_e32 v3, v163, v12
	v_fma_f32 v4, v160, v9, -v4
	v_dual_mul_f32 v234, v178, v115 :: v_dual_mul_f32 v235, v180, v117
	v_dual_add_f32 v1, v1, v5 :: v_dual_fmac_f32 v224, v159, v7
	v_mul_f32_e32 v5, v165, v14
	v_fma_f32 v3, v162, v11, -v3
	s_delay_alu instid0(VALU_DEP_4) | instskip(NEXT) | instid1(VALU_DEP_4)
	v_dual_fmac_f32 v234, v179, v114 :: v_dual_fmac_f32 v235, v181, v116
	v_add_f32_e32 v1, v1, v4
	v_add_f32_e32 v2, v2, v224
	v_fma_f32 v5, v164, v13, -v5
	v_dual_mul_f32 v236, v182, v119 :: v_dual_mul_f32 v237, v184, v121
	s_delay_alu instid0(VALU_DEP_4) | instskip(SKIP_1) | instid1(VALU_DEP_3)
	v_dual_add_f32 v1, v1, v3 :: v_dual_mul_f32 v4, v167, v16
	v_mul_f32_e32 v3, v169, v18
	v_dual_fmac_f32 v229, v169, v17 :: v_dual_fmac_f32 v236, v183, v118
	s_delay_alu instid0(VALU_DEP_4) | instskip(NEXT) | instid1(VALU_DEP_4)
	v_fmac_f32_e32 v237, v185, v120
	v_add_f32_e32 v1, v1, v5
	v_fma_f32 v4, v166, v15, -v4
	v_dual_add_f32 v2, v2, v225 :: v_dual_mul_f32 v5, v171, v20
	v_fma_f32 v3, v168, v17, -v3
	v_dual_mul_f32 v238, v186, v123 :: v_dual_mul_f32 v239, v188, v125
	s_delay_alu instid0(VALU_DEP_3) | instskip(NEXT) | instid1(VALU_DEP_4)
	v_dual_add_f32 v1, v1, v4 :: v_dual_add_f32 v2, v2, v226
	v_fma_f32 v5, v170, v19, -v5
	v_mul_f32_e32 v4, v173, v25
	v_dual_mul_f32 v240, v190, v127 :: v_dual_mul_f32 v241, v192, v129
	s_delay_alu instid0(VALU_DEP_4) | instskip(SKIP_4) | instid1(VALU_DEP_4)
	v_add_f32_e32 v1, v1, v3
	v_add_f32_e32 v2, v2, v227
	v_mul_f32_e32 v3, v175, v27
	v_fma_f32 v4, v172, v24, -v4
	v_dual_mul_f32 v242, v194, v131 :: v_dual_mul_f32 v243, v196, v133
	v_dual_add_f32 v1, v1, v5 :: v_dual_add_f32 v2, v2, v228
	v_mul_f32_e32 v5, v177, v113
	v_fma_f32 v3, v174, v26, -v3
	v_dual_mul_f32 v244, v198, v135 :: v_dual_mul_f32 v245, v200, v137
	s_delay_alu instid0(VALU_DEP_4) | instskip(NEXT) | instid1(VALU_DEP_4)
	v_dual_add_f32 v2, v2, v229 :: v_dual_add_f32 v1, v1, v4
	v_fma_f32 v5, v176, v112, -v5
	v_dual_mul_f32 v246, v202, v139 :: v_dual_mul_f32 v247, v204, v141
	s_delay_alu instid0(VALU_DEP_3) | instskip(SKIP_2) | instid1(VALU_DEP_3)
	v_dual_add_f32 v2, v2, v230 :: v_dual_fmac_f32 v245, v201, v136
	v_dual_mul_f32 v248, v206, v143 :: v_dual_mul_f32 v249, v208, v145
	v_dual_mul_f32 v250, v210, v147 :: v_dual_mul_f32 v251, v212, v149
	v_add_f32_e32 v2, v2, v231
	v_add_f32_e32 v1, v1, v3
	v_dual_mul_f32 v3, v181, v117 :: v_dual_fmac_f32 v246, v203, v138
	s_delay_alu instid0(VALU_DEP_4) | instskip(NEXT) | instid1(VALU_DEP_4)
	v_dual_fmac_f32 v247, v205, v140 :: v_dual_fmac_f32 v250, v211, v146
	v_add_f32_e32 v2, v2, v232
	s_delay_alu instid0(VALU_DEP_4) | instskip(SKIP_3) | instid1(VALU_DEP_4)
	v_dual_mul_f32 v4, v179, v115 :: v_dual_add_f32 v1, v1, v5
	v_mul_f32_e32 v5, v183, v119
	v_fma_f32 v3, v180, v116, -v3
	v_fmac_f32_e32 v249, v209, v144
	v_fma_f32 v4, v178, v114, -v4
	v_add_f32_e32 v2, v2, v233
	v_fma_f32 v5, v182, v118, -v5
	v_fmac_f32_e32 v239, v189, v124
	v_fmac_f32_e32 v253, v221, v216
	s_delay_alu instid0(VALU_DEP_4) | instskip(SKIP_3) | instid1(VALU_DEP_4)
	v_dual_add_f32 v1, v1, v4 :: v_dual_add_f32 v2, v2, v234
	v_mul_f32_e32 v4, v185, v121
	v_fmac_f32_e32 v251, v213, v148
	v_fmac_f32_e32 v241, v193, v128
	v_add_f32_e32 v1, v1, v3
	v_add_f32_e32 v2, v2, v235
	v_mul_f32_e32 v3, v187, v123
	v_fma_f32 v4, v184, v120, -v4
	s_delay_alu instid0(VALU_DEP_4) | instskip(NEXT) | instid1(VALU_DEP_4)
	v_dual_fmac_f32 v242, v195, v130 :: v_dual_add_f32 v1, v1, v5
	v_dual_add_f32 v2, v2, v236 :: v_dual_mul_f32 v5, v189, v125
	v_fmac_f32_e32 v238, v187, v122
	v_fma_f32 v3, v186, v122, -v3
	s_delay_alu instid0(VALU_DEP_3) | instskip(SKIP_2) | instid1(VALU_DEP_3)
	v_dual_add_f32 v1, v1, v4 :: v_dual_add_f32 v2, v2, v237
	v_mul_f32_e32 v4, v191, v127
	v_fma_f32 v5, v188, v124, -v5
	v_dual_fmac_f32 v244, v199, v134 :: v_dual_add_f32 v1, v1, v3
	s_delay_alu instid0(VALU_DEP_4) | instskip(SKIP_2) | instid1(VALU_DEP_3)
	v_dual_add_f32 v2, v2, v238 :: v_dual_mul_f32 v3, v193, v129
	v_fmac_f32_e32 v240, v191, v126
	v_fma_f32 v4, v190, v126, -v4
	v_dual_add_f32 v1, v1, v5 :: v_dual_add_f32 v2, v2, v239
	v_mul_f32_e32 v5, v195, v131
	v_fma_f32 v3, v192, v128, -v3
	s_delay_alu instid0(VALU_DEP_3) | instskip(NEXT) | instid1(VALU_DEP_4)
	v_dual_fmac_f32 v248, v207, v142 :: v_dual_add_f32 v1, v1, v4
	v_add_f32_e32 v2, v2, v240
	v_mul_f32_e32 v4, v197, v133
	v_fma_f32 v5, v194, v130, -v5
	s_delay_alu instid0(VALU_DEP_4) | instskip(NEXT) | instid1(VALU_DEP_4)
	v_dual_fmac_f32 v252, v215, v150 :: v_dual_add_f32 v1, v1, v3
	v_dual_add_f32 v2, v2, v241 :: v_dual_mul_f32 v3, v199, v135
	v_fmac_f32_e32 v243, v197, v132
	v_fma_f32 v4, v196, v132, -v4
	s_delay_alu instid0(VALU_DEP_3) | instskip(SKIP_2) | instid1(VALU_DEP_3)
	v_dual_add_f32 v1, v1, v5 :: v_dual_add_f32 v2, v2, v242
	v_mul_f32_e32 v5, v201, v137
	v_fma_f32 v3, v198, v134, -v3
	v_dual_add_f32 v1, v1, v4 :: v_dual_mul_f32 v4, v203, v139
	s_delay_alu instid0(VALU_DEP_4) | instskip(NEXT) | instid1(VALU_DEP_4)
	v_add_f32_e32 v2, v2, v243
	v_fma_f32 v5, v200, v136, -v5
	s_delay_alu instid0(VALU_DEP_3) | instskip(NEXT) | instid1(VALU_DEP_4)
	v_add_f32_e32 v1, v1, v3
	v_fma_f32 v4, v202, v138, -v4
	s_delay_alu instid0(VALU_DEP_2) | instskip(NEXT) | instid1(VALU_DEP_1)
	v_dual_add_f32 v2, v2, v244 :: v_dual_add_f32 v1, v1, v5
	v_dual_mul_f32 v5, v207, v143 :: v_dual_add_f32 v2, v2, v245
	v_mul_f32_e32 v3, v205, v141
	s_delay_alu instid0(VALU_DEP_2) | instskip(NEXT) | instid1(VALU_DEP_3)
	v_fma_f32 v5, v206, v142, -v5
	v_add_f32_e32 v2, v2, v246
	s_delay_alu instid0(VALU_DEP_3) | instskip(SKIP_2) | instid1(VALU_DEP_4)
	v_fma_f32 v3, v204, v140, -v3
	v_add_f32_e32 v1, v1, v4
	v_mul_f32_e32 v4, v209, v145
	v_add_f32_e32 v2, v2, v247
	s_delay_alu instid0(VALU_DEP_3) | instskip(SKIP_1) | instid1(VALU_DEP_4)
	v_add_f32_e32 v1, v1, v3
	v_mul_f32_e32 v3, v211, v147
	v_fma_f32 v4, v208, v144, -v4
	s_delay_alu instid0(VALU_DEP_3) | instskip(SKIP_1) | instid1(VALU_DEP_4)
	v_dual_add_f32 v2, v2, v248 :: v_dual_add_f32 v1, v1, v5
	v_mul_f32_e32 v5, v213, v149
	v_fma_f32 v3, v210, v146, -v3
	s_delay_alu instid0(VALU_DEP_3) | instskip(NEXT) | instid1(VALU_DEP_4)
	v_dual_add_f32 v1, v1, v4 :: v_dual_mul_f32 v4, v215, v151
	v_add_f32_e32 v2, v2, v249
	s_delay_alu instid0(VALU_DEP_4) | instskip(NEXT) | instid1(VALU_DEP_3)
	v_fma_f32 v5, v212, v148, -v5
	v_fma_f32 v4, v214, v150, -v4
	s_delay_alu instid0(VALU_DEP_3) | instskip(NEXT) | instid1(VALU_DEP_1)
	v_add_f32_e32 v2, v2, v250
	v_add_f32_e32 v2, v2, v251
	s_delay_alu instid0(VALU_DEP_1) | instskip(NEXT) | instid1(VALU_DEP_1)
	v_dual_add_f32 v1, v1, v3 :: v_dual_add_f32 v2, v2, v252
	v_add_f32_e32 v1, v1, v5
	s_delay_alu instid0(VALU_DEP_2) | instskip(SKIP_2) | instid1(VALU_DEP_2)
	v_add_f32_e32 v2, v2, v253
	v_mul_f32_e32 v3, v221, v217
	s_wait_loadcnt 0x0
	v_dual_add_f32 v1, v1, v4 :: v_dual_sub_f32 v2, v219, v2
	s_delay_alu instid0(VALU_DEP_2) | instskip(NEXT) | instid1(VALU_DEP_1)
	v_fma_f32 v3, v220, v216, -v3
	v_add_f32_e32 v1, v1, v3
	s_delay_alu instid0(VALU_DEP_1)
	v_sub_f32_e32 v1, v218, v1
	scratch_store_b64 off, v[1:2], off offset:64
	v_cmpx_lt_u32_e32 7, v0
	s_cbranch_execz .LBB105_251
; %bb.250:
	scratch_load_b64 v[1:2], off, off offset:56
	v_mov_b32_e32 v22, v21
	scratch_store_b64 off, v[21:22], off offset:56
	s_wait_loadcnt 0x0
	ds_store_b64 v23, v[1:2]
.LBB105_251:
	s_wait_alu 0xfffe
	s_or_b32 exec_lo, exec_lo, s0
	s_wait_storecnt_dscnt 0x0
	s_barrier_signal -1
	s_barrier_wait -1
	global_inv scope:SCOPE_SE
	s_clause 0x4
	scratch_load_b128 v[5:8], off, off offset:64
	scratch_load_b128 v[1:4], off, off offset:80
	;; [unrolled: 1-line block ×5, first 2 shown]
	ds_load_b128 v[24:27], v21 offset:400
	ds_load_b128 v[112:115], v21 offset:416
	;; [unrolled: 1-line block ×3, first 2 shown]
	scratch_load_b64 v[120:121], off, off offset:56
	s_mov_b32 s0, exec_lo
	s_wait_loadcnt_dscnt 0x502
	v_dual_mul_f32 v22, v25, v6 :: v_dual_mul_f32 v123, v26, v8
	v_mul_f32_e32 v122, v24, v6
	v_mul_f32_e32 v6, v27, v8
	s_wait_loadcnt_dscnt 0x300
	v_mul_f32_e32 v124, v118, v12
	v_fma_f32 v22, v24, v5, -v22
	v_dual_fmac_f32 v123, v27, v7 :: v_dual_fmac_f32 v122, v25, v5
	v_mul_f32_e32 v27, v116, v10
	v_mul_f32_e32 v25, v112, v2
	v_fma_f32 v24, v26, v7, -v6
	ds_load_b128 v[5:8], v21 offset:448
	v_mul_f32_e32 v26, v114, v4
	v_dual_mul_f32 v4, v115, v4 :: v_dual_fmac_f32 v27, v117, v9
	v_mul_f32_e32 v10, v117, v10
	v_mul_f32_e32 v12, v119, v12
	;; [unrolled: 1-line block ×3, first 2 shown]
	v_dual_fmac_f32 v25, v113, v1 :: v_dual_fmac_f32 v26, v115, v3
	v_fma_f32 v113, v114, v3, -v4
	v_fma_f32 v114, v116, v9, -v10
	v_fmac_f32_e32 v124, v119, v11
	v_fma_f32 v115, v118, v11, -v12
	ds_load_b128 v[9:12], v21 offset:464
	s_wait_loadcnt_dscnt 0x201
	v_mul_f32_e32 v117, v7, v16
	v_fma_f32 v112, v112, v1, -v2
	scratch_load_b128 v[1:4], off, off offset:144
	v_mul_f32_e32 v116, v5, v14
	v_mul_f32_e32 v14, v6, v14
	;; [unrolled: 1-line block ×3, first 2 shown]
	s_delay_alu instid0(VALU_DEP_3) | instskip(NEXT) | instid1(VALU_DEP_3)
	v_dual_fmac_f32 v117, v8, v15 :: v_dual_fmac_f32 v116, v6, v13
	v_fma_f32 v13, v5, v13, -v14
	s_delay_alu instid0(VALU_DEP_3)
	v_fma_f32 v14, v7, v15, -v16
	ds_load_b128 v[5:8], v21 offset:480
	s_wait_loadcnt_dscnt 0x201
	v_mul_f32_e32 v15, v9, v18
	v_mul_f32_e32 v16, v10, v18
	;; [unrolled: 1-line block ×3, first 2 shown]
	s_delay_alu instid0(VALU_DEP_3) | instskip(NEXT) | instid1(VALU_DEP_3)
	v_dual_mul_f32 v20, v12, v20 :: v_dual_fmac_f32 v15, v10, v17
	v_fma_f32 v16, v9, v17, -v16
	s_delay_alu instid0(VALU_DEP_3) | instskip(NEXT) | instid1(VALU_DEP_3)
	v_fmac_f32_e32 v18, v12, v19
	v_fma_f32 v17, v11, v19, -v20
	scratch_load_b128 v[9:12], off, off offset:160
	s_wait_loadcnt_dscnt 0x100
	v_mul_f32_e32 v19, v5, v2
	v_mul_f32_e32 v2, v6, v2
	;; [unrolled: 1-line block ×3, first 2 shown]
	s_delay_alu instid0(VALU_DEP_3) | instskip(NEXT) | instid1(VALU_DEP_3)
	v_dual_mul_f32 v4, v8, v4 :: v_dual_fmac_f32 v19, v6, v1
	v_fma_f32 v118, v5, v1, -v2
	s_delay_alu instid0(VALU_DEP_3) | instskip(NEXT) | instid1(VALU_DEP_3)
	v_fmac_f32_e32 v20, v8, v3
	v_fma_f32 v119, v7, v3, -v4
	ds_load_b128 v[1:4], v21 offset:496
	ds_load_b128 v[5:8], v21 offset:512
	s_wait_loadcnt_dscnt 0x1
	v_mul_f32_e32 v125, v1, v10
	v_mul_f32_e32 v10, v2, v10
	s_delay_alu instid0(VALU_DEP_2) | instskip(NEXT) | instid1(VALU_DEP_2)
	v_dual_mul_f32 v126, v3, v12 :: v_dual_fmac_f32 v125, v2, v9
	v_fma_f32 v127, v1, v9, -v10
	v_mul_f32_e32 v1, v4, v12
	s_delay_alu instid0(VALU_DEP_3) | instskip(NEXT) | instid1(VALU_DEP_2)
	v_fmac_f32_e32 v126, v4, v11
	v_fma_f32 v128, v3, v11, -v1
	s_clause 0x1
	scratch_load_b128 v[1:4], off, off offset:176
	scratch_load_b128 v[9:12], off, off offset:192
	s_wait_loadcnt_dscnt 0x100
	v_mul_f32_e32 v129, v5, v2
	v_dual_mul_f32 v2, v6, v2 :: v_dual_mul_f32 v131, v7, v4
	s_delay_alu instid0(VALU_DEP_2) | instskip(NEXT) | instid1(VALU_DEP_2)
	v_fmac_f32_e32 v129, v6, v1
	v_fma_f32 v130, v5, v1, -v2
	v_mul_f32_e32 v1, v8, v4
	s_delay_alu instid0(VALU_DEP_4) | instskip(NEXT) | instid1(VALU_DEP_2)
	v_fmac_f32_e32 v131, v8, v3
	v_fma_f32 v132, v7, v3, -v1
	ds_load_b128 v[1:4], v21 offset:528
	ds_load_b128 v[5:8], v21 offset:544
	s_wait_loadcnt_dscnt 0x1
	v_mul_f32_e32 v133, v1, v10
	v_mul_f32_e32 v135, v3, v12
	s_delay_alu instid0(VALU_DEP_2) | instskip(NEXT) | instid1(VALU_DEP_2)
	v_fmac_f32_e32 v133, v2, v9
	v_dual_mul_f32 v2, v2, v10 :: v_dual_fmac_f32 v135, v4, v11
	s_delay_alu instid0(VALU_DEP_1) | instskip(SKIP_1) | instid1(VALU_DEP_1)
	v_fma_f32 v134, v1, v9, -v2
	v_mul_f32_e32 v1, v4, v12
	v_fma_f32 v136, v3, v11, -v1
	s_clause 0x1
	scratch_load_b128 v[1:4], off, off offset:208
	scratch_load_b128 v[9:12], off, off offset:224
	s_wait_loadcnt_dscnt 0x100
	v_mul_f32_e32 v137, v5, v2
	v_dual_mul_f32 v2, v6, v2 :: v_dual_mul_f32 v139, v7, v4
	s_delay_alu instid0(VALU_DEP_2) | instskip(NEXT) | instid1(VALU_DEP_2)
	v_fmac_f32_e32 v137, v6, v1
	v_fma_f32 v138, v5, v1, -v2
	v_mul_f32_e32 v1, v8, v4
	s_delay_alu instid0(VALU_DEP_4) | instskip(NEXT) | instid1(VALU_DEP_2)
	v_fmac_f32_e32 v139, v8, v3
	v_fma_f32 v140, v7, v3, -v1
	ds_load_b128 v[1:4], v21 offset:560
	ds_load_b128 v[5:8], v21 offset:576
	s_wait_loadcnt_dscnt 0x1
	v_mul_f32_e32 v141, v1, v10
	v_mul_f32_e32 v143, v3, v12
	s_delay_alu instid0(VALU_DEP_2) | instskip(NEXT) | instid1(VALU_DEP_2)
	v_fmac_f32_e32 v141, v2, v9
	v_dual_mul_f32 v2, v2, v10 :: v_dual_fmac_f32 v143, v4, v11
	s_delay_alu instid0(VALU_DEP_1) | instskip(SKIP_1) | instid1(VALU_DEP_1)
	v_fma_f32 v142, v1, v9, -v2
	v_mul_f32_e32 v1, v4, v12
	v_fma_f32 v144, v3, v11, -v1
	s_clause 0x1
	scratch_load_b128 v[1:4], off, off offset:240
	scratch_load_b128 v[9:12], off, off offset:256
	s_wait_loadcnt_dscnt 0x100
	v_mul_f32_e32 v145, v5, v2
	v_mul_f32_e32 v2, v6, v2
	s_delay_alu instid0(VALU_DEP_1) | instskip(SKIP_1) | instid1(VALU_DEP_1)
	v_fma_f32 v146, v5, v1, -v2
	v_add_f32_e32 v2, 0, v122
	v_add_f32_e32 v2, v2, v123
	s_delay_alu instid0(VALU_DEP_1) | instskip(NEXT) | instid1(VALU_DEP_1)
	v_dual_add_f32 v2, v2, v25 :: v_dual_mul_f32 v147, v7, v4
	v_add_f32_e32 v2, v2, v26
	s_delay_alu instid0(VALU_DEP_1) | instskip(NEXT) | instid1(VALU_DEP_3)
	v_add_f32_e32 v2, v2, v27
	v_fmac_f32_e32 v147, v8, v3
	v_fmac_f32_e32 v145, v6, v1
	s_delay_alu instid0(VALU_DEP_3) | instskip(NEXT) | instid1(VALU_DEP_1)
	v_add_f32_e32 v2, v2, v124
	v_add_f32_e32 v2, v2, v116
	s_delay_alu instid0(VALU_DEP_1) | instskip(NEXT) | instid1(VALU_DEP_1)
	v_dual_mul_f32 v1, v8, v4 :: v_dual_add_f32 v2, v2, v117
	v_fma_f32 v148, v7, v3, -v1
	s_delay_alu instid0(VALU_DEP_2) | instskip(NEXT) | instid1(VALU_DEP_1)
	v_dual_add_f32 v1, 0, v22 :: v_dual_add_f32 v2, v2, v15
	v_add_f32_e32 v1, v1, v24
	s_delay_alu instid0(VALU_DEP_2) | instskip(NEXT) | instid1(VALU_DEP_2)
	v_add_f32_e32 v5, v2, v18
	v_add_f32_e32 v1, v1, v112
	s_delay_alu instid0(VALU_DEP_1) | instskip(NEXT) | instid1(VALU_DEP_1)
	v_add_f32_e32 v1, v1, v113
	v_add_f32_e32 v1, v1, v114
	s_delay_alu instid0(VALU_DEP_1) | instskip(NEXT) | instid1(VALU_DEP_1)
	v_add_f32_e32 v1, v1, v115
	v_add_f32_e32 v1, v1, v13
	;; [unrolled: 1-line block ×3, first 2 shown]
	s_delay_alu instid0(VALU_DEP_2) | instskip(NEXT) | instid1(VALU_DEP_2)
	v_add_f32_e32 v1, v1, v14
	v_add_f32_e32 v13, v13, v20
	s_delay_alu instid0(VALU_DEP_2) | instskip(NEXT) | instid1(VALU_DEP_1)
	v_add_f32_e32 v1, v1, v16
	v_add_f32_e32 v1, v1, v17
	s_delay_alu instid0(VALU_DEP_1) | instskip(SKIP_4) | instid1(VALU_DEP_1)
	v_add_f32_e32 v6, v1, v118
	ds_load_b128 v[1:4], v21 offset:592
	v_add_f32_e32 v14, v6, v119
	scratch_load_b128 v[5:8], off, off offset:272
	v_dual_add_f32 v13, v13, v125 :: v_dual_add_f32 v14, v14, v127
	v_dual_add_f32 v18, v13, v126 :: v_dual_add_f32 v17, v14, v128
	ds_load_b128 v[13:16], v21 offset:608
	v_add_f32_e32 v18, v18, v129
	s_wait_loadcnt_dscnt 0x101
	v_mul_f32_e32 v22, v1, v10
	s_delay_alu instid0(VALU_DEP_2)
	v_add_f32_e32 v18, v18, v131
	v_mul_f32_e32 v10, v2, v10
	v_mul_f32_e32 v112, v3, v12
	;; [unrolled: 1-line block ×3, first 2 shown]
	v_fmac_f32_e32 v22, v2, v9
	v_add_f32_e32 v24, v18, v133
	v_fma_f32 v113, v1, v9, -v10
	v_fmac_f32_e32 v112, v4, v11
	v_fma_f32 v114, v3, v11, -v12
	scratch_load_b128 v[1:4], off, off offset:288
	v_dual_add_f32 v24, v24, v135 :: v_dual_add_f32 v17, v17, v130
	scratch_load_b128 v[9:12], off, off offset:304
	s_wait_loadcnt_dscnt 0x200
	v_dual_add_f32 v24, v24, v137 :: v_dual_mul_f32 v115, v13, v6
	v_mul_f32_e32 v116, v15, v8
	v_add_f32_e32 v17, v17, v132
	v_mul_f32_e32 v8, v16, v8
	v_mul_f32_e32 v6, v14, v6
	s_delay_alu instid0(VALU_DEP_4) | instskip(NEXT) | instid1(VALU_DEP_4)
	v_dual_fmac_f32 v115, v14, v5 :: v_dual_fmac_f32 v116, v16, v7
	v_add_f32_e32 v17, v17, v134
	s_delay_alu instid0(VALU_DEP_4) | instskip(NEXT) | instid1(VALU_DEP_4)
	v_fma_f32 v118, v15, v7, -v8
	v_fma_f32 v117, v13, v5, -v6
	ds_load_b128 v[5:8], v21 offset:624
	v_add_f32_e32 v25, v17, v136
	scratch_load_b128 v[17:20], off, off offset:320
	v_add_f32_e32 v25, v25, v138
	s_delay_alu instid0(VALU_DEP_1) | instskip(NEXT) | instid1(VALU_DEP_1)
	v_add_f32_e32 v25, v25, v140
	v_dual_add_f32 v13, v24, v139 :: v_dual_add_f32 v24, v25, v142
	s_delay_alu instid0(VALU_DEP_1)
	v_add_f32_e32 v25, v13, v141
	ds_load_b128 v[13:16], v21 offset:640
	v_dual_add_f32 v119, v24, v144 :: v_dual_add_f32 v122, v25, v143
	ds_load_b128 v[24:27], v21 offset:656
	v_add_f32_e32 v21, v119, v146
	s_wait_loadcnt_dscnt 0x202
	v_dual_add_f32 v119, v122, v145 :: v_dual_mul_f32 v122, v5, v2
	s_delay_alu instid0(VALU_DEP_1) | instskip(NEXT) | instid1(VALU_DEP_2)
	v_dual_mul_f32 v2, v6, v2 :: v_dual_add_f32 v119, v119, v147
	v_fmac_f32_e32 v122, v6, v1
	s_delay_alu instid0(VALU_DEP_2) | instskip(NEXT) | instid1(VALU_DEP_3)
	v_fma_f32 v2, v5, v1, -v2
	v_add_f32_e32 v22, v119, v22
	s_wait_loadcnt_dscnt 0x101
	v_mul_f32_e32 v119, v13, v10
	v_mul_f32_e32 v6, v14, v10
	s_delay_alu instid0(VALU_DEP_3) | instskip(NEXT) | instid1(VALU_DEP_1)
	v_add_f32_e32 v22, v22, v112
	v_dual_add_f32 v21, v21, v148 :: v_dual_add_f32 v22, v22, v115
	s_delay_alu instid0(VALU_DEP_1) | instskip(SKIP_4) | instid1(VALU_DEP_1)
	v_add_f32_e32 v21, v21, v113
	v_mul_f32_e32 v113, v7, v4
	v_mul_f32_e32 v4, v8, v4
	s_wait_loadcnt_dscnt 0x0
	v_dual_mul_f32 v112, v24, v18 :: v_dual_add_f32 v5, v22, v116
	v_dual_fmac_f32 v112, v25, v17 :: v_dual_fmac_f32 v113, v8, v3
	v_add_f32_e32 v21, v21, v114
	v_fma_f32 v3, v7, v3, -v4
	v_dual_mul_f32 v4, v16, v12 :: v_dual_fmac_f32 v119, v14, v9
	v_mul_f32_e32 v123, v15, v12
	s_delay_alu instid0(VALU_DEP_4) | instskip(NEXT) | instid1(VALU_DEP_3)
	v_dual_add_f32 v21, v21, v117 :: v_dual_mul_f32 v114, v26, v20
	v_fma_f32 v4, v15, v11, -v4
	s_delay_alu instid0(VALU_DEP_2) | instskip(NEXT) | instid1(VALU_DEP_1)
	v_dual_add_f32 v1, v21, v118 :: v_dual_fmac_f32 v114, v27, v19
	v_add_f32_e32 v1, v1, v2
	v_dual_add_f32 v2, v5, v122 :: v_dual_fmac_f32 v123, v16, v11
	v_fma_f32 v5, v13, v9, -v6
	s_delay_alu instid0(VALU_DEP_2) | instskip(NEXT) | instid1(VALU_DEP_1)
	v_add_f32_e32 v2, v2, v113
	v_add_f32_e32 v2, v2, v119
	s_delay_alu instid0(VALU_DEP_1) | instskip(NEXT) | instid1(VALU_DEP_1)
	v_add_f32_e32 v2, v2, v123
	v_dual_add_f32 v2, v2, v112 :: v_dual_add_f32 v1, v1, v3
	v_mul_f32_e32 v3, v25, v18
	s_delay_alu instid0(VALU_DEP_2) | instskip(SKIP_1) | instid1(VALU_DEP_3)
	v_dual_add_f32 v2, v2, v114 :: v_dual_add_f32 v1, v1, v5
	v_mul_f32_e32 v5, v27, v20
	v_fma_f32 v3, v24, v17, -v3
	s_delay_alu instid0(VALU_DEP_3) | instskip(NEXT) | instid1(VALU_DEP_4)
	v_sub_f32_e32 v2, v121, v2
	v_add_f32_e32 v1, v1, v4
	s_delay_alu instid0(VALU_DEP_4) | instskip(NEXT) | instid1(VALU_DEP_2)
	v_fma_f32 v4, v26, v19, -v5
	v_add_f32_e32 v1, v1, v3
	s_delay_alu instid0(VALU_DEP_1) | instskip(NEXT) | instid1(VALU_DEP_1)
	v_add_f32_e32 v1, v1, v4
	v_sub_f32_e32 v1, v120, v1
	scratch_store_b64 off, v[1:2], off offset:56
	v_cmpx_lt_u32_e32 6, v0
	s_cbranch_execz .LBB105_253
; %bb.252:
	scratch_load_b64 v[1:2], off, off offset:48
	v_mov_b32_e32 v3, 0
	s_delay_alu instid0(VALU_DEP_1)
	v_mov_b32_e32 v4, v3
	scratch_store_b64 off, v[3:4], off offset:48
	s_wait_loadcnt 0x0
	ds_store_b64 v23, v[1:2]
.LBB105_253:
	s_wait_alu 0xfffe
	s_or_b32 exec_lo, exec_lo, s0
	s_wait_storecnt_dscnt 0x0
	s_barrier_signal -1
	s_barrier_wait -1
	global_inv scope:SCOPE_SE
	s_clause 0x4
	scratch_load_b128 v[5:8], off, off offset:56
	scratch_load_b128 v[1:4], off, off offset:72
	;; [unrolled: 1-line block ×5, first 2 shown]
	v_mov_b32_e32 v21, 0
	ds_load_2addr_b64 v[24:27], v21 offset0:49 offset1:50
	ds_load_2addr_b64 v[112:115], v21 offset0:51 offset1:52
	;; [unrolled: 1-line block ×3, first 2 shown]
	scratch_load_b64 v[120:121], off, off offset:48
	s_mov_b32 s0, exec_lo
	s_wait_loadcnt_dscnt 0x502
	v_mul_f32_e32 v22, v25, v6
	v_dual_mul_f32 v122, v24, v6 :: v_dual_mul_f32 v123, v26, v8
	v_mul_f32_e32 v6, v27, v8
	s_delay_alu instid0(VALU_DEP_3) | instskip(NEXT) | instid1(VALU_DEP_3)
	v_fma_f32 v22, v24, v5, -v22
	v_dual_fmac_f32 v122, v25, v5 :: v_dual_fmac_f32 v123, v27, v7
	s_wait_loadcnt_dscnt 0x401
	v_mul_f32_e32 v25, v112, v2
	v_fma_f32 v24, v26, v7, -v6
	ds_load_2addr_b64 v[5:8], v21 offset0:55 offset1:56
	s_wait_loadcnt_dscnt 0x301
	v_dual_mul_f32 v26, v114, v4 :: v_dual_mul_f32 v27, v116, v10
	v_dual_mul_f32 v4, v115, v4 :: v_dual_fmac_f32 v25, v113, v1
	v_mul_f32_e32 v10, v117, v10
	s_delay_alu instid0(VALU_DEP_3)
	v_dual_mul_f32 v124, v118, v12 :: v_dual_fmac_f32 v27, v117, v9
	v_mul_f32_e32 v12, v119, v12
	v_mul_f32_e32 v2, v113, v2
	v_fmac_f32_e32 v26, v115, v3
	v_fma_f32 v113, v114, v3, -v4
	v_fma_f32 v114, v116, v9, -v10
	v_fmac_f32_e32 v124, v119, v11
	v_fma_f32 v115, v118, v11, -v12
	ds_load_2addr_b64 v[9:12], v21 offset0:57 offset1:58
	s_wait_loadcnt_dscnt 0x201
	v_mul_f32_e32 v117, v7, v16
	v_fma_f32 v112, v112, v1, -v2
	scratch_load_b128 v[1:4], off, off offset:136
	v_mul_f32_e32 v116, v5, v14
	v_mul_f32_e32 v14, v6, v14
	;; [unrolled: 1-line block ×3, first 2 shown]
	s_delay_alu instid0(VALU_DEP_3) | instskip(NEXT) | instid1(VALU_DEP_3)
	v_dual_fmac_f32 v117, v8, v15 :: v_dual_fmac_f32 v116, v6, v13
	v_fma_f32 v13, v5, v13, -v14
	s_delay_alu instid0(VALU_DEP_3)
	v_fma_f32 v14, v7, v15, -v16
	ds_load_2addr_b64 v[5:8], v21 offset0:59 offset1:60
	s_wait_loadcnt_dscnt 0x201
	v_mul_f32_e32 v15, v9, v18
	v_mul_f32_e32 v16, v10, v18
	;; [unrolled: 1-line block ×3, first 2 shown]
	s_delay_alu instid0(VALU_DEP_3) | instskip(NEXT) | instid1(VALU_DEP_3)
	v_dual_mul_f32 v20, v12, v20 :: v_dual_fmac_f32 v15, v10, v17
	v_fma_f32 v16, v9, v17, -v16
	s_delay_alu instid0(VALU_DEP_3) | instskip(NEXT) | instid1(VALU_DEP_3)
	v_fmac_f32_e32 v18, v12, v19
	v_fma_f32 v17, v11, v19, -v20
	scratch_load_b128 v[9:12], off, off offset:152
	s_wait_loadcnt_dscnt 0x100
	v_mul_f32_e32 v19, v5, v2
	v_mul_f32_e32 v2, v6, v2
	;; [unrolled: 1-line block ×3, first 2 shown]
	s_delay_alu instid0(VALU_DEP_3) | instskip(NEXT) | instid1(VALU_DEP_3)
	v_dual_mul_f32 v4, v8, v4 :: v_dual_fmac_f32 v19, v6, v1
	v_fma_f32 v118, v5, v1, -v2
	s_delay_alu instid0(VALU_DEP_3) | instskip(NEXT) | instid1(VALU_DEP_3)
	v_fmac_f32_e32 v20, v8, v3
	v_fma_f32 v119, v7, v3, -v4
	ds_load_2addr_b64 v[1:4], v21 offset0:61 offset1:62
	ds_load_2addr_b64 v[5:8], v21 offset0:63 offset1:64
	s_wait_loadcnt_dscnt 0x1
	v_mul_f32_e32 v125, v1, v10
	v_mul_f32_e32 v10, v2, v10
	s_delay_alu instid0(VALU_DEP_2) | instskip(NEXT) | instid1(VALU_DEP_2)
	v_dual_mul_f32 v126, v3, v12 :: v_dual_fmac_f32 v125, v2, v9
	v_fma_f32 v127, v1, v9, -v10
	v_mul_f32_e32 v1, v4, v12
	s_delay_alu instid0(VALU_DEP_3) | instskip(NEXT) | instid1(VALU_DEP_2)
	v_fmac_f32_e32 v126, v4, v11
	v_fma_f32 v128, v3, v11, -v1
	s_clause 0x1
	scratch_load_b128 v[1:4], off, off offset:168
	scratch_load_b128 v[9:12], off, off offset:184
	s_wait_loadcnt_dscnt 0x100
	v_mul_f32_e32 v129, v5, v2
	v_dual_mul_f32 v2, v6, v2 :: v_dual_mul_f32 v131, v7, v4
	s_delay_alu instid0(VALU_DEP_2) | instskip(NEXT) | instid1(VALU_DEP_2)
	v_fmac_f32_e32 v129, v6, v1
	v_fma_f32 v130, v5, v1, -v2
	v_mul_f32_e32 v1, v8, v4
	s_delay_alu instid0(VALU_DEP_4) | instskip(NEXT) | instid1(VALU_DEP_2)
	v_fmac_f32_e32 v131, v8, v3
	v_fma_f32 v132, v7, v3, -v1
	ds_load_2addr_b64 v[1:4], v21 offset0:65 offset1:66
	ds_load_2addr_b64 v[5:8], v21 offset0:67 offset1:68
	s_wait_loadcnt_dscnt 0x1
	v_mul_f32_e32 v133, v1, v10
	v_mul_f32_e32 v135, v3, v12
	s_delay_alu instid0(VALU_DEP_2) | instskip(NEXT) | instid1(VALU_DEP_2)
	v_fmac_f32_e32 v133, v2, v9
	v_dual_mul_f32 v2, v2, v10 :: v_dual_fmac_f32 v135, v4, v11
	s_delay_alu instid0(VALU_DEP_1) | instskip(SKIP_1) | instid1(VALU_DEP_1)
	v_fma_f32 v134, v1, v9, -v2
	v_mul_f32_e32 v1, v4, v12
	v_fma_f32 v136, v3, v11, -v1
	s_clause 0x1
	scratch_load_b128 v[1:4], off, off offset:200
	scratch_load_b128 v[9:12], off, off offset:216
	s_wait_loadcnt_dscnt 0x100
	v_mul_f32_e32 v137, v5, v2
	v_dual_mul_f32 v139, v7, v4 :: v_dual_mul_f32 v2, v6, v2
	s_delay_alu instid0(VALU_DEP_2) | instskip(NEXT) | instid1(VALU_DEP_2)
	v_fmac_f32_e32 v137, v6, v1
	v_fmac_f32_e32 v139, v8, v3
	s_delay_alu instid0(VALU_DEP_3) | instskip(SKIP_1) | instid1(VALU_DEP_1)
	v_fma_f32 v138, v5, v1, -v2
	v_mul_f32_e32 v1, v8, v4
	v_fma_f32 v140, v7, v3, -v1
	ds_load_2addr_b64 v[1:4], v21 offset0:69 offset1:70
	ds_load_2addr_b64 v[5:8], v21 offset0:71 offset1:72
	s_wait_loadcnt_dscnt 0x1
	v_mul_f32_e32 v141, v1, v10
	v_mul_f32_e32 v143, v3, v12
	s_delay_alu instid0(VALU_DEP_2) | instskip(NEXT) | instid1(VALU_DEP_2)
	v_fmac_f32_e32 v141, v2, v9
	v_dual_mul_f32 v2, v2, v10 :: v_dual_fmac_f32 v143, v4, v11
	s_delay_alu instid0(VALU_DEP_1) | instskip(SKIP_1) | instid1(VALU_DEP_1)
	v_fma_f32 v142, v1, v9, -v2
	v_mul_f32_e32 v1, v4, v12
	v_fma_f32 v144, v3, v11, -v1
	s_clause 0x1
	scratch_load_b128 v[1:4], off, off offset:232
	scratch_load_b128 v[9:12], off, off offset:248
	s_wait_loadcnt_dscnt 0x100
	v_mul_f32_e32 v145, v5, v2
	v_mul_f32_e32 v2, v6, v2
	s_delay_alu instid0(VALU_DEP_1) | instskip(SKIP_1) | instid1(VALU_DEP_1)
	v_fma_f32 v146, v5, v1, -v2
	v_add_f32_e32 v2, 0, v122
	v_add_f32_e32 v2, v2, v123
	s_delay_alu instid0(VALU_DEP_1) | instskip(NEXT) | instid1(VALU_DEP_1)
	v_add_f32_e32 v2, v2, v25
	v_add_f32_e32 v2, v2, v26
	s_delay_alu instid0(VALU_DEP_1) | instskip(SKIP_1) | instid1(VALU_DEP_2)
	v_add_f32_e32 v2, v2, v27
	v_fmac_f32_e32 v145, v6, v1
	v_add_f32_e32 v2, v2, v124
	s_delay_alu instid0(VALU_DEP_1) | instskip(NEXT) | instid1(VALU_DEP_1)
	v_add_f32_e32 v2, v2, v116
	v_dual_mul_f32 v147, v7, v4 :: v_dual_add_f32 v2, v2, v117
	s_delay_alu instid0(VALU_DEP_1) | instskip(NEXT) | instid1(VALU_DEP_1)
	v_dual_mul_f32 v1, v8, v4 :: v_dual_add_f32 v2, v2, v15
	v_fma_f32 v148, v7, v3, -v1
	v_add_f32_e32 v1, 0, v22
	s_delay_alu instid0(VALU_DEP_3) | instskip(NEXT) | instid1(VALU_DEP_2)
	v_add_f32_e32 v5, v2, v18
	v_add_f32_e32 v1, v1, v24
	s_delay_alu instid0(VALU_DEP_1) | instskip(NEXT) | instid1(VALU_DEP_1)
	v_add_f32_e32 v1, v1, v112
	v_add_f32_e32 v1, v1, v113
	scratch_load_b64 v[112:113], off, off offset:328
	v_add_f32_e32 v1, v1, v114
	s_delay_alu instid0(VALU_DEP_1) | instskip(NEXT) | instid1(VALU_DEP_1)
	v_add_f32_e32 v1, v1, v115
	v_add_f32_e32 v1, v1, v13
	;; [unrolled: 1-line block ×3, first 2 shown]
	s_delay_alu instid0(VALU_DEP_2) | instskip(NEXT) | instid1(VALU_DEP_2)
	v_add_f32_e32 v1, v1, v14
	v_add_f32_e32 v13, v13, v20
	s_delay_alu instid0(VALU_DEP_2) | instskip(NEXT) | instid1(VALU_DEP_2)
	v_add_f32_e32 v1, v1, v16
	v_add_f32_e32 v13, v13, v125
	v_fmac_f32_e32 v147, v8, v3
	s_delay_alu instid0(VALU_DEP_3) | instskip(NEXT) | instid1(VALU_DEP_3)
	v_add_f32_e32 v1, v1, v17
	v_add_f32_e32 v18, v13, v126
	s_delay_alu instid0(VALU_DEP_2)
	v_add_f32_e32 v6, v1, v118
	scratch_load_b128 v[1:4], off, off offset:264
	v_add_f32_e32 v18, v18, v129
	v_add_f32_e32 v14, v6, v119
	ds_load_2addr_b64 v[5:8], v21 offset0:73 offset1:74
	v_add_f32_e32 v18, v18, v131
	v_add_f32_e32 v14, v14, v127
	s_delay_alu instid0(VALU_DEP_2) | instskip(NEXT) | instid1(VALU_DEP_2)
	v_add_f32_e32 v24, v18, v133
	v_add_f32_e32 v17, v14, v128
	ds_load_2addr_b64 v[13:16], v21 offset0:75 offset1:76
	v_add_f32_e32 v24, v24, v135
	s_delay_alu instid0(VALU_DEP_1)
	v_add_f32_e32 v24, v24, v137
	s_wait_loadcnt_dscnt 0x201
	v_mul_f32_e32 v22, v5, v10
	v_mul_f32_e32 v10, v6, v10
	;; [unrolled: 1-line block ×3, first 2 shown]
	v_dual_mul_f32 v12, v8, v12 :: v_dual_add_f32 v17, v17, v130
	s_delay_alu instid0(VALU_DEP_4) | instskip(NEXT) | instid1(VALU_DEP_4)
	v_fmac_f32_e32 v22, v6, v9
	v_fma_f32 v117, v5, v9, -v10
	s_delay_alu instid0(VALU_DEP_4) | instskip(NEXT) | instid1(VALU_DEP_4)
	v_fmac_f32_e32 v116, v8, v11
	v_fma_f32 v118, v7, v11, -v12
	s_clause 0x1
	scratch_load_b128 v[5:8], off, off offset:280
	scratch_load_b128 v[9:12], off, off offset:296
	v_dual_add_f32 v17, v17, v132 :: v_dual_add_f32 v24, v24, v139
	s_wait_loadcnt_dscnt 0x200
	s_delay_alu instid0(VALU_DEP_1) | instskip(NEXT) | instid1(VALU_DEP_1)
	v_dual_add_f32 v17, v17, v134 :: v_dual_mul_f32 v122, v15, v4
	v_add_f32_e32 v25, v17, v136
	scratch_load_b128 v[17:20], off, off offset:312
	v_mul_f32_e32 v119, v13, v2
	v_mul_f32_e32 v2, v14, v2
	v_dual_fmac_f32 v122, v16, v3 :: v_dual_add_f32 v25, v25, v138
	v_mul_f32_e32 v4, v16, v4
	s_delay_alu instid0(VALU_DEP_3) | instskip(SKIP_1) | instid1(VALU_DEP_4)
	v_fma_f32 v123, v13, v1, -v2
	v_add_f32_e32 v13, v24, v141
	v_add_f32_e32 v25, v25, v140
	s_delay_alu instid0(VALU_DEP_4) | instskip(NEXT) | instid1(VALU_DEP_3)
	v_fma_f32 v124, v15, v3, -v4
	v_add_f32_e32 v24, v13, v143
	s_delay_alu instid0(VALU_DEP_1) | instskip(NEXT) | instid1(VALU_DEP_1)
	v_add_f32_e32 v115, v24, v145
	v_add_f32_e32 v126, v115, v147
	s_delay_alu instid0(VALU_DEP_1) | instskip(NEXT) | instid1(VALU_DEP_1)
	v_add_f32_e32 v22, v126, v22
	v_dual_add_f32 v25, v25, v142 :: v_dual_add_f32 v22, v22, v116
	s_delay_alu instid0(VALU_DEP_1)
	v_dual_fmac_f32 v119, v14, v1 :: v_dual_add_f32 v14, v25, v144
	ds_load_2addr_b64 v[1:4], v21 offset0:77 offset1:78
	ds_load_2addr_b64 v[24:27], v21 offset0:81 offset1:82
	v_add_f32_e32 v22, v22, v119
	v_add_f32_e32 v114, v14, v146
	ds_load_2addr_b64 v[13:16], v21 offset0:79 offset1:80
	v_add_f32_e32 v22, v22, v122
	v_add_f32_e32 v125, v114, v148
	ds_load_b64 v[114:115], v21 offset:664
	s_wait_loadcnt_dscnt 0x203
	v_dual_add_f32 v117, v125, v117 :: v_dual_mul_f32 v116, v3, v8
	s_delay_alu instid0(VALU_DEP_1)
	v_add_f32_e32 v117, v117, v118
	v_dual_mul_f32 v125, v1, v6 :: v_dual_mul_f32 v8, v4, v8
	v_mul_f32_e32 v6, v2, v6
	s_wait_loadcnt_dscnt 0x101
	v_dual_mul_f32 v118, v13, v10 :: v_dual_mul_f32 v119, v15, v12
	v_add_f32_e32 v117, v117, v123
	v_dual_fmac_f32 v125, v2, v5 :: v_dual_fmac_f32 v116, v4, v7
	v_fma_f32 v1, v1, v5, -v6
	v_fma_f32 v2, v3, v7, -v8
	s_delay_alu instid0(VALU_DEP_3) | instskip(SKIP_2) | instid1(VALU_DEP_3)
	v_dual_add_f32 v117, v117, v124 :: v_dual_add_f32 v4, v22, v125
	v_dual_mul_f32 v5, v16, v12 :: v_dual_fmac_f32 v118, v14, v9
	v_mul_f32_e32 v3, v14, v10
	v_add_f32_e32 v1, v117, v1
	s_wait_dscnt 0x0
	v_dual_fmac_f32 v119, v16, v11 :: v_dual_mul_f32 v122, v114, v113
	v_fma_f32 v5, v15, v11, -v5
	s_delay_alu instid0(VALU_DEP_3) | instskip(SKIP_1) | instid1(VALU_DEP_4)
	v_dual_add_f32 v1, v1, v2 :: v_dual_add_f32 v2, v4, v116
	v_fma_f32 v3, v13, v9, -v3
	v_fmac_f32_e32 v122, v115, v112
	s_delay_alu instid0(VALU_DEP_2) | instskip(SKIP_1) | instid1(VALU_DEP_1)
	v_dual_add_f32 v2, v2, v118 :: v_dual_add_f32 v1, v1, v3
	s_wait_loadcnt 0x0
	v_dual_add_f32 v2, v2, v119 :: v_dual_mul_f32 v3, v27, v20
	v_mul_f32_e32 v123, v24, v18
	v_mul_f32_e32 v4, v25, v18
	v_mul_f32_e32 v124, v26, v20
	s_delay_alu instid0(VALU_DEP_4) | instskip(NEXT) | instid1(VALU_DEP_4)
	v_fma_f32 v3, v26, v19, -v3
	v_fmac_f32_e32 v123, v25, v17
	s_delay_alu instid0(VALU_DEP_4) | instskip(NEXT) | instid1(VALU_DEP_4)
	v_fma_f32 v4, v24, v17, -v4
	v_dual_fmac_f32 v124, v27, v19 :: v_dual_add_f32 v1, v1, v5
	s_delay_alu instid0(VALU_DEP_3) | instskip(NEXT) | instid1(VALU_DEP_1)
	v_dual_add_f32 v2, v2, v123 :: v_dual_mul_f32 v5, v115, v113
	v_add_f32_e32 v2, v2, v124
	s_delay_alu instid0(VALU_DEP_3) | instskip(NEXT) | instid1(VALU_DEP_3)
	v_add_f32_e32 v1, v1, v4
	v_fma_f32 v4, v114, v112, -v5
	s_delay_alu instid0(VALU_DEP_2) | instskip(NEXT) | instid1(VALU_DEP_1)
	v_dual_add_f32 v2, v2, v122 :: v_dual_add_f32 v1, v1, v3
	v_sub_f32_e32 v2, v121, v2
	s_delay_alu instid0(VALU_DEP_2) | instskip(NEXT) | instid1(VALU_DEP_1)
	v_add_f32_e32 v1, v1, v4
	v_sub_f32_e32 v1, v120, v1
	scratch_store_b64 off, v[1:2], off offset:48
	v_cmpx_lt_u32_e32 5, v0
	s_cbranch_execz .LBB105_255
; %bb.254:
	scratch_load_b64 v[1:2], off, off offset:40
	v_mov_b32_e32 v22, v21
	scratch_store_b64 off, v[21:22], off offset:40
	s_wait_loadcnt 0x0
	ds_store_b64 v23, v[1:2]
.LBB105_255:
	s_wait_alu 0xfffe
	s_or_b32 exec_lo, exec_lo, s0
	s_wait_storecnt_dscnt 0x0
	s_barrier_signal -1
	s_barrier_wait -1
	global_inv scope:SCOPE_SE
	s_clause 0x4
	scratch_load_b128 v[5:8], off, off offset:48
	scratch_load_b128 v[1:4], off, off offset:64
	scratch_load_b128 v[9:12], off, off offset:80
	scratch_load_b128 v[13:16], off, off offset:96
	scratch_load_b128 v[17:20], off, off offset:112
	ds_load_b128 v[24:27], v21 offset:384
	ds_load_b128 v[112:115], v21 offset:400
	;; [unrolled: 1-line block ×3, first 2 shown]
	scratch_load_b64 v[120:121], off, off offset:40
	s_mov_b32 s0, exec_lo
	s_wait_loadcnt_dscnt 0x502
	v_dual_mul_f32 v22, v25, v6 :: v_dual_mul_f32 v123, v26, v8
	v_mul_f32_e32 v122, v24, v6
	v_mul_f32_e32 v6, v27, v8
	s_wait_loadcnt_dscnt 0x300
	v_mul_f32_e32 v124, v118, v12
	v_fma_f32 v22, v24, v5, -v22
	v_dual_fmac_f32 v123, v27, v7 :: v_dual_fmac_f32 v122, v25, v5
	v_mul_f32_e32 v27, v116, v10
	v_mul_f32_e32 v25, v112, v2
	v_fma_f32 v24, v26, v7, -v6
	ds_load_b128 v[5:8], v21 offset:432
	v_mul_f32_e32 v26, v114, v4
	v_dual_mul_f32 v4, v115, v4 :: v_dual_fmac_f32 v27, v117, v9
	v_mul_f32_e32 v10, v117, v10
	v_mul_f32_e32 v12, v119, v12
	;; [unrolled: 1-line block ×3, first 2 shown]
	v_dual_fmac_f32 v25, v113, v1 :: v_dual_fmac_f32 v26, v115, v3
	v_fma_f32 v113, v114, v3, -v4
	v_fma_f32 v114, v116, v9, -v10
	v_fmac_f32_e32 v124, v119, v11
	v_fma_f32 v115, v118, v11, -v12
	ds_load_b128 v[9:12], v21 offset:448
	s_wait_loadcnt_dscnt 0x201
	v_mul_f32_e32 v117, v7, v16
	v_fma_f32 v112, v112, v1, -v2
	scratch_load_b128 v[1:4], off, off offset:128
	v_mul_f32_e32 v116, v5, v14
	v_mul_f32_e32 v14, v6, v14
	;; [unrolled: 1-line block ×3, first 2 shown]
	s_delay_alu instid0(VALU_DEP_3) | instskip(NEXT) | instid1(VALU_DEP_3)
	v_dual_fmac_f32 v117, v8, v15 :: v_dual_fmac_f32 v116, v6, v13
	v_fma_f32 v13, v5, v13, -v14
	s_delay_alu instid0(VALU_DEP_3)
	v_fma_f32 v14, v7, v15, -v16
	ds_load_b128 v[5:8], v21 offset:464
	s_wait_loadcnt_dscnt 0x201
	v_mul_f32_e32 v15, v9, v18
	v_mul_f32_e32 v16, v10, v18
	;; [unrolled: 1-line block ×3, first 2 shown]
	s_delay_alu instid0(VALU_DEP_3) | instskip(NEXT) | instid1(VALU_DEP_3)
	v_dual_mul_f32 v20, v12, v20 :: v_dual_fmac_f32 v15, v10, v17
	v_fma_f32 v16, v9, v17, -v16
	s_delay_alu instid0(VALU_DEP_3) | instskip(NEXT) | instid1(VALU_DEP_3)
	v_fmac_f32_e32 v18, v12, v19
	v_fma_f32 v17, v11, v19, -v20
	scratch_load_b128 v[9:12], off, off offset:144
	s_wait_loadcnt_dscnt 0x100
	v_mul_f32_e32 v19, v5, v2
	v_mul_f32_e32 v2, v6, v2
	;; [unrolled: 1-line block ×3, first 2 shown]
	s_delay_alu instid0(VALU_DEP_3) | instskip(NEXT) | instid1(VALU_DEP_3)
	v_dual_mul_f32 v4, v8, v4 :: v_dual_fmac_f32 v19, v6, v1
	v_fma_f32 v118, v5, v1, -v2
	s_delay_alu instid0(VALU_DEP_3) | instskip(NEXT) | instid1(VALU_DEP_3)
	v_fmac_f32_e32 v20, v8, v3
	v_fma_f32 v119, v7, v3, -v4
	ds_load_b128 v[1:4], v21 offset:480
	ds_load_b128 v[5:8], v21 offset:496
	s_wait_loadcnt_dscnt 0x1
	v_mul_f32_e32 v125, v1, v10
	v_mul_f32_e32 v10, v2, v10
	s_delay_alu instid0(VALU_DEP_2) | instskip(NEXT) | instid1(VALU_DEP_2)
	v_dual_mul_f32 v126, v3, v12 :: v_dual_fmac_f32 v125, v2, v9
	v_fma_f32 v127, v1, v9, -v10
	v_mul_f32_e32 v1, v4, v12
	s_delay_alu instid0(VALU_DEP_3) | instskip(NEXT) | instid1(VALU_DEP_2)
	v_fmac_f32_e32 v126, v4, v11
	v_fma_f32 v128, v3, v11, -v1
	s_clause 0x1
	scratch_load_b128 v[1:4], off, off offset:160
	scratch_load_b128 v[9:12], off, off offset:176
	s_wait_loadcnt_dscnt 0x100
	v_mul_f32_e32 v129, v5, v2
	v_dual_mul_f32 v2, v6, v2 :: v_dual_mul_f32 v131, v7, v4
	s_delay_alu instid0(VALU_DEP_2) | instskip(NEXT) | instid1(VALU_DEP_2)
	v_fmac_f32_e32 v129, v6, v1
	v_fma_f32 v130, v5, v1, -v2
	v_mul_f32_e32 v1, v8, v4
	s_delay_alu instid0(VALU_DEP_4) | instskip(NEXT) | instid1(VALU_DEP_2)
	v_fmac_f32_e32 v131, v8, v3
	v_fma_f32 v132, v7, v3, -v1
	ds_load_b128 v[1:4], v21 offset:512
	ds_load_b128 v[5:8], v21 offset:528
	s_wait_loadcnt_dscnt 0x1
	v_mul_f32_e32 v133, v1, v10
	v_mul_f32_e32 v135, v3, v12
	s_delay_alu instid0(VALU_DEP_2) | instskip(NEXT) | instid1(VALU_DEP_2)
	v_fmac_f32_e32 v133, v2, v9
	v_dual_mul_f32 v2, v2, v10 :: v_dual_fmac_f32 v135, v4, v11
	s_delay_alu instid0(VALU_DEP_1) | instskip(SKIP_1) | instid1(VALU_DEP_1)
	v_fma_f32 v134, v1, v9, -v2
	v_mul_f32_e32 v1, v4, v12
	v_fma_f32 v136, v3, v11, -v1
	s_clause 0x1
	scratch_load_b128 v[1:4], off, off offset:192
	scratch_load_b128 v[9:12], off, off offset:208
	s_wait_loadcnt_dscnt 0x100
	v_mul_f32_e32 v137, v5, v2
	v_dual_mul_f32 v2, v6, v2 :: v_dual_mul_f32 v139, v7, v4
	s_delay_alu instid0(VALU_DEP_2) | instskip(NEXT) | instid1(VALU_DEP_2)
	v_fmac_f32_e32 v137, v6, v1
	v_fma_f32 v138, v5, v1, -v2
	v_mul_f32_e32 v1, v8, v4
	s_delay_alu instid0(VALU_DEP_4) | instskip(NEXT) | instid1(VALU_DEP_2)
	v_fmac_f32_e32 v139, v8, v3
	v_fma_f32 v140, v7, v3, -v1
	ds_load_b128 v[1:4], v21 offset:544
	ds_load_b128 v[5:8], v21 offset:560
	s_wait_loadcnt_dscnt 0x1
	v_mul_f32_e32 v141, v1, v10
	v_mul_f32_e32 v143, v3, v12
	s_delay_alu instid0(VALU_DEP_2) | instskip(NEXT) | instid1(VALU_DEP_2)
	v_fmac_f32_e32 v141, v2, v9
	v_dual_mul_f32 v2, v2, v10 :: v_dual_fmac_f32 v143, v4, v11
	s_delay_alu instid0(VALU_DEP_1) | instskip(SKIP_1) | instid1(VALU_DEP_1)
	v_fma_f32 v142, v1, v9, -v2
	v_mul_f32_e32 v1, v4, v12
	;; [unrolled: 25-line block ×3, first 2 shown]
	v_fma_f32 v152, v3, v11, -v1
	s_clause 0x1
	scratch_load_b128 v[1:4], off, off offset:256
	scratch_load_b128 v[9:12], off, off offset:272
	s_wait_loadcnt_dscnt 0x100
	v_mul_f32_e32 v153, v5, v2
	v_mul_f32_e32 v2, v6, v2
	s_delay_alu instid0(VALU_DEP_1) | instskip(SKIP_1) | instid1(VALU_DEP_1)
	v_fma_f32 v154, v5, v1, -v2
	v_add_f32_e32 v2, 0, v122
	v_add_f32_e32 v2, v2, v123
	s_delay_alu instid0(VALU_DEP_1) | instskip(NEXT) | instid1(VALU_DEP_1)
	v_add_f32_e32 v2, v2, v25
	v_add_f32_e32 v2, v2, v26
	s_delay_alu instid0(VALU_DEP_1) | instskip(NEXT) | instid1(VALU_DEP_1)
	;; [unrolled: 3-line block ×4, first 2 shown]
	v_dual_add_f32 v2, v2, v15 :: v_dual_mul_f32 v155, v7, v4
	v_add_f32_e32 v2, v2, v18
	s_delay_alu instid0(VALU_DEP_1) | instskip(SKIP_2) | instid1(VALU_DEP_3)
	v_add_f32_e32 v2, v2, v19
	v_fmac_f32_e32 v153, v6, v1
	v_mul_f32_e32 v1, v8, v4
	v_dual_fmac_f32 v155, v8, v3 :: v_dual_add_f32 v2, v2, v20
	s_delay_alu instid0(VALU_DEP_2) | instskip(SKIP_1) | instid1(VALU_DEP_3)
	v_fma_f32 v156, v7, v3, -v1
	v_add_f32_e32 v1, 0, v22
	v_add_f32_e32 v5, v2, v125
	s_delay_alu instid0(VALU_DEP_2) | instskip(NEXT) | instid1(VALU_DEP_2)
	v_add_f32_e32 v1, v1, v24
	v_add_f32_e32 v5, v5, v126
	s_delay_alu instid0(VALU_DEP_2) | instskip(NEXT) | instid1(VALU_DEP_2)
	v_add_f32_e32 v1, v1, v112
	v_add_f32_e32 v5, v5, v129
	s_delay_alu instid0(VALU_DEP_2) | instskip(NEXT) | instid1(VALU_DEP_1)
	v_add_f32_e32 v1, v1, v113
	v_add_f32_e32 v1, v1, v114
	s_delay_alu instid0(VALU_DEP_1) | instskip(NEXT) | instid1(VALU_DEP_1)
	v_add_f32_e32 v1, v1, v115
	v_add_f32_e32 v1, v1, v13
	s_delay_alu instid0(VALU_DEP_1) | instskip(SKIP_1) | instid1(VALU_DEP_1)
	v_add_f32_e32 v1, v1, v14
	v_add_f32_e32 v14, v5, v131
	;; [unrolled: 1-line block ×3, first 2 shown]
	s_delay_alu instid0(VALU_DEP_1) | instskip(NEXT) | instid1(VALU_DEP_1)
	v_dual_add_f32 v14, v14, v135 :: v_dual_add_f32 v1, v1, v16
	v_add_f32_e32 v1, v1, v17
	s_delay_alu instid0(VALU_DEP_2) | instskip(NEXT) | instid1(VALU_DEP_2)
	v_add_f32_e32 v17, v14, v137
	v_add_f32_e32 v1, v1, v118
	s_delay_alu instid0(VALU_DEP_2) | instskip(NEXT) | instid1(VALU_DEP_2)
	v_add_f32_e32 v17, v17, v139
	;; [unrolled: 3-line block ×4, first 2 shown]
	v_add_f32_e32 v6, v1, v128
	ds_load_b128 v[1:4], v21 offset:608
	v_dual_add_f32 v25, v17, v145 :: v_dual_add_f32 v6, v6, v130
	s_delay_alu instid0(VALU_DEP_1)
	v_dual_add_f32 v116, v25, v147 :: v_dual_add_f32 v13, v6, v132
	ds_load_b128 v[5:8], v21 offset:624
	s_wait_loadcnt_dscnt 0x1
	v_mul_f32_e32 v22, v1, v10
	v_mul_f32_e32 v112, v3, v12
	;; [unrolled: 1-line block ×4, first 2 shown]
	s_delay_alu instid0(VALU_DEP_4) | instskip(NEXT) | instid1(VALU_DEP_4)
	v_fmac_f32_e32 v22, v2, v9
	v_fmac_f32_e32 v112, v4, v11
	s_delay_alu instid0(VALU_DEP_4) | instskip(NEXT) | instid1(VALU_DEP_4)
	v_fma_f32 v113, v1, v9, -v10
	v_fma_f32 v114, v3, v11, -v12
	s_clause 0x1
	scratch_load_b128 v[1:4], off, off offset:288
	scratch_load_b128 v[9:12], off, off offset:304
	v_add_f32_e32 v13, v13, v134
	s_delay_alu instid0(VALU_DEP_1) | instskip(NEXT) | instid1(VALU_DEP_1)
	v_add_f32_e32 v13, v13, v136
	v_add_f32_e32 v13, v13, v138
	s_delay_alu instid0(VALU_DEP_1) | instskip(SKIP_2) | instid1(VALU_DEP_1)
	v_add_f32_e32 v18, v13, v140
	scratch_load_b128 v[13:16], off, off offset:320
	v_add_f32_e32 v18, v18, v142
	v_add_f32_e32 v18, v18, v144
	s_delay_alu instid0(VALU_DEP_1)
	v_add_f32_e32 v24, v18, v146
	ds_load_b128 v[17:20], v21 offset:640
	v_add_f32_e32 v115, v24, v148
	ds_load_b128 v[24:27], v21 offset:656
	s_wait_loadcnt_dscnt 0x101
	v_dual_mul_f32 v117, v7, v4 :: v_dual_mul_f32 v118, v17, v10
	v_add_f32_e32 v21, v115, v150
	v_dual_add_f32 v115, v116, v149 :: v_dual_mul_f32 v116, v5, v2
	v_mul_f32_e32 v2, v6, v2
	v_mul_f32_e32 v4, v8, v4
	s_delay_alu instid0(VALU_DEP_4) | instskip(NEXT) | instid1(VALU_DEP_4)
	v_add_f32_e32 v21, v21, v152
	v_dual_fmac_f32 v117, v8, v3 :: v_dual_fmac_f32 v116, v6, v1
	s_delay_alu instid0(VALU_DEP_4) | instskip(SKIP_1) | instid1(VALU_DEP_4)
	v_fma_f32 v2, v5, v1, -v2
	v_mul_f32_e32 v6, v18, v10
	v_add_f32_e32 v21, v21, v154
	v_fma_f32 v3, v7, v3, -v4
	v_mul_f32_e32 v119, v19, v12
	v_mul_f32_e32 v4, v20, v12
	s_delay_alu instid0(VALU_DEP_4)
	v_dual_fmac_f32 v118, v18, v9 :: v_dual_add_f32 v21, v21, v156
	s_wait_loadcnt_dscnt 0x0
	v_dual_mul_f32 v122, v24, v14 :: v_dual_add_f32 v115, v115, v151
	v_fmac_f32_e32 v119, v20, v11
	v_fma_f32 v4, v19, v11, -v4
	v_add_f32_e32 v21, v21, v113
	s_delay_alu instid0(VALU_DEP_4) | instskip(SKIP_2) | instid1(VALU_DEP_4)
	v_fmac_f32_e32 v122, v25, v13
	v_add_f32_e32 v115, v115, v153
	v_mul_f32_e32 v113, v26, v16
	v_add_f32_e32 v1, v21, v114
	s_delay_alu instid0(VALU_DEP_3) | instskip(NEXT) | instid1(VALU_DEP_3)
	v_add_f32_e32 v115, v115, v155
	v_fmac_f32_e32 v113, v27, v15
	s_delay_alu instid0(VALU_DEP_3) | instskip(NEXT) | instid1(VALU_DEP_1)
	v_add_f32_e32 v1, v1, v2
	v_dual_add_f32 v22, v115, v22 :: v_dual_add_f32 v1, v1, v3
	v_mul_f32_e32 v3, v25, v14
	s_delay_alu instid0(VALU_DEP_2) | instskip(NEXT) | instid1(VALU_DEP_2)
	v_add_f32_e32 v5, v22, v112
	v_fma_f32 v3, v24, v13, -v3
	s_delay_alu instid0(VALU_DEP_2) | instskip(SKIP_1) | instid1(VALU_DEP_2)
	v_add_f32_e32 v2, v5, v116
	v_fma_f32 v5, v17, v9, -v6
	v_add_f32_e32 v2, v2, v117
	s_delay_alu instid0(VALU_DEP_2) | instskip(NEXT) | instid1(VALU_DEP_2)
	v_add_f32_e32 v1, v1, v5
	v_dual_mul_f32 v5, v27, v16 :: v_dual_add_f32 v2, v2, v118
	s_delay_alu instid0(VALU_DEP_2) | instskip(NEXT) | instid1(VALU_DEP_2)
	v_add_f32_e32 v1, v1, v4
	v_fma_f32 v4, v26, v15, -v5
	s_delay_alu instid0(VALU_DEP_3) | instskip(NEXT) | instid1(VALU_DEP_1)
	v_add_f32_e32 v2, v2, v119
	v_dual_add_f32 v1, v1, v3 :: v_dual_add_f32 v2, v2, v122
	s_delay_alu instid0(VALU_DEP_1) | instskip(NEXT) | instid1(VALU_DEP_1)
	v_dual_add_f32 v1, v1, v4 :: v_dual_add_f32 v2, v2, v113
	v_dual_sub_f32 v1, v120, v1 :: v_dual_sub_f32 v2, v121, v2
	scratch_store_b64 off, v[1:2], off offset:40
	v_cmpx_lt_u32_e32 4, v0
	s_cbranch_execz .LBB105_257
; %bb.256:
	scratch_load_b64 v[1:2], off, off offset:32
	v_mov_b32_e32 v3, 0
	s_delay_alu instid0(VALU_DEP_1)
	v_mov_b32_e32 v4, v3
	scratch_store_b64 off, v[3:4], off offset:32
	s_wait_loadcnt 0x0
	ds_store_b64 v23, v[1:2]
.LBB105_257:
	s_wait_alu 0xfffe
	s_or_b32 exec_lo, exec_lo, s0
	s_wait_storecnt_dscnt 0x0
	s_barrier_signal -1
	s_barrier_wait -1
	global_inv scope:SCOPE_SE
	s_clause 0x4
	scratch_load_b128 v[5:8], off, off offset:40
	scratch_load_b128 v[1:4], off, off offset:56
	scratch_load_b128 v[9:12], off, off offset:72
	scratch_load_b128 v[13:16], off, off offset:88
	scratch_load_b128 v[17:20], off, off offset:104
	v_mov_b32_e32 v21, 0
	ds_load_2addr_b64 v[24:27], v21 offset0:47 offset1:48
	ds_load_2addr_b64 v[112:115], v21 offset0:49 offset1:50
	;; [unrolled: 1-line block ×3, first 2 shown]
	scratch_load_b64 v[120:121], off, off offset:32
	s_mov_b32 s0, exec_lo
	s_wait_loadcnt_dscnt 0x502
	v_mul_f32_e32 v22, v25, v6
	v_dual_mul_f32 v122, v24, v6 :: v_dual_mul_f32 v123, v26, v8
	v_mul_f32_e32 v6, v27, v8
	s_delay_alu instid0(VALU_DEP_3) | instskip(NEXT) | instid1(VALU_DEP_3)
	v_fma_f32 v22, v24, v5, -v22
	v_dual_fmac_f32 v122, v25, v5 :: v_dual_fmac_f32 v123, v27, v7
	s_wait_loadcnt_dscnt 0x401
	v_mul_f32_e32 v25, v112, v2
	v_fma_f32 v24, v26, v7, -v6
	ds_load_2addr_b64 v[5:8], v21 offset0:53 offset1:54
	s_wait_loadcnt_dscnt 0x301
	v_dual_mul_f32 v26, v114, v4 :: v_dual_mul_f32 v27, v116, v10
	v_dual_mul_f32 v4, v115, v4 :: v_dual_fmac_f32 v25, v113, v1
	v_mul_f32_e32 v10, v117, v10
	s_delay_alu instid0(VALU_DEP_3)
	v_dual_mul_f32 v124, v118, v12 :: v_dual_fmac_f32 v27, v117, v9
	v_mul_f32_e32 v12, v119, v12
	v_mul_f32_e32 v2, v113, v2
	v_fmac_f32_e32 v26, v115, v3
	v_fma_f32 v113, v114, v3, -v4
	v_fma_f32 v114, v116, v9, -v10
	v_fmac_f32_e32 v124, v119, v11
	v_fma_f32 v115, v118, v11, -v12
	ds_load_2addr_b64 v[9:12], v21 offset0:55 offset1:56
	s_wait_loadcnt_dscnt 0x201
	v_mul_f32_e32 v117, v7, v16
	v_fma_f32 v112, v112, v1, -v2
	scratch_load_b128 v[1:4], off, off offset:120
	v_mul_f32_e32 v116, v5, v14
	v_mul_f32_e32 v14, v6, v14
	v_mul_f32_e32 v16, v8, v16
	s_delay_alu instid0(VALU_DEP_3) | instskip(NEXT) | instid1(VALU_DEP_3)
	v_dual_fmac_f32 v117, v8, v15 :: v_dual_fmac_f32 v116, v6, v13
	v_fma_f32 v13, v5, v13, -v14
	s_delay_alu instid0(VALU_DEP_3)
	v_fma_f32 v14, v7, v15, -v16
	ds_load_2addr_b64 v[5:8], v21 offset0:57 offset1:58
	s_wait_loadcnt_dscnt 0x201
	v_mul_f32_e32 v15, v9, v18
	v_mul_f32_e32 v16, v10, v18
	;; [unrolled: 1-line block ×3, first 2 shown]
	s_delay_alu instid0(VALU_DEP_3) | instskip(NEXT) | instid1(VALU_DEP_3)
	v_dual_mul_f32 v20, v12, v20 :: v_dual_fmac_f32 v15, v10, v17
	v_fma_f32 v16, v9, v17, -v16
	s_delay_alu instid0(VALU_DEP_3) | instskip(NEXT) | instid1(VALU_DEP_3)
	v_fmac_f32_e32 v18, v12, v19
	v_fma_f32 v17, v11, v19, -v20
	scratch_load_b128 v[9:12], off, off offset:136
	s_wait_loadcnt_dscnt 0x100
	v_mul_f32_e32 v19, v5, v2
	v_mul_f32_e32 v2, v6, v2
	;; [unrolled: 1-line block ×3, first 2 shown]
	s_delay_alu instid0(VALU_DEP_3) | instskip(NEXT) | instid1(VALU_DEP_3)
	v_dual_mul_f32 v4, v8, v4 :: v_dual_fmac_f32 v19, v6, v1
	v_fma_f32 v118, v5, v1, -v2
	s_delay_alu instid0(VALU_DEP_3) | instskip(NEXT) | instid1(VALU_DEP_3)
	v_fmac_f32_e32 v20, v8, v3
	v_fma_f32 v119, v7, v3, -v4
	ds_load_2addr_b64 v[1:4], v21 offset0:59 offset1:60
	ds_load_2addr_b64 v[5:8], v21 offset0:61 offset1:62
	s_wait_loadcnt_dscnt 0x1
	v_mul_f32_e32 v125, v1, v10
	v_mul_f32_e32 v10, v2, v10
	s_delay_alu instid0(VALU_DEP_2) | instskip(NEXT) | instid1(VALU_DEP_2)
	v_dual_mul_f32 v126, v3, v12 :: v_dual_fmac_f32 v125, v2, v9
	v_fma_f32 v127, v1, v9, -v10
	v_mul_f32_e32 v1, v4, v12
	s_delay_alu instid0(VALU_DEP_3) | instskip(NEXT) | instid1(VALU_DEP_2)
	v_fmac_f32_e32 v126, v4, v11
	v_fma_f32 v128, v3, v11, -v1
	s_clause 0x1
	scratch_load_b128 v[1:4], off, off offset:152
	scratch_load_b128 v[9:12], off, off offset:168
	s_wait_loadcnt_dscnt 0x100
	v_mul_f32_e32 v129, v5, v2
	v_dual_mul_f32 v2, v6, v2 :: v_dual_mul_f32 v131, v7, v4
	s_delay_alu instid0(VALU_DEP_2) | instskip(NEXT) | instid1(VALU_DEP_2)
	v_fmac_f32_e32 v129, v6, v1
	v_fma_f32 v130, v5, v1, -v2
	v_mul_f32_e32 v1, v8, v4
	s_delay_alu instid0(VALU_DEP_4) | instskip(NEXT) | instid1(VALU_DEP_2)
	v_fmac_f32_e32 v131, v8, v3
	v_fma_f32 v132, v7, v3, -v1
	ds_load_2addr_b64 v[1:4], v21 offset0:63 offset1:64
	ds_load_2addr_b64 v[5:8], v21 offset0:65 offset1:66
	s_wait_loadcnt_dscnt 0x1
	v_mul_f32_e32 v133, v1, v10
	v_mul_f32_e32 v135, v3, v12
	s_delay_alu instid0(VALU_DEP_2) | instskip(NEXT) | instid1(VALU_DEP_2)
	v_fmac_f32_e32 v133, v2, v9
	v_dual_mul_f32 v2, v2, v10 :: v_dual_fmac_f32 v135, v4, v11
	s_delay_alu instid0(VALU_DEP_1) | instskip(SKIP_1) | instid1(VALU_DEP_1)
	v_fma_f32 v134, v1, v9, -v2
	v_mul_f32_e32 v1, v4, v12
	v_fma_f32 v136, v3, v11, -v1
	s_clause 0x1
	scratch_load_b128 v[1:4], off, off offset:184
	scratch_load_b128 v[9:12], off, off offset:200
	s_wait_loadcnt_dscnt 0x100
	v_mul_f32_e32 v137, v5, v2
	v_dual_mul_f32 v139, v7, v4 :: v_dual_mul_f32 v2, v6, v2
	s_delay_alu instid0(VALU_DEP_2) | instskip(NEXT) | instid1(VALU_DEP_2)
	v_fmac_f32_e32 v137, v6, v1
	v_fmac_f32_e32 v139, v8, v3
	s_delay_alu instid0(VALU_DEP_3) | instskip(SKIP_1) | instid1(VALU_DEP_1)
	v_fma_f32 v138, v5, v1, -v2
	v_mul_f32_e32 v1, v8, v4
	v_fma_f32 v140, v7, v3, -v1
	ds_load_2addr_b64 v[1:4], v21 offset0:67 offset1:68
	ds_load_2addr_b64 v[5:8], v21 offset0:69 offset1:70
	s_wait_loadcnt_dscnt 0x1
	v_mul_f32_e32 v141, v1, v10
	v_mul_f32_e32 v143, v3, v12
	s_delay_alu instid0(VALU_DEP_2) | instskip(NEXT) | instid1(VALU_DEP_2)
	v_fmac_f32_e32 v141, v2, v9
	v_dual_mul_f32 v2, v2, v10 :: v_dual_fmac_f32 v143, v4, v11
	s_delay_alu instid0(VALU_DEP_1) | instskip(SKIP_1) | instid1(VALU_DEP_1)
	v_fma_f32 v142, v1, v9, -v2
	v_mul_f32_e32 v1, v4, v12
	v_fma_f32 v144, v3, v11, -v1
	s_clause 0x1
	scratch_load_b128 v[1:4], off, off offset:216
	scratch_load_b128 v[9:12], off, off offset:232
	s_wait_loadcnt_dscnt 0x100
	v_mul_f32_e32 v145, v5, v2
	v_dual_mul_f32 v2, v6, v2 :: v_dual_mul_f32 v147, v7, v4
	s_delay_alu instid0(VALU_DEP_2) | instskip(NEXT) | instid1(VALU_DEP_2)
	v_fmac_f32_e32 v145, v6, v1
	v_fma_f32 v146, v5, v1, -v2
	v_mul_f32_e32 v1, v8, v4
	s_delay_alu instid0(VALU_DEP_4) | instskip(NEXT) | instid1(VALU_DEP_2)
	v_fmac_f32_e32 v147, v8, v3
	v_fma_f32 v148, v7, v3, -v1
	ds_load_2addr_b64 v[1:4], v21 offset0:71 offset1:72
	ds_load_2addr_b64 v[5:8], v21 offset0:73 offset1:74
	s_wait_loadcnt_dscnt 0x1
	v_mul_f32_e32 v149, v1, v10
	v_mul_f32_e32 v151, v3, v12
	s_delay_alu instid0(VALU_DEP_2) | instskip(NEXT) | instid1(VALU_DEP_2)
	v_fmac_f32_e32 v149, v2, v9
	v_dual_mul_f32 v2, v2, v10 :: v_dual_fmac_f32 v151, v4, v11
	s_delay_alu instid0(VALU_DEP_1) | instskip(SKIP_1) | instid1(VALU_DEP_1)
	v_fma_f32 v150, v1, v9, -v2
	v_mul_f32_e32 v1, v4, v12
	v_fma_f32 v152, v3, v11, -v1
	s_clause 0x1
	scratch_load_b128 v[1:4], off, off offset:248
	scratch_load_b128 v[9:12], off, off offset:264
	s_wait_loadcnt_dscnt 0x100
	v_mul_f32_e32 v153, v5, v2
	v_mul_f32_e32 v2, v6, v2
	s_delay_alu instid0(VALU_DEP_1) | instskip(SKIP_1) | instid1(VALU_DEP_1)
	v_fma_f32 v154, v5, v1, -v2
	v_add_f32_e32 v2, 0, v122
	v_add_f32_e32 v2, v2, v123
	s_delay_alu instid0(VALU_DEP_1) | instskip(NEXT) | instid1(VALU_DEP_1)
	v_add_f32_e32 v2, v2, v25
	v_add_f32_e32 v2, v2, v26
	s_delay_alu instid0(VALU_DEP_1) | instskip(NEXT) | instid1(VALU_DEP_1)
	;; [unrolled: 3-line block ×4, first 2 shown]
	v_add_f32_e32 v2, v2, v15
	v_add_f32_e32 v2, v2, v18
	s_delay_alu instid0(VALU_DEP_1) | instskip(SKIP_2) | instid1(VALU_DEP_3)
	v_add_f32_e32 v2, v2, v19
	v_fmac_f32_e32 v153, v6, v1
	v_mul_f32_e32 v1, v8, v4
	v_add_f32_e32 v2, v2, v20
	s_delay_alu instid0(VALU_DEP_2) | instskip(SKIP_1) | instid1(VALU_DEP_1)
	v_fma_f32 v156, v7, v3, -v1
	v_add_f32_e32 v1, 0, v22
	v_add_f32_e32 v1, v1, v24
	s_delay_alu instid0(VALU_DEP_1) | instskip(NEXT) | instid1(VALU_DEP_1)
	v_add_f32_e32 v1, v1, v112
	v_add_f32_e32 v1, v1, v113
	scratch_load_b64 v[112:113], off, off offset:328
	v_add_f32_e32 v1, v1, v114
	s_delay_alu instid0(VALU_DEP_1) | instskip(NEXT) | instid1(VALU_DEP_1)
	v_add_f32_e32 v1, v1, v115
	v_add_f32_e32 v1, v1, v13
	s_delay_alu instid0(VALU_DEP_1) | instskip(NEXT) | instid1(VALU_DEP_1)
	v_add_f32_e32 v1, v1, v14
	;; [unrolled: 3-line block ×5, first 2 shown]
	v_dual_mul_f32 v155, v7, v4 :: v_dual_add_f32 v6, v6, v130
	s_delay_alu instid0(VALU_DEP_1) | instskip(NEXT) | instid1(VALU_DEP_2)
	v_fmac_f32_e32 v155, v8, v3
	v_add_f32_e32 v13, v6, v132
	s_delay_alu instid0(VALU_DEP_1) | instskip(NEXT) | instid1(VALU_DEP_1)
	v_add_f32_e32 v13, v13, v134
	v_add_f32_e32 v13, v13, v136
	s_delay_alu instid0(VALU_DEP_1) | instskip(SKIP_4) | instid1(VALU_DEP_1)
	v_add_f32_e32 v13, v13, v138
	v_add_f32_e32 v5, v2, v125
	ds_load_2addr_b64 v[1:4], v21 offset0:75 offset1:76
	v_add_f32_e32 v18, v13, v140
	v_add_f32_e32 v5, v5, v126
	v_dual_add_f32 v18, v18, v142 :: v_dual_add_f32 v5, v5, v129
	s_delay_alu instid0(VALU_DEP_1) | instskip(NEXT) | instid1(VALU_DEP_2)
	v_add_f32_e32 v18, v18, v144
	v_add_f32_e32 v14, v5, v131
	ds_load_2addr_b64 v[5:8], v21 offset0:77 offset1:78
	v_add_f32_e32 v18, v18, v146
	v_add_f32_e32 v14, v14, v133
	s_wait_loadcnt_dscnt 0x101
	v_mul_f32_e32 v22, v1, v10
	v_mul_f32_e32 v10, v2, v10
	;; [unrolled: 1-line block ×4, first 2 shown]
	v_add_f32_e32 v14, v14, v135
	v_fmac_f32_e32 v22, v2, v9
	v_fma_f32 v117, v1, v9, -v10
	v_fmac_f32_e32 v116, v4, v11
	v_fma_f32 v118, v3, v11, -v12
	s_clause 0x1
	scratch_load_b128 v[1:4], off, off offset:280
	scratch_load_b128 v[9:12], off, off offset:296
	v_add_f32_e32 v17, v14, v137
	scratch_load_b128 v[13:16], off, off offset:312
	v_dual_add_f32 v18, v18, v148 :: v_dual_add_f32 v17, v17, v139
	s_delay_alu instid0(VALU_DEP_1) | instskip(NEXT) | instid1(VALU_DEP_1)
	v_dual_add_f32 v114, v18, v150 :: v_dual_add_f32 v17, v17, v141
	v_add_f32_e32 v119, v114, v152
	s_wait_loadcnt_dscnt 0x200
	s_delay_alu instid0(VALU_DEP_2) | instskip(NEXT) | instid1(VALU_DEP_1)
	v_dual_add_f32 v17, v17, v143 :: v_dual_mul_f32 v124, v7, v4
	v_dual_add_f32 v17, v17, v145 :: v_dual_mul_f32 v4, v8, v4
	s_delay_alu instid0(VALU_DEP_2) | instskip(NEXT) | instid1(VALU_DEP_2)
	v_dual_fmac_f32 v124, v8, v3 :: v_dual_mul_f32 v123, v5, v2
	v_add_f32_e32 v24, v17, v147
	ds_load_2addr_b64 v[17:20], v21 offset0:79 offset1:80
	v_mul_f32_e32 v2, v6, v2
	v_fmac_f32_e32 v123, v6, v1
	v_add_f32_e32 v119, v119, v154
	s_delay_alu instid0(VALU_DEP_3) | instskip(SKIP_1) | instid1(VALU_DEP_3)
	v_fma_f32 v2, v5, v1, -v2
	v_fma_f32 v1, v7, v3, -v4
	v_add_f32_e32 v119, v119, v156
	s_delay_alu instid0(VALU_DEP_1) | instskip(NEXT) | instid1(VALU_DEP_1)
	v_add_f32_e32 v117, v119, v117
	v_add_f32_e32 v117, v117, v118
	;; [unrolled: 1-line block ×3, first 2 shown]
	ds_load_2addr_b64 v[24:27], v21 offset0:81 offset1:82
	s_wait_loadcnt_dscnt 0x101
	v_mul_f32_e32 v3, v18, v10
	v_add_f32_e32 v2, v117, v2
	v_add_f32_e32 v122, v115, v151
	ds_load_b64 v[114:115], v21 offset:664
	v_fma_f32 v3, v17, v9, -v3
	v_add_f32_e32 v1, v2, v1
	v_add_f32_e32 v122, v122, v153
	s_delay_alu instid0(VALU_DEP_1) | instskip(NEXT) | instid1(VALU_DEP_1)
	v_add_f32_e32 v122, v122, v155
	v_add_f32_e32 v22, v122, v22
	s_wait_loadcnt_dscnt 0x1
	v_dual_mul_f32 v118, v26, v16 :: v_dual_mul_f32 v119, v17, v10
	v_mul_f32_e32 v122, v19, v12
	s_delay_alu instid0(VALU_DEP_3) | instskip(NEXT) | instid1(VALU_DEP_3)
	v_add_f32_e32 v22, v22, v116
	v_dual_fmac_f32 v118, v27, v15 :: v_dual_fmac_f32 v119, v18, v9
	s_wait_dscnt 0x0
	v_dual_mul_f32 v116, v114, v113 :: v_dual_mul_f32 v125, v24, v14
	s_delay_alu instid0(VALU_DEP_3) | instskip(SKIP_1) | instid1(VALU_DEP_3)
	v_add_f32_e32 v4, v22, v123
	v_fmac_f32_e32 v122, v20, v11
	v_dual_fmac_f32 v116, v115, v112 :: v_dual_fmac_f32 v125, v25, v13
	s_delay_alu instid0(VALU_DEP_3) | instskip(SKIP_1) | instid1(VALU_DEP_2)
	v_add_f32_e32 v2, v4, v124
	v_mul_f32_e32 v4, v25, v14
	v_dual_add_f32 v2, v2, v119 :: v_dual_mul_f32 v5, v20, v12
	s_delay_alu instid0(VALU_DEP_2) | instskip(NEXT) | instid1(VALU_DEP_2)
	v_fma_f32 v4, v24, v13, -v4
	v_add_f32_e32 v2, v2, v122
	s_delay_alu instid0(VALU_DEP_3) | instskip(NEXT) | instid1(VALU_DEP_2)
	v_fma_f32 v5, v19, v11, -v5
	v_dual_add_f32 v2, v2, v125 :: v_dual_add_f32 v1, v1, v3
	s_delay_alu instid0(VALU_DEP_1) | instskip(NEXT) | instid1(VALU_DEP_2)
	v_dual_mul_f32 v3, v27, v16 :: v_dual_add_f32 v2, v2, v118
	v_add_f32_e32 v1, v1, v5
	v_mul_f32_e32 v5, v115, v113
	s_delay_alu instid0(VALU_DEP_3) | instskip(NEXT) | instid1(VALU_DEP_4)
	v_fma_f32 v3, v26, v15, -v3
	v_add_f32_e32 v2, v2, v116
	s_delay_alu instid0(VALU_DEP_4) | instskip(NEXT) | instid1(VALU_DEP_4)
	v_add_f32_e32 v1, v1, v4
	v_fma_f32 v4, v114, v112, -v5
	s_delay_alu instid0(VALU_DEP_3) | instskip(NEXT) | instid1(VALU_DEP_3)
	v_sub_f32_e32 v2, v121, v2
	v_add_f32_e32 v1, v1, v3
	s_delay_alu instid0(VALU_DEP_1) | instskip(NEXT) | instid1(VALU_DEP_1)
	v_add_f32_e32 v1, v1, v4
	v_sub_f32_e32 v1, v120, v1
	scratch_store_b64 off, v[1:2], off offset:32
	v_cmpx_lt_u32_e32 3, v0
	s_cbranch_execz .LBB105_259
; %bb.258:
	scratch_load_b64 v[1:2], off, off offset:24
	v_mov_b32_e32 v22, v21
	scratch_store_b64 off, v[21:22], off offset:24
	s_wait_loadcnt 0x0
	ds_store_b64 v23, v[1:2]
.LBB105_259:
	s_wait_alu 0xfffe
	s_or_b32 exec_lo, exec_lo, s0
	s_wait_storecnt_dscnt 0x0
	s_barrier_signal -1
	s_barrier_wait -1
	global_inv scope:SCOPE_SE
	s_clause 0x4
	scratch_load_b128 v[5:8], off, off offset:32
	scratch_load_b128 v[1:4], off, off offset:48
	;; [unrolled: 1-line block ×5, first 2 shown]
	ds_load_b128 v[24:27], v21 offset:368
	ds_load_b128 v[112:115], v21 offset:384
	;; [unrolled: 1-line block ×3, first 2 shown]
	scratch_load_b64 v[120:121], off, off offset:24
	s_mov_b32 s0, exec_lo
	s_wait_loadcnt_dscnt 0x502
	v_dual_mul_f32 v22, v25, v6 :: v_dual_mul_f32 v123, v26, v8
	v_mul_f32_e32 v122, v24, v6
	v_mul_f32_e32 v6, v27, v8
	s_wait_loadcnt_dscnt 0x300
	v_mul_f32_e32 v124, v118, v12
	v_fma_f32 v22, v24, v5, -v22
	v_dual_fmac_f32 v123, v27, v7 :: v_dual_fmac_f32 v122, v25, v5
	v_mul_f32_e32 v27, v116, v10
	v_mul_f32_e32 v25, v112, v2
	v_fma_f32 v24, v26, v7, -v6
	ds_load_b128 v[5:8], v21 offset:416
	v_mul_f32_e32 v26, v114, v4
	v_dual_mul_f32 v4, v115, v4 :: v_dual_fmac_f32 v27, v117, v9
	v_mul_f32_e32 v10, v117, v10
	v_mul_f32_e32 v12, v119, v12
	v_mul_f32_e32 v2, v113, v2
	v_dual_fmac_f32 v25, v113, v1 :: v_dual_fmac_f32 v26, v115, v3
	v_fma_f32 v113, v114, v3, -v4
	v_fma_f32 v114, v116, v9, -v10
	v_fmac_f32_e32 v124, v119, v11
	v_fma_f32 v115, v118, v11, -v12
	ds_load_b128 v[9:12], v21 offset:432
	s_wait_loadcnt_dscnt 0x201
	v_mul_f32_e32 v117, v7, v16
	v_fma_f32 v112, v112, v1, -v2
	scratch_load_b128 v[1:4], off, off offset:112
	v_mul_f32_e32 v116, v5, v14
	v_mul_f32_e32 v14, v6, v14
	;; [unrolled: 1-line block ×3, first 2 shown]
	s_delay_alu instid0(VALU_DEP_3) | instskip(NEXT) | instid1(VALU_DEP_3)
	v_dual_fmac_f32 v117, v8, v15 :: v_dual_fmac_f32 v116, v6, v13
	v_fma_f32 v13, v5, v13, -v14
	s_delay_alu instid0(VALU_DEP_3)
	v_fma_f32 v14, v7, v15, -v16
	ds_load_b128 v[5:8], v21 offset:448
	s_wait_loadcnt_dscnt 0x201
	v_mul_f32_e32 v15, v9, v18
	v_mul_f32_e32 v16, v10, v18
	;; [unrolled: 1-line block ×3, first 2 shown]
	s_delay_alu instid0(VALU_DEP_3) | instskip(NEXT) | instid1(VALU_DEP_3)
	v_dual_mul_f32 v20, v12, v20 :: v_dual_fmac_f32 v15, v10, v17
	v_fma_f32 v16, v9, v17, -v16
	s_delay_alu instid0(VALU_DEP_3) | instskip(NEXT) | instid1(VALU_DEP_3)
	v_fmac_f32_e32 v18, v12, v19
	v_fma_f32 v17, v11, v19, -v20
	scratch_load_b128 v[9:12], off, off offset:128
	s_wait_loadcnt_dscnt 0x100
	v_mul_f32_e32 v19, v5, v2
	v_mul_f32_e32 v2, v6, v2
	;; [unrolled: 1-line block ×3, first 2 shown]
	s_delay_alu instid0(VALU_DEP_3) | instskip(NEXT) | instid1(VALU_DEP_3)
	v_dual_mul_f32 v4, v8, v4 :: v_dual_fmac_f32 v19, v6, v1
	v_fma_f32 v118, v5, v1, -v2
	s_delay_alu instid0(VALU_DEP_3) | instskip(NEXT) | instid1(VALU_DEP_3)
	v_fmac_f32_e32 v20, v8, v3
	v_fma_f32 v119, v7, v3, -v4
	ds_load_b128 v[1:4], v21 offset:464
	ds_load_b128 v[5:8], v21 offset:480
	s_wait_loadcnt_dscnt 0x1
	v_mul_f32_e32 v125, v1, v10
	v_mul_f32_e32 v10, v2, v10
	s_delay_alu instid0(VALU_DEP_2) | instskip(NEXT) | instid1(VALU_DEP_2)
	v_dual_mul_f32 v126, v3, v12 :: v_dual_fmac_f32 v125, v2, v9
	v_fma_f32 v127, v1, v9, -v10
	v_mul_f32_e32 v1, v4, v12
	s_delay_alu instid0(VALU_DEP_3) | instskip(NEXT) | instid1(VALU_DEP_2)
	v_fmac_f32_e32 v126, v4, v11
	v_fma_f32 v128, v3, v11, -v1
	s_clause 0x1
	scratch_load_b128 v[1:4], off, off offset:144
	scratch_load_b128 v[9:12], off, off offset:160
	s_wait_loadcnt_dscnt 0x100
	v_mul_f32_e32 v129, v5, v2
	v_dual_mul_f32 v2, v6, v2 :: v_dual_mul_f32 v131, v7, v4
	s_delay_alu instid0(VALU_DEP_2) | instskip(NEXT) | instid1(VALU_DEP_2)
	v_fmac_f32_e32 v129, v6, v1
	v_fma_f32 v130, v5, v1, -v2
	v_mul_f32_e32 v1, v8, v4
	s_delay_alu instid0(VALU_DEP_4) | instskip(NEXT) | instid1(VALU_DEP_2)
	v_fmac_f32_e32 v131, v8, v3
	v_fma_f32 v132, v7, v3, -v1
	ds_load_b128 v[1:4], v21 offset:496
	ds_load_b128 v[5:8], v21 offset:512
	s_wait_loadcnt_dscnt 0x1
	v_mul_f32_e32 v133, v1, v10
	v_mul_f32_e32 v135, v3, v12
	s_delay_alu instid0(VALU_DEP_2) | instskip(NEXT) | instid1(VALU_DEP_2)
	v_fmac_f32_e32 v133, v2, v9
	v_dual_mul_f32 v2, v2, v10 :: v_dual_fmac_f32 v135, v4, v11
	s_delay_alu instid0(VALU_DEP_1) | instskip(SKIP_1) | instid1(VALU_DEP_1)
	v_fma_f32 v134, v1, v9, -v2
	v_mul_f32_e32 v1, v4, v12
	v_fma_f32 v136, v3, v11, -v1
	s_clause 0x1
	scratch_load_b128 v[1:4], off, off offset:176
	scratch_load_b128 v[9:12], off, off offset:192
	s_wait_loadcnt_dscnt 0x100
	v_mul_f32_e32 v137, v5, v2
	v_dual_mul_f32 v2, v6, v2 :: v_dual_mul_f32 v139, v7, v4
	s_delay_alu instid0(VALU_DEP_2) | instskip(NEXT) | instid1(VALU_DEP_2)
	v_fmac_f32_e32 v137, v6, v1
	v_fma_f32 v138, v5, v1, -v2
	v_mul_f32_e32 v1, v8, v4
	s_delay_alu instid0(VALU_DEP_4) | instskip(NEXT) | instid1(VALU_DEP_2)
	v_fmac_f32_e32 v139, v8, v3
	v_fma_f32 v140, v7, v3, -v1
	ds_load_b128 v[1:4], v21 offset:528
	ds_load_b128 v[5:8], v21 offset:544
	s_wait_loadcnt_dscnt 0x1
	v_mul_f32_e32 v141, v1, v10
	v_mul_f32_e32 v143, v3, v12
	s_delay_alu instid0(VALU_DEP_2) | instskip(NEXT) | instid1(VALU_DEP_2)
	v_fmac_f32_e32 v141, v2, v9
	v_dual_mul_f32 v2, v2, v10 :: v_dual_fmac_f32 v143, v4, v11
	s_delay_alu instid0(VALU_DEP_1) | instskip(SKIP_1) | instid1(VALU_DEP_1)
	v_fma_f32 v142, v1, v9, -v2
	v_mul_f32_e32 v1, v4, v12
	;; [unrolled: 25-line block ×3, first 2 shown]
	v_fma_f32 v152, v3, v11, -v1
	s_clause 0x1
	scratch_load_b128 v[1:4], off, off offset:240
	scratch_load_b128 v[9:12], off, off offset:256
	s_wait_loadcnt_dscnt 0x100
	v_mul_f32_e32 v153, v5, v2
	v_mul_f32_e32 v2, v6, v2
	s_delay_alu instid0(VALU_DEP_1) | instskip(SKIP_1) | instid1(VALU_DEP_1)
	v_fma_f32 v154, v5, v1, -v2
	v_add_f32_e32 v2, 0, v122
	v_add_f32_e32 v2, v2, v123
	s_delay_alu instid0(VALU_DEP_1) | instskip(NEXT) | instid1(VALU_DEP_1)
	v_add_f32_e32 v2, v2, v25
	v_add_f32_e32 v2, v2, v26
	s_delay_alu instid0(VALU_DEP_1) | instskip(NEXT) | instid1(VALU_DEP_1)
	;; [unrolled: 3-line block ×4, first 2 shown]
	v_dual_add_f32 v2, v2, v15 :: v_dual_mul_f32 v155, v7, v4
	v_add_f32_e32 v2, v2, v18
	s_delay_alu instid0(VALU_DEP_1) | instskip(SKIP_1) | instid1(VALU_DEP_2)
	v_add_f32_e32 v2, v2, v19
	v_fmac_f32_e32 v153, v6, v1
	v_dual_fmac_f32 v155, v8, v3 :: v_dual_add_f32 v2, v2, v20
	s_delay_alu instid0(VALU_DEP_1) | instskip(NEXT) | instid1(VALU_DEP_1)
	v_dual_mul_f32 v1, v8, v4 :: v_dual_add_f32 v2, v2, v125
	v_fma_f32 v156, v7, v3, -v1
	v_add_f32_e32 v1, 0, v22
	s_delay_alu instid0(VALU_DEP_3) | instskip(NEXT) | instid1(VALU_DEP_2)
	v_add_f32_e32 v5, v2, v126
	v_add_f32_e32 v1, v1, v24
	s_delay_alu instid0(VALU_DEP_1) | instskip(NEXT) | instid1(VALU_DEP_1)
	v_add_f32_e32 v1, v1, v112
	v_add_f32_e32 v1, v1, v113
	s_delay_alu instid0(VALU_DEP_1) | instskip(NEXT) | instid1(VALU_DEP_1)
	v_add_f32_e32 v1, v1, v114
	v_add_f32_e32 v1, v1, v115
	s_delay_alu instid0(VALU_DEP_1) | instskip(SKIP_1) | instid1(VALU_DEP_2)
	v_add_f32_e32 v1, v1, v13
	v_add_f32_e32 v13, v5, v129
	;; [unrolled: 1-line block ×3, first 2 shown]
	s_delay_alu instid0(VALU_DEP_2) | instskip(NEXT) | instid1(VALU_DEP_1)
	v_add_f32_e32 v13, v13, v131
	v_add_f32_e32 v13, v13, v133
	s_delay_alu instid0(VALU_DEP_1) | instskip(NEXT) | instid1(VALU_DEP_1)
	v_add_f32_e32 v18, v13, v135
	v_dual_add_f32 v18, v18, v137 :: v_dual_add_f32 v1, v1, v16
	s_delay_alu instid0(VALU_DEP_1) | instskip(NEXT) | instid1(VALU_DEP_1)
	v_add_f32_e32 v18, v18, v139
	v_add_f32_e32 v24, v18, v141
	s_delay_alu instid0(VALU_DEP_1) | instskip(NEXT) | instid1(VALU_DEP_1)
	v_dual_add_f32 v1, v1, v17 :: v_dual_add_f32 v24, v24, v143
	v_add_f32_e32 v1, v1, v118
	s_delay_alu instid0(VALU_DEP_1) | instskip(NEXT) | instid1(VALU_DEP_1)
	v_add_f32_e32 v1, v1, v119
	v_add_f32_e32 v1, v1, v127
	s_delay_alu instid0(VALU_DEP_1) | instskip(NEXT) | instid1(VALU_DEP_1)
	v_add_f32_e32 v1, v1, v128
	v_add_f32_e32 v6, v1, v130
	ds_load_b128 v[1:4], v21 offset:592
	v_add_f32_e32 v24, v24, v145
	v_add_f32_e32 v14, v6, v132
	scratch_load_b128 v[5:8], off, off offset:272
	v_add_f32_e32 v14, v14, v134
	s_delay_alu instid0(VALU_DEP_1)
	v_add_f32_e32 v17, v14, v136
	ds_load_b128 v[13:16], v21 offset:608
	s_wait_loadcnt_dscnt 0x101
	v_mul_f32_e32 v22, v1, v10
	v_mul_f32_e32 v10, v2, v10
	;; [unrolled: 1-line block ×4, first 2 shown]
	s_delay_alu instid0(VALU_DEP_4) | instskip(NEXT) | instid1(VALU_DEP_4)
	v_fmac_f32_e32 v22, v2, v9
	v_fma_f32 v113, v1, v9, -v10
	s_delay_alu instid0(VALU_DEP_4) | instskip(NEXT) | instid1(VALU_DEP_4)
	v_fmac_f32_e32 v112, v4, v11
	v_fma_f32 v114, v3, v11, -v12
	s_clause 0x1
	scratch_load_b128 v[1:4], off, off offset:288
	scratch_load_b128 v[9:12], off, off offset:304
	s_wait_loadcnt_dscnt 0x200
	v_mul_f32_e32 v115, v13, v6
	v_mul_f32_e32 v6, v14, v6
	;; [unrolled: 1-line block ×3, first 2 shown]
	s_delay_alu instid0(VALU_DEP_3) | instskip(NEXT) | instid1(VALU_DEP_3)
	v_dual_mul_f32 v8, v16, v8 :: v_dual_fmac_f32 v115, v14, v5
	v_fma_f32 v117, v13, v5, -v6
	s_delay_alu instid0(VALU_DEP_3) | instskip(NEXT) | instid1(VALU_DEP_3)
	v_fmac_f32_e32 v116, v16, v7
	v_fma_f32 v118, v15, v7, -v8
	ds_load_b128 v[5:8], v21 offset:624
	v_add_f32_e32 v17, v17, v138
	v_add_f32_e32 v13, v24, v147
	s_delay_alu instid0(VALU_DEP_2) | instskip(NEXT) | instid1(VALU_DEP_1)
	v_add_f32_e32 v17, v17, v140
	v_add_f32_e32 v17, v17, v142
	s_delay_alu instid0(VALU_DEP_1) | instskip(SKIP_2) | instid1(VALU_DEP_1)
	v_add_f32_e32 v25, v17, v144
	scratch_load_b128 v[17:20], off, off offset:320
	v_add_f32_e32 v25, v25, v146
	v_add_f32_e32 v25, v25, v148
	s_delay_alu instid0(VALU_DEP_1)
	v_add_f32_e32 v24, v25, v150
	v_add_f32_e32 v25, v13, v149
	ds_load_b128 v[13:16], v21 offset:640
	v_dual_add_f32 v119, v24, v152 :: v_dual_add_f32 v122, v25, v151
	ds_load_b128 v[24:27], v21 offset:656
	v_add_f32_e32 v21, v119, v154
	s_delay_alu instid0(VALU_DEP_1) | instskip(SKIP_2) | instid1(VALU_DEP_1)
	v_add_f32_e32 v21, v21, v156
	s_wait_loadcnt_dscnt 0x101
	v_mul_f32_e32 v123, v15, v12
	v_fmac_f32_e32 v123, v16, v11
	s_delay_alu instid0(VALU_DEP_3) | instskip(NEXT) | instid1(VALU_DEP_1)
	v_add_f32_e32 v21, v21, v113
	v_add_f32_e32 v21, v21, v114
	s_wait_loadcnt_dscnt 0x0
	s_delay_alu instid0(VALU_DEP_1) | instskip(SKIP_2) | instid1(VALU_DEP_3)
	v_dual_add_f32 v21, v21, v117 :: v_dual_mul_f32 v114, v26, v20
	v_dual_add_f32 v119, v122, v153 :: v_dual_mul_f32 v122, v5, v2
	v_mul_f32_e32 v2, v6, v2
	v_fmac_f32_e32 v114, v27, v19
	s_delay_alu instid0(VALU_DEP_3)
	v_add_f32_e32 v119, v119, v155
	v_mul_f32_e32 v113, v7, v4
	v_mul_f32_e32 v4, v8, v4
	v_fma_f32 v2, v5, v1, -v2
	v_fmac_f32_e32 v122, v6, v1
	v_add_f32_e32 v22, v119, v22
	v_add_f32_e32 v1, v21, v118
	v_dual_mul_f32 v6, v14, v10 :: v_dual_fmac_f32 v113, v8, v3
	v_fma_f32 v3, v7, v3, -v4
	s_delay_alu instid0(VALU_DEP_4) | instskip(SKIP_2) | instid1(VALU_DEP_3)
	v_add_f32_e32 v22, v22, v112
	v_mul_f32_e32 v112, v24, v18
	v_dual_add_f32 v1, v1, v2 :: v_dual_mul_f32 v4, v16, v12
	v_add_f32_e32 v22, v22, v115
	s_delay_alu instid0(VALU_DEP_3) | instskip(SKIP_1) | instid1(VALU_DEP_4)
	v_fmac_f32_e32 v112, v25, v17
	v_mul_f32_e32 v119, v13, v10
	v_add_f32_e32 v1, v1, v3
	v_mul_f32_e32 v3, v25, v18
	v_add_f32_e32 v5, v22, v116
	v_fma_f32 v4, v15, v11, -v4
	v_fmac_f32_e32 v119, v14, v9
	s_delay_alu instid0(VALU_DEP_4) | instskip(NEXT) | instid1(VALU_DEP_4)
	v_fma_f32 v3, v24, v17, -v3
	v_add_f32_e32 v2, v5, v122
	v_fma_f32 v5, v13, v9, -v6
	s_delay_alu instid0(VALU_DEP_2) | instskip(NEXT) | instid1(VALU_DEP_2)
	v_add_f32_e32 v2, v2, v113
	v_add_f32_e32 v1, v1, v5
	s_delay_alu instid0(VALU_DEP_2) | instskip(NEXT) | instid1(VALU_DEP_2)
	v_dual_mul_f32 v5, v27, v20 :: v_dual_add_f32 v2, v2, v119
	v_add_f32_e32 v1, v1, v4
	s_delay_alu instid0(VALU_DEP_2) | instskip(NEXT) | instid1(VALU_DEP_3)
	v_fma_f32 v4, v26, v19, -v5
	v_add_f32_e32 v2, v2, v123
	s_delay_alu instid0(VALU_DEP_1) | instskip(NEXT) | instid1(VALU_DEP_1)
	v_dual_add_f32 v1, v1, v3 :: v_dual_add_f32 v2, v2, v112
	v_dual_add_f32 v1, v1, v4 :: v_dual_add_f32 v2, v2, v114
	s_delay_alu instid0(VALU_DEP_1)
	v_dual_sub_f32 v1, v120, v1 :: v_dual_sub_f32 v2, v121, v2
	scratch_store_b64 off, v[1:2], off offset:24
	v_cmpx_lt_u32_e32 2, v0
	s_cbranch_execz .LBB105_261
; %bb.260:
	scratch_load_b64 v[1:2], off, off offset:16
	v_mov_b32_e32 v3, 0
	s_delay_alu instid0(VALU_DEP_1)
	v_mov_b32_e32 v4, v3
	scratch_store_b64 off, v[3:4], off offset:16
	s_wait_loadcnt 0x0
	ds_store_b64 v23, v[1:2]
.LBB105_261:
	s_wait_alu 0xfffe
	s_or_b32 exec_lo, exec_lo, s0
	s_wait_storecnt_dscnt 0x0
	s_barrier_signal -1
	s_barrier_wait -1
	global_inv scope:SCOPE_SE
	s_clause 0x4
	scratch_load_b128 v[5:8], off, off offset:24
	scratch_load_b128 v[1:4], off, off offset:40
	;; [unrolled: 1-line block ×5, first 2 shown]
	v_mov_b32_e32 v21, 0
	ds_load_2addr_b64 v[24:27], v21 offset0:45 offset1:46
	ds_load_2addr_b64 v[112:115], v21 offset0:47 offset1:48
	;; [unrolled: 1-line block ×3, first 2 shown]
	scratch_load_b64 v[120:121], off, off offset:16
	s_mov_b32 s0, exec_lo
	s_wait_loadcnt_dscnt 0x502
	v_mul_f32_e32 v22, v25, v6
	v_dual_mul_f32 v122, v24, v6 :: v_dual_mul_f32 v123, v26, v8
	v_mul_f32_e32 v6, v27, v8
	s_delay_alu instid0(VALU_DEP_3) | instskip(NEXT) | instid1(VALU_DEP_3)
	v_fma_f32 v22, v24, v5, -v22
	v_dual_fmac_f32 v122, v25, v5 :: v_dual_fmac_f32 v123, v27, v7
	s_wait_loadcnt_dscnt 0x401
	v_mul_f32_e32 v25, v112, v2
	v_fma_f32 v24, v26, v7, -v6
	ds_load_2addr_b64 v[5:8], v21 offset0:51 offset1:52
	s_wait_loadcnt_dscnt 0x301
	v_dual_mul_f32 v26, v114, v4 :: v_dual_mul_f32 v27, v116, v10
	v_dual_mul_f32 v4, v115, v4 :: v_dual_fmac_f32 v25, v113, v1
	v_mul_f32_e32 v10, v117, v10
	s_delay_alu instid0(VALU_DEP_3)
	v_dual_mul_f32 v124, v118, v12 :: v_dual_fmac_f32 v27, v117, v9
	v_mul_f32_e32 v12, v119, v12
	v_mul_f32_e32 v2, v113, v2
	v_fmac_f32_e32 v26, v115, v3
	v_fma_f32 v113, v114, v3, -v4
	v_fma_f32 v114, v116, v9, -v10
	v_fmac_f32_e32 v124, v119, v11
	v_fma_f32 v115, v118, v11, -v12
	ds_load_2addr_b64 v[9:12], v21 offset0:53 offset1:54
	s_wait_loadcnt_dscnt 0x201
	v_mul_f32_e32 v117, v7, v16
	v_fma_f32 v112, v112, v1, -v2
	scratch_load_b128 v[1:4], off, off offset:104
	v_mul_f32_e32 v116, v5, v14
	v_mul_f32_e32 v14, v6, v14
	;; [unrolled: 1-line block ×3, first 2 shown]
	s_delay_alu instid0(VALU_DEP_3) | instskip(NEXT) | instid1(VALU_DEP_3)
	v_dual_fmac_f32 v117, v8, v15 :: v_dual_fmac_f32 v116, v6, v13
	v_fma_f32 v13, v5, v13, -v14
	s_delay_alu instid0(VALU_DEP_3)
	v_fma_f32 v14, v7, v15, -v16
	ds_load_2addr_b64 v[5:8], v21 offset0:55 offset1:56
	s_wait_loadcnt_dscnt 0x201
	v_mul_f32_e32 v15, v9, v18
	v_mul_f32_e32 v16, v10, v18
	;; [unrolled: 1-line block ×3, first 2 shown]
	s_delay_alu instid0(VALU_DEP_3) | instskip(NEXT) | instid1(VALU_DEP_3)
	v_dual_mul_f32 v20, v12, v20 :: v_dual_fmac_f32 v15, v10, v17
	v_fma_f32 v16, v9, v17, -v16
	s_delay_alu instid0(VALU_DEP_3) | instskip(NEXT) | instid1(VALU_DEP_3)
	v_fmac_f32_e32 v18, v12, v19
	v_fma_f32 v17, v11, v19, -v20
	scratch_load_b128 v[9:12], off, off offset:120
	s_wait_loadcnt_dscnt 0x100
	v_mul_f32_e32 v19, v5, v2
	v_mul_f32_e32 v2, v6, v2
	;; [unrolled: 1-line block ×3, first 2 shown]
	s_delay_alu instid0(VALU_DEP_3) | instskip(NEXT) | instid1(VALU_DEP_3)
	v_dual_mul_f32 v4, v8, v4 :: v_dual_fmac_f32 v19, v6, v1
	v_fma_f32 v118, v5, v1, -v2
	s_delay_alu instid0(VALU_DEP_3) | instskip(NEXT) | instid1(VALU_DEP_3)
	v_fmac_f32_e32 v20, v8, v3
	v_fma_f32 v119, v7, v3, -v4
	ds_load_2addr_b64 v[1:4], v21 offset0:57 offset1:58
	ds_load_2addr_b64 v[5:8], v21 offset0:59 offset1:60
	s_wait_loadcnt_dscnt 0x1
	v_mul_f32_e32 v125, v1, v10
	v_mul_f32_e32 v10, v2, v10
	s_delay_alu instid0(VALU_DEP_2) | instskip(NEXT) | instid1(VALU_DEP_2)
	v_dual_mul_f32 v126, v3, v12 :: v_dual_fmac_f32 v125, v2, v9
	v_fma_f32 v127, v1, v9, -v10
	v_mul_f32_e32 v1, v4, v12
	s_delay_alu instid0(VALU_DEP_3) | instskip(NEXT) | instid1(VALU_DEP_2)
	v_fmac_f32_e32 v126, v4, v11
	v_fma_f32 v128, v3, v11, -v1
	s_clause 0x1
	scratch_load_b128 v[1:4], off, off offset:136
	scratch_load_b128 v[9:12], off, off offset:152
	s_wait_loadcnt_dscnt 0x100
	v_mul_f32_e32 v129, v5, v2
	v_dual_mul_f32 v2, v6, v2 :: v_dual_mul_f32 v131, v7, v4
	s_delay_alu instid0(VALU_DEP_2) | instskip(NEXT) | instid1(VALU_DEP_2)
	v_fmac_f32_e32 v129, v6, v1
	v_fma_f32 v130, v5, v1, -v2
	v_mul_f32_e32 v1, v8, v4
	s_delay_alu instid0(VALU_DEP_4) | instskip(NEXT) | instid1(VALU_DEP_2)
	v_fmac_f32_e32 v131, v8, v3
	v_fma_f32 v132, v7, v3, -v1
	ds_load_2addr_b64 v[1:4], v21 offset0:61 offset1:62
	ds_load_2addr_b64 v[5:8], v21 offset0:63 offset1:64
	s_wait_loadcnt_dscnt 0x1
	v_mul_f32_e32 v133, v1, v10
	v_mul_f32_e32 v135, v3, v12
	s_delay_alu instid0(VALU_DEP_2) | instskip(NEXT) | instid1(VALU_DEP_2)
	v_fmac_f32_e32 v133, v2, v9
	v_dual_mul_f32 v2, v2, v10 :: v_dual_fmac_f32 v135, v4, v11
	s_delay_alu instid0(VALU_DEP_1) | instskip(SKIP_1) | instid1(VALU_DEP_1)
	v_fma_f32 v134, v1, v9, -v2
	v_mul_f32_e32 v1, v4, v12
	v_fma_f32 v136, v3, v11, -v1
	s_clause 0x1
	scratch_load_b128 v[1:4], off, off offset:168
	scratch_load_b128 v[9:12], off, off offset:184
	s_wait_loadcnt_dscnt 0x100
	v_mul_f32_e32 v137, v5, v2
	v_dual_mul_f32 v139, v7, v4 :: v_dual_mul_f32 v2, v6, v2
	s_delay_alu instid0(VALU_DEP_2) | instskip(NEXT) | instid1(VALU_DEP_2)
	v_fmac_f32_e32 v137, v6, v1
	v_fmac_f32_e32 v139, v8, v3
	s_delay_alu instid0(VALU_DEP_3) | instskip(SKIP_1) | instid1(VALU_DEP_1)
	v_fma_f32 v138, v5, v1, -v2
	v_mul_f32_e32 v1, v8, v4
	v_fma_f32 v140, v7, v3, -v1
	ds_load_2addr_b64 v[1:4], v21 offset0:65 offset1:66
	ds_load_2addr_b64 v[5:8], v21 offset0:67 offset1:68
	s_wait_loadcnt_dscnt 0x1
	v_mul_f32_e32 v141, v1, v10
	v_mul_f32_e32 v143, v3, v12
	s_delay_alu instid0(VALU_DEP_2) | instskip(NEXT) | instid1(VALU_DEP_2)
	v_fmac_f32_e32 v141, v2, v9
	v_dual_mul_f32 v2, v2, v10 :: v_dual_fmac_f32 v143, v4, v11
	s_delay_alu instid0(VALU_DEP_1) | instskip(SKIP_1) | instid1(VALU_DEP_1)
	v_fma_f32 v142, v1, v9, -v2
	v_mul_f32_e32 v1, v4, v12
	v_fma_f32 v144, v3, v11, -v1
	s_clause 0x1
	scratch_load_b128 v[1:4], off, off offset:200
	scratch_load_b128 v[9:12], off, off offset:216
	s_wait_loadcnt_dscnt 0x100
	v_mul_f32_e32 v145, v5, v2
	v_dual_mul_f32 v2, v6, v2 :: v_dual_mul_f32 v147, v7, v4
	s_delay_alu instid0(VALU_DEP_2) | instskip(NEXT) | instid1(VALU_DEP_2)
	v_fmac_f32_e32 v145, v6, v1
	v_fma_f32 v146, v5, v1, -v2
	v_mul_f32_e32 v1, v8, v4
	s_delay_alu instid0(VALU_DEP_4) | instskip(NEXT) | instid1(VALU_DEP_2)
	v_fmac_f32_e32 v147, v8, v3
	v_fma_f32 v148, v7, v3, -v1
	ds_load_2addr_b64 v[1:4], v21 offset0:69 offset1:70
	ds_load_2addr_b64 v[5:8], v21 offset0:71 offset1:72
	s_wait_loadcnt_dscnt 0x1
	v_mul_f32_e32 v149, v1, v10
	v_mul_f32_e32 v151, v3, v12
	s_delay_alu instid0(VALU_DEP_2) | instskip(NEXT) | instid1(VALU_DEP_2)
	v_fmac_f32_e32 v149, v2, v9
	v_dual_mul_f32 v2, v2, v10 :: v_dual_fmac_f32 v151, v4, v11
	s_delay_alu instid0(VALU_DEP_1) | instskip(SKIP_1) | instid1(VALU_DEP_1)
	v_fma_f32 v150, v1, v9, -v2
	v_mul_f32_e32 v1, v4, v12
	v_fma_f32 v152, v3, v11, -v1
	s_clause 0x1
	scratch_load_b128 v[1:4], off, off offset:232
	scratch_load_b128 v[9:12], off, off offset:248
	s_wait_loadcnt_dscnt 0x100
	v_mul_f32_e32 v153, v5, v2
	v_mul_f32_e32 v2, v6, v2
	s_delay_alu instid0(VALU_DEP_1) | instskip(SKIP_1) | instid1(VALU_DEP_1)
	v_fma_f32 v154, v5, v1, -v2
	v_add_f32_e32 v2, 0, v122
	v_add_f32_e32 v2, v2, v123
	s_delay_alu instid0(VALU_DEP_1) | instskip(NEXT) | instid1(VALU_DEP_1)
	v_add_f32_e32 v2, v2, v25
	v_add_f32_e32 v2, v2, v26
	s_delay_alu instid0(VALU_DEP_1) | instskip(NEXT) | instid1(VALU_DEP_1)
	v_add_f32_e32 v2, v2, v27
	v_add_f32_e32 v2, v2, v124
	s_delay_alu instid0(VALU_DEP_1) | instskip(NEXT) | instid1(VALU_DEP_1)
	v_add_f32_e32 v2, v2, v116
	v_add_f32_e32 v2, v2, v117
	s_delay_alu instid0(VALU_DEP_1) | instskip(NEXT) | instid1(VALU_DEP_1)
	v_add_f32_e32 v2, v2, v15
	v_add_f32_e32 v2, v2, v18
	s_delay_alu instid0(VALU_DEP_1) | instskip(SKIP_2) | instid1(VALU_DEP_3)
	v_add_f32_e32 v2, v2, v19
	v_fmac_f32_e32 v153, v6, v1
	v_mul_f32_e32 v1, v8, v4
	v_add_f32_e32 v2, v2, v20
	v_mul_f32_e32 v155, v7, v4
	s_delay_alu instid0(VALU_DEP_3) | instskip(NEXT) | instid1(VALU_DEP_3)
	v_fma_f32 v156, v7, v3, -v1
	v_dual_add_f32 v1, 0, v22 :: v_dual_add_f32 v2, v2, v125
	s_delay_alu instid0(VALU_DEP_1) | instskip(NEXT) | instid1(VALU_DEP_2)
	v_add_f32_e32 v1, v1, v24
	v_add_f32_e32 v5, v2, v126
	s_delay_alu instid0(VALU_DEP_2) | instskip(NEXT) | instid1(VALU_DEP_1)
	v_add_f32_e32 v1, v1, v112
	v_add_f32_e32 v1, v1, v113
	scratch_load_b64 v[112:113], off, off offset:328
	v_add_f32_e32 v1, v1, v114
	s_delay_alu instid0(VALU_DEP_1) | instskip(NEXT) | instid1(VALU_DEP_1)
	v_add_f32_e32 v1, v1, v115
	v_add_f32_e32 v1, v1, v13
	;; [unrolled: 1-line block ×3, first 2 shown]
	s_delay_alu instid0(VALU_DEP_1) | instskip(NEXT) | instid1(VALU_DEP_1)
	v_add_f32_e32 v13, v13, v131
	v_add_f32_e32 v13, v13, v133
	s_delay_alu instid0(VALU_DEP_1) | instskip(NEXT) | instid1(VALU_DEP_1)
	v_add_f32_e32 v18, v13, v135
	v_dual_add_f32 v18, v18, v137 :: v_dual_add_f32 v1, v1, v14
	s_delay_alu instid0(VALU_DEP_1) | instskip(NEXT) | instid1(VALU_DEP_1)
	v_dual_add_f32 v18, v18, v139 :: v_dual_add_f32 v1, v1, v16
	v_add_f32_e32 v24, v18, v141
	s_delay_alu instid0(VALU_DEP_1) | instskip(NEXT) | instid1(VALU_DEP_1)
	v_dual_add_f32 v1, v1, v17 :: v_dual_add_f32 v24, v24, v143
	v_add_f32_e32 v1, v1, v118
	s_delay_alu instid0(VALU_DEP_1) | instskip(NEXT) | instid1(VALU_DEP_1)
	v_add_f32_e32 v1, v1, v119
	v_add_f32_e32 v1, v1, v127
	s_delay_alu instid0(VALU_DEP_1) | instskip(NEXT) | instid1(VALU_DEP_1)
	v_add_f32_e32 v1, v1, v128
	v_dual_add_f32 v6, v1, v130 :: v_dual_fmac_f32 v155, v8, v3
	scratch_load_b128 v[1:4], off, off offset:264
	v_add_f32_e32 v24, v24, v145
	v_add_f32_e32 v14, v6, v132
	ds_load_2addr_b64 v[5:8], v21 offset0:73 offset1:74
	v_add_f32_e32 v24, v24, v147
	v_add_f32_e32 v14, v14, v134
	s_delay_alu instid0(VALU_DEP_1)
	v_add_f32_e32 v17, v14, v136
	ds_load_2addr_b64 v[13:16], v21 offset0:75 offset1:76
	s_wait_loadcnt_dscnt 0x201
	v_mul_f32_e32 v22, v5, v10
	v_mul_f32_e32 v10, v6, v10
	;; [unrolled: 1-line block ×4, first 2 shown]
	s_delay_alu instid0(VALU_DEP_4) | instskip(NEXT) | instid1(VALU_DEP_4)
	v_fmac_f32_e32 v22, v6, v9
	v_fma_f32 v117, v5, v9, -v10
	s_delay_alu instid0(VALU_DEP_4) | instskip(NEXT) | instid1(VALU_DEP_4)
	v_fmac_f32_e32 v116, v8, v11
	v_fma_f32 v118, v7, v11, -v12
	s_clause 0x1
	scratch_load_b128 v[5:8], off, off offset:280
	scratch_load_b128 v[9:12], off, off offset:296
	s_wait_loadcnt_dscnt 0x200
	v_mul_f32_e32 v119, v13, v2
	v_mul_f32_e32 v2, v14, v2
	;; [unrolled: 1-line block ×3, first 2 shown]
	s_delay_alu instid0(VALU_DEP_3) | instskip(NEXT) | instid1(VALU_DEP_3)
	v_dual_mul_f32 v4, v16, v4 :: v_dual_fmac_f32 v119, v14, v1
	v_fma_f32 v123, v13, v1, -v2
	v_add_f32_e32 v13, v24, v149
	s_delay_alu instid0(VALU_DEP_4) | instskip(NEXT) | instid1(VALU_DEP_4)
	v_fmac_f32_e32 v122, v16, v3
	v_fma_f32 v124, v15, v3, -v4
	ds_load_2addr_b64 v[1:4], v21 offset0:77 offset1:78
	v_add_f32_e32 v24, v13, v151
	s_delay_alu instid0(VALU_DEP_1) | instskip(NEXT) | instid1(VALU_DEP_1)
	v_add_f32_e32 v115, v24, v153
	v_add_f32_e32 v126, v115, v155
	s_delay_alu instid0(VALU_DEP_1) | instskip(NEXT) | instid1(VALU_DEP_1)
	v_add_f32_e32 v22, v126, v22
	v_dual_add_f32 v17, v17, v138 :: v_dual_add_f32 v22, v22, v116
	s_delay_alu instid0(VALU_DEP_1) | instskip(NEXT) | instid1(VALU_DEP_1)
	v_dual_add_f32 v17, v17, v140 :: v_dual_add_f32 v22, v22, v119
	v_add_f32_e32 v17, v17, v142
	s_delay_alu instid0(VALU_DEP_1) | instskip(SKIP_2) | instid1(VALU_DEP_1)
	v_dual_add_f32 v22, v22, v122 :: v_dual_add_f32 v25, v17, v144
	scratch_load_b128 v[17:20], off, off offset:312
	v_add_f32_e32 v25, v25, v146
	v_add_f32_e32 v25, v25, v148
	s_delay_alu instid0(VALU_DEP_1) | instskip(NEXT) | instid1(VALU_DEP_1)
	v_add_f32_e32 v25, v25, v150
	v_add_f32_e32 v14, v25, v152
	ds_load_2addr_b64 v[24:27], v21 offset0:81 offset1:82
	v_add_f32_e32 v114, v14, v154
	ds_load_2addr_b64 v[13:16], v21 offset0:79 offset1:80
	s_wait_loadcnt_dscnt 0x202
	v_mul_f32_e32 v116, v3, v8
	v_mul_f32_e32 v8, v4, v8
	v_add_f32_e32 v125, v114, v156
	ds_load_b64 v[114:115], v21 offset:664
	v_dual_fmac_f32 v116, v4, v7 :: v_dual_add_f32 v117, v125, v117
	s_delay_alu instid0(VALU_DEP_1)
	v_add_f32_e32 v117, v117, v118
	s_wait_loadcnt_dscnt 0x101
	v_mul_f32_e32 v118, v13, v10
	v_mul_f32_e32 v125, v1, v6
	v_dual_mul_f32 v6, v2, v6 :: v_dual_mul_f32 v119, v15, v12
	s_wait_dscnt 0x0
	v_mul_f32_e32 v122, v114, v113
	v_fmac_f32_e32 v118, v14, v9
	v_fmac_f32_e32 v125, v2, v5
	v_fma_f32 v1, v1, v5, -v6
	v_fma_f32 v2, v3, v7, -v8
	v_dual_fmac_f32 v122, v115, v112 :: v_dual_mul_f32 v3, v14, v10
	s_delay_alu instid0(VALU_DEP_4) | instskip(NEXT) | instid1(VALU_DEP_2)
	v_dual_add_f32 v4, v22, v125 :: v_dual_add_f32 v117, v117, v123
	v_fma_f32 v3, v13, v9, -v3
	s_delay_alu instid0(VALU_DEP_2) | instskip(SKIP_2) | instid1(VALU_DEP_1)
	v_add_f32_e32 v117, v117, v124
	s_wait_loadcnt 0x0
	v_mul_f32_e32 v124, v26, v20
	v_dual_fmac_f32 v124, v27, v19 :: v_dual_add_f32 v1, v117, v1
	s_delay_alu instid0(VALU_DEP_1) | instskip(SKIP_1) | instid1(VALU_DEP_2)
	v_dual_add_f32 v1, v1, v2 :: v_dual_add_f32 v2, v4, v116
	v_dual_mul_f32 v4, v25, v18 :: v_dual_fmac_f32 v119, v16, v11
	v_add_f32_e32 v2, v2, v118
	v_mul_f32_e32 v123, v24, v18
	s_delay_alu instid0(VALU_DEP_3) | instskip(NEXT) | instid1(VALU_DEP_2)
	v_fma_f32 v4, v24, v17, -v4
	v_dual_add_f32 v2, v2, v119 :: v_dual_fmac_f32 v123, v25, v17
	s_delay_alu instid0(VALU_DEP_1) | instskip(NEXT) | instid1(VALU_DEP_1)
	v_add_f32_e32 v2, v2, v123
	v_add_f32_e32 v2, v2, v124
	v_mul_f32_e32 v5, v16, v12
	v_add_f32_e32 v1, v1, v3
	s_delay_alu instid0(VALU_DEP_3) | instskip(NEXT) | instid1(VALU_DEP_3)
	v_dual_mul_f32 v3, v27, v20 :: v_dual_add_f32 v2, v2, v122
	v_fma_f32 v5, v15, v11, -v5
	s_delay_alu instid0(VALU_DEP_2) | instskip(NEXT) | instid1(VALU_DEP_3)
	v_fma_f32 v3, v26, v19, -v3
	v_sub_f32_e32 v2, v121, v2
	s_delay_alu instid0(VALU_DEP_3) | instskip(SKIP_1) | instid1(VALU_DEP_2)
	v_add_f32_e32 v1, v1, v5
	v_mul_f32_e32 v5, v115, v113
	v_add_f32_e32 v1, v1, v4
	s_delay_alu instid0(VALU_DEP_2) | instskip(NEXT) | instid1(VALU_DEP_2)
	v_fma_f32 v4, v114, v112, -v5
	v_add_f32_e32 v1, v1, v3
	s_delay_alu instid0(VALU_DEP_1) | instskip(NEXT) | instid1(VALU_DEP_1)
	v_add_f32_e32 v1, v1, v4
	v_sub_f32_e32 v1, v120, v1
	scratch_store_b64 off, v[1:2], off offset:16
	v_cmpx_lt_u32_e32 1, v0
	s_cbranch_execz .LBB105_263
; %bb.262:
	scratch_load_b64 v[1:2], off, off offset:8
	v_mov_b32_e32 v22, v21
	scratch_store_b64 off, v[21:22], off offset:8
	s_wait_loadcnt 0x0
	ds_store_b64 v23, v[1:2]
.LBB105_263:
	s_wait_alu 0xfffe
	s_or_b32 exec_lo, exec_lo, s0
	s_wait_storecnt_dscnt 0x0
	s_barrier_signal -1
	s_barrier_wait -1
	global_inv scope:SCOPE_SE
	s_clause 0x4
	scratch_load_b128 v[5:8], off, off offset:16
	scratch_load_b128 v[1:4], off, off offset:32
	;; [unrolled: 1-line block ×5, first 2 shown]
	ds_load_b128 v[24:27], v21 offset:352
	ds_load_b128 v[112:115], v21 offset:368
	;; [unrolled: 1-line block ×3, first 2 shown]
	scratch_load_b64 v[120:121], off, off offset:8
	s_mov_b32 s0, exec_lo
	s_wait_loadcnt_dscnt 0x502
	v_dual_mul_f32 v22, v25, v6 :: v_dual_mul_f32 v123, v26, v8
	v_mul_f32_e32 v122, v24, v6
	v_mul_f32_e32 v6, v27, v8
	s_wait_loadcnt_dscnt 0x300
	v_mul_f32_e32 v124, v118, v12
	v_fma_f32 v22, v24, v5, -v22
	v_dual_fmac_f32 v123, v27, v7 :: v_dual_fmac_f32 v122, v25, v5
	v_mul_f32_e32 v27, v116, v10
	v_mul_f32_e32 v25, v112, v2
	v_fma_f32 v24, v26, v7, -v6
	ds_load_b128 v[5:8], v21 offset:400
	v_mul_f32_e32 v26, v114, v4
	v_dual_mul_f32 v4, v115, v4 :: v_dual_fmac_f32 v27, v117, v9
	v_mul_f32_e32 v10, v117, v10
	v_mul_f32_e32 v12, v119, v12
	;; [unrolled: 1-line block ×3, first 2 shown]
	v_dual_fmac_f32 v25, v113, v1 :: v_dual_fmac_f32 v26, v115, v3
	v_fma_f32 v113, v114, v3, -v4
	v_fma_f32 v114, v116, v9, -v10
	v_fmac_f32_e32 v124, v119, v11
	v_fma_f32 v115, v118, v11, -v12
	ds_load_b128 v[9:12], v21 offset:416
	s_wait_loadcnt_dscnt 0x201
	v_mul_f32_e32 v117, v7, v16
	v_fma_f32 v112, v112, v1, -v2
	scratch_load_b128 v[1:4], off, off offset:96
	v_mul_f32_e32 v116, v5, v14
	v_mul_f32_e32 v14, v6, v14
	;; [unrolled: 1-line block ×3, first 2 shown]
	s_delay_alu instid0(VALU_DEP_3) | instskip(NEXT) | instid1(VALU_DEP_3)
	v_dual_fmac_f32 v117, v8, v15 :: v_dual_fmac_f32 v116, v6, v13
	v_fma_f32 v13, v5, v13, -v14
	s_delay_alu instid0(VALU_DEP_3)
	v_fma_f32 v14, v7, v15, -v16
	ds_load_b128 v[5:8], v21 offset:432
	s_wait_loadcnt_dscnt 0x201
	v_mul_f32_e32 v15, v9, v18
	v_mul_f32_e32 v16, v10, v18
	v_mul_f32_e32 v18, v11, v20
	s_delay_alu instid0(VALU_DEP_3) | instskip(NEXT) | instid1(VALU_DEP_3)
	v_dual_mul_f32 v20, v12, v20 :: v_dual_fmac_f32 v15, v10, v17
	v_fma_f32 v16, v9, v17, -v16
	s_delay_alu instid0(VALU_DEP_3) | instskip(NEXT) | instid1(VALU_DEP_3)
	v_fmac_f32_e32 v18, v12, v19
	v_fma_f32 v17, v11, v19, -v20
	scratch_load_b128 v[9:12], off, off offset:112
	s_wait_loadcnt_dscnt 0x100
	v_mul_f32_e32 v19, v5, v2
	v_mul_f32_e32 v2, v6, v2
	v_mul_f32_e32 v20, v7, v4
	s_delay_alu instid0(VALU_DEP_3) | instskip(NEXT) | instid1(VALU_DEP_3)
	v_dual_mul_f32 v4, v8, v4 :: v_dual_fmac_f32 v19, v6, v1
	v_fma_f32 v118, v5, v1, -v2
	s_delay_alu instid0(VALU_DEP_3) | instskip(NEXT) | instid1(VALU_DEP_3)
	v_fmac_f32_e32 v20, v8, v3
	v_fma_f32 v119, v7, v3, -v4
	ds_load_b128 v[1:4], v21 offset:448
	ds_load_b128 v[5:8], v21 offset:464
	s_wait_loadcnt_dscnt 0x1
	v_mul_f32_e32 v125, v1, v10
	v_mul_f32_e32 v10, v2, v10
	s_delay_alu instid0(VALU_DEP_2) | instskip(NEXT) | instid1(VALU_DEP_2)
	v_dual_mul_f32 v126, v3, v12 :: v_dual_fmac_f32 v125, v2, v9
	v_fma_f32 v127, v1, v9, -v10
	v_mul_f32_e32 v1, v4, v12
	s_delay_alu instid0(VALU_DEP_3) | instskip(NEXT) | instid1(VALU_DEP_2)
	v_fmac_f32_e32 v126, v4, v11
	v_fma_f32 v128, v3, v11, -v1
	s_clause 0x1
	scratch_load_b128 v[1:4], off, off offset:128
	scratch_load_b128 v[9:12], off, off offset:144
	s_wait_loadcnt_dscnt 0x100
	v_mul_f32_e32 v129, v5, v2
	v_dual_mul_f32 v2, v6, v2 :: v_dual_mul_f32 v131, v7, v4
	s_delay_alu instid0(VALU_DEP_2) | instskip(NEXT) | instid1(VALU_DEP_2)
	v_fmac_f32_e32 v129, v6, v1
	v_fma_f32 v130, v5, v1, -v2
	v_mul_f32_e32 v1, v8, v4
	s_delay_alu instid0(VALU_DEP_4) | instskip(NEXT) | instid1(VALU_DEP_2)
	v_fmac_f32_e32 v131, v8, v3
	v_fma_f32 v132, v7, v3, -v1
	ds_load_b128 v[1:4], v21 offset:480
	ds_load_b128 v[5:8], v21 offset:496
	s_wait_loadcnt_dscnt 0x1
	v_mul_f32_e32 v133, v1, v10
	v_mul_f32_e32 v135, v3, v12
	s_delay_alu instid0(VALU_DEP_2) | instskip(NEXT) | instid1(VALU_DEP_2)
	v_fmac_f32_e32 v133, v2, v9
	v_dual_mul_f32 v2, v2, v10 :: v_dual_fmac_f32 v135, v4, v11
	s_delay_alu instid0(VALU_DEP_1) | instskip(SKIP_1) | instid1(VALU_DEP_1)
	v_fma_f32 v134, v1, v9, -v2
	v_mul_f32_e32 v1, v4, v12
	v_fma_f32 v136, v3, v11, -v1
	s_clause 0x1
	scratch_load_b128 v[1:4], off, off offset:160
	scratch_load_b128 v[9:12], off, off offset:176
	s_wait_loadcnt_dscnt 0x100
	v_mul_f32_e32 v137, v5, v2
	v_dual_mul_f32 v2, v6, v2 :: v_dual_mul_f32 v139, v7, v4
	s_delay_alu instid0(VALU_DEP_2) | instskip(NEXT) | instid1(VALU_DEP_2)
	v_fmac_f32_e32 v137, v6, v1
	v_fma_f32 v138, v5, v1, -v2
	v_mul_f32_e32 v1, v8, v4
	s_delay_alu instid0(VALU_DEP_4) | instskip(NEXT) | instid1(VALU_DEP_2)
	v_fmac_f32_e32 v139, v8, v3
	v_fma_f32 v140, v7, v3, -v1
	ds_load_b128 v[1:4], v21 offset:512
	ds_load_b128 v[5:8], v21 offset:528
	s_wait_loadcnt_dscnt 0x1
	v_mul_f32_e32 v141, v1, v10
	v_mul_f32_e32 v143, v3, v12
	s_delay_alu instid0(VALU_DEP_2) | instskip(NEXT) | instid1(VALU_DEP_2)
	v_fmac_f32_e32 v141, v2, v9
	v_dual_mul_f32 v2, v2, v10 :: v_dual_fmac_f32 v143, v4, v11
	s_delay_alu instid0(VALU_DEP_1) | instskip(SKIP_1) | instid1(VALU_DEP_1)
	v_fma_f32 v142, v1, v9, -v2
	v_mul_f32_e32 v1, v4, v12
	;; [unrolled: 25-line block ×4, first 2 shown]
	v_fma_f32 v160, v3, v11, -v1
	s_clause 0x1
	scratch_load_b128 v[1:4], off, off offset:256
	scratch_load_b128 v[9:12], off, off offset:272
	s_wait_loadcnt_dscnt 0x100
	v_mul_f32_e32 v161, v5, v2
	v_mul_f32_e32 v2, v6, v2
	s_delay_alu instid0(VALU_DEP_1) | instskip(SKIP_1) | instid1(VALU_DEP_1)
	v_fma_f32 v162, v5, v1, -v2
	v_add_f32_e32 v2, 0, v122
	v_add_f32_e32 v2, v2, v123
	s_delay_alu instid0(VALU_DEP_1) | instskip(NEXT) | instid1(VALU_DEP_1)
	v_add_f32_e32 v2, v2, v25
	v_add_f32_e32 v2, v2, v26
	s_delay_alu instid0(VALU_DEP_1) | instskip(NEXT) | instid1(VALU_DEP_1)
	v_add_f32_e32 v2, v2, v27
	v_add_f32_e32 v2, v2, v124
	s_delay_alu instid0(VALU_DEP_1) | instskip(NEXT) | instid1(VALU_DEP_1)
	v_add_f32_e32 v2, v2, v116
	v_add_f32_e32 v2, v2, v117
	s_delay_alu instid0(VALU_DEP_1) | instskip(NEXT) | instid1(VALU_DEP_1)
	v_add_f32_e32 v2, v2, v15
	v_add_f32_e32 v2, v2, v18
	s_delay_alu instid0(VALU_DEP_1) | instskip(NEXT) | instid1(VALU_DEP_1)
	v_add_f32_e32 v2, v2, v19
	v_add_f32_e32 v2, v2, v20
	s_delay_alu instid0(VALU_DEP_1) | instskip(NEXT) | instid1(VALU_DEP_1)
	v_add_f32_e32 v2, v2, v125
	v_add_f32_e32 v2, v2, v126
	s_delay_alu instid0(VALU_DEP_1) | instskip(NEXT) | instid1(VALU_DEP_1)
	v_add_f32_e32 v2, v2, v129
	v_add_f32_e32 v2, v2, v131
	v_fmac_f32_e32 v161, v6, v1
	v_mul_f32_e32 v1, v8, v4
	s_delay_alu instid0(VALU_DEP_1) | instskip(SKIP_1) | instid1(VALU_DEP_1)
	v_fma_f32 v164, v7, v3, -v1
	v_add_f32_e32 v1, 0, v22
	v_add_f32_e32 v1, v1, v24
	s_delay_alu instid0(VALU_DEP_1) | instskip(NEXT) | instid1(VALU_DEP_1)
	v_add_f32_e32 v1, v1, v112
	v_add_f32_e32 v1, v1, v113
	s_delay_alu instid0(VALU_DEP_1) | instskip(NEXT) | instid1(VALU_DEP_1)
	;; [unrolled: 3-line block ×9, first 2 shown]
	v_dual_mul_f32 v163, v7, v4 :: v_dual_add_f32 v6, v6, v138
	v_add_f32_e32 v13, v6, v140
	s_delay_alu instid0(VALU_DEP_1) | instskip(NEXT) | instid1(VALU_DEP_1)
	v_add_f32_e32 v13, v13, v142
	v_add_f32_e32 v13, v13, v144
	s_delay_alu instid0(VALU_DEP_1) | instskip(NEXT) | instid1(VALU_DEP_1)
	v_add_f32_e32 v13, v13, v146
	v_dual_add_f32 v5, v2, v133 :: v_dual_add_f32 v18, v13, v148
	s_delay_alu instid0(VALU_DEP_1) | instskip(NEXT) | instid1(VALU_DEP_1)
	v_dual_add_f32 v5, v5, v135 :: v_dual_add_f32 v18, v18, v150
	v_dual_add_f32 v5, v5, v137 :: v_dual_add_f32 v18, v18, v152
	s_delay_alu instid0(VALU_DEP_1)
	v_add_f32_e32 v14, v5, v139
	v_fmac_f32_e32 v163, v8, v3
	ds_load_b128 v[1:4], v21 offset:608
	ds_load_b128 v[5:8], v21 offset:624
	v_add_f32_e32 v24, v18, v154
	v_add_f32_e32 v14, v14, v141
	s_delay_alu instid0(VALU_DEP_1)
	v_add_f32_e32 v14, v14, v143
	s_wait_loadcnt_dscnt 0x1
	v_mul_f32_e32 v22, v1, v10
	v_mul_f32_e32 v112, v3, v12
	;; [unrolled: 1-line block ×4, first 2 shown]
	s_delay_alu instid0(VALU_DEP_4) | instskip(NEXT) | instid1(VALU_DEP_4)
	v_fmac_f32_e32 v22, v2, v9
	v_fmac_f32_e32 v112, v4, v11
	s_delay_alu instid0(VALU_DEP_4) | instskip(NEXT) | instid1(VALU_DEP_4)
	v_fma_f32 v113, v1, v9, -v10
	v_fma_f32 v114, v3, v11, -v12
	s_clause 0x1
	scratch_load_b128 v[1:4], off, off offset:288
	scratch_load_b128 v[9:12], off, off offset:304
	v_add_f32_e32 v17, v14, v145
	scratch_load_b128 v[13:16], off, off offset:320
	v_add_f32_e32 v17, v17, v147
	s_delay_alu instid0(VALU_DEP_1) | instskip(NEXT) | instid1(VALU_DEP_1)
	v_add_f32_e32 v17, v17, v149
	v_add_f32_e32 v17, v17, v151
	s_delay_alu instid0(VALU_DEP_1)
	v_add_f32_e32 v25, v17, v153
	ds_load_b128 v[17:20], v21 offset:640
	v_dual_add_f32 v115, v24, v156 :: v_dual_add_f32 v116, v25, v155
	ds_load_b128 v[24:27], v21 offset:656
	s_wait_loadcnt_dscnt 0x101
	v_dual_mul_f32 v117, v7, v4 :: v_dual_mul_f32 v118, v17, v10
	v_add_f32_e32 v21, v115, v158
	v_add_f32_e32 v115, v116, v157
	s_wait_loadcnt_dscnt 0x0
	v_mul_f32_e32 v122, v24, v14
	v_mul_f32_e32 v116, v5, v2
	v_dual_mul_f32 v2, v6, v2 :: v_dual_add_f32 v21, v21, v160
	s_delay_alu instid0(VALU_DEP_3) | instskip(SKIP_1) | instid1(VALU_DEP_3)
	v_dual_add_f32 v115, v115, v159 :: v_dual_fmac_f32 v122, v25, v13
	v_mul_f32_e32 v4, v8, v4
	v_fma_f32 v2, v5, v1, -v2
	s_delay_alu instid0(VALU_DEP_4) | instskip(NEXT) | instid1(VALU_DEP_4)
	v_add_f32_e32 v21, v21, v162
	v_add_f32_e32 v115, v115, v161
	v_fmac_f32_e32 v116, v6, v1
	v_dual_mul_f32 v6, v18, v10 :: v_dual_fmac_f32 v117, v8, v3
	s_delay_alu instid0(VALU_DEP_4) | instskip(NEXT) | instid1(VALU_DEP_4)
	v_add_f32_e32 v21, v21, v164
	v_add_f32_e32 v115, v115, v163
	v_fma_f32 v3, v7, v3, -v4
	v_mul_f32_e32 v119, v19, v12
	s_delay_alu instid0(VALU_DEP_4) | instskip(NEXT) | instid1(VALU_DEP_4)
	v_dual_mul_f32 v4, v20, v12 :: v_dual_add_f32 v21, v21, v113
	v_add_f32_e32 v22, v115, v22
	s_delay_alu instid0(VALU_DEP_3) | instskip(NEXT) | instid1(VALU_DEP_3)
	v_dual_fmac_f32 v118, v18, v9 :: v_dual_fmac_f32 v119, v20, v11
	v_fma_f32 v4, v19, v11, -v4
	s_delay_alu instid0(VALU_DEP_4) | instskip(NEXT) | instid1(VALU_DEP_4)
	v_add_f32_e32 v1, v21, v114
	v_add_f32_e32 v5, v22, v112
	v_mul_f32_e32 v113, v26, v16
	s_delay_alu instid0(VALU_DEP_3) | instskip(NEXT) | instid1(VALU_DEP_3)
	v_add_f32_e32 v1, v1, v2
	v_add_f32_e32 v2, v5, v116
	v_fma_f32 v5, v17, v9, -v6
	s_delay_alu instid0(VALU_DEP_4) | instskip(NEXT) | instid1(VALU_DEP_3)
	v_fmac_f32_e32 v113, v27, v15
	v_dual_add_f32 v1, v1, v3 :: v_dual_add_f32 v2, v2, v117
	v_mul_f32_e32 v3, v25, v14
	s_delay_alu instid0(VALU_DEP_2) | instskip(SKIP_1) | instid1(VALU_DEP_3)
	v_dual_add_f32 v1, v1, v5 :: v_dual_add_f32 v2, v2, v118
	v_mul_f32_e32 v5, v27, v16
	v_fma_f32 v3, v24, v13, -v3
	s_delay_alu instid0(VALU_DEP_3) | instskip(NEXT) | instid1(VALU_DEP_3)
	v_dual_add_f32 v1, v1, v4 :: v_dual_add_f32 v2, v2, v119
	v_fma_f32 v4, v26, v15, -v5
	s_delay_alu instid0(VALU_DEP_2) | instskip(NEXT) | instid1(VALU_DEP_1)
	v_dual_add_f32 v1, v1, v3 :: v_dual_add_f32 v2, v2, v122
	v_dual_add_f32 v1, v1, v4 :: v_dual_add_f32 v2, v2, v113
	s_delay_alu instid0(VALU_DEP_1)
	v_dual_sub_f32 v1, v120, v1 :: v_dual_sub_f32 v2, v121, v2
	scratch_store_b64 off, v[1:2], off offset:8
	v_cmpx_ne_u32_e32 0, v0
	s_cbranch_execz .LBB105_265
; %bb.264:
	scratch_load_b64 v[0:1], off, off
	v_mov_b32_e32 v2, 0
	s_delay_alu instid0(VALU_DEP_1)
	v_mov_b32_e32 v3, v2
	scratch_store_b64 off, v[2:3], off
	s_wait_loadcnt 0x0
	ds_store_b64 v23, v[0:1]
.LBB105_265:
	s_wait_alu 0xfffe
	s_or_b32 exec_lo, exec_lo, s0
	s_wait_storecnt_dscnt 0x0
	s_barrier_signal -1
	s_barrier_wait -1
	global_inv scope:SCOPE_SE
	s_clause 0x6
	scratch_load_b128 v[0:3], off, off offset:8
	scratch_load_b128 v[4:7], off, off offset:24
	;; [unrolled: 1-line block ×7, first 2 shown]
	v_mov_b32_e32 v112, 0
	scratch_load_b64 v[121:122], off, off
	s_and_b32 vcc_lo, exec_lo, s12
	ds_load_2addr_b64 v[113:116], v112 offset0:43 offset1:44
	ds_load_2addr_b64 v[117:120], v112 offset0:45 offset1:46
	s_wait_loadcnt_dscnt 0x701
	v_mul_f32_e32 v123, v114, v1
	v_dual_mul_f32 v124, v113, v1 :: v_dual_mul_f32 v125, v115, v3
	v_mul_f32_e32 v1, v116, v3
	s_delay_alu instid0(VALU_DEP_3) | instskip(NEXT) | instid1(VALU_DEP_3)
	v_fma_f32 v113, v113, v0, -v123
	v_dual_fmac_f32 v124, v114, v0 :: v_dual_fmac_f32 v125, v116, v2
	s_wait_loadcnt_dscnt 0x600
	v_mul_f32_e32 v116, v119, v7
	v_fma_f32 v114, v115, v2, -v1
	ds_load_2addr_b64 v[0:3], v112 offset0:47 offset1:48
	v_mul_f32_e32 v115, v117, v5
	v_mul_f32_e32 v5, v118, v5
	;; [unrolled: 1-line block ×3, first 2 shown]
	s_delay_alu instid0(VALU_DEP_3) | instskip(NEXT) | instid1(VALU_DEP_3)
	v_dual_fmac_f32 v116, v120, v6 :: v_dual_fmac_f32 v115, v118, v4
	v_fma_f32 v117, v117, v4, -v5
	s_delay_alu instid0(VALU_DEP_3)
	v_fma_f32 v118, v119, v6, -v7
	ds_load_2addr_b64 v[4:7], v112 offset0:49 offset1:50
	s_wait_loadcnt_dscnt 0x501
	v_dual_mul_f32 v119, v0, v9 :: v_dual_mul_f32 v120, v2, v11
	v_mul_f32_e32 v9, v1, v9
	v_mul_f32_e32 v11, v3, v11
	s_delay_alu instid0(VALU_DEP_3) | instskip(NEXT) | instid1(VALU_DEP_3)
	v_dual_fmac_f32 v119, v1, v8 :: v_dual_fmac_f32 v120, v3, v10
	v_fma_f32 v123, v0, v8, -v9
	s_delay_alu instid0(VALU_DEP_3)
	v_fma_f32 v126, v2, v10, -v11
	ds_load_2addr_b64 v[0:3], v112 offset0:51 offset1:52
	s_wait_loadcnt_dscnt 0x401
	v_mul_f32_e32 v127, v4, v13
	v_dual_mul_f32 v8, v5, v13 :: v_dual_mul_f32 v13, v6, v15
	v_mul_f32_e32 v9, v7, v15
	s_delay_alu instid0(VALU_DEP_3) | instskip(NEXT) | instid1(VALU_DEP_3)
	v_fmac_f32_e32 v127, v5, v12
	v_fma_f32 v12, v4, v12, -v8
	s_delay_alu instid0(VALU_DEP_4) | instskip(NEXT) | instid1(VALU_DEP_4)
	v_fmac_f32_e32 v13, v7, v14
	v_fma_f32 v14, v6, v14, -v9
	ds_load_2addr_b64 v[4:7], v112 offset0:53 offset1:54
	s_wait_loadcnt_dscnt 0x301
	v_mul_f32_e32 v15, v0, v17
	v_dual_mul_f32 v8, v1, v17 :: v_dual_mul_f32 v17, v2, v19
	v_mul_f32_e32 v9, v3, v19
	s_delay_alu instid0(VALU_DEP_3) | instskip(NEXT) | instid1(VALU_DEP_3)
	v_fmac_f32_e32 v15, v1, v16
	v_fma_f32 v16, v0, v16, -v8
	s_delay_alu instid0(VALU_DEP_4) | instskip(NEXT) | instid1(VALU_DEP_4)
	v_fmac_f32_e32 v17, v3, v18
	;; [unrolled: 11-line block ×4, first 2 shown]
	v_fma_f32 v26, v2, v26, -v9
	s_clause 0x1
	scratch_load_b128 v[0:3], off, off offset:120
	scratch_load_b128 v[8:11], off, off offset:136
	s_wait_loadcnt_dscnt 0x100
	v_mul_f32_e32 v27, v4, v1
	v_mul_f32_e32 v1, v5, v1
	s_delay_alu instid0(VALU_DEP_2) | instskip(NEXT) | instid1(VALU_DEP_2)
	v_fmac_f32_e32 v27, v5, v0
	v_fma_f32 v128, v4, v0, -v1
	v_mul_f32_e32 v129, v6, v3
	v_mul_f32_e32 v0, v7, v3
	s_delay_alu instid0(VALU_DEP_2) | instskip(NEXT) | instid1(VALU_DEP_2)
	v_fmac_f32_e32 v129, v7, v2
	v_fma_f32 v130, v6, v2, -v0
	ds_load_2addr_b64 v[0:3], v112 offset0:59 offset1:60
	ds_load_2addr_b64 v[4:7], v112 offset0:61 offset1:62
	s_wait_loadcnt_dscnt 0x1
	v_mul_f32_e32 v131, v0, v9
	v_mul_f32_e32 v133, v2, v11
	s_delay_alu instid0(VALU_DEP_2) | instskip(SKIP_1) | instid1(VALU_DEP_3)
	v_fmac_f32_e32 v131, v1, v8
	v_mul_f32_e32 v1, v1, v9
	v_fmac_f32_e32 v133, v3, v10
	s_delay_alu instid0(VALU_DEP_2) | instskip(SKIP_1) | instid1(VALU_DEP_1)
	v_fma_f32 v132, v0, v8, -v1
	v_mul_f32_e32 v0, v3, v11
	v_fma_f32 v134, v2, v10, -v0
	s_clause 0x1
	scratch_load_b128 v[0:3], off, off offset:152
	scratch_load_b128 v[8:11], off, off offset:168
	s_wait_loadcnt_dscnt 0x100
	v_mul_f32_e32 v135, v4, v1
	v_mul_f32_e32 v1, v5, v1
	v_mul_f32_e32 v137, v6, v3
	s_delay_alu instid0(VALU_DEP_3) | instskip(NEXT) | instid1(VALU_DEP_3)
	v_fmac_f32_e32 v135, v5, v0
	v_fma_f32 v136, v4, v0, -v1
	v_mul_f32_e32 v0, v7, v3
	s_delay_alu instid0(VALU_DEP_4) | instskip(NEXT) | instid1(VALU_DEP_2)
	v_fmac_f32_e32 v137, v7, v2
	v_fma_f32 v138, v6, v2, -v0
	ds_load_2addr_b64 v[0:3], v112 offset0:63 offset1:64
	ds_load_2addr_b64 v[4:7], v112 offset0:65 offset1:66
	s_wait_loadcnt_dscnt 0x1
	v_mul_f32_e32 v139, v0, v9
	v_mul_f32_e32 v141, v2, v11
	s_delay_alu instid0(VALU_DEP_2) | instskip(SKIP_1) | instid1(VALU_DEP_3)
	v_fmac_f32_e32 v139, v1, v8
	v_mul_f32_e32 v1, v1, v9
	v_fmac_f32_e32 v141, v3, v10
	s_delay_alu instid0(VALU_DEP_2) | instskip(SKIP_1) | instid1(VALU_DEP_1)
	v_fma_f32 v140, v0, v8, -v1
	v_mul_f32_e32 v0, v3, v11
	v_fma_f32 v142, v2, v10, -v0
	s_clause 0x1
	scratch_load_b128 v[0:3], off, off offset:184
	scratch_load_b128 v[8:11], off, off offset:200
	s_wait_loadcnt_dscnt 0x100
	v_mul_f32_e32 v143, v4, v1
	v_mul_f32_e32 v1, v5, v1
	v_mul_f32_e32 v145, v6, v3
	s_delay_alu instid0(VALU_DEP_3) | instskip(NEXT) | instid1(VALU_DEP_3)
	v_fmac_f32_e32 v143, v5, v0
	v_fma_f32 v144, v4, v0, -v1
	v_mul_f32_e32 v0, v7, v3
	s_delay_alu instid0(VALU_DEP_4) | instskip(NEXT) | instid1(VALU_DEP_2)
	;; [unrolled: 27-line block ×3, first 2 shown]
	v_fmac_f32_e32 v153, v7, v2
	v_fma_f32 v154, v6, v2, -v0
	ds_load_2addr_b64 v[0:3], v112 offset0:71 offset1:72
	ds_load_2addr_b64 v[4:7], v112 offset0:73 offset1:74
	s_wait_loadcnt_dscnt 0x1
	v_mul_f32_e32 v155, v0, v9
	v_mul_f32_e32 v157, v2, v11
	s_delay_alu instid0(VALU_DEP_2) | instskip(SKIP_1) | instid1(VALU_DEP_3)
	v_fmac_f32_e32 v155, v1, v8
	v_mul_f32_e32 v1, v1, v9
	v_fmac_f32_e32 v157, v3, v10
	s_delay_alu instid0(VALU_DEP_2) | instskip(SKIP_1) | instid1(VALU_DEP_1)
	v_fma_f32 v156, v0, v8, -v1
	v_mul_f32_e32 v0, v3, v11
	v_fma_f32 v158, v2, v10, -v0
	s_clause 0x1
	scratch_load_b128 v[0:3], off, off offset:248
	scratch_load_b128 v[8:11], off, off offset:264
	s_wait_loadcnt_dscnt 0x100
	v_mul_f32_e32 v159, v4, v1
	v_mul_f32_e32 v1, v5, v1
	v_mul_f32_e32 v161, v6, v3
	s_delay_alu instid0(VALU_DEP_3) | instskip(NEXT) | instid1(VALU_DEP_3)
	v_fmac_f32_e32 v159, v5, v0
	v_fma_f32 v160, v4, v0, -v1
	v_dual_mul_f32 v0, v7, v3 :: v_dual_add_f32 v1, 0, v124
	s_delay_alu instid0(VALU_DEP_4) | instskip(NEXT) | instid1(VALU_DEP_2)
	v_fmac_f32_e32 v161, v7, v2
	v_fma_f32 v162, v6, v2, -v0
	v_add_f32_e32 v0, 0, v113
	s_delay_alu instid0(VALU_DEP_1) | instskip(NEXT) | instid1(VALU_DEP_1)
	v_dual_add_f32 v1, v1, v125 :: v_dual_add_f32 v0, v0, v114
	v_dual_add_f32 v1, v1, v115 :: v_dual_add_f32 v0, v0, v117
	s_delay_alu instid0(VALU_DEP_1) | instskip(NEXT) | instid1(VALU_DEP_1)
	v_dual_add_f32 v1, v1, v116 :: v_dual_add_f32 v0, v0, v118
	v_add_f32_e32 v1, v1, v119
	s_delay_alu instid0(VALU_DEP_1) | instskip(NEXT) | instid1(VALU_DEP_1)
	v_dual_add_f32 v0, v0, v123 :: v_dual_add_f32 v1, v1, v120
	v_dual_add_f32 v0, v0, v126 :: v_dual_add_f32 v1, v1, v127
	s_delay_alu instid0(VALU_DEP_1) | instskip(NEXT) | instid1(VALU_DEP_1)
	v_dual_add_f32 v0, v0, v12 :: v_dual_add_f32 v1, v1, v13
	v_dual_add_f32 v0, v0, v14 :: v_dual_add_f32 v1, v1, v15
	;; [unrolled: 3-line block ×4, first 2 shown]
	s_delay_alu instid0(VALU_DEP_1) | instskip(SKIP_2) | instid1(VALU_DEP_1)
	v_dual_add_f32 v0, v0, v24 :: v_dual_add_f32 v1, v1, v25
	scratch_load_b64 v[24:25], off, off offset:328
	v_dual_add_f32 v0, v0, v26 :: v_dual_add_f32 v1, v1, v27
	v_add_f32_e32 v0, v0, v128
	s_delay_alu instid0(VALU_DEP_2) | instskip(NEXT) | instid1(VALU_DEP_2)
	v_add_f32_e32 v4, v1, v129
	v_add_f32_e32 v0, v0, v130
	s_delay_alu instid0(VALU_DEP_2) | instskip(NEXT) | instid1(VALU_DEP_2)
	v_add_f32_e32 v4, v4, v131
	v_add_f32_e32 v5, v0, v132
	ds_load_2addr_b64 v[0:3], v112 offset0:75 offset1:76
	v_add_f32_e32 v5, v5, v134
	s_delay_alu instid0(VALU_DEP_1) | instskip(NEXT) | instid1(VALU_DEP_1)
	v_add_f32_e32 v12, v5, v136
	v_add_f32_e32 v12, v12, v138
	s_delay_alu instid0(VALU_DEP_1) | instskip(SKIP_1) | instid1(VALU_DEP_2)
	v_add_f32_e32 v12, v12, v140
	v_add_f32_e32 v4, v4, v133
	;; [unrolled: 1-line block ×3, first 2 shown]
	s_delay_alu instid0(VALU_DEP_2)
	v_add_f32_e32 v13, v4, v135
	ds_load_2addr_b64 v[4:7], v112 offset0:77 offset1:78
	s_wait_loadcnt_dscnt 0x101
	v_mul_f32_e32 v113, v0, v9
	v_dual_mul_f32 v9, v1, v9 :: v_dual_mul_f32 v114, v2, v11
	v_mul_f32_e32 v11, v3, v11
	v_add_f32_e32 v13, v13, v137
	s_delay_alu instid0(VALU_DEP_4) | instskip(NEXT) | instid1(VALU_DEP_4)
	v_fmac_f32_e32 v113, v1, v8
	v_fma_f32 v115, v0, v8, -v9
	v_fmac_f32_e32 v114, v3, v10
	v_fma_f32 v116, v2, v10, -v11
	s_clause 0x1
	scratch_load_b128 v[0:3], off, off offset:280
	scratch_load_b128 v[8:11], off, off offset:296
	v_add_f32_e32 v13, v13, v139
	s_delay_alu instid0(VALU_DEP_1) | instskip(SKIP_2) | instid1(VALU_DEP_1)
	v_dual_add_f32 v17, v12, v144 :: v_dual_add_f32 v16, v13, v141
	scratch_load_b128 v[12:15], off, off offset:312
	v_dual_add_f32 v17, v17, v146 :: v_dual_add_f32 v16, v16, v143
	v_add_f32_e32 v17, v17, v148
	s_delay_alu instid0(VALU_DEP_1) | instskip(NEXT) | instid1(VALU_DEP_1)
	v_add_f32_e32 v17, v17, v150
	v_add_f32_e32 v17, v17, v152
	s_delay_alu instid0(VALU_DEP_1) | instskip(NEXT) | instid1(VALU_DEP_1)
	v_add_f32_e32 v26, v17, v154
	;; [unrolled: 3-line block ×4, first 2 shown]
	v_add_f32_e32 v115, v117, v115
	s_wait_loadcnt_dscnt 0x200
	v_mul_f32_e32 v119, v4, v1
	v_dual_mul_f32 v1, v5, v1 :: v_dual_mul_f32 v120, v6, v3
	v_dual_add_f32 v16, v16, v145 :: v_dual_mul_f32 v3, v7, v3
	s_delay_alu instid0(VALU_DEP_3) | instskip(NEXT) | instid1(VALU_DEP_3)
	v_fmac_f32_e32 v119, v5, v0
	v_fma_f32 v0, v4, v0, -v1
	s_delay_alu instid0(VALU_DEP_3) | instskip(SKIP_2) | instid1(VALU_DEP_3)
	v_dual_add_f32 v1, v115, v116 :: v_dual_add_f32 v16, v16, v147
	v_fmac_f32_e32 v120, v7, v2
	v_fma_f32 v2, v6, v2, -v3
	v_add_f32_e32 v0, v1, v0
	s_delay_alu instid0(VALU_DEP_4) | instskip(NEXT) | instid1(VALU_DEP_2)
	v_add_f32_e32 v16, v16, v149
	v_add_f32_e32 v0, v0, v2
	s_delay_alu instid0(VALU_DEP_2)
	v_add_f32_e32 v20, v16, v151
	ds_load_2addr_b64 v[16:19], v112 offset0:79 offset1:80
	v_add_f32_e32 v27, v20, v153
	ds_load_2addr_b64 v[20:23], v112 offset0:81 offset1:82
	v_add_f32_e32 v118, v27, v155
	ds_load_b64 v[26:27], v112 offset:664
	v_add_f32_e32 v118, v118, v157
	s_wait_loadcnt_dscnt 0x102
	s_delay_alu instid0(VALU_DEP_1) | instskip(SKIP_1) | instid1(VALU_DEP_2)
	v_dual_add_f32 v118, v118, v159 :: v_dual_mul_f32 v123, v16, v9
	v_dual_mul_f32 v5, v17, v9 :: v_dual_mul_f32 v124, v18, v11
	v_dual_mul_f32 v3, v19, v11 :: v_dual_add_f32 v118, v118, v161
	s_delay_alu instid0(VALU_DEP_3)
	v_fmac_f32_e32 v123, v17, v8
	s_wait_loadcnt_dscnt 0x1
	v_mul_f32_e32 v125, v20, v13
	v_mul_f32_e32 v2, v21, v13
	v_dual_fmac_f32 v124, v19, v10 :: v_dual_add_f32 v113, v118, v113
	v_fma_f32 v3, v18, v10, -v3
	v_mul_f32_e32 v117, v22, v15
	v_fmac_f32_e32 v125, v21, v12
	v_fma_f32 v2, v20, v12, -v2
	v_add_f32_e32 v4, v113, v114
	s_wait_dscnt 0x0
	v_dual_mul_f32 v118, v26, v25 :: v_dual_fmac_f32 v117, v23, v14
	s_delay_alu instid0(VALU_DEP_2) | instskip(SKIP_1) | instid1(VALU_DEP_3)
	v_add_f32_e32 v1, v4, v119
	v_fma_f32 v4, v16, v8, -v5
	v_fmac_f32_e32 v118, v27, v24
	s_delay_alu instid0(VALU_DEP_3) | instskip(NEXT) | instid1(VALU_DEP_3)
	v_add_f32_e32 v1, v1, v120
	v_add_f32_e32 v0, v0, v4
	v_mul_f32_e32 v4, v23, v15
	s_delay_alu instid0(VALU_DEP_3) | instskip(NEXT) | instid1(VALU_DEP_3)
	v_add_f32_e32 v1, v1, v123
	v_dual_add_f32 v0, v0, v3 :: v_dual_mul_f32 v3, v27, v25
	s_delay_alu instid0(VALU_DEP_3) | instskip(NEXT) | instid1(VALU_DEP_2)
	v_fma_f32 v4, v22, v14, -v4
	v_dual_add_f32 v1, v1, v124 :: v_dual_add_f32 v0, v0, v2
	s_delay_alu instid0(VALU_DEP_3) | instskip(NEXT) | instid1(VALU_DEP_2)
	v_fma_f32 v2, v26, v24, -v3
	v_dual_add_f32 v1, v1, v125 :: v_dual_add_f32 v0, v0, v4
	s_delay_alu instid0(VALU_DEP_1) | instskip(NEXT) | instid1(VALU_DEP_1)
	v_dual_add_f32 v1, v1, v117 :: v_dual_add_f32 v0, v0, v2
	v_add_f32_e32 v1, v1, v118
	s_delay_alu instid0(VALU_DEP_1)
	v_dual_sub_f32 v0, v121, v0 :: v_dual_sub_f32 v1, v122, v1
	scratch_store_b64 off, v[0:1], off
	s_wait_alu 0xfffe
	s_cbranch_vccz .LBB105_348
; %bb.266:
	global_load_b32 v0, v112, s[2:3] offset:160
	s_wait_loadcnt 0x0
	v_cmp_ne_u32_e32 vcc_lo, 41, v0
	s_cbranch_vccz .LBB105_268
; %bb.267:
	v_lshlrev_b32_e32 v0, 3, v0
	s_delay_alu instid0(VALU_DEP_1)
	v_mov_b32_e32 v4, v0
	scratch_load_b64 v[0:1], v4, off offset:-8
	scratch_load_b64 v[2:3], off, off offset:320
	s_wait_loadcnt 0x1
	scratch_store_b64 off, v[0:1], off offset:320
	s_wait_loadcnt 0x0
	scratch_store_b64 v4, v[2:3], off offset:-8
.LBB105_268:
	v_mov_b32_e32 v0, 0
	global_load_b32 v1, v0, s[2:3] offset:156
	s_wait_loadcnt 0x0
	v_cmp_eq_u32_e32 vcc_lo, 40, v1
	s_cbranch_vccnz .LBB105_270
; %bb.269:
	v_lshlrev_b32_e32 v1, 3, v1
	s_delay_alu instid0(VALU_DEP_1)
	v_mov_b32_e32 v5, v1
	scratch_load_b64 v[1:2], v5, off offset:-8
	scratch_load_b64 v[3:4], off, off offset:312
	s_wait_loadcnt 0x1
	scratch_store_b64 off, v[1:2], off offset:312
	s_wait_loadcnt 0x0
	scratch_store_b64 v5, v[3:4], off offset:-8
.LBB105_270:
	global_load_b32 v0, v0, s[2:3] offset:152
	s_wait_loadcnt 0x0
	v_cmp_eq_u32_e32 vcc_lo, 39, v0
	s_cbranch_vccnz .LBB105_272
; %bb.271:
	v_lshlrev_b32_e32 v0, 3, v0
	s_delay_alu instid0(VALU_DEP_1)
	v_mov_b32_e32 v4, v0
	scratch_load_b64 v[0:1], v4, off offset:-8
	scratch_load_b64 v[2:3], off, off offset:304
	s_wait_loadcnt 0x1
	scratch_store_b64 off, v[0:1], off offset:304
	s_wait_loadcnt 0x0
	scratch_store_b64 v4, v[2:3], off offset:-8
.LBB105_272:
	v_mov_b32_e32 v0, 0
	global_load_b32 v1, v0, s[2:3] offset:148
	s_wait_loadcnt 0x0
	v_cmp_eq_u32_e32 vcc_lo, 38, v1
	s_cbranch_vccnz .LBB105_274
; %bb.273:
	v_lshlrev_b32_e32 v1, 3, v1
	s_delay_alu instid0(VALU_DEP_1)
	v_mov_b32_e32 v5, v1
	scratch_load_b64 v[1:2], v5, off offset:-8
	scratch_load_b64 v[3:4], off, off offset:296
	s_wait_loadcnt 0x1
	scratch_store_b64 off, v[1:2], off offset:296
	s_wait_loadcnt 0x0
	scratch_store_b64 v5, v[3:4], off offset:-8
.LBB105_274:
	global_load_b32 v0, v0, s[2:3] offset:144
	s_wait_loadcnt 0x0
	v_cmp_eq_u32_e32 vcc_lo, 37, v0
	s_cbranch_vccnz .LBB105_276
; %bb.275:
	v_lshlrev_b32_e32 v0, 3, v0
	s_delay_alu instid0(VALU_DEP_1)
	v_mov_b32_e32 v4, v0
	scratch_load_b64 v[0:1], v4, off offset:-8
	scratch_load_b64 v[2:3], off, off offset:288
	s_wait_loadcnt 0x1
	scratch_store_b64 off, v[0:1], off offset:288
	s_wait_loadcnt 0x0
	scratch_store_b64 v4, v[2:3], off offset:-8
.LBB105_276:
	;; [unrolled: 31-line block ×19, first 2 shown]
	v_mov_b32_e32 v0, 0
	global_load_b32 v1, v0, s[2:3] offset:4
	s_wait_loadcnt 0x0
	v_cmp_eq_u32_e32 vcc_lo, 2, v1
	s_cbranch_vccnz .LBB105_346
; %bb.345:
	v_lshlrev_b32_e32 v1, 3, v1
	s_delay_alu instid0(VALU_DEP_1)
	v_mov_b32_e32 v5, v1
	scratch_load_b64 v[1:2], v5, off offset:-8
	scratch_load_b64 v[3:4], off, off offset:8
	s_wait_loadcnt 0x1
	scratch_store_b64 off, v[1:2], off offset:8
	s_wait_loadcnt 0x0
	scratch_store_b64 v5, v[3:4], off offset:-8
.LBB105_346:
	global_load_b32 v0, v0, s[2:3]
	s_wait_loadcnt 0x0
	v_cmp_eq_u32_e32 vcc_lo, 1, v0
	s_cbranch_vccnz .LBB105_348
; %bb.347:
	v_lshlrev_b32_e32 v0, 3, v0
	s_delay_alu instid0(VALU_DEP_1)
	v_mov_b32_e32 v4, v0
	scratch_load_b64 v[0:1], v4, off offset:-8
	scratch_load_b64 v[2:3], off, off
	s_wait_loadcnt 0x1
	scratch_store_b64 off, v[0:1], off
	s_wait_loadcnt 0x0
	scratch_store_b64 v4, v[2:3], off offset:-8
.LBB105_348:
	scratch_load_b64 v[0:1], off, off
	s_wait_loadcnt 0x0
	flat_store_b64 v[28:29], v[0:1]
	scratch_load_b64 v[0:1], off, off offset:8
	s_wait_loadcnt 0x0
	flat_store_b64 v[30:31], v[0:1]
	scratch_load_b64 v[0:1], off, off offset:16
	;; [unrolled: 3-line block ×41, first 2 shown]
	s_wait_loadcnt 0x0
	flat_store_b64 v[110:111], v[0:1]
	s_nop 0
	s_sendmsg sendmsg(MSG_DEALLOC_VGPRS)
	s_endpgm
	.section	.rodata,"a",@progbits
	.p2align	6, 0x0
	.amdhsa_kernel _ZN9rocsolver6v33100L18getri_kernel_smallILi42E19rocblas_complex_numIfEPKPS3_EEvT1_iilPiilS8_bb
		.amdhsa_group_segment_fixed_size 676
		.amdhsa_private_segment_fixed_size 352
		.amdhsa_kernarg_size 60
		.amdhsa_user_sgpr_count 2
		.amdhsa_user_sgpr_dispatch_ptr 0
		.amdhsa_user_sgpr_queue_ptr 0
		.amdhsa_user_sgpr_kernarg_segment_ptr 1
		.amdhsa_user_sgpr_dispatch_id 0
		.amdhsa_user_sgpr_private_segment_size 0
		.amdhsa_wavefront_size32 1
		.amdhsa_uses_dynamic_stack 0
		.amdhsa_enable_private_segment 1
		.amdhsa_system_sgpr_workgroup_id_x 1
		.amdhsa_system_sgpr_workgroup_id_y 0
		.amdhsa_system_sgpr_workgroup_id_z 0
		.amdhsa_system_sgpr_workgroup_info 0
		.amdhsa_system_vgpr_workitem_id 0
		.amdhsa_next_free_vgpr 254
		.amdhsa_next_free_sgpr 19
		.amdhsa_reserve_vcc 1
		.amdhsa_float_round_mode_32 0
		.amdhsa_float_round_mode_16_64 0
		.amdhsa_float_denorm_mode_32 3
		.amdhsa_float_denorm_mode_16_64 3
		.amdhsa_fp16_overflow 0
		.amdhsa_workgroup_processor_mode 1
		.amdhsa_memory_ordered 1
		.amdhsa_forward_progress 1
		.amdhsa_inst_pref_size 255
		.amdhsa_round_robin_scheduling 0
		.amdhsa_exception_fp_ieee_invalid_op 0
		.amdhsa_exception_fp_denorm_src 0
		.amdhsa_exception_fp_ieee_div_zero 0
		.amdhsa_exception_fp_ieee_overflow 0
		.amdhsa_exception_fp_ieee_underflow 0
		.amdhsa_exception_fp_ieee_inexact 0
		.amdhsa_exception_int_div_zero 0
	.end_amdhsa_kernel
	.section	.text._ZN9rocsolver6v33100L18getri_kernel_smallILi42E19rocblas_complex_numIfEPKPS3_EEvT1_iilPiilS8_bb,"axG",@progbits,_ZN9rocsolver6v33100L18getri_kernel_smallILi42E19rocblas_complex_numIfEPKPS3_EEvT1_iilPiilS8_bb,comdat
.Lfunc_end105:
	.size	_ZN9rocsolver6v33100L18getri_kernel_smallILi42E19rocblas_complex_numIfEPKPS3_EEvT1_iilPiilS8_bb, .Lfunc_end105-_ZN9rocsolver6v33100L18getri_kernel_smallILi42E19rocblas_complex_numIfEPKPS3_EEvT1_iilPiilS8_bb
                                        ; -- End function
	.set _ZN9rocsolver6v33100L18getri_kernel_smallILi42E19rocblas_complex_numIfEPKPS3_EEvT1_iilPiilS8_bb.num_vgpr, 254
	.set _ZN9rocsolver6v33100L18getri_kernel_smallILi42E19rocblas_complex_numIfEPKPS3_EEvT1_iilPiilS8_bb.num_agpr, 0
	.set _ZN9rocsolver6v33100L18getri_kernel_smallILi42E19rocblas_complex_numIfEPKPS3_EEvT1_iilPiilS8_bb.numbered_sgpr, 19
	.set _ZN9rocsolver6v33100L18getri_kernel_smallILi42E19rocblas_complex_numIfEPKPS3_EEvT1_iilPiilS8_bb.num_named_barrier, 0
	.set _ZN9rocsolver6v33100L18getri_kernel_smallILi42E19rocblas_complex_numIfEPKPS3_EEvT1_iilPiilS8_bb.private_seg_size, 352
	.set _ZN9rocsolver6v33100L18getri_kernel_smallILi42E19rocblas_complex_numIfEPKPS3_EEvT1_iilPiilS8_bb.uses_vcc, 1
	.set _ZN9rocsolver6v33100L18getri_kernel_smallILi42E19rocblas_complex_numIfEPKPS3_EEvT1_iilPiilS8_bb.uses_flat_scratch, 1
	.set _ZN9rocsolver6v33100L18getri_kernel_smallILi42E19rocblas_complex_numIfEPKPS3_EEvT1_iilPiilS8_bb.has_dyn_sized_stack, 0
	.set _ZN9rocsolver6v33100L18getri_kernel_smallILi42E19rocblas_complex_numIfEPKPS3_EEvT1_iilPiilS8_bb.has_recursion, 0
	.set _ZN9rocsolver6v33100L18getri_kernel_smallILi42E19rocblas_complex_numIfEPKPS3_EEvT1_iilPiilS8_bb.has_indirect_call, 0
	.section	.AMDGPU.csdata,"",@progbits
; Kernel info:
; codeLenInByte = 63960
; TotalNumSgprs: 21
; NumVgprs: 254
; ScratchSize: 352
; MemoryBound: 0
; FloatMode: 240
; IeeeMode: 1
; LDSByteSize: 676 bytes/workgroup (compile time only)
; SGPRBlocks: 0
; VGPRBlocks: 31
; NumSGPRsForWavesPerEU: 21
; NumVGPRsForWavesPerEU: 254
; Occupancy: 5
; WaveLimiterHint : 1
; COMPUTE_PGM_RSRC2:SCRATCH_EN: 1
; COMPUTE_PGM_RSRC2:USER_SGPR: 2
; COMPUTE_PGM_RSRC2:TRAP_HANDLER: 0
; COMPUTE_PGM_RSRC2:TGID_X_EN: 1
; COMPUTE_PGM_RSRC2:TGID_Y_EN: 0
; COMPUTE_PGM_RSRC2:TGID_Z_EN: 0
; COMPUTE_PGM_RSRC2:TIDIG_COMP_CNT: 0
	.section	.text._ZN9rocsolver6v33100L18getri_kernel_smallILi43E19rocblas_complex_numIfEPKPS3_EEvT1_iilPiilS8_bb,"axG",@progbits,_ZN9rocsolver6v33100L18getri_kernel_smallILi43E19rocblas_complex_numIfEPKPS3_EEvT1_iilPiilS8_bb,comdat
	.globl	_ZN9rocsolver6v33100L18getri_kernel_smallILi43E19rocblas_complex_numIfEPKPS3_EEvT1_iilPiilS8_bb ; -- Begin function _ZN9rocsolver6v33100L18getri_kernel_smallILi43E19rocblas_complex_numIfEPKPS3_EEvT1_iilPiilS8_bb
	.p2align	8
	.type	_ZN9rocsolver6v33100L18getri_kernel_smallILi43E19rocblas_complex_numIfEPKPS3_EEvT1_iilPiilS8_bb,@function
_ZN9rocsolver6v33100L18getri_kernel_smallILi43E19rocblas_complex_numIfEPKPS3_EEvT1_iilPiilS8_bb: ; @_ZN9rocsolver6v33100L18getri_kernel_smallILi43E19rocblas_complex_numIfEPKPS3_EEvT1_iilPiilS8_bb
; %bb.0:
	s_mov_b32 s2, exec_lo
	v_cmpx_gt_u32_e32 43, v0
	s_cbranch_execz .LBB106_186
; %bb.1:
	s_clause 0x1
	s_load_b32 s13, s[0:1], 0x38
	s_load_b64 s[2:3], s[0:1], 0x0
	s_mov_b32 s8, ttmp9
	s_load_b128 s[4:7], s[0:1], 0x28
	s_wait_kmcnt 0x0
	s_bitcmp1_b32 s13, 8
	s_cselect_b32 s12, -1, 0
	s_ashr_i32 s9, ttmp9, 31
	s_delay_alu instid0(SALU_CYCLE_1) | instskip(NEXT) | instid1(SALU_CYCLE_1)
	s_lshl_b64 s[10:11], s[8:9], 3
	s_add_nc_u64 s[2:3], s[2:3], s[10:11]
	s_load_b64 s[10:11], s[2:3], 0x0
	s_bfe_u32 s2, s13, 0x10008
	s_delay_alu instid0(SALU_CYCLE_1)
	s_cmp_eq_u32 s2, 0
                                        ; implicit-def: $sgpr2_sgpr3
	s_cbranch_scc1 .LBB106_3
; %bb.2:
	s_load_b96 s[16:18], s[0:1], 0x18
	s_mul_u64 s[2:3], s[4:5], s[8:9]
	s_delay_alu instid0(SALU_CYCLE_1)
	s_lshl_b64 s[2:3], s[2:3], 2
	s_wait_kmcnt 0x0
	s_ashr_i32 s5, s18, 31
	s_mov_b32 s4, s18
	s_add_nc_u64 s[2:3], s[16:17], s[2:3]
	s_lshl_b64 s[4:5], s[4:5], 2
	s_delay_alu instid0(SALU_CYCLE_1)
	s_add_nc_u64 s[2:3], s[2:3], s[4:5]
.LBB106_3:
	s_clause 0x1
	s_load_b64 s[4:5], s[0:1], 0x8
	s_load_b32 s13, s[0:1], 0x38
	v_lshlrev_b32_e32 v7, 3, v0
	s_wait_kmcnt 0x0
	s_ashr_i32 s1, s4, 31
	s_mov_b32 s0, s4
	v_add3_u32 v3, s5, s5, v0
	s_lshl_b64 s[0:1], s[0:1], 3
	s_delay_alu instid0(SALU_CYCLE_1)
	s_add_nc_u64 s[0:1], s[10:11], s[0:1]
	s_ashr_i32 s11, s5, 31
	v_add_co_u32 v24, s4, s0, v7
	s_wait_alu 0xf1ff
	v_add_co_ci_u32_e64 v25, null, s1, 0, s4
	s_mov_b32 s10, s5
	v_ashrrev_i32_e32 v4, 31, v3
	s_lshl_b64 s[10:11], s[10:11], 3
	flat_load_b64 v[1:2], v[24:25]
	v_add_co_u32 v26, vcc_lo, v24, s10
	s_delay_alu instid0(VALU_DEP_1) | instskip(SKIP_3) | instid1(VALU_DEP_2)
	v_add_co_ci_u32_e64 v27, null, s11, v25, vcc_lo
	v_lshlrev_b64_e32 v[4:5], 3, v[3:4]
	v_add_nc_u32_e32 v3, s5, v3
	s_bitcmp0_b32 s13, 0
	v_add_co_u32 v28, vcc_lo, s0, v4
	s_wait_alu 0xfffd
	s_delay_alu instid0(VALU_DEP_3) | instskip(SKIP_1) | instid1(VALU_DEP_1)
	v_add_co_ci_u32_e64 v29, null, s1, v5, vcc_lo
	v_ashrrev_i32_e32 v4, 31, v3
	v_lshlrev_b64_e32 v[4:5], 3, v[3:4]
	v_add_nc_u32_e32 v3, s5, v3
	s_delay_alu instid0(VALU_DEP_2) | instskip(SKIP_1) | instid1(VALU_DEP_3)
	v_add_co_u32 v30, vcc_lo, s0, v4
	s_wait_alu 0xfffd
	v_add_co_ci_u32_e64 v31, null, s1, v5, vcc_lo
	s_delay_alu instid0(VALU_DEP_3) | instskip(NEXT) | instid1(VALU_DEP_1)
	v_ashrrev_i32_e32 v4, 31, v3
	v_lshlrev_b64_e32 v[4:5], 3, v[3:4]
	v_add_nc_u32_e32 v3, s5, v3
	s_delay_alu instid0(VALU_DEP_2) | instskip(SKIP_1) | instid1(VALU_DEP_3)
	v_add_co_u32 v32, vcc_lo, s0, v4
	s_wait_alu 0xfffd
	v_add_co_ci_u32_e64 v33, null, s1, v5, vcc_lo
	s_delay_alu instid0(VALU_DEP_3) | instskip(NEXT) | instid1(VALU_DEP_1)
	;; [unrolled: 8-line block ×20, first 2 shown]
	v_ashrrev_i32_e32 v4, 31, v3
	v_lshlrev_b64_e32 v[4:5], 3, v[3:4]
	s_wait_loadcnt_dscnt 0x0
	scratch_store_b64 off, v[1:2], off
	flat_load_b64 v[1:2], v[26:27]
	v_add_nc_u32_e32 v3, s5, v3
	v_add_co_u32 v70, vcc_lo, s0, v4
	s_wait_alu 0xfffd
	v_add_co_ci_u32_e64 v71, null, s1, v5, vcc_lo
	s_delay_alu instid0(VALU_DEP_3) | instskip(NEXT) | instid1(VALU_DEP_1)
	v_ashrrev_i32_e32 v4, 31, v3
	v_lshlrev_b64_e32 v[4:5], 3, v[3:4]
	v_add_nc_u32_e32 v3, s5, v3
	s_delay_alu instid0(VALU_DEP_2) | instskip(SKIP_1) | instid1(VALU_DEP_3)
	v_add_co_u32 v72, vcc_lo, s0, v4
	s_wait_alu 0xfffd
	v_add_co_ci_u32_e64 v73, null, s1, v5, vcc_lo
	s_delay_alu instid0(VALU_DEP_3) | instskip(NEXT) | instid1(VALU_DEP_1)
	v_ashrrev_i32_e32 v4, 31, v3
	v_lshlrev_b64_e32 v[4:5], 3, v[3:4]
	v_add_nc_u32_e32 v3, s5, v3
	s_delay_alu instid0(VALU_DEP_2) | instskip(SKIP_1) | instid1(VALU_DEP_3)
	;; [unrolled: 8-line block ×18, first 2 shown]
	v_add_co_u32 v106, vcc_lo, s0, v4
	s_wait_alu 0xfffd
	v_add_co_ci_u32_e64 v107, null, s1, v5, vcc_lo
	s_delay_alu instid0(VALU_DEP_3) | instskip(NEXT) | instid1(VALU_DEP_1)
	v_ashrrev_i32_e32 v4, 31, v3
	v_lshlrev_b64_e32 v[3:4], 3, v[3:4]
	s_delay_alu instid0(VALU_DEP_1) | instskip(SKIP_1) | instid1(VALU_DEP_2)
	v_add_co_u32 v108, vcc_lo, s0, v3
	s_wait_alu 0xfffd
	v_add_co_ci_u32_e64 v109, null, s1, v4, vcc_lo
	s_mov_b32 s1, -1
	s_wait_loadcnt_dscnt 0x0
	scratch_store_b64 off, v[1:2], off offset:8
	flat_load_b64 v[1:2], v[28:29]
	s_wait_loadcnt_dscnt 0x0
	scratch_store_b64 off, v[1:2], off offset:16
	flat_load_b64 v[1:2], v[30:31]
	;; [unrolled: 3-line block ×41, first 2 shown]
	s_wait_loadcnt_dscnt 0x0
	scratch_store_b64 off, v[1:2], off offset:336
	s_cbranch_scc1 .LBB106_184
; %bb.4:
	v_cmp_eq_u32_e64 s0, 0, v0
	s_and_saveexec_b32 s1, s0
; %bb.5:
	v_mov_b32_e32 v1, 0
	ds_store_b32 v1, v1 offset:344
; %bb.6:
	s_wait_alu 0xfffe
	s_or_b32 exec_lo, exec_lo, s1
	s_wait_storecnt_dscnt 0x0
	s_barrier_signal -1
	s_barrier_wait -1
	global_inv scope:SCOPE_SE
	scratch_load_b64 v[1:2], v7, off
	s_wait_loadcnt 0x0
	v_cmp_eq_f32_e32 vcc_lo, 0, v1
	v_cmp_eq_f32_e64 s1, 0, v2
	s_and_b32 s1, vcc_lo, s1
	s_wait_alu 0xfffe
	s_and_saveexec_b32 s4, s1
	s_cbranch_execz .LBB106_10
; %bb.7:
	v_mov_b32_e32 v1, 0
	s_mov_b32 s5, 0
	ds_load_b32 v2, v1 offset:344
	s_wait_dscnt 0x0
	v_readfirstlane_b32 s1, v2
	v_add_nc_u32_e32 v2, 1, v0
	s_cmp_eq_u32 s1, 0
	s_delay_alu instid0(VALU_DEP_1)
	v_cmp_gt_i32_e32 vcc_lo, s1, v2
	s_cselect_b32 s10, -1, 0
	s_wait_alu 0xfffe
	s_or_b32 s10, s10, vcc_lo
	s_wait_alu 0xfffe
	s_and_b32 exec_lo, exec_lo, s10
	s_cbranch_execz .LBB106_10
; %bb.8:
	v_mov_b32_e32 v3, s1
.LBB106_9:                              ; =>This Inner Loop Header: Depth=1
	ds_cmpstore_rtn_b32 v3, v1, v2, v3 offset:344
	s_wait_dscnt 0x0
	v_cmp_ne_u32_e32 vcc_lo, 0, v3
	v_cmp_le_i32_e64 s1, v3, v2
	s_and_b32 s1, vcc_lo, s1
	s_wait_alu 0xfffe
	s_and_b32 s1, exec_lo, s1
	s_wait_alu 0xfffe
	s_or_b32 s5, s1, s5
	s_wait_alu 0xfffe
	s_and_not1_b32 exec_lo, exec_lo, s5
	s_cbranch_execnz .LBB106_9
.LBB106_10:
	s_wait_alu 0xfffe
	s_or_b32 exec_lo, exec_lo, s4
	v_mov_b32_e32 v1, 0
	s_barrier_signal -1
	s_barrier_wait -1
	global_inv scope:SCOPE_SE
	ds_load_b32 v2, v1 offset:344
	s_and_saveexec_b32 s1, s0
	s_cbranch_execz .LBB106_12
; %bb.11:
	s_lshl_b64 s[4:5], s[8:9], 2
	s_wait_alu 0xfffe
	s_add_nc_u64 s[4:5], s[6:7], s[4:5]
	s_wait_dscnt 0x0
	global_store_b32 v1, v2, s[4:5]
.LBB106_12:
	s_wait_alu 0xfffe
	s_or_b32 exec_lo, exec_lo, s1
	s_wait_dscnt 0x0
	v_cmp_ne_u32_e32 vcc_lo, 0, v2
	s_mov_b32 s1, 0
	s_cbranch_vccnz .LBB106_184
; %bb.13:
	v_mov_b32_e32 v8, v7
                                        ; implicit-def: $vgpr3
                                        ; implicit-def: $vgpr5
	scratch_load_b64 v[1:2], v8, off
	s_wait_loadcnt 0x0
	v_cmp_ngt_f32_e64 s1, |v1|, |v2|
	s_wait_alu 0xfffe
	s_and_saveexec_b32 s4, s1
	s_wait_alu 0xfffe
	s_xor_b32 s1, exec_lo, s4
	s_cbranch_execz .LBB106_15
; %bb.14:
	v_div_scale_f32 v3, null, v2, v2, v1
	v_div_scale_f32 v6, vcc_lo, v1, v2, v1
	s_delay_alu instid0(VALU_DEP_2) | instskip(NEXT) | instid1(TRANS32_DEP_1)
	v_rcp_f32_e32 v4, v3
	v_fma_f32 v5, -v3, v4, 1.0
	s_delay_alu instid0(VALU_DEP_1) | instskip(NEXT) | instid1(VALU_DEP_1)
	v_fmac_f32_e32 v4, v5, v4
	v_mul_f32_e32 v5, v6, v4
	s_delay_alu instid0(VALU_DEP_1) | instskip(NEXT) | instid1(VALU_DEP_1)
	v_fma_f32 v9, -v3, v5, v6
	v_fmac_f32_e32 v5, v9, v4
	s_delay_alu instid0(VALU_DEP_1) | instskip(SKIP_1) | instid1(VALU_DEP_1)
	v_fma_f32 v3, -v3, v5, v6
	s_wait_alu 0xfffd
	v_div_fmas_f32 v3, v3, v4, v5
	s_delay_alu instid0(VALU_DEP_1) | instskip(NEXT) | instid1(VALU_DEP_1)
	v_div_fixup_f32 v3, v3, v2, v1
	v_fmac_f32_e32 v2, v1, v3
	s_delay_alu instid0(VALU_DEP_1) | instskip(NEXT) | instid1(VALU_DEP_1)
	v_div_scale_f32 v1, null, v2, v2, 1.0
	v_rcp_f32_e32 v4, v1
	s_delay_alu instid0(TRANS32_DEP_1) | instskip(NEXT) | instid1(VALU_DEP_1)
	v_fma_f32 v5, -v1, v4, 1.0
	v_fmac_f32_e32 v4, v5, v4
	v_div_scale_f32 v5, vcc_lo, 1.0, v2, 1.0
	s_delay_alu instid0(VALU_DEP_1) | instskip(NEXT) | instid1(VALU_DEP_1)
	v_mul_f32_e32 v6, v5, v4
	v_fma_f32 v9, -v1, v6, v5
	s_delay_alu instid0(VALU_DEP_1) | instskip(NEXT) | instid1(VALU_DEP_1)
	v_fmac_f32_e32 v6, v9, v4
	v_fma_f32 v1, -v1, v6, v5
	s_wait_alu 0xfffd
	s_delay_alu instid0(VALU_DEP_1) | instskip(NEXT) | instid1(VALU_DEP_1)
	v_div_fmas_f32 v1, v1, v4, v6
	v_div_fixup_f32 v1, v1, v2, 1.0
	s_delay_alu instid0(VALU_DEP_1) | instskip(SKIP_1) | instid1(VALU_DEP_2)
	v_mul_f32_e32 v3, v3, v1
	v_xor_b32_e32 v4, 0x80000000, v1
                                        ; implicit-def: $vgpr1_vgpr2
	v_xor_b32_e32 v5, 0x80000000, v3
.LBB106_15:
	s_wait_alu 0xfffe
	s_and_not1_saveexec_b32 s1, s1
	s_cbranch_execz .LBB106_17
; %bb.16:
	v_div_scale_f32 v3, null, v1, v1, v2
	v_div_scale_f32 v6, vcc_lo, v2, v1, v2
	s_delay_alu instid0(VALU_DEP_2) | instskip(NEXT) | instid1(TRANS32_DEP_1)
	v_rcp_f32_e32 v4, v3
	v_fma_f32 v5, -v3, v4, 1.0
	s_delay_alu instid0(VALU_DEP_1) | instskip(NEXT) | instid1(VALU_DEP_1)
	v_fmac_f32_e32 v4, v5, v4
	v_mul_f32_e32 v5, v6, v4
	s_delay_alu instid0(VALU_DEP_1) | instskip(NEXT) | instid1(VALU_DEP_1)
	v_fma_f32 v9, -v3, v5, v6
	v_fmac_f32_e32 v5, v9, v4
	s_delay_alu instid0(VALU_DEP_1) | instskip(SKIP_1) | instid1(VALU_DEP_1)
	v_fma_f32 v3, -v3, v5, v6
	s_wait_alu 0xfffd
	v_div_fmas_f32 v3, v3, v4, v5
	s_delay_alu instid0(VALU_DEP_1) | instskip(NEXT) | instid1(VALU_DEP_1)
	v_div_fixup_f32 v4, v3, v1, v2
	v_fmac_f32_e32 v1, v2, v4
	s_delay_alu instid0(VALU_DEP_1) | instskip(SKIP_1) | instid1(VALU_DEP_2)
	v_div_scale_f32 v2, null, v1, v1, 1.0
	v_div_scale_f32 v6, vcc_lo, 1.0, v1, 1.0
	v_rcp_f32_e32 v3, v2
	s_delay_alu instid0(TRANS32_DEP_1) | instskip(NEXT) | instid1(VALU_DEP_1)
	v_fma_f32 v5, -v2, v3, 1.0
	v_fmac_f32_e32 v3, v5, v3
	s_delay_alu instid0(VALU_DEP_1) | instskip(NEXT) | instid1(VALU_DEP_1)
	v_mul_f32_e32 v5, v6, v3
	v_fma_f32 v9, -v2, v5, v6
	s_delay_alu instid0(VALU_DEP_1) | instskip(NEXT) | instid1(VALU_DEP_1)
	v_fmac_f32_e32 v5, v9, v3
	v_fma_f32 v2, -v2, v5, v6
	s_wait_alu 0xfffd
	s_delay_alu instid0(VALU_DEP_1) | instskip(NEXT) | instid1(VALU_DEP_1)
	v_div_fmas_f32 v2, v2, v3, v5
	v_div_fixup_f32 v3, v2, v1, 1.0
	s_delay_alu instid0(VALU_DEP_1)
	v_xor_b32_e32 v5, 0x80000000, v3
	v_mul_f32_e64 v4, v4, -v3
.LBB106_17:
	s_wait_alu 0xfffe
	s_or_b32 exec_lo, exec_lo, s1
	scratch_store_b64 v8, v[3:4], off
	scratch_load_b64 v[2:3], off, off offset:8
	v_xor_b32_e32 v6, 0x80000000, v4
	v_add_nc_u32_e32 v1, 0x160, v7
	s_wait_loadcnt 0x0
	ds_store_2addr_b64 v7, v[5:6], v[2:3] offset1:44
	s_wait_storecnt_dscnt 0x0
	s_barrier_signal -1
	s_barrier_wait -1
	global_inv scope:SCOPE_SE
	s_and_saveexec_b32 s1, s0
	s_cbranch_execz .LBB106_19
; %bb.18:
	scratch_load_b64 v[2:3], v8, off
	ds_load_b64 v[4:5], v1
	v_mov_b32_e32 v6, 0
	ds_load_b64 v[9:10], v6 offset:8
	s_wait_loadcnt_dscnt 0x1
	v_mul_f32_e32 v6, v4, v3
	v_mul_f32_e32 v3, v5, v3
	s_delay_alu instid0(VALU_DEP_2) | instskip(NEXT) | instid1(VALU_DEP_2)
	v_fmac_f32_e32 v6, v5, v2
	v_fma_f32 v2, v4, v2, -v3
	s_delay_alu instid0(VALU_DEP_2) | instskip(NEXT) | instid1(VALU_DEP_2)
	v_add_f32_e32 v4, 0, v6
	v_add_f32_e32 v2, 0, v2
	s_wait_dscnt 0x0
	s_delay_alu instid0(VALU_DEP_2) | instskip(NEXT) | instid1(VALU_DEP_2)
	v_mul_f32_e32 v5, v4, v10
	v_mul_f32_e32 v3, v2, v10
	s_delay_alu instid0(VALU_DEP_2) | instskip(NEXT) | instid1(VALU_DEP_2)
	v_fma_f32 v2, v2, v9, -v5
	v_fmac_f32_e32 v3, v4, v9
	scratch_store_b64 off, v[2:3], off offset:8
.LBB106_19:
	s_wait_alu 0xfffe
	s_or_b32 exec_lo, exec_lo, s1
	s_wait_loadcnt 0x0
	s_wait_storecnt 0x0
	s_barrier_signal -1
	s_barrier_wait -1
	global_inv scope:SCOPE_SE
	scratch_load_b64 v[2:3], off, off offset:16
	s_mov_b32 s1, exec_lo
	s_wait_loadcnt 0x0
	ds_store_b64 v1, v[2:3]
	s_wait_dscnt 0x0
	s_barrier_signal -1
	s_barrier_wait -1
	global_inv scope:SCOPE_SE
	v_cmpx_gt_u32_e32 2, v0
	s_cbranch_execz .LBB106_23
; %bb.20:
	scratch_load_b64 v[2:3], v8, off
	ds_load_b64 v[4:5], v1
	s_wait_loadcnt_dscnt 0x0
	v_mul_f32_e32 v6, v5, v3
	v_mul_f32_e32 v9, v4, v3
	s_delay_alu instid0(VALU_DEP_2) | instskip(NEXT) | instid1(VALU_DEP_2)
	v_fma_f32 v3, v4, v2, -v6
	v_fmac_f32_e32 v9, v5, v2
	s_delay_alu instid0(VALU_DEP_1)
	v_dual_add_f32 v3, 0, v3 :: v_dual_add_f32 v2, 0, v9
	s_and_saveexec_b32 s4, s0
	s_cbranch_execz .LBB106_22
; %bb.21:
	scratch_load_b64 v[4:5], off, off offset:8
	v_mov_b32_e32 v6, 0
	ds_load_b64 v[9:10], v6 offset:360
	s_wait_loadcnt_dscnt 0x0
	v_mul_f32_e32 v6, v9, v5
	v_mul_f32_e32 v5, v10, v5
	s_delay_alu instid0(VALU_DEP_2) | instskip(NEXT) | instid1(VALU_DEP_2)
	v_fmac_f32_e32 v6, v10, v4
	v_fma_f32 v4, v9, v4, -v5
	s_delay_alu instid0(VALU_DEP_1)
	v_dual_add_f32 v2, v2, v6 :: v_dual_add_f32 v3, v3, v4
.LBB106_22:
	s_wait_alu 0xfffe
	s_or_b32 exec_lo, exec_lo, s4
	v_mov_b32_e32 v4, 0
	ds_load_b64 v[4:5], v4 offset:16
	s_wait_dscnt 0x0
	v_mul_f32_e32 v9, v2, v5
	v_mul_f32_e32 v6, v3, v5
	s_delay_alu instid0(VALU_DEP_2) | instskip(NEXT) | instid1(VALU_DEP_2)
	v_fma_f32 v5, v3, v4, -v9
	v_fmac_f32_e32 v6, v2, v4
	scratch_store_b64 off, v[5:6], off offset:16
.LBB106_23:
	s_wait_alu 0xfffe
	s_or_b32 exec_lo, exec_lo, s1
	s_wait_loadcnt 0x0
	s_wait_storecnt 0x0
	s_barrier_signal -1
	s_barrier_wait -1
	global_inv scope:SCOPE_SE
	scratch_load_b64 v[3:4], off, off offset:24
	v_add_nc_u32_e32 v2, -1, v0
	s_mov_b32 s0, exec_lo
	s_wait_loadcnt 0x0
	ds_store_b64 v1, v[3:4]
	s_wait_dscnt 0x0
	s_barrier_signal -1
	s_barrier_wait -1
	global_inv scope:SCOPE_SE
	v_cmpx_gt_u32_e32 3, v0
	s_cbranch_execz .LBB106_27
; %bb.24:
	v_dual_mov_b32 v3, 0 :: v_dual_add_nc_u32 v4, -1, v0
	v_dual_mov_b32 v6, v7 :: v_dual_add_nc_u32 v5, 0x160, v7
	v_mov_b32_e32 v9, 0
	s_mov_b32 s1, 0
.LBB106_25:                             ; =>This Inner Loop Header: Depth=1
	scratch_load_b64 v[10:11], v6, off
	ds_load_b64 v[12:13], v5
	v_add_nc_u32_e32 v4, 1, v4
	v_add_nc_u32_e32 v5, 8, v5
	s_delay_alu instid0(VALU_DEP_2)
	v_cmp_lt_u32_e32 vcc_lo, 1, v4
	s_wait_alu 0xfffe
	s_or_b32 s1, vcc_lo, s1
	s_wait_loadcnt_dscnt 0x0
	v_mul_f32_e32 v14, v13, v11
	v_mul_f32_e32 v11, v12, v11
	s_delay_alu instid0(VALU_DEP_2) | instskip(NEXT) | instid1(VALU_DEP_2)
	v_fma_f32 v12, v12, v10, -v14
	v_fmac_f32_e32 v11, v13, v10
	s_delay_alu instid0(VALU_DEP_2) | instskip(NEXT) | instid1(VALU_DEP_2)
	v_dual_add_f32 v9, v9, v12 :: v_dual_add_nc_u32 v6, 8, v6
	v_add_f32_e32 v3, v3, v11
	s_wait_alu 0xfffe
	s_and_not1_b32 exec_lo, exec_lo, s1
	s_cbranch_execnz .LBB106_25
; %bb.26:
	s_or_b32 exec_lo, exec_lo, s1
	v_mov_b32_e32 v4, 0
	ds_load_b64 v[4:5], v4 offset:24
	s_wait_dscnt 0x0
	v_mul_f32_e32 v10, v3, v5
	v_mul_f32_e32 v6, v9, v5
	s_delay_alu instid0(VALU_DEP_2) | instskip(NEXT) | instid1(VALU_DEP_2)
	v_fma_f32 v5, v9, v4, -v10
	v_fmac_f32_e32 v6, v3, v4
	scratch_store_b64 off, v[5:6], off offset:24
.LBB106_27:
	s_wait_alu 0xfffe
	s_or_b32 exec_lo, exec_lo, s0
	s_wait_loadcnt 0x0
	s_wait_storecnt 0x0
	s_barrier_signal -1
	s_barrier_wait -1
	global_inv scope:SCOPE_SE
	scratch_load_b64 v[3:4], off, off offset:32
	s_mov_b32 s0, exec_lo
	s_wait_loadcnt 0x0
	ds_store_b64 v1, v[3:4]
	s_wait_dscnt 0x0
	s_barrier_signal -1
	s_barrier_wait -1
	global_inv scope:SCOPE_SE
	v_cmpx_gt_u32_e32 4, v0
	s_cbranch_execz .LBB106_31
; %bb.28:
	v_dual_mov_b32 v3, 0 :: v_dual_add_nc_u32 v4, -1, v0
	v_dual_mov_b32 v6, v7 :: v_dual_add_nc_u32 v5, 0x160, v7
	v_mov_b32_e32 v9, 0
	s_mov_b32 s1, 0
.LBB106_29:                             ; =>This Inner Loop Header: Depth=1
	scratch_load_b64 v[10:11], v6, off
	ds_load_b64 v[12:13], v5
	v_add_nc_u32_e32 v4, 1, v4
	v_add_nc_u32_e32 v5, 8, v5
	s_delay_alu instid0(VALU_DEP_2)
	v_cmp_lt_u32_e32 vcc_lo, 2, v4
	s_wait_alu 0xfffe
	s_or_b32 s1, vcc_lo, s1
	s_wait_loadcnt_dscnt 0x0
	v_mul_f32_e32 v14, v13, v11
	v_mul_f32_e32 v11, v12, v11
	s_delay_alu instid0(VALU_DEP_2) | instskip(NEXT) | instid1(VALU_DEP_2)
	v_fma_f32 v12, v12, v10, -v14
	v_fmac_f32_e32 v11, v13, v10
	s_delay_alu instid0(VALU_DEP_2) | instskip(NEXT) | instid1(VALU_DEP_2)
	v_dual_add_f32 v9, v9, v12 :: v_dual_add_nc_u32 v6, 8, v6
	v_add_f32_e32 v3, v3, v11
	s_wait_alu 0xfffe
	s_and_not1_b32 exec_lo, exec_lo, s1
	s_cbranch_execnz .LBB106_29
; %bb.30:
	s_or_b32 exec_lo, exec_lo, s1
	v_mov_b32_e32 v4, 0
	ds_load_b64 v[4:5], v4 offset:32
	s_wait_dscnt 0x0
	v_mul_f32_e32 v10, v3, v5
	v_mul_f32_e32 v6, v9, v5
	s_delay_alu instid0(VALU_DEP_2) | instskip(NEXT) | instid1(VALU_DEP_2)
	v_fma_f32 v5, v9, v4, -v10
	v_fmac_f32_e32 v6, v3, v4
	scratch_store_b64 off, v[5:6], off offset:32
.LBB106_31:
	s_wait_alu 0xfffe
	s_or_b32 exec_lo, exec_lo, s0
	s_wait_loadcnt 0x0
	s_wait_storecnt 0x0
	s_barrier_signal -1
	s_barrier_wait -1
	global_inv scope:SCOPE_SE
	scratch_load_b64 v[3:4], off, off offset:40
	;; [unrolled: 55-line block ×19, first 2 shown]
	s_mov_b32 s0, exec_lo
	s_wait_loadcnt 0x0
	ds_store_b64 v1, v[3:4]
	s_wait_dscnt 0x0
	s_barrier_signal -1
	s_barrier_wait -1
	global_inv scope:SCOPE_SE
	v_cmpx_gt_u32_e32 22, v0
	s_cbranch_execz .LBB106_103
; %bb.100:
	v_dual_mov_b32 v3, 0 :: v_dual_add_nc_u32 v4, -1, v0
	v_dual_mov_b32 v6, v7 :: v_dual_add_nc_u32 v5, 0x160, v7
	v_mov_b32_e32 v9, 0
	s_mov_b32 s1, 0
.LBB106_101:                            ; =>This Inner Loop Header: Depth=1
	scratch_load_b64 v[10:11], v6, off
	ds_load_b64 v[12:13], v5
	v_add_nc_u32_e32 v4, 1, v4
	v_add_nc_u32_e32 v5, 8, v5
	s_delay_alu instid0(VALU_DEP_2)
	v_cmp_lt_u32_e32 vcc_lo, 20, v4
	s_wait_alu 0xfffe
	s_or_b32 s1, vcc_lo, s1
	s_wait_loadcnt_dscnt 0x0
	v_mul_f32_e32 v14, v13, v11
	v_mul_f32_e32 v11, v12, v11
	s_delay_alu instid0(VALU_DEP_2) | instskip(NEXT) | instid1(VALU_DEP_2)
	v_fma_f32 v12, v12, v10, -v14
	v_fmac_f32_e32 v11, v13, v10
	s_delay_alu instid0(VALU_DEP_2) | instskip(NEXT) | instid1(VALU_DEP_2)
	v_dual_add_f32 v9, v9, v12 :: v_dual_add_nc_u32 v6, 8, v6
	v_add_f32_e32 v3, v3, v11
	s_wait_alu 0xfffe
	s_and_not1_b32 exec_lo, exec_lo, s1
	s_cbranch_execnz .LBB106_101
; %bb.102:
	s_or_b32 exec_lo, exec_lo, s1
	v_mov_b32_e32 v4, 0
	ds_load_b64 v[4:5], v4 offset:176
	s_wait_dscnt 0x0
	v_mul_f32_e32 v10, v3, v5
	v_mul_f32_e32 v6, v9, v5
	s_delay_alu instid0(VALU_DEP_2) | instskip(NEXT) | instid1(VALU_DEP_2)
	v_fma_f32 v5, v9, v4, -v10
	v_fmac_f32_e32 v6, v3, v4
	scratch_store_b64 off, v[5:6], off offset:176
.LBB106_103:
	s_wait_alu 0xfffe
	s_or_b32 exec_lo, exec_lo, s0
	s_wait_loadcnt 0x0
	s_wait_storecnt 0x0
	s_barrier_signal -1
	s_barrier_wait -1
	global_inv scope:SCOPE_SE
	scratch_load_b64 v[3:4], off, off offset:184
	s_mov_b32 s0, exec_lo
	s_wait_loadcnt 0x0
	ds_store_b64 v1, v[3:4]
	s_wait_dscnt 0x0
	s_barrier_signal -1
	s_barrier_wait -1
	global_inv scope:SCOPE_SE
	v_cmpx_gt_u32_e32 23, v0
	s_cbranch_execz .LBB106_107
; %bb.104:
	v_dual_mov_b32 v3, 0 :: v_dual_add_nc_u32 v4, -1, v0
	v_dual_mov_b32 v6, v7 :: v_dual_add_nc_u32 v5, 0x160, v7
	v_mov_b32_e32 v9, 0
	s_mov_b32 s1, 0
.LBB106_105:                            ; =>This Inner Loop Header: Depth=1
	scratch_load_b64 v[10:11], v6, off
	ds_load_b64 v[12:13], v5
	v_add_nc_u32_e32 v4, 1, v4
	v_add_nc_u32_e32 v5, 8, v5
	s_delay_alu instid0(VALU_DEP_2)
	v_cmp_lt_u32_e32 vcc_lo, 21, v4
	s_wait_alu 0xfffe
	s_or_b32 s1, vcc_lo, s1
	s_wait_loadcnt_dscnt 0x0
	v_mul_f32_e32 v14, v13, v11
	v_mul_f32_e32 v11, v12, v11
	s_delay_alu instid0(VALU_DEP_2) | instskip(NEXT) | instid1(VALU_DEP_2)
	v_fma_f32 v12, v12, v10, -v14
	v_fmac_f32_e32 v11, v13, v10
	s_delay_alu instid0(VALU_DEP_2) | instskip(NEXT) | instid1(VALU_DEP_2)
	v_dual_add_f32 v9, v9, v12 :: v_dual_add_nc_u32 v6, 8, v6
	v_add_f32_e32 v3, v3, v11
	s_wait_alu 0xfffe
	s_and_not1_b32 exec_lo, exec_lo, s1
	s_cbranch_execnz .LBB106_105
; %bb.106:
	s_or_b32 exec_lo, exec_lo, s1
	v_mov_b32_e32 v4, 0
	ds_load_b64 v[4:5], v4 offset:184
	s_wait_dscnt 0x0
	v_mul_f32_e32 v10, v3, v5
	v_mul_f32_e32 v6, v9, v5
	s_delay_alu instid0(VALU_DEP_2) | instskip(NEXT) | instid1(VALU_DEP_2)
	v_fma_f32 v5, v9, v4, -v10
	v_fmac_f32_e32 v6, v3, v4
	scratch_store_b64 off, v[5:6], off offset:184
.LBB106_107:
	s_wait_alu 0xfffe
	s_or_b32 exec_lo, exec_lo, s0
	s_wait_loadcnt 0x0
	s_wait_storecnt 0x0
	s_barrier_signal -1
	s_barrier_wait -1
	global_inv scope:SCOPE_SE
	scratch_load_b64 v[3:4], off, off offset:192
	;; [unrolled: 55-line block ×19, first 2 shown]
	s_mov_b32 s0, exec_lo
	s_wait_loadcnt 0x0
	ds_store_b64 v1, v[3:4]
	s_wait_dscnt 0x0
	s_barrier_signal -1
	s_barrier_wait -1
	global_inv scope:SCOPE_SE
	v_cmpx_gt_u32_e32 41, v0
	s_cbranch_execz .LBB106_179
; %bb.176:
	v_dual_mov_b32 v3, 0 :: v_dual_add_nc_u32 v4, -1, v0
	v_dual_mov_b32 v6, v7 :: v_dual_add_nc_u32 v5, 0x160, v7
	v_mov_b32_e32 v7, 0
	s_mov_b32 s1, 0
.LBB106_177:                            ; =>This Inner Loop Header: Depth=1
	scratch_load_b64 v[9:10], v6, off
	ds_load_b64 v[11:12], v5
	v_add_nc_u32_e32 v6, 8, v6
	v_add_nc_u32_e32 v4, 1, v4
	;; [unrolled: 1-line block ×3, first 2 shown]
	s_delay_alu instid0(VALU_DEP_2)
	v_cmp_lt_u32_e32 vcc_lo, 39, v4
	s_wait_alu 0xfffe
	s_or_b32 s1, vcc_lo, s1
	s_wait_loadcnt_dscnt 0x0
	v_mul_f32_e32 v13, v12, v10
	v_mul_f32_e32 v10, v11, v10
	s_delay_alu instid0(VALU_DEP_2) | instskip(NEXT) | instid1(VALU_DEP_1)
	v_fma_f32 v11, v11, v9, -v13
	v_dual_fmac_f32 v10, v12, v9 :: v_dual_add_f32 v7, v7, v11
	s_delay_alu instid0(VALU_DEP_1)
	v_add_f32_e32 v3, v3, v10
	s_wait_alu 0xfffe
	s_and_not1_b32 exec_lo, exec_lo, s1
	s_cbranch_execnz .LBB106_177
; %bb.178:
	s_or_b32 exec_lo, exec_lo, s1
	v_mov_b32_e32 v4, 0
	ds_load_b64 v[4:5], v4 offset:328
	s_wait_dscnt 0x0
	v_mul_f32_e32 v9, v3, v5
	v_mul_f32_e32 v6, v7, v5
	s_delay_alu instid0(VALU_DEP_2) | instskip(NEXT) | instid1(VALU_DEP_2)
	v_fma_f32 v5, v7, v4, -v9
	v_fmac_f32_e32 v6, v3, v4
	scratch_store_b64 off, v[5:6], off offset:328
.LBB106_179:
	s_wait_alu 0xfffe
	s_or_b32 exec_lo, exec_lo, s0
	s_wait_loadcnt 0x0
	s_wait_storecnt 0x0
	s_barrier_signal -1
	s_barrier_wait -1
	global_inv scope:SCOPE_SE
	scratch_load_b64 v[3:4], off, off offset:336
	s_mov_b32 s0, exec_lo
	s_wait_loadcnt 0x0
	ds_store_b64 v1, v[3:4]
	s_wait_dscnt 0x0
	s_barrier_signal -1
	s_barrier_wait -1
	global_inv scope:SCOPE_SE
	v_cmpx_ne_u32_e32 42, v0
	s_cbranch_execz .LBB106_183
; %bb.180:
	v_dual_mov_b32 v3, 0 :: v_dual_mov_b32 v4, 0
	s_mov_b32 s1, 0
.LBB106_181:                            ; =>This Inner Loop Header: Depth=1
	scratch_load_b64 v[5:6], v8, off
	ds_load_b64 v[9:10], v1
	v_add_nc_u32_e32 v2, 1, v2
	v_add_nc_u32_e32 v1, 8, v1
	;; [unrolled: 1-line block ×3, first 2 shown]
	s_delay_alu instid0(VALU_DEP_3)
	v_cmp_lt_u32_e32 vcc_lo, 40, v2
	s_wait_alu 0xfffe
	s_or_b32 s1, vcc_lo, s1
	s_wait_loadcnt_dscnt 0x0
	v_mul_f32_e32 v7, v10, v6
	v_mul_f32_e32 v6, v9, v6
	s_delay_alu instid0(VALU_DEP_2) | instskip(NEXT) | instid1(VALU_DEP_2)
	v_fma_f32 v7, v9, v5, -v7
	v_fmac_f32_e32 v6, v10, v5
	s_delay_alu instid0(VALU_DEP_1)
	v_dual_add_f32 v4, v4, v7 :: v_dual_add_f32 v3, v3, v6
	s_wait_alu 0xfffe
	s_and_not1_b32 exec_lo, exec_lo, s1
	s_cbranch_execnz .LBB106_181
; %bb.182:
	s_or_b32 exec_lo, exec_lo, s1
	v_mov_b32_e32 v1, 0
	ds_load_b64 v[1:2], v1 offset:336
	s_wait_dscnt 0x0
	v_mul_f32_e32 v6, v3, v2
	v_mul_f32_e32 v5, v4, v2
	s_delay_alu instid0(VALU_DEP_2) | instskip(NEXT) | instid1(VALU_DEP_2)
	v_fma_f32 v4, v4, v1, -v6
	v_fmac_f32_e32 v5, v3, v1
	scratch_store_b64 off, v[4:5], off offset:336
.LBB106_183:
	s_wait_alu 0xfffe
	s_or_b32 exec_lo, exec_lo, s0
	s_mov_b32 s1, -1
	s_wait_loadcnt 0x0
	s_wait_storecnt 0x0
	s_barrier_signal -1
	s_barrier_wait -1
	global_inv scope:SCOPE_SE
.LBB106_184:
	s_wait_alu 0xfffe
	s_and_b32 vcc_lo, exec_lo, s1
	s_wait_alu 0xfffe
	s_cbranch_vccz .LBB106_186
; %bb.185:
	v_mov_b32_e32 v1, 0
	s_lshl_b64 s[0:1], s[8:9], 2
	s_wait_alu 0xfffe
	s_add_nc_u64 s[0:1], s[6:7], s[0:1]
	global_load_b32 v1, v1, s[0:1]
	s_wait_loadcnt 0x0
	v_cmp_ne_u32_e32 vcc_lo, 0, v1
	s_cbranch_vccz .LBB106_187
.LBB106_186:
	s_nop 0
	s_sendmsg sendmsg(MSG_DEALLOC_VGPRS)
	s_endpgm
.LBB106_187:
	v_lshl_add_u32 v23, v0, 3, 0x160
	s_mov_b32 s0, exec_lo
	v_cmpx_eq_u32_e32 42, v0
	s_cbranch_execz .LBB106_189
; %bb.188:
	scratch_load_b64 v[1:2], off, off offset:328
	v_mov_b32_e32 v3, 0
	s_delay_alu instid0(VALU_DEP_1)
	v_mov_b32_e32 v4, v3
	scratch_store_b64 off, v[3:4], off offset:328
	s_wait_loadcnt 0x0
	ds_store_b64 v23, v[1:2]
.LBB106_189:
	s_wait_alu 0xfffe
	s_or_b32 exec_lo, exec_lo, s0
	s_wait_storecnt_dscnt 0x0
	s_barrier_signal -1
	s_barrier_wait -1
	global_inv scope:SCOPE_SE
	s_clause 0x1
	scratch_load_b64 v[2:3], off, off offset:336
	scratch_load_b64 v[4:5], off, off offset:328
	v_mov_b32_e32 v1, 0
	s_mov_b32 s0, exec_lo
	ds_load_b64 v[6:7], v1 offset:688
	s_wait_loadcnt_dscnt 0x100
	v_mul_f32_e32 v8, v7, v3
	v_mul_f32_e32 v3, v6, v3
	s_delay_alu instid0(VALU_DEP_2) | instskip(NEXT) | instid1(VALU_DEP_2)
	v_fma_f32 v6, v6, v2, -v8
	v_fmac_f32_e32 v3, v7, v2
	s_delay_alu instid0(VALU_DEP_1) | instskip(SKIP_1) | instid1(VALU_DEP_1)
	v_dual_add_f32 v2, 0, v6 :: v_dual_add_f32 v3, 0, v3
	s_wait_loadcnt 0x0
	v_dual_sub_f32 v2, v4, v2 :: v_dual_sub_f32 v3, v5, v3
	scratch_store_b64 off, v[2:3], off offset:328
	v_cmpx_lt_u32_e32 40, v0
	s_cbranch_execz .LBB106_191
; %bb.190:
	scratch_load_b64 v[3:4], off, off offset:320
	v_mov_b32_e32 v2, v1
	scratch_store_b64 off, v[1:2], off offset:320
	s_wait_loadcnt 0x0
	ds_store_b64 v23, v[3:4]
.LBB106_191:
	s_wait_alu 0xfffe
	s_or_b32 exec_lo, exec_lo, s0
	s_wait_storecnt_dscnt 0x0
	s_barrier_signal -1
	s_barrier_wait -1
	global_inv scope:SCOPE_SE
	s_clause 0x1
	scratch_load_b128 v[2:5], off, off offset:328
	scratch_load_b64 v[10:11], off, off offset:320
	ds_load_2addr_b64 v[6:9], v1 offset0:85 offset1:86
	s_mov_b32 s0, exec_lo
	s_wait_loadcnt_dscnt 0x100
	v_dual_mul_f32 v1, v7, v3 :: v_dual_mul_f32 v12, v8, v5
	v_mul_f32_e32 v3, v6, v3
	s_delay_alu instid0(VALU_DEP_2) | instskip(NEXT) | instid1(VALU_DEP_2)
	v_fma_f32 v1, v6, v2, -v1
	v_dual_fmac_f32 v12, v9, v4 :: v_dual_fmac_f32 v3, v7, v2
	s_delay_alu instid0(VALU_DEP_2) | instskip(NEXT) | instid1(VALU_DEP_2)
	v_add_f32_e32 v1, 0, v1
	v_add_f32_e32 v3, 0, v3
	v_mul_f32_e32 v5, v9, v5
	s_delay_alu instid0(VALU_DEP_1) | instskip(NEXT) | instid1(VALU_DEP_1)
	v_fma_f32 v2, v8, v4, -v5
	v_dual_add_f32 v1, v1, v2 :: v_dual_add_f32 v2, v3, v12
	s_wait_loadcnt 0x0
	s_delay_alu instid0(VALU_DEP_1)
	v_dual_sub_f32 v1, v10, v1 :: v_dual_sub_f32 v2, v11, v2
	scratch_store_b64 off, v[1:2], off offset:320
	v_cmpx_lt_u32_e32 39, v0
	s_cbranch_execz .LBB106_193
; %bb.192:
	scratch_load_b64 v[1:2], off, off offset:312
	v_mov_b32_e32 v3, 0
	s_delay_alu instid0(VALU_DEP_1)
	v_mov_b32_e32 v4, v3
	scratch_store_b64 off, v[3:4], off offset:312
	s_wait_loadcnt 0x0
	ds_store_b64 v23, v[1:2]
.LBB106_193:
	s_wait_alu 0xfffe
	s_or_b32 exec_lo, exec_lo, s0
	s_wait_storecnt_dscnt 0x0
	s_barrier_signal -1
	s_barrier_wait -1
	global_inv scope:SCOPE_SE
	s_clause 0x2
	scratch_load_b128 v[2:5], off, off offset:320
	scratch_load_b64 v[10:11], off, off offset:336
	scratch_load_b64 v[12:13], off, off offset:312
	v_mov_b32_e32 v1, 0
	ds_load_b128 v[6:9], v1 offset:672
	ds_load_b64 v[14:15], v1 offset:688
	s_mov_b32 s0, exec_lo
	s_wait_loadcnt_dscnt 0x201
	v_dual_mul_f32 v16, v7, v3 :: v_dual_mul_f32 v17, v8, v5
	s_wait_loadcnt_dscnt 0x100
	v_mul_f32_e32 v18, v14, v11
	v_mul_f32_e32 v3, v6, v3
	;; [unrolled: 1-line block ×3, first 2 shown]
	v_fma_f32 v6, v6, v2, -v16
	s_delay_alu instid0(VALU_DEP_4) | instskip(NEXT) | instid1(VALU_DEP_4)
	v_fmac_f32_e32 v18, v15, v10
	v_fmac_f32_e32 v3, v7, v2
	v_mul_f32_e32 v2, v15, v11
	s_delay_alu instid0(VALU_DEP_1) | instskip(SKIP_3) | instid1(VALU_DEP_1)
	v_fma_f32 v2, v14, v10, -v2
	v_fmac_f32_e32 v17, v9, v4
	v_fma_f32 v4, v8, v4, -v5
	v_add_f32_e32 v5, 0, v6
	v_add_f32_e32 v4, v5, v4
	s_delay_alu instid0(VALU_DEP_1) | instskip(SKIP_1) | instid1(VALU_DEP_1)
	v_dual_add_f32 v2, v4, v2 :: v_dual_add_f32 v3, 0, v3
	s_wait_loadcnt 0x0
	v_dual_sub_f32 v2, v12, v2 :: v_dual_add_f32 v3, v3, v17
	s_delay_alu instid0(VALU_DEP_1) | instskip(NEXT) | instid1(VALU_DEP_1)
	v_add_f32_e32 v3, v3, v18
	v_sub_f32_e32 v3, v13, v3
	scratch_store_b64 off, v[2:3], off offset:312
	v_cmpx_lt_u32_e32 38, v0
	s_cbranch_execz .LBB106_195
; %bb.194:
	scratch_load_b64 v[3:4], off, off offset:304
	v_mov_b32_e32 v2, v1
	scratch_store_b64 off, v[1:2], off offset:304
	s_wait_loadcnt 0x0
	ds_store_b64 v23, v[3:4]
.LBB106_195:
	s_wait_alu 0xfffe
	s_or_b32 exec_lo, exec_lo, s0
	s_wait_storecnt_dscnt 0x0
	s_barrier_signal -1
	s_barrier_wait -1
	global_inv scope:SCOPE_SE
	s_clause 0x2
	scratch_load_b128 v[2:5], off, off offset:312
	scratch_load_b128 v[6:9], off, off offset:328
	scratch_load_b64 v[18:19], off, off offset:304
	ds_load_2addr_b64 v[10:13], v1 offset0:83 offset1:84
	ds_load_2addr_b64 v[14:17], v1 offset0:85 offset1:86
	s_mov_b32 s0, exec_lo
	s_wait_loadcnt_dscnt 0x201
	v_dual_mul_f32 v1, v10, v3 :: v_dual_mul_f32 v20, v12, v5
	s_wait_loadcnt_dscnt 0x100
	v_dual_mul_f32 v3, v11, v3 :: v_dual_mul_f32 v22, v16, v9
	v_mul_f32_e32 v5, v13, v5
	s_delay_alu instid0(VALU_DEP_3) | instskip(NEXT) | instid1(VALU_DEP_3)
	v_dual_mul_f32 v21, v14, v7 :: v_dual_fmac_f32 v20, v13, v4
	v_fma_f32 v3, v10, v2, -v3
	s_delay_alu instid0(VALU_DEP_4) | instskip(SKIP_2) | instid1(VALU_DEP_4)
	v_dual_fmac_f32 v1, v11, v2 :: v_dual_fmac_f32 v22, v17, v8
	v_mul_f32_e32 v2, v15, v7
	v_fma_f32 v4, v12, v4, -v5
	v_add_f32_e32 v3, 0, v3
	v_fmac_f32_e32 v21, v15, v6
	s_delay_alu instid0(VALU_DEP_4) | instskip(NEXT) | instid1(VALU_DEP_3)
	v_fma_f32 v2, v14, v6, -v2
	v_add_f32_e32 v3, v3, v4
	s_delay_alu instid0(VALU_DEP_1) | instskip(NEXT) | instid1(VALU_DEP_1)
	v_dual_add_f32 v1, 0, v1 :: v_dual_add_f32 v2, v3, v2
	v_add_f32_e32 v1, v1, v20
	s_delay_alu instid0(VALU_DEP_1) | instskip(NEXT) | instid1(VALU_DEP_1)
	v_add_f32_e32 v1, v1, v21
	v_add_f32_e32 v3, v1, v22
	v_mul_f32_e32 v5, v17, v9
	s_delay_alu instid0(VALU_DEP_1) | instskip(NEXT) | instid1(VALU_DEP_1)
	v_fma_f32 v4, v16, v8, -v5
	v_add_f32_e32 v2, v2, v4
	s_wait_loadcnt 0x0
	s_delay_alu instid0(VALU_DEP_1)
	v_dual_sub_f32 v1, v18, v2 :: v_dual_sub_f32 v2, v19, v3
	scratch_store_b64 off, v[1:2], off offset:304
	v_cmpx_lt_u32_e32 37, v0
	s_cbranch_execz .LBB106_197
; %bb.196:
	scratch_load_b64 v[1:2], off, off offset:296
	v_mov_b32_e32 v3, 0
	s_delay_alu instid0(VALU_DEP_1)
	v_mov_b32_e32 v4, v3
	scratch_store_b64 off, v[3:4], off offset:296
	s_wait_loadcnt 0x0
	ds_store_b64 v23, v[1:2]
.LBB106_197:
	s_wait_alu 0xfffe
	s_or_b32 exec_lo, exec_lo, s0
	s_wait_storecnt_dscnt 0x0
	s_barrier_signal -1
	s_barrier_wait -1
	global_inv scope:SCOPE_SE
	s_clause 0x3
	scratch_load_b128 v[2:5], off, off offset:304
	scratch_load_b128 v[6:9], off, off offset:320
	scratch_load_b64 v[18:19], off, off offset:336
	scratch_load_b64 v[20:21], off, off offset:296
	v_mov_b32_e32 v1, 0
	ds_load_b128 v[10:13], v1 offset:656
	ds_load_b128 v[14:17], v1 offset:672
	ds_load_b64 v[110:111], v1 offset:688
	s_mov_b32 s0, exec_lo
	s_wait_loadcnt_dscnt 0x302
	v_mul_f32_e32 v22, v10, v3
	v_dual_mul_f32 v112, v12, v5 :: v_dual_mul_f32 v3, v11, v3
	v_mul_f32_e32 v5, v13, v5
	s_wait_loadcnt_dscnt 0x100
	s_delay_alu instid0(VALU_DEP_3)
	v_dual_mul_f32 v115, v110, v19 :: v_dual_fmac_f32 v22, v11, v2
	v_dual_mul_f32 v113, v14, v7 :: v_dual_mul_f32 v114, v16, v9
	v_fma_f32 v3, v10, v2, -v3
	v_mul_f32_e32 v2, v15, v7
	v_fmac_f32_e32 v112, v13, v4
	v_fma_f32 v4, v12, v4, -v5
	v_dual_add_f32 v5, 0, v22 :: v_dual_fmac_f32 v114, v17, v8
	v_add_f32_e32 v3, 0, v3
	v_fma_f32 v2, v14, v6, -v2
	v_fmac_f32_e32 v113, v15, v6
	v_fmac_f32_e32 v115, v111, v18
	s_delay_alu instid0(VALU_DEP_4) | instskip(SKIP_2) | instid1(VALU_DEP_3)
	v_add_f32_e32 v3, v3, v4
	v_mul_f32_e32 v7, v17, v9
	v_add_f32_e32 v4, v5, v112
	v_add_f32_e32 v2, v3, v2
	s_delay_alu instid0(VALU_DEP_3) | instskip(NEXT) | instid1(VALU_DEP_1)
	v_fma_f32 v6, v16, v8, -v7
	v_dual_add_f32 v3, v4, v113 :: v_dual_add_f32 v2, v2, v6
	v_mul_f32_e32 v5, v111, v19
	s_delay_alu instid0(VALU_DEP_2) | instskip(NEXT) | instid1(VALU_DEP_2)
	v_add_f32_e32 v3, v3, v114
	v_fma_f32 v4, v110, v18, -v5
	s_delay_alu instid0(VALU_DEP_1) | instskip(SKIP_1) | instid1(VALU_DEP_1)
	v_dual_add_f32 v2, v2, v4 :: v_dual_add_f32 v3, v3, v115
	s_wait_loadcnt 0x0
	v_dual_sub_f32 v2, v20, v2 :: v_dual_sub_f32 v3, v21, v3
	scratch_store_b64 off, v[2:3], off offset:296
	v_cmpx_lt_u32_e32 36, v0
	s_cbranch_execz .LBB106_199
; %bb.198:
	scratch_load_b64 v[3:4], off, off offset:288
	v_mov_b32_e32 v2, v1
	scratch_store_b64 off, v[1:2], off offset:288
	s_wait_loadcnt 0x0
	ds_store_b64 v23, v[3:4]
.LBB106_199:
	s_wait_alu 0xfffe
	s_or_b32 exec_lo, exec_lo, s0
	s_wait_storecnt_dscnt 0x0
	s_barrier_signal -1
	s_barrier_wait -1
	global_inv scope:SCOPE_SE
	s_clause 0x3
	scratch_load_b128 v[2:5], off, off offset:296
	scratch_load_b128 v[6:9], off, off offset:312
	;; [unrolled: 1-line block ×3, first 2 shown]
	scratch_load_b64 v[114:115], off, off offset:288
	ds_load_2addr_b64 v[14:17], v1 offset0:81 offset1:82
	ds_load_2addr_b64 v[18:21], v1 offset0:83 offset1:84
	;; [unrolled: 1-line block ×3, first 2 shown]
	s_mov_b32 s0, exec_lo
	s_wait_loadcnt_dscnt 0x302
	v_dual_mul_f32 v1, v14, v3 :: v_dual_mul_f32 v22, v16, v5
	v_mul_f32_e32 v3, v15, v3
	s_wait_loadcnt_dscnt 0x201
	v_dual_mul_f32 v5, v17, v5 :: v_dual_mul_f32 v116, v18, v7
	s_delay_alu instid0(VALU_DEP_3) | instskip(NEXT) | instid1(VALU_DEP_3)
	v_dual_mul_f32 v117, v20, v9 :: v_dual_fmac_f32 v22, v17, v4
	v_fma_f32 v3, v14, v2, -v3
	v_fmac_f32_e32 v1, v15, v2
	v_mul_f32_e32 v2, v19, v7
	v_fma_f32 v4, v16, v4, -v5
	s_delay_alu instid0(VALU_DEP_4)
	v_dual_fmac_f32 v116, v19, v6 :: v_dual_add_f32 v3, 0, v3
	s_wait_loadcnt_dscnt 0x100
	v_dual_mul_f32 v118, v110, v11 :: v_dual_mul_f32 v119, v112, v13
	v_fma_f32 v2, v18, v6, -v2
	v_fmac_f32_e32 v117, v21, v8
	v_add_f32_e32 v3, v3, v4
	s_delay_alu instid0(VALU_DEP_4) | instskip(SKIP_1) | instid1(VALU_DEP_3)
	v_dual_mul_f32 v5, v21, v9 :: v_dual_fmac_f32 v118, v111, v10
	v_dual_fmac_f32 v119, v113, v12 :: v_dual_mul_f32 v4, v111, v11
	v_add_f32_e32 v2, v3, v2
	s_delay_alu instid0(VALU_DEP_3) | instskip(SKIP_1) | instid1(VALU_DEP_4)
	v_fma_f32 v5, v20, v8, -v5
	v_mul_f32_e32 v3, v113, v13
	v_fma_f32 v4, v110, v10, -v4
	s_delay_alu instid0(VALU_DEP_3) | instskip(SKIP_1) | instid1(VALU_DEP_4)
	v_add_f32_e32 v2, v2, v5
	v_add_f32_e32 v1, 0, v1
	v_fma_f32 v3, v112, v12, -v3
	s_delay_alu instid0(VALU_DEP_2) | instskip(NEXT) | instid1(VALU_DEP_1)
	v_dual_add_f32 v2, v2, v4 :: v_dual_add_f32 v1, v1, v22
	v_dual_add_f32 v2, v2, v3 :: v_dual_add_f32 v1, v1, v116
	s_delay_alu instid0(VALU_DEP_1) | instskip(NEXT) | instid1(VALU_DEP_1)
	v_add_f32_e32 v1, v1, v117
	v_add_f32_e32 v1, v1, v118
	s_delay_alu instid0(VALU_DEP_1) | instskip(SKIP_1) | instid1(VALU_DEP_1)
	v_add_f32_e32 v3, v1, v119
	s_wait_loadcnt 0x0
	v_dual_sub_f32 v1, v114, v2 :: v_dual_sub_f32 v2, v115, v3
	scratch_store_b64 off, v[1:2], off offset:288
	v_cmpx_lt_u32_e32 35, v0
	s_cbranch_execz .LBB106_201
; %bb.200:
	scratch_load_b64 v[1:2], off, off offset:280
	v_mov_b32_e32 v3, 0
	s_delay_alu instid0(VALU_DEP_1)
	v_mov_b32_e32 v4, v3
	scratch_store_b64 off, v[3:4], off offset:280
	s_wait_loadcnt 0x0
	ds_store_b64 v23, v[1:2]
.LBB106_201:
	s_wait_alu 0xfffe
	s_or_b32 exec_lo, exec_lo, s0
	s_wait_storecnt_dscnt 0x0
	s_barrier_signal -1
	s_barrier_wait -1
	global_inv scope:SCOPE_SE
	s_clause 0x4
	scratch_load_b128 v[2:5], off, off offset:288
	scratch_load_b128 v[6:9], off, off offset:304
	;; [unrolled: 1-line block ×3, first 2 shown]
	scratch_load_b64 v[114:115], off, off offset:336
	scratch_load_b64 v[116:117], off, off offset:280
	v_mov_b32_e32 v1, 0
	ds_load_b128 v[14:17], v1 offset:640
	ds_load_b128 v[18:21], v1 offset:656
	;; [unrolled: 1-line block ×3, first 2 shown]
	ds_load_b64 v[118:119], v1 offset:688
	s_mov_b32 s0, exec_lo
	s_wait_loadcnt_dscnt 0x403
	v_mul_f32_e32 v22, v14, v3
	s_wait_loadcnt_dscnt 0x302
	v_dual_mul_f32 v122, v20, v9 :: v_dual_mul_f32 v3, v15, v3
	v_dual_mul_f32 v120, v16, v5 :: v_dual_mul_f32 v121, v18, v7
	v_mul_f32_e32 v5, v17, v5
	s_wait_loadcnt_dscnt 0x100
	v_dual_mul_f32 v125, v118, v115 :: v_dual_fmac_f32 v22, v15, v2
	v_fma_f32 v3, v14, v2, -v3
	v_mul_f32_e32 v2, v19, v7
	v_fmac_f32_e32 v120, v17, v4
	v_fma_f32 v4, v16, v4, -v5
	v_dual_add_f32 v5, 0, v22 :: v_dual_fmac_f32 v122, v21, v8
	v_add_f32_e32 v3, 0, v3
	v_fma_f32 v2, v18, v6, -v2
	v_fmac_f32_e32 v121, v19, v6
	v_dual_mul_f32 v123, v110, v11 :: v_dual_mul_f32 v124, v112, v13
	s_delay_alu instid0(VALU_DEP_4) | instskip(SKIP_1) | instid1(VALU_DEP_3)
	v_add_f32_e32 v3, v3, v4
	v_mul_f32_e32 v7, v21, v9
	v_dual_add_f32 v4, v5, v120 :: v_dual_fmac_f32 v123, v111, v10
	s_delay_alu instid0(VALU_DEP_4) | instskip(NEXT) | instid1(VALU_DEP_4)
	v_fmac_f32_e32 v124, v113, v12
	v_add_f32_e32 v2, v3, v2
	s_delay_alu instid0(VALU_DEP_4) | instskip(SKIP_3) | instid1(VALU_DEP_4)
	v_fma_f32 v6, v20, v8, -v7
	v_mul_f32_e32 v5, v111, v11
	v_add_f32_e32 v3, v4, v121
	v_mul_f32_e32 v4, v113, v13
	v_add_f32_e32 v2, v2, v6
	s_delay_alu instid0(VALU_DEP_4) | instskip(SKIP_3) | instid1(VALU_DEP_4)
	v_fma_f32 v5, v110, v10, -v5
	v_mul_f32_e32 v6, v119, v115
	v_add_f32_e32 v3, v3, v122
	v_fma_f32 v4, v112, v12, -v4
	v_add_f32_e32 v2, v2, v5
	s_delay_alu instid0(VALU_DEP_4) | instskip(NEXT) | instid1(VALU_DEP_2)
	v_fma_f32 v5, v118, v114, -v6
	v_dual_add_f32 v3, v3, v123 :: v_dual_add_f32 v2, v2, v4
	s_delay_alu instid0(VALU_DEP_1) | instskip(SKIP_1) | instid1(VALU_DEP_1)
	v_dual_fmac_f32 v125, v119, v114 :: v_dual_add_f32 v2, v2, v5
	s_wait_loadcnt 0x0
	v_dual_add_f32 v3, v3, v124 :: v_dual_sub_f32 v2, v116, v2
	s_delay_alu instid0(VALU_DEP_1) | instskip(NEXT) | instid1(VALU_DEP_1)
	v_add_f32_e32 v3, v3, v125
	v_sub_f32_e32 v3, v117, v3
	scratch_store_b64 off, v[2:3], off offset:280
	v_cmpx_lt_u32_e32 34, v0
	s_cbranch_execz .LBB106_203
; %bb.202:
	scratch_load_b64 v[3:4], off, off offset:272
	v_mov_b32_e32 v2, v1
	scratch_store_b64 off, v[1:2], off offset:272
	s_wait_loadcnt 0x0
	ds_store_b64 v23, v[3:4]
.LBB106_203:
	s_wait_alu 0xfffe
	s_or_b32 exec_lo, exec_lo, s0
	s_wait_storecnt_dscnt 0x0
	s_barrier_signal -1
	s_barrier_wait -1
	global_inv scope:SCOPE_SE
	s_clause 0x4
	scratch_load_b128 v[2:5], off, off offset:280
	scratch_load_b128 v[6:9], off, off offset:296
	;; [unrolled: 1-line block ×4, first 2 shown]
	scratch_load_b64 v[122:123], off, off offset:272
	ds_load_2addr_b64 v[18:21], v1 offset0:79 offset1:80
	ds_load_2addr_b64 v[110:113], v1 offset0:81 offset1:82
	ds_load_2addr_b64 v[114:117], v1 offset0:83 offset1:84
	ds_load_2addr_b64 v[118:121], v1 offset0:85 offset1:86
	s_mov_b32 s0, exec_lo
	s_wait_loadcnt_dscnt 0x403
	v_dual_mul_f32 v1, v18, v3 :: v_dual_mul_f32 v22, v20, v5
	v_mul_f32_e32 v3, v19, v3
	s_wait_loadcnt_dscnt 0x302
	v_dual_mul_f32 v5, v21, v5 :: v_dual_mul_f32 v124, v110, v7
	s_delay_alu instid0(VALU_DEP_3) | instskip(NEXT) | instid1(VALU_DEP_3)
	v_dual_mul_f32 v125, v112, v9 :: v_dual_fmac_f32 v22, v21, v4
	v_fma_f32 v3, v18, v2, -v3
	v_fmac_f32_e32 v1, v19, v2
	v_mul_f32_e32 v2, v111, v7
	v_fma_f32 v4, v20, v4, -v5
	s_delay_alu instid0(VALU_DEP_4)
	v_dual_fmac_f32 v124, v111, v6 :: v_dual_add_f32 v3, 0, v3
	s_wait_loadcnt_dscnt 0x201
	v_dual_mul_f32 v126, v114, v11 :: v_dual_mul_f32 v127, v116, v13
	v_fma_f32 v2, v110, v6, -v2
	s_wait_loadcnt_dscnt 0x100
	v_dual_mul_f32 v128, v118, v15 :: v_dual_mul_f32 v129, v120, v17
	v_add_f32_e32 v3, v3, v4
	v_mul_f32_e32 v5, v113, v9
	v_dual_fmac_f32 v125, v113, v8 :: v_dual_fmac_f32 v126, v115, v10
	v_mul_f32_e32 v4, v115, v11
	s_delay_alu instid0(VALU_DEP_4) | instskip(NEXT) | instid1(VALU_DEP_4)
	v_add_f32_e32 v2, v3, v2
	v_fma_f32 v5, v112, v8, -v5
	v_mul_f32_e32 v3, v117, v13
	v_fmac_f32_e32 v129, v121, v16
	v_fma_f32 v4, v114, v10, -v4
	v_fmac_f32_e32 v128, v119, v14
	v_add_f32_e32 v2, v2, v5
	v_add_f32_e32 v1, 0, v1
	v_mul_f32_e32 v5, v119, v15
	v_fma_f32 v3, v116, v12, -v3
	s_delay_alu instid0(VALU_DEP_3) | instskip(SKIP_1) | instid1(VALU_DEP_4)
	v_dual_add_f32 v2, v2, v4 :: v_dual_add_f32 v1, v1, v22
	v_mul_f32_e32 v4, v121, v17
	v_fma_f32 v5, v118, v14, -v5
	s_delay_alu instid0(VALU_DEP_3) | instskip(SKIP_1) | instid1(VALU_DEP_4)
	v_dual_add_f32 v2, v2, v3 :: v_dual_add_f32 v1, v1, v124
	v_fmac_f32_e32 v127, v117, v12
	v_fma_f32 v3, v120, v16, -v4
	s_delay_alu instid0(VALU_DEP_3) | instskip(NEXT) | instid1(VALU_DEP_1)
	v_add_f32_e32 v2, v2, v5
	v_dual_add_f32 v1, v1, v125 :: v_dual_add_f32 v2, v2, v3
	s_delay_alu instid0(VALU_DEP_1) | instskip(NEXT) | instid1(VALU_DEP_1)
	v_add_f32_e32 v1, v1, v126
	v_add_f32_e32 v1, v1, v127
	s_delay_alu instid0(VALU_DEP_1) | instskip(NEXT) | instid1(VALU_DEP_1)
	v_add_f32_e32 v1, v1, v128
	v_add_f32_e32 v3, v1, v129
	s_wait_loadcnt 0x0
	s_delay_alu instid0(VALU_DEP_1)
	v_dual_sub_f32 v1, v122, v2 :: v_dual_sub_f32 v2, v123, v3
	scratch_store_b64 off, v[1:2], off offset:272
	v_cmpx_lt_u32_e32 33, v0
	s_cbranch_execz .LBB106_205
; %bb.204:
	scratch_load_b64 v[1:2], off, off offset:264
	v_mov_b32_e32 v3, 0
	s_delay_alu instid0(VALU_DEP_1)
	v_mov_b32_e32 v4, v3
	scratch_store_b64 off, v[3:4], off offset:264
	s_wait_loadcnt 0x0
	ds_store_b64 v23, v[1:2]
.LBB106_205:
	s_wait_alu 0xfffe
	s_or_b32 exec_lo, exec_lo, s0
	s_wait_storecnt_dscnt 0x0
	s_barrier_signal -1
	s_barrier_wait -1
	global_inv scope:SCOPE_SE
	s_clause 0x5
	scratch_load_b128 v[2:5], off, off offset:272
	scratch_load_b128 v[6:9], off, off offset:288
	;; [unrolled: 1-line block ×4, first 2 shown]
	scratch_load_b64 v[122:123], off, off offset:336
	scratch_load_b64 v[124:125], off, off offset:264
	v_mov_b32_e32 v1, 0
	ds_load_b128 v[18:21], v1 offset:624
	ds_load_b128 v[110:113], v1 offset:640
	;; [unrolled: 1-line block ×4, first 2 shown]
	ds_load_b64 v[126:127], v1 offset:688
	s_mov_b32 s0, exec_lo
	s_wait_loadcnt_dscnt 0x504
	v_mul_f32_e32 v22, v18, v3
	s_wait_loadcnt_dscnt 0x302
	v_dual_mul_f32 v3, v19, v3 :: v_dual_mul_f32 v132, v116, v13
	v_dual_mul_f32 v128, v20, v5 :: v_dual_mul_f32 v129, v110, v7
	v_mul_f32_e32 v5, v21, v5
	s_delay_alu instid0(VALU_DEP_3) | instskip(SKIP_3) | instid1(VALU_DEP_3)
	v_fma_f32 v3, v18, v2, -v3
	s_wait_loadcnt_dscnt 0x100
	v_dual_mul_f32 v135, v126, v123 :: v_dual_fmac_f32 v22, v19, v2
	v_mul_f32_e32 v2, v111, v7
	v_dual_fmac_f32 v128, v21, v4 :: v_dual_add_f32 v3, 0, v3
	v_fma_f32 v4, v20, v4, -v5
	v_dual_mul_f32 v130, v112, v9 :: v_dual_mul_f32 v131, v114, v11
	v_add_f32_e32 v5, 0, v22
	v_fma_f32 v2, v110, v6, -v2
	s_delay_alu instid0(VALU_DEP_4) | instskip(SKIP_3) | instid1(VALU_DEP_4)
	v_add_f32_e32 v3, v3, v4
	v_mul_f32_e32 v7, v113, v9
	v_dual_fmac_f32 v130, v113, v8 :: v_dual_fmac_f32 v129, v111, v6
	v_add_f32_e32 v4, v5, v128
	v_add_f32_e32 v2, v3, v2
	s_delay_alu instid0(VALU_DEP_4)
	v_fma_f32 v6, v112, v8, -v7
	v_mul_f32_e32 v5, v115, v11
	v_dual_fmac_f32 v131, v115, v10 :: v_dual_fmac_f32 v132, v117, v12
	v_add_f32_e32 v3, v4, v129
	v_mul_f32_e32 v4, v117, v13
	v_add_f32_e32 v2, v2, v6
	v_fma_f32 v5, v114, v10, -v5
	v_mul_f32_e32 v6, v119, v15
	v_add_f32_e32 v3, v3, v130
	v_fma_f32 v4, v116, v12, -v4
	v_dual_mul_f32 v133, v118, v15 :: v_dual_mul_f32 v134, v120, v17
	s_delay_alu instid0(VALU_DEP_3) | instskip(SKIP_2) | instid1(VALU_DEP_4)
	v_dual_add_f32 v2, v2, v5 :: v_dual_add_f32 v3, v3, v131
	v_mul_f32_e32 v5, v121, v17
	v_fma_f32 v6, v118, v14, -v6
	v_dual_fmac_f32 v133, v119, v14 :: v_dual_fmac_f32 v134, v121, v16
	s_delay_alu instid0(VALU_DEP_4) | instskip(SKIP_3) | instid1(VALU_DEP_4)
	v_add_f32_e32 v2, v2, v4
	v_add_f32_e32 v3, v3, v132
	v_mul_f32_e32 v4, v127, v123
	v_fma_f32 v5, v120, v16, -v5
	v_add_f32_e32 v2, v2, v6
	v_fmac_f32_e32 v135, v127, v122
	s_delay_alu instid0(VALU_DEP_4) | instskip(NEXT) | instid1(VALU_DEP_3)
	v_fma_f32 v4, v126, v122, -v4
	v_add_f32_e32 v2, v2, v5
	s_delay_alu instid0(VALU_DEP_1) | instskip(NEXT) | instid1(VALU_DEP_1)
	v_dual_add_f32 v3, v3, v133 :: v_dual_add_f32 v2, v2, v4
	v_add_f32_e32 v3, v3, v134
	s_wait_loadcnt 0x0
	s_delay_alu instid0(VALU_DEP_1) | instskip(NEXT) | instid1(VALU_DEP_1)
	v_dual_sub_f32 v2, v124, v2 :: v_dual_add_f32 v3, v3, v135
	v_sub_f32_e32 v3, v125, v3
	scratch_store_b64 off, v[2:3], off offset:264
	v_cmpx_lt_u32_e32 32, v0
	s_cbranch_execz .LBB106_207
; %bb.206:
	scratch_load_b64 v[3:4], off, off offset:256
	v_mov_b32_e32 v2, v1
	scratch_store_b64 off, v[1:2], off offset:256
	s_wait_loadcnt 0x0
	ds_store_b64 v23, v[3:4]
.LBB106_207:
	s_wait_alu 0xfffe
	s_or_b32 exec_lo, exec_lo, s0
	s_wait_storecnt_dscnt 0x0
	s_barrier_signal -1
	s_barrier_wait -1
	global_inv scope:SCOPE_SE
	s_clause 0x5
	scratch_load_b128 v[2:5], off, off offset:264
	scratch_load_b128 v[6:9], off, off offset:280
	;; [unrolled: 1-line block ×5, first 2 shown]
	scratch_load_b64 v[130:131], off, off offset:256
	ds_load_2addr_b64 v[110:113], v1 offset0:77 offset1:78
	ds_load_2addr_b64 v[114:117], v1 offset0:79 offset1:80
	;; [unrolled: 1-line block ×5, first 2 shown]
	s_mov_b32 s0, exec_lo
	s_wait_loadcnt_dscnt 0x504
	v_dual_mul_f32 v1, v110, v3 :: v_dual_mul_f32 v22, v112, v5
	v_mul_f32_e32 v3, v111, v3
	s_wait_loadcnt_dscnt 0x403
	v_dual_mul_f32 v5, v113, v5 :: v_dual_mul_f32 v132, v114, v7
	s_delay_alu instid0(VALU_DEP_3) | instskip(NEXT) | instid1(VALU_DEP_3)
	v_dual_mul_f32 v133, v116, v9 :: v_dual_fmac_f32 v22, v113, v4
	v_fma_f32 v3, v110, v2, -v3
	v_fmac_f32_e32 v1, v111, v2
	v_mul_f32_e32 v2, v115, v7
	v_fma_f32 v4, v112, v4, -v5
	s_delay_alu instid0(VALU_DEP_4)
	v_dual_fmac_f32 v132, v115, v6 :: v_dual_add_f32 v3, 0, v3
	s_wait_loadcnt_dscnt 0x100
	v_dual_mul_f32 v138, v126, v19 :: v_dual_mul_f32 v139, v128, v21
	v_fma_f32 v2, v114, v6, -v2
	v_dual_mul_f32 v134, v118, v11 :: v_dual_mul_f32 v135, v120, v13
	v_add_f32_e32 v3, v3, v4
	v_dual_mul_f32 v5, v117, v9 :: v_dual_mul_f32 v136, v122, v15
	v_dual_mul_f32 v137, v124, v17 :: v_dual_mul_f32 v4, v119, v11
	s_delay_alu instid0(VALU_DEP_3) | instskip(NEXT) | instid1(VALU_DEP_3)
	v_add_f32_e32 v2, v3, v2
	v_fma_f32 v5, v116, v8, -v5
	v_dual_mul_f32 v3, v121, v13 :: v_dual_fmac_f32 v138, v127, v18
	s_delay_alu instid0(VALU_DEP_4) | instskip(SKIP_1) | instid1(VALU_DEP_4)
	v_fma_f32 v4, v118, v10, -v4
	v_dual_fmac_f32 v133, v117, v8 :: v_dual_fmac_f32 v134, v119, v10
	v_add_f32_e32 v2, v2, v5
	v_add_f32_e32 v1, 0, v1
	v_fma_f32 v3, v120, v12, -v3
	v_dual_fmac_f32 v136, v123, v14 :: v_dual_fmac_f32 v137, v125, v16
	s_delay_alu instid0(VALU_DEP_3) | instskip(SKIP_1) | instid1(VALU_DEP_2)
	v_dual_add_f32 v2, v2, v4 :: v_dual_add_f32 v1, v1, v22
	v_mul_f32_e32 v4, v125, v17
	v_dual_fmac_f32 v139, v129, v20 :: v_dual_add_f32 v2, v2, v3
	s_delay_alu instid0(VALU_DEP_3) | instskip(NEXT) | instid1(VALU_DEP_3)
	v_add_f32_e32 v1, v1, v132
	v_fma_f32 v4, v124, v16, -v4
	v_mul_f32_e32 v5, v123, v15
	v_mul_f32_e32 v3, v127, v19
	s_delay_alu instid0(VALU_DEP_4) | instskip(NEXT) | instid1(VALU_DEP_3)
	v_add_f32_e32 v1, v1, v133
	v_fma_f32 v5, v122, v14, -v5
	v_fmac_f32_e32 v135, v121, v12
	s_delay_alu instid0(VALU_DEP_4) | instskip(NEXT) | instid1(VALU_DEP_3)
	v_fma_f32 v3, v126, v18, -v3
	v_add_f32_e32 v2, v2, v5
	s_delay_alu instid0(VALU_DEP_1) | instskip(SKIP_1) | instid1(VALU_DEP_2)
	v_dual_mul_f32 v5, v129, v21 :: v_dual_add_f32 v2, v2, v4
	v_add_f32_e32 v1, v1, v134
	v_fma_f32 v4, v128, v20, -v5
	s_delay_alu instid0(VALU_DEP_3) | instskip(NEXT) | instid1(VALU_DEP_1)
	v_add_f32_e32 v2, v2, v3
	v_dual_add_f32 v1, v1, v135 :: v_dual_add_f32 v2, v2, v4
	s_delay_alu instid0(VALU_DEP_1) | instskip(NEXT) | instid1(VALU_DEP_1)
	v_add_f32_e32 v1, v1, v136
	v_add_f32_e32 v1, v1, v137
	s_delay_alu instid0(VALU_DEP_1) | instskip(NEXT) | instid1(VALU_DEP_1)
	v_add_f32_e32 v1, v1, v138
	v_add_f32_e32 v3, v1, v139
	s_wait_loadcnt 0x0
	s_delay_alu instid0(VALU_DEP_1)
	v_dual_sub_f32 v1, v130, v2 :: v_dual_sub_f32 v2, v131, v3
	scratch_store_b64 off, v[1:2], off offset:256
	v_cmpx_lt_u32_e32 31, v0
	s_cbranch_execz .LBB106_209
; %bb.208:
	scratch_load_b64 v[1:2], off, off offset:248
	v_mov_b32_e32 v3, 0
	s_delay_alu instid0(VALU_DEP_1)
	v_mov_b32_e32 v4, v3
	scratch_store_b64 off, v[3:4], off offset:248
	s_wait_loadcnt 0x0
	ds_store_b64 v23, v[1:2]
.LBB106_209:
	s_wait_alu 0xfffe
	s_or_b32 exec_lo, exec_lo, s0
	s_wait_storecnt_dscnt 0x0
	s_barrier_signal -1
	s_barrier_wait -1
	global_inv scope:SCOPE_SE
	s_clause 0x6
	scratch_load_b128 v[2:5], off, off offset:256
	scratch_load_b128 v[6:9], off, off offset:272
	;; [unrolled: 1-line block ×5, first 2 shown]
	scratch_load_b64 v[130:131], off, off offset:336
	scratch_load_b64 v[132:133], off, off offset:248
	v_mov_b32_e32 v1, 0
	ds_load_b128 v[110:113], v1 offset:608
	ds_load_b128 v[114:117], v1 offset:624
	;; [unrolled: 1-line block ×5, first 2 shown]
	ds_load_b64 v[134:135], v1 offset:688
	s_mov_b32 s0, exec_lo
	s_wait_loadcnt_dscnt 0x605
	v_mul_f32_e32 v22, v110, v3
	v_dual_mul_f32 v3, v111, v3 :: v_dual_mul_f32 v136, v112, v5
	s_wait_loadcnt_dscnt 0x302
	v_dual_mul_f32 v137, v114, v7 :: v_dual_mul_f32 v142, v124, v17
	v_mul_f32_e32 v5, v113, v5
	s_delay_alu instid0(VALU_DEP_3) | instskip(SKIP_3) | instid1(VALU_DEP_3)
	v_fma_f32 v3, v110, v2, -v3
	s_wait_loadcnt_dscnt 0x100
	v_dual_mul_f32 v145, v134, v131 :: v_dual_fmac_f32 v22, v111, v2
	v_mul_f32_e32 v2, v115, v7
	v_dual_fmac_f32 v136, v113, v4 :: v_dual_add_f32 v3, 0, v3
	v_fma_f32 v4, v112, v4, -v5
	v_dual_mul_f32 v138, v116, v9 :: v_dual_mul_f32 v139, v118, v11
	v_add_f32_e32 v5, 0, v22
	v_fma_f32 v2, v114, v6, -v2
	s_delay_alu instid0(VALU_DEP_4) | instskip(SKIP_3) | instid1(VALU_DEP_4)
	v_add_f32_e32 v3, v3, v4
	v_mul_f32_e32 v7, v117, v9
	v_dual_fmac_f32 v138, v117, v8 :: v_dual_fmac_f32 v137, v115, v6
	v_add_f32_e32 v4, v5, v136
	v_add_f32_e32 v2, v3, v2
	s_delay_alu instid0(VALU_DEP_4)
	v_fma_f32 v6, v116, v8, -v7
	v_dual_mul_f32 v5, v119, v11 :: v_dual_mul_f32 v140, v120, v13
	v_mul_f32_e32 v141, v122, v15
	v_add_f32_e32 v3, v4, v137
	v_mul_f32_e32 v4, v121, v13
	v_add_f32_e32 v2, v2, v6
	v_fma_f32 v5, v118, v10, -v5
	v_dual_fmac_f32 v139, v119, v10 :: v_dual_fmac_f32 v140, v121, v12
	v_mul_f32_e32 v6, v123, v15
	s_delay_alu instid0(VALU_DEP_3) | instskip(SKIP_2) | instid1(VALU_DEP_4)
	v_dual_add_f32 v3, v3, v138 :: v_dual_add_f32 v2, v2, v5
	v_fma_f32 v4, v120, v12, -v4
	v_mul_f32_e32 v5, v125, v17
	v_fma_f32 v6, v122, v14, -v6
	s_delay_alu instid0(VALU_DEP_4) | instskip(SKIP_3) | instid1(VALU_DEP_4)
	v_add_f32_e32 v3, v3, v139
	v_dual_mul_f32 v143, v126, v19 :: v_dual_mul_f32 v144, v128, v21
	v_dual_add_f32 v2, v2, v4 :: v_dual_fmac_f32 v141, v123, v14
	v_fmac_f32_e32 v142, v125, v16
	v_add_f32_e32 v3, v3, v140
	v_mul_f32_e32 v4, v127, v19
	v_fma_f32 v5, v124, v16, -v5
	v_add_f32_e32 v2, v2, v6
	v_dual_mul_f32 v6, v129, v21 :: v_dual_fmac_f32 v143, v127, v18
	v_dual_add_f32 v3, v3, v141 :: v_dual_fmac_f32 v144, v129, v20
	v_fma_f32 v4, v126, v18, -v4
	s_delay_alu instid0(VALU_DEP_4) | instskip(NEXT) | instid1(VALU_DEP_4)
	v_add_f32_e32 v2, v2, v5
	v_fma_f32 v6, v128, v20, -v6
	s_delay_alu instid0(VALU_DEP_4) | instskip(NEXT) | instid1(VALU_DEP_3)
	v_add_f32_e32 v3, v3, v142
	v_dual_mul_f32 v5, v135, v131 :: v_dual_add_f32 v2, v2, v4
	s_delay_alu instid0(VALU_DEP_2) | instskip(NEXT) | instid1(VALU_DEP_2)
	v_add_f32_e32 v3, v3, v143
	v_fma_f32 v4, v134, v130, -v5
	s_delay_alu instid0(VALU_DEP_3) | instskip(NEXT) | instid1(VALU_DEP_1)
	v_add_f32_e32 v2, v2, v6
	v_dual_fmac_f32 v145, v135, v130 :: v_dual_add_f32 v2, v2, v4
	s_wait_loadcnt 0x0
	s_delay_alu instid0(VALU_DEP_1) | instskip(NEXT) | instid1(VALU_DEP_1)
	v_dual_add_f32 v3, v3, v144 :: v_dual_sub_f32 v2, v132, v2
	v_add_f32_e32 v3, v3, v145
	s_delay_alu instid0(VALU_DEP_1)
	v_sub_f32_e32 v3, v133, v3
	scratch_store_b64 off, v[2:3], off offset:248
	v_cmpx_lt_u32_e32 30, v0
	s_cbranch_execz .LBB106_211
; %bb.210:
	scratch_load_b64 v[3:4], off, off offset:240
	v_mov_b32_e32 v2, v1
	scratch_store_b64 off, v[1:2], off offset:240
	s_wait_loadcnt 0x0
	ds_store_b64 v23, v[3:4]
.LBB106_211:
	s_wait_alu 0xfffe
	s_or_b32 exec_lo, exec_lo, s0
	s_wait_storecnt_dscnt 0x0
	s_barrier_signal -1
	s_barrier_wait -1
	global_inv scope:SCOPE_SE
	s_clause 0x6
	scratch_load_b128 v[2:5], off, off offset:248
	scratch_load_b128 v[6:9], off, off offset:264
	;; [unrolled: 1-line block ×6, first 2 shown]
	scratch_load_b64 v[138:139], off, off offset:240
	ds_load_2addr_b64 v[114:117], v1 offset0:75 offset1:76
	ds_load_2addr_b64 v[118:121], v1 offset0:77 offset1:78
	;; [unrolled: 1-line block ×6, first 2 shown]
	s_mov_b32 s0, exec_lo
	s_wait_loadcnt_dscnt 0x605
	v_dual_mul_f32 v1, v114, v3 :: v_dual_mul_f32 v22, v116, v5
	v_mul_f32_e32 v3, v115, v3
	s_wait_loadcnt_dscnt 0x504
	v_dual_mul_f32 v5, v117, v5 :: v_dual_mul_f32 v140, v118, v7
	s_delay_alu instid0(VALU_DEP_3) | instskip(NEXT) | instid1(VALU_DEP_3)
	v_dual_mul_f32 v141, v120, v9 :: v_dual_fmac_f32 v22, v117, v4
	v_fma_f32 v3, v114, v2, -v3
	v_fmac_f32_e32 v1, v115, v2
	v_mul_f32_e32 v2, v119, v7
	v_fma_f32 v4, v116, v4, -v5
	s_delay_alu instid0(VALU_DEP_4)
	v_dual_fmac_f32 v140, v119, v6 :: v_dual_add_f32 v3, 0, v3
	s_wait_loadcnt_dscnt 0x201
	v_dual_mul_f32 v146, v130, v19 :: v_dual_mul_f32 v147, v132, v21
	v_fma_f32 v2, v118, v6, -v2
	v_dual_mul_f32 v142, v122, v11 :: v_dual_mul_f32 v143, v124, v13
	v_add_f32_e32 v3, v3, v4
	v_dual_mul_f32 v5, v121, v9 :: v_dual_mul_f32 v144, v126, v15
	v_dual_mul_f32 v145, v128, v17 :: v_dual_mul_f32 v4, v123, v11
	s_delay_alu instid0(VALU_DEP_3) | instskip(NEXT) | instid1(VALU_DEP_3)
	v_add_f32_e32 v2, v3, v2
	v_fma_f32 v5, v120, v8, -v5
	v_dual_mul_f32 v3, v125, v13 :: v_dual_fmac_f32 v146, v131, v18
	s_delay_alu instid0(VALU_DEP_4) | instskip(SKIP_1) | instid1(VALU_DEP_4)
	v_fma_f32 v4, v122, v10, -v4
	v_dual_fmac_f32 v141, v121, v8 :: v_dual_fmac_f32 v142, v123, v10
	v_add_f32_e32 v2, v2, v5
	v_add_f32_e32 v1, 0, v1
	v_fma_f32 v3, v124, v12, -v3
	v_fmac_f32_e32 v144, v127, v14
	s_wait_loadcnt_dscnt 0x100
	v_dual_mul_f32 v148, v134, v111 :: v_dual_mul_f32 v149, v136, v113
	v_dual_add_f32 v1, v1, v22 :: v_dual_add_f32 v2, v2, v4
	v_mul_f32_e32 v4, v129, v17
	v_fmac_f32_e32 v147, v133, v20
	s_delay_alu instid0(VALU_DEP_4) | instskip(NEXT) | instid1(VALU_DEP_4)
	v_fmac_f32_e32 v149, v137, v112
	v_dual_add_f32 v1, v1, v140 :: v_dual_add_f32 v2, v2, v3
	s_delay_alu instid0(VALU_DEP_4) | instskip(SKIP_1) | instid1(VALU_DEP_3)
	v_fma_f32 v4, v128, v16, -v4
	v_mul_f32_e32 v5, v127, v15
	v_dual_fmac_f32 v148, v135, v110 :: v_dual_add_f32 v1, v1, v141
	s_delay_alu instid0(VALU_DEP_2) | instskip(SKIP_1) | instid1(VALU_DEP_2)
	v_fma_f32 v5, v126, v14, -v5
	v_fmac_f32_e32 v143, v125, v12
	v_dual_add_f32 v1, v1, v142 :: v_dual_add_f32 v2, v2, v5
	s_delay_alu instid0(VALU_DEP_1) | instskip(SKIP_1) | instid1(VALU_DEP_3)
	v_add_f32_e32 v2, v2, v4
	v_mul_f32_e32 v4, v135, v111
	v_add_f32_e32 v1, v1, v143
	s_delay_alu instid0(VALU_DEP_2) | instskip(SKIP_1) | instid1(VALU_DEP_1)
	v_fma_f32 v4, v134, v110, -v4
	v_mul_f32_e32 v5, v133, v21
	v_fma_f32 v5, v132, v20, -v5
	v_mul_f32_e32 v3, v131, v19
	s_delay_alu instid0(VALU_DEP_1) | instskip(NEXT) | instid1(VALU_DEP_1)
	v_fma_f32 v3, v130, v18, -v3
	v_dual_fmac_f32 v145, v129, v16 :: v_dual_add_f32 v2, v2, v3
	v_mul_f32_e32 v3, v137, v113
	s_delay_alu instid0(VALU_DEP_2) | instskip(NEXT) | instid1(VALU_DEP_2)
	v_add_f32_e32 v2, v2, v5
	v_fma_f32 v3, v136, v112, -v3
	s_delay_alu instid0(VALU_DEP_2) | instskip(NEXT) | instid1(VALU_DEP_1)
	v_add_f32_e32 v2, v2, v4
	v_dual_add_f32 v1, v1, v144 :: v_dual_add_f32 v2, v2, v3
	s_delay_alu instid0(VALU_DEP_1) | instskip(NEXT) | instid1(VALU_DEP_1)
	v_add_f32_e32 v1, v1, v145
	v_add_f32_e32 v1, v1, v146
	s_delay_alu instid0(VALU_DEP_1) | instskip(NEXT) | instid1(VALU_DEP_1)
	v_add_f32_e32 v1, v1, v147
	v_add_f32_e32 v1, v1, v148
	s_delay_alu instid0(VALU_DEP_1) | instskip(SKIP_1) | instid1(VALU_DEP_1)
	v_add_f32_e32 v3, v1, v149
	s_wait_loadcnt 0x0
	v_dual_sub_f32 v1, v138, v2 :: v_dual_sub_f32 v2, v139, v3
	scratch_store_b64 off, v[1:2], off offset:240
	v_cmpx_lt_u32_e32 29, v0
	s_cbranch_execz .LBB106_213
; %bb.212:
	scratch_load_b64 v[1:2], off, off offset:232
	v_mov_b32_e32 v3, 0
	s_delay_alu instid0(VALU_DEP_1)
	v_mov_b32_e32 v4, v3
	scratch_store_b64 off, v[3:4], off offset:232
	s_wait_loadcnt 0x0
	ds_store_b64 v23, v[1:2]
.LBB106_213:
	s_wait_alu 0xfffe
	s_or_b32 exec_lo, exec_lo, s0
	s_wait_storecnt_dscnt 0x0
	s_barrier_signal -1
	s_barrier_wait -1
	global_inv scope:SCOPE_SE
	s_clause 0x7
	scratch_load_b128 v[2:5], off, off offset:240
	scratch_load_b128 v[6:9], off, off offset:256
	;; [unrolled: 1-line block ×6, first 2 shown]
	scratch_load_b64 v[138:139], off, off offset:336
	scratch_load_b64 v[140:141], off, off offset:232
	v_mov_b32_e32 v1, 0
	ds_load_b128 v[114:117], v1 offset:592
	ds_load_b128 v[118:121], v1 offset:608
	;; [unrolled: 1-line block ×6, first 2 shown]
	ds_load_b64 v[142:143], v1 offset:688
	s_mov_b32 s0, exec_lo
	s_wait_loadcnt_dscnt 0x706
	v_mul_f32_e32 v22, v114, v3
	v_dual_mul_f32 v3, v115, v3 :: v_dual_mul_f32 v144, v116, v5
	s_wait_loadcnt_dscnt 0x302
	v_dual_mul_f32 v145, v118, v7 :: v_dual_mul_f32 v152, v132, v21
	v_mul_f32_e32 v5, v117, v5
	s_wait_loadcnt_dscnt 0x100
	v_dual_mul_f32 v155, v142, v139 :: v_dual_fmac_f32 v22, v115, v2
	v_fma_f32 v3, v114, v2, -v3
	v_dual_mul_f32 v146, v120, v9 :: v_dual_mul_f32 v147, v122, v11
	v_mul_f32_e32 v2, v119, v7
	s_delay_alu instid0(VALU_DEP_3) | instskip(SKIP_1) | instid1(VALU_DEP_4)
	v_dual_fmac_f32 v144, v117, v4 :: v_dual_add_f32 v3, 0, v3
	v_fma_f32 v4, v116, v4, -v5
	v_dual_add_f32 v5, 0, v22 :: v_dual_fmac_f32 v146, v121, v8
	v_fmac_f32_e32 v145, v119, v6
	v_fma_f32 v2, v118, v6, -v2
	s_delay_alu instid0(VALU_DEP_4) | instskip(SKIP_3) | instid1(VALU_DEP_4)
	v_add_f32_e32 v3, v3, v4
	v_mul_f32_e32 v7, v121, v9
	v_add_f32_e32 v4, v5, v144
	v_dual_mul_f32 v148, v124, v13 :: v_dual_mul_f32 v149, v126, v15
	v_add_f32_e32 v2, v3, v2
	s_delay_alu instid0(VALU_DEP_4)
	v_fma_f32 v6, v120, v8, -v7
	v_mul_f32_e32 v5, v123, v11
	v_add_f32_e32 v3, v4, v145
	v_dual_mul_f32 v4, v125, v13 :: v_dual_fmac_f32 v147, v123, v10
	v_fmac_f32_e32 v148, v125, v12
	v_add_f32_e32 v2, v2, v6
	v_fma_f32 v5, v122, v10, -v5
	v_mul_f32_e32 v6, v127, v15
	v_add_f32_e32 v3, v3, v146
	v_fma_f32 v4, v124, v12, -v4
	v_dual_mul_f32 v150, v128, v17 :: v_dual_mul_f32 v151, v130, v19
	s_delay_alu instid0(VALU_DEP_3) | instskip(SKIP_1) | instid1(VALU_DEP_3)
	v_dual_add_f32 v2, v2, v5 :: v_dual_add_f32 v3, v3, v147
	v_mul_f32_e32 v5, v129, v17
	v_dual_fmac_f32 v149, v127, v14 :: v_dual_fmac_f32 v150, v129, v16
	v_fma_f32 v6, v126, v14, -v6
	s_delay_alu instid0(VALU_DEP_4) | instskip(SKIP_4) | instid1(VALU_DEP_4)
	v_add_f32_e32 v2, v2, v4
	v_add_f32_e32 v3, v3, v148
	v_mul_f32_e32 v4, v131, v19
	v_fma_f32 v5, v128, v16, -v5
	v_fmac_f32_e32 v151, v131, v18
	v_dual_add_f32 v2, v2, v6 :: v_dual_add_f32 v3, v3, v149
	v_fmac_f32_e32 v152, v133, v20
	v_mul_f32_e32 v6, v133, v21
	v_fma_f32 v4, v130, v18, -v4
	s_delay_alu instid0(VALU_DEP_4) | instskip(SKIP_1) | instid1(VALU_DEP_2)
	v_dual_add_f32 v2, v2, v5 :: v_dual_add_f32 v3, v3, v150
	v_dual_mul_f32 v153, v134, v111 :: v_dual_mul_f32 v154, v136, v113
	v_dual_mul_f32 v5, v135, v111 :: v_dual_add_f32 v2, v2, v4
	v_fma_f32 v6, v132, v20, -v6
	s_delay_alu instid0(VALU_DEP_4) | instskip(NEXT) | instid1(VALU_DEP_4)
	v_dual_add_f32 v3, v3, v151 :: v_dual_mul_f32 v4, v137, v113
	v_dual_fmac_f32 v153, v135, v110 :: v_dual_fmac_f32 v154, v137, v112
	s_delay_alu instid0(VALU_DEP_4) | instskip(NEXT) | instid1(VALU_DEP_3)
	v_fma_f32 v5, v134, v110, -v5
	v_dual_add_f32 v2, v2, v6 :: v_dual_add_f32 v3, v3, v152
	v_mul_f32_e32 v6, v143, v139
	v_fma_f32 v4, v136, v112, -v4
	s_delay_alu instid0(VALU_DEP_3) | instskip(NEXT) | instid1(VALU_DEP_4)
	v_dual_fmac_f32 v155, v143, v138 :: v_dual_add_f32 v2, v2, v5
	v_add_f32_e32 v3, v3, v153
	s_delay_alu instid0(VALU_DEP_4) | instskip(NEXT) | instid1(VALU_DEP_2)
	v_fma_f32 v5, v142, v138, -v6
	v_dual_add_f32 v2, v2, v4 :: v_dual_add_f32 v3, v3, v154
	s_delay_alu instid0(VALU_DEP_1) | instskip(SKIP_1) | instid1(VALU_DEP_1)
	v_dual_add_f32 v2, v2, v5 :: v_dual_add_f32 v3, v3, v155
	s_wait_loadcnt 0x0
	v_dual_sub_f32 v2, v140, v2 :: v_dual_sub_f32 v3, v141, v3
	scratch_store_b64 off, v[2:3], off offset:232
	v_cmpx_lt_u32_e32 28, v0
	s_cbranch_execz .LBB106_215
; %bb.214:
	scratch_load_b64 v[3:4], off, off offset:224
	v_mov_b32_e32 v2, v1
	scratch_store_b64 off, v[1:2], off offset:224
	s_wait_loadcnt 0x0
	ds_store_b64 v23, v[3:4]
.LBB106_215:
	s_wait_alu 0xfffe
	s_or_b32 exec_lo, exec_lo, s0
	s_wait_storecnt_dscnt 0x0
	s_barrier_signal -1
	s_barrier_wait -1
	global_inv scope:SCOPE_SE
	s_clause 0x7
	scratch_load_b128 v[2:5], off, off offset:232
	scratch_load_b128 v[6:9], off, off offset:248
	;; [unrolled: 1-line block ×7, first 2 shown]
	scratch_load_b64 v[146:147], off, off offset:224
	ds_load_2addr_b64 v[118:121], v1 offset0:73 offset1:74
	ds_load_2addr_b64 v[122:125], v1 offset0:75 offset1:76
	;; [unrolled: 1-line block ×7, first 2 shown]
	s_mov_b32 s0, exec_lo
	s_wait_loadcnt_dscnt 0x706
	v_dual_mul_f32 v1, v118, v3 :: v_dual_mul_f32 v22, v120, v5
	v_mul_f32_e32 v3, v119, v3
	s_wait_loadcnt_dscnt 0x605
	v_dual_mul_f32 v5, v121, v5 :: v_dual_mul_f32 v148, v122, v7
	s_delay_alu instid0(VALU_DEP_3) | instskip(NEXT) | instid1(VALU_DEP_3)
	v_dual_mul_f32 v149, v124, v9 :: v_dual_fmac_f32 v22, v121, v4
	v_fma_f32 v3, v118, v2, -v3
	v_fmac_f32_e32 v1, v119, v2
	v_mul_f32_e32 v2, v123, v7
	v_fma_f32 v4, v120, v4, -v5
	s_delay_alu instid0(VALU_DEP_4)
	v_dual_fmac_f32 v148, v123, v6 :: v_dual_add_f32 v3, 0, v3
	s_wait_loadcnt_dscnt 0x302
	v_dual_mul_f32 v154, v134, v19 :: v_dual_mul_f32 v155, v136, v21
	v_fma_f32 v2, v122, v6, -v2
	v_dual_mul_f32 v150, v126, v11 :: v_dual_mul_f32 v151, v128, v13
	v_add_f32_e32 v3, v3, v4
	v_dual_mul_f32 v5, v125, v9 :: v_dual_mul_f32 v152, v130, v15
	v_dual_mul_f32 v153, v132, v17 :: v_dual_mul_f32 v4, v127, v11
	s_delay_alu instid0(VALU_DEP_3) | instskip(NEXT) | instid1(VALU_DEP_3)
	v_add_f32_e32 v2, v3, v2
	v_fma_f32 v5, v124, v8, -v5
	v_dual_mul_f32 v3, v129, v13 :: v_dual_fmac_f32 v154, v135, v18
	s_delay_alu instid0(VALU_DEP_4) | instskip(SKIP_1) | instid1(VALU_DEP_4)
	v_fma_f32 v4, v126, v10, -v4
	v_dual_fmac_f32 v149, v125, v8 :: v_dual_fmac_f32 v150, v127, v10
	v_add_f32_e32 v2, v2, v5
	v_add_f32_e32 v1, 0, v1
	v_fma_f32 v3, v128, v12, -v3
	v_fmac_f32_e32 v152, v131, v14
	s_wait_loadcnt_dscnt 0x201
	v_dual_mul_f32 v156, v138, v111 :: v_dual_mul_f32 v157, v140, v113
	v_dual_add_f32 v1, v1, v22 :: v_dual_add_f32 v2, v2, v4
	v_mul_f32_e32 v4, v133, v17
	s_wait_loadcnt_dscnt 0x100
	v_dual_mul_f32 v158, v142, v115 :: v_dual_mul_f32 v159, v144, v117
	s_delay_alu instid0(VALU_DEP_3) | instskip(NEXT) | instid1(VALU_DEP_3)
	v_dual_add_f32 v1, v1, v148 :: v_dual_add_f32 v2, v2, v3
	v_fma_f32 v4, v132, v16, -v4
	v_mul_f32_e32 v5, v131, v15
	v_fmac_f32_e32 v157, v141, v112
	s_delay_alu instid0(VALU_DEP_4) | instskip(SKIP_1) | instid1(VALU_DEP_4)
	v_add_f32_e32 v1, v1, v149
	v_dual_fmac_f32 v159, v145, v116 :: v_dual_fmac_f32 v156, v139, v110
	v_fma_f32 v5, v130, v14, -v5
	v_fmac_f32_e32 v151, v129, v12
	s_delay_alu instid0(VALU_DEP_4) | instskip(SKIP_1) | instid1(VALU_DEP_4)
	v_add_f32_e32 v1, v1, v150
	v_fmac_f32_e32 v158, v143, v114
	v_add_f32_e32 v2, v2, v5
	s_delay_alu instid0(VALU_DEP_1) | instskip(SKIP_2) | instid1(VALU_DEP_2)
	v_add_f32_e32 v2, v2, v4
	v_mul_f32_e32 v4, v139, v111
	v_add_f32_e32 v1, v1, v151
	v_fma_f32 v4, v138, v110, -v4
	v_mul_f32_e32 v5, v137, v21
	s_delay_alu instid0(VALU_DEP_3) | instskip(NEXT) | instid1(VALU_DEP_2)
	v_add_f32_e32 v1, v1, v152
	v_fma_f32 v5, v136, v20, -v5
	v_mul_f32_e32 v3, v135, v19
	s_delay_alu instid0(VALU_DEP_1) | instskip(NEXT) | instid1(VALU_DEP_1)
	v_fma_f32 v3, v134, v18, -v3
	v_dual_fmac_f32 v153, v133, v16 :: v_dual_add_f32 v2, v2, v3
	v_mul_f32_e32 v3, v141, v113
	s_delay_alu instid0(VALU_DEP_2) | instskip(NEXT) | instid1(VALU_DEP_2)
	v_dual_add_f32 v2, v2, v5 :: v_dual_mul_f32 v5, v143, v115
	v_fma_f32 v3, v140, v112, -v3
	s_delay_alu instid0(VALU_DEP_2) | instskip(SKIP_1) | instid1(VALU_DEP_4)
	v_dual_add_f32 v2, v2, v4 :: v_dual_add_f32 v1, v1, v153
	v_mul_f32_e32 v4, v145, v117
	v_fma_f32 v5, v142, v114, -v5
	s_delay_alu instid0(VALU_DEP_3) | instskip(NEXT) | instid1(VALU_DEP_3)
	v_dual_add_f32 v2, v2, v3 :: v_dual_fmac_f32 v155, v137, v20
	v_fma_f32 v3, v144, v116, -v4
	s_delay_alu instid0(VALU_DEP_2) | instskip(NEXT) | instid1(VALU_DEP_1)
	v_dual_add_f32 v2, v2, v5 :: v_dual_add_f32 v1, v1, v154
	v_add_f32_e32 v2, v2, v3
	s_delay_alu instid0(VALU_DEP_2) | instskip(NEXT) | instid1(VALU_DEP_1)
	v_add_f32_e32 v1, v1, v155
	v_add_f32_e32 v1, v1, v156
	s_delay_alu instid0(VALU_DEP_1) | instskip(NEXT) | instid1(VALU_DEP_1)
	v_add_f32_e32 v1, v1, v157
	v_add_f32_e32 v1, v1, v158
	s_delay_alu instid0(VALU_DEP_1) | instskip(SKIP_1) | instid1(VALU_DEP_1)
	v_add_f32_e32 v3, v1, v159
	s_wait_loadcnt 0x0
	v_dual_sub_f32 v1, v146, v2 :: v_dual_sub_f32 v2, v147, v3
	scratch_store_b64 off, v[1:2], off offset:224
	v_cmpx_lt_u32_e32 27, v0
	s_cbranch_execz .LBB106_217
; %bb.216:
	scratch_load_b64 v[1:2], off, off offset:216
	v_mov_b32_e32 v3, 0
	s_delay_alu instid0(VALU_DEP_1)
	v_mov_b32_e32 v4, v3
	scratch_store_b64 off, v[3:4], off offset:216
	s_wait_loadcnt 0x0
	ds_store_b64 v23, v[1:2]
.LBB106_217:
	s_wait_alu 0xfffe
	s_or_b32 exec_lo, exec_lo, s0
	s_wait_storecnt_dscnt 0x0
	s_barrier_signal -1
	s_barrier_wait -1
	global_inv scope:SCOPE_SE
	s_clause 0x8
	scratch_load_b128 v[2:5], off, off offset:224
	scratch_load_b128 v[6:9], off, off offset:240
	;; [unrolled: 1-line block ×7, first 2 shown]
	scratch_load_b64 v[146:147], off, off offset:336
	scratch_load_b64 v[148:149], off, off offset:216
	v_mov_b32_e32 v1, 0
	ds_load_b128 v[118:121], v1 offset:576
	ds_load_b128 v[122:125], v1 offset:592
	ds_load_b128 v[126:129], v1 offset:608
	ds_load_b128 v[130:133], v1 offset:624
	ds_load_b128 v[134:137], v1 offset:640
	ds_load_b128 v[138:141], v1 offset:656
	ds_load_b128 v[142:145], v1 offset:672
	ds_load_b64 v[150:151], v1 offset:688
	s_mov_b32 s0, exec_lo
	s_wait_loadcnt_dscnt 0x807
	v_mul_f32_e32 v22, v118, v3
	v_dual_mul_f32 v3, v119, v3 :: v_dual_mul_f32 v152, v120, v5
	s_wait_loadcnt_dscnt 0x706
	v_mul_f32_e32 v153, v122, v7
	v_mul_f32_e32 v5, v121, v5
	s_wait_loadcnt_dscnt 0x302
	v_mul_f32_e32 v162, v140, v113
	v_fma_f32 v3, v118, v2, -v3
	s_wait_loadcnt_dscnt 0x100
	v_dual_mul_f32 v165, v150, v147 :: v_dual_fmac_f32 v22, v119, v2
	v_mul_f32_e32 v2, v123, v7
	s_delay_alu instid0(VALU_DEP_3) | instskip(SKIP_4) | instid1(VALU_DEP_4)
	v_dual_fmac_f32 v152, v121, v4 :: v_dual_add_f32 v3, 0, v3
	v_fma_f32 v4, v120, v4, -v5
	v_dual_mul_f32 v154, v124, v9 :: v_dual_mul_f32 v155, v126, v11
	v_add_f32_e32 v5, 0, v22
	v_fma_f32 v2, v122, v6, -v2
	v_add_f32_e32 v3, v3, v4
	v_mul_f32_e32 v7, v125, v9
	v_dual_fmac_f32 v154, v125, v8 :: v_dual_fmac_f32 v153, v123, v6
	v_add_f32_e32 v4, v5, v152
	s_delay_alu instid0(VALU_DEP_4) | instskip(NEXT) | instid1(VALU_DEP_4)
	v_add_f32_e32 v2, v3, v2
	v_fma_f32 v6, v124, v8, -v7
	v_dual_mul_f32 v5, v127, v11 :: v_dual_mul_f32 v156, v128, v13
	v_mul_f32_e32 v157, v130, v15
	v_add_f32_e32 v3, v4, v153
	v_mul_f32_e32 v4, v129, v13
	v_add_f32_e32 v2, v2, v6
	v_fma_f32 v5, v126, v10, -v5
	v_dual_fmac_f32 v155, v127, v10 :: v_dual_fmac_f32 v156, v129, v12
	v_mul_f32_e32 v6, v131, v15
	s_delay_alu instid0(VALU_DEP_3) | instskip(SKIP_2) | instid1(VALU_DEP_4)
	v_dual_add_f32 v3, v3, v154 :: v_dual_add_f32 v2, v2, v5
	v_fma_f32 v4, v128, v12, -v4
	v_mul_f32_e32 v5, v133, v17
	v_fma_f32 v6, v130, v14, -v6
	s_delay_alu instid0(VALU_DEP_4) | instskip(SKIP_3) | instid1(VALU_DEP_4)
	v_dual_add_f32 v3, v3, v155 :: v_dual_mul_f32 v158, v132, v17
	v_mul_f32_e32 v159, v134, v19
	v_add_f32_e32 v2, v2, v4
	v_dual_mul_f32 v160, v136, v21 :: v_dual_mul_f32 v161, v138, v111
	v_dual_fmac_f32 v157, v131, v14 :: v_dual_fmac_f32 v158, v133, v16
	s_delay_alu instid0(VALU_DEP_3) | instskip(SKIP_3) | instid1(VALU_DEP_4)
	v_dual_add_f32 v3, v3, v156 :: v_dual_add_f32 v2, v2, v6
	v_mul_f32_e32 v4, v135, v19
	v_fma_f32 v5, v132, v16, -v5
	v_dual_mul_f32 v6, v137, v21 :: v_dual_fmac_f32 v159, v135, v18
	v_dual_add_f32 v3, v3, v157 :: v_dual_fmac_f32 v160, v137, v20
	s_delay_alu instid0(VALU_DEP_4) | instskip(NEXT) | instid1(VALU_DEP_4)
	v_fma_f32 v4, v134, v18, -v4
	v_add_f32_e32 v2, v2, v5
	s_delay_alu instid0(VALU_DEP_4) | instskip(NEXT) | instid1(VALU_DEP_4)
	v_fma_f32 v6, v136, v20, -v6
	v_add_f32_e32 v3, v3, v158
	v_mul_f32_e32 v5, v139, v111
	v_dual_mul_f32 v163, v142, v115 :: v_dual_mul_f32 v164, v144, v117
	s_delay_alu instid0(VALU_DEP_3) | instskip(SKIP_1) | instid1(VALU_DEP_4)
	v_dual_add_f32 v2, v2, v4 :: v_dual_add_f32 v3, v3, v159
	v_mul_f32_e32 v4, v141, v113
	v_fma_f32 v5, v138, v110, -v5
	v_dual_fmac_f32 v161, v139, v110 :: v_dual_fmac_f32 v162, v141, v112
	s_delay_alu instid0(VALU_DEP_4) | instskip(SKIP_2) | instid1(VALU_DEP_3)
	v_dual_add_f32 v2, v2, v6 :: v_dual_add_f32 v3, v3, v160
	v_mul_f32_e32 v6, v143, v115
	v_fma_f32 v4, v140, v112, -v4
	v_dual_fmac_f32 v163, v143, v114 :: v_dual_add_f32 v2, v2, v5
	s_delay_alu instid0(VALU_DEP_4) | instskip(SKIP_3) | instid1(VALU_DEP_4)
	v_add_f32_e32 v3, v3, v161
	v_mul_f32_e32 v5, v145, v117
	v_fma_f32 v6, v142, v114, -v6
	v_fmac_f32_e32 v164, v145, v116
	v_dual_add_f32 v2, v2, v4 :: v_dual_add_f32 v3, v3, v162
	v_mul_f32_e32 v4, v151, v147
	v_fma_f32 v5, v144, v116, -v5
	s_delay_alu instid0(VALU_DEP_3) | instskip(SKIP_1) | instid1(VALU_DEP_4)
	v_dual_add_f32 v2, v2, v6 :: v_dual_add_f32 v3, v3, v163
	v_fmac_f32_e32 v165, v151, v146
	v_fma_f32 v4, v150, v146, -v4
	s_delay_alu instid0(VALU_DEP_3) | instskip(NEXT) | instid1(VALU_DEP_1)
	v_add_f32_e32 v2, v2, v5
	v_add_f32_e32 v2, v2, v4
	s_wait_loadcnt 0x0
	s_delay_alu instid0(VALU_DEP_1) | instskip(NEXT) | instid1(VALU_DEP_1)
	v_dual_add_f32 v3, v3, v164 :: v_dual_sub_f32 v2, v148, v2
	v_add_f32_e32 v3, v3, v165
	s_delay_alu instid0(VALU_DEP_1)
	v_sub_f32_e32 v3, v149, v3
	scratch_store_b64 off, v[2:3], off offset:216
	v_cmpx_lt_u32_e32 26, v0
	s_cbranch_execz .LBB106_219
; %bb.218:
	scratch_load_b64 v[3:4], off, off offset:208
	v_mov_b32_e32 v2, v1
	scratch_store_b64 off, v[1:2], off offset:208
	s_wait_loadcnt 0x0
	ds_store_b64 v23, v[3:4]
.LBB106_219:
	s_wait_alu 0xfffe
	s_or_b32 exec_lo, exec_lo, s0
	s_wait_storecnt_dscnt 0x0
	s_barrier_signal -1
	s_barrier_wait -1
	global_inv scope:SCOPE_SE
	s_clause 0x8
	scratch_load_b128 v[2:5], off, off offset:216
	scratch_load_b128 v[6:9], off, off offset:232
	;; [unrolled: 1-line block ×8, first 2 shown]
	scratch_load_b64 v[154:155], off, off offset:208
	ds_load_2addr_b64 v[122:125], v1 offset0:71 offset1:72
	ds_load_2addr_b64 v[126:129], v1 offset0:73 offset1:74
	;; [unrolled: 1-line block ×8, first 2 shown]
	s_mov_b32 s0, exec_lo
	s_wait_loadcnt_dscnt 0x807
	v_dual_mul_f32 v1, v122, v3 :: v_dual_mul_f32 v22, v124, v5
	v_mul_f32_e32 v3, v123, v3
	s_wait_loadcnt_dscnt 0x706
	v_dual_mul_f32 v5, v125, v5 :: v_dual_mul_f32 v156, v126, v7
	s_delay_alu instid0(VALU_DEP_3) | instskip(NEXT) | instid1(VALU_DEP_3)
	v_dual_mul_f32 v157, v128, v9 :: v_dual_fmac_f32 v22, v125, v4
	v_fma_f32 v3, v122, v2, -v3
	v_fmac_f32_e32 v1, v123, v2
	v_mul_f32_e32 v2, v127, v7
	v_fma_f32 v4, v124, v4, -v5
	s_delay_alu instid0(VALU_DEP_4)
	v_dual_fmac_f32 v156, v127, v6 :: v_dual_add_f32 v3, 0, v3
	s_wait_loadcnt_dscnt 0x403
	v_dual_mul_f32 v162, v138, v19 :: v_dual_mul_f32 v163, v140, v21
	v_fma_f32 v2, v126, v6, -v2
	v_dual_mul_f32 v158, v130, v11 :: v_dual_mul_f32 v159, v132, v13
	v_add_f32_e32 v3, v3, v4
	v_dual_mul_f32 v5, v129, v9 :: v_dual_mul_f32 v160, v134, v15
	v_dual_mul_f32 v161, v136, v17 :: v_dual_mul_f32 v4, v131, v11
	s_delay_alu instid0(VALU_DEP_3) | instskip(NEXT) | instid1(VALU_DEP_3)
	v_add_f32_e32 v2, v3, v2
	v_fma_f32 v5, v128, v8, -v5
	v_dual_mul_f32 v3, v133, v13 :: v_dual_fmac_f32 v162, v139, v18
	s_delay_alu instid0(VALU_DEP_4) | instskip(SKIP_1) | instid1(VALU_DEP_4)
	v_fma_f32 v4, v130, v10, -v4
	v_dual_fmac_f32 v157, v129, v8 :: v_dual_fmac_f32 v158, v131, v10
	v_add_f32_e32 v2, v2, v5
	v_add_f32_e32 v1, 0, v1
	v_fma_f32 v3, v132, v12, -v3
	v_fmac_f32_e32 v160, v135, v14
	s_wait_loadcnt_dscnt 0x302
	v_dual_mul_f32 v164, v142, v111 :: v_dual_mul_f32 v165, v144, v113
	v_dual_add_f32 v1, v1, v22 :: v_dual_add_f32 v2, v2, v4
	v_mul_f32_e32 v4, v137, v17
	s_wait_loadcnt_dscnt 0x100
	v_dual_mul_f32 v168, v150, v119 :: v_dual_mul_f32 v169, v152, v121
	s_delay_alu instid0(VALU_DEP_3) | instskip(NEXT) | instid1(VALU_DEP_3)
	v_dual_add_f32 v1, v1, v156 :: v_dual_add_f32 v2, v2, v3
	v_fma_f32 v4, v136, v16, -v4
	v_mul_f32_e32 v5, v135, v15
	v_dual_mul_f32 v166, v146, v115 :: v_dual_mul_f32 v167, v148, v117
	s_delay_alu instid0(VALU_DEP_4) | instskip(SKIP_1) | instid1(VALU_DEP_4)
	v_add_f32_e32 v1, v1, v157
	v_fmac_f32_e32 v169, v153, v120
	v_fma_f32 v5, v134, v14, -v5
	v_dual_fmac_f32 v159, v133, v12 :: v_dual_fmac_f32 v164, v143, v110
	s_delay_alu instid0(VALU_DEP_4) | instskip(NEXT) | instid1(VALU_DEP_3)
	v_add_f32_e32 v1, v1, v158
	v_dual_fmac_f32 v167, v149, v116 :: v_dual_add_f32 v2, v2, v5
	v_fmac_f32_e32 v166, v147, v114
	v_fmac_f32_e32 v168, v151, v118
	s_delay_alu instid0(VALU_DEP_3) | instskip(SKIP_2) | instid1(VALU_DEP_2)
	v_add_f32_e32 v2, v2, v4
	v_mul_f32_e32 v4, v143, v111
	v_add_f32_e32 v1, v1, v159
	v_fma_f32 v4, v142, v110, -v4
	v_mul_f32_e32 v5, v141, v21
	s_delay_alu instid0(VALU_DEP_3) | instskip(NEXT) | instid1(VALU_DEP_2)
	v_add_f32_e32 v1, v1, v160
	v_fma_f32 v5, v140, v20, -v5
	v_mul_f32_e32 v3, v139, v19
	s_delay_alu instid0(VALU_DEP_1) | instskip(NEXT) | instid1(VALU_DEP_1)
	v_fma_f32 v3, v138, v18, -v3
	v_dual_fmac_f32 v161, v137, v16 :: v_dual_add_f32 v2, v2, v3
	v_mul_f32_e32 v3, v145, v113
	s_delay_alu instid0(VALU_DEP_2) | instskip(NEXT) | instid1(VALU_DEP_2)
	v_dual_add_f32 v2, v2, v5 :: v_dual_mul_f32 v5, v147, v115
	v_fma_f32 v3, v144, v112, -v3
	s_delay_alu instid0(VALU_DEP_2) | instskip(SKIP_1) | instid1(VALU_DEP_4)
	v_dual_add_f32 v2, v2, v4 :: v_dual_add_f32 v1, v1, v161
	v_mul_f32_e32 v4, v149, v117
	v_fma_f32 v5, v146, v114, -v5
	s_delay_alu instid0(VALU_DEP_3) | instskip(SKIP_1) | instid1(VALU_DEP_4)
	v_dual_add_f32 v2, v2, v3 :: v_dual_fmac_f32 v163, v141, v20
	v_mul_f32_e32 v3, v151, v119
	v_fma_f32 v4, v148, v116, -v4
	s_delay_alu instid0(VALU_DEP_3) | instskip(SKIP_1) | instid1(VALU_DEP_4)
	v_dual_add_f32 v2, v2, v5 :: v_dual_add_f32 v1, v1, v162
	v_mul_f32_e32 v5, v153, v121
	v_fma_f32 v3, v150, v118, -v3
	s_delay_alu instid0(VALU_DEP_3) | instskip(SKIP_1) | instid1(VALU_DEP_4)
	v_add_f32_e32 v2, v2, v4
	v_fmac_f32_e32 v165, v145, v112
	v_fma_f32 v4, v152, v120, -v5
	s_delay_alu instid0(VALU_DEP_3) | instskip(NEXT) | instid1(VALU_DEP_1)
	v_add_f32_e32 v2, v2, v3
	v_dual_add_f32 v1, v1, v163 :: v_dual_add_f32 v2, v2, v4
	s_delay_alu instid0(VALU_DEP_1) | instskip(NEXT) | instid1(VALU_DEP_1)
	v_add_f32_e32 v1, v1, v164
	v_add_f32_e32 v1, v1, v165
	s_delay_alu instid0(VALU_DEP_1) | instskip(NEXT) | instid1(VALU_DEP_1)
	v_add_f32_e32 v1, v1, v166
	v_add_f32_e32 v1, v1, v167
	;; [unrolled: 3-line block ×3, first 2 shown]
	s_wait_loadcnt 0x0
	s_delay_alu instid0(VALU_DEP_1)
	v_dual_sub_f32 v1, v154, v2 :: v_dual_sub_f32 v2, v155, v3
	scratch_store_b64 off, v[1:2], off offset:208
	v_cmpx_lt_u32_e32 25, v0
	s_cbranch_execz .LBB106_221
; %bb.220:
	scratch_load_b64 v[1:2], off, off offset:200
	v_mov_b32_e32 v3, 0
	s_delay_alu instid0(VALU_DEP_1)
	v_mov_b32_e32 v4, v3
	scratch_store_b64 off, v[3:4], off offset:200
	s_wait_loadcnt 0x0
	ds_store_b64 v23, v[1:2]
.LBB106_221:
	s_wait_alu 0xfffe
	s_or_b32 exec_lo, exec_lo, s0
	s_wait_storecnt_dscnt 0x0
	s_barrier_signal -1
	s_barrier_wait -1
	global_inv scope:SCOPE_SE
	s_clause 0x9
	scratch_load_b128 v[2:5], off, off offset:208
	scratch_load_b128 v[6:9], off, off offset:224
	scratch_load_b128 v[10:13], off, off offset:240
	scratch_load_b128 v[14:17], off, off offset:256
	scratch_load_b128 v[18:21], off, off offset:272
	scratch_load_b128 v[110:113], off, off offset:288
	scratch_load_b128 v[114:117], off, off offset:304
	scratch_load_b128 v[118:121], off, off offset:320
	scratch_load_b64 v[154:155], off, off offset:336
	scratch_load_b64 v[156:157], off, off offset:200
	v_mov_b32_e32 v1, 0
	ds_load_b128 v[122:125], v1 offset:560
	ds_load_b128 v[126:129], v1 offset:576
	;; [unrolled: 1-line block ×8, first 2 shown]
	ds_load_b64 v[158:159], v1 offset:688
	s_mov_b32 s0, exec_lo
	s_wait_loadcnt_dscnt 0x908
	v_mul_f32_e32 v22, v122, v3
	s_wait_loadcnt_dscnt 0x807
	v_dual_mul_f32 v160, v124, v5 :: v_dual_mul_f32 v161, v126, v7
	v_mul_f32_e32 v3, v123, v3
	s_delay_alu instid0(VALU_DEP_3)
	v_dual_mul_f32 v5, v125, v5 :: v_dual_fmac_f32 v22, v123, v2
	s_wait_loadcnt_dscnt 0x302
	v_mul_f32_e32 v172, v148, v117
	v_dual_mul_f32 v162, v128, v9 :: v_dual_mul_f32 v163, v130, v11
	s_wait_loadcnt_dscnt 0x100
	v_mul_f32_e32 v175, v158, v155
	v_fma_f32 v3, v122, v2, -v3
	v_mul_f32_e32 v2, v127, v7
	v_fmac_f32_e32 v160, v125, v4
	v_fma_f32 v4, v124, v4, -v5
	v_dual_add_f32 v5, 0, v22 :: v_dual_fmac_f32 v162, v129, v8
	v_add_f32_e32 v3, 0, v3
	v_fmac_f32_e32 v161, v127, v6
	v_fma_f32 v2, v126, v6, -v2
	v_dual_mul_f32 v164, v132, v13 :: v_dual_mul_f32 v165, v134, v15
	s_delay_alu instid0(VALU_DEP_4) | instskip(SKIP_2) | instid1(VALU_DEP_4)
	v_add_f32_e32 v3, v3, v4
	v_mul_f32_e32 v7, v129, v9
	v_dual_add_f32 v4, v5, v160 :: v_dual_fmac_f32 v163, v131, v10
	v_fmac_f32_e32 v164, v133, v12
	s_delay_alu instid0(VALU_DEP_4) | instskip(NEXT) | instid1(VALU_DEP_4)
	v_add_f32_e32 v2, v3, v2
	v_fma_f32 v6, v128, v8, -v7
	v_mul_f32_e32 v5, v131, v11
	v_add_f32_e32 v3, v4, v161
	v_mul_f32_e32 v4, v133, v13
	v_dual_mul_f32 v166, v136, v17 :: v_dual_mul_f32 v167, v138, v19
	v_add_f32_e32 v2, v2, v6
	v_fma_f32 v5, v130, v10, -v5
	v_mul_f32_e32 v6, v135, v15
	v_add_f32_e32 v3, v3, v162
	v_fma_f32 v4, v132, v12, -v4
	v_dual_fmac_f32 v165, v135, v14 :: v_dual_fmac_f32 v166, v137, v16
	s_delay_alu instid0(VALU_DEP_3) | instskip(SKIP_3) | instid1(VALU_DEP_4)
	v_dual_add_f32 v2, v2, v5 :: v_dual_add_f32 v3, v3, v163
	v_mul_f32_e32 v5, v137, v17
	v_fma_f32 v6, v134, v14, -v6
	v_dual_mul_f32 v168, v140, v21 :: v_dual_mul_f32 v169, v142, v111
	v_add_f32_e32 v2, v2, v4
	v_add_f32_e32 v3, v3, v164
	v_mul_f32_e32 v4, v139, v19
	v_fma_f32 v5, v136, v16, -v5
	v_fmac_f32_e32 v167, v139, v18
	s_delay_alu instid0(VALU_DEP_4) | instskip(SKIP_3) | instid1(VALU_DEP_4)
	v_dual_add_f32 v2, v2, v6 :: v_dual_add_f32 v3, v3, v165
	v_fmac_f32_e32 v168, v141, v20
	v_mul_f32_e32 v6, v141, v21
	v_fma_f32 v4, v138, v18, -v4
	v_dual_add_f32 v2, v2, v5 :: v_dual_add_f32 v3, v3, v166
	v_mul_f32_e32 v5, v143, v111
	s_delay_alu instid0(VALU_DEP_4) | instskip(SKIP_1) | instid1(VALU_DEP_4)
	v_fma_f32 v6, v140, v20, -v6
	v_dual_mul_f32 v170, v144, v113 :: v_dual_mul_f32 v171, v146, v115
	v_dual_add_f32 v2, v2, v4 :: v_dual_add_f32 v3, v3, v167
	v_dual_mul_f32 v4, v145, v113 :: v_dual_fmac_f32 v169, v143, v110
	s_delay_alu instid0(VALU_DEP_3) | instskip(SKIP_1) | instid1(VALU_DEP_4)
	v_fmac_f32_e32 v170, v145, v112
	v_fma_f32 v5, v142, v110, -v5
	v_dual_add_f32 v2, v2, v6 :: v_dual_add_f32 v3, v3, v168
	v_mul_f32_e32 v6, v147, v115
	v_fma_f32 v4, v144, v112, -v4
	s_delay_alu instid0(VALU_DEP_3) | instskip(NEXT) | instid1(VALU_DEP_4)
	v_dual_fmac_f32 v171, v147, v114 :: v_dual_add_f32 v2, v2, v5
	v_add_f32_e32 v3, v3, v169
	v_mul_f32_e32 v5, v149, v117
	v_fma_f32 v6, v146, v114, -v6
	v_dual_mul_f32 v173, v150, v119 :: v_dual_mul_f32 v174, v152, v121
	s_delay_alu instid0(VALU_DEP_4) | instskip(SKIP_3) | instid1(VALU_DEP_4)
	v_dual_add_f32 v2, v2, v4 :: v_dual_add_f32 v3, v3, v170
	v_fmac_f32_e32 v172, v149, v116
	v_mul_f32_e32 v4, v151, v119
	v_fma_f32 v5, v148, v116, -v5
	v_dual_add_f32 v2, v2, v6 :: v_dual_add_f32 v3, v3, v171
	v_dual_mul_f32 v6, v153, v121 :: v_dual_fmac_f32 v173, v151, v118
	s_delay_alu instid0(VALU_DEP_4) | instskip(NEXT) | instid1(VALU_DEP_3)
	v_fma_f32 v4, v150, v118, -v4
	v_dual_add_f32 v2, v2, v5 :: v_dual_add_f32 v3, v3, v172
	v_dual_mul_f32 v5, v159, v155 :: v_dual_fmac_f32 v174, v153, v120
	s_delay_alu instid0(VALU_DEP_4) | instskip(NEXT) | instid1(VALU_DEP_3)
	v_fma_f32 v6, v152, v120, -v6
	v_dual_add_f32 v2, v2, v4 :: v_dual_add_f32 v3, v3, v173
	s_delay_alu instid0(VALU_DEP_3) | instskip(NEXT) | instid1(VALU_DEP_2)
	v_fma_f32 v4, v158, v154, -v5
	v_add_f32_e32 v3, v3, v174
	s_delay_alu instid0(VALU_DEP_3) | instskip(NEXT) | instid1(VALU_DEP_1)
	v_add_f32_e32 v2, v2, v6
	v_dual_fmac_f32 v175, v159, v154 :: v_dual_add_f32 v2, v2, v4
	s_wait_loadcnt 0x0
	s_delay_alu instid0(VALU_DEP_1) | instskip(NEXT) | instid1(VALU_DEP_1)
	v_dual_add_f32 v3, v3, v175 :: v_dual_sub_f32 v2, v156, v2
	v_sub_f32_e32 v3, v157, v3
	scratch_store_b64 off, v[2:3], off offset:200
	v_cmpx_lt_u32_e32 24, v0
	s_cbranch_execz .LBB106_223
; %bb.222:
	scratch_load_b64 v[3:4], off, off offset:192
	v_mov_b32_e32 v2, v1
	scratch_store_b64 off, v[1:2], off offset:192
	s_wait_loadcnt 0x0
	ds_store_b64 v23, v[3:4]
.LBB106_223:
	s_wait_alu 0xfffe
	s_or_b32 exec_lo, exec_lo, s0
	s_wait_storecnt_dscnt 0x0
	s_barrier_signal -1
	s_barrier_wait -1
	global_inv scope:SCOPE_SE
	s_clause 0x9
	scratch_load_b128 v[2:5], off, off offset:200
	scratch_load_b128 v[6:9], off, off offset:216
	;; [unrolled: 1-line block ×9, first 2 shown]
	scratch_load_b64 v[162:163], off, off offset:192
	ds_load_2addr_b64 v[126:129], v1 offset0:69 offset1:70
	ds_load_2addr_b64 v[130:133], v1 offset0:71 offset1:72
	;; [unrolled: 1-line block ×9, first 2 shown]
	s_mov_b32 s0, exec_lo
	s_wait_loadcnt_dscnt 0x908
	v_dual_mul_f32 v1, v126, v3 :: v_dual_mul_f32 v22, v128, v5
	v_mul_f32_e32 v3, v127, v3
	s_wait_loadcnt_dscnt 0x807
	v_dual_mul_f32 v5, v129, v5 :: v_dual_mul_f32 v164, v130, v7
	s_delay_alu instid0(VALU_DEP_3) | instskip(NEXT) | instid1(VALU_DEP_3)
	v_dual_mul_f32 v165, v132, v9 :: v_dual_fmac_f32 v22, v129, v4
	v_fma_f32 v3, v126, v2, -v3
	v_fmac_f32_e32 v1, v127, v2
	v_mul_f32_e32 v2, v131, v7
	v_fma_f32 v4, v128, v4, -v5
	s_delay_alu instid0(VALU_DEP_4)
	v_dual_fmac_f32 v164, v131, v6 :: v_dual_add_f32 v3, 0, v3
	s_wait_loadcnt_dscnt 0x504
	v_dual_mul_f32 v170, v142, v19 :: v_dual_mul_f32 v171, v144, v21
	v_fma_f32 v2, v130, v6, -v2
	v_dual_mul_f32 v166, v134, v11 :: v_dual_mul_f32 v167, v136, v13
	v_add_f32_e32 v3, v3, v4
	v_dual_mul_f32 v5, v133, v9 :: v_dual_mul_f32 v168, v138, v15
	v_dual_mul_f32 v169, v140, v17 :: v_dual_mul_f32 v4, v135, v11
	s_delay_alu instid0(VALU_DEP_3) | instskip(NEXT) | instid1(VALU_DEP_3)
	v_add_f32_e32 v2, v3, v2
	v_fma_f32 v5, v132, v8, -v5
	v_dual_mul_f32 v3, v137, v13 :: v_dual_fmac_f32 v170, v143, v18
	s_delay_alu instid0(VALU_DEP_4) | instskip(SKIP_1) | instid1(VALU_DEP_4)
	v_fma_f32 v4, v134, v10, -v4
	v_dual_fmac_f32 v165, v133, v8 :: v_dual_fmac_f32 v166, v135, v10
	v_add_f32_e32 v2, v2, v5
	v_add_f32_e32 v1, 0, v1
	v_fma_f32 v3, v136, v12, -v3
	v_fmac_f32_e32 v168, v139, v14
	s_wait_loadcnt_dscnt 0x403
	v_dual_mul_f32 v172, v146, v111 :: v_dual_mul_f32 v173, v148, v113
	v_dual_add_f32 v1, v1, v22 :: v_dual_add_f32 v2, v2, v4
	v_mul_f32_e32 v4, v141, v17
	s_wait_loadcnt_dscnt 0x201
	v_dual_mul_f32 v176, v154, v119 :: v_dual_mul_f32 v177, v156, v121
	s_delay_alu instid0(VALU_DEP_3) | instskip(NEXT) | instid1(VALU_DEP_3)
	v_dual_add_f32 v1, v1, v164 :: v_dual_add_f32 v2, v2, v3
	v_fma_f32 v4, v140, v16, -v4
	v_mul_f32_e32 v5, v139, v15
	v_dual_mul_f32 v174, v150, v115 :: v_dual_mul_f32 v175, v152, v117
	s_wait_loadcnt_dscnt 0x100
	v_dual_add_f32 v1, v1, v165 :: v_dual_mul_f32 v178, v158, v123
	v_mul_f32_e32 v179, v160, v125
	v_fma_f32 v5, v138, v14, -v5
	v_fmac_f32_e32 v167, v137, v12
	s_delay_alu instid0(VALU_DEP_4) | instskip(SKIP_1) | instid1(VALU_DEP_4)
	v_add_f32_e32 v1, v1, v166
	v_dual_fmac_f32 v172, v147, v110 :: v_dual_fmac_f32 v173, v149, v112
	v_add_f32_e32 v2, v2, v5
	v_dual_fmac_f32 v174, v151, v114 :: v_dual_fmac_f32 v177, v157, v120
	v_dual_fmac_f32 v179, v161, v124 :: v_dual_fmac_f32 v176, v155, v118
	s_delay_alu instid0(VALU_DEP_3) | instskip(SKIP_2) | instid1(VALU_DEP_2)
	v_add_f32_e32 v2, v2, v4
	v_mul_f32_e32 v4, v147, v111
	v_dual_add_f32 v1, v1, v167 :: v_dual_fmac_f32 v178, v159, v122
	v_fma_f32 v4, v146, v110, -v4
	v_mul_f32_e32 v5, v145, v21
	s_delay_alu instid0(VALU_DEP_3) | instskip(NEXT) | instid1(VALU_DEP_2)
	v_add_f32_e32 v1, v1, v168
	v_fma_f32 v5, v144, v20, -v5
	v_mul_f32_e32 v3, v143, v19
	s_delay_alu instid0(VALU_DEP_1) | instskip(NEXT) | instid1(VALU_DEP_1)
	v_fma_f32 v3, v142, v18, -v3
	v_dual_fmac_f32 v169, v141, v16 :: v_dual_add_f32 v2, v2, v3
	v_mul_f32_e32 v3, v149, v113
	s_delay_alu instid0(VALU_DEP_2) | instskip(NEXT) | instid1(VALU_DEP_2)
	v_dual_add_f32 v2, v2, v5 :: v_dual_mul_f32 v5, v151, v115
	v_fma_f32 v3, v148, v112, -v3
	s_delay_alu instid0(VALU_DEP_2) | instskip(SKIP_1) | instid1(VALU_DEP_4)
	v_dual_add_f32 v2, v2, v4 :: v_dual_add_f32 v1, v1, v169
	v_mul_f32_e32 v4, v153, v117
	v_fma_f32 v5, v150, v114, -v5
	s_delay_alu instid0(VALU_DEP_3) | instskip(NEXT) | instid1(VALU_DEP_3)
	v_dual_add_f32 v2, v2, v3 :: v_dual_fmac_f32 v171, v145, v20
	v_fma_f32 v4, v152, v116, -v4
	s_delay_alu instid0(VALU_DEP_2) | instskip(SKIP_1) | instid1(VALU_DEP_2)
	v_add_f32_e32 v2, v2, v5
	v_mul_f32_e32 v5, v157, v121
	v_dual_add_f32 v1, v1, v170 :: v_dual_add_f32 v2, v2, v4
	s_delay_alu instid0(VALU_DEP_2) | instskip(SKIP_1) | instid1(VALU_DEP_3)
	v_fma_f32 v5, v156, v120, -v5
	v_mul_f32_e32 v3, v155, v119
	v_add_f32_e32 v1, v1, v171
	v_mul_f32_e32 v4, v159, v123
	s_delay_alu instid0(VALU_DEP_3) | instskip(NEXT) | instid1(VALU_DEP_3)
	v_fma_f32 v3, v154, v118, -v3
	v_add_f32_e32 v1, v1, v172
	s_delay_alu instid0(VALU_DEP_3) | instskip(NEXT) | instid1(VALU_DEP_3)
	v_fma_f32 v4, v158, v122, -v4
	v_dual_add_f32 v2, v2, v3 :: v_dual_mul_f32 v3, v161, v125
	s_delay_alu instid0(VALU_DEP_1) | instskip(NEXT) | instid1(VALU_DEP_4)
	v_add_f32_e32 v2, v2, v5
	v_add_f32_e32 v1, v1, v173
	s_delay_alu instid0(VALU_DEP_3) | instskip(NEXT) | instid1(VALU_DEP_3)
	v_fma_f32 v3, v160, v124, -v3
	v_add_f32_e32 v2, v2, v4
	v_fmac_f32_e32 v175, v153, v116
	s_delay_alu instid0(VALU_DEP_2) | instskip(NEXT) | instid1(VALU_DEP_1)
	v_dual_add_f32 v1, v1, v174 :: v_dual_add_f32 v2, v2, v3
	v_add_f32_e32 v1, v1, v175
	s_delay_alu instid0(VALU_DEP_1) | instskip(NEXT) | instid1(VALU_DEP_1)
	v_add_f32_e32 v1, v1, v176
	v_add_f32_e32 v1, v1, v177
	s_delay_alu instid0(VALU_DEP_1) | instskip(NEXT) | instid1(VALU_DEP_1)
	v_add_f32_e32 v1, v1, v178
	v_add_f32_e32 v3, v1, v179
	s_wait_loadcnt 0x0
	s_delay_alu instid0(VALU_DEP_1)
	v_dual_sub_f32 v1, v162, v2 :: v_dual_sub_f32 v2, v163, v3
	scratch_store_b64 off, v[1:2], off offset:192
	v_cmpx_lt_u32_e32 23, v0
	s_cbranch_execz .LBB106_225
; %bb.224:
	scratch_load_b64 v[1:2], off, off offset:184
	v_mov_b32_e32 v3, 0
	s_delay_alu instid0(VALU_DEP_1)
	v_mov_b32_e32 v4, v3
	scratch_store_b64 off, v[3:4], off offset:184
	s_wait_loadcnt 0x0
	ds_store_b64 v23, v[1:2]
.LBB106_225:
	s_wait_alu 0xfffe
	s_or_b32 exec_lo, exec_lo, s0
	s_wait_storecnt_dscnt 0x0
	s_barrier_signal -1
	s_barrier_wait -1
	global_inv scope:SCOPE_SE
	s_clause 0xa
	scratch_load_b128 v[2:5], off, off offset:192
	scratch_load_b128 v[6:9], off, off offset:208
	;; [unrolled: 1-line block ×9, first 2 shown]
	scratch_load_b64 v[162:163], off, off offset:336
	scratch_load_b64 v[164:165], off, off offset:184
	v_mov_b32_e32 v1, 0
	ds_load_b128 v[126:129], v1 offset:544
	ds_load_b128 v[130:133], v1 offset:560
	;; [unrolled: 1-line block ×9, first 2 shown]
	ds_load_b64 v[166:167], v1 offset:688
	s_mov_b32 s0, exec_lo
	s_wait_loadcnt_dscnt 0xa09
	v_mul_f32_e32 v22, v126, v3
	s_wait_loadcnt_dscnt 0x908
	v_dual_mul_f32 v168, v128, v5 :: v_dual_mul_f32 v169, v130, v7
	v_mul_f32_e32 v3, v127, v3
	s_delay_alu instid0(VALU_DEP_3)
	v_dual_mul_f32 v5, v129, v5 :: v_dual_fmac_f32 v22, v127, v2
	s_wait_loadcnt_dscnt 0x807
	v_dual_mul_f32 v170, v132, v9 :: v_dual_mul_f32 v171, v134, v11
	s_wait_loadcnt_dscnt 0x100
	v_dual_mul_f32 v182, v156, v121 :: v_dual_mul_f32 v185, v166, v163
	v_fma_f32 v3, v126, v2, -v3
	v_mul_f32_e32 v2, v131, v7
	v_fmac_f32_e32 v168, v129, v4
	v_fma_f32 v4, v128, v4, -v5
	v_dual_add_f32 v5, 0, v22 :: v_dual_fmac_f32 v170, v133, v8
	v_add_f32_e32 v3, 0, v3
	v_fmac_f32_e32 v169, v131, v6
	v_fma_f32 v2, v130, v6, -v2
	v_dual_mul_f32 v172, v136, v13 :: v_dual_mul_f32 v173, v138, v15
	s_delay_alu instid0(VALU_DEP_4) | instskip(SKIP_2) | instid1(VALU_DEP_4)
	v_add_f32_e32 v3, v3, v4
	v_mul_f32_e32 v7, v133, v9
	v_dual_add_f32 v4, v5, v168 :: v_dual_fmac_f32 v171, v135, v10
	v_fmac_f32_e32 v172, v137, v12
	s_delay_alu instid0(VALU_DEP_4) | instskip(NEXT) | instid1(VALU_DEP_4)
	v_add_f32_e32 v2, v3, v2
	v_fma_f32 v6, v132, v8, -v7
	v_mul_f32_e32 v5, v135, v11
	v_add_f32_e32 v3, v4, v169
	v_mul_f32_e32 v4, v137, v13
	v_dual_mul_f32 v174, v140, v17 :: v_dual_mul_f32 v175, v142, v19
	v_add_f32_e32 v2, v2, v6
	v_fma_f32 v5, v134, v10, -v5
	v_mul_f32_e32 v6, v139, v15
	v_add_f32_e32 v3, v3, v170
	v_fma_f32 v4, v136, v12, -v4
	v_dual_fmac_f32 v173, v139, v14 :: v_dual_fmac_f32 v174, v141, v16
	s_delay_alu instid0(VALU_DEP_3) | instskip(SKIP_3) | instid1(VALU_DEP_4)
	v_dual_add_f32 v2, v2, v5 :: v_dual_add_f32 v3, v3, v171
	v_mul_f32_e32 v5, v141, v17
	v_fma_f32 v6, v138, v14, -v6
	v_dual_mul_f32 v176, v144, v21 :: v_dual_mul_f32 v177, v146, v111
	v_add_f32_e32 v2, v2, v4
	v_add_f32_e32 v3, v3, v172
	v_mul_f32_e32 v4, v143, v19
	v_fma_f32 v5, v140, v16, -v5
	v_fmac_f32_e32 v175, v143, v18
	s_delay_alu instid0(VALU_DEP_4) | instskip(SKIP_3) | instid1(VALU_DEP_4)
	v_dual_add_f32 v2, v2, v6 :: v_dual_add_f32 v3, v3, v173
	v_fmac_f32_e32 v176, v145, v20
	v_mul_f32_e32 v6, v145, v21
	v_fma_f32 v4, v142, v18, -v4
	v_dual_add_f32 v2, v2, v5 :: v_dual_add_f32 v3, v3, v174
	v_mul_f32_e32 v5, v147, v111
	s_delay_alu instid0(VALU_DEP_4) | instskip(SKIP_1) | instid1(VALU_DEP_4)
	v_fma_f32 v6, v144, v20, -v6
	v_dual_mul_f32 v178, v148, v113 :: v_dual_mul_f32 v179, v150, v115
	v_dual_add_f32 v2, v2, v4 :: v_dual_add_f32 v3, v3, v175
	v_dual_mul_f32 v4, v149, v113 :: v_dual_fmac_f32 v177, v147, v110
	s_delay_alu instid0(VALU_DEP_3) | instskip(SKIP_1) | instid1(VALU_DEP_4)
	v_fmac_f32_e32 v178, v149, v112
	v_fma_f32 v5, v146, v110, -v5
	v_dual_add_f32 v2, v2, v6 :: v_dual_add_f32 v3, v3, v176
	v_mul_f32_e32 v6, v151, v115
	v_fma_f32 v4, v148, v112, -v4
	s_delay_alu instid0(VALU_DEP_3) | instskip(NEXT) | instid1(VALU_DEP_4)
	v_dual_fmac_f32 v179, v151, v114 :: v_dual_add_f32 v2, v2, v5
	v_add_f32_e32 v3, v3, v177
	v_dual_mul_f32 v180, v152, v117 :: v_dual_mul_f32 v181, v154, v119
	v_mul_f32_e32 v5, v153, v117
	v_fma_f32 v6, v150, v114, -v6
	s_delay_alu instid0(VALU_DEP_4) | instskip(NEXT) | instid1(VALU_DEP_4)
	v_dual_add_f32 v2, v2, v4 :: v_dual_add_f32 v3, v3, v178
	v_fmac_f32_e32 v180, v153, v116
	v_mul_f32_e32 v4, v155, v119
	v_fma_f32 v5, v152, v116, -v5
	s_delay_alu instid0(VALU_DEP_4) | instskip(SKIP_1) | instid1(VALU_DEP_4)
	v_dual_add_f32 v2, v2, v6 :: v_dual_add_f32 v3, v3, v179
	v_dual_mul_f32 v6, v157, v121 :: v_dual_fmac_f32 v181, v155, v118
	v_fma_f32 v4, v154, v118, -v4
	s_delay_alu instid0(VALU_DEP_3) | instskip(SKIP_3) | instid1(VALU_DEP_4)
	v_dual_add_f32 v2, v2, v5 :: v_dual_add_f32 v3, v3, v180
	v_dual_mul_f32 v183, v158, v123 :: v_dual_mul_f32 v184, v160, v125
	v_dual_mul_f32 v5, v159, v123 :: v_dual_fmac_f32 v182, v157, v120
	v_fma_f32 v6, v156, v120, -v6
	v_dual_add_f32 v2, v2, v4 :: v_dual_add_f32 v3, v3, v181
	s_delay_alu instid0(VALU_DEP_4) | instskip(NEXT) | instid1(VALU_DEP_4)
	v_dual_mul_f32 v4, v161, v125 :: v_dual_fmac_f32 v183, v159, v122
	v_fma_f32 v5, v158, v122, -v5
	s_delay_alu instid0(VALU_DEP_3) | instskip(NEXT) | instid1(VALU_DEP_4)
	v_dual_fmac_f32 v184, v161, v124 :: v_dual_add_f32 v3, v3, v182
	v_add_f32_e32 v2, v2, v6
	v_mul_f32_e32 v6, v167, v163
	v_fma_f32 v4, v160, v124, -v4
	v_fmac_f32_e32 v185, v167, v162
	s_delay_alu instid0(VALU_DEP_4) | instskip(NEXT) | instid1(VALU_DEP_4)
	v_dual_add_f32 v3, v3, v183 :: v_dual_add_f32 v2, v2, v5
	v_fma_f32 v5, v166, v162, -v6
	s_delay_alu instid0(VALU_DEP_2) | instskip(NEXT) | instid1(VALU_DEP_1)
	v_add_f32_e32 v3, v3, v184
	v_dual_add_f32 v2, v2, v4 :: v_dual_add_f32 v3, v3, v185
	s_wait_loadcnt 0x0
	s_delay_alu instid0(VALU_DEP_1) | instskip(NEXT) | instid1(VALU_DEP_1)
	v_dual_add_f32 v2, v2, v5 :: v_dual_sub_f32 v3, v165, v3
	v_sub_f32_e32 v2, v164, v2
	scratch_store_b64 off, v[2:3], off offset:184
	v_cmpx_lt_u32_e32 22, v0
	s_cbranch_execz .LBB106_227
; %bb.226:
	scratch_load_b64 v[3:4], off, off offset:176
	v_mov_b32_e32 v2, v1
	scratch_store_b64 off, v[1:2], off offset:176
	s_wait_loadcnt 0x0
	ds_store_b64 v23, v[3:4]
.LBB106_227:
	s_wait_alu 0xfffe
	s_or_b32 exec_lo, exec_lo, s0
	s_wait_storecnt_dscnt 0x0
	s_barrier_signal -1
	s_barrier_wait -1
	global_inv scope:SCOPE_SE
	s_clause 0xa
	scratch_load_b128 v[2:5], off, off offset:184
	scratch_load_b128 v[6:9], off, off offset:200
	;; [unrolled: 1-line block ×10, first 2 shown]
	scratch_load_b64 v[170:171], off, off offset:176
	ds_load_2addr_b64 v[130:133], v1 offset0:67 offset1:68
	ds_load_2addr_b64 v[134:137], v1 offset0:69 offset1:70
	;; [unrolled: 1-line block ×10, first 2 shown]
	s_mov_b32 s0, exec_lo
	s_wait_loadcnt_dscnt 0xa09
	v_dual_mul_f32 v1, v130, v3 :: v_dual_mul_f32 v22, v132, v5
	v_mul_f32_e32 v3, v131, v3
	s_wait_loadcnt_dscnt 0x908
	v_dual_mul_f32 v5, v133, v5 :: v_dual_mul_f32 v172, v134, v7
	s_delay_alu instid0(VALU_DEP_3) | instskip(NEXT) | instid1(VALU_DEP_3)
	v_dual_mul_f32 v173, v136, v9 :: v_dual_fmac_f32 v22, v133, v4
	v_fma_f32 v3, v130, v2, -v3
	v_fmac_f32_e32 v1, v131, v2
	v_mul_f32_e32 v2, v135, v7
	v_fma_f32 v4, v132, v4, -v5
	s_delay_alu instid0(VALU_DEP_4)
	v_dual_fmac_f32 v172, v135, v6 :: v_dual_add_f32 v3, 0, v3
	s_wait_loadcnt_dscnt 0x605
	v_dual_mul_f32 v178, v146, v19 :: v_dual_mul_f32 v179, v148, v21
	v_fma_f32 v2, v134, v6, -v2
	v_dual_mul_f32 v174, v138, v11 :: v_dual_mul_f32 v175, v140, v13
	v_add_f32_e32 v3, v3, v4
	v_dual_mul_f32 v5, v137, v9 :: v_dual_mul_f32 v176, v142, v15
	v_dual_mul_f32 v177, v144, v17 :: v_dual_mul_f32 v4, v139, v11
	s_delay_alu instid0(VALU_DEP_3) | instskip(NEXT) | instid1(VALU_DEP_3)
	v_add_f32_e32 v2, v3, v2
	v_fma_f32 v5, v136, v8, -v5
	v_dual_mul_f32 v3, v141, v13 :: v_dual_fmac_f32 v178, v147, v18
	s_delay_alu instid0(VALU_DEP_4) | instskip(SKIP_1) | instid1(VALU_DEP_4)
	v_fma_f32 v4, v138, v10, -v4
	v_dual_fmac_f32 v173, v137, v8 :: v_dual_fmac_f32 v174, v139, v10
	v_add_f32_e32 v2, v2, v5
	v_add_f32_e32 v1, 0, v1
	v_fma_f32 v3, v140, v12, -v3
	v_fmac_f32_e32 v176, v143, v14
	s_wait_loadcnt_dscnt 0x504
	v_dual_mul_f32 v180, v150, v111 :: v_dual_mul_f32 v181, v152, v113
	v_dual_add_f32 v1, v1, v22 :: v_dual_add_f32 v2, v2, v4
	v_mul_f32_e32 v4, v145, v17
	s_wait_loadcnt_dscnt 0x302
	v_dual_mul_f32 v184, v158, v119 :: v_dual_mul_f32 v185, v160, v121
	s_delay_alu instid0(VALU_DEP_3) | instskip(NEXT) | instid1(VALU_DEP_3)
	v_dual_add_f32 v1, v1, v172 :: v_dual_add_f32 v2, v2, v3
	v_fma_f32 v4, v144, v16, -v4
	v_mul_f32_e32 v5, v143, v15
	v_dual_mul_f32 v182, v154, v115 :: v_dual_mul_f32 v183, v156, v117
	s_wait_loadcnt_dscnt 0x201
	v_dual_add_f32 v1, v1, v173 :: v_dual_mul_f32 v186, v162, v123
	v_mul_f32_e32 v187, v164, v125
	v_fma_f32 v5, v142, v14, -v5
	v_fmac_f32_e32 v175, v141, v12
	s_delay_alu instid0(VALU_DEP_4) | instskip(SKIP_1) | instid1(VALU_DEP_4)
	v_add_f32_e32 v1, v1, v174
	v_dual_fmac_f32 v180, v151, v110 :: v_dual_fmac_f32 v181, v153, v112
	v_add_f32_e32 v2, v2, v5
	v_fmac_f32_e32 v182, v155, v114
	s_wait_loadcnt_dscnt 0x100
	v_dual_mul_f32 v188, v166, v127 :: v_dual_mul_f32 v189, v168, v129
	v_fmac_f32_e32 v183, v157, v116
	v_add_f32_e32 v2, v2, v4
	v_mul_f32_e32 v4, v151, v111
	s_delay_alu instid0(VALU_DEP_4) | instskip(SKIP_2) | instid1(VALU_DEP_4)
	v_dual_add_f32 v1, v1, v175 :: v_dual_fmac_f32 v188, v167, v126
	v_fmac_f32_e32 v185, v161, v120
	v_fmac_f32_e32 v187, v165, v124
	v_fma_f32 v4, v150, v110, -v4
	v_mul_f32_e32 v5, v149, v21
	v_add_f32_e32 v1, v1, v176
	v_dual_fmac_f32 v189, v169, v128 :: v_dual_fmac_f32 v184, v159, v118
	v_fmac_f32_e32 v186, v163, v122
	s_delay_alu instid0(VALU_DEP_4) | instskip(SKIP_1) | instid1(VALU_DEP_1)
	v_fma_f32 v5, v148, v20, -v5
	v_mul_f32_e32 v3, v147, v19
	v_fma_f32 v3, v146, v18, -v3
	s_delay_alu instid0(VALU_DEP_1) | instskip(SKIP_1) | instid1(VALU_DEP_2)
	v_dual_fmac_f32 v177, v145, v16 :: v_dual_add_f32 v2, v2, v3
	v_mul_f32_e32 v3, v153, v113
	v_dual_add_f32 v2, v2, v5 :: v_dual_mul_f32 v5, v155, v115
	s_delay_alu instid0(VALU_DEP_2) | instskip(NEXT) | instid1(VALU_DEP_2)
	v_fma_f32 v3, v152, v112, -v3
	v_dual_add_f32 v2, v2, v4 :: v_dual_add_f32 v1, v1, v177
	v_mul_f32_e32 v4, v157, v117
	s_delay_alu instid0(VALU_DEP_4) | instskip(NEXT) | instid1(VALU_DEP_3)
	v_fma_f32 v5, v154, v114, -v5
	v_dual_add_f32 v2, v2, v3 :: v_dual_fmac_f32 v179, v149, v20
	s_delay_alu instid0(VALU_DEP_3) | instskip(NEXT) | instid1(VALU_DEP_2)
	v_fma_f32 v4, v156, v116, -v4
	v_add_f32_e32 v2, v2, v5
	v_mul_f32_e32 v5, v161, v121
	s_delay_alu instid0(VALU_DEP_2) | instskip(NEXT) | instid1(VALU_DEP_2)
	v_dual_add_f32 v1, v1, v178 :: v_dual_add_f32 v2, v2, v4
	v_fma_f32 v5, v160, v120, -v5
	v_mul_f32_e32 v3, v159, v119
	s_delay_alu instid0(VALU_DEP_3) | instskip(SKIP_1) | instid1(VALU_DEP_3)
	v_add_f32_e32 v1, v1, v179
	v_mul_f32_e32 v4, v163, v123
	v_fma_f32 v3, v158, v118, -v3
	s_delay_alu instid0(VALU_DEP_3) | instskip(NEXT) | instid1(VALU_DEP_3)
	v_add_f32_e32 v1, v1, v180
	v_fma_f32 v4, v162, v122, -v4
	s_delay_alu instid0(VALU_DEP_3) | instskip(NEXT) | instid1(VALU_DEP_1)
	v_dual_add_f32 v2, v2, v3 :: v_dual_mul_f32 v3, v165, v125
	v_add_f32_e32 v2, v2, v5
	s_delay_alu instid0(VALU_DEP_4) | instskip(SKIP_1) | instid1(VALU_DEP_4)
	v_add_f32_e32 v1, v1, v181
	v_mul_f32_e32 v5, v167, v127
	v_fma_f32 v3, v164, v124, -v3
	s_delay_alu instid0(VALU_DEP_3) | instskip(SKIP_1) | instid1(VALU_DEP_4)
	v_dual_add_f32 v2, v2, v4 :: v_dual_add_f32 v1, v1, v182
	v_mul_f32_e32 v4, v169, v129
	v_fma_f32 v5, v166, v126, -v5
	s_delay_alu instid0(VALU_DEP_3) | instskip(NEXT) | instid1(VALU_DEP_4)
	v_add_f32_e32 v2, v2, v3
	v_add_f32_e32 v1, v1, v183
	s_delay_alu instid0(VALU_DEP_4) | instskip(NEXT) | instid1(VALU_DEP_2)
	v_fma_f32 v3, v168, v128, -v4
	v_dual_add_f32 v2, v2, v5 :: v_dual_add_f32 v1, v1, v184
	s_delay_alu instid0(VALU_DEP_1) | instskip(NEXT) | instid1(VALU_DEP_1)
	v_dual_add_f32 v2, v2, v3 :: v_dual_add_f32 v1, v1, v185
	v_add_f32_e32 v1, v1, v186
	s_delay_alu instid0(VALU_DEP_1) | instskip(NEXT) | instid1(VALU_DEP_1)
	v_add_f32_e32 v1, v1, v187
	v_add_f32_e32 v1, v1, v188
	s_delay_alu instid0(VALU_DEP_1) | instskip(SKIP_1) | instid1(VALU_DEP_1)
	v_add_f32_e32 v3, v1, v189
	s_wait_loadcnt 0x0
	v_dual_sub_f32 v1, v170, v2 :: v_dual_sub_f32 v2, v171, v3
	scratch_store_b64 off, v[1:2], off offset:176
	v_cmpx_lt_u32_e32 21, v0
	s_cbranch_execz .LBB106_229
; %bb.228:
	scratch_load_b64 v[1:2], off, off offset:168
	v_mov_b32_e32 v3, 0
	s_delay_alu instid0(VALU_DEP_1)
	v_mov_b32_e32 v4, v3
	scratch_store_b64 off, v[3:4], off offset:168
	s_wait_loadcnt 0x0
	ds_store_b64 v23, v[1:2]
.LBB106_229:
	s_wait_alu 0xfffe
	s_or_b32 exec_lo, exec_lo, s0
	s_wait_storecnt_dscnt 0x0
	s_barrier_signal -1
	s_barrier_wait -1
	global_inv scope:SCOPE_SE
	s_clause 0xb
	scratch_load_b128 v[2:5], off, off offset:176
	scratch_load_b128 v[6:9], off, off offset:192
	;; [unrolled: 1-line block ×10, first 2 shown]
	scratch_load_b64 v[170:171], off, off offset:336
	scratch_load_b64 v[172:173], off, off offset:168
	v_mov_b32_e32 v1, 0
	ds_load_b128 v[130:133], v1 offset:528
	ds_load_b128 v[134:137], v1 offset:544
	;; [unrolled: 1-line block ×10, first 2 shown]
	ds_load_b64 v[174:175], v1 offset:688
	s_mov_b32 s0, exec_lo
	s_wait_loadcnt_dscnt 0xb0a
	v_mul_f32_e32 v22, v130, v3
	s_wait_loadcnt_dscnt 0xa09
	v_dual_mul_f32 v176, v132, v5 :: v_dual_mul_f32 v177, v134, v7
	v_mul_f32_e32 v5, v133, v5
	v_dual_mul_f32 v3, v131, v3 :: v_dual_mul_f32 v178, v136, v9
	s_wait_loadcnt_dscnt 0x908
	v_dual_mul_f32 v179, v138, v11 :: v_dual_fmac_f32 v22, v131, v2
	s_wait_loadcnt_dscnt 0x302
	v_mul_f32_e32 v192, v164, v125
	v_fma_f32 v3, v130, v2, -v3
	s_wait_loadcnt_dscnt 0x100
	v_mul_f32_e32 v195, v174, v171
	v_mul_f32_e32 v2, v135, v7
	v_fmac_f32_e32 v176, v133, v4
	v_fma_f32 v4, v132, v4, -v5
	v_add_f32_e32 v3, 0, v3
	v_dual_add_f32 v5, 0, v22 :: v_dual_fmac_f32 v178, v137, v8
	v_fmac_f32_e32 v177, v135, v6
	v_fma_f32 v2, v134, v6, -v2
	s_delay_alu instid0(VALU_DEP_4) | instskip(SKIP_3) | instid1(VALU_DEP_4)
	v_add_f32_e32 v3, v3, v4
	v_mul_f32_e32 v7, v137, v9
	v_add_f32_e32 v4, v5, v176
	v_dual_mul_f32 v180, v140, v13 :: v_dual_mul_f32 v181, v142, v15
	v_add_f32_e32 v2, v3, v2
	s_delay_alu instid0(VALU_DEP_4)
	v_fma_f32 v6, v136, v8, -v7
	v_mul_f32_e32 v5, v139, v11
	v_add_f32_e32 v3, v4, v177
	v_dual_mul_f32 v4, v141, v13 :: v_dual_fmac_f32 v179, v139, v10
	v_fmac_f32_e32 v180, v141, v12
	v_add_f32_e32 v2, v2, v6
	v_fma_f32 v5, v138, v10, -v5
	v_mul_f32_e32 v6, v143, v15
	v_add_f32_e32 v3, v3, v178
	v_fma_f32 v4, v140, v12, -v4
	v_dual_mul_f32 v182, v144, v17 :: v_dual_mul_f32 v183, v146, v19
	s_delay_alu instid0(VALU_DEP_3) | instskip(SKIP_1) | instid1(VALU_DEP_3)
	v_dual_add_f32 v2, v2, v5 :: v_dual_add_f32 v3, v3, v179
	v_mul_f32_e32 v5, v145, v17
	v_dual_fmac_f32 v181, v143, v14 :: v_dual_fmac_f32 v182, v145, v16
	v_fma_f32 v6, v142, v14, -v6
	s_delay_alu instid0(VALU_DEP_4) | instskip(SKIP_4) | instid1(VALU_DEP_4)
	v_add_f32_e32 v2, v2, v4
	v_dual_add_f32 v3, v3, v180 :: v_dual_mul_f32 v184, v148, v21
	v_mul_f32_e32 v185, v150, v111
	v_mul_f32_e32 v4, v147, v19
	v_fma_f32 v5, v144, v16, -v5
	v_dual_add_f32 v2, v2, v6 :: v_dual_add_f32 v3, v3, v181
	v_fmac_f32_e32 v184, v149, v20
	v_dual_mul_f32 v6, v149, v21 :: v_dual_fmac_f32 v183, v147, v18
	v_fma_f32 v4, v146, v18, -v4
	s_delay_alu instid0(VALU_DEP_4) | instskip(SKIP_1) | instid1(VALU_DEP_4)
	v_dual_add_f32 v2, v2, v5 :: v_dual_add_f32 v3, v3, v182
	v_mul_f32_e32 v5, v151, v111
	v_fma_f32 v6, v148, v20, -v6
	v_dual_mul_f32 v186, v152, v113 :: v_dual_mul_f32 v187, v154, v115
	s_delay_alu instid0(VALU_DEP_4) | instskip(SKIP_1) | instid1(VALU_DEP_3)
	v_dual_add_f32 v2, v2, v4 :: v_dual_add_f32 v3, v3, v183
	v_dual_mul_f32 v4, v153, v113 :: v_dual_fmac_f32 v185, v151, v110
	v_fmac_f32_e32 v186, v153, v112
	v_fma_f32 v5, v150, v110, -v5
	s_delay_alu instid0(VALU_DEP_4) | instskip(SKIP_2) | instid1(VALU_DEP_3)
	v_dual_add_f32 v2, v2, v6 :: v_dual_add_f32 v3, v3, v184
	v_mul_f32_e32 v6, v155, v115
	v_fma_f32 v4, v152, v112, -v4
	v_dual_fmac_f32 v187, v155, v114 :: v_dual_add_f32 v2, v2, v5
	s_delay_alu instid0(VALU_DEP_4) | instskip(SKIP_3) | instid1(VALU_DEP_4)
	v_add_f32_e32 v3, v3, v185
	v_dual_mul_f32 v188, v156, v117 :: v_dual_mul_f32 v189, v158, v119
	v_mul_f32_e32 v5, v157, v117
	v_fma_f32 v6, v154, v114, -v6
	v_dual_add_f32 v2, v2, v4 :: v_dual_add_f32 v3, v3, v186
	s_delay_alu instid0(VALU_DEP_4) | instskip(SKIP_2) | instid1(VALU_DEP_4)
	v_fmac_f32_e32 v188, v157, v116
	v_mul_f32_e32 v4, v159, v119
	v_fma_f32 v5, v156, v116, -v5
	v_dual_add_f32 v2, v2, v6 :: v_dual_add_f32 v3, v3, v187
	v_dual_mul_f32 v190, v160, v121 :: v_dual_mul_f32 v191, v162, v123
	v_dual_mul_f32 v6, v161, v121 :: v_dual_fmac_f32 v189, v159, v118
	v_fma_f32 v4, v158, v118, -v4
	s_delay_alu instid0(VALU_DEP_4) | instskip(NEXT) | instid1(VALU_DEP_4)
	v_dual_add_f32 v2, v2, v5 :: v_dual_add_f32 v3, v3, v188
	v_dual_mul_f32 v5, v163, v123 :: v_dual_fmac_f32 v190, v161, v120
	s_delay_alu instid0(VALU_DEP_4) | instskip(NEXT) | instid1(VALU_DEP_3)
	v_fma_f32 v6, v160, v120, -v6
	v_dual_add_f32 v2, v2, v4 :: v_dual_add_f32 v3, v3, v189
	v_dual_mul_f32 v4, v165, v125 :: v_dual_fmac_f32 v191, v163, v122
	s_delay_alu instid0(VALU_DEP_4) | instskip(NEXT) | instid1(VALU_DEP_3)
	v_fma_f32 v5, v162, v122, -v5
	v_dual_fmac_f32 v192, v165, v124 :: v_dual_add_f32 v3, v3, v190
	s_delay_alu instid0(VALU_DEP_4) | instskip(SKIP_3) | instid1(VALU_DEP_4)
	v_add_f32_e32 v2, v2, v6
	v_dual_mul_f32 v193, v166, v127 :: v_dual_mul_f32 v194, v168, v129
	v_mul_f32_e32 v6, v167, v127
	v_fma_f32 v4, v164, v124, -v4
	v_dual_add_f32 v3, v3, v191 :: v_dual_add_f32 v2, v2, v5
	s_delay_alu instid0(VALU_DEP_4) | instskip(SKIP_2) | instid1(VALU_DEP_4)
	v_fmac_f32_e32 v193, v167, v126
	v_mul_f32_e32 v5, v169, v129
	v_fma_f32 v6, v166, v126, -v6
	v_add_f32_e32 v3, v3, v192
	v_add_f32_e32 v2, v2, v4
	v_mul_f32_e32 v4, v175, v171
	v_dual_fmac_f32 v194, v169, v128 :: v_dual_fmac_f32 v195, v175, v170
	v_fma_f32 v5, v168, v128, -v5
	s_delay_alu instid0(VALU_DEP_4) | instskip(NEXT) | instid1(VALU_DEP_4)
	v_dual_add_f32 v3, v3, v193 :: v_dual_add_f32 v2, v2, v6
	v_fma_f32 v4, v174, v170, -v4
	s_delay_alu instid0(VALU_DEP_2) | instskip(NEXT) | instid1(VALU_DEP_1)
	v_dual_add_f32 v3, v3, v194 :: v_dual_add_f32 v2, v2, v5
	v_dual_add_f32 v3, v3, v195 :: v_dual_add_f32 v2, v2, v4
	s_wait_loadcnt 0x0
	s_delay_alu instid0(VALU_DEP_1)
	v_dual_sub_f32 v3, v173, v3 :: v_dual_sub_f32 v2, v172, v2
	scratch_store_b64 off, v[2:3], off offset:168
	v_cmpx_lt_u32_e32 20, v0
	s_cbranch_execz .LBB106_231
; %bb.230:
	scratch_load_b64 v[3:4], off, off offset:160
	v_mov_b32_e32 v2, v1
	scratch_store_b64 off, v[1:2], off offset:160
	s_wait_loadcnt 0x0
	ds_store_b64 v23, v[3:4]
.LBB106_231:
	s_wait_alu 0xfffe
	s_or_b32 exec_lo, exec_lo, s0
	s_wait_storecnt_dscnt 0x0
	s_barrier_signal -1
	s_barrier_wait -1
	global_inv scope:SCOPE_SE
	s_clause 0xb
	scratch_load_b128 v[2:5], off, off offset:168
	scratch_load_b128 v[6:9], off, off offset:184
	;; [unrolled: 1-line block ×11, first 2 shown]
	scratch_load_b64 v[178:179], off, off offset:160
	ds_load_2addr_b64 v[134:137], v1 offset0:65 offset1:66
	ds_load_2addr_b64 v[138:141], v1 offset0:67 offset1:68
	;; [unrolled: 1-line block ×11, first 2 shown]
	s_mov_b32 s0, exec_lo
	s_wait_loadcnt_dscnt 0xb0a
	v_dual_mul_f32 v1, v134, v3 :: v_dual_mul_f32 v22, v136, v5
	v_mul_f32_e32 v3, v135, v3
	s_wait_loadcnt_dscnt 0xa09
	v_dual_mul_f32 v5, v137, v5 :: v_dual_mul_f32 v180, v138, v7
	s_delay_alu instid0(VALU_DEP_3) | instskip(NEXT) | instid1(VALU_DEP_3)
	v_dual_mul_f32 v181, v140, v9 :: v_dual_fmac_f32 v22, v137, v4
	v_fma_f32 v3, v134, v2, -v3
	v_fmac_f32_e32 v1, v135, v2
	v_mul_f32_e32 v2, v139, v7
	v_fma_f32 v4, v136, v4, -v5
	s_delay_alu instid0(VALU_DEP_4)
	v_dual_fmac_f32 v180, v139, v6 :: v_dual_add_f32 v3, 0, v3
	s_wait_loadcnt_dscnt 0x706
	v_dual_mul_f32 v186, v150, v19 :: v_dual_mul_f32 v187, v152, v21
	v_fma_f32 v2, v138, v6, -v2
	v_dual_mul_f32 v182, v142, v11 :: v_dual_mul_f32 v183, v144, v13
	v_add_f32_e32 v3, v3, v4
	v_dual_mul_f32 v5, v141, v9 :: v_dual_mul_f32 v184, v146, v15
	v_dual_mul_f32 v185, v148, v17 :: v_dual_mul_f32 v4, v143, v11
	s_delay_alu instid0(VALU_DEP_3) | instskip(NEXT) | instid1(VALU_DEP_3)
	v_add_f32_e32 v2, v3, v2
	v_fma_f32 v5, v140, v8, -v5
	v_dual_mul_f32 v3, v145, v13 :: v_dual_fmac_f32 v186, v151, v18
	s_delay_alu instid0(VALU_DEP_4) | instskip(SKIP_1) | instid1(VALU_DEP_4)
	v_fma_f32 v4, v142, v10, -v4
	v_dual_fmac_f32 v181, v141, v8 :: v_dual_fmac_f32 v182, v143, v10
	v_add_f32_e32 v2, v2, v5
	v_add_f32_e32 v1, 0, v1
	v_fma_f32 v3, v144, v12, -v3
	v_fmac_f32_e32 v184, v147, v14
	s_wait_loadcnt_dscnt 0x605
	v_dual_mul_f32 v188, v154, v111 :: v_dual_mul_f32 v189, v156, v113
	v_dual_add_f32 v1, v1, v22 :: v_dual_add_f32 v2, v2, v4
	v_mul_f32_e32 v4, v149, v17
	s_wait_loadcnt_dscnt 0x403
	v_dual_mul_f32 v192, v162, v119 :: v_dual_mul_f32 v193, v164, v121
	s_delay_alu instid0(VALU_DEP_3) | instskip(NEXT) | instid1(VALU_DEP_3)
	v_dual_add_f32 v1, v1, v180 :: v_dual_add_f32 v2, v2, v3
	v_fma_f32 v4, v148, v16, -v4
	v_mul_f32_e32 v5, v147, v15
	v_dual_mul_f32 v190, v158, v115 :: v_dual_mul_f32 v191, v160, v117
	s_wait_loadcnt_dscnt 0x100
	v_dual_add_f32 v1, v1, v181 :: v_dual_mul_f32 v198, v174, v131
	v_mul_f32_e32 v199, v176, v133
	v_fma_f32 v5, v146, v14, -v5
	v_fmac_f32_e32 v183, v145, v12
	s_delay_alu instid0(VALU_DEP_4)
	v_add_f32_e32 v1, v1, v182
	v_fmac_f32_e32 v188, v155, v110
	v_dual_mul_f32 v194, v166, v123 :: v_dual_mul_f32 v195, v168, v125
	v_add_f32_e32 v2, v2, v5
	v_dual_fmac_f32 v190, v159, v114 :: v_dual_fmac_f32 v189, v157, v112
	v_dual_mul_f32 v196, v170, v127 :: v_dual_mul_f32 v197, v172, v129
	s_delay_alu instid0(VALU_DEP_3) | instskip(SKIP_2) | instid1(VALU_DEP_4)
	v_add_f32_e32 v2, v2, v4
	v_mul_f32_e32 v4, v155, v111
	v_add_f32_e32 v1, v1, v183
	v_dual_fmac_f32 v191, v161, v116 :: v_dual_fmac_f32 v196, v171, v126
	v_fmac_f32_e32 v195, v169, v124
	s_delay_alu instid0(VALU_DEP_4) | instskip(SKIP_4) | instid1(VALU_DEP_4)
	v_fma_f32 v4, v154, v110, -v4
	v_mul_f32_e32 v5, v153, v21
	v_add_f32_e32 v1, v1, v184
	v_dual_fmac_f32 v197, v173, v128 :: v_dual_fmac_f32 v192, v163, v118
	v_fmac_f32_e32 v199, v177, v132
	v_fma_f32 v5, v152, v20, -v5
	v_mul_f32_e32 v3, v151, v19
	v_fmac_f32_e32 v198, v175, v130
	v_fmac_f32_e32 v194, v167, v122
	s_delay_alu instid0(VALU_DEP_3) | instskip(NEXT) | instid1(VALU_DEP_1)
	v_fma_f32 v3, v150, v18, -v3
	v_dual_fmac_f32 v185, v149, v16 :: v_dual_add_f32 v2, v2, v3
	v_mul_f32_e32 v3, v157, v113
	s_delay_alu instid0(VALU_DEP_2) | instskip(NEXT) | instid1(VALU_DEP_2)
	v_dual_add_f32 v2, v2, v5 :: v_dual_mul_f32 v5, v159, v115
	v_fma_f32 v3, v156, v112, -v3
	s_delay_alu instid0(VALU_DEP_2) | instskip(SKIP_1) | instid1(VALU_DEP_4)
	v_dual_add_f32 v2, v2, v4 :: v_dual_add_f32 v1, v1, v185
	v_mul_f32_e32 v4, v161, v117
	v_fma_f32 v5, v158, v114, -v5
	s_delay_alu instid0(VALU_DEP_3) | instskip(NEXT) | instid1(VALU_DEP_3)
	v_dual_add_f32 v2, v2, v3 :: v_dual_fmac_f32 v187, v153, v20
	v_fma_f32 v4, v160, v116, -v4
	s_delay_alu instid0(VALU_DEP_2) | instskip(SKIP_1) | instid1(VALU_DEP_2)
	v_add_f32_e32 v2, v2, v5
	v_mul_f32_e32 v5, v165, v121
	v_dual_add_f32 v1, v1, v186 :: v_dual_add_f32 v2, v2, v4
	s_delay_alu instid0(VALU_DEP_2) | instskip(SKIP_1) | instid1(VALU_DEP_3)
	v_fma_f32 v5, v164, v120, -v5
	v_mul_f32_e32 v3, v163, v119
	v_add_f32_e32 v1, v1, v187
	v_mul_f32_e32 v4, v167, v123
	s_delay_alu instid0(VALU_DEP_3) | instskip(NEXT) | instid1(VALU_DEP_3)
	v_fma_f32 v3, v162, v118, -v3
	v_add_f32_e32 v1, v1, v188
	s_delay_alu instid0(VALU_DEP_3) | instskip(NEXT) | instid1(VALU_DEP_3)
	v_fma_f32 v4, v166, v122, -v4
	v_add_f32_e32 v2, v2, v3
	s_delay_alu instid0(VALU_DEP_1) | instskip(NEXT) | instid1(VALU_DEP_4)
	v_add_f32_e32 v2, v2, v5
	v_add_f32_e32 v1, v1, v189
	s_delay_alu instid0(VALU_DEP_2) | instskip(SKIP_1) | instid1(VALU_DEP_2)
	v_dual_mul_f32 v5, v171, v127 :: v_dual_add_f32 v2, v2, v4
	v_mul_f32_e32 v4, v173, v129
	v_fma_f32 v5, v170, v126, -v5
	s_delay_alu instid0(VALU_DEP_2) | instskip(SKIP_1) | instid1(VALU_DEP_1)
	v_fma_f32 v4, v172, v128, -v4
	v_mul_f32_e32 v3, v169, v125
	v_fma_f32 v3, v168, v124, -v3
	s_delay_alu instid0(VALU_DEP_1) | instskip(NEXT) | instid1(VALU_DEP_1)
	v_dual_add_f32 v1, v1, v190 :: v_dual_add_f32 v2, v2, v3
	v_add_f32_e32 v1, v1, v191
	s_delay_alu instid0(VALU_DEP_2) | instskip(NEXT) | instid1(VALU_DEP_2)
	v_dual_mul_f32 v3, v175, v131 :: v_dual_add_f32 v2, v2, v5
	v_add_f32_e32 v1, v1, v192
	v_mul_f32_e32 v5, v177, v133
	s_delay_alu instid0(VALU_DEP_3) | instskip(NEXT) | instid1(VALU_DEP_4)
	v_fma_f32 v3, v174, v130, -v3
	v_add_f32_e32 v2, v2, v4
	v_fmac_f32_e32 v193, v165, v120
	s_delay_alu instid0(VALU_DEP_4) | instskip(NEXT) | instid1(VALU_DEP_2)
	v_fma_f32 v4, v176, v132, -v5
	v_dual_add_f32 v2, v2, v3 :: v_dual_add_f32 v1, v1, v193
	s_delay_alu instid0(VALU_DEP_1) | instskip(NEXT) | instid1(VALU_DEP_1)
	v_dual_add_f32 v2, v2, v4 :: v_dual_add_f32 v1, v1, v194
	v_add_f32_e32 v1, v1, v195
	s_delay_alu instid0(VALU_DEP_1) | instskip(NEXT) | instid1(VALU_DEP_1)
	v_add_f32_e32 v1, v1, v196
	v_add_f32_e32 v1, v1, v197
	s_delay_alu instid0(VALU_DEP_1) | instskip(NEXT) | instid1(VALU_DEP_1)
	v_add_f32_e32 v1, v1, v198
	v_add_f32_e32 v3, v1, v199
	s_wait_loadcnt 0x0
	s_delay_alu instid0(VALU_DEP_1)
	v_dual_sub_f32 v1, v178, v2 :: v_dual_sub_f32 v2, v179, v3
	scratch_store_b64 off, v[1:2], off offset:160
	v_cmpx_lt_u32_e32 19, v0
	s_cbranch_execz .LBB106_233
; %bb.232:
	scratch_load_b64 v[1:2], off, off offset:152
	v_mov_b32_e32 v3, 0
	s_delay_alu instid0(VALU_DEP_1)
	v_mov_b32_e32 v4, v3
	scratch_store_b64 off, v[3:4], off offset:152
	s_wait_loadcnt 0x0
	ds_store_b64 v23, v[1:2]
.LBB106_233:
	s_wait_alu 0xfffe
	s_or_b32 exec_lo, exec_lo, s0
	s_wait_storecnt_dscnt 0x0
	s_barrier_signal -1
	s_barrier_wait -1
	global_inv scope:SCOPE_SE
	s_clause 0xc
	scratch_load_b128 v[2:5], off, off offset:160
	scratch_load_b128 v[6:9], off, off offset:176
	;; [unrolled: 1-line block ×11, first 2 shown]
	scratch_load_b64 v[178:179], off, off offset:336
	scratch_load_b64 v[180:181], off, off offset:152
	v_mov_b32_e32 v1, 0
	ds_load_b128 v[134:137], v1 offset:512
	ds_load_b128 v[138:141], v1 offset:528
	;; [unrolled: 1-line block ×11, first 2 shown]
	ds_load_b64 v[182:183], v1 offset:688
	s_mov_b32 s0, exec_lo
	s_wait_loadcnt_dscnt 0xc0b
	v_mul_f32_e32 v22, v134, v3
	s_wait_loadcnt_dscnt 0xb0a
	v_dual_mul_f32 v184, v136, v5 :: v_dual_mul_f32 v185, v138, v7
	v_mul_f32_e32 v5, v137, v5
	s_wait_loadcnt_dscnt 0xa09
	v_dual_mul_f32 v186, v140, v9 :: v_dual_mul_f32 v187, v142, v11
	v_mul_f32_e32 v3, v135, v3
	v_fmac_f32_e32 v22, v135, v2
	s_wait_loadcnt_dscnt 0x908
	v_dual_mul_f32 v188, v144, v13 :: v_dual_mul_f32 v189, v146, v15
	s_wait_loadcnt_dscnt 0x100
	v_dual_mul_f32 v202, v172, v129 :: v_dual_mul_f32 v205, v182, v179
	v_fma_f32 v3, v134, v2, -v3
	v_mul_f32_e32 v2, v139, v7
	v_fmac_f32_e32 v184, v137, v4
	v_fma_f32 v4, v136, v4, -v5
	v_dual_add_f32 v5, 0, v22 :: v_dual_fmac_f32 v186, v141, v8
	v_add_f32_e32 v3, 0, v3
	v_fmac_f32_e32 v185, v139, v6
	v_fma_f32 v2, v138, v6, -v2
	v_dual_fmac_f32 v187, v143, v10 :: v_dual_fmac_f32 v188, v145, v12
	s_delay_alu instid0(VALU_DEP_4) | instskip(SKIP_3) | instid1(VALU_DEP_4)
	v_add_f32_e32 v3, v3, v4
	v_mul_f32_e32 v7, v141, v9
	v_add_f32_e32 v4, v5, v184
	v_dual_mul_f32 v190, v148, v17 :: v_dual_mul_f32 v191, v150, v19
	v_add_f32_e32 v2, v3, v2
	s_delay_alu instid0(VALU_DEP_4)
	v_fma_f32 v6, v140, v8, -v7
	v_mul_f32_e32 v5, v143, v11
	v_add_f32_e32 v3, v4, v185
	v_dual_mul_f32 v4, v145, v13 :: v_dual_fmac_f32 v189, v147, v14
	v_fmac_f32_e32 v190, v149, v16
	v_add_f32_e32 v2, v2, v6
	v_fma_f32 v5, v142, v10, -v5
	v_mul_f32_e32 v6, v147, v15
	v_add_f32_e32 v3, v3, v186
	v_fma_f32 v4, v144, v12, -v4
	v_dual_mul_f32 v192, v152, v21 :: v_dual_mul_f32 v193, v154, v111
	s_delay_alu instid0(VALU_DEP_3) | instskip(SKIP_2) | instid1(VALU_DEP_3)
	v_dual_add_f32 v2, v2, v5 :: v_dual_add_f32 v3, v3, v187
	v_mul_f32_e32 v5, v149, v17
	v_fma_f32 v6, v146, v14, -v6
	v_dual_fmac_f32 v191, v151, v18 :: v_dual_add_f32 v2, v2, v4
	s_delay_alu instid0(VALU_DEP_4) | instskip(SKIP_3) | instid1(VALU_DEP_4)
	v_add_f32_e32 v3, v3, v188
	v_mul_f32_e32 v4, v151, v19
	v_fma_f32 v5, v148, v16, -v5
	v_fmac_f32_e32 v192, v153, v20
	v_dual_add_f32 v2, v2, v6 :: v_dual_add_f32 v3, v3, v189
	v_mul_f32_e32 v6, v153, v21
	v_fma_f32 v4, v150, v18, -v4
	v_dual_mul_f32 v194, v156, v113 :: v_dual_mul_f32 v195, v158, v115
	s_delay_alu instid0(VALU_DEP_4) | instskip(SKIP_2) | instid1(VALU_DEP_4)
	v_dual_add_f32 v2, v2, v5 :: v_dual_add_f32 v3, v3, v190
	v_mul_f32_e32 v5, v155, v111
	v_fma_f32 v6, v152, v20, -v6
	v_dual_fmac_f32 v193, v155, v110 :: v_dual_fmac_f32 v194, v157, v112
	s_delay_alu instid0(VALU_DEP_4) | instskip(SKIP_3) | instid1(VALU_DEP_4)
	v_dual_add_f32 v2, v2, v4 :: v_dual_add_f32 v3, v3, v191
	v_mul_f32_e32 v4, v157, v113
	v_fma_f32 v5, v154, v110, -v5
	v_fmac_f32_e32 v195, v159, v114
	v_dual_add_f32 v2, v2, v6 :: v_dual_add_f32 v3, v3, v192
	v_mul_f32_e32 v6, v159, v115
	v_fma_f32 v4, v156, v112, -v4
	v_dual_mul_f32 v196, v160, v117 :: v_dual_mul_f32 v197, v162, v119
	s_delay_alu instid0(VALU_DEP_4) | instskip(SKIP_4) | instid1(VALU_DEP_4)
	v_add_f32_e32 v2, v2, v5
	v_add_f32_e32 v3, v3, v193
	v_mul_f32_e32 v5, v161, v117
	v_fma_f32 v6, v158, v114, -v6
	v_fmac_f32_e32 v196, v161, v116
	v_dual_add_f32 v2, v2, v4 :: v_dual_add_f32 v3, v3, v194
	v_mul_f32_e32 v4, v163, v119
	v_fma_f32 v5, v160, v116, -v5
	v_dual_mul_f32 v198, v164, v121 :: v_dual_mul_f32 v199, v166, v123
	s_delay_alu instid0(VALU_DEP_4) | instskip(SKIP_2) | instid1(VALU_DEP_3)
	v_dual_add_f32 v2, v2, v6 :: v_dual_add_f32 v3, v3, v195
	v_dual_mul_f32 v6, v165, v121 :: v_dual_fmac_f32 v197, v163, v118
	v_fma_f32 v4, v162, v118, -v4
	v_dual_add_f32 v2, v2, v5 :: v_dual_add_f32 v3, v3, v196
	v_dual_mul_f32 v200, v168, v125 :: v_dual_mul_f32 v201, v170, v127
	v_dual_mul_f32 v5, v167, v123 :: v_dual_fmac_f32 v198, v165, v120
	v_fma_f32 v6, v164, v120, -v6
	s_delay_alu instid0(VALU_DEP_4) | instskip(SKIP_1) | instid1(VALU_DEP_4)
	v_dual_add_f32 v2, v2, v4 :: v_dual_add_f32 v3, v3, v197
	v_dual_mul_f32 v4, v169, v125 :: v_dual_fmac_f32 v199, v167, v122
	v_fma_f32 v5, v166, v122, -v5
	s_delay_alu instid0(VALU_DEP_3) | instskip(NEXT) | instid1(VALU_DEP_4)
	v_dual_fmac_f32 v200, v169, v124 :: v_dual_add_f32 v3, v3, v198
	v_add_f32_e32 v2, v2, v6
	v_mul_f32_e32 v6, v171, v127
	v_fma_f32 v4, v168, v124, -v4
	v_fmac_f32_e32 v201, v171, v126
	s_delay_alu instid0(VALU_DEP_4) | instskip(SKIP_3) | instid1(VALU_DEP_4)
	v_dual_add_f32 v3, v3, v199 :: v_dual_add_f32 v2, v2, v5
	v_mul_f32_e32 v5, v173, v129
	v_fma_f32 v6, v170, v126, -v6
	v_dual_mul_f32 v203, v174, v131 :: v_dual_mul_f32 v204, v176, v133
	v_add_f32_e32 v3, v3, v200
	v_add_f32_e32 v2, v2, v4
	v_mul_f32_e32 v4, v175, v131
	s_delay_alu instid0(VALU_DEP_4) | instskip(SKIP_1) | instid1(VALU_DEP_4)
	v_dual_fmac_f32 v202, v173, v128 :: v_dual_fmac_f32 v203, v175, v130
	v_fma_f32 v5, v172, v128, -v5
	v_dual_add_f32 v3, v3, v201 :: v_dual_add_f32 v2, v2, v6
	v_mul_f32_e32 v6, v177, v133
	v_fma_f32 v4, v174, v130, -v4
	v_fmac_f32_e32 v205, v183, v178
	s_delay_alu instid0(VALU_DEP_4) | instskip(SKIP_2) | instid1(VALU_DEP_3)
	v_dual_add_f32 v3, v3, v202 :: v_dual_add_f32 v2, v2, v5
	v_dual_mul_f32 v5, v183, v179 :: v_dual_fmac_f32 v204, v177, v132
	v_fma_f32 v6, v176, v132, -v6
	v_dual_add_f32 v3, v3, v203 :: v_dual_add_f32 v2, v2, v4
	s_delay_alu instid0(VALU_DEP_3) | instskip(NEXT) | instid1(VALU_DEP_2)
	v_fma_f32 v4, v182, v178, -v5
	v_dual_add_f32 v3, v3, v204 :: v_dual_add_f32 v2, v2, v6
	s_delay_alu instid0(VALU_DEP_1) | instskip(SKIP_1) | instid1(VALU_DEP_1)
	v_dual_add_f32 v3, v3, v205 :: v_dual_add_f32 v2, v2, v4
	s_wait_loadcnt 0x0
	v_dual_sub_f32 v3, v181, v3 :: v_dual_sub_f32 v2, v180, v2
	scratch_store_b64 off, v[2:3], off offset:152
	v_cmpx_lt_u32_e32 18, v0
	s_cbranch_execz .LBB106_235
; %bb.234:
	scratch_load_b64 v[3:4], off, off offset:144
	v_mov_b32_e32 v2, v1
	scratch_store_b64 off, v[1:2], off offset:144
	s_wait_loadcnt 0x0
	ds_store_b64 v23, v[3:4]
.LBB106_235:
	s_wait_alu 0xfffe
	s_or_b32 exec_lo, exec_lo, s0
	s_wait_storecnt_dscnt 0x0
	s_barrier_signal -1
	s_barrier_wait -1
	global_inv scope:SCOPE_SE
	s_clause 0xc
	scratch_load_b128 v[2:5], off, off offset:152
	scratch_load_b128 v[6:9], off, off offset:168
	;; [unrolled: 1-line block ×12, first 2 shown]
	scratch_load_b64 v[186:187], off, off offset:144
	ds_load_2addr_b64 v[138:141], v1 offset0:63 offset1:64
	ds_load_2addr_b64 v[142:145], v1 offset0:65 offset1:66
	;; [unrolled: 1-line block ×12, first 2 shown]
	s_mov_b32 s0, exec_lo
	s_wait_loadcnt_dscnt 0xc0b
	v_dual_mul_f32 v1, v138, v3 :: v_dual_mul_f32 v22, v140, v5
	v_mul_f32_e32 v3, v139, v3
	s_wait_loadcnt_dscnt 0xb0a
	v_dual_mul_f32 v5, v141, v5 :: v_dual_mul_f32 v188, v142, v7
	s_delay_alu instid0(VALU_DEP_3) | instskip(NEXT) | instid1(VALU_DEP_3)
	v_dual_mul_f32 v189, v144, v9 :: v_dual_fmac_f32 v22, v141, v4
	v_fma_f32 v3, v138, v2, -v3
	v_fmac_f32_e32 v1, v139, v2
	v_mul_f32_e32 v2, v143, v7
	v_fma_f32 v4, v140, v4, -v5
	s_delay_alu instid0(VALU_DEP_4)
	v_dual_fmac_f32 v188, v143, v6 :: v_dual_add_f32 v3, 0, v3
	s_wait_loadcnt_dscnt 0x807
	v_dual_mul_f32 v194, v154, v19 :: v_dual_mul_f32 v195, v156, v21
	v_fma_f32 v2, v142, v6, -v2
	v_dual_mul_f32 v190, v146, v11 :: v_dual_mul_f32 v191, v148, v13
	v_add_f32_e32 v3, v3, v4
	v_dual_mul_f32 v5, v145, v9 :: v_dual_mul_f32 v192, v150, v15
	v_dual_mul_f32 v193, v152, v17 :: v_dual_mul_f32 v4, v147, v11
	s_delay_alu instid0(VALU_DEP_3) | instskip(NEXT) | instid1(VALU_DEP_3)
	v_add_f32_e32 v2, v3, v2
	v_fma_f32 v5, v144, v8, -v5
	v_dual_mul_f32 v3, v149, v13 :: v_dual_fmac_f32 v194, v155, v18
	s_delay_alu instid0(VALU_DEP_4) | instskip(SKIP_1) | instid1(VALU_DEP_4)
	v_fma_f32 v4, v146, v10, -v4
	v_dual_fmac_f32 v189, v145, v8 :: v_dual_fmac_f32 v190, v147, v10
	v_add_f32_e32 v2, v2, v5
	v_add_f32_e32 v1, 0, v1
	v_fma_f32 v3, v148, v12, -v3
	v_fmac_f32_e32 v192, v151, v14
	s_wait_loadcnt_dscnt 0x706
	v_dual_mul_f32 v196, v158, v111 :: v_dual_mul_f32 v197, v160, v113
	v_dual_add_f32 v1, v1, v22 :: v_dual_add_f32 v2, v2, v4
	v_mul_f32_e32 v4, v153, v17
	s_wait_loadcnt_dscnt 0x504
	v_dual_mul_f32 v200, v166, v119 :: v_dual_mul_f32 v201, v168, v121
	s_delay_alu instid0(VALU_DEP_3) | instskip(NEXT) | instid1(VALU_DEP_3)
	v_dual_add_f32 v1, v1, v188 :: v_dual_add_f32 v2, v2, v3
	v_fma_f32 v4, v152, v16, -v4
	v_mul_f32_e32 v5, v151, v15
	v_dual_mul_f32 v198, v162, v115 :: v_dual_mul_f32 v199, v164, v117
	s_wait_loadcnt_dscnt 0x201
	v_dual_add_f32 v1, v1, v189 :: v_dual_mul_f32 v206, v178, v131
	v_mul_f32_e32 v207, v180, v133
	v_fma_f32 v5, v150, v14, -v5
	v_fmac_f32_e32 v191, v149, v12
	s_delay_alu instid0(VALU_DEP_4)
	v_add_f32_e32 v1, v1, v190
	v_fmac_f32_e32 v196, v159, v110
	v_dual_mul_f32 v202, v170, v123 :: v_dual_mul_f32 v203, v172, v125
	v_add_f32_e32 v2, v2, v5
	v_dual_fmac_f32 v198, v163, v114 :: v_dual_fmac_f32 v197, v161, v112
	v_dual_mul_f32 v204, v174, v127 :: v_dual_mul_f32 v205, v176, v129
	s_delay_alu instid0(VALU_DEP_3) | instskip(SKIP_2) | instid1(VALU_DEP_4)
	v_add_f32_e32 v2, v2, v4
	v_mul_f32_e32 v4, v159, v111
	v_add_f32_e32 v1, v1, v191
	v_dual_fmac_f32 v199, v165, v116 :: v_dual_fmac_f32 v204, v175, v126
	v_fmac_f32_e32 v201, v169, v120
	s_delay_alu instid0(VALU_DEP_4) | instskip(SKIP_4) | instid1(VALU_DEP_3)
	v_fma_f32 v4, v158, v110, -v4
	v_mul_f32_e32 v5, v157, v21
	s_wait_loadcnt_dscnt 0x100
	v_dual_add_f32 v1, v1, v192 :: v_dual_mul_f32 v208, v182, v135
	v_dual_mul_f32 v209, v184, v137 :: v_dual_fmac_f32 v200, v167, v118
	v_fma_f32 v5, v156, v20, -v5
	v_mul_f32_e32 v3, v155, v19
	v_fmac_f32_e32 v207, v181, v132
	s_delay_alu instid0(VALU_DEP_4) | instskip(SKIP_1) | instid1(VALU_DEP_4)
	v_dual_fmac_f32 v209, v185, v136 :: v_dual_fmac_f32 v206, v179, v130
	v_fmac_f32_e32 v202, v171, v122
	v_fma_f32 v3, v154, v18, -v3
	v_dual_fmac_f32 v193, v153, v16 :: v_dual_fmac_f32 v208, v183, v134
	s_delay_alu instid0(VALU_DEP_2) | instskip(NEXT) | instid1(VALU_DEP_1)
	v_dual_add_f32 v2, v2, v3 :: v_dual_mul_f32 v3, v161, v113
	v_dual_add_f32 v2, v2, v5 :: v_dual_mul_f32 v5, v163, v115
	s_delay_alu instid0(VALU_DEP_2) | instskip(NEXT) | instid1(VALU_DEP_2)
	v_fma_f32 v3, v160, v112, -v3
	v_dual_add_f32 v2, v2, v4 :: v_dual_add_f32 v1, v1, v193
	v_mul_f32_e32 v4, v165, v117
	s_delay_alu instid0(VALU_DEP_4) | instskip(NEXT) | instid1(VALU_DEP_3)
	v_fma_f32 v5, v162, v114, -v5
	v_dual_add_f32 v2, v2, v3 :: v_dual_fmac_f32 v195, v157, v20
	s_delay_alu instid0(VALU_DEP_3) | instskip(NEXT) | instid1(VALU_DEP_2)
	v_fma_f32 v4, v164, v116, -v4
	v_add_f32_e32 v2, v2, v5
	v_mul_f32_e32 v5, v169, v121
	s_delay_alu instid0(VALU_DEP_2) | instskip(NEXT) | instid1(VALU_DEP_2)
	v_dual_add_f32 v1, v1, v194 :: v_dual_add_f32 v2, v2, v4
	v_fma_f32 v5, v168, v120, -v5
	v_mul_f32_e32 v3, v167, v119
	s_delay_alu instid0(VALU_DEP_3) | instskip(SKIP_1) | instid1(VALU_DEP_3)
	v_add_f32_e32 v1, v1, v195
	v_mul_f32_e32 v4, v171, v123
	v_fma_f32 v3, v166, v118, -v3
	s_delay_alu instid0(VALU_DEP_3) | instskip(NEXT) | instid1(VALU_DEP_3)
	v_add_f32_e32 v1, v1, v196
	v_fma_f32 v4, v170, v122, -v4
	s_delay_alu instid0(VALU_DEP_3) | instskip(NEXT) | instid1(VALU_DEP_1)
	v_add_f32_e32 v2, v2, v3
	v_add_f32_e32 v2, v2, v5
	s_delay_alu instid0(VALU_DEP_4) | instskip(NEXT) | instid1(VALU_DEP_2)
	v_add_f32_e32 v1, v1, v197
	v_dual_mul_f32 v5, v175, v127 :: v_dual_add_f32 v2, v2, v4
	v_mul_f32_e32 v4, v177, v129
	s_delay_alu instid0(VALU_DEP_2) | instskip(NEXT) | instid1(VALU_DEP_2)
	v_fma_f32 v5, v174, v126, -v5
	v_fma_f32 v4, v176, v128, -v4
	v_mul_f32_e32 v3, v173, v125
	s_delay_alu instid0(VALU_DEP_1) | instskip(NEXT) | instid1(VALU_DEP_1)
	v_fma_f32 v3, v172, v124, -v3
	v_dual_add_f32 v1, v1, v198 :: v_dual_add_f32 v2, v2, v3
	s_delay_alu instid0(VALU_DEP_1) | instskip(NEXT) | instid1(VALU_DEP_2)
	v_add_f32_e32 v1, v1, v199
	v_dual_mul_f32 v3, v179, v131 :: v_dual_add_f32 v2, v2, v5
	v_mul_f32_e32 v5, v181, v133
	s_delay_alu instid0(VALU_DEP_2) | instskip(NEXT) | instid1(VALU_DEP_3)
	v_fma_f32 v3, v178, v130, -v3
	v_add_f32_e32 v2, v2, v4
	v_dual_add_f32 v1, v1, v200 :: v_dual_mul_f32 v4, v183, v135
	s_delay_alu instid0(VALU_DEP_4) | instskip(NEXT) | instid1(VALU_DEP_2)
	v_fma_f32 v5, v180, v132, -v5
	v_dual_add_f32 v2, v2, v3 :: v_dual_add_f32 v1, v1, v201
	v_fmac_f32_e32 v203, v173, v124
	s_delay_alu instid0(VALU_DEP_4) | instskip(SKIP_1) | instid1(VALU_DEP_4)
	v_fma_f32 v4, v182, v134, -v4
	v_mul_f32_e32 v3, v185, v137
	v_dual_add_f32 v2, v2, v5 :: v_dual_add_f32 v1, v1, v202
	s_delay_alu instid0(VALU_DEP_2) | instskip(NEXT) | instid1(VALU_DEP_2)
	v_fma_f32 v3, v184, v136, -v3
	v_dual_add_f32 v2, v2, v4 :: v_dual_add_f32 v1, v1, v203
	s_delay_alu instid0(VALU_DEP_1) | instskip(NEXT) | instid1(VALU_DEP_2)
	v_dual_fmac_f32 v205, v177, v128 :: v_dual_add_f32 v2, v2, v3
	v_add_f32_e32 v1, v1, v204
	s_delay_alu instid0(VALU_DEP_1) | instskip(NEXT) | instid1(VALU_DEP_1)
	v_add_f32_e32 v1, v1, v205
	v_add_f32_e32 v1, v1, v206
	s_delay_alu instid0(VALU_DEP_1) | instskip(NEXT) | instid1(VALU_DEP_1)
	v_add_f32_e32 v1, v1, v207
	v_add_f32_e32 v1, v1, v208
	s_delay_alu instid0(VALU_DEP_1) | instskip(SKIP_1) | instid1(VALU_DEP_1)
	v_add_f32_e32 v3, v1, v209
	s_wait_loadcnt 0x0
	v_dual_sub_f32 v1, v186, v2 :: v_dual_sub_f32 v2, v187, v3
	scratch_store_b64 off, v[1:2], off offset:144
	v_cmpx_lt_u32_e32 17, v0
	s_cbranch_execz .LBB106_237
; %bb.236:
	scratch_load_b64 v[1:2], off, off offset:136
	v_mov_b32_e32 v3, 0
	s_delay_alu instid0(VALU_DEP_1)
	v_mov_b32_e32 v4, v3
	scratch_store_b64 off, v[3:4], off offset:136
	s_wait_loadcnt 0x0
	ds_store_b64 v23, v[1:2]
.LBB106_237:
	s_wait_alu 0xfffe
	s_or_b32 exec_lo, exec_lo, s0
	s_wait_storecnt_dscnt 0x0
	s_barrier_signal -1
	s_barrier_wait -1
	global_inv scope:SCOPE_SE
	s_clause 0xd
	scratch_load_b128 v[2:5], off, off offset:144
	scratch_load_b128 v[6:9], off, off offset:160
	;; [unrolled: 1-line block ×12, first 2 shown]
	scratch_load_b64 v[186:187], off, off offset:336
	scratch_load_b64 v[188:189], off, off offset:136
	v_mov_b32_e32 v1, 0
	ds_load_b128 v[138:141], v1 offset:496
	ds_load_b128 v[142:145], v1 offset:512
	;; [unrolled: 1-line block ×12, first 2 shown]
	ds_load_b64 v[190:191], v1 offset:688
	s_mov_b32 s0, exec_lo
	s_wait_loadcnt_dscnt 0xd0c
	v_mul_f32_e32 v22, v138, v3
	s_wait_loadcnt_dscnt 0xc0b
	v_dual_mul_f32 v192, v140, v5 :: v_dual_mul_f32 v193, v142, v7
	v_mul_f32_e32 v5, v141, v5
	s_wait_loadcnt_dscnt 0xb0a
	v_dual_mul_f32 v194, v144, v9 :: v_dual_mul_f32 v195, v146, v11
	v_dual_mul_f32 v3, v139, v3 :: v_dual_mul_f32 v196, v148, v13
	s_wait_loadcnt_dscnt 0xa09
	v_dual_mul_f32 v197, v150, v15 :: v_dual_fmac_f32 v22, v139, v2
	s_wait_loadcnt_dscnt 0x302
	v_mul_f32_e32 v212, v180, v133
	v_fma_f32 v3, v138, v2, -v3
	s_wait_loadcnt_dscnt 0x100
	v_mul_f32_e32 v215, v190, v187
	v_mul_f32_e32 v2, v143, v7
	v_fmac_f32_e32 v192, v141, v4
	v_fma_f32 v4, v140, v4, -v5
	v_add_f32_e32 v3, 0, v3
	v_dual_add_f32 v5, 0, v22 :: v_dual_fmac_f32 v194, v145, v8
	v_fmac_f32_e32 v193, v143, v6
	v_fma_f32 v2, v142, v6, -v2
	s_delay_alu instid0(VALU_DEP_4) | instskip(SKIP_3) | instid1(VALU_DEP_4)
	v_add_f32_e32 v3, v3, v4
	v_mul_f32_e32 v7, v145, v9
	v_dual_add_f32 v4, v5, v192 :: v_dual_fmac_f32 v195, v147, v10
	v_fmac_f32_e32 v196, v149, v12
	v_add_f32_e32 v2, v3, v2
	s_delay_alu instid0(VALU_DEP_4)
	v_fma_f32 v6, v144, v8, -v7
	v_mul_f32_e32 v5, v147, v11
	v_add_f32_e32 v3, v4, v193
	v_mul_f32_e32 v4, v149, v13
	v_dual_mul_f32 v198, v152, v17 :: v_dual_mul_f32 v199, v154, v19
	v_add_f32_e32 v2, v2, v6
	v_fma_f32 v5, v146, v10, -v5
	v_mul_f32_e32 v6, v151, v15
	v_add_f32_e32 v3, v3, v194
	v_fma_f32 v4, v148, v12, -v4
	v_dual_fmac_f32 v197, v151, v14 :: v_dual_fmac_f32 v198, v153, v16
	s_delay_alu instid0(VALU_DEP_3) | instskip(SKIP_3) | instid1(VALU_DEP_4)
	v_dual_add_f32 v2, v2, v5 :: v_dual_add_f32 v3, v3, v195
	v_mul_f32_e32 v5, v153, v17
	v_fma_f32 v6, v150, v14, -v6
	v_dual_mul_f32 v200, v156, v21 :: v_dual_mul_f32 v201, v158, v111
	v_add_f32_e32 v2, v2, v4
	v_add_f32_e32 v3, v3, v196
	v_mul_f32_e32 v4, v155, v19
	v_fma_f32 v5, v152, v16, -v5
	v_fmac_f32_e32 v199, v155, v18
	s_delay_alu instid0(VALU_DEP_4) | instskip(SKIP_3) | instid1(VALU_DEP_4)
	v_dual_add_f32 v2, v2, v6 :: v_dual_add_f32 v3, v3, v197
	v_fmac_f32_e32 v200, v157, v20
	v_mul_f32_e32 v6, v157, v21
	v_fma_f32 v4, v154, v18, -v4
	v_dual_add_f32 v2, v2, v5 :: v_dual_add_f32 v3, v3, v198
	v_mul_f32_e32 v5, v159, v111
	s_delay_alu instid0(VALU_DEP_4) | instskip(SKIP_1) | instid1(VALU_DEP_4)
	v_fma_f32 v6, v156, v20, -v6
	v_dual_mul_f32 v202, v160, v113 :: v_dual_mul_f32 v203, v162, v115
	v_dual_add_f32 v2, v2, v4 :: v_dual_add_f32 v3, v3, v199
	v_dual_mul_f32 v4, v161, v113 :: v_dual_fmac_f32 v201, v159, v110
	s_delay_alu instid0(VALU_DEP_3) | instskip(SKIP_1) | instid1(VALU_DEP_4)
	v_fmac_f32_e32 v202, v161, v112
	v_fma_f32 v5, v158, v110, -v5
	v_dual_add_f32 v2, v2, v6 :: v_dual_add_f32 v3, v3, v200
	v_mul_f32_e32 v6, v163, v115
	v_fma_f32 v4, v160, v112, -v4
	s_delay_alu instid0(VALU_DEP_3) | instskip(NEXT) | instid1(VALU_DEP_4)
	v_dual_fmac_f32 v203, v163, v114 :: v_dual_add_f32 v2, v2, v5
	v_add_f32_e32 v3, v3, v201
	v_dual_mul_f32 v204, v164, v117 :: v_dual_mul_f32 v205, v166, v119
	v_mul_f32_e32 v5, v165, v117
	v_fma_f32 v6, v162, v114, -v6
	s_delay_alu instid0(VALU_DEP_4) | instskip(NEXT) | instid1(VALU_DEP_4)
	v_dual_add_f32 v2, v2, v4 :: v_dual_add_f32 v3, v3, v202
	v_fmac_f32_e32 v204, v165, v116
	v_mul_f32_e32 v4, v167, v119
	v_fma_f32 v5, v164, v116, -v5
	s_delay_alu instid0(VALU_DEP_4) | instskip(SKIP_3) | instid1(VALU_DEP_4)
	v_dual_add_f32 v2, v2, v6 :: v_dual_add_f32 v3, v3, v203
	v_dual_mul_f32 v206, v168, v121 :: v_dual_mul_f32 v207, v170, v123
	v_dual_mul_f32 v6, v169, v121 :: v_dual_fmac_f32 v205, v167, v118
	v_fma_f32 v4, v166, v118, -v4
	v_dual_add_f32 v2, v2, v5 :: v_dual_add_f32 v3, v3, v204
	v_dual_mul_f32 v208, v172, v125 :: v_dual_mul_f32 v209, v174, v127
	v_dual_mul_f32 v5, v171, v123 :: v_dual_fmac_f32 v206, v169, v120
	v_fma_f32 v6, v168, v120, -v6
	s_delay_alu instid0(VALU_DEP_4) | instskip(SKIP_1) | instid1(VALU_DEP_4)
	v_dual_add_f32 v2, v2, v4 :: v_dual_add_f32 v3, v3, v205
	v_dual_mul_f32 v4, v173, v125 :: v_dual_fmac_f32 v207, v171, v122
	v_fma_f32 v5, v170, v122, -v5
	s_delay_alu instid0(VALU_DEP_3) | instskip(NEXT) | instid1(VALU_DEP_4)
	v_dual_fmac_f32 v208, v173, v124 :: v_dual_add_f32 v3, v3, v206
	v_add_f32_e32 v2, v2, v6
	v_mul_f32_e32 v6, v175, v127
	v_fma_f32 v4, v172, v124, -v4
	v_dual_mul_f32 v210, v176, v129 :: v_dual_mul_f32 v211, v178, v131
	s_delay_alu instid0(VALU_DEP_4) | instskip(SKIP_3) | instid1(VALU_DEP_4)
	v_dual_add_f32 v3, v3, v207 :: v_dual_add_f32 v2, v2, v5
	v_fmac_f32_e32 v209, v175, v126
	v_mul_f32_e32 v5, v177, v129
	v_fma_f32 v6, v174, v126, -v6
	v_add_f32_e32 v3, v3, v208
	v_add_f32_e32 v2, v2, v4
	v_mul_f32_e32 v4, v179, v131
	v_dual_fmac_f32 v210, v177, v128 :: v_dual_fmac_f32 v211, v179, v130
	v_fma_f32 v5, v176, v128, -v5
	s_delay_alu instid0(VALU_DEP_4) | instskip(SKIP_3) | instid1(VALU_DEP_4)
	v_dual_add_f32 v3, v3, v209 :: v_dual_add_f32 v2, v2, v6
	v_mul_f32_e32 v6, v181, v133
	v_fma_f32 v4, v178, v130, -v4
	v_dual_mul_f32 v213, v182, v135 :: v_dual_mul_f32 v214, v184, v137
	v_dual_add_f32 v2, v2, v5 :: v_dual_mul_f32 v5, v183, v135
	v_dual_add_f32 v3, v3, v210 :: v_dual_fmac_f32 v212, v181, v132
	v_fma_f32 v6, v180, v132, -v6
	s_delay_alu instid0(VALU_DEP_3) | instskip(NEXT) | instid1(VALU_DEP_3)
	v_dual_add_f32 v2, v2, v4 :: v_dual_fmac_f32 v213, v183, v134
	v_dual_add_f32 v3, v3, v211 :: v_dual_mul_f32 v4, v185, v137
	v_fma_f32 v5, v182, v134, -v5
	v_dual_fmac_f32 v214, v185, v136 :: v_dual_fmac_f32 v215, v191, v186
	s_delay_alu instid0(VALU_DEP_3) | instskip(SKIP_2) | instid1(VALU_DEP_3)
	v_dual_add_f32 v3, v3, v212 :: v_dual_add_f32 v2, v2, v6
	v_mul_f32_e32 v6, v191, v187
	v_fma_f32 v4, v184, v136, -v4
	v_add_f32_e32 v3, v3, v213
	s_delay_alu instid0(VALU_DEP_4) | instskip(NEXT) | instid1(VALU_DEP_4)
	v_add_f32_e32 v2, v2, v5
	v_fma_f32 v5, v190, v186, -v6
	s_delay_alu instid0(VALU_DEP_2) | instskip(NEXT) | instid1(VALU_DEP_1)
	v_dual_add_f32 v3, v3, v214 :: v_dual_add_f32 v2, v2, v4
	v_dual_add_f32 v3, v3, v215 :: v_dual_add_f32 v2, v2, v5
	s_wait_loadcnt 0x0
	s_delay_alu instid0(VALU_DEP_1)
	v_dual_sub_f32 v3, v189, v3 :: v_dual_sub_f32 v2, v188, v2
	scratch_store_b64 off, v[2:3], off offset:136
	v_cmpx_lt_u32_e32 16, v0
	s_cbranch_execz .LBB106_239
; %bb.238:
	scratch_load_b64 v[3:4], off, off offset:128
	v_mov_b32_e32 v2, v1
	scratch_store_b64 off, v[1:2], off offset:128
	s_wait_loadcnt 0x0
	ds_store_b64 v23, v[3:4]
.LBB106_239:
	s_wait_alu 0xfffe
	s_or_b32 exec_lo, exec_lo, s0
	s_wait_storecnt_dscnt 0x0
	s_barrier_signal -1
	s_barrier_wait -1
	global_inv scope:SCOPE_SE
	s_clause 0xd
	scratch_load_b128 v[2:5], off, off offset:136
	scratch_load_b128 v[6:9], off, off offset:152
	scratch_load_b128 v[10:13], off, off offset:168
	scratch_load_b128 v[14:17], off, off offset:184
	scratch_load_b128 v[18:21], off, off offset:200
	scratch_load_b128 v[110:113], off, off offset:216
	scratch_load_b128 v[114:117], off, off offset:232
	scratch_load_b128 v[118:121], off, off offset:248
	scratch_load_b128 v[122:125], off, off offset:264
	scratch_load_b128 v[126:129], off, off offset:280
	scratch_load_b128 v[130:133], off, off offset:296
	scratch_load_b128 v[134:137], off, off offset:312
	scratch_load_b128 v[138:141], off, off offset:328
	scratch_load_b64 v[194:195], off, off offset:128
	ds_load_2addr_b64 v[142:145], v1 offset0:61 offset1:62
	ds_load_2addr_b64 v[146:149], v1 offset0:63 offset1:64
	;; [unrolled: 1-line block ×13, first 2 shown]
	s_mov_b32 s0, exec_lo
	s_wait_loadcnt_dscnt 0xd0c
	v_dual_mul_f32 v1, v142, v3 :: v_dual_mul_f32 v22, v144, v5
	v_mul_f32_e32 v3, v143, v3
	s_wait_loadcnt_dscnt 0xc0b
	v_dual_mul_f32 v5, v145, v5 :: v_dual_mul_f32 v196, v146, v7
	s_delay_alu instid0(VALU_DEP_3) | instskip(NEXT) | instid1(VALU_DEP_3)
	v_dual_mul_f32 v197, v148, v9 :: v_dual_fmac_f32 v22, v145, v4
	v_fma_f32 v3, v142, v2, -v3
	v_fmac_f32_e32 v1, v143, v2
	v_mul_f32_e32 v2, v147, v7
	v_fma_f32 v4, v144, v4, -v5
	s_delay_alu instid0(VALU_DEP_4)
	v_dual_fmac_f32 v196, v147, v6 :: v_dual_add_f32 v3, 0, v3
	s_wait_loadcnt_dscnt 0x908
	v_dual_mul_f32 v202, v158, v19 :: v_dual_mul_f32 v203, v160, v21
	v_fma_f32 v2, v146, v6, -v2
	v_dual_mul_f32 v198, v150, v11 :: v_dual_mul_f32 v199, v152, v13
	v_add_f32_e32 v3, v3, v4
	v_dual_mul_f32 v5, v149, v9 :: v_dual_mul_f32 v200, v154, v15
	v_dual_mul_f32 v201, v156, v17 :: v_dual_mul_f32 v4, v151, v11
	s_delay_alu instid0(VALU_DEP_3) | instskip(NEXT) | instid1(VALU_DEP_3)
	v_add_f32_e32 v2, v3, v2
	v_fma_f32 v5, v148, v8, -v5
	v_dual_mul_f32 v3, v153, v13 :: v_dual_fmac_f32 v202, v159, v18
	s_delay_alu instid0(VALU_DEP_4) | instskip(SKIP_1) | instid1(VALU_DEP_4)
	v_fma_f32 v4, v150, v10, -v4
	v_dual_fmac_f32 v197, v149, v8 :: v_dual_fmac_f32 v198, v151, v10
	v_add_f32_e32 v2, v2, v5
	v_add_f32_e32 v1, 0, v1
	v_fma_f32 v3, v152, v12, -v3
	v_fmac_f32_e32 v200, v155, v14
	s_wait_loadcnt_dscnt 0x807
	v_dual_mul_f32 v204, v162, v111 :: v_dual_mul_f32 v205, v164, v113
	v_dual_add_f32 v1, v1, v22 :: v_dual_add_f32 v2, v2, v4
	v_mul_f32_e32 v4, v157, v17
	s_wait_loadcnt_dscnt 0x605
	v_dual_mul_f32 v208, v170, v119 :: v_dual_mul_f32 v209, v172, v121
	s_delay_alu instid0(VALU_DEP_3) | instskip(NEXT) | instid1(VALU_DEP_3)
	v_dual_add_f32 v1, v1, v196 :: v_dual_add_f32 v2, v2, v3
	v_fma_f32 v4, v156, v16, -v4
	v_mul_f32_e32 v5, v155, v15
	v_dual_mul_f32 v206, v166, v115 :: v_dual_mul_f32 v207, v168, v117
	s_wait_loadcnt_dscnt 0x302
	v_dual_add_f32 v1, v1, v197 :: v_dual_mul_f32 v214, v182, v131
	v_mul_f32_e32 v215, v184, v133
	v_fma_f32 v5, v154, v14, -v5
	v_fmac_f32_e32 v199, v153, v12
	s_delay_alu instid0(VALU_DEP_4)
	v_add_f32_e32 v1, v1, v198
	v_fmac_f32_e32 v204, v163, v110
	v_dual_mul_f32 v210, v174, v123 :: v_dual_mul_f32 v211, v176, v125
	v_add_f32_e32 v2, v2, v5
	v_dual_fmac_f32 v206, v167, v114 :: v_dual_fmac_f32 v205, v165, v112
	v_dual_mul_f32 v212, v178, v127 :: v_dual_mul_f32 v213, v180, v129
	s_delay_alu instid0(VALU_DEP_3) | instskip(SKIP_2) | instid1(VALU_DEP_4)
	v_add_f32_e32 v2, v2, v4
	v_mul_f32_e32 v4, v163, v111
	v_add_f32_e32 v1, v1, v199
	v_dual_fmac_f32 v207, v169, v116 :: v_dual_fmac_f32 v212, v179, v126
	v_fmac_f32_e32 v209, v173, v120
	s_delay_alu instid0(VALU_DEP_4) | instskip(SKIP_4) | instid1(VALU_DEP_3)
	v_fma_f32 v4, v162, v110, -v4
	v_mul_f32_e32 v5, v161, v21
	s_wait_loadcnt_dscnt 0x201
	v_dual_add_f32 v1, v1, v200 :: v_dual_mul_f32 v216, v186, v135
	v_dual_mul_f32 v217, v188, v137 :: v_dual_fmac_f32 v208, v171, v118
	v_fma_f32 v5, v160, v20, -v5
	v_mul_f32_e32 v3, v159, v19
	s_wait_loadcnt_dscnt 0x100
	v_dual_mul_f32 v218, v190, v139 :: v_dual_mul_f32 v219, v192, v141
	v_fmac_f32_e32 v215, v185, v132
	v_fmac_f32_e32 v217, v189, v136
	v_fma_f32 v3, v158, v18, -v3
	v_fmac_f32_e32 v201, v157, v16
	v_dual_fmac_f32 v219, v193, v140 :: v_dual_fmac_f32 v214, v183, v130
	v_fmac_f32_e32 v210, v175, v122
	s_delay_alu instid0(VALU_DEP_4) | instskip(SKIP_2) | instid1(VALU_DEP_3)
	v_dual_add_f32 v2, v2, v3 :: v_dual_mul_f32 v3, v165, v113
	v_fmac_f32_e32 v216, v187, v134
	v_fmac_f32_e32 v218, v191, v138
	v_dual_add_f32 v2, v2, v5 :: v_dual_mul_f32 v5, v167, v115
	s_delay_alu instid0(VALU_DEP_4) | instskip(NEXT) | instid1(VALU_DEP_2)
	v_fma_f32 v3, v164, v112, -v3
	v_dual_add_f32 v2, v2, v4 :: v_dual_add_f32 v1, v1, v201
	v_mul_f32_e32 v4, v169, v117
	s_delay_alu instid0(VALU_DEP_4) | instskip(NEXT) | instid1(VALU_DEP_3)
	v_fma_f32 v5, v166, v114, -v5
	v_dual_add_f32 v2, v2, v3 :: v_dual_fmac_f32 v203, v161, v20
	s_delay_alu instid0(VALU_DEP_3) | instskip(NEXT) | instid1(VALU_DEP_2)
	v_fma_f32 v4, v168, v116, -v4
	v_add_f32_e32 v2, v2, v5
	v_mul_f32_e32 v5, v173, v121
	s_delay_alu instid0(VALU_DEP_2) | instskip(NEXT) | instid1(VALU_DEP_2)
	v_dual_add_f32 v1, v1, v202 :: v_dual_add_f32 v2, v2, v4
	v_fma_f32 v5, v172, v120, -v5
	v_mul_f32_e32 v3, v171, v119
	s_delay_alu instid0(VALU_DEP_3) | instskip(SKIP_1) | instid1(VALU_DEP_3)
	v_add_f32_e32 v1, v1, v203
	v_mul_f32_e32 v4, v175, v123
	v_fma_f32 v3, v170, v118, -v3
	s_delay_alu instid0(VALU_DEP_3) | instskip(NEXT) | instid1(VALU_DEP_3)
	v_add_f32_e32 v1, v1, v204
	v_fma_f32 v4, v174, v122, -v4
	s_delay_alu instid0(VALU_DEP_3) | instskip(NEXT) | instid1(VALU_DEP_1)
	v_add_f32_e32 v2, v2, v3
	v_add_f32_e32 v2, v2, v5
	s_delay_alu instid0(VALU_DEP_4) | instskip(NEXT) | instid1(VALU_DEP_2)
	v_add_f32_e32 v1, v1, v205
	v_dual_mul_f32 v5, v179, v127 :: v_dual_add_f32 v2, v2, v4
	v_mul_f32_e32 v4, v181, v129
	s_delay_alu instid0(VALU_DEP_2) | instskip(NEXT) | instid1(VALU_DEP_2)
	v_fma_f32 v5, v178, v126, -v5
	v_fma_f32 v4, v180, v128, -v4
	v_mul_f32_e32 v3, v177, v125
	s_delay_alu instid0(VALU_DEP_1) | instskip(NEXT) | instid1(VALU_DEP_1)
	v_fma_f32 v3, v176, v124, -v3
	v_dual_add_f32 v1, v1, v206 :: v_dual_add_f32 v2, v2, v3
	s_delay_alu instid0(VALU_DEP_1) | instskip(NEXT) | instid1(VALU_DEP_2)
	v_add_f32_e32 v1, v1, v207
	v_dual_mul_f32 v3, v183, v131 :: v_dual_add_f32 v2, v2, v5
	v_mul_f32_e32 v5, v185, v133
	s_delay_alu instid0(VALU_DEP_2) | instskip(NEXT) | instid1(VALU_DEP_3)
	v_fma_f32 v3, v182, v130, -v3
	v_add_f32_e32 v2, v2, v4
	v_dual_add_f32 v1, v1, v208 :: v_dual_mul_f32 v4, v187, v135
	s_delay_alu instid0(VALU_DEP_4) | instskip(NEXT) | instid1(VALU_DEP_2)
	v_fma_f32 v5, v184, v132, -v5
	v_dual_add_f32 v2, v2, v3 :: v_dual_add_f32 v1, v1, v209
	v_fmac_f32_e32 v211, v177, v124
	v_mul_f32_e32 v3, v189, v137
	v_fma_f32 v4, v186, v134, -v4
	s_delay_alu instid0(VALU_DEP_4) | instskip(SKIP_1) | instid1(VALU_DEP_4)
	v_dual_add_f32 v2, v2, v5 :: v_dual_add_f32 v1, v1, v210
	v_mul_f32_e32 v5, v191, v139
	v_fma_f32 v3, v188, v136, -v3
	s_delay_alu instid0(VALU_DEP_3) | instskip(SKIP_1) | instid1(VALU_DEP_4)
	v_dual_add_f32 v2, v2, v4 :: v_dual_add_f32 v1, v1, v211
	v_fmac_f32_e32 v213, v181, v128
	v_fma_f32 v5, v190, v138, -v5
	v_mul_f32_e32 v4, v193, v141
	s_delay_alu instid0(VALU_DEP_4) | instskip(NEXT) | instid1(VALU_DEP_2)
	v_dual_add_f32 v2, v2, v3 :: v_dual_add_f32 v1, v1, v212
	v_fma_f32 v3, v192, v140, -v4
	s_delay_alu instid0(VALU_DEP_2) | instskip(NEXT) | instid1(VALU_DEP_1)
	v_add_f32_e32 v2, v2, v5
	v_dual_add_f32 v1, v1, v213 :: v_dual_add_f32 v2, v2, v3
	s_delay_alu instid0(VALU_DEP_1) | instskip(NEXT) | instid1(VALU_DEP_1)
	v_add_f32_e32 v1, v1, v214
	v_add_f32_e32 v1, v1, v215
	s_delay_alu instid0(VALU_DEP_1) | instskip(NEXT) | instid1(VALU_DEP_1)
	v_add_f32_e32 v1, v1, v216
	v_add_f32_e32 v1, v1, v217
	;; [unrolled: 3-line block ×3, first 2 shown]
	s_wait_loadcnt 0x0
	s_delay_alu instid0(VALU_DEP_1)
	v_dual_sub_f32 v1, v194, v2 :: v_dual_sub_f32 v2, v195, v3
	scratch_store_b64 off, v[1:2], off offset:128
	v_cmpx_lt_u32_e32 15, v0
	s_cbranch_execz .LBB106_241
; %bb.240:
	scratch_load_b64 v[1:2], off, off offset:120
	v_mov_b32_e32 v3, 0
	s_delay_alu instid0(VALU_DEP_1)
	v_mov_b32_e32 v4, v3
	scratch_store_b64 off, v[3:4], off offset:120
	s_wait_loadcnt 0x0
	ds_store_b64 v23, v[1:2]
.LBB106_241:
	s_wait_alu 0xfffe
	s_or_b32 exec_lo, exec_lo, s0
	s_wait_storecnt_dscnt 0x0
	s_barrier_signal -1
	s_barrier_wait -1
	global_inv scope:SCOPE_SE
	s_clause 0xe
	scratch_load_b128 v[2:5], off, off offset:128
	scratch_load_b128 v[6:9], off, off offset:144
	;; [unrolled: 1-line block ×13, first 2 shown]
	scratch_load_b64 v[194:195], off, off offset:336
	scratch_load_b64 v[196:197], off, off offset:120
	v_mov_b32_e32 v1, 0
	ds_load_b128 v[142:145], v1 offset:480
	ds_load_b128 v[146:149], v1 offset:496
	;; [unrolled: 1-line block ×13, first 2 shown]
	ds_load_b64 v[198:199], v1 offset:688
	s_mov_b32 s0, exec_lo
	s_wait_loadcnt_dscnt 0xe0d
	v_mul_f32_e32 v22, v142, v3
	s_wait_loadcnt_dscnt 0xd0c
	v_dual_mul_f32 v200, v144, v5 :: v_dual_mul_f32 v201, v146, v7
	v_mul_f32_e32 v5, v145, v5
	s_wait_loadcnt_dscnt 0xc0b
	v_dual_mul_f32 v202, v148, v9 :: v_dual_mul_f32 v203, v150, v11
	s_wait_loadcnt_dscnt 0xb0a
	v_dual_mul_f32 v204, v152, v13 :: v_dual_mul_f32 v205, v154, v15
	v_mul_f32_e32 v3, v143, v3
	v_fmac_f32_e32 v22, v143, v2
	s_delay_alu instid0(VALU_DEP_3)
	v_dual_fmac_f32 v203, v151, v10 :: v_dual_fmac_f32 v204, v153, v12
	s_wait_loadcnt_dscnt 0x100
	v_dual_mul_f32 v222, v188, v137 :: v_dual_mul_f32 v225, v198, v195
	v_fma_f32 v3, v142, v2, -v3
	v_mul_f32_e32 v2, v147, v7
	v_fmac_f32_e32 v200, v145, v4
	v_fma_f32 v4, v144, v4, -v5
	v_dual_add_f32 v5, 0, v22 :: v_dual_fmac_f32 v202, v149, v8
	v_add_f32_e32 v3, 0, v3
	v_fmac_f32_e32 v201, v147, v6
	v_fma_f32 v2, v146, v6, -v2
	v_dual_mul_f32 v206, v156, v17 :: v_dual_mul_f32 v207, v158, v19
	s_delay_alu instid0(VALU_DEP_4) | instskip(SKIP_2) | instid1(VALU_DEP_4)
	v_add_f32_e32 v3, v3, v4
	v_mul_f32_e32 v7, v149, v9
	v_dual_add_f32 v4, v5, v200 :: v_dual_fmac_f32 v205, v155, v14
	v_fmac_f32_e32 v206, v157, v16
	s_delay_alu instid0(VALU_DEP_4) | instskip(NEXT) | instid1(VALU_DEP_4)
	v_add_f32_e32 v2, v3, v2
	v_fma_f32 v6, v148, v8, -v7
	v_mul_f32_e32 v5, v151, v11
	v_add_f32_e32 v3, v4, v201
	v_mul_f32_e32 v4, v153, v13
	v_dual_mul_f32 v208, v160, v21 :: v_dual_mul_f32 v209, v162, v111
	v_add_f32_e32 v2, v2, v6
	v_fma_f32 v5, v150, v10, -v5
	v_mul_f32_e32 v6, v155, v15
	v_add_f32_e32 v3, v3, v202
	v_fma_f32 v4, v152, v12, -v4
	v_dual_mul_f32 v210, v164, v113 :: v_dual_mul_f32 v211, v166, v115
	s_delay_alu instid0(VALU_DEP_3) | instskip(SKIP_2) | instid1(VALU_DEP_3)
	v_dual_add_f32 v2, v2, v5 :: v_dual_add_f32 v3, v3, v203
	v_mul_f32_e32 v5, v157, v17
	v_fma_f32 v6, v154, v14, -v6
	v_dual_fmac_f32 v207, v159, v18 :: v_dual_add_f32 v2, v2, v4
	s_delay_alu instid0(VALU_DEP_4) | instskip(SKIP_3) | instid1(VALU_DEP_4)
	v_add_f32_e32 v3, v3, v204
	v_mul_f32_e32 v4, v159, v19
	v_fma_f32 v5, v156, v16, -v5
	v_fmac_f32_e32 v208, v161, v20
	v_dual_add_f32 v2, v2, v6 :: v_dual_add_f32 v3, v3, v205
	v_mul_f32_e32 v6, v161, v21
	v_fma_f32 v4, v158, v18, -v4
	v_dual_fmac_f32 v209, v163, v110 :: v_dual_fmac_f32 v210, v165, v112
	s_delay_alu instid0(VALU_DEP_4) | instskip(SKIP_3) | instid1(VALU_DEP_4)
	v_dual_add_f32 v2, v2, v5 :: v_dual_add_f32 v3, v3, v206
	v_mul_f32_e32 v5, v163, v111
	v_fma_f32 v6, v160, v20, -v6
	v_dual_mul_f32 v212, v168, v117 :: v_dual_mul_f32 v213, v170, v119
	v_dual_add_f32 v2, v2, v4 :: v_dual_add_f32 v3, v3, v207
	v_mul_f32_e32 v4, v165, v113
	v_fma_f32 v5, v162, v110, -v5
	v_fmac_f32_e32 v211, v167, v114
	s_delay_alu instid0(VALU_DEP_4) | instskip(SKIP_3) | instid1(VALU_DEP_4)
	v_dual_add_f32 v2, v2, v6 :: v_dual_add_f32 v3, v3, v208
	v_mul_f32_e32 v6, v167, v115
	v_fma_f32 v4, v164, v112, -v4
	v_fmac_f32_e32 v212, v169, v116
	v_add_f32_e32 v2, v2, v5
	v_add_f32_e32 v3, v3, v209
	v_mul_f32_e32 v5, v169, v117
	v_fma_f32 v6, v166, v114, -v6
	v_dual_mul_f32 v214, v172, v121 :: v_dual_mul_f32 v215, v174, v123
	s_delay_alu instid0(VALU_DEP_4) | instskip(SKIP_3) | instid1(VALU_DEP_4)
	v_dual_add_f32 v2, v2, v4 :: v_dual_add_f32 v3, v3, v210
	v_mul_f32_e32 v4, v171, v119
	v_fma_f32 v5, v168, v116, -v5
	v_fmac_f32_e32 v213, v171, v118
	v_dual_add_f32 v2, v2, v6 :: v_dual_add_f32 v3, v3, v211
	v_mul_f32_e32 v6, v173, v121
	v_fma_f32 v4, v170, v118, -v4
	v_fmac_f32_e32 v214, v173, v120
	s_delay_alu instid0(VALU_DEP_4) | instskip(SKIP_2) | instid1(VALU_DEP_3)
	v_dual_add_f32 v2, v2, v5 :: v_dual_add_f32 v3, v3, v212
	v_dual_mul_f32 v5, v175, v123 :: v_dual_mul_f32 v216, v176, v125
	v_mul_f32_e32 v217, v178, v127
	v_dual_add_f32 v2, v2, v4 :: v_dual_add_f32 v3, v3, v213
	v_fma_f32 v6, v172, v120, -v6
	v_dual_mul_f32 v4, v177, v125 :: v_dual_fmac_f32 v215, v175, v122
	v_fma_f32 v5, v174, v122, -v5
	s_delay_alu instid0(VALU_DEP_4) | instskip(NEXT) | instid1(VALU_DEP_4)
	v_dual_add_f32 v3, v3, v214 :: v_dual_fmac_f32 v216, v177, v124
	v_add_f32_e32 v2, v2, v6
	v_mul_f32_e32 v6, v179, v127
	v_dual_mul_f32 v218, v180, v129 :: v_dual_mul_f32 v219, v182, v131
	s_delay_alu instid0(VALU_DEP_4) | instskip(SKIP_3) | instid1(VALU_DEP_4)
	v_add_f32_e32 v3, v3, v215
	v_fma_f32 v4, v176, v124, -v4
	v_dual_add_f32 v2, v2, v5 :: v_dual_fmac_f32 v217, v179, v126
	v_fma_f32 v6, v178, v126, -v6
	v_add_f32_e32 v3, v3, v216
	s_delay_alu instid0(VALU_DEP_3) | instskip(SKIP_1) | instid1(VALU_DEP_3)
	v_dual_mul_f32 v5, v181, v129 :: v_dual_add_f32 v2, v2, v4
	v_dual_fmac_f32 v218, v181, v128 :: v_dual_fmac_f32 v219, v183, v130
	v_add_f32_e32 v3, v3, v217
	v_dual_mul_f32 v220, v184, v133 :: v_dual_mul_f32 v221, v186, v135
	v_mul_f32_e32 v4, v183, v131
	v_fma_f32 v5, v180, v128, -v5
	v_add_f32_e32 v2, v2, v6
	v_dual_mul_f32 v6, v185, v133 :: v_dual_add_f32 v3, v3, v218
	s_delay_alu instid0(VALU_DEP_4) | instskip(SKIP_1) | instid1(VALU_DEP_4)
	v_fma_f32 v4, v182, v130, -v4
	v_fmac_f32_e32 v220, v185, v132
	v_dual_add_f32 v2, v2, v5 :: v_dual_mul_f32 v5, v187, v135
	s_delay_alu instid0(VALU_DEP_4) | instskip(SKIP_1) | instid1(VALU_DEP_3)
	v_add_f32_e32 v3, v3, v219
	v_fma_f32 v6, v184, v132, -v6
	v_dual_fmac_f32 v221, v187, v134 :: v_dual_add_f32 v2, v2, v4
	s_delay_alu instid0(VALU_DEP_3) | instskip(SKIP_2) | instid1(VALU_DEP_3)
	v_dual_mul_f32 v4, v189, v137 :: v_dual_add_f32 v3, v3, v220
	v_dual_mul_f32 v223, v190, v139 :: v_dual_mul_f32 v224, v192, v141
	v_fma_f32 v5, v186, v134, -v5
	v_dual_add_f32 v2, v2, v6 :: v_dual_add_f32 v3, v3, v221
	s_delay_alu instid0(VALU_DEP_3) | instskip(SKIP_2) | instid1(VALU_DEP_3)
	v_dual_fmac_f32 v222, v189, v136 :: v_dual_fmac_f32 v223, v191, v138
	v_mul_f32_e32 v6, v191, v139
	v_fma_f32 v4, v188, v136, -v4
	v_dual_add_f32 v2, v2, v5 :: v_dual_add_f32 v3, v3, v222
	v_mul_f32_e32 v5, v193, v141
	s_delay_alu instid0(VALU_DEP_4) | instskip(SKIP_1) | instid1(VALU_DEP_4)
	v_fma_f32 v6, v190, v138, -v6
	v_dual_fmac_f32 v224, v193, v140 :: v_dual_fmac_f32 v225, v199, v194
	v_dual_add_f32 v2, v2, v4 :: v_dual_add_f32 v3, v3, v223
	v_mul_f32_e32 v4, v199, v195
	v_fma_f32 v5, v192, v140, -v5
	s_delay_alu instid0(VALU_DEP_3) | instskip(NEXT) | instid1(VALU_DEP_3)
	v_dual_add_f32 v2, v2, v6 :: v_dual_add_f32 v3, v3, v224
	v_fma_f32 v4, v198, v194, -v4
	s_delay_alu instid0(VALU_DEP_2) | instskip(SKIP_1) | instid1(VALU_DEP_1)
	v_add_f32_e32 v3, v3, v225
	s_wait_loadcnt 0x0
	v_dual_add_f32 v2, v2, v5 :: v_dual_sub_f32 v3, v197, v3
	s_delay_alu instid0(VALU_DEP_1) | instskip(NEXT) | instid1(VALU_DEP_1)
	v_add_f32_e32 v2, v2, v4
	v_sub_f32_e32 v2, v196, v2
	scratch_store_b64 off, v[2:3], off offset:120
	v_cmpx_lt_u32_e32 14, v0
	s_cbranch_execz .LBB106_243
; %bb.242:
	scratch_load_b64 v[3:4], off, off offset:112
	v_mov_b32_e32 v2, v1
	scratch_store_b64 off, v[1:2], off offset:112
	s_wait_loadcnt 0x0
	ds_store_b64 v23, v[3:4]
.LBB106_243:
	s_wait_alu 0xfffe
	s_or_b32 exec_lo, exec_lo, s0
	s_wait_storecnt_dscnt 0x0
	s_barrier_signal -1
	s_barrier_wait -1
	global_inv scope:SCOPE_SE
	s_clause 0xe
	scratch_load_b128 v[2:5], off, off offset:120
	scratch_load_b128 v[6:9], off, off offset:136
	;; [unrolled: 1-line block ×14, first 2 shown]
	scratch_load_b64 v[202:203], off, off offset:112
	ds_load_2addr_b64 v[146:149], v1 offset0:59 offset1:60
	ds_load_2addr_b64 v[150:153], v1 offset0:61 offset1:62
	;; [unrolled: 1-line block ×14, first 2 shown]
	s_mov_b32 s0, exec_lo
	s_wait_loadcnt_dscnt 0xe0d
	v_dual_mul_f32 v1, v146, v3 :: v_dual_mul_f32 v22, v148, v5
	v_mul_f32_e32 v3, v147, v3
	s_wait_loadcnt_dscnt 0xd0c
	v_dual_mul_f32 v5, v149, v5 :: v_dual_mul_f32 v204, v150, v7
	s_delay_alu instid0(VALU_DEP_3) | instskip(NEXT) | instid1(VALU_DEP_3)
	v_dual_mul_f32 v205, v152, v9 :: v_dual_fmac_f32 v22, v149, v4
	v_fma_f32 v3, v146, v2, -v3
	v_fmac_f32_e32 v1, v147, v2
	v_mul_f32_e32 v2, v151, v7
	v_fma_f32 v4, v148, v4, -v5
	s_delay_alu instid0(VALU_DEP_4)
	v_dual_fmac_f32 v204, v151, v6 :: v_dual_add_f32 v3, 0, v3
	s_wait_loadcnt_dscnt 0xa09
	v_dual_mul_f32 v210, v162, v19 :: v_dual_mul_f32 v211, v164, v21
	v_fma_f32 v2, v150, v6, -v2
	v_dual_mul_f32 v206, v154, v11 :: v_dual_mul_f32 v207, v156, v13
	v_add_f32_e32 v3, v3, v4
	v_dual_mul_f32 v5, v153, v9 :: v_dual_mul_f32 v208, v158, v15
	v_dual_mul_f32 v209, v160, v17 :: v_dual_mul_f32 v4, v155, v11
	s_delay_alu instid0(VALU_DEP_3) | instskip(NEXT) | instid1(VALU_DEP_3)
	v_add_f32_e32 v2, v3, v2
	v_fma_f32 v5, v152, v8, -v5
	v_dual_mul_f32 v3, v157, v13 :: v_dual_fmac_f32 v210, v163, v18
	s_delay_alu instid0(VALU_DEP_4) | instskip(SKIP_1) | instid1(VALU_DEP_4)
	v_fma_f32 v4, v154, v10, -v4
	v_dual_fmac_f32 v205, v153, v8 :: v_dual_fmac_f32 v206, v155, v10
	v_add_f32_e32 v2, v2, v5
	v_add_f32_e32 v1, 0, v1
	v_fma_f32 v3, v156, v12, -v3
	v_fmac_f32_e32 v208, v159, v14
	s_wait_loadcnt_dscnt 0x908
	v_dual_mul_f32 v212, v166, v111 :: v_dual_mul_f32 v213, v168, v113
	v_dual_add_f32 v1, v1, v22 :: v_dual_add_f32 v2, v2, v4
	v_mul_f32_e32 v4, v161, v17
	s_wait_loadcnt_dscnt 0x706
	v_dual_mul_f32 v216, v174, v119 :: v_dual_mul_f32 v217, v176, v121
	s_delay_alu instid0(VALU_DEP_3) | instskip(NEXT) | instid1(VALU_DEP_3)
	v_dual_add_f32 v1, v1, v204 :: v_dual_add_f32 v2, v2, v3
	v_fma_f32 v4, v160, v16, -v4
	v_mul_f32_e32 v5, v159, v15
	v_dual_mul_f32 v214, v170, v115 :: v_dual_mul_f32 v215, v172, v117
	s_wait_loadcnt_dscnt 0x403
	v_dual_add_f32 v1, v1, v205 :: v_dual_mul_f32 v222, v186, v131
	v_mul_f32_e32 v223, v188, v133
	v_fma_f32 v5, v158, v14, -v5
	v_fmac_f32_e32 v207, v157, v12
	s_delay_alu instid0(VALU_DEP_4)
	v_add_f32_e32 v1, v1, v206
	v_fmac_f32_e32 v212, v167, v110
	v_dual_mul_f32 v218, v178, v123 :: v_dual_mul_f32 v219, v180, v125
	v_add_f32_e32 v2, v2, v5
	v_dual_fmac_f32 v214, v171, v114 :: v_dual_fmac_f32 v213, v169, v112
	v_dual_mul_f32 v220, v182, v127 :: v_dual_mul_f32 v221, v184, v129
	s_delay_alu instid0(VALU_DEP_3) | instskip(SKIP_2) | instid1(VALU_DEP_4)
	v_add_f32_e32 v2, v2, v4
	v_mul_f32_e32 v4, v167, v111
	v_add_f32_e32 v1, v1, v207
	v_dual_fmac_f32 v215, v173, v116 :: v_dual_fmac_f32 v220, v183, v126
	s_wait_loadcnt_dscnt 0x100
	v_dual_mul_f32 v228, v198, v143 :: v_dual_mul_f32 v229, v200, v145
	v_fma_f32 v4, v166, v110, -v4
	v_mul_f32_e32 v5, v165, v21
	v_dual_add_f32 v1, v1, v208 :: v_dual_fmac_f32 v216, v175, v118
	v_dual_fmac_f32 v217, v177, v120 :: v_dual_mul_f32 v224, v190, v135
	v_mul_f32_e32 v225, v192, v137
	s_delay_alu instid0(VALU_DEP_4) | instskip(SKIP_2) | instid1(VALU_DEP_4)
	v_fma_f32 v5, v164, v20, -v5
	v_mul_f32_e32 v3, v163, v19
	v_dual_mul_f32 v226, v194, v139 :: v_dual_mul_f32 v227, v196, v141
	v_fmac_f32_e32 v225, v193, v136
	v_fmac_f32_e32 v229, v201, v144
	s_delay_alu instid0(VALU_DEP_4) | instskip(SKIP_3) | instid1(VALU_DEP_4)
	v_fma_f32 v3, v162, v18, -v3
	v_fmac_f32_e32 v209, v161, v16
	v_dual_fmac_f32 v227, v197, v140 :: v_dual_fmac_f32 v222, v187, v130
	v_fmac_f32_e32 v218, v179, v122
	v_dual_add_f32 v2, v2, v3 :: v_dual_mul_f32 v3, v169, v113
	v_fmac_f32_e32 v228, v199, v142
	v_fmac_f32_e32 v224, v191, v134
	v_fmac_f32_e32 v226, v195, v138
	s_delay_alu instid0(VALU_DEP_4) | instskip(SKIP_1) | instid1(VALU_DEP_2)
	v_dual_add_f32 v2, v2, v5 :: v_dual_mul_f32 v5, v171, v115
	v_fma_f32 v3, v168, v112, -v3
	v_dual_add_f32 v2, v2, v4 :: v_dual_add_f32 v1, v1, v209
	v_mul_f32_e32 v4, v173, v117
	s_delay_alu instid0(VALU_DEP_4) | instskip(NEXT) | instid1(VALU_DEP_3)
	v_fma_f32 v5, v170, v114, -v5
	v_dual_add_f32 v2, v2, v3 :: v_dual_fmac_f32 v211, v165, v20
	s_delay_alu instid0(VALU_DEP_3) | instskip(NEXT) | instid1(VALU_DEP_2)
	v_fma_f32 v4, v172, v116, -v4
	v_add_f32_e32 v2, v2, v5
	v_mul_f32_e32 v5, v177, v121
	s_delay_alu instid0(VALU_DEP_2) | instskip(NEXT) | instid1(VALU_DEP_2)
	v_dual_add_f32 v1, v1, v210 :: v_dual_add_f32 v2, v2, v4
	v_fma_f32 v5, v176, v120, -v5
	v_mul_f32_e32 v3, v175, v119
	s_delay_alu instid0(VALU_DEP_3) | instskip(SKIP_1) | instid1(VALU_DEP_3)
	v_add_f32_e32 v1, v1, v211
	v_mul_f32_e32 v4, v179, v123
	v_fma_f32 v3, v174, v118, -v3
	s_delay_alu instid0(VALU_DEP_3) | instskip(NEXT) | instid1(VALU_DEP_3)
	v_add_f32_e32 v1, v1, v212
	v_fma_f32 v4, v178, v122, -v4
	s_delay_alu instid0(VALU_DEP_3) | instskip(NEXT) | instid1(VALU_DEP_1)
	v_add_f32_e32 v2, v2, v3
	v_add_f32_e32 v2, v2, v5
	s_delay_alu instid0(VALU_DEP_4) | instskip(NEXT) | instid1(VALU_DEP_2)
	v_add_f32_e32 v1, v1, v213
	v_dual_mul_f32 v5, v183, v127 :: v_dual_add_f32 v2, v2, v4
	v_mul_f32_e32 v4, v185, v129
	s_delay_alu instid0(VALU_DEP_2) | instskip(NEXT) | instid1(VALU_DEP_2)
	v_fma_f32 v5, v182, v126, -v5
	v_fma_f32 v4, v184, v128, -v4
	v_mul_f32_e32 v3, v181, v125
	s_delay_alu instid0(VALU_DEP_1) | instskip(NEXT) | instid1(VALU_DEP_1)
	v_fma_f32 v3, v180, v124, -v3
	v_dual_add_f32 v1, v1, v214 :: v_dual_add_f32 v2, v2, v3
	s_delay_alu instid0(VALU_DEP_1) | instskip(NEXT) | instid1(VALU_DEP_2)
	v_add_f32_e32 v1, v1, v215
	v_dual_mul_f32 v3, v187, v131 :: v_dual_add_f32 v2, v2, v5
	v_mul_f32_e32 v5, v189, v133
	s_delay_alu instid0(VALU_DEP_2) | instskip(NEXT) | instid1(VALU_DEP_3)
	v_fma_f32 v3, v186, v130, -v3
	v_add_f32_e32 v2, v2, v4
	v_dual_add_f32 v1, v1, v216 :: v_dual_mul_f32 v4, v191, v135
	s_delay_alu instid0(VALU_DEP_4) | instskip(NEXT) | instid1(VALU_DEP_2)
	v_fma_f32 v5, v188, v132, -v5
	v_dual_add_f32 v2, v2, v3 :: v_dual_add_f32 v1, v1, v217
	v_fmac_f32_e32 v219, v181, v124
	v_mul_f32_e32 v3, v193, v137
	v_fma_f32 v4, v190, v134, -v4
	s_delay_alu instid0(VALU_DEP_4) | instskip(SKIP_1) | instid1(VALU_DEP_4)
	v_dual_add_f32 v2, v2, v5 :: v_dual_add_f32 v1, v1, v218
	v_mul_f32_e32 v5, v195, v139
	v_fma_f32 v3, v192, v136, -v3
	s_delay_alu instid0(VALU_DEP_3) | instskip(SKIP_3) | instid1(VALU_DEP_4)
	v_dual_add_f32 v2, v2, v4 :: v_dual_add_f32 v1, v1, v219
	v_fmac_f32_e32 v221, v185, v128
	v_mul_f32_e32 v4, v197, v141
	v_fma_f32 v5, v194, v138, -v5
	v_dual_add_f32 v2, v2, v3 :: v_dual_add_f32 v1, v1, v220
	v_mul_f32_e32 v3, v199, v143
	s_delay_alu instid0(VALU_DEP_4) | instskip(NEXT) | instid1(VALU_DEP_3)
	v_fma_f32 v4, v196, v140, -v4
	v_add_f32_e32 v2, v2, v5
	s_delay_alu instid0(VALU_DEP_4) | instskip(SKIP_2) | instid1(VALU_DEP_4)
	v_add_f32_e32 v1, v1, v221
	v_mul_f32_e32 v5, v201, v145
	v_fma_f32 v3, v198, v142, -v3
	v_add_f32_e32 v2, v2, v4
	v_fmac_f32_e32 v223, v189, v132
	s_delay_alu instid0(VALU_DEP_4) | instskip(NEXT) | instid1(VALU_DEP_3)
	v_fma_f32 v4, v200, v144, -v5
	v_dual_add_f32 v2, v2, v3 :: v_dual_add_f32 v1, v1, v222
	s_delay_alu instid0(VALU_DEP_1) | instskip(NEXT) | instid1(VALU_DEP_1)
	v_dual_add_f32 v2, v2, v4 :: v_dual_add_f32 v1, v1, v223
	v_add_f32_e32 v1, v1, v224
	s_delay_alu instid0(VALU_DEP_1) | instskip(NEXT) | instid1(VALU_DEP_1)
	v_add_f32_e32 v1, v1, v225
	v_add_f32_e32 v1, v1, v226
	s_delay_alu instid0(VALU_DEP_1) | instskip(NEXT) | instid1(VALU_DEP_1)
	v_add_f32_e32 v1, v1, v227
	v_add_f32_e32 v1, v1, v228
	s_delay_alu instid0(VALU_DEP_1) | instskip(SKIP_1) | instid1(VALU_DEP_1)
	v_add_f32_e32 v3, v1, v229
	s_wait_loadcnt 0x0
	v_dual_sub_f32 v1, v202, v2 :: v_dual_sub_f32 v2, v203, v3
	scratch_store_b64 off, v[1:2], off offset:112
	v_cmpx_lt_u32_e32 13, v0
	s_cbranch_execz .LBB106_245
; %bb.244:
	scratch_load_b64 v[1:2], off, off offset:104
	v_mov_b32_e32 v3, 0
	s_delay_alu instid0(VALU_DEP_1)
	v_mov_b32_e32 v4, v3
	scratch_store_b64 off, v[3:4], off offset:104
	s_wait_loadcnt 0x0
	ds_store_b64 v23, v[1:2]
.LBB106_245:
	s_wait_alu 0xfffe
	s_or_b32 exec_lo, exec_lo, s0
	s_wait_storecnt_dscnt 0x0
	s_barrier_signal -1
	s_barrier_wait -1
	global_inv scope:SCOPE_SE
	s_clause 0xf
	scratch_load_b128 v[2:5], off, off offset:112
	scratch_load_b128 v[6:9], off, off offset:128
	;; [unrolled: 1-line block ×14, first 2 shown]
	scratch_load_b64 v[202:203], off, off offset:336
	scratch_load_b64 v[204:205], off, off offset:104
	v_mov_b32_e32 v1, 0
	ds_load_b128 v[146:149], v1 offset:464
	ds_load_b128 v[150:153], v1 offset:480
	;; [unrolled: 1-line block ×14, first 2 shown]
	ds_load_b64 v[206:207], v1 offset:688
	s_mov_b32 s0, exec_lo
	s_wait_loadcnt_dscnt 0xf0e
	v_mul_f32_e32 v22, v146, v3
	s_wait_loadcnt_dscnt 0xe0d
	v_dual_mul_f32 v208, v148, v5 :: v_dual_mul_f32 v209, v150, v7
	v_mul_f32_e32 v5, v149, v5
	s_wait_loadcnt_dscnt 0xd0c
	v_dual_mul_f32 v210, v152, v9 :: v_dual_mul_f32 v211, v154, v11
	s_wait_loadcnt_dscnt 0xc0b
	v_dual_mul_f32 v212, v156, v13 :: v_dual_mul_f32 v213, v158, v15
	v_dual_mul_f32 v3, v147, v3 :: v_dual_mul_f32 v214, v160, v17
	s_wait_loadcnt_dscnt 0xb0a
	v_dual_mul_f32 v215, v162, v19 :: v_dual_fmac_f32 v22, v147, v2
	s_wait_loadcnt_dscnt 0x302
	v_mul_f32_e32 v232, v196, v141
	v_fma_f32 v3, v146, v2, -v3
	s_wait_loadcnt_dscnt 0x100
	v_mul_f32_e32 v235, v206, v203
	v_mul_f32_e32 v2, v151, v7
	v_fmac_f32_e32 v208, v149, v4
	v_fma_f32 v4, v148, v4, -v5
	v_add_f32_e32 v3, 0, v3
	v_dual_add_f32 v5, 0, v22 :: v_dual_fmac_f32 v210, v153, v8
	v_fmac_f32_e32 v209, v151, v6
	v_fma_f32 v2, v150, v6, -v2
	s_delay_alu instid0(VALU_DEP_4) | instskip(SKIP_3) | instid1(VALU_DEP_4)
	v_add_f32_e32 v3, v3, v4
	v_mul_f32_e32 v7, v153, v9
	v_dual_add_f32 v4, v5, v208 :: v_dual_fmac_f32 v211, v155, v10
	v_fmac_f32_e32 v212, v157, v12
	v_add_f32_e32 v2, v3, v2
	s_delay_alu instid0(VALU_DEP_4)
	v_fma_f32 v6, v152, v8, -v7
	v_mul_f32_e32 v5, v155, v11
	v_add_f32_e32 v3, v4, v209
	v_dual_mul_f32 v4, v157, v13 :: v_dual_fmac_f32 v213, v159, v14
	v_fmac_f32_e32 v214, v161, v16
	v_add_f32_e32 v2, v2, v6
	v_fma_f32 v5, v154, v10, -v5
	v_mul_f32_e32 v6, v159, v15
	v_add_f32_e32 v3, v3, v210
	v_fma_f32 v4, v156, v12, -v4
	v_dual_mul_f32 v216, v164, v21 :: v_dual_mul_f32 v217, v166, v111
	s_delay_alu instid0(VALU_DEP_3) | instskip(SKIP_3) | instid1(VALU_DEP_4)
	v_dual_add_f32 v2, v2, v5 :: v_dual_add_f32 v3, v3, v211
	v_mul_f32_e32 v5, v161, v17
	v_fma_f32 v6, v158, v14, -v6
	v_dual_mul_f32 v218, v168, v113 :: v_dual_mul_f32 v219, v170, v115
	v_add_f32_e32 v2, v2, v4
	v_add_f32_e32 v3, v3, v212
	v_mul_f32_e32 v4, v163, v19
	v_fma_f32 v5, v160, v16, -v5
	v_fmac_f32_e32 v215, v163, v18
	s_delay_alu instid0(VALU_DEP_4) | instskip(SKIP_3) | instid1(VALU_DEP_4)
	v_dual_add_f32 v2, v2, v6 :: v_dual_add_f32 v3, v3, v213
	v_fmac_f32_e32 v216, v165, v20
	v_mul_f32_e32 v6, v165, v21
	v_fma_f32 v4, v162, v18, -v4
	v_dual_add_f32 v2, v2, v5 :: v_dual_add_f32 v3, v3, v214
	v_mul_f32_e32 v5, v167, v111
	s_delay_alu instid0(VALU_DEP_4) | instskip(SKIP_1) | instid1(VALU_DEP_4)
	v_fma_f32 v6, v164, v20, -v6
	v_dual_fmac_f32 v217, v167, v110 :: v_dual_fmac_f32 v218, v169, v112
	v_dual_add_f32 v2, v2, v4 :: v_dual_add_f32 v3, v3, v215
	v_mul_f32_e32 v4, v169, v113
	v_fma_f32 v5, v166, v110, -v5
	v_fmac_f32_e32 v219, v171, v114
	s_delay_alu instid0(VALU_DEP_4) | instskip(SKIP_3) | instid1(VALU_DEP_4)
	v_dual_add_f32 v2, v2, v6 :: v_dual_add_f32 v3, v3, v216
	v_mul_f32_e32 v6, v171, v115
	v_fma_f32 v4, v168, v112, -v4
	v_dual_mul_f32 v220, v172, v117 :: v_dual_mul_f32 v221, v174, v119
	v_add_f32_e32 v2, v2, v5
	v_add_f32_e32 v3, v3, v217
	v_mul_f32_e32 v5, v173, v117
	v_fma_f32 v6, v170, v114, -v6
	v_fmac_f32_e32 v220, v173, v116
	s_delay_alu instid0(VALU_DEP_4) | instskip(SKIP_3) | instid1(VALU_DEP_4)
	v_dual_add_f32 v2, v2, v4 :: v_dual_add_f32 v3, v3, v218
	v_mul_f32_e32 v4, v175, v119
	v_fma_f32 v5, v172, v116, -v5
	v_dual_mul_f32 v222, v176, v121 :: v_dual_mul_f32 v223, v178, v123
	v_dual_add_f32 v2, v2, v6 :: v_dual_add_f32 v3, v3, v219
	v_dual_mul_f32 v6, v177, v121 :: v_dual_fmac_f32 v221, v175, v118
	v_fma_f32 v4, v174, v118, -v4
	s_delay_alu instid0(VALU_DEP_3) | instskip(SKIP_3) | instid1(VALU_DEP_4)
	v_dual_add_f32 v2, v2, v5 :: v_dual_add_f32 v3, v3, v220
	v_dual_mul_f32 v224, v180, v125 :: v_dual_mul_f32 v225, v182, v127
	v_dual_mul_f32 v5, v179, v123 :: v_dual_fmac_f32 v222, v177, v120
	v_fma_f32 v6, v176, v120, -v6
	v_dual_add_f32 v2, v2, v4 :: v_dual_add_f32 v3, v3, v221
	v_dual_mul_f32 v4, v181, v125 :: v_dual_fmac_f32 v223, v179, v122
	s_delay_alu instid0(VALU_DEP_4) | instskip(NEXT) | instid1(VALU_DEP_3)
	v_fma_f32 v5, v178, v122, -v5
	v_dual_fmac_f32 v224, v181, v124 :: v_dual_add_f32 v3, v3, v222
	s_delay_alu instid0(VALU_DEP_4) | instskip(SKIP_3) | instid1(VALU_DEP_4)
	v_add_f32_e32 v2, v2, v6
	v_mul_f32_e32 v6, v183, v127
	v_fma_f32 v4, v180, v124, -v4
	v_dual_mul_f32 v226, v184, v129 :: v_dual_mul_f32 v227, v186, v131
	v_dual_add_f32 v3, v3, v223 :: v_dual_add_f32 v2, v2, v5
	v_fmac_f32_e32 v225, v183, v126
	v_mul_f32_e32 v5, v185, v129
	v_fma_f32 v6, v182, v126, -v6
	s_delay_alu instid0(VALU_DEP_4) | instskip(SKIP_4) | instid1(VALU_DEP_4)
	v_add_f32_e32 v3, v3, v224
	v_add_f32_e32 v2, v2, v4
	v_mul_f32_e32 v4, v187, v131
	v_dual_fmac_f32 v226, v185, v128 :: v_dual_fmac_f32 v227, v187, v130
	v_fma_f32 v5, v184, v128, -v5
	v_dual_add_f32 v3, v3, v225 :: v_dual_add_f32 v2, v2, v6
	v_dual_mul_f32 v228, v188, v133 :: v_dual_mul_f32 v229, v190, v135
	s_delay_alu instid0(VALU_DEP_2) | instskip(SKIP_1) | instid1(VALU_DEP_4)
	v_dual_mul_f32 v6, v189, v133 :: v_dual_add_f32 v3, v3, v226
	v_fma_f32 v4, v186, v130, -v4
	v_dual_add_f32 v2, v2, v5 :: v_dual_mul_f32 v5, v191, v135
	s_delay_alu instid0(VALU_DEP_3) | instskip(NEXT) | instid1(VALU_DEP_4)
	v_dual_fmac_f32 v228, v189, v132 :: v_dual_add_f32 v3, v3, v227
	v_fma_f32 v6, v188, v132, -v6
	s_delay_alu instid0(VALU_DEP_3) | instskip(SKIP_1) | instid1(VALU_DEP_4)
	v_dual_add_f32 v2, v2, v4 :: v_dual_fmac_f32 v229, v191, v134
	v_dual_mul_f32 v230, v192, v137 :: v_dual_mul_f32 v231, v194, v139
	v_dual_mul_f32 v4, v193, v137 :: v_dual_add_f32 v3, v3, v228
	v_fma_f32 v5, v190, v134, -v5
	s_delay_alu instid0(VALU_DEP_4)
	v_add_f32_e32 v2, v2, v6
	v_mul_f32_e32 v6, v195, v139
	v_dual_fmac_f32 v230, v193, v136 :: v_dual_fmac_f32 v231, v195, v138
	v_fma_f32 v4, v192, v136, -v4
	v_add_f32_e32 v3, v3, v229
	v_add_f32_e32 v2, v2, v5
	v_dual_mul_f32 v233, v198, v143 :: v_dual_mul_f32 v234, v200, v145
	v_mul_f32_e32 v5, v197, v141
	v_fma_f32 v6, v194, v138, -v6
	s_delay_alu instid0(VALU_DEP_4) | instskip(SKIP_3) | instid1(VALU_DEP_4)
	v_dual_add_f32 v3, v3, v230 :: v_dual_add_f32 v2, v2, v4
	v_mul_f32_e32 v4, v199, v143
	v_dual_fmac_f32 v232, v197, v140 :: v_dual_fmac_f32 v233, v199, v142
	v_fma_f32 v5, v196, v140, -v5
	v_dual_add_f32 v3, v3, v231 :: v_dual_add_f32 v2, v2, v6
	v_mul_f32_e32 v6, v201, v145
	v_fma_f32 v4, v198, v142, -v4
	v_fmac_f32_e32 v235, v207, v202
	s_delay_alu instid0(VALU_DEP_4) | instskip(SKIP_2) | instid1(VALU_DEP_3)
	v_dual_add_f32 v3, v3, v232 :: v_dual_add_f32 v2, v2, v5
	v_dual_mul_f32 v5, v207, v203 :: v_dual_fmac_f32 v234, v201, v144
	v_fma_f32 v6, v200, v144, -v6
	v_dual_add_f32 v3, v3, v233 :: v_dual_add_f32 v2, v2, v4
	s_delay_alu instid0(VALU_DEP_3) | instskip(NEXT) | instid1(VALU_DEP_2)
	v_fma_f32 v4, v206, v202, -v5
	v_add_f32_e32 v3, v3, v234
	s_delay_alu instid0(VALU_DEP_1) | instskip(SKIP_1) | instid1(VALU_DEP_1)
	v_dual_add_f32 v2, v2, v6 :: v_dual_add_f32 v3, v3, v235
	s_wait_loadcnt 0x0
	v_dual_add_f32 v2, v2, v4 :: v_dual_sub_f32 v3, v205, v3
	s_delay_alu instid0(VALU_DEP_1)
	v_sub_f32_e32 v2, v204, v2
	scratch_store_b64 off, v[2:3], off offset:104
	v_cmpx_lt_u32_e32 12, v0
	s_cbranch_execz .LBB106_247
; %bb.246:
	scratch_load_b64 v[3:4], off, off offset:96
	v_mov_b32_e32 v2, v1
	scratch_store_b64 off, v[1:2], off offset:96
	s_wait_loadcnt 0x0
	ds_store_b64 v23, v[3:4]
.LBB106_247:
	s_wait_alu 0xfffe
	s_or_b32 exec_lo, exec_lo, s0
	s_wait_storecnt_dscnt 0x0
	s_barrier_signal -1
	s_barrier_wait -1
	global_inv scope:SCOPE_SE
	s_clause 0xf
	scratch_load_b128 v[2:5], off, off offset:104
	scratch_load_b128 v[6:9], off, off offset:120
	;; [unrolled: 1-line block ×15, first 2 shown]
	scratch_load_b64 v[210:211], off, off offset:96
	ds_load_2addr_b64 v[150:153], v1 offset0:57 offset1:58
	ds_load_2addr_b64 v[154:157], v1 offset0:59 offset1:60
	;; [unrolled: 1-line block ×15, first 2 shown]
	s_mov_b32 s0, exec_lo
	s_wait_loadcnt_dscnt 0xf0e
	v_dual_mul_f32 v1, v150, v3 :: v_dual_mul_f32 v22, v152, v5
	v_mul_f32_e32 v3, v151, v3
	s_wait_loadcnt_dscnt 0xe0d
	v_dual_mul_f32 v5, v153, v5 :: v_dual_mul_f32 v212, v154, v7
	s_delay_alu instid0(VALU_DEP_3) | instskip(NEXT) | instid1(VALU_DEP_3)
	v_dual_mul_f32 v213, v156, v9 :: v_dual_fmac_f32 v22, v153, v4
	v_fma_f32 v3, v150, v2, -v3
	v_fmac_f32_e32 v1, v151, v2
	v_mul_f32_e32 v2, v155, v7
	v_fma_f32 v4, v152, v4, -v5
	s_delay_alu instid0(VALU_DEP_4)
	v_dual_fmac_f32 v212, v155, v6 :: v_dual_add_f32 v3, 0, v3
	s_wait_loadcnt_dscnt 0xb0a
	v_dual_mul_f32 v218, v166, v19 :: v_dual_mul_f32 v219, v168, v21
	v_fma_f32 v2, v154, v6, -v2
	v_dual_mul_f32 v214, v158, v11 :: v_dual_mul_f32 v215, v160, v13
	v_add_f32_e32 v3, v3, v4
	v_dual_mul_f32 v5, v157, v9 :: v_dual_mul_f32 v216, v162, v15
	v_dual_mul_f32 v217, v164, v17 :: v_dual_mul_f32 v4, v159, v11
	s_delay_alu instid0(VALU_DEP_3) | instskip(NEXT) | instid1(VALU_DEP_3)
	v_add_f32_e32 v2, v3, v2
	v_fma_f32 v5, v156, v8, -v5
	v_dual_mul_f32 v3, v161, v13 :: v_dual_fmac_f32 v218, v167, v18
	s_delay_alu instid0(VALU_DEP_4) | instskip(SKIP_1) | instid1(VALU_DEP_4)
	v_fma_f32 v4, v158, v10, -v4
	v_dual_fmac_f32 v213, v157, v8 :: v_dual_fmac_f32 v214, v159, v10
	v_add_f32_e32 v2, v2, v5
	v_add_f32_e32 v1, 0, v1
	v_fma_f32 v3, v160, v12, -v3
	v_fmac_f32_e32 v216, v163, v14
	s_wait_loadcnt_dscnt 0xa09
	v_dual_mul_f32 v220, v170, v111 :: v_dual_mul_f32 v221, v172, v113
	v_dual_add_f32 v1, v1, v22 :: v_dual_add_f32 v2, v2, v4
	v_mul_f32_e32 v4, v165, v17
	s_wait_loadcnt_dscnt 0x807
	v_dual_mul_f32 v224, v178, v119 :: v_dual_mul_f32 v225, v180, v121
	s_delay_alu instid0(VALU_DEP_3) | instskip(NEXT) | instid1(VALU_DEP_3)
	v_dual_add_f32 v1, v1, v212 :: v_dual_add_f32 v2, v2, v3
	v_fma_f32 v4, v164, v16, -v4
	v_mul_f32_e32 v5, v163, v15
	v_dual_mul_f32 v222, v174, v115 :: v_dual_mul_f32 v223, v176, v117
	s_wait_loadcnt_dscnt 0x504
	v_dual_add_f32 v1, v1, v213 :: v_dual_mul_f32 v230, v190, v131
	v_mul_f32_e32 v231, v192, v133
	v_fma_f32 v5, v162, v14, -v5
	v_fmac_f32_e32 v215, v161, v12
	s_delay_alu instid0(VALU_DEP_4)
	v_add_f32_e32 v1, v1, v214
	v_fmac_f32_e32 v220, v171, v110
	v_dual_mul_f32 v226, v182, v123 :: v_dual_mul_f32 v227, v184, v125
	v_add_f32_e32 v2, v2, v5
	v_dual_fmac_f32 v222, v175, v114 :: v_dual_fmac_f32 v221, v173, v112
	v_dual_mul_f32 v228, v186, v127 :: v_dual_mul_f32 v229, v188, v129
	s_delay_alu instid0(VALU_DEP_3) | instskip(SKIP_2) | instid1(VALU_DEP_4)
	v_add_f32_e32 v2, v2, v4
	v_mul_f32_e32 v4, v171, v111
	v_add_f32_e32 v1, v1, v215
	v_dual_fmac_f32 v223, v177, v116 :: v_dual_fmac_f32 v228, v187, v126
	s_wait_loadcnt_dscnt 0x201
	v_dual_mul_f32 v236, v202, v143 :: v_dual_mul_f32 v237, v204, v145
	v_fma_f32 v4, v170, v110, -v4
	v_mul_f32_e32 v5, v169, v21
	v_dual_add_f32 v1, v1, v216 :: v_dual_fmac_f32 v224, v179, v118
	v_dual_fmac_f32 v225, v181, v120 :: v_dual_mul_f32 v232, v194, v135
	v_mul_f32_e32 v233, v196, v137
	s_delay_alu instid0(VALU_DEP_4) | instskip(SKIP_4) | instid1(VALU_DEP_3)
	v_fma_f32 v5, v168, v20, -v5
	v_mul_f32_e32 v3, v167, v19
	s_wait_loadcnt_dscnt 0x100
	v_dual_mul_f32 v238, v206, v147 :: v_dual_mul_f32 v239, v208, v149
	v_dual_mul_f32 v234, v198, v139 :: v_dual_mul_f32 v235, v200, v141
	v_fma_f32 v3, v166, v18, -v3
	v_fmac_f32_e32 v217, v165, v16
	v_fmac_f32_e32 v231, v193, v132
	;; [unrolled: 1-line block ×3, first 2 shown]
	s_delay_alu instid0(VALU_DEP_4) | instskip(SKIP_3) | instid1(VALU_DEP_4)
	v_dual_fmac_f32 v235, v201, v140 :: v_dual_add_f32 v2, v2, v3
	v_mul_f32_e32 v3, v173, v113
	v_dual_fmac_f32 v239, v209, v148 :: v_dual_fmac_f32 v230, v191, v130
	v_fmac_f32_e32 v226, v183, v122
	v_dual_add_f32 v2, v2, v5 :: v_dual_mul_f32 v5, v175, v115
	s_delay_alu instid0(VALU_DEP_4) | instskip(SKIP_2) | instid1(VALU_DEP_4)
	v_fma_f32 v3, v172, v112, -v3
	v_fmac_f32_e32 v236, v203, v142
	v_fmac_f32_e32 v232, v195, v134
	v_dual_add_f32 v2, v2, v4 :: v_dual_add_f32 v1, v1, v217
	v_mul_f32_e32 v4, v177, v117
	v_fma_f32 v5, v174, v114, -v5
	v_fmac_f32_e32 v238, v207, v146
	s_delay_alu instid0(VALU_DEP_4) | instskip(NEXT) | instid1(VALU_DEP_4)
	v_dual_add_f32 v2, v2, v3 :: v_dual_fmac_f32 v219, v169, v20
	v_fma_f32 v4, v176, v116, -v4
	v_fmac_f32_e32 v234, v199, v138
	s_delay_alu instid0(VALU_DEP_3) | instskip(SKIP_1) | instid1(VALU_DEP_2)
	v_add_f32_e32 v2, v2, v5
	v_mul_f32_e32 v5, v181, v121
	v_dual_add_f32 v1, v1, v218 :: v_dual_add_f32 v2, v2, v4
	s_delay_alu instid0(VALU_DEP_2) | instskip(SKIP_1) | instid1(VALU_DEP_3)
	v_fma_f32 v5, v180, v120, -v5
	v_mul_f32_e32 v3, v179, v119
	v_add_f32_e32 v1, v1, v219
	v_mul_f32_e32 v4, v183, v123
	s_delay_alu instid0(VALU_DEP_3) | instskip(NEXT) | instid1(VALU_DEP_3)
	v_fma_f32 v3, v178, v118, -v3
	v_add_f32_e32 v1, v1, v220
	s_delay_alu instid0(VALU_DEP_3) | instskip(NEXT) | instid1(VALU_DEP_3)
	v_fma_f32 v4, v182, v122, -v4
	v_add_f32_e32 v2, v2, v3
	s_delay_alu instid0(VALU_DEP_1) | instskip(NEXT) | instid1(VALU_DEP_4)
	v_add_f32_e32 v2, v2, v5
	v_add_f32_e32 v1, v1, v221
	s_delay_alu instid0(VALU_DEP_2) | instskip(SKIP_1) | instid1(VALU_DEP_2)
	v_dual_mul_f32 v5, v187, v127 :: v_dual_add_f32 v2, v2, v4
	v_mul_f32_e32 v4, v189, v129
	v_fma_f32 v5, v186, v126, -v5
	s_delay_alu instid0(VALU_DEP_2) | instskip(SKIP_1) | instid1(VALU_DEP_1)
	v_fma_f32 v4, v188, v128, -v4
	v_mul_f32_e32 v3, v185, v125
	v_fma_f32 v3, v184, v124, -v3
	s_delay_alu instid0(VALU_DEP_1) | instskip(NEXT) | instid1(VALU_DEP_1)
	v_dual_add_f32 v1, v1, v222 :: v_dual_add_f32 v2, v2, v3
	v_add_f32_e32 v1, v1, v223
	s_delay_alu instid0(VALU_DEP_2) | instskip(SKIP_1) | instid1(VALU_DEP_2)
	v_dual_mul_f32 v3, v191, v131 :: v_dual_add_f32 v2, v2, v5
	v_mul_f32_e32 v5, v193, v133
	v_fma_f32 v3, v190, v130, -v3
	s_delay_alu instid0(VALU_DEP_3) | instskip(SKIP_1) | instid1(VALU_DEP_4)
	v_add_f32_e32 v2, v2, v4
	v_dual_add_f32 v1, v1, v224 :: v_dual_mul_f32 v4, v195, v135
	v_fma_f32 v5, v192, v132, -v5
	s_delay_alu instid0(VALU_DEP_2) | instskip(SKIP_3) | instid1(VALU_DEP_4)
	v_dual_add_f32 v2, v2, v3 :: v_dual_add_f32 v1, v1, v225
	v_fmac_f32_e32 v227, v185, v124
	v_mul_f32_e32 v3, v197, v137
	v_fma_f32 v4, v194, v134, -v4
	v_dual_add_f32 v2, v2, v5 :: v_dual_add_f32 v1, v1, v226
	v_mul_f32_e32 v5, v199, v139
	s_delay_alu instid0(VALU_DEP_4) | instskip(NEXT) | instid1(VALU_DEP_3)
	v_fma_f32 v3, v196, v136, -v3
	v_dual_add_f32 v2, v2, v4 :: v_dual_add_f32 v1, v1, v227
	v_fmac_f32_e32 v229, v189, v128
	v_mul_f32_e32 v4, v201, v141
	v_fma_f32 v5, v198, v138, -v5
	s_delay_alu instid0(VALU_DEP_4) | instskip(SKIP_1) | instid1(VALU_DEP_4)
	v_dual_add_f32 v2, v2, v3 :: v_dual_add_f32 v1, v1, v228
	v_mul_f32_e32 v3, v203, v143
	v_fma_f32 v4, v200, v140, -v4
	s_delay_alu instid0(VALU_DEP_3) | instskip(NEXT) | instid1(VALU_DEP_4)
	v_add_f32_e32 v2, v2, v5
	v_add_f32_e32 v1, v1, v229
	v_mul_f32_e32 v5, v205, v145
	v_fma_f32 v3, v202, v142, -v3
	s_delay_alu instid0(VALU_DEP_3) | instskip(SKIP_1) | instid1(VALU_DEP_4)
	v_dual_add_f32 v2, v2, v4 :: v_dual_add_f32 v1, v1, v230
	v_mul_f32_e32 v4, v207, v147
	v_fma_f32 v5, v204, v144, -v5
	s_delay_alu instid0(VALU_DEP_3) | instskip(NEXT) | instid1(VALU_DEP_4)
	v_add_f32_e32 v2, v2, v3
	v_add_f32_e32 v1, v1, v231
	v_mul_f32_e32 v3, v209, v149
	v_fma_f32 v4, v206, v146, -v4
	s_delay_alu instid0(VALU_DEP_3) | instskip(NEXT) | instid1(VALU_DEP_3)
	v_dual_add_f32 v2, v2, v5 :: v_dual_add_f32 v1, v1, v232
	v_fma_f32 v3, v208, v148, -v3
	s_delay_alu instid0(VALU_DEP_2) | instskip(NEXT) | instid1(VALU_DEP_1)
	v_add_f32_e32 v2, v2, v4
	v_dual_fmac_f32 v233, v197, v136 :: v_dual_add_f32 v2, v2, v3
	s_delay_alu instid0(VALU_DEP_1) | instskip(NEXT) | instid1(VALU_DEP_1)
	v_add_f32_e32 v1, v1, v233
	v_add_f32_e32 v1, v1, v234
	s_delay_alu instid0(VALU_DEP_1) | instskip(NEXT) | instid1(VALU_DEP_1)
	v_add_f32_e32 v1, v1, v235
	v_add_f32_e32 v1, v1, v236
	;; [unrolled: 3-line block ×3, first 2 shown]
	s_delay_alu instid0(VALU_DEP_1) | instskip(SKIP_1) | instid1(VALU_DEP_1)
	v_add_f32_e32 v3, v1, v239
	s_wait_loadcnt 0x0
	v_dual_sub_f32 v1, v210, v2 :: v_dual_sub_f32 v2, v211, v3
	scratch_store_b64 off, v[1:2], off offset:96
	v_cmpx_lt_u32_e32 11, v0
	s_cbranch_execz .LBB106_249
; %bb.248:
	scratch_load_b64 v[1:2], off, off offset:88
	v_mov_b32_e32 v3, 0
	s_delay_alu instid0(VALU_DEP_1)
	v_mov_b32_e32 v4, v3
	scratch_store_b64 off, v[3:4], off offset:88
	s_wait_loadcnt 0x0
	ds_store_b64 v23, v[1:2]
.LBB106_249:
	s_wait_alu 0xfffe
	s_or_b32 exec_lo, exec_lo, s0
	s_wait_storecnt_dscnt 0x0
	s_barrier_signal -1
	s_barrier_wait -1
	global_inv scope:SCOPE_SE
	s_clause 0x10
	scratch_load_b128 v[2:5], off, off offset:96
	scratch_load_b128 v[6:9], off, off offset:112
	;; [unrolled: 1-line block ×15, first 2 shown]
	scratch_load_b64 v[210:211], off, off offset:336
	scratch_load_b64 v[212:213], off, off offset:88
	v_mov_b32_e32 v1, 0
	ds_load_b128 v[150:153], v1 offset:448
	ds_load_b128 v[154:157], v1 offset:464
	;; [unrolled: 1-line block ×15, first 2 shown]
	ds_load_b64 v[214:215], v1 offset:688
	s_mov_b32 s0, exec_lo
	s_wait_loadcnt_dscnt 0x100f
	v_mul_f32_e32 v22, v150, v3
	s_wait_loadcnt_dscnt 0xf0e
	v_dual_mul_f32 v216, v152, v5 :: v_dual_mul_f32 v217, v154, v7
	v_mul_f32_e32 v5, v153, v5
	s_wait_loadcnt_dscnt 0xe0d
	v_dual_mul_f32 v218, v156, v9 :: v_dual_mul_f32 v219, v158, v11
	s_wait_loadcnt_dscnt 0xd0c
	v_dual_mul_f32 v220, v160, v13 :: v_dual_mul_f32 v221, v162, v15
	;; [unrolled: 2-line block ×3, first 2 shown]
	v_mul_f32_e32 v3, v151, v3
	v_fmac_f32_e32 v22, v151, v2
	v_dual_fmac_f32 v219, v159, v10 :: v_dual_fmac_f32 v220, v161, v12
	s_wait_loadcnt_dscnt 0x100
	v_dual_mul_f32 v242, v204, v145 :: v_dual_mul_f32 v245, v214, v211
	v_fma_f32 v3, v150, v2, -v3
	v_mul_f32_e32 v2, v155, v7
	v_fmac_f32_e32 v216, v153, v4
	v_fma_f32 v4, v152, v4, -v5
	v_dual_add_f32 v5, 0, v22 :: v_dual_fmac_f32 v218, v157, v8
	v_add_f32_e32 v3, 0, v3
	v_fmac_f32_e32 v217, v155, v6
	v_fma_f32 v2, v154, v6, -v2
	v_dual_fmac_f32 v221, v163, v14 :: v_dual_fmac_f32 v222, v165, v16
	s_delay_alu instid0(VALU_DEP_4) | instskip(SKIP_3) | instid1(VALU_DEP_4)
	v_add_f32_e32 v3, v3, v4
	v_mul_f32_e32 v7, v157, v9
	v_add_f32_e32 v4, v5, v216
	v_dual_mul_f32 v224, v168, v21 :: v_dual_mul_f32 v225, v170, v111
	v_add_f32_e32 v2, v3, v2
	s_delay_alu instid0(VALU_DEP_4)
	v_fma_f32 v6, v156, v8, -v7
	v_mul_f32_e32 v5, v159, v11
	v_add_f32_e32 v3, v4, v217
	v_mul_f32_e32 v4, v161, v13
	v_dual_mul_f32 v226, v172, v113 :: v_dual_mul_f32 v227, v174, v115
	v_add_f32_e32 v2, v2, v6
	v_fma_f32 v5, v158, v10, -v5
	v_mul_f32_e32 v6, v163, v15
	v_add_f32_e32 v3, v3, v218
	v_fma_f32 v4, v160, v12, -v4
	v_dual_fmac_f32 v225, v171, v110 :: v_dual_fmac_f32 v226, v173, v112
	s_delay_alu instid0(VALU_DEP_3) | instskip(SKIP_2) | instid1(VALU_DEP_3)
	v_dual_add_f32 v2, v2, v5 :: v_dual_add_f32 v3, v3, v219
	v_mul_f32_e32 v5, v165, v17
	v_fma_f32 v6, v162, v14, -v6
	v_dual_fmac_f32 v223, v167, v18 :: v_dual_add_f32 v2, v2, v4
	s_delay_alu instid0(VALU_DEP_4) | instskip(SKIP_3) | instid1(VALU_DEP_4)
	v_add_f32_e32 v3, v3, v220
	v_mul_f32_e32 v4, v167, v19
	v_fma_f32 v5, v164, v16, -v5
	v_fmac_f32_e32 v224, v169, v20
	v_dual_add_f32 v2, v2, v6 :: v_dual_add_f32 v3, v3, v221
	v_mul_f32_e32 v6, v169, v21
	v_fma_f32 v4, v166, v18, -v4
	v_dual_mul_f32 v228, v176, v117 :: v_dual_mul_f32 v229, v178, v119
	s_delay_alu instid0(VALU_DEP_4) | instskip(SKIP_3) | instid1(VALU_DEP_4)
	v_dual_add_f32 v2, v2, v5 :: v_dual_add_f32 v3, v3, v222
	v_mul_f32_e32 v5, v171, v111
	v_fma_f32 v6, v168, v20, -v6
	v_dual_mul_f32 v230, v180, v121 :: v_dual_mul_f32 v231, v182, v123
	v_dual_add_f32 v2, v2, v4 :: v_dual_add_f32 v3, v3, v223
	v_mul_f32_e32 v4, v173, v113
	v_fma_f32 v5, v170, v110, -v5
	v_fmac_f32_e32 v227, v175, v114
	s_delay_alu instid0(VALU_DEP_4) | instskip(SKIP_3) | instid1(VALU_DEP_4)
	v_dual_add_f32 v2, v2, v6 :: v_dual_add_f32 v3, v3, v224
	v_mul_f32_e32 v6, v175, v115
	v_fma_f32 v4, v172, v112, -v4
	v_fmac_f32_e32 v228, v177, v116
	v_add_f32_e32 v2, v2, v5
	v_add_f32_e32 v3, v3, v225
	v_mul_f32_e32 v5, v177, v117
	v_fma_f32 v6, v174, v114, -v6
	s_delay_alu instid0(VALU_DEP_4) | instskip(NEXT) | instid1(VALU_DEP_4)
	v_dual_fmac_f32 v229, v179, v118 :: v_dual_add_f32 v2, v2, v4
	v_add_f32_e32 v3, v3, v226
	v_mul_f32_e32 v4, v179, v119
	v_fma_f32 v5, v176, v116, -v5
	v_fmac_f32_e32 v230, v181, v120
	s_delay_alu instid0(VALU_DEP_4) | instskip(SKIP_3) | instid1(VALU_DEP_4)
	v_dual_add_f32 v2, v2, v6 :: v_dual_add_f32 v3, v3, v227
	v_mul_f32_e32 v6, v181, v121
	v_fma_f32 v4, v178, v118, -v4
	v_dual_mul_f32 v232, v184, v125 :: v_dual_mul_f32 v233, v186, v127
	v_dual_add_f32 v2, v2, v5 :: v_dual_add_f32 v3, v3, v228
	v_mul_f32_e32 v5, v183, v123
	v_fma_f32 v6, v180, v120, -v6
	s_delay_alu instid0(VALU_DEP_3) | instskip(NEXT) | instid1(VALU_DEP_4)
	v_dual_fmac_f32 v231, v183, v122 :: v_dual_add_f32 v2, v2, v4
	v_add_f32_e32 v3, v3, v229
	v_mul_f32_e32 v4, v185, v125
	v_fma_f32 v5, v182, v122, -v5
	v_fmac_f32_e32 v232, v185, v124
	v_dual_mul_f32 v234, v188, v129 :: v_dual_mul_f32 v235, v190, v131
	v_add_f32_e32 v3, v3, v230
	v_add_f32_e32 v2, v2, v6
	v_mul_f32_e32 v6, v187, v127
	v_fma_f32 v4, v184, v124, -v4
	v_fmac_f32_e32 v233, v187, v126
	s_delay_alu instid0(VALU_DEP_4) | instskip(NEXT) | instid1(VALU_DEP_4)
	v_dual_add_f32 v3, v3, v231 :: v_dual_add_f32 v2, v2, v5
	v_fma_f32 v6, v186, v126, -v6
	v_mul_f32_e32 v5, v189, v129
	v_dual_fmac_f32 v234, v189, v128 :: v_dual_fmac_f32 v235, v191, v130
	s_delay_alu instid0(VALU_DEP_4) | instskip(SKIP_3) | instid1(VALU_DEP_4)
	v_add_f32_e32 v3, v3, v232
	v_add_f32_e32 v2, v2, v4
	v_dual_mul_f32 v236, v192, v133 :: v_dual_mul_f32 v237, v194, v135
	v_mul_f32_e32 v4, v191, v131
	v_add_f32_e32 v3, v3, v233
	v_fma_f32 v5, v188, v128, -v5
	v_add_f32_e32 v2, v2, v6
	v_mul_f32_e32 v6, v193, v133
	v_fma_f32 v4, v190, v130, -v4
	v_dual_add_f32 v3, v3, v234 :: v_dual_fmac_f32 v236, v193, v132
	s_delay_alu instid0(VALU_DEP_4) | instskip(SKIP_1) | instid1(VALU_DEP_3)
	v_dual_add_f32 v2, v2, v5 :: v_dual_mul_f32 v5, v195, v135
	v_dual_mul_f32 v238, v196, v137 :: v_dual_mul_f32 v239, v198, v139
	v_add_f32_e32 v3, v3, v235
	v_fma_f32 v6, v192, v132, -v6
	s_delay_alu instid0(VALU_DEP_4) | instskip(NEXT) | instid1(VALU_DEP_3)
	v_dual_add_f32 v2, v2, v4 :: v_dual_fmac_f32 v237, v195, v134
	v_dual_mul_f32 v4, v197, v137 :: v_dual_add_f32 v3, v3, v236
	v_fma_f32 v5, v194, v134, -v5
	s_delay_alu instid0(VALU_DEP_3) | instskip(SKIP_1) | instid1(VALU_DEP_4)
	v_add_f32_e32 v2, v2, v6
	v_dual_fmac_f32 v238, v197, v136 :: v_dual_fmac_f32 v239, v199, v138
	v_add_f32_e32 v3, v3, v237
	v_dual_mul_f32 v240, v200, v141 :: v_dual_mul_f32 v241, v202, v143
	v_mul_f32_e32 v6, v199, v139
	v_fma_f32 v4, v196, v136, -v4
	s_delay_alu instid0(VALU_DEP_4) | instskip(SKIP_1) | instid1(VALU_DEP_4)
	v_dual_add_f32 v2, v2, v5 :: v_dual_add_f32 v3, v3, v238
	v_mul_f32_e32 v5, v201, v141
	v_fma_f32 v6, v198, v138, -v6
	v_dual_fmac_f32 v240, v201, v140 :: v_dual_fmac_f32 v241, v203, v142
	s_delay_alu instid0(VALU_DEP_4) | instskip(SKIP_3) | instid1(VALU_DEP_4)
	v_dual_add_f32 v2, v2, v4 :: v_dual_add_f32 v3, v3, v239
	v_mul_f32_e32 v4, v203, v143
	v_fma_f32 v5, v200, v140, -v5
	v_dual_mul_f32 v243, v206, v147 :: v_dual_mul_f32 v244, v208, v149
	v_dual_add_f32 v2, v2, v6 :: v_dual_add_f32 v3, v3, v240
	s_delay_alu instid0(VALU_DEP_4) | instskip(SKIP_2) | instid1(VALU_DEP_4)
	v_fma_f32 v4, v202, v142, -v4
	v_fmac_f32_e32 v242, v205, v144
	v_mul_f32_e32 v6, v205, v145
	v_dual_add_f32 v2, v2, v5 :: v_dual_fmac_f32 v243, v207, v146
	v_add_f32_e32 v3, v3, v241
	v_mul_f32_e32 v5, v207, v147
	s_delay_alu instid0(VALU_DEP_4) | instskip(NEXT) | instid1(VALU_DEP_4)
	v_fma_f32 v6, v204, v144, -v6
	v_add_f32_e32 v2, v2, v4
	v_dual_fmac_f32 v244, v209, v148 :: v_dual_fmac_f32 v245, v215, v210
	v_dual_add_f32 v3, v3, v242 :: v_dual_mul_f32 v4, v209, v149
	v_fma_f32 v5, v206, v146, -v5
	s_delay_alu instid0(VALU_DEP_2) | instskip(SKIP_1) | instid1(VALU_DEP_4)
	v_dual_add_f32 v3, v3, v243 :: v_dual_add_f32 v2, v2, v6
	v_mul_f32_e32 v6, v215, v211
	v_fma_f32 v4, v208, v148, -v4
	s_delay_alu instid0(VALU_DEP_3) | instskip(NEXT) | instid1(VALU_DEP_1)
	v_add_f32_e32 v3, v3, v244
	v_add_f32_e32 v3, v3, v245
	;; [unrolled: 1-line block ×3, first 2 shown]
	v_fma_f32 v5, v214, v210, -v6
	s_wait_loadcnt 0x0
	s_delay_alu instid0(VALU_DEP_2) | instskip(NEXT) | instid1(VALU_DEP_1)
	v_dual_sub_f32 v3, v213, v3 :: v_dual_add_f32 v2, v2, v4
	v_add_f32_e32 v2, v2, v5
	s_delay_alu instid0(VALU_DEP_1)
	v_sub_f32_e32 v2, v212, v2
	scratch_store_b64 off, v[2:3], off offset:88
	v_cmpx_lt_u32_e32 10, v0
	s_cbranch_execz .LBB106_251
; %bb.250:
	scratch_load_b64 v[3:4], off, off offset:80
	v_mov_b32_e32 v2, v1
	scratch_store_b64 off, v[1:2], off offset:80
	s_wait_loadcnt 0x0
	ds_store_b64 v23, v[3:4]
.LBB106_251:
	s_wait_alu 0xfffe
	s_or_b32 exec_lo, exec_lo, s0
	s_wait_storecnt_dscnt 0x0
	s_barrier_signal -1
	s_barrier_wait -1
	global_inv scope:SCOPE_SE
	s_clause 0x10
	scratch_load_b128 v[2:5], off, off offset:88
	scratch_load_b128 v[6:9], off, off offset:104
	;; [unrolled: 1-line block ×16, first 2 shown]
	scratch_load_b64 v[218:219], off, off offset:80
	ds_load_2addr_b64 v[154:157], v1 offset0:55 offset1:56
	ds_load_2addr_b64 v[158:161], v1 offset0:57 offset1:58
	;; [unrolled: 1-line block ×16, first 2 shown]
	s_mov_b32 s0, exec_lo
	s_wait_loadcnt_dscnt 0x100f
	v_dual_mul_f32 v1, v154, v3 :: v_dual_mul_f32 v22, v156, v5
	v_mul_f32_e32 v3, v155, v3
	s_wait_loadcnt_dscnt 0xf0e
	v_dual_mul_f32 v5, v157, v5 :: v_dual_mul_f32 v220, v158, v7
	s_delay_alu instid0(VALU_DEP_3) | instskip(NEXT) | instid1(VALU_DEP_3)
	v_dual_mul_f32 v221, v160, v9 :: v_dual_fmac_f32 v22, v157, v4
	v_fma_f32 v3, v154, v2, -v3
	v_fmac_f32_e32 v1, v155, v2
	v_mul_f32_e32 v2, v159, v7
	v_fma_f32 v4, v156, v4, -v5
	s_delay_alu instid0(VALU_DEP_4)
	v_dual_fmac_f32 v220, v159, v6 :: v_dual_add_f32 v3, 0, v3
	s_wait_loadcnt_dscnt 0xc0b
	v_dual_mul_f32 v226, v170, v19 :: v_dual_mul_f32 v227, v172, v21
	v_fma_f32 v2, v158, v6, -v2
	v_dual_mul_f32 v222, v162, v11 :: v_dual_mul_f32 v223, v164, v13
	v_add_f32_e32 v3, v3, v4
	v_dual_mul_f32 v5, v161, v9 :: v_dual_mul_f32 v224, v166, v15
	v_dual_mul_f32 v225, v168, v17 :: v_dual_mul_f32 v4, v163, v11
	s_delay_alu instid0(VALU_DEP_3) | instskip(NEXT) | instid1(VALU_DEP_3)
	v_add_f32_e32 v2, v3, v2
	v_fma_f32 v5, v160, v8, -v5
	v_dual_mul_f32 v3, v165, v13 :: v_dual_fmac_f32 v226, v171, v18
	s_delay_alu instid0(VALU_DEP_4) | instskip(SKIP_1) | instid1(VALU_DEP_4)
	v_fma_f32 v4, v162, v10, -v4
	v_dual_fmac_f32 v221, v161, v8 :: v_dual_fmac_f32 v222, v163, v10
	v_add_f32_e32 v2, v2, v5
	v_add_f32_e32 v1, 0, v1
	v_fma_f32 v3, v164, v12, -v3
	v_fmac_f32_e32 v224, v167, v14
	s_wait_loadcnt_dscnt 0xb0a
	v_dual_mul_f32 v228, v174, v111 :: v_dual_mul_f32 v229, v176, v113
	v_dual_add_f32 v1, v1, v22 :: v_dual_add_f32 v2, v2, v4
	v_mul_f32_e32 v4, v169, v17
	s_wait_loadcnt_dscnt 0x908
	v_dual_mul_f32 v232, v182, v119 :: v_dual_mul_f32 v233, v184, v121
	s_delay_alu instid0(VALU_DEP_3) | instskip(NEXT) | instid1(VALU_DEP_3)
	v_dual_add_f32 v1, v1, v220 :: v_dual_add_f32 v2, v2, v3
	v_fma_f32 v4, v168, v16, -v4
	v_mul_f32_e32 v5, v167, v15
	v_dual_mul_f32 v230, v178, v115 :: v_dual_mul_f32 v231, v180, v117
	s_wait_loadcnt_dscnt 0x605
	v_dual_add_f32 v1, v1, v221 :: v_dual_mul_f32 v238, v194, v131
	v_mul_f32_e32 v239, v196, v133
	v_fma_f32 v5, v166, v14, -v5
	v_fmac_f32_e32 v223, v165, v12
	s_delay_alu instid0(VALU_DEP_4)
	v_add_f32_e32 v1, v1, v222
	v_fmac_f32_e32 v228, v175, v110
	v_dual_mul_f32 v234, v186, v123 :: v_dual_mul_f32 v235, v188, v125
	v_add_f32_e32 v2, v2, v5
	v_dual_fmac_f32 v230, v179, v114 :: v_dual_fmac_f32 v229, v177, v112
	v_dual_mul_f32 v236, v190, v127 :: v_dual_mul_f32 v237, v192, v129
	s_delay_alu instid0(VALU_DEP_3) | instskip(SKIP_2) | instid1(VALU_DEP_4)
	v_add_f32_e32 v2, v2, v4
	v_mul_f32_e32 v4, v175, v111
	v_add_f32_e32 v1, v1, v223
	v_dual_fmac_f32 v231, v181, v116 :: v_dual_fmac_f32 v236, v191, v126
	s_wait_loadcnt_dscnt 0x302
	v_dual_mul_f32 v244, v206, v143 :: v_dual_mul_f32 v245, v208, v145
	v_fma_f32 v4, v174, v110, -v4
	v_mul_f32_e32 v5, v173, v21
	v_dual_add_f32 v1, v1, v224 :: v_dual_fmac_f32 v232, v183, v118
	v_dual_fmac_f32 v233, v185, v120 :: v_dual_mul_f32 v240, v198, v135
	v_mul_f32_e32 v241, v200, v137
	s_delay_alu instid0(VALU_DEP_4) | instskip(SKIP_4) | instid1(VALU_DEP_3)
	v_fma_f32 v5, v172, v20, -v5
	v_mul_f32_e32 v3, v171, v19
	s_wait_loadcnt_dscnt 0x201
	v_dual_mul_f32 v246, v210, v147 :: v_dual_mul_f32 v247, v212, v149
	v_dual_mul_f32 v242, v202, v139 :: v_dual_mul_f32 v243, v204, v141
	v_fma_f32 v3, v170, v18, -v3
	v_fmac_f32_e32 v225, v169, v16
	s_wait_loadcnt_dscnt 0x100
	v_dual_fmac_f32 v239, v197, v132 :: v_dual_mul_f32 v248, v214, v151
	s_delay_alu instid0(VALU_DEP_3) | instskip(SKIP_1) | instid1(VALU_DEP_3)
	v_dual_mul_f32 v249, v216, v153 :: v_dual_add_f32 v2, v2, v3
	v_mul_f32_e32 v3, v177, v113
	v_dual_fmac_f32 v241, v201, v136 :: v_dual_fmac_f32 v248, v215, v150
	s_delay_alu instid0(VALU_DEP_3) | instskip(SKIP_1) | instid1(VALU_DEP_4)
	v_dual_fmac_f32 v245, v209, v144 :: v_dual_add_f32 v2, v2, v5
	v_mul_f32_e32 v5, v179, v115
	v_fma_f32 v3, v176, v112, -v3
	v_dual_fmac_f32 v238, v195, v130 :: v_dual_fmac_f32 v247, v213, v148
	s_delay_alu instid0(VALU_DEP_4) | instskip(SKIP_3) | instid1(VALU_DEP_4)
	v_dual_add_f32 v2, v2, v4 :: v_dual_add_f32 v1, v1, v225
	v_mul_f32_e32 v4, v181, v117
	v_fma_f32 v5, v178, v114, -v5
	v_fmac_f32_e32 v234, v187, v122
	v_dual_add_f32 v2, v2, v3 :: v_dual_fmac_f32 v227, v173, v20
	s_delay_alu instid0(VALU_DEP_4) | instskip(SKIP_1) | instid1(VALU_DEP_3)
	v_fma_f32 v4, v180, v116, -v4
	v_dual_fmac_f32 v249, v217, v152 :: v_dual_fmac_f32 v244, v207, v142
	v_add_f32_e32 v2, v2, v5
	v_mul_f32_e32 v5, v185, v121
	v_add_f32_e32 v1, v1, v226
	v_fmac_f32_e32 v240, v199, v134
	v_fmac_f32_e32 v246, v211, v146
	v_add_f32_e32 v2, v2, v4
	v_fma_f32 v5, v184, v120, -v5
	v_mul_f32_e32 v3, v183, v119
	v_add_f32_e32 v1, v1, v227
	v_mul_f32_e32 v4, v187, v123
	v_fmac_f32_e32 v242, v203, v138
	s_delay_alu instid0(VALU_DEP_4) | instskip(NEXT) | instid1(VALU_DEP_4)
	v_fma_f32 v3, v182, v118, -v3
	v_add_f32_e32 v1, v1, v228
	s_delay_alu instid0(VALU_DEP_4) | instskip(NEXT) | instid1(VALU_DEP_3)
	v_fma_f32 v4, v186, v122, -v4
	v_add_f32_e32 v2, v2, v3
	s_delay_alu instid0(VALU_DEP_1) | instskip(NEXT) | instid1(VALU_DEP_4)
	v_add_f32_e32 v2, v2, v5
	v_add_f32_e32 v1, v1, v229
	s_delay_alu instid0(VALU_DEP_2) | instskip(SKIP_1) | instid1(VALU_DEP_2)
	v_dual_mul_f32 v5, v191, v127 :: v_dual_add_f32 v2, v2, v4
	v_mul_f32_e32 v4, v193, v129
	v_fma_f32 v5, v190, v126, -v5
	s_delay_alu instid0(VALU_DEP_2) | instskip(SKIP_1) | instid1(VALU_DEP_1)
	v_fma_f32 v4, v192, v128, -v4
	v_mul_f32_e32 v3, v189, v125
	v_fma_f32 v3, v188, v124, -v3
	s_delay_alu instid0(VALU_DEP_1) | instskip(NEXT) | instid1(VALU_DEP_1)
	v_dual_add_f32 v1, v1, v230 :: v_dual_add_f32 v2, v2, v3
	v_add_f32_e32 v1, v1, v231
	s_delay_alu instid0(VALU_DEP_2) | instskip(SKIP_1) | instid1(VALU_DEP_2)
	v_dual_mul_f32 v3, v195, v131 :: v_dual_add_f32 v2, v2, v5
	v_mul_f32_e32 v5, v197, v133
	v_fma_f32 v3, v194, v130, -v3
	s_delay_alu instid0(VALU_DEP_3) | instskip(SKIP_1) | instid1(VALU_DEP_4)
	v_add_f32_e32 v2, v2, v4
	v_dual_add_f32 v1, v1, v232 :: v_dual_mul_f32 v4, v199, v135
	v_fma_f32 v5, v196, v132, -v5
	s_delay_alu instid0(VALU_DEP_2) | instskip(SKIP_3) | instid1(VALU_DEP_4)
	v_dual_add_f32 v2, v2, v3 :: v_dual_add_f32 v1, v1, v233
	v_fmac_f32_e32 v235, v189, v124
	v_mul_f32_e32 v3, v201, v137
	v_fma_f32 v4, v198, v134, -v4
	v_dual_add_f32 v2, v2, v5 :: v_dual_add_f32 v1, v1, v234
	v_mul_f32_e32 v5, v203, v139
	s_delay_alu instid0(VALU_DEP_4) | instskip(NEXT) | instid1(VALU_DEP_3)
	v_fma_f32 v3, v200, v136, -v3
	v_dual_add_f32 v2, v2, v4 :: v_dual_add_f32 v1, v1, v235
	v_fmac_f32_e32 v237, v193, v128
	v_mul_f32_e32 v4, v205, v141
	v_fma_f32 v5, v202, v138, -v5
	s_delay_alu instid0(VALU_DEP_4) | instskip(SKIP_1) | instid1(VALU_DEP_4)
	v_dual_add_f32 v2, v2, v3 :: v_dual_add_f32 v1, v1, v236
	v_mul_f32_e32 v3, v207, v143
	v_fma_f32 v4, v204, v140, -v4
	s_delay_alu instid0(VALU_DEP_3) | instskip(NEXT) | instid1(VALU_DEP_4)
	v_add_f32_e32 v2, v2, v5
	v_add_f32_e32 v1, v1, v237
	v_mul_f32_e32 v5, v209, v145
	v_fma_f32 v3, v206, v142, -v3
	s_delay_alu instid0(VALU_DEP_3) | instskip(SKIP_1) | instid1(VALU_DEP_4)
	v_dual_add_f32 v2, v2, v4 :: v_dual_add_f32 v1, v1, v238
	v_mul_f32_e32 v4, v211, v147
	v_fma_f32 v5, v208, v144, -v5
	s_delay_alu instid0(VALU_DEP_3) | instskip(NEXT) | instid1(VALU_DEP_4)
	v_add_f32_e32 v2, v2, v3
	v_add_f32_e32 v1, v1, v239
	v_mul_f32_e32 v3, v213, v149
	v_fma_f32 v4, v210, v146, -v4
	s_delay_alu instid0(VALU_DEP_4) | instskip(NEXT) | instid1(VALU_DEP_3)
	v_dual_add_f32 v2, v2, v5 :: v_dual_mul_f32 v5, v215, v151
	v_fma_f32 v3, v212, v148, -v3
	s_delay_alu instid0(VALU_DEP_2) | instskip(SKIP_3) | instid1(VALU_DEP_4)
	v_add_f32_e32 v2, v2, v4
	v_add_f32_e32 v1, v1, v240
	v_mul_f32_e32 v4, v217, v153
	v_fma_f32 v5, v214, v150, -v5
	v_dual_add_f32 v2, v2, v3 :: v_dual_fmac_f32 v243, v205, v140
	s_delay_alu instid0(VALU_DEP_3) | instskip(NEXT) | instid1(VALU_DEP_2)
	v_fma_f32 v3, v216, v152, -v4
	v_add_f32_e32 v2, v2, v5
	s_delay_alu instid0(VALU_DEP_1) | instskip(NEXT) | instid1(VALU_DEP_1)
	v_dual_add_f32 v1, v1, v241 :: v_dual_add_f32 v2, v2, v3
	v_add_f32_e32 v1, v1, v242
	s_delay_alu instid0(VALU_DEP_1) | instskip(NEXT) | instid1(VALU_DEP_1)
	v_add_f32_e32 v1, v1, v243
	v_add_f32_e32 v1, v1, v244
	s_delay_alu instid0(VALU_DEP_1) | instskip(NEXT) | instid1(VALU_DEP_1)
	v_add_f32_e32 v1, v1, v245
	;; [unrolled: 3-line block ×3, first 2 shown]
	v_add_f32_e32 v1, v1, v248
	s_delay_alu instid0(VALU_DEP_1) | instskip(SKIP_1) | instid1(VALU_DEP_1)
	v_add_f32_e32 v3, v1, v249
	s_wait_loadcnt 0x0
	v_dual_sub_f32 v1, v218, v2 :: v_dual_sub_f32 v2, v219, v3
	scratch_store_b64 off, v[1:2], off offset:80
	v_cmpx_lt_u32_e32 9, v0
	s_cbranch_execz .LBB106_253
; %bb.252:
	scratch_load_b64 v[1:2], off, off offset:72
	v_mov_b32_e32 v3, 0
	s_delay_alu instid0(VALU_DEP_1)
	v_mov_b32_e32 v4, v3
	scratch_store_b64 off, v[3:4], off offset:72
	s_wait_loadcnt 0x0
	ds_store_b64 v23, v[1:2]
.LBB106_253:
	s_wait_alu 0xfffe
	s_or_b32 exec_lo, exec_lo, s0
	s_wait_storecnt_dscnt 0x0
	s_barrier_signal -1
	s_barrier_wait -1
	global_inv scope:SCOPE_SE
	s_clause 0x4
	scratch_load_b128 v[5:8], off, off offset:80
	scratch_load_b128 v[1:4], off, off offset:96
	;; [unrolled: 1-line block ×5, first 2 shown]
	v_mov_b32_e32 v21, 0
	ds_load_b128 v[110:113], v21 offset:432
	ds_load_b128 v[114:117], v21 offset:448
	;; [unrolled: 1-line block ×3, first 2 shown]
	scratch_load_b64 v[122:123], off, off offset:72
	s_mov_b32 s0, exec_lo
	s_wait_loadcnt_dscnt 0x502
	v_mul_f32_e32 v22, v111, v6
	v_dual_mul_f32 v124, v110, v6 :: v_dual_mul_f32 v125, v112, v8
	v_mul_f32_e32 v6, v113, v8
	s_delay_alu instid0(VALU_DEP_3) | instskip(NEXT) | instid1(VALU_DEP_3)
	v_fma_f32 v22, v110, v5, -v22
	v_dual_fmac_f32 v124, v111, v5 :: v_dual_fmac_f32 v125, v113, v7
	s_wait_loadcnt_dscnt 0x401
	v_mul_f32_e32 v111, v114, v2
	v_fma_f32 v110, v112, v7, -v6
	ds_load_b128 v[5:8], v21 offset:480
	s_wait_loadcnt_dscnt 0x301
	v_dual_mul_f32 v112, v116, v4 :: v_dual_mul_f32 v113, v118, v10
	v_dual_mul_f32 v4, v117, v4 :: v_dual_fmac_f32 v111, v115, v1
	v_mul_f32_e32 v10, v119, v10
	s_delay_alu instid0(VALU_DEP_3)
	v_dual_mul_f32 v126, v120, v12 :: v_dual_fmac_f32 v113, v119, v9
	v_mul_f32_e32 v12, v121, v12
	v_mul_f32_e32 v2, v115, v2
	v_fmac_f32_e32 v112, v117, v3
	v_fma_f32 v115, v116, v3, -v4
	v_fma_f32 v116, v118, v9, -v10
	v_fmac_f32_e32 v126, v121, v11
	v_fma_f32 v117, v120, v11, -v12
	ds_load_b128 v[9:12], v21 offset:496
	s_wait_loadcnt_dscnt 0x201
	v_dual_mul_f32 v119, v7, v16 :: v_dual_mul_f32 v118, v5, v14
	v_mul_f32_e32 v14, v6, v14
	v_mul_f32_e32 v16, v8, v16
	s_delay_alu instid0(VALU_DEP_3)
	v_fmac_f32_e32 v119, v8, v15
	v_fma_f32 v114, v114, v1, -v2
	scratch_load_b128 v[1:4], off, off offset:160
	v_fmac_f32_e32 v118, v6, v13
	v_fma_f32 v13, v5, v13, -v14
	v_fma_f32 v14, v7, v15, -v16
	ds_load_b128 v[5:8], v21 offset:512
	s_wait_loadcnt_dscnt 0x201
	v_mul_f32_e32 v15, v9, v18
	v_mul_f32_e32 v16, v10, v18
	;; [unrolled: 1-line block ×3, first 2 shown]
	s_delay_alu instid0(VALU_DEP_3) | instskip(NEXT) | instid1(VALU_DEP_3)
	v_dual_mul_f32 v20, v12, v20 :: v_dual_fmac_f32 v15, v10, v17
	v_fma_f32 v16, v9, v17, -v16
	s_delay_alu instid0(VALU_DEP_3) | instskip(NEXT) | instid1(VALU_DEP_3)
	v_fmac_f32_e32 v18, v12, v19
	v_fma_f32 v17, v11, v19, -v20
	scratch_load_b128 v[9:12], off, off offset:176
	s_wait_loadcnt_dscnt 0x100
	v_mul_f32_e32 v19, v5, v2
	v_mul_f32_e32 v2, v6, v2
	;; [unrolled: 1-line block ×3, first 2 shown]
	s_delay_alu instid0(VALU_DEP_3) | instskip(NEXT) | instid1(VALU_DEP_3)
	v_dual_mul_f32 v4, v8, v4 :: v_dual_fmac_f32 v19, v6, v1
	v_fma_f32 v120, v5, v1, -v2
	s_delay_alu instid0(VALU_DEP_3) | instskip(NEXT) | instid1(VALU_DEP_3)
	v_fmac_f32_e32 v20, v8, v3
	v_fma_f32 v121, v7, v3, -v4
	ds_load_b128 v[1:4], v21 offset:528
	ds_load_b128 v[5:8], v21 offset:544
	s_wait_loadcnt_dscnt 0x1
	v_mul_f32_e32 v127, v1, v10
	v_mul_f32_e32 v10, v2, v10
	s_delay_alu instid0(VALU_DEP_2) | instskip(NEXT) | instid1(VALU_DEP_2)
	v_dual_mul_f32 v128, v3, v12 :: v_dual_fmac_f32 v127, v2, v9
	v_fma_f32 v129, v1, v9, -v10
	v_mul_f32_e32 v1, v4, v12
	s_delay_alu instid0(VALU_DEP_3) | instskip(NEXT) | instid1(VALU_DEP_2)
	v_fmac_f32_e32 v128, v4, v11
	v_fma_f32 v130, v3, v11, -v1
	s_clause 0x1
	scratch_load_b128 v[1:4], off, off offset:192
	scratch_load_b128 v[9:12], off, off offset:208
	s_wait_loadcnt_dscnt 0x100
	v_mul_f32_e32 v131, v5, v2
	v_dual_mul_f32 v2, v6, v2 :: v_dual_mul_f32 v133, v7, v4
	s_delay_alu instid0(VALU_DEP_2) | instskip(NEXT) | instid1(VALU_DEP_2)
	v_fmac_f32_e32 v131, v6, v1
	v_fma_f32 v132, v5, v1, -v2
	v_mul_f32_e32 v1, v8, v4
	s_delay_alu instid0(VALU_DEP_4) | instskip(NEXT) | instid1(VALU_DEP_2)
	v_fmac_f32_e32 v133, v8, v3
	v_fma_f32 v134, v7, v3, -v1
	ds_load_b128 v[1:4], v21 offset:560
	ds_load_b128 v[5:8], v21 offset:576
	s_wait_loadcnt_dscnt 0x1
	v_mul_f32_e32 v135, v1, v10
	v_mul_f32_e32 v137, v3, v12
	s_delay_alu instid0(VALU_DEP_2) | instskip(NEXT) | instid1(VALU_DEP_2)
	v_fmac_f32_e32 v135, v2, v9
	v_dual_mul_f32 v2, v2, v10 :: v_dual_fmac_f32 v137, v4, v11
	s_delay_alu instid0(VALU_DEP_1) | instskip(SKIP_1) | instid1(VALU_DEP_1)
	v_fma_f32 v136, v1, v9, -v2
	v_mul_f32_e32 v1, v4, v12
	v_fma_f32 v138, v3, v11, -v1
	s_clause 0x1
	scratch_load_b128 v[1:4], off, off offset:224
	scratch_load_b128 v[9:12], off, off offset:240
	s_wait_loadcnt_dscnt 0x100
	v_mul_f32_e32 v139, v5, v2
	v_dual_mul_f32 v141, v7, v4 :: v_dual_mul_f32 v2, v6, v2
	s_delay_alu instid0(VALU_DEP_2) | instskip(NEXT) | instid1(VALU_DEP_2)
	v_fmac_f32_e32 v139, v6, v1
	v_fmac_f32_e32 v141, v8, v3
	s_delay_alu instid0(VALU_DEP_3) | instskip(SKIP_1) | instid1(VALU_DEP_1)
	v_fma_f32 v140, v5, v1, -v2
	v_mul_f32_e32 v1, v8, v4
	v_fma_f32 v142, v7, v3, -v1
	ds_load_b128 v[1:4], v21 offset:592
	ds_load_b128 v[5:8], v21 offset:608
	s_wait_loadcnt_dscnt 0x1
	v_mul_f32_e32 v143, v1, v10
	v_mul_f32_e32 v145, v3, v12
	s_delay_alu instid0(VALU_DEP_2) | instskip(NEXT) | instid1(VALU_DEP_2)
	v_fmac_f32_e32 v143, v2, v9
	v_dual_mul_f32 v2, v2, v10 :: v_dual_fmac_f32 v145, v4, v11
	s_delay_alu instid0(VALU_DEP_1) | instskip(SKIP_1) | instid1(VALU_DEP_1)
	v_fma_f32 v144, v1, v9, -v2
	v_mul_f32_e32 v1, v4, v12
	v_fma_f32 v146, v3, v11, -v1
	s_clause 0x1
	scratch_load_b128 v[1:4], off, off offset:256
	scratch_load_b128 v[9:12], off, off offset:272
	s_wait_loadcnt_dscnt 0x100
	v_mul_f32_e32 v147, v5, v2
	v_mul_f32_e32 v2, v6, v2
	s_delay_alu instid0(VALU_DEP_1) | instskip(SKIP_1) | instid1(VALU_DEP_1)
	v_fma_f32 v148, v5, v1, -v2
	v_add_f32_e32 v2, 0, v124
	v_add_f32_e32 v2, v2, v125
	s_delay_alu instid0(VALU_DEP_1) | instskip(NEXT) | instid1(VALU_DEP_1)
	v_add_f32_e32 v2, v2, v111
	v_add_f32_e32 v2, v2, v112
	v_mul_f32_e32 v149, v7, v4
	v_fmac_f32_e32 v147, v6, v1
	s_delay_alu instid0(VALU_DEP_2) | instskip(NEXT) | instid1(VALU_DEP_1)
	v_dual_add_f32 v2, v2, v113 :: v_dual_fmac_f32 v149, v8, v3
	v_dual_add_f32 v2, v2, v126 :: v_dual_mul_f32 v1, v8, v4
	s_delay_alu instid0(VALU_DEP_1) | instskip(NEXT) | instid1(VALU_DEP_2)
	v_add_f32_e32 v2, v2, v118
	v_fma_f32 v150, v7, v3, -v1
	s_delay_alu instid0(VALU_DEP_2) | instskip(NEXT) | instid1(VALU_DEP_1)
	v_dual_add_f32 v1, 0, v22 :: v_dual_add_f32 v2, v2, v119
	v_add_f32_e32 v1, v1, v110
	s_delay_alu instid0(VALU_DEP_1) | instskip(NEXT) | instid1(VALU_DEP_1)
	v_add_f32_e32 v1, v1, v114
	v_add_f32_e32 v1, v1, v115
	scratch_load_b64 v[114:115], off, off offset:336
	v_add_f32_e32 v1, v1, v116
	s_delay_alu instid0(VALU_DEP_1) | instskip(NEXT) | instid1(VALU_DEP_1)
	v_add_f32_e32 v1, v1, v117
	v_add_f32_e32 v1, v1, v13
	s_delay_alu instid0(VALU_DEP_1) | instskip(NEXT) | instid1(VALU_DEP_1)
	v_add_f32_e32 v1, v1, v14
	v_add_f32_e32 v1, v1, v16
	s_delay_alu instid0(VALU_DEP_1) | instskip(SKIP_2) | instid1(VALU_DEP_1)
	v_dual_add_f32 v5, v2, v15 :: v_dual_add_f32 v6, v1, v17
	ds_load_b128 v[1:4], v21 offset:624
	v_dual_add_f32 v5, v5, v18 :: v_dual_add_f32 v6, v6, v120
	v_add_f32_e32 v13, v6, v121
	s_delay_alu instid0(VALU_DEP_1) | instskip(NEXT) | instid1(VALU_DEP_1)
	v_add_f32_e32 v13, v13, v129
	v_add_f32_e32 v13, v13, v130
	s_delay_alu instid0(VALU_DEP_1) | instskip(NEXT) | instid1(VALU_DEP_1)
	v_add_f32_e32 v13, v13, v132
	v_add_f32_e32 v18, v13, v134
	s_delay_alu instid0(VALU_DEP_1) | instskip(NEXT) | instid1(VALU_DEP_1)
	v_dual_add_f32 v5, v5, v19 :: v_dual_add_f32 v18, v18, v136
	v_add_f32_e32 v14, v5, v20
	ds_load_b128 v[5:8], v21 offset:640
	s_wait_loadcnt_dscnt 0x101
	v_mul_f32_e32 v22, v1, v10
	v_mul_f32_e32 v10, v2, v10
	;; [unrolled: 1-line block ×4, first 2 shown]
	v_add_f32_e32 v14, v14, v127
	v_fmac_f32_e32 v22, v2, v9
	v_fma_f32 v119, v1, v9, -v10
	v_fmac_f32_e32 v118, v4, v11
	v_fma_f32 v120, v3, v11, -v12
	s_clause 0x1
	scratch_load_b128 v[1:4], off, off offset:288
	scratch_load_b128 v[9:12], off, off offset:304
	v_add_f32_e32 v14, v14, v128
	v_add_f32_e32 v18, v18, v138
	s_delay_alu instid0(VALU_DEP_2) | instskip(SKIP_2) | instid1(VALU_DEP_1)
	v_add_f32_e32 v17, v14, v131
	scratch_load_b128 v[13:16], off, off offset:320
	v_dual_add_f32 v18, v18, v140 :: v_dual_add_f32 v17, v17, v133
	v_add_f32_e32 v18, v18, v142
	s_delay_alu instid0(VALU_DEP_1) | instskip(NEXT) | instid1(VALU_DEP_1)
	v_add_f32_e32 v116, v18, v144
	v_add_f32_e32 v121, v116, v146
	s_wait_loadcnt_dscnt 0x200
	v_mul_f32_e32 v125, v5, v2
	v_dual_mul_f32 v2, v6, v2 :: v_dual_add_f32 v17, v17, v135
	v_mul_f32_e32 v126, v7, v4
	v_mul_f32_e32 v4, v8, v4
	s_delay_alu instid0(VALU_DEP_3) | instskip(NEXT) | instid1(VALU_DEP_3)
	v_fma_f32 v2, v5, v1, -v2
	v_dual_add_f32 v17, v17, v137 :: v_dual_fmac_f32 v126, v8, v3
	s_delay_alu instid0(VALU_DEP_1) | instskip(NEXT) | instid1(VALU_DEP_1)
	v_add_f32_e32 v17, v17, v139
	v_add_f32_e32 v110, v17, v141
	ds_load_b128 v[17:20], v21 offset:656
	v_add_f32_e32 v117, v110, v143
	ds_load_b128 v[110:113], v21 offset:672
	v_add_f32_e32 v124, v117, v145
	ds_load_b64 v[116:117], v21 offset:688
	v_add_f32_e32 v124, v124, v147
	s_delay_alu instid0(VALU_DEP_1) | instskip(SKIP_2) | instid1(VALU_DEP_2)
	v_dual_add_f32 v124, v124, v149 :: v_dual_add_f32 v121, v121, v148
	s_wait_loadcnt_dscnt 0x102
	v_mul_f32_e32 v5, v20, v12
	v_add_f32_e32 v22, v124, v22
	s_delay_alu instid0(VALU_DEP_3) | instskip(SKIP_3) | instid1(VALU_DEP_3)
	v_dual_add_f32 v121, v121, v150 :: v_dual_mul_f32 v124, v19, v12
	v_fmac_f32_e32 v125, v6, v1
	s_wait_loadcnt_dscnt 0x1
	v_mul_f32_e32 v127, v110, v14
	v_dual_add_f32 v22, v22, v118 :: v_dual_add_f32 v119, v121, v119
	s_wait_dscnt 0x0
	v_dual_mul_f32 v121, v17, v10 :: v_dual_mul_f32 v118, v116, v115
	v_fma_f32 v1, v7, v3, -v4
	v_dual_mul_f32 v3, v18, v10 :: v_dual_fmac_f32 v124, v20, v11
	v_dual_add_f32 v119, v119, v120 :: v_dual_add_f32 v4, v22, v125
	s_delay_alu instid0(VALU_DEP_4) | instskip(NEXT) | instid1(VALU_DEP_3)
	v_dual_mul_f32 v120, v112, v16 :: v_dual_fmac_f32 v121, v18, v9
	v_fma_f32 v3, v17, v9, -v3
	s_delay_alu instid0(VALU_DEP_3) | instskip(SKIP_1) | instid1(VALU_DEP_2)
	v_add_f32_e32 v2, v119, v2
	v_fmac_f32_e32 v118, v117, v114
	v_dual_fmac_f32 v120, v113, v15 :: v_dual_add_f32 v1, v2, v1
	v_add_f32_e32 v2, v4, v126
	v_mul_f32_e32 v4, v111, v14
	v_fma_f32 v5, v19, v11, -v5
	s_delay_alu instid0(VALU_DEP_3) | instskip(SKIP_1) | instid1(VALU_DEP_4)
	v_dual_add_f32 v1, v1, v3 :: v_dual_add_f32 v2, v2, v121
	v_fmac_f32_e32 v127, v111, v13
	v_fma_f32 v4, v110, v13, -v4
	s_delay_alu instid0(VALU_DEP_3) | instskip(NEXT) | instid1(VALU_DEP_1)
	v_add_f32_e32 v2, v2, v124
	v_dual_mul_f32 v3, v113, v16 :: v_dual_add_f32 v2, v2, v127
	v_add_f32_e32 v1, v1, v5
	s_delay_alu instid0(VALU_DEP_2) | instskip(NEXT) | instid1(VALU_DEP_3)
	v_fma_f32 v3, v112, v15, -v3
	v_dual_add_f32 v2, v2, v120 :: v_dual_mul_f32 v5, v117, v115
	s_delay_alu instid0(VALU_DEP_1) | instskip(NEXT) | instid1(VALU_DEP_2)
	v_dual_add_f32 v2, v2, v118 :: v_dual_add_f32 v1, v1, v4
	v_fma_f32 v4, v116, v114, -v5
	s_delay_alu instid0(VALU_DEP_2) | instskip(NEXT) | instid1(VALU_DEP_1)
	v_dual_sub_f32 v2, v123, v2 :: v_dual_add_f32 v1, v1, v3
	v_add_f32_e32 v1, v1, v4
	s_delay_alu instid0(VALU_DEP_1)
	v_sub_f32_e32 v1, v122, v1
	scratch_store_b64 off, v[1:2], off offset:72
	v_cmpx_lt_u32_e32 8, v0
	s_cbranch_execz .LBB106_255
; %bb.254:
	scratch_load_b64 v[1:2], off, off offset:64
	v_mov_b32_e32 v22, v21
	scratch_store_b64 off, v[21:22], off offset:64
	s_wait_loadcnt 0x0
	ds_store_b64 v23, v[1:2]
.LBB106_255:
	s_wait_alu 0xfffe
	s_or_b32 exec_lo, exec_lo, s0
	s_wait_storecnt_dscnt 0x0
	s_barrier_signal -1
	s_barrier_wait -1
	global_inv scope:SCOPE_SE
	s_clause 0x4
	scratch_load_b128 v[5:8], off, off offset:72
	scratch_load_b128 v[1:4], off, off offset:88
	;; [unrolled: 1-line block ×5, first 2 shown]
	ds_load_2addr_b64 v[110:113], v21 offset0:53 offset1:54
	ds_load_2addr_b64 v[114:117], v21 offset0:55 offset1:56
	;; [unrolled: 1-line block ×3, first 2 shown]
	scratch_load_b64 v[122:123], off, off offset:64
	s_mov_b32 s0, exec_lo
	s_wait_loadcnt_dscnt 0x502
	v_dual_mul_f32 v22, v111, v6 :: v_dual_mul_f32 v125, v112, v8
	v_mul_f32_e32 v124, v110, v6
	v_mul_f32_e32 v6, v113, v8
	s_wait_loadcnt_dscnt 0x300
	v_mul_f32_e32 v126, v120, v12
	v_fma_f32 v22, v110, v5, -v22
	v_dual_fmac_f32 v125, v113, v7 :: v_dual_fmac_f32 v124, v111, v5
	v_mul_f32_e32 v113, v118, v10
	v_mul_f32_e32 v111, v114, v2
	v_fma_f32 v110, v112, v7, -v6
	ds_load_2addr_b64 v[5:8], v21 offset0:59 offset1:60
	v_mul_f32_e32 v112, v116, v4
	v_dual_mul_f32 v4, v117, v4 :: v_dual_fmac_f32 v113, v119, v9
	v_mul_f32_e32 v10, v119, v10
	v_mul_f32_e32 v12, v121, v12
	;; [unrolled: 1-line block ×3, first 2 shown]
	v_dual_fmac_f32 v111, v115, v1 :: v_dual_fmac_f32 v112, v117, v3
	v_fma_f32 v115, v116, v3, -v4
	v_fma_f32 v116, v118, v9, -v10
	v_fmac_f32_e32 v126, v121, v11
	v_fma_f32 v117, v120, v11, -v12
	ds_load_2addr_b64 v[9:12], v21 offset0:61 offset1:62
	s_wait_loadcnt_dscnt 0x201
	v_dual_mul_f32 v119, v7, v16 :: v_dual_mul_f32 v118, v5, v14
	s_delay_alu instid0(VALU_DEP_1)
	v_dual_mul_f32 v14, v6, v14 :: v_dual_fmac_f32 v119, v8, v15
	v_fma_f32 v114, v114, v1, -v2
	scratch_load_b128 v[1:4], off, off offset:152
	v_mul_f32_e32 v16, v8, v16
	v_fmac_f32_e32 v118, v6, v13
	v_fma_f32 v13, v5, v13, -v14
	s_delay_alu instid0(VALU_DEP_3)
	v_fma_f32 v14, v7, v15, -v16
	s_wait_loadcnt_dscnt 0x200
	v_mul_f32_e32 v15, v9, v18
	v_mul_f32_e32 v16, v10, v18
	;; [unrolled: 1-line block ×4, first 2 shown]
	ds_load_2addr_b64 v[5:8], v21 offset0:63 offset1:64
	v_fmac_f32_e32 v15, v10, v17
	v_fma_f32 v16, v9, v17, -v16
	v_fmac_f32_e32 v18, v12, v19
	v_fma_f32 v17, v11, v19, -v20
	scratch_load_b128 v[9:12], off, off offset:168
	s_wait_loadcnt_dscnt 0x100
	v_mul_f32_e32 v19, v5, v2
	v_mul_f32_e32 v2, v6, v2
	;; [unrolled: 1-line block ×3, first 2 shown]
	s_delay_alu instid0(VALU_DEP_3) | instskip(NEXT) | instid1(VALU_DEP_3)
	v_dual_mul_f32 v4, v8, v4 :: v_dual_fmac_f32 v19, v6, v1
	v_fma_f32 v120, v5, v1, -v2
	s_delay_alu instid0(VALU_DEP_3) | instskip(NEXT) | instid1(VALU_DEP_3)
	v_fmac_f32_e32 v20, v8, v3
	v_fma_f32 v121, v7, v3, -v4
	ds_load_2addr_b64 v[1:4], v21 offset0:65 offset1:66
	ds_load_2addr_b64 v[5:8], v21 offset0:67 offset1:68
	s_wait_loadcnt_dscnt 0x1
	v_mul_f32_e32 v127, v1, v10
	v_mul_f32_e32 v10, v2, v10
	s_delay_alu instid0(VALU_DEP_2) | instskip(NEXT) | instid1(VALU_DEP_2)
	v_dual_mul_f32 v128, v3, v12 :: v_dual_fmac_f32 v127, v2, v9
	v_fma_f32 v129, v1, v9, -v10
	v_mul_f32_e32 v1, v4, v12
	s_delay_alu instid0(VALU_DEP_3) | instskip(NEXT) | instid1(VALU_DEP_2)
	v_fmac_f32_e32 v128, v4, v11
	v_fma_f32 v130, v3, v11, -v1
	s_clause 0x1
	scratch_load_b128 v[1:4], off, off offset:184
	scratch_load_b128 v[9:12], off, off offset:200
	s_wait_loadcnt_dscnt 0x100
	v_mul_f32_e32 v131, v5, v2
	v_dual_mul_f32 v2, v6, v2 :: v_dual_mul_f32 v133, v7, v4
	s_delay_alu instid0(VALU_DEP_2) | instskip(NEXT) | instid1(VALU_DEP_2)
	v_fmac_f32_e32 v131, v6, v1
	v_fma_f32 v132, v5, v1, -v2
	v_mul_f32_e32 v1, v8, v4
	s_delay_alu instid0(VALU_DEP_4) | instskip(NEXT) | instid1(VALU_DEP_2)
	v_fmac_f32_e32 v133, v8, v3
	v_fma_f32 v134, v7, v3, -v1
	ds_load_2addr_b64 v[1:4], v21 offset0:69 offset1:70
	ds_load_2addr_b64 v[5:8], v21 offset0:71 offset1:72
	s_wait_loadcnt_dscnt 0x1
	v_mul_f32_e32 v135, v1, v10
	v_mul_f32_e32 v137, v3, v12
	s_delay_alu instid0(VALU_DEP_2) | instskip(NEXT) | instid1(VALU_DEP_2)
	v_fmac_f32_e32 v135, v2, v9
	v_dual_mul_f32 v2, v2, v10 :: v_dual_fmac_f32 v137, v4, v11
	s_delay_alu instid0(VALU_DEP_1) | instskip(SKIP_1) | instid1(VALU_DEP_1)
	v_fma_f32 v136, v1, v9, -v2
	v_mul_f32_e32 v1, v4, v12
	v_fma_f32 v138, v3, v11, -v1
	s_clause 0x1
	scratch_load_b128 v[1:4], off, off offset:216
	scratch_load_b128 v[9:12], off, off offset:232
	s_wait_loadcnt_dscnt 0x100
	v_mul_f32_e32 v139, v5, v2
	v_dual_mul_f32 v2, v6, v2 :: v_dual_mul_f32 v141, v7, v4
	s_delay_alu instid0(VALU_DEP_2) | instskip(NEXT) | instid1(VALU_DEP_2)
	v_fmac_f32_e32 v139, v6, v1
	v_fma_f32 v140, v5, v1, -v2
	v_mul_f32_e32 v1, v8, v4
	s_delay_alu instid0(VALU_DEP_4) | instskip(NEXT) | instid1(VALU_DEP_2)
	v_fmac_f32_e32 v141, v8, v3
	v_fma_f32 v142, v7, v3, -v1
	ds_load_2addr_b64 v[1:4], v21 offset0:73 offset1:74
	ds_load_2addr_b64 v[5:8], v21 offset0:75 offset1:76
	s_wait_loadcnt_dscnt 0x1
	v_mul_f32_e32 v143, v1, v10
	v_mul_f32_e32 v145, v3, v12
	s_delay_alu instid0(VALU_DEP_2) | instskip(NEXT) | instid1(VALU_DEP_2)
	v_fmac_f32_e32 v143, v2, v9
	v_dual_mul_f32 v2, v2, v10 :: v_dual_fmac_f32 v145, v4, v11
	s_delay_alu instid0(VALU_DEP_1) | instskip(SKIP_1) | instid1(VALU_DEP_1)
	v_fma_f32 v144, v1, v9, -v2
	v_mul_f32_e32 v1, v4, v12
	v_fma_f32 v146, v3, v11, -v1
	s_clause 0x1
	scratch_load_b128 v[1:4], off, off offset:248
	scratch_load_b128 v[9:12], off, off offset:264
	s_wait_loadcnt_dscnt 0x100
	v_mul_f32_e32 v147, v5, v2
	v_mul_f32_e32 v2, v6, v2
	s_delay_alu instid0(VALU_DEP_1) | instskip(SKIP_1) | instid1(VALU_DEP_1)
	v_fma_f32 v148, v5, v1, -v2
	v_add_f32_e32 v2, 0, v124
	v_add_f32_e32 v2, v2, v125
	s_delay_alu instid0(VALU_DEP_1) | instskip(SKIP_1) | instid1(VALU_DEP_2)
	v_add_f32_e32 v2, v2, v111
	v_fmac_f32_e32 v147, v6, v1
	v_add_f32_e32 v2, v2, v112
	s_delay_alu instid0(VALU_DEP_1) | instskip(NEXT) | instid1(VALU_DEP_1)
	v_dual_mul_f32 v149, v7, v4 :: v_dual_add_f32 v2, v2, v113
	v_dual_fmac_f32 v149, v8, v3 :: v_dual_add_f32 v2, v2, v126
	s_delay_alu instid0(VALU_DEP_1) | instskip(NEXT) | instid1(VALU_DEP_1)
	v_dual_mul_f32 v1, v8, v4 :: v_dual_add_f32 v2, v2, v118
	v_fma_f32 v150, v7, v3, -v1
	s_delay_alu instid0(VALU_DEP_2) | instskip(NEXT) | instid1(VALU_DEP_1)
	v_dual_add_f32 v1, 0, v22 :: v_dual_add_f32 v2, v2, v119
	v_dual_add_f32 v1, v1, v110 :: v_dual_add_f32 v2, v2, v15
	s_delay_alu instid0(VALU_DEP_1) | instskip(NEXT) | instid1(VALU_DEP_2)
	v_add_f32_e32 v1, v1, v114
	v_add_f32_e32 v5, v2, v18
	s_delay_alu instid0(VALU_DEP_2) | instskip(NEXT) | instid1(VALU_DEP_1)
	v_add_f32_e32 v1, v1, v115
	v_add_f32_e32 v1, v1, v116
	s_delay_alu instid0(VALU_DEP_1) | instskip(NEXT) | instid1(VALU_DEP_1)
	v_add_f32_e32 v1, v1, v117
	v_add_f32_e32 v1, v1, v13
	;; [unrolled: 1-line block ×3, first 2 shown]
	s_delay_alu instid0(VALU_DEP_1) | instskip(NEXT) | instid1(VALU_DEP_1)
	v_add_f32_e32 v13, v13, v20
	v_add_f32_e32 v13, v13, v127
	s_delay_alu instid0(VALU_DEP_1) | instskip(NEXT) | instid1(VALU_DEP_1)
	v_add_f32_e32 v18, v13, v128
	v_dual_add_f32 v18, v18, v131 :: v_dual_add_f32 v1, v1, v14
	s_delay_alu instid0(VALU_DEP_1) | instskip(NEXT) | instid1(VALU_DEP_1)
	v_dual_add_f32 v18, v18, v133 :: v_dual_add_f32 v1, v1, v16
	v_dual_add_f32 v110, v18, v135 :: v_dual_add_f32 v1, v1, v17
	s_delay_alu instid0(VALU_DEP_1) | instskip(NEXT) | instid1(VALU_DEP_2)
	v_add_f32_e32 v110, v110, v137
	v_add_f32_e32 v6, v1, v120
	ds_load_2addr_b64 v[1:4], v21 offset0:77 offset1:78
	v_add_f32_e32 v110, v110, v139
	v_add_f32_e32 v14, v6, v121
	scratch_load_b128 v[5:8], off, off offset:280
	v_add_f32_e32 v14, v14, v129
	s_delay_alu instid0(VALU_DEP_1)
	v_add_f32_e32 v17, v14, v130
	ds_load_2addr_b64 v[13:16], v21 offset0:79 offset1:80
	s_wait_loadcnt_dscnt 0x101
	v_mul_f32_e32 v22, v1, v10
	v_mul_f32_e32 v10, v2, v10
	;; [unrolled: 1-line block ×4, first 2 shown]
	s_delay_alu instid0(VALU_DEP_4) | instskip(NEXT) | instid1(VALU_DEP_4)
	v_fmac_f32_e32 v22, v2, v9
	v_fma_f32 v115, v1, v9, -v10
	s_delay_alu instid0(VALU_DEP_4) | instskip(NEXT) | instid1(VALU_DEP_4)
	v_fmac_f32_e32 v114, v4, v11
	v_fma_f32 v116, v3, v11, -v12
	s_clause 0x1
	scratch_load_b128 v[1:4], off, off offset:296
	scratch_load_b128 v[9:12], off, off offset:312
	s_wait_loadcnt_dscnt 0x200
	v_mul_f32_e32 v118, v15, v8
	v_add_f32_e32 v17, v17, v132
	v_mul_f32_e32 v117, v13, v6
	v_mul_f32_e32 v6, v14, v6
	;; [unrolled: 1-line block ×3, first 2 shown]
	s_delay_alu instid0(VALU_DEP_4) | instskip(NEXT) | instid1(VALU_DEP_3)
	v_dual_fmac_f32 v118, v16, v7 :: v_dual_add_f32 v17, v17, v134
	v_fma_f32 v119, v13, v5, -v6
	v_add_f32_e32 v13, v110, v141
	s_delay_alu instid0(VALU_DEP_4) | instskip(NEXT) | instid1(VALU_DEP_4)
	v_fma_f32 v120, v15, v7, -v8
	v_add_f32_e32 v17, v17, v136
	s_delay_alu instid0(VALU_DEP_1) | instskip(SKIP_2) | instid1(VALU_DEP_1)
	v_add_f32_e32 v111, v17, v138
	scratch_load_b128 v[17:20], off, off offset:328
	v_add_f32_e32 v111, v111, v140
	v_add_f32_e32 v111, v111, v142
	s_delay_alu instid0(VALU_DEP_1)
	v_dual_add_f32 v110, v111, v144 :: v_dual_fmac_f32 v117, v14, v5
	ds_load_2addr_b64 v[5:8], v21 offset0:81 offset1:82
	v_add_f32_e32 v111, v13, v143
	ds_load_2addr_b64 v[13:16], v21 offset0:83 offset1:84
	v_dual_add_f32 v121, v110, v146 :: v_dual_add_f32 v124, v111, v145
	ds_load_2addr_b64 v[110:113], v21 offset0:85 offset1:86
	v_add_f32_e32 v21, v121, v148
	s_wait_loadcnt_dscnt 0x202
	v_dual_add_f32 v121, v124, v147 :: v_dual_mul_f32 v124, v5, v2
	s_delay_alu instid0(VALU_DEP_1) | instskip(NEXT) | instid1(VALU_DEP_2)
	v_dual_mul_f32 v2, v6, v2 :: v_dual_add_f32 v121, v121, v149
	v_fmac_f32_e32 v124, v6, v1
	s_wait_loadcnt_dscnt 0x101
	v_mul_f32_e32 v6, v14, v10
	s_delay_alu instid0(VALU_DEP_3) | instskip(SKIP_2) | instid1(VALU_DEP_3)
	v_add_f32_e32 v22, v121, v22
	v_mul_f32_e32 v121, v13, v10
	v_fma_f32 v2, v5, v1, -v2
	v_add_f32_e32 v22, v22, v114
	s_delay_alu instid0(VALU_DEP_1) | instskip(SKIP_2) | instid1(VALU_DEP_1)
	v_add_f32_e32 v22, v22, v117
	s_wait_loadcnt_dscnt 0x0
	v_mul_f32_e32 v114, v110, v18
	v_dual_add_f32 v21, v21, v150 :: v_dual_fmac_f32 v114, v111, v17
	s_delay_alu instid0(VALU_DEP_1) | instskip(SKIP_2) | instid1(VALU_DEP_2)
	v_add_f32_e32 v21, v21, v115
	v_mul_f32_e32 v115, v7, v4
	v_mul_f32_e32 v4, v8, v4
	v_fmac_f32_e32 v115, v8, v3
	s_delay_alu instid0(VALU_DEP_2) | instskip(SKIP_3) | instid1(VALU_DEP_3)
	v_fma_f32 v3, v7, v3, -v4
	v_dual_mul_f32 v4, v16, v12 :: v_dual_fmac_f32 v121, v14, v9
	v_add_f32_e32 v21, v21, v116
	v_dual_mul_f32 v116, v112, v20 :: v_dual_add_f32 v5, v22, v118
	v_fma_f32 v4, v15, v11, -v4
	s_delay_alu instid0(VALU_DEP_3) | instskip(NEXT) | instid1(VALU_DEP_3)
	v_add_f32_e32 v21, v21, v119
	v_fmac_f32_e32 v116, v113, v19
	s_delay_alu instid0(VALU_DEP_2) | instskip(NEXT) | instid1(VALU_DEP_1)
	v_add_f32_e32 v1, v21, v120
	v_add_f32_e32 v1, v1, v2
	;; [unrolled: 1-line block ×3, first 2 shown]
	v_mul_f32_e32 v125, v15, v12
	v_fma_f32 v5, v13, v9, -v6
	s_delay_alu instid0(VALU_DEP_3) | instskip(NEXT) | instid1(VALU_DEP_1)
	v_add_f32_e32 v2, v2, v115
	v_dual_fmac_f32 v125, v16, v11 :: v_dual_add_f32 v2, v2, v121
	s_delay_alu instid0(VALU_DEP_1) | instskip(NEXT) | instid1(VALU_DEP_1)
	v_add_f32_e32 v2, v2, v125
	v_add_f32_e32 v2, v2, v114
	s_delay_alu instid0(VALU_DEP_1) | instskip(SKIP_1) | instid1(VALU_DEP_2)
	v_dual_add_f32 v2, v2, v116 :: v_dual_add_f32 v1, v1, v3
	v_mul_f32_e32 v3, v111, v18
	v_dual_sub_f32 v2, v123, v2 :: v_dual_add_f32 v1, v1, v5
	v_mul_f32_e32 v5, v113, v20
	s_delay_alu instid0(VALU_DEP_3) | instskip(NEXT) | instid1(VALU_DEP_3)
	v_fma_f32 v3, v110, v17, -v3
	v_add_f32_e32 v1, v1, v4
	s_delay_alu instid0(VALU_DEP_3) | instskip(NEXT) | instid1(VALU_DEP_2)
	v_fma_f32 v4, v112, v19, -v5
	v_add_f32_e32 v1, v1, v3
	s_delay_alu instid0(VALU_DEP_1) | instskip(NEXT) | instid1(VALU_DEP_1)
	v_add_f32_e32 v1, v1, v4
	v_sub_f32_e32 v1, v122, v1
	scratch_store_b64 off, v[1:2], off offset:64
	v_cmpx_lt_u32_e32 7, v0
	s_cbranch_execz .LBB106_257
; %bb.256:
	scratch_load_b64 v[1:2], off, off offset:56
	v_mov_b32_e32 v3, 0
	s_delay_alu instid0(VALU_DEP_1)
	v_mov_b32_e32 v4, v3
	scratch_store_b64 off, v[3:4], off offset:56
	s_wait_loadcnt 0x0
	ds_store_b64 v23, v[1:2]
.LBB106_257:
	s_wait_alu 0xfffe
	s_or_b32 exec_lo, exec_lo, s0
	s_wait_storecnt_dscnt 0x0
	s_barrier_signal -1
	s_barrier_wait -1
	global_inv scope:SCOPE_SE
	s_clause 0x4
	scratch_load_b128 v[5:8], off, off offset:64
	scratch_load_b128 v[1:4], off, off offset:80
	;; [unrolled: 1-line block ×5, first 2 shown]
	v_mov_b32_e32 v21, 0
	ds_load_b128 v[110:113], v21 offset:416
	ds_load_b128 v[114:117], v21 offset:432
	;; [unrolled: 1-line block ×3, first 2 shown]
	scratch_load_b64 v[122:123], off, off offset:56
	s_mov_b32 s0, exec_lo
	s_wait_loadcnt_dscnt 0x502
	v_mul_f32_e32 v22, v111, v6
	v_dual_mul_f32 v124, v110, v6 :: v_dual_mul_f32 v125, v112, v8
	v_mul_f32_e32 v6, v113, v8
	s_delay_alu instid0(VALU_DEP_3) | instskip(NEXT) | instid1(VALU_DEP_3)
	v_fma_f32 v22, v110, v5, -v22
	v_dual_fmac_f32 v124, v111, v5 :: v_dual_fmac_f32 v125, v113, v7
	s_wait_loadcnt_dscnt 0x401
	v_mul_f32_e32 v111, v114, v2
	v_fma_f32 v110, v112, v7, -v6
	ds_load_b128 v[5:8], v21 offset:464
	s_wait_loadcnt_dscnt 0x301
	v_dual_mul_f32 v112, v116, v4 :: v_dual_mul_f32 v113, v118, v10
	v_dual_mul_f32 v4, v117, v4 :: v_dual_fmac_f32 v111, v115, v1
	v_mul_f32_e32 v10, v119, v10
	s_delay_alu instid0(VALU_DEP_3)
	v_dual_mul_f32 v126, v120, v12 :: v_dual_fmac_f32 v113, v119, v9
	v_mul_f32_e32 v12, v121, v12
	v_mul_f32_e32 v2, v115, v2
	v_fmac_f32_e32 v112, v117, v3
	v_fma_f32 v115, v116, v3, -v4
	v_fma_f32 v116, v118, v9, -v10
	v_fmac_f32_e32 v126, v121, v11
	v_fma_f32 v117, v120, v11, -v12
	ds_load_b128 v[9:12], v21 offset:480
	s_wait_loadcnt_dscnt 0x201
	v_dual_mul_f32 v119, v7, v16 :: v_dual_mul_f32 v118, v5, v14
	v_mul_f32_e32 v14, v6, v14
	v_mul_f32_e32 v16, v8, v16
	s_delay_alu instid0(VALU_DEP_3)
	v_fmac_f32_e32 v119, v8, v15
	v_fma_f32 v114, v114, v1, -v2
	scratch_load_b128 v[1:4], off, off offset:144
	v_fmac_f32_e32 v118, v6, v13
	v_fma_f32 v13, v5, v13, -v14
	v_fma_f32 v14, v7, v15, -v16
	ds_load_b128 v[5:8], v21 offset:496
	s_wait_loadcnt_dscnt 0x201
	v_mul_f32_e32 v15, v9, v18
	v_mul_f32_e32 v16, v10, v18
	;; [unrolled: 1-line block ×3, first 2 shown]
	s_delay_alu instid0(VALU_DEP_3) | instskip(NEXT) | instid1(VALU_DEP_3)
	v_dual_mul_f32 v20, v12, v20 :: v_dual_fmac_f32 v15, v10, v17
	v_fma_f32 v16, v9, v17, -v16
	s_delay_alu instid0(VALU_DEP_3) | instskip(NEXT) | instid1(VALU_DEP_3)
	v_fmac_f32_e32 v18, v12, v19
	v_fma_f32 v17, v11, v19, -v20
	scratch_load_b128 v[9:12], off, off offset:160
	s_wait_loadcnt_dscnt 0x100
	v_mul_f32_e32 v19, v5, v2
	v_mul_f32_e32 v2, v6, v2
	;; [unrolled: 1-line block ×3, first 2 shown]
	s_delay_alu instid0(VALU_DEP_3) | instskip(NEXT) | instid1(VALU_DEP_3)
	v_dual_mul_f32 v4, v8, v4 :: v_dual_fmac_f32 v19, v6, v1
	v_fma_f32 v120, v5, v1, -v2
	s_delay_alu instid0(VALU_DEP_3) | instskip(NEXT) | instid1(VALU_DEP_3)
	v_fmac_f32_e32 v20, v8, v3
	v_fma_f32 v121, v7, v3, -v4
	ds_load_b128 v[1:4], v21 offset:512
	ds_load_b128 v[5:8], v21 offset:528
	s_wait_loadcnt_dscnt 0x1
	v_mul_f32_e32 v127, v1, v10
	v_mul_f32_e32 v10, v2, v10
	s_delay_alu instid0(VALU_DEP_2) | instskip(NEXT) | instid1(VALU_DEP_2)
	v_dual_mul_f32 v128, v3, v12 :: v_dual_fmac_f32 v127, v2, v9
	v_fma_f32 v129, v1, v9, -v10
	v_mul_f32_e32 v1, v4, v12
	s_delay_alu instid0(VALU_DEP_3) | instskip(NEXT) | instid1(VALU_DEP_2)
	v_fmac_f32_e32 v128, v4, v11
	v_fma_f32 v130, v3, v11, -v1
	s_clause 0x1
	scratch_load_b128 v[1:4], off, off offset:176
	scratch_load_b128 v[9:12], off, off offset:192
	s_wait_loadcnt_dscnt 0x100
	v_mul_f32_e32 v131, v5, v2
	v_dual_mul_f32 v2, v6, v2 :: v_dual_mul_f32 v133, v7, v4
	s_delay_alu instid0(VALU_DEP_2) | instskip(NEXT) | instid1(VALU_DEP_2)
	v_fmac_f32_e32 v131, v6, v1
	v_fma_f32 v132, v5, v1, -v2
	v_mul_f32_e32 v1, v8, v4
	s_delay_alu instid0(VALU_DEP_4) | instskip(NEXT) | instid1(VALU_DEP_2)
	v_fmac_f32_e32 v133, v8, v3
	v_fma_f32 v134, v7, v3, -v1
	ds_load_b128 v[1:4], v21 offset:544
	ds_load_b128 v[5:8], v21 offset:560
	s_wait_loadcnt_dscnt 0x1
	v_mul_f32_e32 v135, v1, v10
	v_mul_f32_e32 v137, v3, v12
	s_delay_alu instid0(VALU_DEP_2) | instskip(NEXT) | instid1(VALU_DEP_2)
	v_fmac_f32_e32 v135, v2, v9
	v_dual_mul_f32 v2, v2, v10 :: v_dual_fmac_f32 v137, v4, v11
	s_delay_alu instid0(VALU_DEP_1) | instskip(SKIP_1) | instid1(VALU_DEP_1)
	v_fma_f32 v136, v1, v9, -v2
	v_mul_f32_e32 v1, v4, v12
	v_fma_f32 v138, v3, v11, -v1
	s_clause 0x1
	scratch_load_b128 v[1:4], off, off offset:208
	scratch_load_b128 v[9:12], off, off offset:224
	s_wait_loadcnt_dscnt 0x100
	v_mul_f32_e32 v139, v5, v2
	v_dual_mul_f32 v141, v7, v4 :: v_dual_mul_f32 v2, v6, v2
	s_delay_alu instid0(VALU_DEP_2) | instskip(NEXT) | instid1(VALU_DEP_2)
	v_fmac_f32_e32 v139, v6, v1
	v_fmac_f32_e32 v141, v8, v3
	s_delay_alu instid0(VALU_DEP_3) | instskip(SKIP_1) | instid1(VALU_DEP_1)
	v_fma_f32 v140, v5, v1, -v2
	v_mul_f32_e32 v1, v8, v4
	v_fma_f32 v142, v7, v3, -v1
	ds_load_b128 v[1:4], v21 offset:576
	ds_load_b128 v[5:8], v21 offset:592
	s_wait_loadcnt_dscnt 0x1
	v_mul_f32_e32 v143, v1, v10
	v_mul_f32_e32 v145, v3, v12
	s_delay_alu instid0(VALU_DEP_2) | instskip(NEXT) | instid1(VALU_DEP_2)
	v_fmac_f32_e32 v143, v2, v9
	v_dual_mul_f32 v2, v2, v10 :: v_dual_fmac_f32 v145, v4, v11
	s_delay_alu instid0(VALU_DEP_1) | instskip(SKIP_1) | instid1(VALU_DEP_1)
	v_fma_f32 v144, v1, v9, -v2
	v_mul_f32_e32 v1, v4, v12
	v_fma_f32 v146, v3, v11, -v1
	s_clause 0x1
	scratch_load_b128 v[1:4], off, off offset:240
	scratch_load_b128 v[9:12], off, off offset:256
	s_wait_loadcnt_dscnt 0x100
	v_mul_f32_e32 v147, v5, v2
	v_mul_f32_e32 v2, v6, v2
	s_delay_alu instid0(VALU_DEP_1) | instskip(SKIP_1) | instid1(VALU_DEP_1)
	v_fma_f32 v148, v5, v1, -v2
	v_add_f32_e32 v2, 0, v124
	v_add_f32_e32 v2, v2, v125
	s_delay_alu instid0(VALU_DEP_1) | instskip(NEXT) | instid1(VALU_DEP_1)
	v_add_f32_e32 v2, v2, v111
	v_add_f32_e32 v2, v2, v112
	v_mul_f32_e32 v149, v7, v4
	v_fmac_f32_e32 v147, v6, v1
	s_delay_alu instid0(VALU_DEP_2) | instskip(NEXT) | instid1(VALU_DEP_1)
	v_dual_add_f32 v2, v2, v113 :: v_dual_fmac_f32 v149, v8, v3
	v_dual_add_f32 v2, v2, v126 :: v_dual_mul_f32 v1, v8, v4
	s_delay_alu instid0(VALU_DEP_1) | instskip(NEXT) | instid1(VALU_DEP_2)
	v_add_f32_e32 v2, v2, v118
	v_fma_f32 v150, v7, v3, -v1
	s_delay_alu instid0(VALU_DEP_2) | instskip(NEXT) | instid1(VALU_DEP_1)
	v_dual_add_f32 v1, 0, v22 :: v_dual_add_f32 v2, v2, v119
	v_dual_add_f32 v1, v1, v110 :: v_dual_add_f32 v2, v2, v15
	s_delay_alu instid0(VALU_DEP_1) | instskip(NEXT) | instid1(VALU_DEP_2)
	v_add_f32_e32 v1, v1, v114
	v_add_f32_e32 v5, v2, v18
	s_delay_alu instid0(VALU_DEP_2) | instskip(SKIP_2) | instid1(VALU_DEP_1)
	v_add_f32_e32 v1, v1, v115
	scratch_load_b64 v[114:115], off, off offset:336
	v_add_f32_e32 v1, v1, v116
	v_add_f32_e32 v1, v1, v117
	s_delay_alu instid0(VALU_DEP_1) | instskip(SKIP_1) | instid1(VALU_DEP_2)
	v_add_f32_e32 v1, v1, v13
	v_add_f32_e32 v13, v5, v19
	;; [unrolled: 1-line block ×3, first 2 shown]
	s_delay_alu instid0(VALU_DEP_2) | instskip(NEXT) | instid1(VALU_DEP_2)
	v_add_f32_e32 v13, v13, v20
	v_add_f32_e32 v1, v1, v16
	s_delay_alu instid0(VALU_DEP_2) | instskip(NEXT) | instid1(VALU_DEP_2)
	v_add_f32_e32 v13, v13, v127
	v_add_f32_e32 v1, v1, v17
	;; [unrolled: 3-line block ×3, first 2 shown]
	scratch_load_b128 v[1:4], off, off offset:272
	v_add_f32_e32 v18, v18, v131
	v_add_f32_e32 v14, v6, v121
	ds_load_b128 v[5:8], v21 offset:608
	v_add_f32_e32 v18, v18, v133
	v_add_f32_e32 v14, v14, v129
	s_delay_alu instid0(VALU_DEP_2) | instskip(NEXT) | instid1(VALU_DEP_2)
	v_add_f32_e32 v110, v18, v135
	v_add_f32_e32 v17, v14, v130
	ds_load_b128 v[13:16], v21 offset:624
	v_add_f32_e32 v110, v110, v137
	s_delay_alu instid0(VALU_DEP_1)
	v_add_f32_e32 v110, v110, v139
	s_wait_loadcnt_dscnt 0x201
	v_mul_f32_e32 v22, v5, v10
	v_mul_f32_e32 v10, v6, v10
	;; [unrolled: 1-line block ×4, first 2 shown]
	v_add_f32_e32 v110, v110, v141
	v_fmac_f32_e32 v22, v6, v9
	v_fma_f32 v119, v5, v9, -v10
	v_fmac_f32_e32 v118, v8, v11
	v_fma_f32 v120, v7, v11, -v12
	s_clause 0x1
	scratch_load_b128 v[5:8], off, off offset:288
	scratch_load_b128 v[9:12], off, off offset:304
	s_wait_loadcnt_dscnt 0x200
	v_mul_f32_e32 v124, v15, v4
	v_mul_f32_e32 v4, v16, v4
	v_add_f32_e32 v17, v17, v132
	v_mul_f32_e32 v121, v13, v2
	v_mul_f32_e32 v2, v14, v2
	v_fmac_f32_e32 v124, v16, v3
	v_fma_f32 v126, v15, v3, -v4
	v_add_f32_e32 v17, v17, v134
	s_delay_alu instid0(VALU_DEP_4) | instskip(SKIP_1) | instid1(VALU_DEP_3)
	v_fma_f32 v125, v13, v1, -v2
	v_add_f32_e32 v13, v110, v143
	v_add_f32_e32 v17, v17, v136
	s_delay_alu instid0(VALU_DEP_2) | instskip(NEXT) | instid1(VALU_DEP_2)
	v_add_f32_e32 v110, v13, v145
	v_add_f32_e32 v111, v17, v138
	scratch_load_b128 v[17:20], off, off offset:320
	v_add_f32_e32 v117, v110, v147
	s_delay_alu instid0(VALU_DEP_1) | instskip(NEXT) | instid1(VALU_DEP_1)
	v_dual_add_f32 v111, v111, v140 :: v_dual_add_f32 v128, v117, v149
	v_add_f32_e32 v111, v111, v142
	s_delay_alu instid0(VALU_DEP_1)
	v_dual_add_f32 v22, v128, v22 :: v_dual_add_f32 v111, v111, v144
	v_fmac_f32_e32 v121, v14, v1
	ds_load_b128 v[1:4], v21 offset:640
	v_add_f32_e32 v22, v22, v118
	v_add_f32_e32 v14, v111, v146
	ds_load_b128 v[110:113], v21 offset:672
	v_add_f32_e32 v22, v22, v121
	v_add_f32_e32 v116, v14, v148
	ds_load_b128 v[13:16], v21 offset:656
	v_dual_add_f32 v22, v22, v124 :: v_dual_add_f32 v127, v116, v150
	ds_load_b64 v[116:117], v21 offset:688
	v_add_f32_e32 v119, v127, v119
	s_wait_loadcnt_dscnt 0x203
	v_mul_f32_e32 v127, v1, v6
	v_mul_f32_e32 v6, v2, v6
	;; [unrolled: 1-line block ×3, first 2 shown]
	v_add_f32_e32 v119, v119, v120
	s_delay_alu instid0(VALU_DEP_4) | instskip(NEXT) | instid1(VALU_DEP_4)
	v_dual_mul_f32 v8, v4, v8 :: v_dual_fmac_f32 v127, v2, v5
	v_fma_f32 v1, v1, v5, -v6
	s_delay_alu instid0(VALU_DEP_4)
	v_fmac_f32_e32 v118, v4, v7
	s_wait_loadcnt_dscnt 0x101
	v_dual_mul_f32 v120, v13, v10 :: v_dual_add_f32 v119, v119, v125
	v_fma_f32 v2, v3, v7, -v8
	v_dual_add_f32 v4, v22, v127 :: v_dual_mul_f32 v121, v15, v12
	s_wait_dscnt 0x0
	s_delay_alu instid0(VALU_DEP_3) | instskip(SKIP_1) | instid1(VALU_DEP_2)
	v_dual_mul_f32 v124, v116, v115 :: v_dual_add_f32 v119, v119, v126
	v_dual_mul_f32 v5, v16, v12 :: v_dual_fmac_f32 v120, v14, v9
	v_dual_fmac_f32 v121, v16, v11 :: v_dual_fmac_f32 v124, v117, v114
	s_delay_alu instid0(VALU_DEP_3) | instskip(NEXT) | instid1(VALU_DEP_3)
	v_add_f32_e32 v1, v119, v1
	v_fma_f32 v5, v15, v11, -v5
	s_delay_alu instid0(VALU_DEP_2) | instskip(SKIP_3) | instid1(VALU_DEP_2)
	v_add_f32_e32 v1, v1, v2
	s_wait_loadcnt 0x0
	v_dual_mul_f32 v125, v110, v18 :: v_dual_mul_f32 v126, v112, v20
	v_mul_f32_e32 v3, v14, v10
	v_dual_fmac_f32 v125, v111, v17 :: v_dual_fmac_f32 v126, v113, v19
	s_delay_alu instid0(VALU_DEP_2) | instskip(SKIP_2) | instid1(VALU_DEP_2)
	v_fma_f32 v3, v13, v9, -v3
	v_add_f32_e32 v2, v4, v118
	v_mul_f32_e32 v4, v111, v18
	v_dual_add_f32 v2, v2, v120 :: v_dual_add_f32 v1, v1, v3
	v_mul_f32_e32 v3, v113, v20
	s_delay_alu instid0(VALU_DEP_3) | instskip(NEXT) | instid1(VALU_DEP_3)
	v_fma_f32 v4, v110, v17, -v4
	v_add_f32_e32 v2, v2, v121
	s_delay_alu instid0(VALU_DEP_3) | instskip(NEXT) | instid1(VALU_DEP_2)
	v_fma_f32 v3, v112, v19, -v3
	v_add_f32_e32 v2, v2, v125
	s_delay_alu instid0(VALU_DEP_1) | instskip(NEXT) | instid1(VALU_DEP_1)
	v_dual_add_f32 v1, v1, v5 :: v_dual_add_f32 v2, v2, v126
	v_dual_mul_f32 v5, v117, v115 :: v_dual_add_f32 v2, v2, v124
	s_delay_alu instid0(VALU_DEP_2) | instskip(NEXT) | instid1(VALU_DEP_2)
	v_add_f32_e32 v1, v1, v4
	v_fma_f32 v4, v116, v114, -v5
	s_delay_alu instid0(VALU_DEP_2) | instskip(NEXT) | instid1(VALU_DEP_1)
	v_dual_sub_f32 v2, v123, v2 :: v_dual_add_f32 v1, v1, v3
	v_add_f32_e32 v1, v1, v4
	s_delay_alu instid0(VALU_DEP_1)
	v_sub_f32_e32 v1, v122, v1
	scratch_store_b64 off, v[1:2], off offset:56
	v_cmpx_lt_u32_e32 6, v0
	s_cbranch_execz .LBB106_259
; %bb.258:
	scratch_load_b64 v[1:2], off, off offset:48
	v_mov_b32_e32 v22, v21
	scratch_store_b64 off, v[21:22], off offset:48
	s_wait_loadcnt 0x0
	ds_store_b64 v23, v[1:2]
.LBB106_259:
	s_wait_alu 0xfffe
	s_or_b32 exec_lo, exec_lo, s0
	s_wait_storecnt_dscnt 0x0
	s_barrier_signal -1
	s_barrier_wait -1
	global_inv scope:SCOPE_SE
	s_clause 0x4
	scratch_load_b128 v[5:8], off, off offset:56
	scratch_load_b128 v[1:4], off, off offset:72
	;; [unrolled: 1-line block ×5, first 2 shown]
	ds_load_2addr_b64 v[110:113], v21 offset0:51 offset1:52
	ds_load_2addr_b64 v[114:117], v21 offset0:53 offset1:54
	ds_load_2addr_b64 v[118:121], v21 offset0:55 offset1:56
	scratch_load_b64 v[122:123], off, off offset:48
	s_mov_b32 s0, exec_lo
	s_wait_loadcnt_dscnt 0x502
	v_dual_mul_f32 v22, v111, v6 :: v_dual_mul_f32 v125, v112, v8
	v_mul_f32_e32 v124, v110, v6
	v_mul_f32_e32 v6, v113, v8
	s_wait_loadcnt_dscnt 0x300
	v_mul_f32_e32 v126, v120, v12
	v_fma_f32 v22, v110, v5, -v22
	v_dual_fmac_f32 v125, v113, v7 :: v_dual_fmac_f32 v124, v111, v5
	v_mul_f32_e32 v113, v118, v10
	v_mul_f32_e32 v111, v114, v2
	v_fma_f32 v110, v112, v7, -v6
	ds_load_2addr_b64 v[5:8], v21 offset0:57 offset1:58
	v_mul_f32_e32 v112, v116, v4
	v_dual_mul_f32 v4, v117, v4 :: v_dual_fmac_f32 v113, v119, v9
	v_mul_f32_e32 v10, v119, v10
	v_mul_f32_e32 v12, v121, v12
	;; [unrolled: 1-line block ×3, first 2 shown]
	v_dual_fmac_f32 v111, v115, v1 :: v_dual_fmac_f32 v112, v117, v3
	v_fma_f32 v115, v116, v3, -v4
	v_fma_f32 v116, v118, v9, -v10
	v_fmac_f32_e32 v126, v121, v11
	v_fma_f32 v117, v120, v11, -v12
	ds_load_2addr_b64 v[9:12], v21 offset0:59 offset1:60
	s_wait_loadcnt_dscnt 0x201
	v_dual_mul_f32 v119, v7, v16 :: v_dual_mul_f32 v118, v5, v14
	s_delay_alu instid0(VALU_DEP_1)
	v_dual_mul_f32 v14, v6, v14 :: v_dual_fmac_f32 v119, v8, v15
	v_fma_f32 v114, v114, v1, -v2
	scratch_load_b128 v[1:4], off, off offset:136
	v_mul_f32_e32 v16, v8, v16
	v_fmac_f32_e32 v118, v6, v13
	v_fma_f32 v13, v5, v13, -v14
	s_delay_alu instid0(VALU_DEP_3)
	v_fma_f32 v14, v7, v15, -v16
	s_wait_loadcnt_dscnt 0x200
	v_mul_f32_e32 v15, v9, v18
	v_mul_f32_e32 v16, v10, v18
	;; [unrolled: 1-line block ×4, first 2 shown]
	ds_load_2addr_b64 v[5:8], v21 offset0:61 offset1:62
	v_fmac_f32_e32 v15, v10, v17
	v_fma_f32 v16, v9, v17, -v16
	v_fmac_f32_e32 v18, v12, v19
	v_fma_f32 v17, v11, v19, -v20
	scratch_load_b128 v[9:12], off, off offset:152
	s_wait_loadcnt_dscnt 0x100
	v_mul_f32_e32 v19, v5, v2
	v_mul_f32_e32 v2, v6, v2
	;; [unrolled: 1-line block ×3, first 2 shown]
	s_delay_alu instid0(VALU_DEP_3) | instskip(NEXT) | instid1(VALU_DEP_3)
	v_dual_mul_f32 v4, v8, v4 :: v_dual_fmac_f32 v19, v6, v1
	v_fma_f32 v120, v5, v1, -v2
	s_delay_alu instid0(VALU_DEP_3) | instskip(NEXT) | instid1(VALU_DEP_3)
	v_fmac_f32_e32 v20, v8, v3
	v_fma_f32 v121, v7, v3, -v4
	ds_load_2addr_b64 v[1:4], v21 offset0:63 offset1:64
	ds_load_2addr_b64 v[5:8], v21 offset0:65 offset1:66
	s_wait_loadcnt_dscnt 0x1
	v_mul_f32_e32 v127, v1, v10
	v_mul_f32_e32 v10, v2, v10
	s_delay_alu instid0(VALU_DEP_2) | instskip(NEXT) | instid1(VALU_DEP_2)
	v_dual_mul_f32 v128, v3, v12 :: v_dual_fmac_f32 v127, v2, v9
	v_fma_f32 v129, v1, v9, -v10
	v_mul_f32_e32 v1, v4, v12
	s_delay_alu instid0(VALU_DEP_3) | instskip(NEXT) | instid1(VALU_DEP_2)
	v_fmac_f32_e32 v128, v4, v11
	v_fma_f32 v130, v3, v11, -v1
	s_clause 0x1
	scratch_load_b128 v[1:4], off, off offset:168
	scratch_load_b128 v[9:12], off, off offset:184
	s_wait_loadcnt_dscnt 0x100
	v_mul_f32_e32 v131, v5, v2
	v_dual_mul_f32 v2, v6, v2 :: v_dual_mul_f32 v133, v7, v4
	s_delay_alu instid0(VALU_DEP_2) | instskip(NEXT) | instid1(VALU_DEP_2)
	v_fmac_f32_e32 v131, v6, v1
	v_fma_f32 v132, v5, v1, -v2
	v_mul_f32_e32 v1, v8, v4
	s_delay_alu instid0(VALU_DEP_4) | instskip(NEXT) | instid1(VALU_DEP_2)
	v_fmac_f32_e32 v133, v8, v3
	v_fma_f32 v134, v7, v3, -v1
	ds_load_2addr_b64 v[1:4], v21 offset0:67 offset1:68
	ds_load_2addr_b64 v[5:8], v21 offset0:69 offset1:70
	s_wait_loadcnt_dscnt 0x1
	v_mul_f32_e32 v135, v1, v10
	v_mul_f32_e32 v137, v3, v12
	s_delay_alu instid0(VALU_DEP_2) | instskip(NEXT) | instid1(VALU_DEP_2)
	v_fmac_f32_e32 v135, v2, v9
	v_dual_mul_f32 v2, v2, v10 :: v_dual_fmac_f32 v137, v4, v11
	s_delay_alu instid0(VALU_DEP_1) | instskip(SKIP_1) | instid1(VALU_DEP_1)
	v_fma_f32 v136, v1, v9, -v2
	v_mul_f32_e32 v1, v4, v12
	v_fma_f32 v138, v3, v11, -v1
	s_clause 0x1
	scratch_load_b128 v[1:4], off, off offset:200
	scratch_load_b128 v[9:12], off, off offset:216
	s_wait_loadcnt_dscnt 0x100
	v_mul_f32_e32 v139, v5, v2
	v_dual_mul_f32 v2, v6, v2 :: v_dual_mul_f32 v141, v7, v4
	s_delay_alu instid0(VALU_DEP_2) | instskip(NEXT) | instid1(VALU_DEP_2)
	v_fmac_f32_e32 v139, v6, v1
	v_fma_f32 v140, v5, v1, -v2
	v_mul_f32_e32 v1, v8, v4
	s_delay_alu instid0(VALU_DEP_4) | instskip(NEXT) | instid1(VALU_DEP_2)
	v_fmac_f32_e32 v141, v8, v3
	v_fma_f32 v142, v7, v3, -v1
	ds_load_2addr_b64 v[1:4], v21 offset0:71 offset1:72
	ds_load_2addr_b64 v[5:8], v21 offset0:73 offset1:74
	s_wait_loadcnt_dscnt 0x1
	v_mul_f32_e32 v143, v1, v10
	v_mul_f32_e32 v145, v3, v12
	s_delay_alu instid0(VALU_DEP_2) | instskip(NEXT) | instid1(VALU_DEP_2)
	v_fmac_f32_e32 v143, v2, v9
	v_dual_mul_f32 v2, v2, v10 :: v_dual_fmac_f32 v145, v4, v11
	s_delay_alu instid0(VALU_DEP_1) | instskip(SKIP_1) | instid1(VALU_DEP_1)
	v_fma_f32 v144, v1, v9, -v2
	v_mul_f32_e32 v1, v4, v12
	;; [unrolled: 25-line block ×3, first 2 shown]
	v_fma_f32 v154, v3, v11, -v1
	s_clause 0x1
	scratch_load_b128 v[1:4], off, off offset:264
	scratch_load_b128 v[9:12], off, off offset:280
	s_wait_loadcnt_dscnt 0x100
	v_mul_f32_e32 v155, v5, v2
	v_mul_f32_e32 v2, v6, v2
	s_delay_alu instid0(VALU_DEP_1) | instskip(SKIP_1) | instid1(VALU_DEP_1)
	v_fma_f32 v156, v5, v1, -v2
	v_add_f32_e32 v2, 0, v124
	v_add_f32_e32 v2, v2, v125
	s_delay_alu instid0(VALU_DEP_1) | instskip(NEXT) | instid1(VALU_DEP_1)
	v_add_f32_e32 v2, v2, v111
	v_add_f32_e32 v2, v2, v112
	s_delay_alu instid0(VALU_DEP_1) | instskip(NEXT) | instid1(VALU_DEP_1)
	;; [unrolled: 3-line block ×3, first 2 shown]
	v_add_f32_e32 v2, v2, v118
	v_add_f32_e32 v2, v2, v119
	s_delay_alu instid0(VALU_DEP_1) | instskip(SKIP_1) | instid1(VALU_DEP_2)
	v_add_f32_e32 v2, v2, v15
	v_fmac_f32_e32 v155, v6, v1
	v_dual_mul_f32 v157, v7, v4 :: v_dual_add_f32 v2, v2, v18
	s_delay_alu instid0(VALU_DEP_1) | instskip(NEXT) | instid1(VALU_DEP_1)
	v_dual_mul_f32 v1, v8, v4 :: v_dual_add_f32 v2, v2, v19
	v_fma_f32 v158, v7, v3, -v1
	v_add_f32_e32 v1, 0, v22
	s_delay_alu instid0(VALU_DEP_3) | instskip(NEXT) | instid1(VALU_DEP_2)
	v_dual_fmac_f32 v157, v8, v3 :: v_dual_add_f32 v2, v2, v20
	v_add_f32_e32 v1, v1, v110
	s_delay_alu instid0(VALU_DEP_2) | instskip(NEXT) | instid1(VALU_DEP_2)
	v_add_f32_e32 v5, v2, v127
	v_add_f32_e32 v1, v1, v114
	s_delay_alu instid0(VALU_DEP_2) | instskip(NEXT) | instid1(VALU_DEP_2)
	v_add_f32_e32 v5, v5, v128
	;; [unrolled: 3-line block ×3, first 2 shown]
	v_add_f32_e32 v1, v1, v116
	s_delay_alu instid0(VALU_DEP_1) | instskip(NEXT) | instid1(VALU_DEP_1)
	v_add_f32_e32 v1, v1, v117
	v_add_f32_e32 v1, v1, v13
	s_delay_alu instid0(VALU_DEP_1) | instskip(SKIP_1) | instid1(VALU_DEP_1)
	v_add_f32_e32 v1, v1, v14
	v_add_f32_e32 v14, v5, v133
	v_add_f32_e32 v14, v14, v135
	s_delay_alu instid0(VALU_DEP_1) | instskip(NEXT) | instid1(VALU_DEP_1)
	v_dual_add_f32 v14, v14, v137 :: v_dual_add_f32 v1, v1, v16
	v_add_f32_e32 v1, v1, v17
	s_delay_alu instid0(VALU_DEP_1) | instskip(NEXT) | instid1(VALU_DEP_1)
	v_add_f32_e32 v1, v1, v120
	v_add_f32_e32 v1, v1, v121
	s_delay_alu instid0(VALU_DEP_1) | instskip(NEXT) | instid1(VALU_DEP_1)
	v_add_f32_e32 v1, v1, v129
	v_add_f32_e32 v6, v1, v130
	ds_load_2addr_b64 v[1:4], v21 offset0:79 offset1:80
	v_add_f32_e32 v6, v6, v132
	s_delay_alu instid0(VALU_DEP_1)
	v_add_f32_e32 v13, v6, v134
	ds_load_2addr_b64 v[5:8], v21 offset0:81 offset1:82
	s_wait_loadcnt_dscnt 0x1
	v_mul_f32_e32 v22, v1, v10
	v_mul_f32_e32 v114, v3, v12
	v_mul_f32_e32 v10, v2, v10
	v_mul_f32_e32 v12, v4, v12
	s_delay_alu instid0(VALU_DEP_4) | instskip(NEXT) | instid1(VALU_DEP_4)
	v_fmac_f32_e32 v22, v2, v9
	v_fmac_f32_e32 v114, v4, v11
	s_delay_alu instid0(VALU_DEP_4) | instskip(NEXT) | instid1(VALU_DEP_4)
	v_fma_f32 v115, v1, v9, -v10
	v_fma_f32 v116, v3, v11, -v12
	s_clause 0x1
	scratch_load_b128 v[1:4], off, off offset:296
	scratch_load_b128 v[9:12], off, off offset:312
	v_add_f32_e32 v13, v13, v136
	v_add_f32_e32 v17, v14, v139
	s_delay_alu instid0(VALU_DEP_1) | instskip(SKIP_3) | instid1(VALU_DEP_2)
	v_add_f32_e32 v17, v17, v141
	s_wait_loadcnt_dscnt 0x100
	v_mul_f32_e32 v119, v7, v4
	v_mul_f32_e32 v4, v8, v4
	v_fmac_f32_e32 v119, v8, v3
	v_add_f32_e32 v13, v13, v138
	s_delay_alu instid0(VALU_DEP_3) | instskip(NEXT) | instid1(VALU_DEP_2)
	v_fma_f32 v3, v7, v3, -v4
	v_add_f32_e32 v13, v13, v140
	s_delay_alu instid0(VALU_DEP_1) | instskip(SKIP_2) | instid1(VALU_DEP_1)
	v_add_f32_e32 v18, v13, v142
	scratch_load_b128 v[13:16], off, off offset:328
	v_dual_add_f32 v17, v17, v143 :: v_dual_add_f32 v18, v18, v144
	v_dual_add_f32 v17, v17, v145 :: v_dual_add_f32 v18, v18, v146
	s_delay_alu instid0(VALU_DEP_1)
	v_dual_add_f32 v111, v17, v147 :: v_dual_add_f32 v110, v18, v148
	ds_load_2addr_b64 v[17:20], v21 offset0:83 offset1:84
	v_dual_add_f32 v118, v111, v149 :: v_dual_add_f32 v117, v110, v150
	ds_load_2addr_b64 v[110:113], v21 offset0:85 offset1:86
	v_add_f32_e32 v21, v117, v152
	v_dual_add_f32 v117, v118, v151 :: v_dual_mul_f32 v118, v5, v2
	v_mul_f32_e32 v2, v6, v2
	s_delay_alu instid0(VALU_DEP_2) | instskip(NEXT) | instid1(VALU_DEP_2)
	v_dual_add_f32 v21, v21, v154 :: v_dual_fmac_f32 v118, v6, v1
	v_fma_f32 v2, v5, v1, -v2
	s_delay_alu instid0(VALU_DEP_2) | instskip(SKIP_3) | instid1(VALU_DEP_3)
	v_add_f32_e32 v21, v21, v156
	s_wait_loadcnt_dscnt 0x101
	v_mul_f32_e32 v120, v17, v10
	v_dual_add_f32 v117, v117, v153 :: v_dual_mul_f32 v6, v18, v10
	v_dual_mul_f32 v4, v20, v12 :: v_dual_add_f32 v21, v21, v158
	s_delay_alu instid0(VALU_DEP_2) | instskip(NEXT) | instid1(VALU_DEP_2)
	v_dual_fmac_f32 v120, v18, v9 :: v_dual_add_f32 v117, v117, v155
	v_fma_f32 v4, v19, v11, -v4
	s_delay_alu instid0(VALU_DEP_3) | instskip(NEXT) | instid1(VALU_DEP_3)
	v_add_f32_e32 v21, v21, v115
	v_add_f32_e32 v117, v117, v157
	s_delay_alu instid0(VALU_DEP_2) | instskip(NEXT) | instid1(VALU_DEP_2)
	v_add_f32_e32 v1, v21, v116
	v_add_f32_e32 v22, v117, v22
	s_delay_alu instid0(VALU_DEP_2) | instskip(NEXT) | instid1(VALU_DEP_2)
	v_add_f32_e32 v1, v1, v2
	v_add_f32_e32 v5, v22, v114
	v_mul_f32_e32 v121, v19, v12
	s_delay_alu instid0(VALU_DEP_3) | instskip(NEXT) | instid1(VALU_DEP_3)
	v_add_f32_e32 v1, v1, v3
	v_add_f32_e32 v2, v5, v118
	v_fma_f32 v5, v17, v9, -v6
	s_delay_alu instid0(VALU_DEP_4) | instskip(NEXT) | instid1(VALU_DEP_2)
	v_fmac_f32_e32 v121, v20, v11
	v_dual_add_f32 v2, v2, v119 :: v_dual_add_f32 v1, v1, v5
	s_delay_alu instid0(VALU_DEP_1) | instskip(NEXT) | instid1(VALU_DEP_1)
	v_add_f32_e32 v2, v2, v120
	v_dual_add_f32 v1, v1, v4 :: v_dual_add_f32 v2, v2, v121
	s_wait_loadcnt_dscnt 0x0
	v_mul_f32_e32 v124, v110, v14
	v_mul_f32_e32 v3, v111, v14
	;; [unrolled: 1-line block ×3, first 2 shown]
	s_delay_alu instid0(VALU_DEP_3) | instskip(NEXT) | instid1(VALU_DEP_3)
	v_dual_mul_f32 v5, v113, v16 :: v_dual_fmac_f32 v124, v111, v13
	v_fma_f32 v3, v110, v13, -v3
	s_delay_alu instid0(VALU_DEP_3) | instskip(NEXT) | instid1(VALU_DEP_3)
	v_fmac_f32_e32 v115, v113, v15
	v_fma_f32 v4, v112, v15, -v5
	s_delay_alu instid0(VALU_DEP_3) | instskip(NEXT) | instid1(VALU_DEP_1)
	v_dual_add_f32 v2, v2, v124 :: v_dual_add_f32 v1, v1, v3
	v_dual_add_f32 v2, v2, v115 :: v_dual_add_f32 v1, v1, v4
	s_delay_alu instid0(VALU_DEP_1)
	v_dual_sub_f32 v2, v123, v2 :: v_dual_sub_f32 v1, v122, v1
	scratch_store_b64 off, v[1:2], off offset:48
	v_cmpx_lt_u32_e32 5, v0
	s_cbranch_execz .LBB106_261
; %bb.260:
	scratch_load_b64 v[1:2], off, off offset:40
	v_mov_b32_e32 v3, 0
	s_delay_alu instid0(VALU_DEP_1)
	v_mov_b32_e32 v4, v3
	scratch_store_b64 off, v[3:4], off offset:40
	s_wait_loadcnt 0x0
	ds_store_b64 v23, v[1:2]
.LBB106_261:
	s_wait_alu 0xfffe
	s_or_b32 exec_lo, exec_lo, s0
	s_wait_storecnt_dscnt 0x0
	s_barrier_signal -1
	s_barrier_wait -1
	global_inv scope:SCOPE_SE
	s_clause 0x4
	scratch_load_b128 v[5:8], off, off offset:48
	scratch_load_b128 v[1:4], off, off offset:64
	;; [unrolled: 1-line block ×5, first 2 shown]
	v_mov_b32_e32 v21, 0
	ds_load_b128 v[110:113], v21 offset:400
	ds_load_b128 v[114:117], v21 offset:416
	;; [unrolled: 1-line block ×3, first 2 shown]
	scratch_load_b64 v[122:123], off, off offset:40
	s_mov_b32 s0, exec_lo
	s_wait_loadcnt_dscnt 0x502
	v_mul_f32_e32 v22, v111, v6
	v_dual_mul_f32 v124, v110, v6 :: v_dual_mul_f32 v125, v112, v8
	v_mul_f32_e32 v6, v113, v8
	s_delay_alu instid0(VALU_DEP_3) | instskip(NEXT) | instid1(VALU_DEP_3)
	v_fma_f32 v22, v110, v5, -v22
	v_dual_fmac_f32 v124, v111, v5 :: v_dual_fmac_f32 v125, v113, v7
	s_wait_loadcnt_dscnt 0x401
	v_mul_f32_e32 v111, v114, v2
	v_fma_f32 v110, v112, v7, -v6
	ds_load_b128 v[5:8], v21 offset:448
	s_wait_loadcnt_dscnt 0x301
	v_dual_mul_f32 v112, v116, v4 :: v_dual_mul_f32 v113, v118, v10
	v_dual_mul_f32 v4, v117, v4 :: v_dual_fmac_f32 v111, v115, v1
	v_mul_f32_e32 v10, v119, v10
	s_delay_alu instid0(VALU_DEP_3)
	v_dual_mul_f32 v126, v120, v12 :: v_dual_fmac_f32 v113, v119, v9
	v_mul_f32_e32 v12, v121, v12
	v_mul_f32_e32 v2, v115, v2
	v_fmac_f32_e32 v112, v117, v3
	v_fma_f32 v115, v116, v3, -v4
	v_fma_f32 v116, v118, v9, -v10
	v_fmac_f32_e32 v126, v121, v11
	v_fma_f32 v117, v120, v11, -v12
	ds_load_b128 v[9:12], v21 offset:464
	s_wait_loadcnt_dscnt 0x201
	v_dual_mul_f32 v119, v7, v16 :: v_dual_mul_f32 v118, v5, v14
	v_mul_f32_e32 v14, v6, v14
	v_mul_f32_e32 v16, v8, v16
	s_delay_alu instid0(VALU_DEP_3)
	v_fmac_f32_e32 v119, v8, v15
	v_fma_f32 v114, v114, v1, -v2
	scratch_load_b128 v[1:4], off, off offset:128
	v_fmac_f32_e32 v118, v6, v13
	v_fma_f32 v13, v5, v13, -v14
	v_fma_f32 v14, v7, v15, -v16
	ds_load_b128 v[5:8], v21 offset:480
	s_wait_loadcnt_dscnt 0x201
	v_mul_f32_e32 v15, v9, v18
	v_mul_f32_e32 v16, v10, v18
	;; [unrolled: 1-line block ×3, first 2 shown]
	s_delay_alu instid0(VALU_DEP_3) | instskip(NEXT) | instid1(VALU_DEP_3)
	v_dual_mul_f32 v20, v12, v20 :: v_dual_fmac_f32 v15, v10, v17
	v_fma_f32 v16, v9, v17, -v16
	s_delay_alu instid0(VALU_DEP_3) | instskip(NEXT) | instid1(VALU_DEP_3)
	v_fmac_f32_e32 v18, v12, v19
	v_fma_f32 v17, v11, v19, -v20
	scratch_load_b128 v[9:12], off, off offset:144
	s_wait_loadcnt_dscnt 0x100
	v_mul_f32_e32 v19, v5, v2
	v_mul_f32_e32 v2, v6, v2
	;; [unrolled: 1-line block ×3, first 2 shown]
	s_delay_alu instid0(VALU_DEP_3) | instskip(NEXT) | instid1(VALU_DEP_3)
	v_dual_mul_f32 v4, v8, v4 :: v_dual_fmac_f32 v19, v6, v1
	v_fma_f32 v120, v5, v1, -v2
	s_delay_alu instid0(VALU_DEP_3) | instskip(NEXT) | instid1(VALU_DEP_3)
	v_fmac_f32_e32 v20, v8, v3
	v_fma_f32 v121, v7, v3, -v4
	ds_load_b128 v[1:4], v21 offset:496
	ds_load_b128 v[5:8], v21 offset:512
	s_wait_loadcnt_dscnt 0x1
	v_mul_f32_e32 v127, v1, v10
	v_mul_f32_e32 v10, v2, v10
	s_delay_alu instid0(VALU_DEP_2) | instskip(NEXT) | instid1(VALU_DEP_2)
	v_dual_mul_f32 v128, v3, v12 :: v_dual_fmac_f32 v127, v2, v9
	v_fma_f32 v129, v1, v9, -v10
	v_mul_f32_e32 v1, v4, v12
	s_delay_alu instid0(VALU_DEP_3) | instskip(NEXT) | instid1(VALU_DEP_2)
	v_fmac_f32_e32 v128, v4, v11
	v_fma_f32 v130, v3, v11, -v1
	s_clause 0x1
	scratch_load_b128 v[1:4], off, off offset:160
	scratch_load_b128 v[9:12], off, off offset:176
	s_wait_loadcnt_dscnt 0x100
	v_mul_f32_e32 v131, v5, v2
	v_dual_mul_f32 v2, v6, v2 :: v_dual_mul_f32 v133, v7, v4
	s_delay_alu instid0(VALU_DEP_2) | instskip(NEXT) | instid1(VALU_DEP_2)
	v_fmac_f32_e32 v131, v6, v1
	v_fma_f32 v132, v5, v1, -v2
	v_mul_f32_e32 v1, v8, v4
	s_delay_alu instid0(VALU_DEP_4) | instskip(NEXT) | instid1(VALU_DEP_2)
	v_fmac_f32_e32 v133, v8, v3
	v_fma_f32 v134, v7, v3, -v1
	ds_load_b128 v[1:4], v21 offset:528
	ds_load_b128 v[5:8], v21 offset:544
	s_wait_loadcnt_dscnt 0x1
	v_mul_f32_e32 v135, v1, v10
	v_mul_f32_e32 v137, v3, v12
	s_delay_alu instid0(VALU_DEP_2) | instskip(NEXT) | instid1(VALU_DEP_2)
	v_fmac_f32_e32 v135, v2, v9
	v_dual_mul_f32 v2, v2, v10 :: v_dual_fmac_f32 v137, v4, v11
	s_delay_alu instid0(VALU_DEP_1) | instskip(SKIP_1) | instid1(VALU_DEP_1)
	v_fma_f32 v136, v1, v9, -v2
	v_mul_f32_e32 v1, v4, v12
	v_fma_f32 v138, v3, v11, -v1
	s_clause 0x1
	scratch_load_b128 v[1:4], off, off offset:192
	scratch_load_b128 v[9:12], off, off offset:208
	s_wait_loadcnt_dscnt 0x100
	v_mul_f32_e32 v139, v5, v2
	v_dual_mul_f32 v141, v7, v4 :: v_dual_mul_f32 v2, v6, v2
	s_delay_alu instid0(VALU_DEP_2) | instskip(NEXT) | instid1(VALU_DEP_2)
	v_fmac_f32_e32 v139, v6, v1
	v_fmac_f32_e32 v141, v8, v3
	s_delay_alu instid0(VALU_DEP_3) | instskip(SKIP_1) | instid1(VALU_DEP_1)
	v_fma_f32 v140, v5, v1, -v2
	v_mul_f32_e32 v1, v8, v4
	v_fma_f32 v142, v7, v3, -v1
	ds_load_b128 v[1:4], v21 offset:560
	ds_load_b128 v[5:8], v21 offset:576
	s_wait_loadcnt_dscnt 0x1
	v_mul_f32_e32 v143, v1, v10
	v_mul_f32_e32 v145, v3, v12
	s_delay_alu instid0(VALU_DEP_2) | instskip(NEXT) | instid1(VALU_DEP_2)
	v_fmac_f32_e32 v143, v2, v9
	v_dual_mul_f32 v2, v2, v10 :: v_dual_fmac_f32 v145, v4, v11
	s_delay_alu instid0(VALU_DEP_1) | instskip(SKIP_1) | instid1(VALU_DEP_1)
	v_fma_f32 v144, v1, v9, -v2
	v_mul_f32_e32 v1, v4, v12
	v_fma_f32 v146, v3, v11, -v1
	s_clause 0x1
	scratch_load_b128 v[1:4], off, off offset:224
	scratch_load_b128 v[9:12], off, off offset:240
	s_wait_loadcnt_dscnt 0x100
	v_mul_f32_e32 v147, v5, v2
	v_dual_mul_f32 v2, v6, v2 :: v_dual_mul_f32 v149, v7, v4
	s_delay_alu instid0(VALU_DEP_2) | instskip(NEXT) | instid1(VALU_DEP_2)
	v_fmac_f32_e32 v147, v6, v1
	v_fma_f32 v148, v5, v1, -v2
	v_mul_f32_e32 v1, v8, v4
	s_delay_alu instid0(VALU_DEP_4) | instskip(NEXT) | instid1(VALU_DEP_2)
	v_fmac_f32_e32 v149, v8, v3
	v_fma_f32 v150, v7, v3, -v1
	ds_load_b128 v[1:4], v21 offset:592
	ds_load_b128 v[5:8], v21 offset:608
	s_wait_loadcnt_dscnt 0x1
	v_mul_f32_e32 v151, v1, v10
	v_mul_f32_e32 v153, v3, v12
	s_delay_alu instid0(VALU_DEP_2) | instskip(NEXT) | instid1(VALU_DEP_2)
	v_fmac_f32_e32 v151, v2, v9
	v_dual_mul_f32 v2, v2, v10 :: v_dual_fmac_f32 v153, v4, v11
	s_delay_alu instid0(VALU_DEP_1) | instskip(SKIP_1) | instid1(VALU_DEP_1)
	v_fma_f32 v152, v1, v9, -v2
	v_mul_f32_e32 v1, v4, v12
	v_fma_f32 v154, v3, v11, -v1
	s_clause 0x1
	scratch_load_b128 v[1:4], off, off offset:256
	scratch_load_b128 v[9:12], off, off offset:272
	s_wait_loadcnt_dscnt 0x100
	v_mul_f32_e32 v155, v5, v2
	v_mul_f32_e32 v2, v6, v2
	s_delay_alu instid0(VALU_DEP_1) | instskip(SKIP_1) | instid1(VALU_DEP_1)
	v_fma_f32 v156, v5, v1, -v2
	v_add_f32_e32 v2, 0, v124
	v_add_f32_e32 v2, v2, v125
	s_delay_alu instid0(VALU_DEP_1) | instskip(NEXT) | instid1(VALU_DEP_1)
	v_add_f32_e32 v2, v2, v111
	v_add_f32_e32 v2, v2, v112
	s_delay_alu instid0(VALU_DEP_1) | instskip(NEXT) | instid1(VALU_DEP_1)
	;; [unrolled: 3-line block ×4, first 2 shown]
	v_dual_add_f32 v2, v2, v15 :: v_dual_mul_f32 v157, v7, v4
	v_add_f32_e32 v2, v2, v18
	s_delay_alu instid0(VALU_DEP_1) | instskip(NEXT) | instid1(VALU_DEP_3)
	v_add_f32_e32 v2, v2, v19
	v_fmac_f32_e32 v157, v8, v3
	v_fmac_f32_e32 v155, v6, v1
	s_delay_alu instid0(VALU_DEP_3) | instskip(NEXT) | instid1(VALU_DEP_1)
	v_add_f32_e32 v2, v2, v20
	v_add_f32_e32 v5, v2, v127
	s_delay_alu instid0(VALU_DEP_1) | instskip(NEXT) | instid1(VALU_DEP_1)
	v_add_f32_e32 v5, v5, v128
	v_add_f32_e32 v5, v5, v131
	v_mul_f32_e32 v1, v8, v4
	s_delay_alu instid0(VALU_DEP_1) | instskip(SKIP_1) | instid1(VALU_DEP_1)
	v_fma_f32 v158, v7, v3, -v1
	v_add_f32_e32 v1, 0, v22
	v_add_f32_e32 v1, v1, v110
	s_delay_alu instid0(VALU_DEP_1) | instskip(NEXT) | instid1(VALU_DEP_1)
	v_add_f32_e32 v1, v1, v114
	v_add_f32_e32 v1, v1, v115
	scratch_load_b64 v[114:115], off, off offset:336
	v_add_f32_e32 v1, v1, v116
	s_delay_alu instid0(VALU_DEP_1) | instskip(NEXT) | instid1(VALU_DEP_1)
	v_add_f32_e32 v1, v1, v117
	v_add_f32_e32 v1, v1, v13
	s_delay_alu instid0(VALU_DEP_1) | instskip(SKIP_1) | instid1(VALU_DEP_1)
	v_add_f32_e32 v1, v1, v14
	v_add_f32_e32 v14, v5, v133
	;; [unrolled: 1-line block ×3, first 2 shown]
	s_delay_alu instid0(VALU_DEP_1) | instskip(NEXT) | instid1(VALU_DEP_1)
	v_dual_add_f32 v14, v14, v137 :: v_dual_add_f32 v1, v1, v16
	v_add_f32_e32 v1, v1, v17
	s_delay_alu instid0(VALU_DEP_2) | instskip(NEXT) | instid1(VALU_DEP_2)
	v_add_f32_e32 v17, v14, v139
	v_add_f32_e32 v1, v1, v120
	s_delay_alu instid0(VALU_DEP_1) | instskip(NEXT) | instid1(VALU_DEP_1)
	v_add_f32_e32 v1, v1, v121
	v_add_f32_e32 v1, v1, v129
	s_delay_alu instid0(VALU_DEP_1) | instskip(SKIP_2) | instid1(VALU_DEP_1)
	v_add_f32_e32 v6, v1, v130
	ds_load_b128 v[1:4], v21 offset:624
	v_add_f32_e32 v6, v6, v132
	v_add_f32_e32 v13, v6, v134
	ds_load_b128 v[5:8], v21 offset:640
	s_wait_loadcnt_dscnt 0x101
	v_mul_f32_e32 v22, v1, v10
	v_mul_f32_e32 v10, v2, v10
	;; [unrolled: 1-line block ×4, first 2 shown]
	s_delay_alu instid0(VALU_DEP_4) | instskip(NEXT) | instid1(VALU_DEP_4)
	v_fmac_f32_e32 v22, v2, v9
	v_fma_f32 v119, v1, v9, -v10
	s_delay_alu instid0(VALU_DEP_4) | instskip(NEXT) | instid1(VALU_DEP_4)
	v_fmac_f32_e32 v118, v4, v11
	v_fma_f32 v120, v3, v11, -v12
	s_clause 0x1
	scratch_load_b128 v[1:4], off, off offset:288
	scratch_load_b128 v[9:12], off, off offset:304
	v_add_f32_e32 v17, v17, v141
	s_delay_alu instid0(VALU_DEP_1) | instskip(SKIP_1) | instid1(VALU_DEP_1)
	v_add_f32_e32 v17, v17, v143
	s_wait_loadcnt_dscnt 0x100
	v_dual_add_f32 v17, v17, v145 :: v_dual_mul_f32 v126, v7, v4
	v_mul_f32_e32 v125, v5, v2
	v_mul_f32_e32 v2, v6, v2
	;; [unrolled: 1-line block ×3, first 2 shown]
	s_delay_alu instid0(VALU_DEP_3) | instskip(NEXT) | instid1(VALU_DEP_3)
	v_dual_fmac_f32 v126, v8, v3 :: v_dual_fmac_f32 v125, v6, v1
	v_fma_f32 v2, v5, v1, -v2
	v_add_f32_e32 v17, v17, v147
	s_delay_alu instid0(VALU_DEP_4) | instskip(NEXT) | instid1(VALU_DEP_2)
	v_fma_f32 v1, v7, v3, -v4
	v_add_f32_e32 v110, v17, v149
	s_delay_alu instid0(VALU_DEP_1) | instskip(SKIP_2) | instid1(VALU_DEP_1)
	v_add_f32_e32 v117, v110, v151
	ds_load_b128 v[110:113], v21 offset:672
	v_add_f32_e32 v124, v117, v153
	v_add_f32_e32 v124, v124, v155
	s_delay_alu instid0(VALU_DEP_1) | instskip(NEXT) | instid1(VALU_DEP_1)
	v_dual_add_f32 v124, v124, v157 :: v_dual_add_f32 v13, v13, v136
	v_add_f32_e32 v22, v124, v22
	s_delay_alu instid0(VALU_DEP_2) | instskip(NEXT) | instid1(VALU_DEP_1)
	v_add_f32_e32 v13, v13, v138
	v_dual_add_f32 v22, v22, v118 :: v_dual_add_f32 v13, v13, v140
	s_delay_alu instid0(VALU_DEP_1) | instskip(SKIP_2) | instid1(VALU_DEP_1)
	v_add_f32_e32 v18, v13, v142
	scratch_load_b128 v[13:16], off, off offset:320
	v_add_f32_e32 v18, v18, v144
	v_add_f32_e32 v18, v18, v146
	s_delay_alu instid0(VALU_DEP_1) | instskip(NEXT) | instid1(VALU_DEP_1)
	v_add_f32_e32 v18, v18, v148
	v_add_f32_e32 v18, v18, v150
	s_delay_alu instid0(VALU_DEP_1)
	v_add_f32_e32 v116, v18, v152
	ds_load_b128 v[17:20], v21 offset:656
	v_add_f32_e32 v121, v116, v154
	ds_load_b64 v[116:117], v21 offset:688
	s_wait_loadcnt_dscnt 0x101
	v_dual_mul_f32 v124, v19, v12 :: v_dual_mul_f32 v3, v18, v10
	s_wait_dscnt 0x0
	v_mul_f32_e32 v118, v116, v115
	s_delay_alu instid0(VALU_DEP_2) | instskip(NEXT) | instid1(VALU_DEP_3)
	v_fma_f32 v3, v17, v9, -v3
	v_fmac_f32_e32 v124, v20, v11
	s_delay_alu instid0(VALU_DEP_3) | instskip(SKIP_1) | instid1(VALU_DEP_1)
	v_fmac_f32_e32 v118, v117, v114
	v_dual_add_f32 v4, v22, v125 :: v_dual_add_f32 v121, v121, v156
	v_add_f32_e32 v121, v121, v158
	s_delay_alu instid0(VALU_DEP_1) | instskip(SKIP_1) | instid1(VALU_DEP_2)
	v_add_f32_e32 v119, v121, v119
	v_mul_f32_e32 v121, v17, v10
	v_add_f32_e32 v119, v119, v120
	s_delay_alu instid0(VALU_DEP_1) | instskip(NEXT) | instid1(VALU_DEP_1)
	v_dual_fmac_f32 v121, v18, v9 :: v_dual_add_f32 v2, v119, v2
	v_dual_add_f32 v1, v2, v1 :: v_dual_add_f32 v2, v4, v126
	s_delay_alu instid0(VALU_DEP_1) | instskip(NEXT) | instid1(VALU_DEP_1)
	v_add_f32_e32 v2, v2, v121
	v_add_f32_e32 v2, v2, v124
	s_wait_loadcnt 0x0
	v_dual_mul_f32 v120, v112, v16 :: v_dual_mul_f32 v127, v110, v14
	v_mul_f32_e32 v4, v111, v14
	s_delay_alu instid0(VALU_DEP_2) | instskip(NEXT) | instid1(VALU_DEP_2)
	v_dual_fmac_f32 v120, v113, v15 :: v_dual_fmac_f32 v127, v111, v13
	v_fma_f32 v4, v110, v13, -v4
	s_delay_alu instid0(VALU_DEP_2) | instskip(SKIP_2) | instid1(VALU_DEP_3)
	v_add_f32_e32 v2, v2, v127
	v_add_f32_e32 v1, v1, v3
	v_mul_f32_e32 v3, v113, v16
	v_add_f32_e32 v2, v2, v120
	v_mul_f32_e32 v5, v20, v12
	s_delay_alu instid0(VALU_DEP_3) | instskip(NEXT) | instid1(VALU_DEP_3)
	v_fma_f32 v3, v112, v15, -v3
	v_add_f32_e32 v2, v2, v118
	s_delay_alu instid0(VALU_DEP_3) | instskip(NEXT) | instid1(VALU_DEP_1)
	v_fma_f32 v5, v19, v11, -v5
	v_dual_sub_f32 v2, v123, v2 :: v_dual_add_f32 v1, v1, v5
	v_mul_f32_e32 v5, v117, v115
	s_delay_alu instid0(VALU_DEP_2) | instskip(NEXT) | instid1(VALU_DEP_2)
	v_add_f32_e32 v1, v1, v4
	v_fma_f32 v4, v116, v114, -v5
	s_delay_alu instid0(VALU_DEP_2) | instskip(NEXT) | instid1(VALU_DEP_1)
	v_add_f32_e32 v1, v1, v3
	v_add_f32_e32 v1, v1, v4
	s_delay_alu instid0(VALU_DEP_1)
	v_sub_f32_e32 v1, v122, v1
	scratch_store_b64 off, v[1:2], off offset:40
	v_cmpx_lt_u32_e32 4, v0
	s_cbranch_execz .LBB106_263
; %bb.262:
	scratch_load_b64 v[1:2], off, off offset:32
	v_mov_b32_e32 v22, v21
	scratch_store_b64 off, v[21:22], off offset:32
	s_wait_loadcnt 0x0
	ds_store_b64 v23, v[1:2]
.LBB106_263:
	s_wait_alu 0xfffe
	s_or_b32 exec_lo, exec_lo, s0
	s_wait_storecnt_dscnt 0x0
	s_barrier_signal -1
	s_barrier_wait -1
	global_inv scope:SCOPE_SE
	s_clause 0x4
	scratch_load_b128 v[5:8], off, off offset:40
	scratch_load_b128 v[1:4], off, off offset:56
	;; [unrolled: 1-line block ×5, first 2 shown]
	ds_load_2addr_b64 v[110:113], v21 offset0:49 offset1:50
	ds_load_2addr_b64 v[114:117], v21 offset0:51 offset1:52
	;; [unrolled: 1-line block ×3, first 2 shown]
	scratch_load_b64 v[122:123], off, off offset:32
	s_mov_b32 s0, exec_lo
	s_wait_loadcnt_dscnt 0x502
	v_dual_mul_f32 v22, v111, v6 :: v_dual_mul_f32 v125, v112, v8
	v_mul_f32_e32 v124, v110, v6
	v_mul_f32_e32 v6, v113, v8
	s_wait_loadcnt_dscnt 0x300
	v_mul_f32_e32 v126, v120, v12
	v_fma_f32 v22, v110, v5, -v22
	v_dual_fmac_f32 v125, v113, v7 :: v_dual_fmac_f32 v124, v111, v5
	v_mul_f32_e32 v113, v118, v10
	v_mul_f32_e32 v111, v114, v2
	v_fma_f32 v110, v112, v7, -v6
	ds_load_2addr_b64 v[5:8], v21 offset0:55 offset1:56
	v_mul_f32_e32 v112, v116, v4
	v_dual_mul_f32 v4, v117, v4 :: v_dual_fmac_f32 v113, v119, v9
	v_mul_f32_e32 v10, v119, v10
	v_mul_f32_e32 v12, v121, v12
	;; [unrolled: 1-line block ×3, first 2 shown]
	v_dual_fmac_f32 v111, v115, v1 :: v_dual_fmac_f32 v112, v117, v3
	v_fma_f32 v115, v116, v3, -v4
	v_fma_f32 v116, v118, v9, -v10
	v_fmac_f32_e32 v126, v121, v11
	v_fma_f32 v117, v120, v11, -v12
	ds_load_2addr_b64 v[9:12], v21 offset0:57 offset1:58
	s_wait_loadcnt_dscnt 0x201
	v_dual_mul_f32 v119, v7, v16 :: v_dual_mul_f32 v118, v5, v14
	s_delay_alu instid0(VALU_DEP_1)
	v_dual_mul_f32 v14, v6, v14 :: v_dual_fmac_f32 v119, v8, v15
	v_fma_f32 v114, v114, v1, -v2
	scratch_load_b128 v[1:4], off, off offset:120
	v_mul_f32_e32 v16, v8, v16
	v_fmac_f32_e32 v118, v6, v13
	v_fma_f32 v13, v5, v13, -v14
	s_delay_alu instid0(VALU_DEP_3)
	v_fma_f32 v14, v7, v15, -v16
	s_wait_loadcnt_dscnt 0x200
	v_mul_f32_e32 v15, v9, v18
	v_mul_f32_e32 v16, v10, v18
	;; [unrolled: 1-line block ×4, first 2 shown]
	ds_load_2addr_b64 v[5:8], v21 offset0:59 offset1:60
	v_fmac_f32_e32 v15, v10, v17
	v_fma_f32 v16, v9, v17, -v16
	v_fmac_f32_e32 v18, v12, v19
	v_fma_f32 v17, v11, v19, -v20
	scratch_load_b128 v[9:12], off, off offset:136
	s_wait_loadcnt_dscnt 0x100
	v_mul_f32_e32 v19, v5, v2
	v_mul_f32_e32 v2, v6, v2
	;; [unrolled: 1-line block ×3, first 2 shown]
	s_delay_alu instid0(VALU_DEP_3) | instskip(NEXT) | instid1(VALU_DEP_3)
	v_dual_mul_f32 v4, v8, v4 :: v_dual_fmac_f32 v19, v6, v1
	v_fma_f32 v120, v5, v1, -v2
	s_delay_alu instid0(VALU_DEP_3) | instskip(NEXT) | instid1(VALU_DEP_3)
	v_fmac_f32_e32 v20, v8, v3
	v_fma_f32 v121, v7, v3, -v4
	ds_load_2addr_b64 v[1:4], v21 offset0:61 offset1:62
	ds_load_2addr_b64 v[5:8], v21 offset0:63 offset1:64
	s_wait_loadcnt_dscnt 0x1
	v_mul_f32_e32 v127, v1, v10
	v_mul_f32_e32 v10, v2, v10
	s_delay_alu instid0(VALU_DEP_2) | instskip(NEXT) | instid1(VALU_DEP_2)
	v_dual_mul_f32 v128, v3, v12 :: v_dual_fmac_f32 v127, v2, v9
	v_fma_f32 v129, v1, v9, -v10
	v_mul_f32_e32 v1, v4, v12
	s_delay_alu instid0(VALU_DEP_3) | instskip(NEXT) | instid1(VALU_DEP_2)
	v_fmac_f32_e32 v128, v4, v11
	v_fma_f32 v130, v3, v11, -v1
	s_clause 0x1
	scratch_load_b128 v[1:4], off, off offset:152
	scratch_load_b128 v[9:12], off, off offset:168
	s_wait_loadcnt_dscnt 0x100
	v_mul_f32_e32 v131, v5, v2
	v_dual_mul_f32 v2, v6, v2 :: v_dual_mul_f32 v133, v7, v4
	s_delay_alu instid0(VALU_DEP_2) | instskip(NEXT) | instid1(VALU_DEP_2)
	v_fmac_f32_e32 v131, v6, v1
	v_fma_f32 v132, v5, v1, -v2
	v_mul_f32_e32 v1, v8, v4
	s_delay_alu instid0(VALU_DEP_4) | instskip(NEXT) | instid1(VALU_DEP_2)
	v_fmac_f32_e32 v133, v8, v3
	v_fma_f32 v134, v7, v3, -v1
	ds_load_2addr_b64 v[1:4], v21 offset0:65 offset1:66
	ds_load_2addr_b64 v[5:8], v21 offset0:67 offset1:68
	s_wait_loadcnt_dscnt 0x1
	v_mul_f32_e32 v135, v1, v10
	v_mul_f32_e32 v137, v3, v12
	s_delay_alu instid0(VALU_DEP_2) | instskip(NEXT) | instid1(VALU_DEP_2)
	v_fmac_f32_e32 v135, v2, v9
	v_dual_mul_f32 v2, v2, v10 :: v_dual_fmac_f32 v137, v4, v11
	s_delay_alu instid0(VALU_DEP_1) | instskip(SKIP_1) | instid1(VALU_DEP_1)
	v_fma_f32 v136, v1, v9, -v2
	v_mul_f32_e32 v1, v4, v12
	v_fma_f32 v138, v3, v11, -v1
	s_clause 0x1
	scratch_load_b128 v[1:4], off, off offset:184
	scratch_load_b128 v[9:12], off, off offset:200
	s_wait_loadcnt_dscnt 0x100
	v_mul_f32_e32 v139, v5, v2
	v_dual_mul_f32 v2, v6, v2 :: v_dual_mul_f32 v141, v7, v4
	s_delay_alu instid0(VALU_DEP_2) | instskip(NEXT) | instid1(VALU_DEP_2)
	v_fmac_f32_e32 v139, v6, v1
	v_fma_f32 v140, v5, v1, -v2
	v_mul_f32_e32 v1, v8, v4
	s_delay_alu instid0(VALU_DEP_4) | instskip(NEXT) | instid1(VALU_DEP_2)
	v_fmac_f32_e32 v141, v8, v3
	v_fma_f32 v142, v7, v3, -v1
	ds_load_2addr_b64 v[1:4], v21 offset0:69 offset1:70
	ds_load_2addr_b64 v[5:8], v21 offset0:71 offset1:72
	s_wait_loadcnt_dscnt 0x1
	v_mul_f32_e32 v143, v1, v10
	v_mul_f32_e32 v145, v3, v12
	s_delay_alu instid0(VALU_DEP_2) | instskip(NEXT) | instid1(VALU_DEP_2)
	v_fmac_f32_e32 v143, v2, v9
	v_dual_mul_f32 v2, v2, v10 :: v_dual_fmac_f32 v145, v4, v11
	s_delay_alu instid0(VALU_DEP_1) | instskip(SKIP_1) | instid1(VALU_DEP_1)
	v_fma_f32 v144, v1, v9, -v2
	v_mul_f32_e32 v1, v4, v12
	;; [unrolled: 25-line block ×3, first 2 shown]
	v_fma_f32 v154, v3, v11, -v1
	s_clause 0x1
	scratch_load_b128 v[1:4], off, off offset:248
	scratch_load_b128 v[9:12], off, off offset:264
	s_wait_loadcnt_dscnt 0x100
	v_mul_f32_e32 v155, v5, v2
	v_mul_f32_e32 v2, v6, v2
	s_delay_alu instid0(VALU_DEP_1) | instskip(SKIP_1) | instid1(VALU_DEP_1)
	v_fma_f32 v156, v5, v1, -v2
	v_add_f32_e32 v2, 0, v124
	v_add_f32_e32 v2, v2, v125
	s_delay_alu instid0(VALU_DEP_1) | instskip(NEXT) | instid1(VALU_DEP_1)
	v_add_f32_e32 v2, v2, v111
	v_add_f32_e32 v2, v2, v112
	s_delay_alu instid0(VALU_DEP_1) | instskip(NEXT) | instid1(VALU_DEP_1)
	;; [unrolled: 3-line block ×3, first 2 shown]
	v_add_f32_e32 v2, v2, v118
	v_add_f32_e32 v2, v2, v119
	s_delay_alu instid0(VALU_DEP_1) | instskip(SKIP_1) | instid1(VALU_DEP_2)
	v_dual_add_f32 v2, v2, v15 :: v_dual_mul_f32 v157, v7, v4
	v_fmac_f32_e32 v155, v6, v1
	v_dual_add_f32 v2, v2, v18 :: v_dual_mul_f32 v1, v8, v4
	s_delay_alu instid0(VALU_DEP_1) | instskip(NEXT) | instid1(VALU_DEP_4)
	v_add_f32_e32 v2, v2, v19
	v_fmac_f32_e32 v157, v8, v3
	s_delay_alu instid0(VALU_DEP_3) | instskip(NEXT) | instid1(VALU_DEP_3)
	v_fma_f32 v158, v7, v3, -v1
	v_dual_add_f32 v2, v2, v20 :: v_dual_add_f32 v1, 0, v22
	s_delay_alu instid0(VALU_DEP_1) | instskip(NEXT) | instid1(VALU_DEP_1)
	v_dual_add_f32 v2, v2, v127 :: v_dual_add_f32 v1, v1, v110
	v_add_f32_e32 v5, v2, v128
	s_delay_alu instid0(VALU_DEP_2) | instskip(NEXT) | instid1(VALU_DEP_1)
	v_add_f32_e32 v1, v1, v114
	v_add_f32_e32 v1, v1, v115
	s_delay_alu instid0(VALU_DEP_1) | instskip(NEXT) | instid1(VALU_DEP_1)
	v_add_f32_e32 v1, v1, v116
	v_add_f32_e32 v1, v1, v117
	s_delay_alu instid0(VALU_DEP_1) | instskip(SKIP_1) | instid1(VALU_DEP_2)
	v_add_f32_e32 v1, v1, v13
	v_add_f32_e32 v13, v5, v131
	;; [unrolled: 1-line block ×3, first 2 shown]
	s_delay_alu instid0(VALU_DEP_2) | instskip(NEXT) | instid1(VALU_DEP_1)
	v_add_f32_e32 v13, v13, v133
	v_add_f32_e32 v13, v13, v135
	s_delay_alu instid0(VALU_DEP_1) | instskip(NEXT) | instid1(VALU_DEP_1)
	v_add_f32_e32 v18, v13, v137
	v_dual_add_f32 v18, v18, v139 :: v_dual_add_f32 v1, v1, v16
	s_delay_alu instid0(VALU_DEP_1) | instskip(NEXT) | instid1(VALU_DEP_2)
	v_add_f32_e32 v18, v18, v141
	v_add_f32_e32 v1, v1, v17
	s_delay_alu instid0(VALU_DEP_1) | instskip(NEXT) | instid1(VALU_DEP_1)
	v_add_f32_e32 v1, v1, v120
	v_add_f32_e32 v1, v1, v121
	s_delay_alu instid0(VALU_DEP_1) | instskip(NEXT) | instid1(VALU_DEP_1)
	v_add_f32_e32 v1, v1, v129
	v_add_f32_e32 v1, v1, v130
	s_delay_alu instid0(VALU_DEP_1)
	v_add_f32_e32 v6, v1, v132
	ds_load_2addr_b64 v[1:4], v21 offset0:77 offset1:78
	v_add_f32_e32 v110, v18, v143
	v_add_f32_e32 v14, v6, v134
	scratch_load_b128 v[5:8], off, off offset:280
	v_add_f32_e32 v110, v110, v145
	v_add_f32_e32 v14, v14, v136
	s_delay_alu instid0(VALU_DEP_1)
	v_add_f32_e32 v17, v14, v138
	ds_load_2addr_b64 v[13:16], v21 offset0:79 offset1:80
	s_wait_loadcnt_dscnt 0x101
	v_mul_f32_e32 v22, v1, v10
	v_mul_f32_e32 v10, v2, v10
	;; [unrolled: 1-line block ×4, first 2 shown]
	v_add_f32_e32 v110, v110, v147
	v_fmac_f32_e32 v22, v2, v9
	v_fma_f32 v115, v1, v9, -v10
	v_fmac_f32_e32 v114, v4, v11
	v_fma_f32 v116, v3, v11, -v12
	s_clause 0x1
	scratch_load_b128 v[9:12], off, off offset:312
	scratch_load_b128 v[1:4], off, off offset:296
	v_add_f32_e32 v17, v17, v140
	s_wait_loadcnt_dscnt 0x200
	v_mul_f32_e32 v117, v13, v6
	v_mul_f32_e32 v6, v14, v6
	;; [unrolled: 1-line block ×3, first 2 shown]
	s_delay_alu instid0(VALU_DEP_3) | instskip(SKIP_1) | instid1(VALU_DEP_4)
	v_dual_mul_f32 v8, v16, v8 :: v_dual_fmac_f32 v117, v14, v5
	v_add_f32_e32 v17, v17, v142
	v_fma_f32 v119, v13, v5, -v6
	s_delay_alu instid0(VALU_DEP_4) | instskip(NEXT) | instid1(VALU_DEP_4)
	v_fmac_f32_e32 v118, v16, v7
	v_fma_f32 v120, v15, v7, -v8
	ds_load_2addr_b64 v[5:8], v21 offset0:81 offset1:82
	v_add_f32_e32 v17, v17, v144
	s_delay_alu instid0(VALU_DEP_1) | instskip(SKIP_3) | instid1(VALU_DEP_1)
	v_add_f32_e32 v111, v17, v146
	scratch_load_b128 v[17:20], off, off offset:328
	v_add_f32_e32 v13, v110, v149
	v_add_f32_e32 v111, v111, v148
	;; [unrolled: 1-line block ×3, first 2 shown]
	s_delay_alu instid0(VALU_DEP_1)
	v_dual_add_f32 v110, v111, v152 :: v_dual_add_f32 v111, v13, v151
	ds_load_2addr_b64 v[13:16], v21 offset0:83 offset1:84
	v_dual_add_f32 v121, v110, v154 :: v_dual_add_f32 v124, v111, v153
	ds_load_2addr_b64 v[110:113], v21 offset0:85 offset1:86
	v_add_f32_e32 v21, v121, v156
	s_wait_loadcnt_dscnt 0x201
	v_mul_f32_e32 v125, v15, v12
	s_delay_alu instid0(VALU_DEP_1) | instskip(SKIP_2) | instid1(VALU_DEP_1)
	v_fmac_f32_e32 v125, v16, v11
	s_wait_loadcnt 0x1
	v_dual_add_f32 v121, v124, v155 :: v_dual_mul_f32 v124, v5, v2
	v_dual_mul_f32 v2, v6, v2 :: v_dual_add_f32 v121, v121, v157
	s_delay_alu instid0(VALU_DEP_2) | instskip(SKIP_2) | instid1(VALU_DEP_4)
	v_fmac_f32_e32 v124, v6, v1
	v_mul_f32_e32 v6, v14, v10
	v_add_f32_e32 v21, v21, v158
	v_fma_f32 v2, v5, v1, -v2
	v_add_f32_e32 v22, v121, v22
	v_mul_f32_e32 v121, v13, v10
	s_delay_alu instid0(VALU_DEP_2) | instskip(NEXT) | instid1(VALU_DEP_2)
	v_add_f32_e32 v22, v22, v114
	v_fmac_f32_e32 v121, v14, v9
	s_delay_alu instid0(VALU_DEP_2) | instskip(NEXT) | instid1(VALU_DEP_1)
	v_dual_add_f32 v21, v21, v115 :: v_dual_add_f32 v22, v22, v117
	v_add_f32_e32 v21, v21, v116
	s_delay_alu instid0(VALU_DEP_2) | instskip(NEXT) | instid1(VALU_DEP_2)
	v_add_f32_e32 v5, v22, v118
	v_add_f32_e32 v21, v21, v119
	s_delay_alu instid0(VALU_DEP_1) | instskip(NEXT) | instid1(VALU_DEP_1)
	v_add_f32_e32 v1, v21, v120
	v_add_f32_e32 v1, v1, v2
	s_delay_alu instid0(VALU_DEP_4)
	v_add_f32_e32 v2, v5, v124
	v_fma_f32 v5, v13, v9, -v6
	s_wait_loadcnt_dscnt 0x0
	v_mul_f32_e32 v116, v112, v20
	v_mul_f32_e32 v115, v7, v4
	v_mul_f32_e32 v4, v8, v4
	v_mul_f32_e32 v114, v110, v18
	s_delay_alu instid0(VALU_DEP_4) | instskip(NEXT) | instid1(VALU_DEP_4)
	v_fmac_f32_e32 v116, v113, v19
	v_fmac_f32_e32 v115, v8, v3
	s_delay_alu instid0(VALU_DEP_4) | instskip(SKIP_2) | instid1(VALU_DEP_4)
	v_fma_f32 v3, v7, v3, -v4
	v_mul_f32_e32 v4, v16, v12
	v_fmac_f32_e32 v114, v111, v17
	v_add_f32_e32 v2, v2, v115
	s_delay_alu instid0(VALU_DEP_4) | instskip(SKIP_2) | instid1(VALU_DEP_4)
	v_add_f32_e32 v1, v1, v3
	v_mul_f32_e32 v3, v111, v18
	v_fma_f32 v4, v15, v11, -v4
	v_add_f32_e32 v2, v2, v121
	s_delay_alu instid0(VALU_DEP_4) | instskip(SKIP_2) | instid1(VALU_DEP_3)
	v_add_f32_e32 v1, v1, v5
	v_mul_f32_e32 v5, v113, v20
	v_fma_f32 v3, v110, v17, -v3
	v_dual_add_f32 v2, v2, v125 :: v_dual_add_f32 v1, v1, v4
	s_delay_alu instid0(VALU_DEP_3) | instskip(NEXT) | instid1(VALU_DEP_2)
	v_fma_f32 v4, v112, v19, -v5
	v_dual_add_f32 v2, v2, v114 :: v_dual_add_f32 v1, v1, v3
	s_delay_alu instid0(VALU_DEP_1) | instskip(NEXT) | instid1(VALU_DEP_1)
	v_add_f32_e32 v2, v2, v116
	v_dual_add_f32 v1, v1, v4 :: v_dual_sub_f32 v2, v123, v2
	s_delay_alu instid0(VALU_DEP_1)
	v_sub_f32_e32 v1, v122, v1
	scratch_store_b64 off, v[1:2], off offset:32
	v_cmpx_lt_u32_e32 3, v0
	s_cbranch_execz .LBB106_265
; %bb.264:
	scratch_load_b64 v[1:2], off, off offset:24
	v_mov_b32_e32 v3, 0
	s_delay_alu instid0(VALU_DEP_1)
	v_mov_b32_e32 v4, v3
	scratch_store_b64 off, v[3:4], off offset:24
	s_wait_loadcnt 0x0
	ds_store_b64 v23, v[1:2]
.LBB106_265:
	s_wait_alu 0xfffe
	s_or_b32 exec_lo, exec_lo, s0
	s_wait_storecnt_dscnt 0x0
	s_barrier_signal -1
	s_barrier_wait -1
	global_inv scope:SCOPE_SE
	s_clause 0x4
	scratch_load_b128 v[5:8], off, off offset:32
	scratch_load_b128 v[1:4], off, off offset:48
	;; [unrolled: 1-line block ×5, first 2 shown]
	v_mov_b32_e32 v21, 0
	ds_load_b128 v[110:113], v21 offset:384
	ds_load_b128 v[114:117], v21 offset:400
	;; [unrolled: 1-line block ×3, first 2 shown]
	scratch_load_b64 v[122:123], off, off offset:24
	s_mov_b32 s0, exec_lo
	s_wait_loadcnt_dscnt 0x502
	v_mul_f32_e32 v22, v111, v6
	v_dual_mul_f32 v124, v110, v6 :: v_dual_mul_f32 v125, v112, v8
	v_mul_f32_e32 v6, v113, v8
	s_delay_alu instid0(VALU_DEP_3) | instskip(NEXT) | instid1(VALU_DEP_3)
	v_fma_f32 v22, v110, v5, -v22
	v_dual_fmac_f32 v124, v111, v5 :: v_dual_fmac_f32 v125, v113, v7
	s_wait_loadcnt_dscnt 0x401
	v_mul_f32_e32 v111, v114, v2
	v_fma_f32 v110, v112, v7, -v6
	ds_load_b128 v[5:8], v21 offset:432
	s_wait_loadcnt_dscnt 0x301
	v_dual_mul_f32 v112, v116, v4 :: v_dual_mul_f32 v113, v118, v10
	v_dual_mul_f32 v4, v117, v4 :: v_dual_fmac_f32 v111, v115, v1
	v_mul_f32_e32 v10, v119, v10
	s_delay_alu instid0(VALU_DEP_3)
	v_dual_mul_f32 v126, v120, v12 :: v_dual_fmac_f32 v113, v119, v9
	v_mul_f32_e32 v12, v121, v12
	v_mul_f32_e32 v2, v115, v2
	v_fmac_f32_e32 v112, v117, v3
	v_fma_f32 v115, v116, v3, -v4
	v_fma_f32 v116, v118, v9, -v10
	v_fmac_f32_e32 v126, v121, v11
	v_fma_f32 v117, v120, v11, -v12
	ds_load_b128 v[9:12], v21 offset:448
	s_wait_loadcnt_dscnt 0x201
	v_dual_mul_f32 v119, v7, v16 :: v_dual_mul_f32 v118, v5, v14
	v_mul_f32_e32 v14, v6, v14
	v_mul_f32_e32 v16, v8, v16
	s_delay_alu instid0(VALU_DEP_3)
	v_fmac_f32_e32 v119, v8, v15
	v_fma_f32 v114, v114, v1, -v2
	scratch_load_b128 v[1:4], off, off offset:112
	v_fmac_f32_e32 v118, v6, v13
	v_fma_f32 v13, v5, v13, -v14
	v_fma_f32 v14, v7, v15, -v16
	ds_load_b128 v[5:8], v21 offset:464
	s_wait_loadcnt_dscnt 0x201
	v_mul_f32_e32 v15, v9, v18
	v_mul_f32_e32 v16, v10, v18
	;; [unrolled: 1-line block ×3, first 2 shown]
	s_delay_alu instid0(VALU_DEP_3) | instskip(NEXT) | instid1(VALU_DEP_3)
	v_dual_mul_f32 v20, v12, v20 :: v_dual_fmac_f32 v15, v10, v17
	v_fma_f32 v16, v9, v17, -v16
	s_delay_alu instid0(VALU_DEP_3) | instskip(NEXT) | instid1(VALU_DEP_3)
	v_fmac_f32_e32 v18, v12, v19
	v_fma_f32 v17, v11, v19, -v20
	scratch_load_b128 v[9:12], off, off offset:128
	s_wait_loadcnt_dscnt 0x100
	v_mul_f32_e32 v19, v5, v2
	v_mul_f32_e32 v2, v6, v2
	v_mul_f32_e32 v20, v7, v4
	s_delay_alu instid0(VALU_DEP_3) | instskip(NEXT) | instid1(VALU_DEP_3)
	v_dual_mul_f32 v4, v8, v4 :: v_dual_fmac_f32 v19, v6, v1
	v_fma_f32 v120, v5, v1, -v2
	s_delay_alu instid0(VALU_DEP_3) | instskip(NEXT) | instid1(VALU_DEP_3)
	v_fmac_f32_e32 v20, v8, v3
	v_fma_f32 v121, v7, v3, -v4
	ds_load_b128 v[1:4], v21 offset:480
	ds_load_b128 v[5:8], v21 offset:496
	s_wait_loadcnt_dscnt 0x1
	v_mul_f32_e32 v127, v1, v10
	v_mul_f32_e32 v10, v2, v10
	s_delay_alu instid0(VALU_DEP_2) | instskip(NEXT) | instid1(VALU_DEP_2)
	v_dual_mul_f32 v128, v3, v12 :: v_dual_fmac_f32 v127, v2, v9
	v_fma_f32 v129, v1, v9, -v10
	v_mul_f32_e32 v1, v4, v12
	s_delay_alu instid0(VALU_DEP_3) | instskip(NEXT) | instid1(VALU_DEP_2)
	v_fmac_f32_e32 v128, v4, v11
	v_fma_f32 v130, v3, v11, -v1
	s_clause 0x1
	scratch_load_b128 v[1:4], off, off offset:144
	scratch_load_b128 v[9:12], off, off offset:160
	s_wait_loadcnt_dscnt 0x100
	v_mul_f32_e32 v131, v5, v2
	v_dual_mul_f32 v2, v6, v2 :: v_dual_mul_f32 v133, v7, v4
	s_delay_alu instid0(VALU_DEP_2) | instskip(NEXT) | instid1(VALU_DEP_2)
	v_fmac_f32_e32 v131, v6, v1
	v_fma_f32 v132, v5, v1, -v2
	v_mul_f32_e32 v1, v8, v4
	s_delay_alu instid0(VALU_DEP_4) | instskip(NEXT) | instid1(VALU_DEP_2)
	v_fmac_f32_e32 v133, v8, v3
	v_fma_f32 v134, v7, v3, -v1
	ds_load_b128 v[1:4], v21 offset:512
	ds_load_b128 v[5:8], v21 offset:528
	s_wait_loadcnt_dscnt 0x1
	v_mul_f32_e32 v135, v1, v10
	v_mul_f32_e32 v137, v3, v12
	s_delay_alu instid0(VALU_DEP_2) | instskip(NEXT) | instid1(VALU_DEP_2)
	v_fmac_f32_e32 v135, v2, v9
	v_dual_mul_f32 v2, v2, v10 :: v_dual_fmac_f32 v137, v4, v11
	s_delay_alu instid0(VALU_DEP_1) | instskip(SKIP_1) | instid1(VALU_DEP_1)
	v_fma_f32 v136, v1, v9, -v2
	v_mul_f32_e32 v1, v4, v12
	v_fma_f32 v138, v3, v11, -v1
	s_clause 0x1
	scratch_load_b128 v[1:4], off, off offset:176
	scratch_load_b128 v[9:12], off, off offset:192
	s_wait_loadcnt_dscnt 0x100
	v_mul_f32_e32 v139, v5, v2
	v_dual_mul_f32 v141, v7, v4 :: v_dual_mul_f32 v2, v6, v2
	s_delay_alu instid0(VALU_DEP_2) | instskip(NEXT) | instid1(VALU_DEP_2)
	v_fmac_f32_e32 v139, v6, v1
	v_fmac_f32_e32 v141, v8, v3
	s_delay_alu instid0(VALU_DEP_3) | instskip(SKIP_1) | instid1(VALU_DEP_1)
	v_fma_f32 v140, v5, v1, -v2
	v_mul_f32_e32 v1, v8, v4
	v_fma_f32 v142, v7, v3, -v1
	ds_load_b128 v[1:4], v21 offset:544
	ds_load_b128 v[5:8], v21 offset:560
	s_wait_loadcnt_dscnt 0x1
	v_mul_f32_e32 v143, v1, v10
	v_mul_f32_e32 v145, v3, v12
	s_delay_alu instid0(VALU_DEP_2) | instskip(NEXT) | instid1(VALU_DEP_2)
	v_fmac_f32_e32 v143, v2, v9
	v_dual_mul_f32 v2, v2, v10 :: v_dual_fmac_f32 v145, v4, v11
	s_delay_alu instid0(VALU_DEP_1) | instskip(SKIP_1) | instid1(VALU_DEP_1)
	v_fma_f32 v144, v1, v9, -v2
	v_mul_f32_e32 v1, v4, v12
	v_fma_f32 v146, v3, v11, -v1
	s_clause 0x1
	scratch_load_b128 v[1:4], off, off offset:208
	scratch_load_b128 v[9:12], off, off offset:224
	s_wait_loadcnt_dscnt 0x100
	v_mul_f32_e32 v147, v5, v2
	v_dual_mul_f32 v2, v6, v2 :: v_dual_mul_f32 v149, v7, v4
	s_delay_alu instid0(VALU_DEP_2) | instskip(NEXT) | instid1(VALU_DEP_2)
	v_fmac_f32_e32 v147, v6, v1
	v_fma_f32 v148, v5, v1, -v2
	v_mul_f32_e32 v1, v8, v4
	s_delay_alu instid0(VALU_DEP_4) | instskip(NEXT) | instid1(VALU_DEP_2)
	v_fmac_f32_e32 v149, v8, v3
	v_fma_f32 v150, v7, v3, -v1
	ds_load_b128 v[1:4], v21 offset:576
	ds_load_b128 v[5:8], v21 offset:592
	s_wait_loadcnt_dscnt 0x1
	v_mul_f32_e32 v151, v1, v10
	v_mul_f32_e32 v153, v3, v12
	s_delay_alu instid0(VALU_DEP_2) | instskip(NEXT) | instid1(VALU_DEP_2)
	v_fmac_f32_e32 v151, v2, v9
	v_dual_mul_f32 v2, v2, v10 :: v_dual_fmac_f32 v153, v4, v11
	s_delay_alu instid0(VALU_DEP_1) | instskip(SKIP_1) | instid1(VALU_DEP_1)
	v_fma_f32 v152, v1, v9, -v2
	v_mul_f32_e32 v1, v4, v12
	v_fma_f32 v154, v3, v11, -v1
	s_clause 0x1
	scratch_load_b128 v[1:4], off, off offset:240
	scratch_load_b128 v[9:12], off, off offset:256
	s_wait_loadcnt_dscnt 0x100
	v_mul_f32_e32 v155, v5, v2
	v_mul_f32_e32 v2, v6, v2
	s_delay_alu instid0(VALU_DEP_1) | instskip(SKIP_1) | instid1(VALU_DEP_1)
	v_fma_f32 v156, v5, v1, -v2
	v_add_f32_e32 v2, 0, v124
	v_add_f32_e32 v2, v2, v125
	s_delay_alu instid0(VALU_DEP_1) | instskip(NEXT) | instid1(VALU_DEP_1)
	v_add_f32_e32 v2, v2, v111
	v_add_f32_e32 v2, v2, v112
	s_delay_alu instid0(VALU_DEP_1) | instskip(NEXT) | instid1(VALU_DEP_1)
	;; [unrolled: 3-line block ×4, first 2 shown]
	v_dual_add_f32 v2, v2, v15 :: v_dual_mul_f32 v157, v7, v4
	v_add_f32_e32 v2, v2, v18
	s_delay_alu instid0(VALU_DEP_1) | instskip(SKIP_1) | instid1(VALU_DEP_2)
	v_add_f32_e32 v2, v2, v19
	v_fmac_f32_e32 v155, v6, v1
	v_dual_fmac_f32 v157, v8, v3 :: v_dual_add_f32 v2, v2, v20
	s_delay_alu instid0(VALU_DEP_1) | instskip(NEXT) | instid1(VALU_DEP_1)
	v_dual_mul_f32 v1, v8, v4 :: v_dual_add_f32 v2, v2, v127
	v_fma_f32 v158, v7, v3, -v1
	v_add_f32_e32 v1, 0, v22
	s_delay_alu instid0(VALU_DEP_3) | instskip(NEXT) | instid1(VALU_DEP_2)
	v_add_f32_e32 v5, v2, v128
	v_add_f32_e32 v1, v1, v110
	s_delay_alu instid0(VALU_DEP_1) | instskip(NEXT) | instid1(VALU_DEP_1)
	v_add_f32_e32 v1, v1, v114
	v_add_f32_e32 v1, v1, v115
	scratch_load_b64 v[114:115], off, off offset:336
	v_add_f32_e32 v1, v1, v116
	s_delay_alu instid0(VALU_DEP_1) | instskip(NEXT) | instid1(VALU_DEP_1)
	v_add_f32_e32 v1, v1, v117
	v_add_f32_e32 v1, v1, v13
	;; [unrolled: 1-line block ×3, first 2 shown]
	s_delay_alu instid0(VALU_DEP_1) | instskip(NEXT) | instid1(VALU_DEP_1)
	v_add_f32_e32 v13, v13, v133
	v_add_f32_e32 v13, v13, v135
	s_delay_alu instid0(VALU_DEP_1) | instskip(NEXT) | instid1(VALU_DEP_1)
	v_add_f32_e32 v18, v13, v137
	v_dual_add_f32 v18, v18, v139 :: v_dual_add_f32 v1, v1, v14
	s_delay_alu instid0(VALU_DEP_1) | instskip(NEXT) | instid1(VALU_DEP_1)
	v_dual_add_f32 v18, v18, v141 :: v_dual_add_f32 v1, v1, v16
	v_add_f32_e32 v1, v1, v17
	s_delay_alu instid0(VALU_DEP_1) | instskip(NEXT) | instid1(VALU_DEP_1)
	v_add_f32_e32 v1, v1, v120
	v_add_f32_e32 v1, v1, v121
	s_delay_alu instid0(VALU_DEP_1) | instskip(NEXT) | instid1(VALU_DEP_1)
	v_add_f32_e32 v1, v1, v129
	v_add_f32_e32 v1, v1, v130
	s_delay_alu instid0(VALU_DEP_1)
	v_add_f32_e32 v6, v1, v132
	scratch_load_b128 v[1:4], off, off offset:272
	v_add_f32_e32 v110, v18, v143
	v_add_f32_e32 v14, v6, v134
	ds_load_b128 v[5:8], v21 offset:608
	v_add_f32_e32 v110, v110, v145
	v_add_f32_e32 v14, v14, v136
	s_delay_alu instid0(VALU_DEP_1)
	v_add_f32_e32 v17, v14, v138
	ds_load_b128 v[13:16], v21 offset:624
	s_wait_loadcnt_dscnt 0x201
	v_mul_f32_e32 v22, v5, v10
	v_mul_f32_e32 v10, v6, v10
	;; [unrolled: 1-line block ×4, first 2 shown]
	v_add_f32_e32 v110, v110, v147
	v_fmac_f32_e32 v22, v6, v9
	v_fma_f32 v119, v5, v9, -v10
	v_fmac_f32_e32 v118, v8, v11
	v_fma_f32 v120, v7, v11, -v12
	scratch_load_b128 v[5:8], off, off offset:288
	v_add_f32_e32 v110, v110, v149
	scratch_load_b128 v[9:12], off, off offset:304
	s_wait_loadcnt_dscnt 0x200
	v_mul_f32_e32 v121, v13, v2
	v_mul_f32_e32 v2, v14, v2
	;; [unrolled: 1-line block ×3, first 2 shown]
	s_delay_alu instid0(VALU_DEP_3) | instskip(NEXT) | instid1(VALU_DEP_3)
	v_dual_mul_f32 v4, v16, v4 :: v_dual_fmac_f32 v121, v14, v1
	v_fma_f32 v125, v13, v1, -v2
	v_add_f32_e32 v13, v110, v151
	s_delay_alu instid0(VALU_DEP_4) | instskip(NEXT) | instid1(VALU_DEP_4)
	v_fmac_f32_e32 v124, v16, v3
	v_fma_f32 v126, v15, v3, -v4
	ds_load_b128 v[1:4], v21 offset:640
	v_add_f32_e32 v110, v13, v153
	s_delay_alu instid0(VALU_DEP_1) | instskip(NEXT) | instid1(VALU_DEP_1)
	v_add_f32_e32 v117, v110, v155
	v_add_f32_e32 v128, v117, v157
	s_delay_alu instid0(VALU_DEP_1) | instskip(NEXT) | instid1(VALU_DEP_1)
	v_dual_add_f32 v17, v17, v140 :: v_dual_add_f32 v22, v128, v22
	v_add_f32_e32 v17, v17, v142
	s_delay_alu instid0(VALU_DEP_1) | instskip(NEXT) | instid1(VALU_DEP_1)
	v_dual_add_f32 v22, v22, v118 :: v_dual_add_f32 v17, v17, v144
	v_dual_add_f32 v22, v22, v121 :: v_dual_add_f32 v111, v17, v146
	scratch_load_b128 v[17:20], off, off offset:320
	v_add_f32_e32 v22, v22, v124
	v_add_f32_e32 v111, v111, v148
	s_delay_alu instid0(VALU_DEP_1) | instskip(NEXT) | instid1(VALU_DEP_1)
	v_add_f32_e32 v111, v111, v150
	v_add_f32_e32 v111, v111, v152
	s_delay_alu instid0(VALU_DEP_1)
	v_add_f32_e32 v14, v111, v154
	ds_load_b128 v[110:113], v21 offset:672
	v_add_f32_e32 v116, v14, v156
	ds_load_b128 v[13:16], v21 offset:656
	s_wait_loadcnt_dscnt 0x202
	v_mul_f32_e32 v118, v3, v8
	v_mul_f32_e32 v8, v4, v8
	v_add_f32_e32 v127, v116, v158
	ds_load_b64 v[116:117], v21 offset:688
	v_fmac_f32_e32 v118, v4, v7
	v_add_f32_e32 v119, v127, v119
	v_mul_f32_e32 v127, v1, v6
	v_mul_f32_e32 v6, v2, v6
	s_delay_alu instid0(VALU_DEP_2) | instskip(NEXT) | instid1(VALU_DEP_4)
	v_fmac_f32_e32 v127, v2, v5
	v_add_f32_e32 v119, v119, v120
	s_delay_alu instid0(VALU_DEP_3)
	v_fma_f32 v1, v1, v5, -v6
	v_fma_f32 v2, v3, v7, -v8
	s_wait_loadcnt_dscnt 0x101
	v_mul_f32_e32 v120, v13, v10
	v_add_f32_e32 v4, v22, v127
	v_mul_f32_e32 v3, v14, v10
	s_delay_alu instid0(VALU_DEP_3) | instskip(SKIP_2) | instid1(VALU_DEP_3)
	v_fmac_f32_e32 v120, v14, v9
	s_wait_dscnt 0x0
	v_dual_add_f32 v119, v119, v125 :: v_dual_mul_f32 v124, v116, v115
	v_fma_f32 v3, v13, v9, -v3
	s_delay_alu instid0(VALU_DEP_2) | instskip(NEXT) | instid1(VALU_DEP_1)
	v_add_f32_e32 v119, v119, v126
	v_dual_fmac_f32 v124, v117, v114 :: v_dual_add_f32 v1, v119, v1
	s_delay_alu instid0(VALU_DEP_1) | instskip(SKIP_1) | instid1(VALU_DEP_1)
	v_add_f32_e32 v1, v1, v2
	v_add_f32_e32 v2, v4, v118
	v_add_f32_e32 v2, v2, v120
	s_wait_loadcnt 0x0
	v_mul_f32_e32 v126, v112, v20
	v_mul_f32_e32 v121, v15, v12
	;; [unrolled: 1-line block ×4, first 2 shown]
	s_delay_alu instid0(VALU_DEP_4) | instskip(NEXT) | instid1(VALU_DEP_4)
	v_fmac_f32_e32 v126, v113, v19
	v_fmac_f32_e32 v121, v16, v11
	s_delay_alu instid0(VALU_DEP_4) | instskip(NEXT) | instid1(VALU_DEP_4)
	v_fmac_f32_e32 v125, v111, v17
	v_fma_f32 v4, v110, v17, -v4
	s_delay_alu instid0(VALU_DEP_3) | instskip(NEXT) | instid1(VALU_DEP_1)
	v_dual_add_f32 v2, v2, v121 :: v_dual_mul_f32 v5, v16, v12
	v_add_f32_e32 v2, v2, v125
	s_delay_alu instid0(VALU_DEP_2) | instskip(NEXT) | instid1(VALU_DEP_2)
	v_fma_f32 v5, v15, v11, -v5
	v_add_f32_e32 v2, v2, v126
	s_delay_alu instid0(VALU_DEP_1) | instskip(NEXT) | instid1(VALU_DEP_1)
	v_dual_add_f32 v2, v2, v124 :: v_dual_add_f32 v1, v1, v3
	v_dual_mul_f32 v3, v113, v20 :: v_dual_sub_f32 v2, v123, v2
	s_delay_alu instid0(VALU_DEP_2) | instskip(SKIP_1) | instid1(VALU_DEP_3)
	v_add_f32_e32 v1, v1, v5
	v_mul_f32_e32 v5, v117, v115
	v_fma_f32 v3, v112, v19, -v3
	s_delay_alu instid0(VALU_DEP_3) | instskip(NEXT) | instid1(VALU_DEP_3)
	v_add_f32_e32 v1, v1, v4
	v_fma_f32 v4, v116, v114, -v5
	s_delay_alu instid0(VALU_DEP_2) | instskip(NEXT) | instid1(VALU_DEP_1)
	v_add_f32_e32 v1, v1, v3
	v_add_f32_e32 v1, v1, v4
	s_delay_alu instid0(VALU_DEP_1)
	v_sub_f32_e32 v1, v122, v1
	scratch_store_b64 off, v[1:2], off offset:24
	v_cmpx_lt_u32_e32 2, v0
	s_cbranch_execz .LBB106_267
; %bb.266:
	scratch_load_b64 v[1:2], off, off offset:16
	v_mov_b32_e32 v22, v21
	scratch_store_b64 off, v[21:22], off offset:16
	s_wait_loadcnt 0x0
	ds_store_b64 v23, v[1:2]
.LBB106_267:
	s_wait_alu 0xfffe
	s_or_b32 exec_lo, exec_lo, s0
	s_wait_storecnt_dscnt 0x0
	s_barrier_signal -1
	s_barrier_wait -1
	global_inv scope:SCOPE_SE
	s_clause 0x4
	scratch_load_b128 v[5:8], off, off offset:24
	scratch_load_b128 v[1:4], off, off offset:40
	;; [unrolled: 1-line block ×5, first 2 shown]
	ds_load_2addr_b64 v[110:113], v21 offset0:47 offset1:48
	ds_load_2addr_b64 v[114:117], v21 offset0:49 offset1:50
	ds_load_2addr_b64 v[118:121], v21 offset0:51 offset1:52
	scratch_load_b64 v[122:123], off, off offset:16
	s_mov_b32 s0, exec_lo
	s_wait_loadcnt_dscnt 0x502
	v_dual_mul_f32 v22, v111, v6 :: v_dual_mul_f32 v125, v112, v8
	v_mul_f32_e32 v124, v110, v6
	v_mul_f32_e32 v6, v113, v8
	s_wait_loadcnt_dscnt 0x300
	v_mul_f32_e32 v126, v120, v12
	v_fma_f32 v22, v110, v5, -v22
	v_dual_fmac_f32 v125, v113, v7 :: v_dual_fmac_f32 v124, v111, v5
	v_mul_f32_e32 v113, v118, v10
	v_mul_f32_e32 v111, v114, v2
	v_fma_f32 v110, v112, v7, -v6
	ds_load_2addr_b64 v[5:8], v21 offset0:53 offset1:54
	v_mul_f32_e32 v112, v116, v4
	v_dual_mul_f32 v4, v117, v4 :: v_dual_fmac_f32 v113, v119, v9
	v_mul_f32_e32 v10, v119, v10
	v_mul_f32_e32 v12, v121, v12
	;; [unrolled: 1-line block ×3, first 2 shown]
	v_dual_fmac_f32 v111, v115, v1 :: v_dual_fmac_f32 v112, v117, v3
	v_fma_f32 v115, v116, v3, -v4
	v_fma_f32 v116, v118, v9, -v10
	v_fmac_f32_e32 v126, v121, v11
	v_fma_f32 v117, v120, v11, -v12
	ds_load_2addr_b64 v[9:12], v21 offset0:55 offset1:56
	s_wait_loadcnt_dscnt 0x201
	v_dual_mul_f32 v119, v7, v16 :: v_dual_mul_f32 v118, v5, v14
	s_delay_alu instid0(VALU_DEP_1)
	v_dual_mul_f32 v14, v6, v14 :: v_dual_fmac_f32 v119, v8, v15
	v_fma_f32 v114, v114, v1, -v2
	scratch_load_b128 v[1:4], off, off offset:104
	v_mul_f32_e32 v16, v8, v16
	v_fmac_f32_e32 v118, v6, v13
	v_fma_f32 v13, v5, v13, -v14
	s_delay_alu instid0(VALU_DEP_3)
	v_fma_f32 v14, v7, v15, -v16
	s_wait_loadcnt_dscnt 0x200
	v_mul_f32_e32 v15, v9, v18
	v_mul_f32_e32 v16, v10, v18
	;; [unrolled: 1-line block ×4, first 2 shown]
	ds_load_2addr_b64 v[5:8], v21 offset0:57 offset1:58
	v_fmac_f32_e32 v15, v10, v17
	v_fma_f32 v16, v9, v17, -v16
	v_fmac_f32_e32 v18, v12, v19
	v_fma_f32 v17, v11, v19, -v20
	scratch_load_b128 v[9:12], off, off offset:120
	s_wait_loadcnt_dscnt 0x100
	v_mul_f32_e32 v19, v5, v2
	v_mul_f32_e32 v2, v6, v2
	;; [unrolled: 1-line block ×3, first 2 shown]
	s_delay_alu instid0(VALU_DEP_3) | instskip(NEXT) | instid1(VALU_DEP_3)
	v_dual_mul_f32 v4, v8, v4 :: v_dual_fmac_f32 v19, v6, v1
	v_fma_f32 v120, v5, v1, -v2
	s_delay_alu instid0(VALU_DEP_3) | instskip(NEXT) | instid1(VALU_DEP_3)
	v_fmac_f32_e32 v20, v8, v3
	v_fma_f32 v121, v7, v3, -v4
	ds_load_2addr_b64 v[1:4], v21 offset0:59 offset1:60
	ds_load_2addr_b64 v[5:8], v21 offset0:61 offset1:62
	s_wait_loadcnt_dscnt 0x1
	v_mul_f32_e32 v127, v1, v10
	v_mul_f32_e32 v10, v2, v10
	s_delay_alu instid0(VALU_DEP_2) | instskip(NEXT) | instid1(VALU_DEP_2)
	v_dual_mul_f32 v128, v3, v12 :: v_dual_fmac_f32 v127, v2, v9
	v_fma_f32 v129, v1, v9, -v10
	v_mul_f32_e32 v1, v4, v12
	s_delay_alu instid0(VALU_DEP_3) | instskip(NEXT) | instid1(VALU_DEP_2)
	v_fmac_f32_e32 v128, v4, v11
	v_fma_f32 v130, v3, v11, -v1
	s_clause 0x1
	scratch_load_b128 v[1:4], off, off offset:136
	scratch_load_b128 v[9:12], off, off offset:152
	s_wait_loadcnt_dscnt 0x100
	v_mul_f32_e32 v131, v5, v2
	v_dual_mul_f32 v2, v6, v2 :: v_dual_mul_f32 v133, v7, v4
	s_delay_alu instid0(VALU_DEP_2) | instskip(NEXT) | instid1(VALU_DEP_2)
	v_fmac_f32_e32 v131, v6, v1
	v_fma_f32 v132, v5, v1, -v2
	v_mul_f32_e32 v1, v8, v4
	s_delay_alu instid0(VALU_DEP_4) | instskip(NEXT) | instid1(VALU_DEP_2)
	v_fmac_f32_e32 v133, v8, v3
	v_fma_f32 v134, v7, v3, -v1
	ds_load_2addr_b64 v[1:4], v21 offset0:63 offset1:64
	ds_load_2addr_b64 v[5:8], v21 offset0:65 offset1:66
	s_wait_loadcnt_dscnt 0x1
	v_mul_f32_e32 v135, v1, v10
	v_mul_f32_e32 v137, v3, v12
	s_delay_alu instid0(VALU_DEP_2) | instskip(NEXT) | instid1(VALU_DEP_2)
	v_fmac_f32_e32 v135, v2, v9
	v_dual_mul_f32 v2, v2, v10 :: v_dual_fmac_f32 v137, v4, v11
	s_delay_alu instid0(VALU_DEP_1) | instskip(SKIP_1) | instid1(VALU_DEP_1)
	v_fma_f32 v136, v1, v9, -v2
	v_mul_f32_e32 v1, v4, v12
	v_fma_f32 v138, v3, v11, -v1
	s_clause 0x1
	scratch_load_b128 v[1:4], off, off offset:168
	scratch_load_b128 v[9:12], off, off offset:184
	s_wait_loadcnt_dscnt 0x100
	v_mul_f32_e32 v139, v5, v2
	v_dual_mul_f32 v2, v6, v2 :: v_dual_mul_f32 v141, v7, v4
	s_delay_alu instid0(VALU_DEP_2) | instskip(NEXT) | instid1(VALU_DEP_2)
	v_fmac_f32_e32 v139, v6, v1
	v_fma_f32 v140, v5, v1, -v2
	v_mul_f32_e32 v1, v8, v4
	s_delay_alu instid0(VALU_DEP_4) | instskip(NEXT) | instid1(VALU_DEP_2)
	v_fmac_f32_e32 v141, v8, v3
	v_fma_f32 v142, v7, v3, -v1
	ds_load_2addr_b64 v[1:4], v21 offset0:67 offset1:68
	ds_load_2addr_b64 v[5:8], v21 offset0:69 offset1:70
	s_wait_loadcnt_dscnt 0x1
	v_mul_f32_e32 v143, v1, v10
	v_mul_f32_e32 v145, v3, v12
	s_delay_alu instid0(VALU_DEP_2) | instskip(NEXT) | instid1(VALU_DEP_2)
	v_fmac_f32_e32 v143, v2, v9
	v_dual_mul_f32 v2, v2, v10 :: v_dual_fmac_f32 v145, v4, v11
	s_delay_alu instid0(VALU_DEP_1) | instskip(SKIP_1) | instid1(VALU_DEP_1)
	v_fma_f32 v144, v1, v9, -v2
	v_mul_f32_e32 v1, v4, v12
	;; [unrolled: 25-line block ×4, first 2 shown]
	v_fma_f32 v162, v3, v11, -v1
	s_clause 0x1
	scratch_load_b128 v[1:4], off, off offset:264
	scratch_load_b128 v[9:12], off, off offset:280
	s_wait_loadcnt_dscnt 0x100
	v_mul_f32_e32 v163, v5, v2
	v_mul_f32_e32 v2, v6, v2
	s_delay_alu instid0(VALU_DEP_1) | instskip(SKIP_1) | instid1(VALU_DEP_1)
	v_fma_f32 v164, v5, v1, -v2
	v_add_f32_e32 v2, 0, v124
	v_add_f32_e32 v2, v2, v125
	s_delay_alu instid0(VALU_DEP_1) | instskip(NEXT) | instid1(VALU_DEP_1)
	v_add_f32_e32 v2, v2, v111
	v_add_f32_e32 v2, v2, v112
	s_delay_alu instid0(VALU_DEP_1) | instskip(NEXT) | instid1(VALU_DEP_1)
	;; [unrolled: 3-line block ×6, first 2 shown]
	v_add_f32_e32 v2, v2, v127
	v_add_f32_e32 v2, v2, v128
	v_fmac_f32_e32 v163, v6, v1
	s_delay_alu instid0(VALU_DEP_2) | instskip(NEXT) | instid1(VALU_DEP_1)
	v_dual_add_f32 v2, v2, v131 :: v_dual_mul_f32 v165, v7, v4
	v_add_f32_e32 v2, v2, v133
	s_delay_alu instid0(VALU_DEP_1) | instskip(NEXT) | instid1(VALU_DEP_1)
	v_add_f32_e32 v5, v2, v135
	v_add_f32_e32 v5, v5, v137
	s_delay_alu instid0(VALU_DEP_1) | instskip(SKIP_1) | instid1(VALU_DEP_1)
	v_add_f32_e32 v5, v5, v139
	v_mul_f32_e32 v1, v8, v4
	v_fma_f32 v166, v7, v3, -v1
	v_add_f32_e32 v1, 0, v22
	s_delay_alu instid0(VALU_DEP_1) | instskip(NEXT) | instid1(VALU_DEP_1)
	v_add_f32_e32 v1, v1, v110
	v_add_f32_e32 v1, v1, v114
	s_delay_alu instid0(VALU_DEP_1) | instskip(NEXT) | instid1(VALU_DEP_1)
	v_add_f32_e32 v1, v1, v115
	;; [unrolled: 3-line block ×3, first 2 shown]
	v_add_f32_e32 v1, v1, v13
	s_delay_alu instid0(VALU_DEP_1) | instskip(SKIP_1) | instid1(VALU_DEP_2)
	v_add_f32_e32 v1, v1, v14
	v_add_f32_e32 v14, v5, v141
	;; [unrolled: 1-line block ×3, first 2 shown]
	s_delay_alu instid0(VALU_DEP_1) | instskip(NEXT) | instid1(VALU_DEP_1)
	v_add_f32_e32 v1, v1, v17
	v_add_f32_e32 v1, v1, v120
	s_delay_alu instid0(VALU_DEP_1) | instskip(NEXT) | instid1(VALU_DEP_1)
	v_add_f32_e32 v1, v1, v121
	v_add_f32_e32 v1, v1, v129
	;; [unrolled: 3-line block ×4, first 2 shown]
	s_delay_alu instid0(VALU_DEP_1) | instskip(SKIP_3) | instid1(VALU_DEP_2)
	v_dual_add_f32 v6, v1, v138 :: v_dual_fmac_f32 v165, v8, v3
	ds_load_2addr_b64 v[1:4], v21 offset0:79 offset1:80
	v_add_f32_e32 v14, v14, v143
	v_add_f32_e32 v6, v6, v140
	;; [unrolled: 1-line block ×3, first 2 shown]
	s_delay_alu instid0(VALU_DEP_2) | instskip(SKIP_2) | instid1(VALU_DEP_1)
	v_add_f32_e32 v13, v6, v142
	ds_load_2addr_b64 v[5:8], v21 offset0:81 offset1:82
	v_add_f32_e32 v13, v13, v144
	v_add_f32_e32 v13, v13, v146
	s_wait_loadcnt_dscnt 0x1
	v_mul_f32_e32 v22, v1, v10
	v_mul_f32_e32 v114, v3, v12
	;; [unrolled: 1-line block ×4, first 2 shown]
	s_delay_alu instid0(VALU_DEP_4) | instskip(NEXT) | instid1(VALU_DEP_4)
	v_dual_add_f32 v13, v13, v148 :: v_dual_fmac_f32 v22, v2, v9
	v_fmac_f32_e32 v114, v4, v11
	s_delay_alu instid0(VALU_DEP_4) | instskip(NEXT) | instid1(VALU_DEP_4)
	v_fma_f32 v115, v1, v9, -v10
	v_fma_f32 v116, v3, v11, -v12
	s_clause 0x1
	scratch_load_b128 v[1:4], off, off offset:296
	scratch_load_b128 v[9:12], off, off offset:312
	v_dual_add_f32 v17, v14, v147 :: v_dual_add_f32 v18, v13, v150
	scratch_load_b128 v[13:16], off, off offset:328
	v_dual_add_f32 v17, v17, v149 :: v_dual_add_f32 v18, v18, v152
	s_delay_alu instid0(VALU_DEP_1) | instskip(NEXT) | instid1(VALU_DEP_1)
	v_dual_add_f32 v17, v17, v151 :: v_dual_add_f32 v18, v18, v154
	v_dual_add_f32 v17, v17, v153 :: v_dual_add_f32 v110, v18, v156
	s_delay_alu instid0(VALU_DEP_1) | instskip(NEXT) | instid1(VALU_DEP_2)
	v_add_f32_e32 v111, v17, v155
	v_add_f32_e32 v117, v110, v158
	ds_load_2addr_b64 v[17:20], v21 offset0:83 offset1:84
	v_add_f32_e32 v118, v111, v157
	ds_load_2addr_b64 v[110:113], v21 offset0:85 offset1:86
	v_add_f32_e32 v21, v117, v160
	v_add_f32_e32 v117, v118, v159
	s_delay_alu instid0(VALU_DEP_2) | instskip(NEXT) | instid1(VALU_DEP_2)
	v_add_f32_e32 v21, v21, v162
	v_add_f32_e32 v117, v117, v161
	s_delay_alu instid0(VALU_DEP_2) | instskip(NEXT) | instid1(VALU_DEP_2)
	;; [unrolled: 3-line block ×3, first 2 shown]
	v_add_f32_e32 v21, v21, v166
	v_add_f32_e32 v117, v117, v165
	s_delay_alu instid0(VALU_DEP_2) | instskip(SKIP_1) | instid1(VALU_DEP_2)
	v_add_f32_e32 v21, v21, v115
	s_wait_loadcnt_dscnt 0x202
	v_dual_add_f32 v22, v117, v22 :: v_dual_mul_f32 v119, v7, v4
	v_mul_f32_e32 v118, v5, v2
	v_mul_f32_e32 v2, v6, v2
	;; [unrolled: 1-line block ×3, first 2 shown]
	s_wait_loadcnt_dscnt 0x101
	v_dual_mul_f32 v120, v17, v10 :: v_dual_fmac_f32 v119, v8, v3
	v_fmac_f32_e32 v118, v6, v1
	v_fma_f32 v2, v5, v1, -v2
	v_add_f32_e32 v1, v21, v116
	v_add_f32_e32 v5, v22, v114
	v_mul_f32_e32 v6, v18, v10
	v_fma_f32 v3, v7, v3, -v4
	v_mul_f32_e32 v121, v19, v12
	v_add_f32_e32 v1, v1, v2
	v_add_f32_e32 v2, v5, v118
	v_mul_f32_e32 v4, v20, v12
	v_fmac_f32_e32 v120, v18, v9
	v_fma_f32 v5, v17, v9, -v6
	v_add_f32_e32 v1, v1, v3
	v_add_f32_e32 v2, v2, v119
	s_wait_loadcnt_dscnt 0x0
	v_mul_f32_e32 v124, v110, v14
	v_mul_f32_e32 v3, v111, v14
	v_fmac_f32_e32 v121, v20, v11
	v_fma_f32 v4, v19, v11, -v4
	v_dual_add_f32 v1, v1, v5 :: v_dual_add_f32 v2, v2, v120
	v_mul_f32_e32 v115, v112, v16
	v_dual_mul_f32 v5, v113, v16 :: v_dual_fmac_f32 v124, v111, v13
	v_fma_f32 v3, v110, v13, -v3
	s_delay_alu instid0(VALU_DEP_4) | instskip(NEXT) | instid1(VALU_DEP_4)
	v_dual_add_f32 v1, v1, v4 :: v_dual_add_f32 v2, v2, v121
	v_fmac_f32_e32 v115, v113, v15
	s_delay_alu instid0(VALU_DEP_4) | instskip(NEXT) | instid1(VALU_DEP_3)
	v_fma_f32 v4, v112, v15, -v5
	v_dual_add_f32 v1, v1, v3 :: v_dual_add_f32 v2, v2, v124
	s_delay_alu instid0(VALU_DEP_1) | instskip(NEXT) | instid1(VALU_DEP_1)
	v_dual_add_f32 v1, v1, v4 :: v_dual_add_f32 v2, v2, v115
	v_dual_sub_f32 v1, v122, v1 :: v_dual_sub_f32 v2, v123, v2
	scratch_store_b64 off, v[1:2], off offset:16
	v_cmpx_lt_u32_e32 1, v0
	s_cbranch_execz .LBB106_269
; %bb.268:
	scratch_load_b64 v[1:2], off, off offset:8
	v_mov_b32_e32 v3, 0
	s_delay_alu instid0(VALU_DEP_1)
	v_mov_b32_e32 v4, v3
	scratch_store_b64 off, v[3:4], off offset:8
	s_wait_loadcnt 0x0
	ds_store_b64 v23, v[1:2]
.LBB106_269:
	s_wait_alu 0xfffe
	s_or_b32 exec_lo, exec_lo, s0
	s_wait_storecnt_dscnt 0x0
	s_barrier_signal -1
	s_barrier_wait -1
	global_inv scope:SCOPE_SE
	s_clause 0x4
	scratch_load_b128 v[5:8], off, off offset:16
	scratch_load_b128 v[1:4], off, off offset:32
	;; [unrolled: 1-line block ×5, first 2 shown]
	v_mov_b32_e32 v110, 0
	ds_load_b128 v[111:114], v110 offset:368
	ds_load_b128 v[115:118], v110 offset:384
	;; [unrolled: 1-line block ×3, first 2 shown]
	scratch_load_b64 v[21:22], off, off offset:8
	s_mov_b32 s0, exec_lo
	s_wait_loadcnt_dscnt 0x502
	v_mul_f32_e32 v123, v112, v6
	v_dual_mul_f32 v124, v111, v6 :: v_dual_mul_f32 v125, v113, v8
	v_mul_f32_e32 v6, v114, v8
	s_delay_alu instid0(VALU_DEP_3) | instskip(NEXT) | instid1(VALU_DEP_3)
	v_fma_f32 v111, v111, v5, -v123
	v_dual_fmac_f32 v124, v112, v5 :: v_dual_fmac_f32 v125, v114, v7
	s_delay_alu instid0(VALU_DEP_3)
	v_fma_f32 v112, v113, v7, -v6
	ds_load_b128 v[5:8], v110 offset:416
	s_wait_loadcnt_dscnt 0x402
	v_dual_mul_f32 v113, v115, v2 :: v_dual_mul_f32 v114, v117, v4
	s_wait_loadcnt_dscnt 0x301
	v_dual_mul_f32 v123, v119, v10 :: v_dual_mul_f32 v4, v118, v4
	v_mul_f32_e32 v10, v120, v10
	v_mul_f32_e32 v126, v121, v12
	;; [unrolled: 1-line block ×4, first 2 shown]
	v_dual_fmac_f32 v113, v116, v1 :: v_dual_fmac_f32 v114, v118, v3
	v_fma_f32 v116, v117, v3, -v4
	v_fmac_f32_e32 v123, v120, v9
	v_fma_f32 v117, v119, v9, -v10
	v_fmac_f32_e32 v126, v122, v11
	v_fma_f32 v118, v121, v11, -v12
	ds_load_b128 v[9:12], v110 offset:432
	s_wait_loadcnt_dscnt 0x201
	v_mul_f32_e32 v119, v5, v14
	v_mul_f32_e32 v14, v6, v14
	;; [unrolled: 1-line block ×3, first 2 shown]
	s_delay_alu instid0(VALU_DEP_3)
	v_dual_mul_f32 v16, v8, v16 :: v_dual_fmac_f32 v119, v6, v13
	v_fma_f32 v115, v115, v1, -v2
	scratch_load_b128 v[1:4], off, off offset:96
	v_fma_f32 v13, v5, v13, -v14
	v_fmac_f32_e32 v120, v8, v15
	v_fma_f32 v14, v7, v15, -v16
	ds_load_b128 v[5:8], v110 offset:448
	s_wait_loadcnt_dscnt 0x201
	v_mul_f32_e32 v15, v9, v18
	v_mul_f32_e32 v16, v10, v18
	;; [unrolled: 1-line block ×3, first 2 shown]
	s_delay_alu instid0(VALU_DEP_3) | instskip(NEXT) | instid1(VALU_DEP_3)
	v_dual_mul_f32 v20, v12, v20 :: v_dual_fmac_f32 v15, v10, v17
	v_fma_f32 v16, v9, v17, -v16
	s_delay_alu instid0(VALU_DEP_3) | instskip(NEXT) | instid1(VALU_DEP_3)
	v_fmac_f32_e32 v18, v12, v19
	v_fma_f32 v17, v11, v19, -v20
	scratch_load_b128 v[9:12], off, off offset:112
	s_wait_loadcnt_dscnt 0x100
	v_mul_f32_e32 v19, v5, v2
	v_mul_f32_e32 v2, v6, v2
	;; [unrolled: 1-line block ×3, first 2 shown]
	s_delay_alu instid0(VALU_DEP_3) | instskip(NEXT) | instid1(VALU_DEP_3)
	v_dual_mul_f32 v4, v8, v4 :: v_dual_fmac_f32 v19, v6, v1
	v_fma_f32 v121, v5, v1, -v2
	s_delay_alu instid0(VALU_DEP_3) | instskip(NEXT) | instid1(VALU_DEP_3)
	v_fmac_f32_e32 v20, v8, v3
	v_fma_f32 v122, v7, v3, -v4
	ds_load_b128 v[1:4], v110 offset:464
	ds_load_b128 v[5:8], v110 offset:480
	s_wait_loadcnt_dscnt 0x1
	v_mul_f32_e32 v127, v1, v10
	v_mul_f32_e32 v10, v2, v10
	s_delay_alu instid0(VALU_DEP_2) | instskip(NEXT) | instid1(VALU_DEP_2)
	v_dual_mul_f32 v128, v3, v12 :: v_dual_fmac_f32 v127, v2, v9
	v_fma_f32 v129, v1, v9, -v10
	v_mul_f32_e32 v1, v4, v12
	s_delay_alu instid0(VALU_DEP_3) | instskip(NEXT) | instid1(VALU_DEP_2)
	v_fmac_f32_e32 v128, v4, v11
	v_fma_f32 v130, v3, v11, -v1
	s_clause 0x1
	scratch_load_b128 v[1:4], off, off offset:128
	scratch_load_b128 v[9:12], off, off offset:144
	s_wait_loadcnt_dscnt 0x100
	v_mul_f32_e32 v131, v5, v2
	v_dual_mul_f32 v2, v6, v2 :: v_dual_mul_f32 v133, v7, v4
	s_delay_alu instid0(VALU_DEP_2) | instskip(NEXT) | instid1(VALU_DEP_2)
	v_fmac_f32_e32 v131, v6, v1
	v_fma_f32 v132, v5, v1, -v2
	v_mul_f32_e32 v1, v8, v4
	s_delay_alu instid0(VALU_DEP_4) | instskip(NEXT) | instid1(VALU_DEP_2)
	v_fmac_f32_e32 v133, v8, v3
	v_fma_f32 v134, v7, v3, -v1
	ds_load_b128 v[1:4], v110 offset:496
	ds_load_b128 v[5:8], v110 offset:512
	s_wait_loadcnt_dscnt 0x1
	v_mul_f32_e32 v135, v1, v10
	v_mul_f32_e32 v137, v3, v12
	s_delay_alu instid0(VALU_DEP_2) | instskip(NEXT) | instid1(VALU_DEP_2)
	v_fmac_f32_e32 v135, v2, v9
	v_dual_mul_f32 v2, v2, v10 :: v_dual_fmac_f32 v137, v4, v11
	s_delay_alu instid0(VALU_DEP_1) | instskip(SKIP_1) | instid1(VALU_DEP_1)
	v_fma_f32 v136, v1, v9, -v2
	v_mul_f32_e32 v1, v4, v12
	v_fma_f32 v138, v3, v11, -v1
	s_clause 0x1
	scratch_load_b128 v[1:4], off, off offset:160
	scratch_load_b128 v[9:12], off, off offset:176
	s_wait_loadcnt_dscnt 0x100
	v_mul_f32_e32 v139, v5, v2
	v_dual_mul_f32 v141, v7, v4 :: v_dual_mul_f32 v2, v6, v2
	s_delay_alu instid0(VALU_DEP_2) | instskip(NEXT) | instid1(VALU_DEP_2)
	v_fmac_f32_e32 v139, v6, v1
	v_fmac_f32_e32 v141, v8, v3
	s_delay_alu instid0(VALU_DEP_3) | instskip(SKIP_1) | instid1(VALU_DEP_1)
	v_fma_f32 v140, v5, v1, -v2
	v_mul_f32_e32 v1, v8, v4
	v_fma_f32 v142, v7, v3, -v1
	ds_load_b128 v[1:4], v110 offset:528
	ds_load_b128 v[5:8], v110 offset:544
	s_wait_loadcnt_dscnt 0x1
	v_mul_f32_e32 v143, v1, v10
	v_mul_f32_e32 v145, v3, v12
	s_delay_alu instid0(VALU_DEP_2) | instskip(NEXT) | instid1(VALU_DEP_2)
	v_fmac_f32_e32 v143, v2, v9
	v_dual_mul_f32 v2, v2, v10 :: v_dual_fmac_f32 v145, v4, v11
	s_delay_alu instid0(VALU_DEP_1) | instskip(SKIP_1) | instid1(VALU_DEP_1)
	v_fma_f32 v144, v1, v9, -v2
	v_mul_f32_e32 v1, v4, v12
	v_fma_f32 v146, v3, v11, -v1
	s_clause 0x1
	scratch_load_b128 v[1:4], off, off offset:192
	scratch_load_b128 v[9:12], off, off offset:208
	s_wait_loadcnt_dscnt 0x100
	v_mul_f32_e32 v147, v5, v2
	v_dual_mul_f32 v2, v6, v2 :: v_dual_mul_f32 v149, v7, v4
	s_delay_alu instid0(VALU_DEP_2) | instskip(NEXT) | instid1(VALU_DEP_2)
	v_fmac_f32_e32 v147, v6, v1
	v_fma_f32 v148, v5, v1, -v2
	v_mul_f32_e32 v1, v8, v4
	s_delay_alu instid0(VALU_DEP_4) | instskip(NEXT) | instid1(VALU_DEP_2)
	v_fmac_f32_e32 v149, v8, v3
	v_fma_f32 v150, v7, v3, -v1
	ds_load_b128 v[1:4], v110 offset:560
	ds_load_b128 v[5:8], v110 offset:576
	s_wait_loadcnt_dscnt 0x1
	v_mul_f32_e32 v151, v1, v10
	v_mul_f32_e32 v153, v3, v12
	s_delay_alu instid0(VALU_DEP_2) | instskip(NEXT) | instid1(VALU_DEP_2)
	v_fmac_f32_e32 v151, v2, v9
	v_dual_mul_f32 v2, v2, v10 :: v_dual_fmac_f32 v153, v4, v11
	s_delay_alu instid0(VALU_DEP_1) | instskip(SKIP_1) | instid1(VALU_DEP_1)
	v_fma_f32 v152, v1, v9, -v2
	v_mul_f32_e32 v1, v4, v12
	v_fma_f32 v154, v3, v11, -v1
	s_clause 0x1
	scratch_load_b128 v[1:4], off, off offset:224
	scratch_load_b128 v[9:12], off, off offset:240
	s_wait_loadcnt_dscnt 0x100
	v_mul_f32_e32 v155, v5, v2
	v_dual_mul_f32 v2, v6, v2 :: v_dual_mul_f32 v157, v7, v4
	s_delay_alu instid0(VALU_DEP_2) | instskip(NEXT) | instid1(VALU_DEP_2)
	v_fmac_f32_e32 v155, v6, v1
	v_fma_f32 v156, v5, v1, -v2
	v_mul_f32_e32 v1, v8, v4
	s_delay_alu instid0(VALU_DEP_4) | instskip(NEXT) | instid1(VALU_DEP_2)
	v_fmac_f32_e32 v157, v8, v3
	v_fma_f32 v158, v7, v3, -v1
	ds_load_b128 v[1:4], v110 offset:592
	ds_load_b128 v[5:8], v110 offset:608
	s_wait_loadcnt_dscnt 0x1
	v_mul_f32_e32 v159, v1, v10
	v_mul_f32_e32 v161, v3, v12
	s_delay_alu instid0(VALU_DEP_2) | instskip(NEXT) | instid1(VALU_DEP_2)
	v_fmac_f32_e32 v159, v2, v9
	v_dual_mul_f32 v2, v2, v10 :: v_dual_fmac_f32 v161, v4, v11
	s_delay_alu instid0(VALU_DEP_1) | instskip(SKIP_1) | instid1(VALU_DEP_1)
	v_fma_f32 v160, v1, v9, -v2
	v_mul_f32_e32 v1, v4, v12
	v_fma_f32 v162, v3, v11, -v1
	s_clause 0x1
	scratch_load_b128 v[1:4], off, off offset:256
	scratch_load_b128 v[9:12], off, off offset:272
	s_wait_loadcnt_dscnt 0x100
	v_mul_f32_e32 v163, v5, v2
	v_mul_f32_e32 v2, v6, v2
	s_delay_alu instid0(VALU_DEP_1) | instskip(SKIP_1) | instid1(VALU_DEP_1)
	v_fma_f32 v164, v5, v1, -v2
	v_add_f32_e32 v2, 0, v124
	v_add_f32_e32 v2, v2, v125
	s_delay_alu instid0(VALU_DEP_1) | instskip(NEXT) | instid1(VALU_DEP_1)
	v_add_f32_e32 v2, v2, v113
	v_add_f32_e32 v2, v2, v114
	s_delay_alu instid0(VALU_DEP_1) | instskip(NEXT) | instid1(VALU_DEP_1)
	;; [unrolled: 3-line block ×7, first 2 shown]
	v_add_f32_e32 v2, v2, v131
	v_add_f32_e32 v2, v2, v133
	v_fmac_f32_e32 v163, v6, v1
	v_mul_f32_e32 v1, v8, v4
	s_delay_alu instid0(VALU_DEP_3) | instskip(NEXT) | instid1(VALU_DEP_2)
	v_add_f32_e32 v5, v2, v135
	v_fma_f32 v166, v7, v3, -v1
	v_add_f32_e32 v1, 0, v111
	s_delay_alu instid0(VALU_DEP_3) | instskip(NEXT) | instid1(VALU_DEP_2)
	v_add_f32_e32 v5, v5, v137
	v_add_f32_e32 v1, v1, v112
	s_delay_alu instid0(VALU_DEP_2) | instskip(SKIP_1) | instid1(VALU_DEP_3)
	v_add_f32_e32 v5, v5, v139
	v_mul_f32_e32 v165, v7, v4
	v_add_f32_e32 v1, v1, v115
	s_delay_alu instid0(VALU_DEP_1) | instskip(SKIP_2) | instid1(VALU_DEP_1)
	v_add_f32_e32 v1, v1, v116
	scratch_load_b64 v[115:116], off, off offset:336
	v_add_f32_e32 v1, v1, v117
	v_add_f32_e32 v1, v1, v118
	s_delay_alu instid0(VALU_DEP_1) | instskip(NEXT) | instid1(VALU_DEP_1)
	v_add_f32_e32 v1, v1, v13
	v_add_f32_e32 v1, v1, v14
	;; [unrolled: 1-line block ×3, first 2 shown]
	s_delay_alu instid0(VALU_DEP_2) | instskip(NEXT) | instid1(VALU_DEP_1)
	v_add_f32_e32 v1, v1, v16
	v_add_f32_e32 v1, v1, v17
	s_delay_alu instid0(VALU_DEP_1) | instskip(NEXT) | instid1(VALU_DEP_1)
	v_add_f32_e32 v1, v1, v121
	v_add_f32_e32 v1, v1, v122
	s_delay_alu instid0(VALU_DEP_1) | instskip(NEXT) | instid1(VALU_DEP_1)
	;; [unrolled: 3-line block ×4, first 2 shown]
	v_add_f32_e32 v1, v1, v136
	v_dual_add_f32 v6, v1, v138 :: v_dual_fmac_f32 v165, v8, v3
	ds_load_b128 v[1:4], v110 offset:624
	v_add_f32_e32 v14, v14, v143
	v_add_f32_e32 v6, v6, v140
	s_delay_alu instid0(VALU_DEP_2) | instskip(NEXT) | instid1(VALU_DEP_2)
	v_add_f32_e32 v14, v14, v145
	v_add_f32_e32 v13, v6, v142
	ds_load_b128 v[5:8], v110 offset:640
	v_add_f32_e32 v13, v13, v144
	s_wait_loadcnt_dscnt 0x101
	s_delay_alu instid0(VALU_DEP_1) | instskip(SKIP_1) | instid1(VALU_DEP_2)
	v_dual_add_f32 v13, v13, v146 :: v_dual_mul_f32 v120, v3, v12
	v_dual_add_f32 v17, v14, v147 :: v_dual_mul_f32 v12, v4, v12
	v_dual_add_f32 v13, v13, v148 :: v_dual_fmac_f32 v120, v4, v11
	s_delay_alu instid0(VALU_DEP_2) | instskip(NEXT) | instid1(VALU_DEP_3)
	v_add_f32_e32 v17, v17, v149
	v_fma_f32 v122, v3, v11, -v12
	s_delay_alu instid0(VALU_DEP_3) | instskip(SKIP_2) | instid1(VALU_DEP_1)
	v_add_f32_e32 v18, v13, v150
	scratch_load_b128 v[13:16], off, off offset:320
	v_dual_add_f32 v17, v17, v151 :: v_dual_add_f32 v18, v18, v152
	v_dual_add_f32 v17, v17, v153 :: v_dual_add_f32 v18, v18, v154
	s_delay_alu instid0(VALU_DEP_1) | instskip(NEXT) | instid1(VALU_DEP_1)
	v_dual_add_f32 v17, v17, v155 :: v_dual_add_f32 v18, v18, v156
	v_dual_add_f32 v111, v17, v157 :: v_dual_add_f32 v18, v18, v158
	s_delay_alu instid0(VALU_DEP_1)
	v_add_f32_e32 v118, v111, v159
	ds_load_b128 v[111:114], v110 offset:672
	v_add_f32_e32 v117, v18, v160
	ds_load_b128 v[17:20], v110 offset:656
	v_mul_f32_e32 v119, v1, v10
	v_mul_f32_e32 v10, v2, v10
	v_dual_add_f32 v124, v118, v161 :: v_dual_add_f32 v123, v117, v162
	ds_load_b64 v[117:118], v110 offset:688
	v_fma_f32 v121, v1, v9, -v10
	v_dual_add_f32 v124, v124, v163 :: v_dual_add_f32 v123, v123, v164
	s_delay_alu instid0(VALU_DEP_1) | instskip(NEXT) | instid1(VALU_DEP_1)
	v_dual_add_f32 v124, v124, v165 :: v_dual_add_f32 v123, v123, v166
	v_add_f32_e32 v121, v123, v121
	s_delay_alu instid0(VALU_DEP_1) | instskip(SKIP_2) | instid1(VALU_DEP_1)
	v_add_f32_e32 v121, v121, v122
	s_wait_loadcnt_dscnt 0x2
	v_dual_mul_f32 v122, v113, v16 :: v_dual_mul_f32 v127, v111, v14
	v_fmac_f32_e32 v122, v114, v15
	v_fmac_f32_e32 v119, v2, v9
	s_clause 0x1
	scratch_load_b128 v[1:4], off, off offset:288
	scratch_load_b128 v[9:12], off, off offset:304
	v_fmac_f32_e32 v127, v112, v13
	s_wait_loadcnt 0x1
	v_mul_f32_e32 v125, v5, v2
	v_mul_f32_e32 v2, v6, v2
	;; [unrolled: 1-line block ×3, first 2 shown]
	s_wait_loadcnt_dscnt 0x1
	v_dual_mul_f32 v4, v8, v4 :: v_dual_mul_f32 v123, v17, v10
	v_fmac_f32_e32 v125, v6, v1
	v_fma_f32 v2, v5, v1, -v2
	v_fmac_f32_e32 v126, v8, v3
	s_delay_alu instid0(VALU_DEP_4) | instskip(SKIP_1) | instid1(VALU_DEP_4)
	v_fma_f32 v1, v7, v3, -v4
	v_mul_f32_e32 v3, v18, v10
	v_dual_mul_f32 v5, v20, v12 :: v_dual_add_f32 v2, v121, v2
	v_dual_add_f32 v119, v124, v119 :: v_dual_mul_f32 v124, v19, v12
	v_fmac_f32_e32 v123, v18, v9
	s_delay_alu instid0(VALU_DEP_4) | instskip(NEXT) | instid1(VALU_DEP_4)
	v_fma_f32 v3, v17, v9, -v3
	v_add_f32_e32 v1, v2, v1
	s_delay_alu instid0(VALU_DEP_4) | instskip(SKIP_3) | instid1(VALU_DEP_3)
	v_dual_add_f32 v119, v119, v120 :: v_dual_fmac_f32 v124, v20, v11
	v_fma_f32 v5, v19, v11, -v5
	s_wait_dscnt 0x0
	v_mul_f32_e32 v120, v117, v116
	v_dual_add_f32 v1, v1, v3 :: v_dual_add_f32 v4, v119, v125
	v_mul_f32_e32 v3, v114, v16
	s_delay_alu instid0(VALU_DEP_2) | instskip(NEXT) | instid1(VALU_DEP_3)
	v_dual_fmac_f32 v120, v118, v115 :: v_dual_add_f32 v1, v1, v5
	v_add_f32_e32 v2, v4, v126
	v_dual_mul_f32 v4, v112, v14 :: v_dual_mul_f32 v5, v118, v116
	s_delay_alu instid0(VALU_DEP_4) | instskip(NEXT) | instid1(VALU_DEP_3)
	v_fma_f32 v3, v113, v15, -v3
	v_add_f32_e32 v2, v2, v123
	s_delay_alu instid0(VALU_DEP_3) | instskip(NEXT) | instid1(VALU_DEP_2)
	v_fma_f32 v4, v111, v13, -v4
	v_add_f32_e32 v2, v2, v124
	s_delay_alu instid0(VALU_DEP_2) | instskip(SKIP_1) | instid1(VALU_DEP_3)
	v_add_f32_e32 v1, v1, v4
	v_fma_f32 v4, v117, v115, -v5
	v_add_f32_e32 v2, v2, v127
	s_delay_alu instid0(VALU_DEP_1) | instskip(NEXT) | instid1(VALU_DEP_1)
	v_dual_add_f32 v1, v1, v3 :: v_dual_add_f32 v2, v2, v122
	v_add_f32_e32 v1, v1, v4
	s_delay_alu instid0(VALU_DEP_1) | instskip(NEXT) | instid1(VALU_DEP_1)
	v_dual_add_f32 v2, v2, v120 :: v_dual_sub_f32 v1, v21, v1
	v_sub_f32_e32 v2, v22, v2
	scratch_store_b64 off, v[1:2], off offset:8
	v_cmpx_ne_u32_e32 0, v0
	s_cbranch_execz .LBB106_271
; %bb.270:
	scratch_load_b64 v[0:1], off, off
	v_mov_b32_e32 v111, v110
	scratch_store_b64 off, v[110:111], off
	s_wait_loadcnt 0x0
	ds_store_b64 v23, v[0:1]
.LBB106_271:
	s_wait_alu 0xfffe
	s_or_b32 exec_lo, exec_lo, s0
	s_wait_storecnt_dscnt 0x0
	s_barrier_signal -1
	s_barrier_wait -1
	global_inv scope:SCOPE_SE
	s_clause 0x6
	scratch_load_b128 v[0:3], off, off offset:8
	scratch_load_b128 v[4:7], off, off offset:24
	;; [unrolled: 1-line block ×7, first 2 shown]
	ds_load_2addr_b64 v[115:118], v110 offset0:45 offset1:46
	ds_load_2addr_b64 v[119:122], v110 offset0:47 offset1:48
	scratch_load_b64 v[123:124], off, off
	s_and_b32 vcc_lo, exec_lo, s12
	s_wait_loadcnt_dscnt 0x701
	v_mul_f32_e32 v125, v116, v1
	v_dual_mul_f32 v126, v115, v1 :: v_dual_mul_f32 v127, v117, v3
	s_delay_alu instid0(VALU_DEP_1) | instskip(NEXT) | instid1(VALU_DEP_2)
	v_dual_mul_f32 v1, v118, v3 :: v_dual_fmac_f32 v126, v116, v0
	v_fmac_f32_e32 v127, v118, v2
	s_delay_alu instid0(VALU_DEP_2)
	v_fma_f32 v116, v117, v2, -v1
	s_wait_loadcnt_dscnt 0x600
	v_mul_f32_e32 v118, v121, v7
	v_fma_f32 v115, v115, v0, -v125
	ds_load_2addr_b64 v[0:3], v110 offset0:49 offset1:50
	v_mul_f32_e32 v117, v119, v5
	v_mul_f32_e32 v5, v120, v5
	;; [unrolled: 1-line block ×3, first 2 shown]
	s_delay_alu instid0(VALU_DEP_3) | instskip(NEXT) | instid1(VALU_DEP_3)
	v_dual_fmac_f32 v118, v122, v6 :: v_dual_fmac_f32 v117, v120, v4
	v_fma_f32 v119, v119, v4, -v5
	s_delay_alu instid0(VALU_DEP_3)
	v_fma_f32 v120, v121, v6, -v7
	ds_load_2addr_b64 v[4:7], v110 offset0:51 offset1:52
	s_wait_loadcnt_dscnt 0x501
	v_mul_f32_e32 v121, v0, v9
	v_dual_mul_f32 v9, v1, v9 :: v_dual_mul_f32 v122, v2, v11
	v_mul_f32_e32 v11, v3, v11
	s_delay_alu instid0(VALU_DEP_3) | instskip(NEXT) | instid1(VALU_DEP_3)
	v_fmac_f32_e32 v121, v1, v8
	v_fma_f32 v125, v0, v8, -v9
	s_delay_alu instid0(VALU_DEP_4) | instskip(NEXT) | instid1(VALU_DEP_4)
	v_fmac_f32_e32 v122, v3, v10
	v_fma_f32 v128, v2, v10, -v11
	ds_load_2addr_b64 v[0:3], v110 offset0:53 offset1:54
	s_wait_loadcnt_dscnt 0x401
	v_mul_f32_e32 v129, v4, v13
	v_dual_mul_f32 v8, v5, v13 :: v_dual_mul_f32 v13, v6, v15
	v_mul_f32_e32 v9, v7, v15
	s_delay_alu instid0(VALU_DEP_3) | instskip(NEXT) | instid1(VALU_DEP_3)
	v_fmac_f32_e32 v129, v5, v12
	v_fma_f32 v12, v4, v12, -v8
	s_delay_alu instid0(VALU_DEP_4) | instskip(NEXT) | instid1(VALU_DEP_4)
	v_fmac_f32_e32 v13, v7, v14
	;; [unrolled: 11-line block ×4, first 2 shown]
	v_fma_f32 v22, v6, v22, -v9
	ds_load_2addr_b64 v[4:7], v110 offset0:59 offset1:60
	s_wait_loadcnt_dscnt 0x101
	v_mul_f32_e32 v23, v0, v112
	v_mul_f32_e32 v8, v1, v112
	;; [unrolled: 1-line block ×4, first 2 shown]
	s_delay_alu instid0(VALU_DEP_4) | instskip(NEXT) | instid1(VALU_DEP_4)
	v_fmac_f32_e32 v23, v1, v111
	v_fma_f32 v111, v0, v111, -v8
	s_delay_alu instid0(VALU_DEP_4) | instskip(NEXT) | instid1(VALU_DEP_4)
	v_fmac_f32_e32 v112, v3, v113
	v_fma_f32 v113, v2, v113, -v9
	s_clause 0x1
	scratch_load_b128 v[0:3], off, off offset:120
	scratch_load_b128 v[8:11], off, off offset:136
	s_wait_loadcnt_dscnt 0x100
	v_mul_f32_e32 v114, v4, v1
	v_mul_f32_e32 v1, v5, v1
	s_delay_alu instid0(VALU_DEP_2) | instskip(NEXT) | instid1(VALU_DEP_2)
	v_dual_mul_f32 v131, v6, v3 :: v_dual_fmac_f32 v114, v5, v0
	v_fma_f32 v130, v4, v0, -v1
	v_mul_f32_e32 v0, v7, v3
	s_delay_alu instid0(VALU_DEP_3) | instskip(NEXT) | instid1(VALU_DEP_2)
	v_fmac_f32_e32 v131, v7, v2
	v_fma_f32 v132, v6, v2, -v0
	ds_load_2addr_b64 v[0:3], v110 offset0:61 offset1:62
	ds_load_2addr_b64 v[4:7], v110 offset0:63 offset1:64
	s_wait_loadcnt_dscnt 0x1
	v_mul_f32_e32 v133, v0, v9
	v_mul_f32_e32 v135, v2, v11
	s_delay_alu instid0(VALU_DEP_2) | instskip(SKIP_1) | instid1(VALU_DEP_3)
	v_fmac_f32_e32 v133, v1, v8
	v_mul_f32_e32 v1, v1, v9
	v_fmac_f32_e32 v135, v3, v10
	s_delay_alu instid0(VALU_DEP_2) | instskip(SKIP_1) | instid1(VALU_DEP_1)
	v_fma_f32 v134, v0, v8, -v1
	v_mul_f32_e32 v0, v3, v11
	v_fma_f32 v136, v2, v10, -v0
	s_clause 0x1
	scratch_load_b128 v[0:3], off, off offset:152
	scratch_load_b128 v[8:11], off, off offset:168
	s_wait_loadcnt_dscnt 0x100
	v_mul_f32_e32 v137, v4, v1
	v_mul_f32_e32 v1, v5, v1
	;; [unrolled: 1-line block ×3, first 2 shown]
	s_delay_alu instid0(VALU_DEP_3) | instskip(NEXT) | instid1(VALU_DEP_3)
	v_fmac_f32_e32 v137, v5, v0
	v_fma_f32 v138, v4, v0, -v1
	v_mul_f32_e32 v0, v7, v3
	s_delay_alu instid0(VALU_DEP_4) | instskip(NEXT) | instid1(VALU_DEP_2)
	v_fmac_f32_e32 v139, v7, v2
	v_fma_f32 v140, v6, v2, -v0
	ds_load_2addr_b64 v[0:3], v110 offset0:65 offset1:66
	ds_load_2addr_b64 v[4:7], v110 offset0:67 offset1:68
	s_wait_loadcnt_dscnt 0x1
	v_mul_f32_e32 v141, v0, v9
	s_delay_alu instid0(VALU_DEP_1) | instskip(SKIP_2) | instid1(VALU_DEP_2)
	v_fmac_f32_e32 v141, v1, v8
	v_mul_f32_e32 v1, v1, v9
	v_mul_f32_e32 v143, v2, v11
	v_fma_f32 v142, v0, v8, -v1
	v_mul_f32_e32 v0, v3, v11
	s_delay_alu instid0(VALU_DEP_3) | instskip(NEXT) | instid1(VALU_DEP_2)
	v_fmac_f32_e32 v143, v3, v10
	v_fma_f32 v144, v2, v10, -v0
	s_clause 0x1
	scratch_load_b128 v[0:3], off, off offset:184
	scratch_load_b128 v[8:11], off, off offset:200
	s_wait_loadcnt_dscnt 0x100
	v_mul_f32_e32 v145, v4, v1
	v_mul_f32_e32 v1, v5, v1
	;; [unrolled: 1-line block ×3, first 2 shown]
	s_delay_alu instid0(VALU_DEP_3) | instskip(NEXT) | instid1(VALU_DEP_3)
	v_fmac_f32_e32 v145, v5, v0
	v_fma_f32 v146, v4, v0, -v1
	v_mul_f32_e32 v0, v7, v3
	s_delay_alu instid0(VALU_DEP_4) | instskip(NEXT) | instid1(VALU_DEP_2)
	v_fmac_f32_e32 v147, v7, v2
	v_fma_f32 v148, v6, v2, -v0
	ds_load_2addr_b64 v[0:3], v110 offset0:69 offset1:70
	ds_load_2addr_b64 v[4:7], v110 offset0:71 offset1:72
	s_wait_loadcnt_dscnt 0x1
	v_mul_f32_e32 v149, v0, v9
	v_mul_f32_e32 v151, v2, v11
	s_delay_alu instid0(VALU_DEP_2) | instskip(SKIP_1) | instid1(VALU_DEP_3)
	v_fmac_f32_e32 v149, v1, v8
	v_mul_f32_e32 v1, v1, v9
	v_fmac_f32_e32 v151, v3, v10
	s_delay_alu instid0(VALU_DEP_2) | instskip(SKIP_1) | instid1(VALU_DEP_1)
	v_fma_f32 v150, v0, v8, -v1
	v_mul_f32_e32 v0, v3, v11
	v_fma_f32 v152, v2, v10, -v0
	s_clause 0x1
	scratch_load_b128 v[0:3], off, off offset:216
	scratch_load_b128 v[8:11], off, off offset:232
	s_wait_loadcnt_dscnt 0x100
	v_mul_f32_e32 v153, v4, v1
	v_mul_f32_e32 v1, v5, v1
	;; [unrolled: 1-line block ×3, first 2 shown]
	s_delay_alu instid0(VALU_DEP_3) | instskip(NEXT) | instid1(VALU_DEP_3)
	v_fmac_f32_e32 v153, v5, v0
	v_fma_f32 v154, v4, v0, -v1
	v_mul_f32_e32 v0, v7, v3
	s_delay_alu instid0(VALU_DEP_4) | instskip(NEXT) | instid1(VALU_DEP_2)
	v_fmac_f32_e32 v155, v7, v2
	v_fma_f32 v156, v6, v2, -v0
	ds_load_2addr_b64 v[0:3], v110 offset0:73 offset1:74
	ds_load_2addr_b64 v[4:7], v110 offset0:75 offset1:76
	s_wait_loadcnt_dscnt 0x1
	v_mul_f32_e32 v157, v0, v9
	v_mul_f32_e32 v159, v2, v11
	s_delay_alu instid0(VALU_DEP_2) | instskip(SKIP_1) | instid1(VALU_DEP_3)
	v_fmac_f32_e32 v157, v1, v8
	v_mul_f32_e32 v1, v1, v9
	v_fmac_f32_e32 v159, v3, v10
	s_delay_alu instid0(VALU_DEP_2) | instskip(SKIP_1) | instid1(VALU_DEP_1)
	v_fma_f32 v158, v0, v8, -v1
	v_mul_f32_e32 v0, v3, v11
	v_fma_f32 v160, v2, v10, -v0
	s_clause 0x1
	scratch_load_b128 v[0:3], off, off offset:248
	scratch_load_b128 v[8:11], off, off offset:264
	s_wait_loadcnt_dscnt 0x100
	v_mul_f32_e32 v161, v4, v1
	v_mul_f32_e32 v1, v5, v1
	s_delay_alu instid0(VALU_DEP_2) | instskip(NEXT) | instid1(VALU_DEP_2)
	v_fmac_f32_e32 v161, v5, v0
	v_fma_f32 v162, v4, v0, -v1
	v_dual_mul_f32 v0, v7, v3 :: v_dual_add_f32 v1, 0, v126
	s_delay_alu instid0(VALU_DEP_1) | instskip(SKIP_1) | instid1(VALU_DEP_1)
	v_fma_f32 v164, v6, v2, -v0
	v_add_f32_e32 v0, 0, v115
	v_dual_add_f32 v1, v1, v127 :: v_dual_add_f32 v0, v0, v116
	s_delay_alu instid0(VALU_DEP_1) | instskip(NEXT) | instid1(VALU_DEP_1)
	v_dual_add_f32 v1, v1, v117 :: v_dual_add_f32 v0, v0, v119
	v_dual_add_f32 v1, v1, v118 :: v_dual_add_f32 v0, v0, v120
	s_delay_alu instid0(VALU_DEP_1) | instskip(NEXT) | instid1(VALU_DEP_1)
	v_add_f32_e32 v1, v1, v121
	v_dual_add_f32 v0, v0, v125 :: v_dual_add_f32 v1, v1, v122
	s_delay_alu instid0(VALU_DEP_1) | instskip(NEXT) | instid1(VALU_DEP_1)
	v_dual_add_f32 v0, v0, v128 :: v_dual_add_f32 v1, v1, v129
	v_dual_add_f32 v0, v0, v12 :: v_dual_add_f32 v1, v1, v13
	s_delay_alu instid0(VALU_DEP_1) | instskip(NEXT) | instid1(VALU_DEP_1)
	v_dual_add_f32 v0, v0, v14 :: v_dual_add_f32 v1, v1, v15
	;; [unrolled: 3-line block ×6, first 2 shown]
	v_dual_add_f32 v4, v0, v134 :: v_dual_add_f32 v5, v5, v135
	s_delay_alu instid0(VALU_DEP_1) | instskip(NEXT) | instid1(VALU_DEP_2)
	v_add_f32_e32 v4, v4, v136
	v_add_f32_e32 v12, v5, v137
	s_delay_alu instid0(VALU_DEP_2) | instskip(NEXT) | instid1(VALU_DEP_2)
	v_add_f32_e32 v4, v4, v138
	v_add_f32_e32 v12, v12, v139
	s_delay_alu instid0(VALU_DEP_2) | instskip(NEXT) | instid1(VALU_DEP_1)
	v_add_f32_e32 v13, v4, v140
	v_dual_add_f32 v12, v12, v141 :: v_dual_add_f32 v13, v13, v142
	s_delay_alu instid0(VALU_DEP_1) | instskip(NEXT) | instid1(VALU_DEP_1)
	v_dual_add_f32 v12, v12, v143 :: v_dual_add_f32 v13, v13, v144
	v_dual_add_f32 v12, v12, v145 :: v_dual_add_f32 v13, v13, v146
	s_delay_alu instid0(VALU_DEP_1) | instskip(NEXT) | instid1(VALU_DEP_1)
	v_add_f32_e32 v16, v13, v148
	v_add_f32_e32 v20, v16, v150
	s_delay_alu instid0(VALU_DEP_1) | instskip(NEXT) | instid1(VALU_DEP_1)
	v_add_f32_e32 v20, v20, v152
	v_add_f32_e32 v20, v20, v154
	s_delay_alu instid0(VALU_DEP_1)
	v_add_f32_e32 v20, v20, v156
	v_add_f32_e32 v17, v12, v147
	scratch_load_b128 v[12:15], off, off offset:312
	v_dual_add_f32 v112, v20, v158 :: v_dual_add_f32 v21, v17, v149
	scratch_load_b128 v[16:19], off, off offset:328
	v_add_f32_e32 v115, v112, v160
	s_delay_alu instid0(VALU_DEP_1) | instskip(SKIP_2) | instid1(VALU_DEP_1)
	v_add_f32_e32 v126, v115, v162
	ds_load_2addr_b64 v[115:118], v110 offset0:85 offset1:86
	v_dual_add_f32 v126, v126, v164 :: v_dual_add_f32 v21, v21, v151
	v_add_f32_e32 v21, v21, v153
	s_delay_alu instid0(VALU_DEP_1) | instskip(SKIP_2) | instid1(VALU_DEP_1)
	v_add_f32_e32 v111, v21, v155
	ds_load_2addr_b64 v[20:23], v110 offset0:81 offset1:82
	v_add_f32_e32 v111, v111, v157
	v_add_f32_e32 v125, v111, v159
	ds_load_2addr_b64 v[111:114], v110 offset0:83 offset1:84
	v_mul_f32_e32 v163, v6, v3
	s_delay_alu instid0(VALU_DEP_1) | instskip(SKIP_4) | instid1(VALU_DEP_1)
	v_fmac_f32_e32 v163, v7, v2
	ds_load_2addr_b64 v[0:3], v110 offset0:77 offset1:78
	ds_load_2addr_b64 v[4:7], v110 offset0:79 offset1:80
	v_add_f32_e32 v110, v125, v161
	s_wait_loadcnt_dscnt 0x201
	v_dual_add_f32 v110, v110, v163 :: v_dual_mul_f32 v119, v0, v9
	v_dual_mul_f32 v9, v1, v9 :: v_dual_mul_f32 v120, v2, v11
	v_mul_f32_e32 v11, v3, v11
	s_delay_alu instid0(VALU_DEP_3) | instskip(NEXT) | instid1(VALU_DEP_3)
	v_fmac_f32_e32 v119, v1, v8
	v_fma_f32 v121, v0, v8, -v9
	s_delay_alu instid0(VALU_DEP_4) | instskip(NEXT) | instid1(VALU_DEP_4)
	v_fmac_f32_e32 v120, v3, v10
	v_fma_f32 v122, v2, v10, -v11
	s_clause 0x1
	scratch_load_b128 v[0:3], off, off offset:280
	scratch_load_b128 v[8:11], off, off offset:296
	v_add_f32_e32 v121, v126, v121
	s_wait_loadcnt_dscnt 0x100
	v_dual_add_f32 v110, v110, v119 :: v_dual_mul_f32 v125, v4, v1
	v_mul_f32_e32 v1, v5, v1
	v_mul_f32_e32 v127, v6, v3
	s_wait_loadcnt 0x0
	v_dual_mul_f32 v3, v7, v3 :: v_dual_mul_f32 v126, v20, v9
	v_fmac_f32_e32 v125, v5, v0
	v_fma_f32 v0, v4, v0, -v1
	v_dual_add_f32 v4, v121, v122 :: v_dual_add_f32 v5, v110, v120
	v_fmac_f32_e32 v127, v7, v2
	v_fma_f32 v1, v6, v2, -v3
	s_delay_alu instid0(VALU_DEP_3) | instskip(NEXT) | instid1(VALU_DEP_4)
	v_dual_mul_f32 v7, v21, v9 :: v_dual_add_f32 v0, v4, v0
	v_dual_add_f32 v4, v5, v125 :: v_dual_mul_f32 v119, v22, v11
	v_dual_mul_f32 v5, v23, v11 :: v_dual_fmac_f32 v126, v21, v8
	s_delay_alu instid0(VALU_DEP_3) | instskip(NEXT) | instid1(VALU_DEP_4)
	v_fma_f32 v7, v20, v8, -v7
	v_add_f32_e32 v0, v0, v1
	s_delay_alu instid0(VALU_DEP_4) | instskip(SKIP_2) | instid1(VALU_DEP_3)
	v_dual_add_f32 v1, v4, v127 :: v_dual_mul_f32 v2, v111, v13
	v_dual_mul_f32 v4, v112, v13 :: v_dual_fmac_f32 v119, v23, v10
	v_fma_f32 v5, v22, v10, -v5
	v_dual_add_f32 v0, v0, v7 :: v_dual_add_f32 v1, v1, v126
	v_mul_f32_e32 v3, v113, v15
	v_dual_mul_f32 v7, v114, v15 :: v_dual_fmac_f32 v2, v112, v12
	v_fma_f32 v4, v111, v12, -v4
	s_delay_alu instid0(VALU_DEP_4)
	v_dual_add_f32 v0, v0, v5 :: v_dual_add_f32 v1, v1, v119
	v_mul_f32_e32 v6, v115, v17
	v_mul_f32_e32 v5, v116, v17
	v_fmac_f32_e32 v3, v114, v14
	v_fma_f32 v7, v113, v14, -v7
	v_dual_add_f32 v0, v0, v4 :: v_dual_add_f32 v1, v1, v2
	v_mul_f32_e32 v9, v117, v19
	v_mul_f32_e32 v2, v118, v19
	v_fmac_f32_e32 v6, v116, v16
	v_fma_f32 v4, v115, v16, -v5
	v_add_f32_e32 v0, v0, v7
	v_add_f32_e32 v1, v1, v3
	v_fmac_f32_e32 v9, v118, v18
	v_fma_f32 v2, v117, v18, -v2
	s_delay_alu instid0(VALU_DEP_3) | instskip(NEXT) | instid1(VALU_DEP_1)
	v_dual_add_f32 v0, v0, v4 :: v_dual_add_f32 v1, v1, v6
	v_dual_add_f32 v0, v0, v2 :: v_dual_add_f32 v1, v1, v9
	s_delay_alu instid0(VALU_DEP_1)
	v_dual_sub_f32 v0, v123, v0 :: v_dual_sub_f32 v1, v124, v1
	scratch_store_b64 off, v[0:1], off
	s_wait_alu 0xfffe
	s_cbranch_vccz .LBB106_356
; %bb.272:
	v_mov_b32_e32 v0, 0
	global_load_b32 v1, v0, s[2:3] offset:164
	s_wait_loadcnt 0x0
	v_cmp_ne_u32_e32 vcc_lo, 42, v1
	s_cbranch_vccz .LBB106_274
; %bb.273:
	v_lshlrev_b32_e32 v1, 3, v1
	s_delay_alu instid0(VALU_DEP_1)
	v_mov_b32_e32 v5, v1
	scratch_load_b64 v[1:2], v5, off offset:-8
	scratch_load_b64 v[3:4], off, off offset:328
	s_wait_loadcnt 0x1
	scratch_store_b64 off, v[1:2], off offset:328
	s_wait_loadcnt 0x0
	scratch_store_b64 v5, v[3:4], off offset:-8
.LBB106_274:
	global_load_b32 v0, v0, s[2:3] offset:160
	s_wait_loadcnt 0x0
	v_cmp_eq_u32_e32 vcc_lo, 41, v0
	s_cbranch_vccnz .LBB106_276
; %bb.275:
	v_lshlrev_b32_e32 v0, 3, v0
	s_delay_alu instid0(VALU_DEP_1)
	v_mov_b32_e32 v4, v0
	scratch_load_b64 v[0:1], v4, off offset:-8
	scratch_load_b64 v[2:3], off, off offset:320
	s_wait_loadcnt 0x1
	scratch_store_b64 off, v[0:1], off offset:320
	s_wait_loadcnt 0x0
	scratch_store_b64 v4, v[2:3], off offset:-8
.LBB106_276:
	v_mov_b32_e32 v0, 0
	global_load_b32 v1, v0, s[2:3] offset:156
	s_wait_loadcnt 0x0
	v_cmp_eq_u32_e32 vcc_lo, 40, v1
	s_cbranch_vccnz .LBB106_278
; %bb.277:
	v_lshlrev_b32_e32 v1, 3, v1
	s_delay_alu instid0(VALU_DEP_1)
	v_mov_b32_e32 v5, v1
	scratch_load_b64 v[1:2], v5, off offset:-8
	scratch_load_b64 v[3:4], off, off offset:312
	s_wait_loadcnt 0x1
	scratch_store_b64 off, v[1:2], off offset:312
	s_wait_loadcnt 0x0
	scratch_store_b64 v5, v[3:4], off offset:-8
.LBB106_278:
	global_load_b32 v0, v0, s[2:3] offset:152
	s_wait_loadcnt 0x0
	v_cmp_eq_u32_e32 vcc_lo, 39, v0
	s_cbranch_vccnz .LBB106_280
; %bb.279:
	v_lshlrev_b32_e32 v0, 3, v0
	s_delay_alu instid0(VALU_DEP_1)
	v_mov_b32_e32 v4, v0
	scratch_load_b64 v[0:1], v4, off offset:-8
	scratch_load_b64 v[2:3], off, off offset:304
	s_wait_loadcnt 0x1
	scratch_store_b64 off, v[0:1], off offset:304
	s_wait_loadcnt 0x0
	scratch_store_b64 v4, v[2:3], off offset:-8
.LBB106_280:
	v_mov_b32_e32 v0, 0
	global_load_b32 v1, v0, s[2:3] offset:148
	s_wait_loadcnt 0x0
	v_cmp_eq_u32_e32 vcc_lo, 38, v1
	s_cbranch_vccnz .LBB106_282
; %bb.281:
	v_lshlrev_b32_e32 v1, 3, v1
	s_delay_alu instid0(VALU_DEP_1)
	v_mov_b32_e32 v5, v1
	scratch_load_b64 v[1:2], v5, off offset:-8
	scratch_load_b64 v[3:4], off, off offset:296
	s_wait_loadcnt 0x1
	scratch_store_b64 off, v[1:2], off offset:296
	s_wait_loadcnt 0x0
	scratch_store_b64 v5, v[3:4], off offset:-8
.LBB106_282:
	;; [unrolled: 31-line block ×20, first 2 shown]
	global_load_b32 v0, v0, s[2:3]
	s_wait_loadcnt 0x0
	v_cmp_eq_u32_e32 vcc_lo, 1, v0
	s_cbranch_vccnz .LBB106_356
; %bb.355:
	v_lshlrev_b32_e32 v0, 3, v0
	s_delay_alu instid0(VALU_DEP_1)
	v_mov_b32_e32 v4, v0
	scratch_load_b64 v[0:1], v4, off offset:-8
	scratch_load_b64 v[2:3], off, off
	s_wait_loadcnt 0x1
	scratch_store_b64 off, v[0:1], off
	s_wait_loadcnt 0x0
	scratch_store_b64 v4, v[2:3], off offset:-8
.LBB106_356:
	scratch_load_b64 v[0:1], off, off
	s_wait_loadcnt 0x0
	flat_store_b64 v[24:25], v[0:1]
	scratch_load_b64 v[0:1], off, off offset:8
	s_wait_loadcnt 0x0
	flat_store_b64 v[26:27], v[0:1]
	scratch_load_b64 v[0:1], off, off offset:16
	s_wait_loadcnt 0x0
	flat_store_b64 v[28:29], v[0:1]
	scratch_load_b64 v[0:1], off, off offset:24
	s_wait_loadcnt 0x0
	flat_store_b64 v[30:31], v[0:1]
	scratch_load_b64 v[0:1], off, off offset:32
	s_wait_loadcnt 0x0
	flat_store_b64 v[32:33], v[0:1]
	scratch_load_b64 v[0:1], off, off offset:40
	s_wait_loadcnt 0x0
	flat_store_b64 v[34:35], v[0:1]
	scratch_load_b64 v[0:1], off, off offset:48
	s_wait_loadcnt 0x0
	flat_store_b64 v[36:37], v[0:1]
	scratch_load_b64 v[0:1], off, off offset:56
	s_wait_loadcnt 0x0
	flat_store_b64 v[38:39], v[0:1]
	scratch_load_b64 v[0:1], off, off offset:64
	s_wait_loadcnt 0x0
	flat_store_b64 v[40:41], v[0:1]
	scratch_load_b64 v[0:1], off, off offset:72
	s_wait_loadcnt 0x0
	flat_store_b64 v[42:43], v[0:1]
	scratch_load_b64 v[0:1], off, off offset:80
	s_wait_loadcnt 0x0
	flat_store_b64 v[44:45], v[0:1]
	scratch_load_b64 v[0:1], off, off offset:88
	s_wait_loadcnt 0x0
	flat_store_b64 v[46:47], v[0:1]
	scratch_load_b64 v[0:1], off, off offset:96
	s_wait_loadcnt 0x0
	flat_store_b64 v[48:49], v[0:1]
	scratch_load_b64 v[0:1], off, off offset:104
	s_wait_loadcnt 0x0
	flat_store_b64 v[50:51], v[0:1]
	scratch_load_b64 v[0:1], off, off offset:112
	s_wait_loadcnt 0x0
	flat_store_b64 v[52:53], v[0:1]
	scratch_load_b64 v[0:1], off, off offset:120
	s_wait_loadcnt 0x0
	flat_store_b64 v[54:55], v[0:1]
	scratch_load_b64 v[0:1], off, off offset:128
	s_wait_loadcnt 0x0
	flat_store_b64 v[56:57], v[0:1]
	scratch_load_b64 v[0:1], off, off offset:136
	s_wait_loadcnt 0x0
	flat_store_b64 v[58:59], v[0:1]
	scratch_load_b64 v[0:1], off, off offset:144
	s_wait_loadcnt 0x0
	flat_store_b64 v[60:61], v[0:1]
	scratch_load_b64 v[0:1], off, off offset:152
	s_wait_loadcnt 0x0
	flat_store_b64 v[62:63], v[0:1]
	scratch_load_b64 v[0:1], off, off offset:160
	s_wait_loadcnt 0x0
	flat_store_b64 v[64:65], v[0:1]
	scratch_load_b64 v[0:1], off, off offset:168
	s_wait_loadcnt 0x0
	flat_store_b64 v[66:67], v[0:1]
	scratch_load_b64 v[0:1], off, off offset:176
	s_wait_loadcnt 0x0
	flat_store_b64 v[68:69], v[0:1]
	scratch_load_b64 v[0:1], off, off offset:184
	s_wait_loadcnt 0x0
	flat_store_b64 v[70:71], v[0:1]
	scratch_load_b64 v[0:1], off, off offset:192
	s_wait_loadcnt 0x0
	flat_store_b64 v[72:73], v[0:1]
	scratch_load_b64 v[0:1], off, off offset:200
	s_wait_loadcnt 0x0
	flat_store_b64 v[74:75], v[0:1]
	scratch_load_b64 v[0:1], off, off offset:208
	s_wait_loadcnt 0x0
	flat_store_b64 v[76:77], v[0:1]
	scratch_load_b64 v[0:1], off, off offset:216
	s_wait_loadcnt 0x0
	flat_store_b64 v[78:79], v[0:1]
	scratch_load_b64 v[0:1], off, off offset:224
	s_wait_loadcnt 0x0
	flat_store_b64 v[80:81], v[0:1]
	scratch_load_b64 v[0:1], off, off offset:232
	s_wait_loadcnt 0x0
	flat_store_b64 v[82:83], v[0:1]
	scratch_load_b64 v[0:1], off, off offset:240
	s_wait_loadcnt 0x0
	flat_store_b64 v[84:85], v[0:1]
	scratch_load_b64 v[0:1], off, off offset:248
	s_wait_loadcnt 0x0
	flat_store_b64 v[86:87], v[0:1]
	scratch_load_b64 v[0:1], off, off offset:256
	s_wait_loadcnt 0x0
	flat_store_b64 v[88:89], v[0:1]
	scratch_load_b64 v[0:1], off, off offset:264
	s_wait_loadcnt 0x0
	flat_store_b64 v[90:91], v[0:1]
	scratch_load_b64 v[0:1], off, off offset:272
	s_wait_loadcnt 0x0
	flat_store_b64 v[92:93], v[0:1]
	scratch_load_b64 v[0:1], off, off offset:280
	s_wait_loadcnt 0x0
	flat_store_b64 v[94:95], v[0:1]
	scratch_load_b64 v[0:1], off, off offset:288
	s_wait_loadcnt 0x0
	flat_store_b64 v[96:97], v[0:1]
	scratch_load_b64 v[0:1], off, off offset:296
	s_wait_loadcnt 0x0
	flat_store_b64 v[98:99], v[0:1]
	scratch_load_b64 v[0:1], off, off offset:304
	s_wait_loadcnt 0x0
	flat_store_b64 v[100:101], v[0:1]
	scratch_load_b64 v[0:1], off, off offset:312
	s_wait_loadcnt 0x0
	flat_store_b64 v[102:103], v[0:1]
	scratch_load_b64 v[0:1], off, off offset:320
	s_wait_loadcnt 0x0
	flat_store_b64 v[104:105], v[0:1]
	scratch_load_b64 v[0:1], off, off offset:328
	s_wait_loadcnt 0x0
	flat_store_b64 v[106:107], v[0:1]
	scratch_load_b64 v[0:1], off, off offset:336
	s_wait_loadcnt 0x0
	flat_store_b64 v[108:109], v[0:1]
	s_nop 0
	s_sendmsg sendmsg(MSG_DEALLOC_VGPRS)
	s_endpgm
	.section	.rodata,"a",@progbits
	.p2align	6, 0x0
	.amdhsa_kernel _ZN9rocsolver6v33100L18getri_kernel_smallILi43E19rocblas_complex_numIfEPKPS3_EEvT1_iilPiilS8_bb
		.amdhsa_group_segment_fixed_size 696
		.amdhsa_private_segment_fixed_size 352
		.amdhsa_kernarg_size 60
		.amdhsa_user_sgpr_count 2
		.amdhsa_user_sgpr_dispatch_ptr 0
		.amdhsa_user_sgpr_queue_ptr 0
		.amdhsa_user_sgpr_kernarg_segment_ptr 1
		.amdhsa_user_sgpr_dispatch_id 0
		.amdhsa_user_sgpr_private_segment_size 0
		.amdhsa_wavefront_size32 1
		.amdhsa_uses_dynamic_stack 0
		.amdhsa_enable_private_segment 1
		.amdhsa_system_sgpr_workgroup_id_x 1
		.amdhsa_system_sgpr_workgroup_id_y 0
		.amdhsa_system_sgpr_workgroup_id_z 0
		.amdhsa_system_sgpr_workgroup_info 0
		.amdhsa_system_vgpr_workitem_id 0
		.amdhsa_next_free_vgpr 250
		.amdhsa_next_free_sgpr 19
		.amdhsa_reserve_vcc 1
		.amdhsa_float_round_mode_32 0
		.amdhsa_float_round_mode_16_64 0
		.amdhsa_float_denorm_mode_32 3
		.amdhsa_float_denorm_mode_16_64 3
		.amdhsa_fp16_overflow 0
		.amdhsa_workgroup_processor_mode 1
		.amdhsa_memory_ordered 1
		.amdhsa_forward_progress 1
		.amdhsa_inst_pref_size 255
		.amdhsa_round_robin_scheduling 0
		.amdhsa_exception_fp_ieee_invalid_op 0
		.amdhsa_exception_fp_denorm_src 0
		.amdhsa_exception_fp_ieee_div_zero 0
		.amdhsa_exception_fp_ieee_overflow 0
		.amdhsa_exception_fp_ieee_underflow 0
		.amdhsa_exception_fp_ieee_inexact 0
		.amdhsa_exception_int_div_zero 0
	.end_amdhsa_kernel
	.section	.text._ZN9rocsolver6v33100L18getri_kernel_smallILi43E19rocblas_complex_numIfEPKPS3_EEvT1_iilPiilS8_bb,"axG",@progbits,_ZN9rocsolver6v33100L18getri_kernel_smallILi43E19rocblas_complex_numIfEPKPS3_EEvT1_iilPiilS8_bb,comdat
.Lfunc_end106:
	.size	_ZN9rocsolver6v33100L18getri_kernel_smallILi43E19rocblas_complex_numIfEPKPS3_EEvT1_iilPiilS8_bb, .Lfunc_end106-_ZN9rocsolver6v33100L18getri_kernel_smallILi43E19rocblas_complex_numIfEPKPS3_EEvT1_iilPiilS8_bb
                                        ; -- End function
	.set _ZN9rocsolver6v33100L18getri_kernel_smallILi43E19rocblas_complex_numIfEPKPS3_EEvT1_iilPiilS8_bb.num_vgpr, 250
	.set _ZN9rocsolver6v33100L18getri_kernel_smallILi43E19rocblas_complex_numIfEPKPS3_EEvT1_iilPiilS8_bb.num_agpr, 0
	.set _ZN9rocsolver6v33100L18getri_kernel_smallILi43E19rocblas_complex_numIfEPKPS3_EEvT1_iilPiilS8_bb.numbered_sgpr, 19
	.set _ZN9rocsolver6v33100L18getri_kernel_smallILi43E19rocblas_complex_numIfEPKPS3_EEvT1_iilPiilS8_bb.num_named_barrier, 0
	.set _ZN9rocsolver6v33100L18getri_kernel_smallILi43E19rocblas_complex_numIfEPKPS3_EEvT1_iilPiilS8_bb.private_seg_size, 352
	.set _ZN9rocsolver6v33100L18getri_kernel_smallILi43E19rocblas_complex_numIfEPKPS3_EEvT1_iilPiilS8_bb.uses_vcc, 1
	.set _ZN9rocsolver6v33100L18getri_kernel_smallILi43E19rocblas_complex_numIfEPKPS3_EEvT1_iilPiilS8_bb.uses_flat_scratch, 1
	.set _ZN9rocsolver6v33100L18getri_kernel_smallILi43E19rocblas_complex_numIfEPKPS3_EEvT1_iilPiilS8_bb.has_dyn_sized_stack, 0
	.set _ZN9rocsolver6v33100L18getri_kernel_smallILi43E19rocblas_complex_numIfEPKPS3_EEvT1_iilPiilS8_bb.has_recursion, 0
	.set _ZN9rocsolver6v33100L18getri_kernel_smallILi43E19rocblas_complex_numIfEPKPS3_EEvT1_iilPiilS8_bb.has_indirect_call, 0
	.section	.AMDGPU.csdata,"",@progbits
; Kernel info:
; codeLenInByte = 66596
; TotalNumSgprs: 21
; NumVgprs: 250
; ScratchSize: 352
; MemoryBound: 0
; FloatMode: 240
; IeeeMode: 1
; LDSByteSize: 696 bytes/workgroup (compile time only)
; SGPRBlocks: 0
; VGPRBlocks: 31
; NumSGPRsForWavesPerEU: 21
; NumVGPRsForWavesPerEU: 250
; Occupancy: 5
; WaveLimiterHint : 1
; COMPUTE_PGM_RSRC2:SCRATCH_EN: 1
; COMPUTE_PGM_RSRC2:USER_SGPR: 2
; COMPUTE_PGM_RSRC2:TRAP_HANDLER: 0
; COMPUTE_PGM_RSRC2:TGID_X_EN: 1
; COMPUTE_PGM_RSRC2:TGID_Y_EN: 0
; COMPUTE_PGM_RSRC2:TGID_Z_EN: 0
; COMPUTE_PGM_RSRC2:TIDIG_COMP_CNT: 0
	.section	.text._ZN9rocsolver6v33100L18getri_kernel_smallILi44E19rocblas_complex_numIfEPKPS3_EEvT1_iilPiilS8_bb,"axG",@progbits,_ZN9rocsolver6v33100L18getri_kernel_smallILi44E19rocblas_complex_numIfEPKPS3_EEvT1_iilPiilS8_bb,comdat
	.globl	_ZN9rocsolver6v33100L18getri_kernel_smallILi44E19rocblas_complex_numIfEPKPS3_EEvT1_iilPiilS8_bb ; -- Begin function _ZN9rocsolver6v33100L18getri_kernel_smallILi44E19rocblas_complex_numIfEPKPS3_EEvT1_iilPiilS8_bb
	.p2align	8
	.type	_ZN9rocsolver6v33100L18getri_kernel_smallILi44E19rocblas_complex_numIfEPKPS3_EEvT1_iilPiilS8_bb,@function
_ZN9rocsolver6v33100L18getri_kernel_smallILi44E19rocblas_complex_numIfEPKPS3_EEvT1_iilPiilS8_bb: ; @_ZN9rocsolver6v33100L18getri_kernel_smallILi44E19rocblas_complex_numIfEPKPS3_EEvT1_iilPiilS8_bb
; %bb.0:
	s_mov_b32 s2, exec_lo
	v_cmpx_gt_u32_e32 44, v0
	s_cbranch_execz .LBB107_190
; %bb.1:
	s_clause 0x1
	s_load_b32 s13, s[0:1], 0x38
	s_load_b64 s[2:3], s[0:1], 0x0
	s_mov_b32 s8, ttmp9
	s_load_b128 s[4:7], s[0:1], 0x28
	s_wait_kmcnt 0x0
	s_bitcmp1_b32 s13, 8
	s_cselect_b32 s12, -1, 0
	s_ashr_i32 s9, ttmp9, 31
	s_delay_alu instid0(SALU_CYCLE_1) | instskip(NEXT) | instid1(SALU_CYCLE_1)
	s_lshl_b64 s[10:11], s[8:9], 3
	s_add_nc_u64 s[2:3], s[2:3], s[10:11]
	s_load_b64 s[10:11], s[2:3], 0x0
	s_bfe_u32 s2, s13, 0x10008
	s_delay_alu instid0(SALU_CYCLE_1)
	s_cmp_eq_u32 s2, 0
                                        ; implicit-def: $sgpr2_sgpr3
	s_cbranch_scc1 .LBB107_3
; %bb.2:
	s_load_b96 s[16:18], s[0:1], 0x18
	s_mul_u64 s[2:3], s[4:5], s[8:9]
	s_delay_alu instid0(SALU_CYCLE_1)
	s_lshl_b64 s[2:3], s[2:3], 2
	s_wait_kmcnt 0x0
	s_ashr_i32 s5, s18, 31
	s_mov_b32 s4, s18
	s_add_nc_u64 s[2:3], s[16:17], s[2:3]
	s_lshl_b64 s[4:5], s[4:5], 2
	s_delay_alu instid0(SALU_CYCLE_1)
	s_add_nc_u64 s[2:3], s[2:3], s[4:5]
.LBB107_3:
	s_clause 0x1
	s_load_b64 s[4:5], s[0:1], 0x8
	s_load_b32 s13, s[0:1], 0x38
	v_lshlrev_b32_e32 v7, 3, v0
	s_wait_kmcnt 0x0
	s_ashr_i32 s1, s4, 31
	s_mov_b32 s0, s4
	v_add3_u32 v3, s5, s5, v0
	s_lshl_b64 s[0:1], s[0:1], 3
	s_delay_alu instid0(SALU_CYCLE_1)
	s_add_nc_u64 s[0:1], s[10:11], s[0:1]
	s_ashr_i32 s11, s5, 31
	v_add_co_u32 v28, s4, s0, v7
	s_wait_alu 0xf1ff
	v_add_co_ci_u32_e64 v29, null, s1, 0, s4
	s_mov_b32 s10, s5
	v_ashrrev_i32_e32 v4, 31, v3
	s_lshl_b64 s[10:11], s[10:11], 3
	flat_load_b64 v[1:2], v[28:29]
	v_add_co_u32 v30, vcc_lo, v28, s10
	s_delay_alu instid0(VALU_DEP_1) | instskip(SKIP_3) | instid1(VALU_DEP_2)
	v_add_co_ci_u32_e64 v31, null, s11, v29, vcc_lo
	v_lshlrev_b64_e32 v[4:5], 3, v[3:4]
	v_add_nc_u32_e32 v3, s5, v3
	s_bitcmp0_b32 s13, 0
	v_add_co_u32 v32, vcc_lo, s0, v4
	s_wait_alu 0xfffd
	s_delay_alu instid0(VALU_DEP_3) | instskip(SKIP_1) | instid1(VALU_DEP_1)
	v_add_co_ci_u32_e64 v33, null, s1, v5, vcc_lo
	v_ashrrev_i32_e32 v4, 31, v3
	v_lshlrev_b64_e32 v[4:5], 3, v[3:4]
	v_add_nc_u32_e32 v3, s5, v3
	s_delay_alu instid0(VALU_DEP_2) | instskip(SKIP_1) | instid1(VALU_DEP_3)
	v_add_co_u32 v34, vcc_lo, s0, v4
	s_wait_alu 0xfffd
	v_add_co_ci_u32_e64 v35, null, s1, v5, vcc_lo
	s_delay_alu instid0(VALU_DEP_3) | instskip(NEXT) | instid1(VALU_DEP_1)
	v_ashrrev_i32_e32 v4, 31, v3
	v_lshlrev_b64_e32 v[4:5], 3, v[3:4]
	v_add_nc_u32_e32 v3, s5, v3
	s_delay_alu instid0(VALU_DEP_2) | instskip(SKIP_1) | instid1(VALU_DEP_3)
	v_add_co_u32 v36, vcc_lo, s0, v4
	s_wait_alu 0xfffd
	v_add_co_ci_u32_e64 v37, null, s1, v5, vcc_lo
	s_delay_alu instid0(VALU_DEP_3) | instskip(NEXT) | instid1(VALU_DEP_1)
	;; [unrolled: 8-line block ×20, first 2 shown]
	v_ashrrev_i32_e32 v4, 31, v3
	v_lshlrev_b64_e32 v[4:5], 3, v[3:4]
	s_wait_loadcnt_dscnt 0x0
	scratch_store_b64 off, v[1:2], off
	flat_load_b64 v[1:2], v[30:31]
	v_add_nc_u32_e32 v3, s5, v3
	v_add_co_u32 v74, vcc_lo, s0, v4
	s_wait_alu 0xfffd
	v_add_co_ci_u32_e64 v75, null, s1, v5, vcc_lo
	s_delay_alu instid0(VALU_DEP_3) | instskip(NEXT) | instid1(VALU_DEP_1)
	v_ashrrev_i32_e32 v4, 31, v3
	v_lshlrev_b64_e32 v[4:5], 3, v[3:4]
	v_add_nc_u32_e32 v3, s5, v3
	s_delay_alu instid0(VALU_DEP_2) | instskip(SKIP_1) | instid1(VALU_DEP_3)
	v_add_co_u32 v76, vcc_lo, s0, v4
	s_wait_alu 0xfffd
	v_add_co_ci_u32_e64 v77, null, s1, v5, vcc_lo
	s_delay_alu instid0(VALU_DEP_3) | instskip(NEXT) | instid1(VALU_DEP_1)
	v_ashrrev_i32_e32 v4, 31, v3
	v_lshlrev_b64_e32 v[4:5], 3, v[3:4]
	v_add_nc_u32_e32 v3, s5, v3
	s_delay_alu instid0(VALU_DEP_2) | instskip(SKIP_1) | instid1(VALU_DEP_3)
	;; [unrolled: 8-line block ×19, first 2 shown]
	v_add_co_u32 v112, vcc_lo, s0, v4
	s_wait_alu 0xfffd
	v_add_co_ci_u32_e64 v113, null, s1, v5, vcc_lo
	s_delay_alu instid0(VALU_DEP_3) | instskip(NEXT) | instid1(VALU_DEP_1)
	v_ashrrev_i32_e32 v4, 31, v3
	v_lshlrev_b64_e32 v[3:4], 3, v[3:4]
	s_delay_alu instid0(VALU_DEP_1) | instskip(SKIP_1) | instid1(VALU_DEP_2)
	v_add_co_u32 v114, vcc_lo, s0, v3
	s_wait_alu 0xfffd
	v_add_co_ci_u32_e64 v115, null, s1, v4, vcc_lo
	s_mov_b32 s1, -1
	s_wait_loadcnt_dscnt 0x0
	scratch_store_b64 off, v[1:2], off offset:8
	flat_load_b64 v[1:2], v[32:33]
	s_wait_loadcnt_dscnt 0x0
	scratch_store_b64 off, v[1:2], off offset:16
	flat_load_b64 v[1:2], v[34:35]
	;; [unrolled: 3-line block ×42, first 2 shown]
	s_wait_loadcnt_dscnt 0x0
	scratch_store_b64 off, v[1:2], off offset:344
	s_cbranch_scc1 .LBB107_188
; %bb.4:
	v_cmp_eq_u32_e64 s0, 0, v0
	s_and_saveexec_b32 s1, s0
; %bb.5:
	v_mov_b32_e32 v1, 0
	ds_store_b32 v1, v1 offset:704
; %bb.6:
	s_wait_alu 0xfffe
	s_or_b32 exec_lo, exec_lo, s1
	s_wait_storecnt_dscnt 0x0
	s_barrier_signal -1
	s_barrier_wait -1
	global_inv scope:SCOPE_SE
	scratch_load_b64 v[1:2], v7, off
	s_wait_loadcnt 0x0
	v_cmp_eq_f32_e32 vcc_lo, 0, v1
	v_cmp_eq_f32_e64 s1, 0, v2
	s_and_b32 s1, vcc_lo, s1
	s_wait_alu 0xfffe
	s_and_saveexec_b32 s4, s1
	s_cbranch_execz .LBB107_10
; %bb.7:
	v_mov_b32_e32 v1, 0
	s_mov_b32 s5, 0
	ds_load_b32 v2, v1 offset:704
	s_wait_dscnt 0x0
	v_readfirstlane_b32 s1, v2
	v_add_nc_u32_e32 v2, 1, v0
	s_cmp_eq_u32 s1, 0
	s_delay_alu instid0(VALU_DEP_1)
	v_cmp_gt_i32_e32 vcc_lo, s1, v2
	s_cselect_b32 s10, -1, 0
	s_wait_alu 0xfffe
	s_or_b32 s10, s10, vcc_lo
	s_wait_alu 0xfffe
	s_and_b32 exec_lo, exec_lo, s10
	s_cbranch_execz .LBB107_10
; %bb.8:
	v_mov_b32_e32 v3, s1
.LBB107_9:                              ; =>This Inner Loop Header: Depth=1
	ds_cmpstore_rtn_b32 v3, v1, v2, v3 offset:704
	s_wait_dscnt 0x0
	v_cmp_ne_u32_e32 vcc_lo, 0, v3
	v_cmp_le_i32_e64 s1, v3, v2
	s_and_b32 s1, vcc_lo, s1
	s_wait_alu 0xfffe
	s_and_b32 s1, exec_lo, s1
	s_wait_alu 0xfffe
	s_or_b32 s5, s1, s5
	s_wait_alu 0xfffe
	s_and_not1_b32 exec_lo, exec_lo, s5
	s_cbranch_execnz .LBB107_9
.LBB107_10:
	s_wait_alu 0xfffe
	s_or_b32 exec_lo, exec_lo, s4
	v_mov_b32_e32 v1, 0
	s_barrier_signal -1
	s_barrier_wait -1
	global_inv scope:SCOPE_SE
	ds_load_b32 v2, v1 offset:704
	s_and_saveexec_b32 s1, s0
	s_cbranch_execz .LBB107_12
; %bb.11:
	s_lshl_b64 s[4:5], s[8:9], 2
	s_wait_alu 0xfffe
	s_add_nc_u64 s[4:5], s[6:7], s[4:5]
	s_wait_dscnt 0x0
	global_store_b32 v1, v2, s[4:5]
.LBB107_12:
	s_wait_alu 0xfffe
	s_or_b32 exec_lo, exec_lo, s1
	s_wait_dscnt 0x0
	v_cmp_ne_u32_e32 vcc_lo, 0, v2
	s_mov_b32 s1, 0
	s_cbranch_vccnz .LBB107_188
; %bb.13:
	v_mov_b32_e32 v8, v7
                                        ; implicit-def: $vgpr3
                                        ; implicit-def: $vgpr5
	scratch_load_b64 v[1:2], v8, off
	s_wait_loadcnt 0x0
	v_cmp_ngt_f32_e64 s1, |v1|, |v2|
	s_wait_alu 0xfffe
	s_and_saveexec_b32 s4, s1
	s_wait_alu 0xfffe
	s_xor_b32 s1, exec_lo, s4
	s_cbranch_execz .LBB107_15
; %bb.14:
	v_div_scale_f32 v3, null, v2, v2, v1
	v_div_scale_f32 v6, vcc_lo, v1, v2, v1
	s_delay_alu instid0(VALU_DEP_2) | instskip(NEXT) | instid1(TRANS32_DEP_1)
	v_rcp_f32_e32 v4, v3
	v_fma_f32 v5, -v3, v4, 1.0
	s_delay_alu instid0(VALU_DEP_1) | instskip(NEXT) | instid1(VALU_DEP_1)
	v_fmac_f32_e32 v4, v5, v4
	v_mul_f32_e32 v5, v6, v4
	s_delay_alu instid0(VALU_DEP_1) | instskip(NEXT) | instid1(VALU_DEP_1)
	v_fma_f32 v9, -v3, v5, v6
	v_fmac_f32_e32 v5, v9, v4
	s_delay_alu instid0(VALU_DEP_1) | instskip(SKIP_1) | instid1(VALU_DEP_1)
	v_fma_f32 v3, -v3, v5, v6
	s_wait_alu 0xfffd
	v_div_fmas_f32 v3, v3, v4, v5
	s_delay_alu instid0(VALU_DEP_1) | instskip(NEXT) | instid1(VALU_DEP_1)
	v_div_fixup_f32 v3, v3, v2, v1
	v_fmac_f32_e32 v2, v1, v3
	s_delay_alu instid0(VALU_DEP_1) | instskip(NEXT) | instid1(VALU_DEP_1)
	v_div_scale_f32 v1, null, v2, v2, 1.0
	v_rcp_f32_e32 v4, v1
	s_delay_alu instid0(TRANS32_DEP_1) | instskip(NEXT) | instid1(VALU_DEP_1)
	v_fma_f32 v5, -v1, v4, 1.0
	v_fmac_f32_e32 v4, v5, v4
	v_div_scale_f32 v5, vcc_lo, 1.0, v2, 1.0
	s_delay_alu instid0(VALU_DEP_1) | instskip(NEXT) | instid1(VALU_DEP_1)
	v_mul_f32_e32 v6, v5, v4
	v_fma_f32 v9, -v1, v6, v5
	s_delay_alu instid0(VALU_DEP_1) | instskip(NEXT) | instid1(VALU_DEP_1)
	v_fmac_f32_e32 v6, v9, v4
	v_fma_f32 v1, -v1, v6, v5
	s_wait_alu 0xfffd
	s_delay_alu instid0(VALU_DEP_1) | instskip(NEXT) | instid1(VALU_DEP_1)
	v_div_fmas_f32 v1, v1, v4, v6
	v_div_fixup_f32 v1, v1, v2, 1.0
	s_delay_alu instid0(VALU_DEP_1) | instskip(SKIP_1) | instid1(VALU_DEP_2)
	v_mul_f32_e32 v3, v3, v1
	v_xor_b32_e32 v4, 0x80000000, v1
                                        ; implicit-def: $vgpr1_vgpr2
	v_xor_b32_e32 v5, 0x80000000, v3
.LBB107_15:
	s_wait_alu 0xfffe
	s_and_not1_saveexec_b32 s1, s1
	s_cbranch_execz .LBB107_17
; %bb.16:
	v_div_scale_f32 v3, null, v1, v1, v2
	v_div_scale_f32 v6, vcc_lo, v2, v1, v2
	s_delay_alu instid0(VALU_DEP_2) | instskip(NEXT) | instid1(TRANS32_DEP_1)
	v_rcp_f32_e32 v4, v3
	v_fma_f32 v5, -v3, v4, 1.0
	s_delay_alu instid0(VALU_DEP_1) | instskip(NEXT) | instid1(VALU_DEP_1)
	v_fmac_f32_e32 v4, v5, v4
	v_mul_f32_e32 v5, v6, v4
	s_delay_alu instid0(VALU_DEP_1) | instskip(NEXT) | instid1(VALU_DEP_1)
	v_fma_f32 v9, -v3, v5, v6
	v_fmac_f32_e32 v5, v9, v4
	s_delay_alu instid0(VALU_DEP_1) | instskip(SKIP_1) | instid1(VALU_DEP_1)
	v_fma_f32 v3, -v3, v5, v6
	s_wait_alu 0xfffd
	v_div_fmas_f32 v3, v3, v4, v5
	s_delay_alu instid0(VALU_DEP_1) | instskip(NEXT) | instid1(VALU_DEP_1)
	v_div_fixup_f32 v4, v3, v1, v2
	v_fmac_f32_e32 v1, v2, v4
	s_delay_alu instid0(VALU_DEP_1) | instskip(SKIP_1) | instid1(VALU_DEP_2)
	v_div_scale_f32 v2, null, v1, v1, 1.0
	v_div_scale_f32 v6, vcc_lo, 1.0, v1, 1.0
	v_rcp_f32_e32 v3, v2
	s_delay_alu instid0(TRANS32_DEP_1) | instskip(NEXT) | instid1(VALU_DEP_1)
	v_fma_f32 v5, -v2, v3, 1.0
	v_fmac_f32_e32 v3, v5, v3
	s_delay_alu instid0(VALU_DEP_1) | instskip(NEXT) | instid1(VALU_DEP_1)
	v_mul_f32_e32 v5, v6, v3
	v_fma_f32 v9, -v2, v5, v6
	s_delay_alu instid0(VALU_DEP_1) | instskip(NEXT) | instid1(VALU_DEP_1)
	v_fmac_f32_e32 v5, v9, v3
	v_fma_f32 v2, -v2, v5, v6
	s_wait_alu 0xfffd
	s_delay_alu instid0(VALU_DEP_1) | instskip(NEXT) | instid1(VALU_DEP_1)
	v_div_fmas_f32 v2, v2, v3, v5
	v_div_fixup_f32 v3, v2, v1, 1.0
	s_delay_alu instid0(VALU_DEP_1)
	v_xor_b32_e32 v5, 0x80000000, v3
	v_mul_f32_e64 v4, v4, -v3
.LBB107_17:
	s_wait_alu 0xfffe
	s_or_b32 exec_lo, exec_lo, s1
	scratch_store_b64 v8, v[3:4], off
	scratch_load_b64 v[2:3], off, off offset:8
	v_xor_b32_e32 v6, 0x80000000, v4
	v_add_nc_u32_e32 v1, 0x160, v7
	s_wait_loadcnt 0x0
	ds_store_2addr_b64 v7, v[5:6], v[2:3] offset1:44
	s_wait_storecnt_dscnt 0x0
	s_barrier_signal -1
	s_barrier_wait -1
	global_inv scope:SCOPE_SE
	s_and_saveexec_b32 s1, s0
	s_cbranch_execz .LBB107_19
; %bb.18:
	scratch_load_b64 v[2:3], v8, off
	ds_load_b64 v[4:5], v1
	v_mov_b32_e32 v6, 0
	ds_load_b64 v[9:10], v6 offset:8
	s_wait_loadcnt_dscnt 0x1
	v_mul_f32_e32 v6, v4, v3
	v_mul_f32_e32 v3, v5, v3
	s_delay_alu instid0(VALU_DEP_2) | instskip(NEXT) | instid1(VALU_DEP_2)
	v_fmac_f32_e32 v6, v5, v2
	v_fma_f32 v2, v4, v2, -v3
	s_delay_alu instid0(VALU_DEP_2) | instskip(NEXT) | instid1(VALU_DEP_2)
	v_add_f32_e32 v4, 0, v6
	v_add_f32_e32 v2, 0, v2
	s_wait_dscnt 0x0
	s_delay_alu instid0(VALU_DEP_2) | instskip(NEXT) | instid1(VALU_DEP_2)
	v_mul_f32_e32 v5, v4, v10
	v_mul_f32_e32 v3, v2, v10
	s_delay_alu instid0(VALU_DEP_2) | instskip(NEXT) | instid1(VALU_DEP_2)
	v_fma_f32 v2, v2, v9, -v5
	v_fmac_f32_e32 v3, v4, v9
	scratch_store_b64 off, v[2:3], off offset:8
.LBB107_19:
	s_wait_alu 0xfffe
	s_or_b32 exec_lo, exec_lo, s1
	s_wait_loadcnt 0x0
	s_wait_storecnt 0x0
	s_barrier_signal -1
	s_barrier_wait -1
	global_inv scope:SCOPE_SE
	scratch_load_b64 v[2:3], off, off offset:16
	s_mov_b32 s1, exec_lo
	s_wait_loadcnt 0x0
	ds_store_b64 v1, v[2:3]
	s_wait_dscnt 0x0
	s_barrier_signal -1
	s_barrier_wait -1
	global_inv scope:SCOPE_SE
	v_cmpx_gt_u32_e32 2, v0
	s_cbranch_execz .LBB107_23
; %bb.20:
	scratch_load_b64 v[2:3], v8, off
	ds_load_b64 v[4:5], v1
	s_wait_loadcnt_dscnt 0x0
	v_mul_f32_e32 v6, v5, v3
	v_mul_f32_e32 v9, v4, v3
	s_delay_alu instid0(VALU_DEP_2) | instskip(NEXT) | instid1(VALU_DEP_2)
	v_fma_f32 v3, v4, v2, -v6
	v_fmac_f32_e32 v9, v5, v2
	s_delay_alu instid0(VALU_DEP_1)
	v_dual_add_f32 v3, 0, v3 :: v_dual_add_f32 v2, 0, v9
	s_and_saveexec_b32 s4, s0
	s_cbranch_execz .LBB107_22
; %bb.21:
	scratch_load_b64 v[4:5], off, off offset:8
	v_mov_b32_e32 v6, 0
	ds_load_b64 v[9:10], v6 offset:360
	s_wait_loadcnt_dscnt 0x0
	v_mul_f32_e32 v6, v9, v5
	v_mul_f32_e32 v5, v10, v5
	s_delay_alu instid0(VALU_DEP_2) | instskip(NEXT) | instid1(VALU_DEP_2)
	v_fmac_f32_e32 v6, v10, v4
	v_fma_f32 v4, v9, v4, -v5
	s_delay_alu instid0(VALU_DEP_1)
	v_dual_add_f32 v2, v2, v6 :: v_dual_add_f32 v3, v3, v4
.LBB107_22:
	s_wait_alu 0xfffe
	s_or_b32 exec_lo, exec_lo, s4
	v_mov_b32_e32 v4, 0
	ds_load_b64 v[4:5], v4 offset:16
	s_wait_dscnt 0x0
	v_mul_f32_e32 v9, v2, v5
	v_mul_f32_e32 v6, v3, v5
	s_delay_alu instid0(VALU_DEP_2) | instskip(NEXT) | instid1(VALU_DEP_2)
	v_fma_f32 v5, v3, v4, -v9
	v_fmac_f32_e32 v6, v2, v4
	scratch_store_b64 off, v[5:6], off offset:16
.LBB107_23:
	s_wait_alu 0xfffe
	s_or_b32 exec_lo, exec_lo, s1
	s_wait_loadcnt 0x0
	s_wait_storecnt 0x0
	s_barrier_signal -1
	s_barrier_wait -1
	global_inv scope:SCOPE_SE
	scratch_load_b64 v[3:4], off, off offset:24
	v_add_nc_u32_e32 v2, -1, v0
	s_mov_b32 s0, exec_lo
	s_wait_loadcnt 0x0
	ds_store_b64 v1, v[3:4]
	s_wait_dscnt 0x0
	s_barrier_signal -1
	s_barrier_wait -1
	global_inv scope:SCOPE_SE
	v_cmpx_gt_u32_e32 3, v0
	s_cbranch_execz .LBB107_27
; %bb.24:
	v_dual_mov_b32 v3, 0 :: v_dual_add_nc_u32 v4, -1, v0
	v_dual_mov_b32 v6, v7 :: v_dual_add_nc_u32 v5, 0x160, v7
	v_mov_b32_e32 v9, 0
	s_mov_b32 s1, 0
.LBB107_25:                             ; =>This Inner Loop Header: Depth=1
	scratch_load_b64 v[10:11], v6, off
	ds_load_b64 v[12:13], v5
	v_add_nc_u32_e32 v4, 1, v4
	v_add_nc_u32_e32 v5, 8, v5
	s_delay_alu instid0(VALU_DEP_2)
	v_cmp_lt_u32_e32 vcc_lo, 1, v4
	s_wait_alu 0xfffe
	s_or_b32 s1, vcc_lo, s1
	s_wait_loadcnt_dscnt 0x0
	v_mul_f32_e32 v14, v13, v11
	v_mul_f32_e32 v11, v12, v11
	s_delay_alu instid0(VALU_DEP_2) | instskip(NEXT) | instid1(VALU_DEP_2)
	v_fma_f32 v12, v12, v10, -v14
	v_fmac_f32_e32 v11, v13, v10
	s_delay_alu instid0(VALU_DEP_2) | instskip(NEXT) | instid1(VALU_DEP_2)
	v_dual_add_f32 v9, v9, v12 :: v_dual_add_nc_u32 v6, 8, v6
	v_add_f32_e32 v3, v3, v11
	s_wait_alu 0xfffe
	s_and_not1_b32 exec_lo, exec_lo, s1
	s_cbranch_execnz .LBB107_25
; %bb.26:
	s_or_b32 exec_lo, exec_lo, s1
	v_mov_b32_e32 v4, 0
	ds_load_b64 v[4:5], v4 offset:24
	s_wait_dscnt 0x0
	v_mul_f32_e32 v10, v3, v5
	v_mul_f32_e32 v6, v9, v5
	s_delay_alu instid0(VALU_DEP_2) | instskip(NEXT) | instid1(VALU_DEP_2)
	v_fma_f32 v5, v9, v4, -v10
	v_fmac_f32_e32 v6, v3, v4
	scratch_store_b64 off, v[5:6], off offset:24
.LBB107_27:
	s_wait_alu 0xfffe
	s_or_b32 exec_lo, exec_lo, s0
	s_wait_loadcnt 0x0
	s_wait_storecnt 0x0
	s_barrier_signal -1
	s_barrier_wait -1
	global_inv scope:SCOPE_SE
	scratch_load_b64 v[3:4], off, off offset:32
	s_mov_b32 s0, exec_lo
	s_wait_loadcnt 0x0
	ds_store_b64 v1, v[3:4]
	s_wait_dscnt 0x0
	s_barrier_signal -1
	s_barrier_wait -1
	global_inv scope:SCOPE_SE
	v_cmpx_gt_u32_e32 4, v0
	s_cbranch_execz .LBB107_31
; %bb.28:
	v_dual_mov_b32 v3, 0 :: v_dual_add_nc_u32 v4, -1, v0
	v_dual_mov_b32 v6, v7 :: v_dual_add_nc_u32 v5, 0x160, v7
	v_mov_b32_e32 v9, 0
	s_mov_b32 s1, 0
.LBB107_29:                             ; =>This Inner Loop Header: Depth=1
	scratch_load_b64 v[10:11], v6, off
	ds_load_b64 v[12:13], v5
	v_add_nc_u32_e32 v4, 1, v4
	v_add_nc_u32_e32 v5, 8, v5
	s_delay_alu instid0(VALU_DEP_2)
	v_cmp_lt_u32_e32 vcc_lo, 2, v4
	s_wait_alu 0xfffe
	s_or_b32 s1, vcc_lo, s1
	s_wait_loadcnt_dscnt 0x0
	v_mul_f32_e32 v14, v13, v11
	v_mul_f32_e32 v11, v12, v11
	s_delay_alu instid0(VALU_DEP_2) | instskip(NEXT) | instid1(VALU_DEP_2)
	v_fma_f32 v12, v12, v10, -v14
	v_fmac_f32_e32 v11, v13, v10
	s_delay_alu instid0(VALU_DEP_2) | instskip(NEXT) | instid1(VALU_DEP_2)
	v_dual_add_f32 v9, v9, v12 :: v_dual_add_nc_u32 v6, 8, v6
	v_add_f32_e32 v3, v3, v11
	s_wait_alu 0xfffe
	s_and_not1_b32 exec_lo, exec_lo, s1
	s_cbranch_execnz .LBB107_29
; %bb.30:
	s_or_b32 exec_lo, exec_lo, s1
	v_mov_b32_e32 v4, 0
	ds_load_b64 v[4:5], v4 offset:32
	s_wait_dscnt 0x0
	v_mul_f32_e32 v10, v3, v5
	v_mul_f32_e32 v6, v9, v5
	s_delay_alu instid0(VALU_DEP_2) | instskip(NEXT) | instid1(VALU_DEP_2)
	v_fma_f32 v5, v9, v4, -v10
	v_fmac_f32_e32 v6, v3, v4
	scratch_store_b64 off, v[5:6], off offset:32
.LBB107_31:
	s_wait_alu 0xfffe
	s_or_b32 exec_lo, exec_lo, s0
	s_wait_loadcnt 0x0
	s_wait_storecnt 0x0
	s_barrier_signal -1
	s_barrier_wait -1
	global_inv scope:SCOPE_SE
	scratch_load_b64 v[3:4], off, off offset:40
	;; [unrolled: 55-line block ×19, first 2 shown]
	s_mov_b32 s0, exec_lo
	s_wait_loadcnt 0x0
	ds_store_b64 v1, v[3:4]
	s_wait_dscnt 0x0
	s_barrier_signal -1
	s_barrier_wait -1
	global_inv scope:SCOPE_SE
	v_cmpx_gt_u32_e32 22, v0
	s_cbranch_execz .LBB107_103
; %bb.100:
	v_dual_mov_b32 v3, 0 :: v_dual_add_nc_u32 v4, -1, v0
	v_dual_mov_b32 v6, v7 :: v_dual_add_nc_u32 v5, 0x160, v7
	v_mov_b32_e32 v9, 0
	s_mov_b32 s1, 0
.LBB107_101:                            ; =>This Inner Loop Header: Depth=1
	scratch_load_b64 v[10:11], v6, off
	ds_load_b64 v[12:13], v5
	v_add_nc_u32_e32 v4, 1, v4
	v_add_nc_u32_e32 v5, 8, v5
	s_delay_alu instid0(VALU_DEP_2)
	v_cmp_lt_u32_e32 vcc_lo, 20, v4
	s_wait_alu 0xfffe
	s_or_b32 s1, vcc_lo, s1
	s_wait_loadcnt_dscnt 0x0
	v_mul_f32_e32 v14, v13, v11
	v_mul_f32_e32 v11, v12, v11
	s_delay_alu instid0(VALU_DEP_2) | instskip(NEXT) | instid1(VALU_DEP_2)
	v_fma_f32 v12, v12, v10, -v14
	v_fmac_f32_e32 v11, v13, v10
	s_delay_alu instid0(VALU_DEP_2) | instskip(NEXT) | instid1(VALU_DEP_2)
	v_dual_add_f32 v9, v9, v12 :: v_dual_add_nc_u32 v6, 8, v6
	v_add_f32_e32 v3, v3, v11
	s_wait_alu 0xfffe
	s_and_not1_b32 exec_lo, exec_lo, s1
	s_cbranch_execnz .LBB107_101
; %bb.102:
	s_or_b32 exec_lo, exec_lo, s1
	v_mov_b32_e32 v4, 0
	ds_load_b64 v[4:5], v4 offset:176
	s_wait_dscnt 0x0
	v_mul_f32_e32 v10, v3, v5
	v_mul_f32_e32 v6, v9, v5
	s_delay_alu instid0(VALU_DEP_2) | instskip(NEXT) | instid1(VALU_DEP_2)
	v_fma_f32 v5, v9, v4, -v10
	v_fmac_f32_e32 v6, v3, v4
	scratch_store_b64 off, v[5:6], off offset:176
.LBB107_103:
	s_wait_alu 0xfffe
	s_or_b32 exec_lo, exec_lo, s0
	s_wait_loadcnt 0x0
	s_wait_storecnt 0x0
	s_barrier_signal -1
	s_barrier_wait -1
	global_inv scope:SCOPE_SE
	scratch_load_b64 v[3:4], off, off offset:184
	s_mov_b32 s0, exec_lo
	s_wait_loadcnt 0x0
	ds_store_b64 v1, v[3:4]
	s_wait_dscnt 0x0
	s_barrier_signal -1
	s_barrier_wait -1
	global_inv scope:SCOPE_SE
	v_cmpx_gt_u32_e32 23, v0
	s_cbranch_execz .LBB107_107
; %bb.104:
	v_dual_mov_b32 v3, 0 :: v_dual_add_nc_u32 v4, -1, v0
	v_dual_mov_b32 v6, v7 :: v_dual_add_nc_u32 v5, 0x160, v7
	v_mov_b32_e32 v9, 0
	s_mov_b32 s1, 0
.LBB107_105:                            ; =>This Inner Loop Header: Depth=1
	scratch_load_b64 v[10:11], v6, off
	ds_load_b64 v[12:13], v5
	v_add_nc_u32_e32 v4, 1, v4
	v_add_nc_u32_e32 v5, 8, v5
	s_delay_alu instid0(VALU_DEP_2)
	v_cmp_lt_u32_e32 vcc_lo, 21, v4
	s_wait_alu 0xfffe
	s_or_b32 s1, vcc_lo, s1
	s_wait_loadcnt_dscnt 0x0
	v_mul_f32_e32 v14, v13, v11
	v_mul_f32_e32 v11, v12, v11
	s_delay_alu instid0(VALU_DEP_2) | instskip(NEXT) | instid1(VALU_DEP_2)
	v_fma_f32 v12, v12, v10, -v14
	v_fmac_f32_e32 v11, v13, v10
	s_delay_alu instid0(VALU_DEP_2) | instskip(NEXT) | instid1(VALU_DEP_2)
	v_dual_add_f32 v9, v9, v12 :: v_dual_add_nc_u32 v6, 8, v6
	v_add_f32_e32 v3, v3, v11
	s_wait_alu 0xfffe
	s_and_not1_b32 exec_lo, exec_lo, s1
	s_cbranch_execnz .LBB107_105
; %bb.106:
	s_or_b32 exec_lo, exec_lo, s1
	v_mov_b32_e32 v4, 0
	ds_load_b64 v[4:5], v4 offset:184
	s_wait_dscnt 0x0
	v_mul_f32_e32 v10, v3, v5
	v_mul_f32_e32 v6, v9, v5
	s_delay_alu instid0(VALU_DEP_2) | instskip(NEXT) | instid1(VALU_DEP_2)
	v_fma_f32 v5, v9, v4, -v10
	v_fmac_f32_e32 v6, v3, v4
	scratch_store_b64 off, v[5:6], off offset:184
.LBB107_107:
	s_wait_alu 0xfffe
	s_or_b32 exec_lo, exec_lo, s0
	s_wait_loadcnt 0x0
	s_wait_storecnt 0x0
	s_barrier_signal -1
	s_barrier_wait -1
	global_inv scope:SCOPE_SE
	scratch_load_b64 v[3:4], off, off offset:192
	;; [unrolled: 55-line block ×20, first 2 shown]
	s_mov_b32 s0, exec_lo
	s_wait_loadcnt 0x0
	ds_store_b64 v1, v[3:4]
	s_wait_dscnt 0x0
	s_barrier_signal -1
	s_barrier_wait -1
	global_inv scope:SCOPE_SE
	v_cmpx_gt_u32_e32 42, v0
	s_cbranch_execz .LBB107_183
; %bb.180:
	v_dual_mov_b32 v3, 0 :: v_dual_add_nc_u32 v4, -1, v0
	v_dual_mov_b32 v6, v7 :: v_dual_add_nc_u32 v5, 0x160, v7
	v_mov_b32_e32 v7, 0
	s_mov_b32 s1, 0
.LBB107_181:                            ; =>This Inner Loop Header: Depth=1
	scratch_load_b64 v[9:10], v6, off
	ds_load_b64 v[11:12], v5
	v_add_nc_u32_e32 v6, 8, v6
	v_add_nc_u32_e32 v4, 1, v4
	;; [unrolled: 1-line block ×3, first 2 shown]
	s_delay_alu instid0(VALU_DEP_2)
	v_cmp_lt_u32_e32 vcc_lo, 40, v4
	s_wait_alu 0xfffe
	s_or_b32 s1, vcc_lo, s1
	s_wait_loadcnt_dscnt 0x0
	v_mul_f32_e32 v13, v12, v10
	v_mul_f32_e32 v10, v11, v10
	s_delay_alu instid0(VALU_DEP_2) | instskip(NEXT) | instid1(VALU_DEP_1)
	v_fma_f32 v11, v11, v9, -v13
	v_dual_fmac_f32 v10, v12, v9 :: v_dual_add_f32 v7, v7, v11
	s_delay_alu instid0(VALU_DEP_1)
	v_add_f32_e32 v3, v3, v10
	s_wait_alu 0xfffe
	s_and_not1_b32 exec_lo, exec_lo, s1
	s_cbranch_execnz .LBB107_181
; %bb.182:
	s_or_b32 exec_lo, exec_lo, s1
	v_mov_b32_e32 v4, 0
	ds_load_b64 v[4:5], v4 offset:336
	s_wait_dscnt 0x0
	v_mul_f32_e32 v9, v3, v5
	v_mul_f32_e32 v6, v7, v5
	s_delay_alu instid0(VALU_DEP_2) | instskip(NEXT) | instid1(VALU_DEP_2)
	v_fma_f32 v5, v7, v4, -v9
	v_fmac_f32_e32 v6, v3, v4
	scratch_store_b64 off, v[5:6], off offset:336
.LBB107_183:
	s_wait_alu 0xfffe
	s_or_b32 exec_lo, exec_lo, s0
	s_wait_loadcnt 0x0
	s_wait_storecnt 0x0
	s_barrier_signal -1
	s_barrier_wait -1
	global_inv scope:SCOPE_SE
	scratch_load_b64 v[3:4], off, off offset:344
	s_mov_b32 s0, exec_lo
	s_wait_loadcnt 0x0
	ds_store_b64 v1, v[3:4]
	s_wait_dscnt 0x0
	s_barrier_signal -1
	s_barrier_wait -1
	global_inv scope:SCOPE_SE
	v_cmpx_ne_u32_e32 43, v0
	s_cbranch_execz .LBB107_187
; %bb.184:
	v_dual_mov_b32 v3, 0 :: v_dual_mov_b32 v4, 0
	s_mov_b32 s1, 0
.LBB107_185:                            ; =>This Inner Loop Header: Depth=1
	scratch_load_b64 v[5:6], v8, off
	ds_load_b64 v[9:10], v1
	v_add_nc_u32_e32 v2, 1, v2
	v_add_nc_u32_e32 v1, 8, v1
	v_add_nc_u32_e32 v8, 8, v8
	s_delay_alu instid0(VALU_DEP_3)
	v_cmp_lt_u32_e32 vcc_lo, 41, v2
	s_wait_alu 0xfffe
	s_or_b32 s1, vcc_lo, s1
	s_wait_loadcnt_dscnt 0x0
	v_mul_f32_e32 v7, v10, v6
	v_mul_f32_e32 v6, v9, v6
	s_delay_alu instid0(VALU_DEP_2) | instskip(NEXT) | instid1(VALU_DEP_2)
	v_fma_f32 v7, v9, v5, -v7
	v_fmac_f32_e32 v6, v10, v5
	s_delay_alu instid0(VALU_DEP_1)
	v_dual_add_f32 v4, v4, v7 :: v_dual_add_f32 v3, v3, v6
	s_wait_alu 0xfffe
	s_and_not1_b32 exec_lo, exec_lo, s1
	s_cbranch_execnz .LBB107_185
; %bb.186:
	s_or_b32 exec_lo, exec_lo, s1
	v_mov_b32_e32 v1, 0
	ds_load_b64 v[1:2], v1 offset:344
	s_wait_dscnt 0x0
	v_mul_f32_e32 v6, v3, v2
	v_mul_f32_e32 v5, v4, v2
	s_delay_alu instid0(VALU_DEP_2) | instskip(NEXT) | instid1(VALU_DEP_2)
	v_fma_f32 v4, v4, v1, -v6
	v_fmac_f32_e32 v5, v3, v1
	scratch_store_b64 off, v[4:5], off offset:344
.LBB107_187:
	s_wait_alu 0xfffe
	s_or_b32 exec_lo, exec_lo, s0
	s_mov_b32 s1, -1
	s_wait_loadcnt 0x0
	s_wait_storecnt 0x0
	s_barrier_signal -1
	s_barrier_wait -1
	global_inv scope:SCOPE_SE
.LBB107_188:
	s_wait_alu 0xfffe
	s_and_b32 vcc_lo, exec_lo, s1
	s_wait_alu 0xfffe
	s_cbranch_vccz .LBB107_190
; %bb.189:
	v_mov_b32_e32 v1, 0
	s_lshl_b64 s[0:1], s[8:9], 2
	s_wait_alu 0xfffe
	s_add_nc_u64 s[0:1], s[6:7], s[0:1]
	global_load_b32 v1, v1, s[0:1]
	s_wait_loadcnt 0x0
	v_cmp_ne_u32_e32 vcc_lo, 0, v1
	s_cbranch_vccz .LBB107_191
.LBB107_190:
	s_nop 0
	s_sendmsg sendmsg(MSG_DEALLOC_VGPRS)
	s_endpgm
.LBB107_191:
	v_lshl_add_u32 v23, v0, 3, 0x160
	s_mov_b32 s0, exec_lo
	v_cmpx_eq_u32_e32 43, v0
	s_cbranch_execz .LBB107_193
; %bb.192:
	scratch_load_b64 v[1:2], off, off offset:336
	v_mov_b32_e32 v3, 0
	s_delay_alu instid0(VALU_DEP_1)
	v_mov_b32_e32 v4, v3
	scratch_store_b64 off, v[3:4], off offset:336
	s_wait_loadcnt 0x0
	ds_store_b64 v23, v[1:2]
.LBB107_193:
	s_wait_alu 0xfffe
	s_or_b32 exec_lo, exec_lo, s0
	s_wait_storecnt_dscnt 0x0
	s_barrier_signal -1
	s_barrier_wait -1
	global_inv scope:SCOPE_SE
	s_clause 0x1
	scratch_load_b64 v[2:3], off, off offset:344
	scratch_load_b64 v[4:5], off, off offset:336
	v_mov_b32_e32 v1, 0
	s_mov_b32 s0, exec_lo
	ds_load_b64 v[6:7], v1 offset:696
	s_wait_loadcnt_dscnt 0x100
	v_mul_f32_e32 v8, v7, v3
	v_mul_f32_e32 v3, v6, v3
	s_delay_alu instid0(VALU_DEP_2) | instskip(NEXT) | instid1(VALU_DEP_2)
	v_fma_f32 v6, v6, v2, -v8
	v_fmac_f32_e32 v3, v7, v2
	s_delay_alu instid0(VALU_DEP_1) | instskip(SKIP_1) | instid1(VALU_DEP_1)
	v_dual_add_f32 v2, 0, v6 :: v_dual_add_f32 v3, 0, v3
	s_wait_loadcnt 0x0
	v_dual_sub_f32 v2, v4, v2 :: v_dual_sub_f32 v3, v5, v3
	scratch_store_b64 off, v[2:3], off offset:336
	v_cmpx_lt_u32_e32 41, v0
	s_cbranch_execz .LBB107_195
; %bb.194:
	scratch_load_b64 v[3:4], off, off offset:328
	v_mov_b32_e32 v2, v1
	scratch_store_b64 off, v[1:2], off offset:328
	s_wait_loadcnt 0x0
	ds_store_b64 v23, v[3:4]
.LBB107_195:
	s_wait_alu 0xfffe
	s_or_b32 exec_lo, exec_lo, s0
	s_wait_storecnt_dscnt 0x0
	s_barrier_signal -1
	s_barrier_wait -1
	global_inv scope:SCOPE_SE
	s_clause 0x1
	scratch_load_b128 v[2:5], off, off offset:336
	scratch_load_b64 v[10:11], off, off offset:328
	ds_load_b128 v[6:9], v1 offset:688
	s_mov_b32 s0, exec_lo
	s_wait_loadcnt_dscnt 0x100
	v_dual_mul_f32 v1, v7, v3 :: v_dual_mul_f32 v12, v8, v5
	v_mul_f32_e32 v3, v6, v3
	s_delay_alu instid0(VALU_DEP_2) | instskip(NEXT) | instid1(VALU_DEP_2)
	v_fma_f32 v1, v6, v2, -v1
	v_dual_fmac_f32 v12, v9, v4 :: v_dual_fmac_f32 v3, v7, v2
	s_delay_alu instid0(VALU_DEP_2) | instskip(NEXT) | instid1(VALU_DEP_2)
	v_add_f32_e32 v1, 0, v1
	v_add_f32_e32 v3, 0, v3
	v_mul_f32_e32 v5, v9, v5
	s_delay_alu instid0(VALU_DEP_1) | instskip(NEXT) | instid1(VALU_DEP_1)
	v_fma_f32 v2, v8, v4, -v5
	v_dual_add_f32 v1, v1, v2 :: v_dual_add_f32 v2, v3, v12
	s_wait_loadcnt 0x0
	s_delay_alu instid0(VALU_DEP_1)
	v_dual_sub_f32 v1, v10, v1 :: v_dual_sub_f32 v2, v11, v2
	scratch_store_b64 off, v[1:2], off offset:328
	v_cmpx_lt_u32_e32 40, v0
	s_cbranch_execz .LBB107_197
; %bb.196:
	scratch_load_b64 v[1:2], off, off offset:320
	v_mov_b32_e32 v3, 0
	s_delay_alu instid0(VALU_DEP_1)
	v_mov_b32_e32 v4, v3
	scratch_store_b64 off, v[3:4], off offset:320
	s_wait_loadcnt 0x0
	ds_store_b64 v23, v[1:2]
.LBB107_197:
	s_wait_alu 0xfffe
	s_or_b32 exec_lo, exec_lo, s0
	s_wait_storecnt_dscnt 0x0
	s_barrier_signal -1
	s_barrier_wait -1
	global_inv scope:SCOPE_SE
	s_clause 0x2
	scratch_load_b128 v[2:5], off, off offset:328
	scratch_load_b64 v[10:11], off, off offset:344
	scratch_load_b64 v[12:13], off, off offset:320
	v_mov_b32_e32 v1, 0
	ds_load_2addr_b64 v[6:9], v1 offset0:85 offset1:86
	ds_load_b64 v[14:15], v1 offset:696
	s_mov_b32 s0, exec_lo
	s_wait_loadcnt_dscnt 0x201
	v_dual_mul_f32 v16, v7, v3 :: v_dual_mul_f32 v17, v8, v5
	s_wait_loadcnt_dscnt 0x100
	v_mul_f32_e32 v18, v14, v11
	v_mul_f32_e32 v3, v6, v3
	;; [unrolled: 1-line block ×3, first 2 shown]
	v_fma_f32 v6, v6, v2, -v16
	s_delay_alu instid0(VALU_DEP_4) | instskip(NEXT) | instid1(VALU_DEP_4)
	v_fmac_f32_e32 v18, v15, v10
	v_fmac_f32_e32 v3, v7, v2
	v_mul_f32_e32 v2, v15, v11
	s_delay_alu instid0(VALU_DEP_1) | instskip(SKIP_3) | instid1(VALU_DEP_1)
	v_fma_f32 v2, v14, v10, -v2
	v_fmac_f32_e32 v17, v9, v4
	v_fma_f32 v4, v8, v4, -v5
	v_add_f32_e32 v5, 0, v6
	v_add_f32_e32 v4, v5, v4
	s_delay_alu instid0(VALU_DEP_1) | instskip(SKIP_1) | instid1(VALU_DEP_1)
	v_dual_add_f32 v2, v4, v2 :: v_dual_add_f32 v3, 0, v3
	s_wait_loadcnt 0x0
	v_dual_sub_f32 v2, v12, v2 :: v_dual_add_f32 v3, v3, v17
	s_delay_alu instid0(VALU_DEP_1) | instskip(NEXT) | instid1(VALU_DEP_1)
	v_add_f32_e32 v3, v3, v18
	v_sub_f32_e32 v3, v13, v3
	scratch_store_b64 off, v[2:3], off offset:320
	v_cmpx_lt_u32_e32 39, v0
	s_cbranch_execz .LBB107_199
; %bb.198:
	scratch_load_b64 v[3:4], off, off offset:312
	v_mov_b32_e32 v2, v1
	scratch_store_b64 off, v[1:2], off offset:312
	s_wait_loadcnt 0x0
	ds_store_b64 v23, v[3:4]
.LBB107_199:
	s_wait_alu 0xfffe
	s_or_b32 exec_lo, exec_lo, s0
	s_wait_storecnt_dscnt 0x0
	s_barrier_signal -1
	s_barrier_wait -1
	global_inv scope:SCOPE_SE
	s_clause 0x2
	scratch_load_b128 v[2:5], off, off offset:320
	scratch_load_b128 v[6:9], off, off offset:336
	scratch_load_b64 v[18:19], off, off offset:312
	ds_load_b128 v[10:13], v1 offset:672
	ds_load_b128 v[14:17], v1 offset:688
	s_mov_b32 s0, exec_lo
	s_wait_loadcnt_dscnt 0x201
	v_dual_mul_f32 v1, v10, v3 :: v_dual_mul_f32 v20, v12, v5
	s_wait_loadcnt_dscnt 0x100
	v_dual_mul_f32 v3, v11, v3 :: v_dual_mul_f32 v22, v16, v9
	v_mul_f32_e32 v5, v13, v5
	s_delay_alu instid0(VALU_DEP_3) | instskip(NEXT) | instid1(VALU_DEP_3)
	v_dual_mul_f32 v21, v14, v7 :: v_dual_fmac_f32 v20, v13, v4
	v_fma_f32 v3, v10, v2, -v3
	s_delay_alu instid0(VALU_DEP_4) | instskip(SKIP_2) | instid1(VALU_DEP_4)
	v_dual_fmac_f32 v1, v11, v2 :: v_dual_fmac_f32 v22, v17, v8
	v_mul_f32_e32 v2, v15, v7
	v_fma_f32 v4, v12, v4, -v5
	v_add_f32_e32 v3, 0, v3
	v_fmac_f32_e32 v21, v15, v6
	s_delay_alu instid0(VALU_DEP_4) | instskip(NEXT) | instid1(VALU_DEP_3)
	v_fma_f32 v2, v14, v6, -v2
	v_add_f32_e32 v3, v3, v4
	s_delay_alu instid0(VALU_DEP_1) | instskip(NEXT) | instid1(VALU_DEP_1)
	v_dual_add_f32 v1, 0, v1 :: v_dual_add_f32 v2, v3, v2
	v_add_f32_e32 v1, v1, v20
	s_delay_alu instid0(VALU_DEP_1) | instskip(NEXT) | instid1(VALU_DEP_1)
	v_add_f32_e32 v1, v1, v21
	v_add_f32_e32 v3, v1, v22
	v_mul_f32_e32 v5, v17, v9
	s_delay_alu instid0(VALU_DEP_1) | instskip(NEXT) | instid1(VALU_DEP_1)
	v_fma_f32 v4, v16, v8, -v5
	v_add_f32_e32 v2, v2, v4
	s_wait_loadcnt 0x0
	s_delay_alu instid0(VALU_DEP_1)
	v_dual_sub_f32 v1, v18, v2 :: v_dual_sub_f32 v2, v19, v3
	scratch_store_b64 off, v[1:2], off offset:312
	v_cmpx_lt_u32_e32 38, v0
	s_cbranch_execz .LBB107_201
; %bb.200:
	scratch_load_b64 v[1:2], off, off offset:304
	v_mov_b32_e32 v3, 0
	s_delay_alu instid0(VALU_DEP_1)
	v_mov_b32_e32 v4, v3
	scratch_store_b64 off, v[3:4], off offset:304
	s_wait_loadcnt 0x0
	ds_store_b64 v23, v[1:2]
.LBB107_201:
	s_wait_alu 0xfffe
	s_or_b32 exec_lo, exec_lo, s0
	s_wait_storecnt_dscnt 0x0
	s_barrier_signal -1
	s_barrier_wait -1
	global_inv scope:SCOPE_SE
	s_clause 0x3
	scratch_load_b128 v[2:5], off, off offset:312
	scratch_load_b128 v[6:9], off, off offset:328
	scratch_load_b64 v[18:19], off, off offset:344
	scratch_load_b64 v[20:21], off, off offset:304
	v_mov_b32_e32 v1, 0
	ds_load_2addr_b64 v[10:13], v1 offset0:83 offset1:84
	ds_load_2addr_b64 v[14:17], v1 offset0:85 offset1:86
	ds_load_b64 v[24:25], v1 offset:696
	s_mov_b32 s0, exec_lo
	s_wait_loadcnt_dscnt 0x302
	v_mul_f32_e32 v22, v10, v3
	v_dual_mul_f32 v26, v12, v5 :: v_dual_mul_f32 v3, v11, v3
	s_wait_loadcnt_dscnt 0x100
	v_mul_f32_e32 v117, v24, v19
	s_delay_alu instid0(VALU_DEP_3)
	v_dual_mul_f32 v5, v13, v5 :: v_dual_fmac_f32 v22, v11, v2
	v_dual_mul_f32 v27, v14, v7 :: v_dual_mul_f32 v116, v16, v9
	v_fma_f32 v3, v10, v2, -v3
	v_mul_f32_e32 v2, v15, v7
	v_fmac_f32_e32 v26, v13, v4
	v_fma_f32 v4, v12, v4, -v5
	v_dual_add_f32 v5, 0, v22 :: v_dual_fmac_f32 v116, v17, v8
	v_add_f32_e32 v3, 0, v3
	v_fma_f32 v2, v14, v6, -v2
	v_fmac_f32_e32 v27, v15, v6
	v_fmac_f32_e32 v117, v25, v18
	s_delay_alu instid0(VALU_DEP_4) | instskip(NEXT) | instid1(VALU_DEP_1)
	v_dual_add_f32 v3, v3, v4 :: v_dual_add_f32 v4, v5, v26
	v_dual_mul_f32 v7, v17, v9 :: v_dual_add_f32 v2, v3, v2
	s_delay_alu instid0(VALU_DEP_2) | instskip(NEXT) | instid1(VALU_DEP_2)
	v_add_f32_e32 v3, v4, v27
	v_fma_f32 v6, v16, v8, -v7
	s_delay_alu instid0(VALU_DEP_1) | instskip(NEXT) | instid1(VALU_DEP_1)
	v_dual_mul_f32 v5, v25, v19 :: v_dual_add_f32 v2, v2, v6
	v_fma_f32 v4, v24, v18, -v5
	s_delay_alu instid0(VALU_DEP_1) | instskip(SKIP_1) | instid1(VALU_DEP_1)
	v_add_f32_e32 v2, v2, v4
	s_wait_loadcnt 0x0
	v_dual_add_f32 v3, v3, v116 :: v_dual_sub_f32 v2, v20, v2
	s_delay_alu instid0(VALU_DEP_1) | instskip(NEXT) | instid1(VALU_DEP_1)
	v_add_f32_e32 v3, v3, v117
	v_sub_f32_e32 v3, v21, v3
	scratch_store_b64 off, v[2:3], off offset:304
	v_cmpx_lt_u32_e32 37, v0
	s_cbranch_execz .LBB107_203
; %bb.202:
	scratch_load_b64 v[3:4], off, off offset:296
	v_mov_b32_e32 v2, v1
	scratch_store_b64 off, v[1:2], off offset:296
	s_wait_loadcnt 0x0
	ds_store_b64 v23, v[3:4]
.LBB107_203:
	s_wait_alu 0xfffe
	s_or_b32 exec_lo, exec_lo, s0
	s_wait_storecnt_dscnt 0x0
	s_barrier_signal -1
	s_barrier_wait -1
	global_inv scope:SCOPE_SE
	s_clause 0x3
	scratch_load_b128 v[2:5], off, off offset:304
	scratch_load_b128 v[6:9], off, off offset:320
	;; [unrolled: 1-line block ×3, first 2 shown]
	scratch_load_b64 v[116:117], off, off offset:296
	ds_load_b128 v[14:17], v1 offset:656
	ds_load_b128 v[18:21], v1 offset:672
	;; [unrolled: 1-line block ×3, first 2 shown]
	s_mov_b32 s0, exec_lo
	s_wait_loadcnt_dscnt 0x302
	v_dual_mul_f32 v1, v14, v3 :: v_dual_mul_f32 v22, v16, v5
	v_mul_f32_e32 v3, v15, v3
	s_wait_loadcnt_dscnt 0x201
	v_dual_mul_f32 v5, v17, v5 :: v_dual_mul_f32 v118, v18, v7
	s_delay_alu instid0(VALU_DEP_3) | instskip(NEXT) | instid1(VALU_DEP_3)
	v_dual_mul_f32 v119, v20, v9 :: v_dual_fmac_f32 v22, v17, v4
	v_fma_f32 v3, v14, v2, -v3
	v_fmac_f32_e32 v1, v15, v2
	v_mul_f32_e32 v2, v19, v7
	v_fma_f32 v4, v16, v4, -v5
	s_wait_loadcnt_dscnt 0x100
	v_dual_mul_f32 v120, v24, v11 :: v_dual_mul_f32 v121, v26, v13
	v_dual_add_f32 v3, 0, v3 :: v_dual_fmac_f32 v118, v19, v6
	v_fma_f32 v2, v18, v6, -v2
	s_delay_alu instid0(VALU_DEP_3) | instskip(NEXT) | instid1(VALU_DEP_3)
	v_dual_fmac_f32 v120, v25, v10 :: v_dual_fmac_f32 v121, v27, v12
	v_dual_add_f32 v3, v3, v4 :: v_dual_mul_f32 v4, v25, v11
	s_delay_alu instid0(VALU_DEP_1) | instskip(NEXT) | instid1(VALU_DEP_2)
	v_dual_add_f32 v1, 0, v1 :: v_dual_add_f32 v2, v3, v2
	v_fma_f32 v4, v24, v10, -v4
	v_mul_f32_e32 v5, v21, v9
	v_mul_f32_e32 v3, v27, v13
	s_delay_alu instid0(VALU_DEP_2) | instskip(SKIP_1) | instid1(VALU_DEP_3)
	v_fma_f32 v5, v20, v8, -v5
	v_add_f32_e32 v1, v1, v22
	v_fma_f32 v3, v26, v12, -v3
	s_delay_alu instid0(VALU_DEP_2) | instskip(NEXT) | instid1(VALU_DEP_1)
	v_dual_add_f32 v2, v2, v5 :: v_dual_add_f32 v1, v1, v118
	v_add_f32_e32 v2, v2, v4
	s_delay_alu instid0(VALU_DEP_1) | instskip(NEXT) | instid1(VALU_DEP_1)
	v_dual_fmac_f32 v119, v21, v8 :: v_dual_add_f32 v2, v2, v3
	v_add_f32_e32 v1, v1, v119
	s_delay_alu instid0(VALU_DEP_1) | instskip(NEXT) | instid1(VALU_DEP_1)
	v_add_f32_e32 v1, v1, v120
	v_add_f32_e32 v3, v1, v121
	s_wait_loadcnt 0x0
	s_delay_alu instid0(VALU_DEP_1)
	v_dual_sub_f32 v1, v116, v2 :: v_dual_sub_f32 v2, v117, v3
	scratch_store_b64 off, v[1:2], off offset:296
	v_cmpx_lt_u32_e32 36, v0
	s_cbranch_execz .LBB107_205
; %bb.204:
	scratch_load_b64 v[1:2], off, off offset:288
	v_mov_b32_e32 v3, 0
	s_delay_alu instid0(VALU_DEP_1)
	v_mov_b32_e32 v4, v3
	scratch_store_b64 off, v[3:4], off offset:288
	s_wait_loadcnt 0x0
	ds_store_b64 v23, v[1:2]
.LBB107_205:
	s_wait_alu 0xfffe
	s_or_b32 exec_lo, exec_lo, s0
	s_wait_storecnt_dscnt 0x0
	s_barrier_signal -1
	s_barrier_wait -1
	global_inv scope:SCOPE_SE
	s_clause 0x4
	scratch_load_b128 v[2:5], off, off offset:296
	scratch_load_b128 v[6:9], off, off offset:312
	;; [unrolled: 1-line block ×3, first 2 shown]
	scratch_load_b64 v[116:117], off, off offset:344
	scratch_load_b64 v[118:119], off, off offset:288
	v_mov_b32_e32 v1, 0
	ds_load_2addr_b64 v[14:17], v1 offset0:81 offset1:82
	ds_load_2addr_b64 v[18:21], v1 offset0:83 offset1:84
	;; [unrolled: 1-line block ×3, first 2 shown]
	ds_load_b64 v[120:121], v1 offset:696
	s_mov_b32 s0, exec_lo
	s_wait_loadcnt_dscnt 0x403
	v_mul_f32_e32 v22, v14, v3
	s_wait_loadcnt_dscnt 0x302
	v_dual_mul_f32 v124, v20, v9 :: v_dual_mul_f32 v3, v15, v3
	v_dual_mul_f32 v122, v16, v5 :: v_dual_mul_f32 v123, v18, v7
	s_wait_loadcnt_dscnt 0x100
	v_dual_mul_f32 v127, v120, v117 :: v_dual_fmac_f32 v22, v15, v2
	v_mul_f32_e32 v5, v17, v5
	v_fma_f32 v3, v14, v2, -v3
	v_mul_f32_e32 v2, v19, v7
	v_fmac_f32_e32 v122, v17, v4
	v_fmac_f32_e32 v124, v21, v8
	v_fma_f32 v4, v16, v4, -v5
	v_add_f32_e32 v3, 0, v3
	v_add_f32_e32 v5, 0, v22
	v_fma_f32 v2, v18, v6, -v2
	v_fmac_f32_e32 v123, v19, v6
	v_dual_mul_f32 v125, v24, v11 :: v_dual_mul_f32 v126, v26, v13
	s_delay_alu instid0(VALU_DEP_4) | instskip(SKIP_1) | instid1(VALU_DEP_3)
	v_dual_add_f32 v3, v3, v4 :: v_dual_add_f32 v4, v5, v122
	v_mul_f32_e32 v7, v21, v9
	v_dual_mul_f32 v5, v25, v11 :: v_dual_fmac_f32 v126, v27, v12
	s_delay_alu instid0(VALU_DEP_3) | instskip(NEXT) | instid1(VALU_DEP_3)
	v_add_f32_e32 v2, v3, v2
	v_fma_f32 v6, v20, v8, -v7
	s_delay_alu instid0(VALU_DEP_1) | instskip(SKIP_3) | instid1(VALU_DEP_3)
	v_add_f32_e32 v2, v2, v6
	v_dual_mul_f32 v6, v121, v117 :: v_dual_add_f32 v3, v4, v123
	v_mul_f32_e32 v4, v27, v13
	v_fma_f32 v5, v24, v10, -v5
	v_add_f32_e32 v3, v3, v124
	s_delay_alu instid0(VALU_DEP_2) | instskip(NEXT) | instid1(VALU_DEP_4)
	v_dual_fmac_f32 v125, v25, v10 :: v_dual_add_f32 v2, v2, v5
	v_fma_f32 v4, v26, v12, -v4
	v_fma_f32 v5, v120, v116, -v6
	s_delay_alu instid0(VALU_DEP_2) | instskip(SKIP_1) | instid1(VALU_DEP_2)
	v_dual_add_f32 v3, v3, v125 :: v_dual_add_f32 v2, v2, v4
	v_fmac_f32_e32 v127, v121, v116
	v_dual_add_f32 v3, v3, v126 :: v_dual_add_f32 v2, v2, v5
	s_wait_loadcnt 0x0
	s_delay_alu instid0(VALU_DEP_1) | instskip(NEXT) | instid1(VALU_DEP_1)
	v_dual_add_f32 v3, v3, v127 :: v_dual_sub_f32 v2, v118, v2
	v_sub_f32_e32 v3, v119, v3
	scratch_store_b64 off, v[2:3], off offset:288
	v_cmpx_lt_u32_e32 35, v0
	s_cbranch_execz .LBB107_207
; %bb.206:
	scratch_load_b64 v[3:4], off, off offset:280
	v_mov_b32_e32 v2, v1
	scratch_store_b64 off, v[1:2], off offset:280
	s_wait_loadcnt 0x0
	ds_store_b64 v23, v[3:4]
.LBB107_207:
	s_wait_alu 0xfffe
	s_or_b32 exec_lo, exec_lo, s0
	s_wait_storecnt_dscnt 0x0
	s_barrier_signal -1
	s_barrier_wait -1
	global_inv scope:SCOPE_SE
	s_clause 0x4
	scratch_load_b128 v[2:5], off, off offset:288
	scratch_load_b128 v[6:9], off, off offset:304
	;; [unrolled: 1-line block ×4, first 2 shown]
	scratch_load_b64 v[124:125], off, off offset:280
	ds_load_b128 v[18:21], v1 offset:640
	ds_load_b128 v[24:27], v1 offset:656
	;; [unrolled: 1-line block ×4, first 2 shown]
	s_mov_b32 s0, exec_lo
	s_wait_loadcnt_dscnt 0x403
	v_dual_mul_f32 v1, v18, v3 :: v_dual_mul_f32 v22, v20, v5
	v_mul_f32_e32 v3, v19, v3
	s_wait_loadcnt_dscnt 0x302
	v_dual_mul_f32 v126, v24, v7 :: v_dual_mul_f32 v127, v26, v9
	s_delay_alu instid0(VALU_DEP_3) | instskip(NEXT) | instid1(VALU_DEP_3)
	v_dual_fmac_f32 v1, v19, v2 :: v_dual_fmac_f32 v22, v21, v4
	v_fma_f32 v3, v18, v2, -v3
	v_mul_f32_e32 v2, v25, v7
	s_wait_loadcnt_dscnt 0x201
	v_dual_mul_f32 v128, v116, v11 :: v_dual_mul_f32 v129, v118, v13
	s_delay_alu instid0(VALU_DEP_3) | instskip(NEXT) | instid1(VALU_DEP_3)
	v_dual_fmac_f32 v126, v25, v6 :: v_dual_add_f32 v3, 0, v3
	v_fma_f32 v2, v24, v6, -v2
	v_mul_f32_e32 v5, v21, v5
	s_delay_alu instid0(VALU_DEP_4) | instskip(SKIP_2) | instid1(VALU_DEP_3)
	v_dual_fmac_f32 v128, v117, v10 :: v_dual_add_f32 v1, 0, v1
	s_wait_loadcnt_dscnt 0x100
	v_dual_mul_f32 v130, v120, v15 :: v_dual_mul_f32 v131, v122, v17
	v_fma_f32 v4, v20, v4, -v5
	v_mul_f32_e32 v5, v27, v9
	s_delay_alu instid0(VALU_DEP_3) | instskip(NEXT) | instid1(VALU_DEP_4)
	v_dual_fmac_f32 v127, v27, v8 :: v_dual_fmac_f32 v130, v121, v14
	v_fmac_f32_e32 v131, v123, v16
	s_delay_alu instid0(VALU_DEP_3) | instskip(SKIP_1) | instid1(VALU_DEP_1)
	v_fma_f32 v5, v26, v8, -v5
	v_dual_add_f32 v3, v3, v4 :: v_dual_mul_f32 v4, v117, v11
	v_add_f32_e32 v2, v3, v2
	v_mul_f32_e32 v3, v119, v13
	s_delay_alu instid0(VALU_DEP_3) | instskip(NEXT) | instid1(VALU_DEP_3)
	v_fma_f32 v4, v116, v10, -v4
	v_dual_add_f32 v2, v2, v5 :: v_dual_add_f32 v1, v1, v22
	v_mul_f32_e32 v5, v121, v15
	s_delay_alu instid0(VALU_DEP_4) | instskip(NEXT) | instid1(VALU_DEP_3)
	v_fma_f32 v3, v118, v12, -v3
	v_dual_add_f32 v2, v2, v4 :: v_dual_add_f32 v1, v1, v126
	v_mul_f32_e32 v4, v123, v17
	v_fmac_f32_e32 v129, v119, v12
	v_fma_f32 v5, v120, v14, -v5
	s_delay_alu instid0(VALU_DEP_4) | instskip(SKIP_2) | instid1(VALU_DEP_2)
	v_add_f32_e32 v2, v2, v3
	v_add_f32_e32 v1, v1, v127
	v_fma_f32 v3, v122, v16, -v4
	v_dual_add_f32 v2, v2, v5 :: v_dual_add_f32 v1, v1, v128
	s_delay_alu instid0(VALU_DEP_1) | instskip(NEXT) | instid1(VALU_DEP_1)
	v_dual_add_f32 v2, v2, v3 :: v_dual_add_f32 v1, v1, v129
	v_add_f32_e32 v1, v1, v130
	s_delay_alu instid0(VALU_DEP_1) | instskip(SKIP_1) | instid1(VALU_DEP_1)
	v_add_f32_e32 v3, v1, v131
	s_wait_loadcnt 0x0
	v_dual_sub_f32 v1, v124, v2 :: v_dual_sub_f32 v2, v125, v3
	scratch_store_b64 off, v[1:2], off offset:280
	v_cmpx_lt_u32_e32 34, v0
	s_cbranch_execz .LBB107_209
; %bb.208:
	scratch_load_b64 v[1:2], off, off offset:272
	v_mov_b32_e32 v3, 0
	s_delay_alu instid0(VALU_DEP_1)
	v_mov_b32_e32 v4, v3
	scratch_store_b64 off, v[3:4], off offset:272
	s_wait_loadcnt 0x0
	ds_store_b64 v23, v[1:2]
.LBB107_209:
	s_wait_alu 0xfffe
	s_or_b32 exec_lo, exec_lo, s0
	s_wait_storecnt_dscnt 0x0
	s_barrier_signal -1
	s_barrier_wait -1
	global_inv scope:SCOPE_SE
	s_clause 0x5
	scratch_load_b128 v[2:5], off, off offset:280
	scratch_load_b128 v[6:9], off, off offset:296
	;; [unrolled: 1-line block ×4, first 2 shown]
	scratch_load_b64 v[124:125], off, off offset:344
	scratch_load_b64 v[126:127], off, off offset:272
	v_mov_b32_e32 v1, 0
	ds_load_2addr_b64 v[18:21], v1 offset0:79 offset1:80
	ds_load_2addr_b64 v[24:27], v1 offset0:81 offset1:82
	;; [unrolled: 1-line block ×4, first 2 shown]
	ds_load_b64 v[128:129], v1 offset:696
	s_mov_b32 s0, exec_lo
	s_wait_loadcnt_dscnt 0x504
	v_mul_f32_e32 v22, v18, v3
	v_dual_mul_f32 v130, v20, v5 :: v_dual_mul_f32 v3, v19, v3
	s_wait_loadcnt_dscnt 0x403
	v_dual_mul_f32 v131, v24, v7 :: v_dual_mul_f32 v132, v26, v9
	v_mul_f32_e32 v5, v21, v5
	s_wait_loadcnt_dscnt 0x100
	v_dual_mul_f32 v137, v128, v125 :: v_dual_fmac_f32 v22, v19, v2
	v_fma_f32 v3, v18, v2, -v3
	v_mul_f32_e32 v2, v25, v7
	v_fmac_f32_e32 v130, v21, v4
	v_fmac_f32_e32 v132, v27, v8
	v_fma_f32 v4, v20, v4, -v5
	v_add_f32_e32 v3, 0, v3
	v_add_f32_e32 v5, 0, v22
	v_mul_f32_e32 v7, v27, v9
	v_fma_f32 v2, v24, v6, -v2
	v_fmac_f32_e32 v131, v25, v6
	s_delay_alu instid0(VALU_DEP_4) | instskip(SKIP_3) | instid1(VALU_DEP_4)
	v_dual_add_f32 v3, v3, v4 :: v_dual_add_f32 v4, v5, v130
	v_mul_f32_e32 v5, v117, v11
	v_fma_f32 v6, v26, v8, -v7
	v_dual_mul_f32 v133, v116, v11 :: v_dual_mul_f32 v134, v118, v13
	v_dual_add_f32 v2, v3, v2 :: v_dual_add_f32 v3, v4, v131
	v_mul_f32_e32 v4, v119, v13
	v_fma_f32 v5, v116, v10, -v5
	s_delay_alu instid0(VALU_DEP_4) | instskip(NEXT) | instid1(VALU_DEP_4)
	v_fmac_f32_e32 v134, v119, v12
	v_add_f32_e32 v2, v2, v6
	v_fmac_f32_e32 v133, v117, v10
	v_dual_add_f32 v3, v3, v132 :: v_dual_mul_f32 v6, v121, v15
	v_fma_f32 v4, v118, v12, -v4
	s_delay_alu instid0(VALU_DEP_4) | instskip(SKIP_1) | instid1(VALU_DEP_4)
	v_dual_add_f32 v2, v2, v5 :: v_dual_mul_f32 v135, v120, v15
	v_mul_f32_e32 v136, v122, v17
	v_add_f32_e32 v3, v3, v133
	v_fma_f32 v6, v120, v14, -v6
	s_delay_alu instid0(VALU_DEP_4) | instskip(NEXT) | instid1(VALU_DEP_4)
	v_dual_add_f32 v2, v2, v4 :: v_dual_mul_f32 v5, v123, v17
	v_dual_fmac_f32 v135, v121, v14 :: v_dual_fmac_f32 v136, v123, v16
	s_delay_alu instid0(VALU_DEP_4) | instskip(NEXT) | instid1(VALU_DEP_3)
	v_dual_add_f32 v3, v3, v134 :: v_dual_mul_f32 v4, v129, v125
	v_add_f32_e32 v2, v2, v6
	s_delay_alu instid0(VALU_DEP_4) | instskip(NEXT) | instid1(VALU_DEP_3)
	v_fma_f32 v5, v122, v16, -v5
	v_add_f32_e32 v3, v3, v135
	s_delay_alu instid0(VALU_DEP_4) | instskip(NEXT) | instid1(VALU_DEP_2)
	v_fma_f32 v4, v128, v124, -v4
	v_dual_add_f32 v2, v2, v5 :: v_dual_add_f32 v3, v3, v136
	s_delay_alu instid0(VALU_DEP_1) | instskip(SKIP_1) | instid1(VALU_DEP_1)
	v_add_f32_e32 v2, v2, v4
	s_wait_loadcnt 0x0
	v_dual_fmac_f32 v137, v129, v124 :: v_dual_sub_f32 v2, v126, v2
	s_delay_alu instid0(VALU_DEP_1) | instskip(NEXT) | instid1(VALU_DEP_1)
	v_add_f32_e32 v3, v3, v137
	v_sub_f32_e32 v3, v127, v3
	scratch_store_b64 off, v[2:3], off offset:272
	v_cmpx_lt_u32_e32 33, v0
	s_cbranch_execz .LBB107_211
; %bb.210:
	scratch_load_b64 v[3:4], off, off offset:264
	v_mov_b32_e32 v2, v1
	scratch_store_b64 off, v[1:2], off offset:264
	s_wait_loadcnt 0x0
	ds_store_b64 v23, v[3:4]
.LBB107_211:
	s_wait_alu 0xfffe
	s_or_b32 exec_lo, exec_lo, s0
	s_wait_storecnt_dscnt 0x0
	s_barrier_signal -1
	s_barrier_wait -1
	global_inv scope:SCOPE_SE
	s_clause 0x5
	scratch_load_b128 v[2:5], off, off offset:272
	scratch_load_b128 v[6:9], off, off offset:288
	;; [unrolled: 1-line block ×5, first 2 shown]
	scratch_load_b64 v[132:133], off, off offset:264
	ds_load_b128 v[24:27], v1 offset:624
	ds_load_b128 v[116:119], v1 offset:640
	;; [unrolled: 1-line block ×5, first 2 shown]
	s_mov_b32 s0, exec_lo
	s_wait_loadcnt_dscnt 0x504
	v_dual_mul_f32 v1, v24, v3 :: v_dual_mul_f32 v22, v26, v5
	v_mul_f32_e32 v3, v25, v3
	s_wait_loadcnt_dscnt 0x403
	v_dual_mul_f32 v5, v27, v5 :: v_dual_mul_f32 v134, v116, v7
	s_delay_alu instid0(VALU_DEP_3) | instskip(NEXT) | instid1(VALU_DEP_3)
	v_dual_mul_f32 v135, v118, v9 :: v_dual_fmac_f32 v22, v27, v4
	v_fma_f32 v3, v24, v2, -v3
	v_fmac_f32_e32 v1, v25, v2
	v_mul_f32_e32 v2, v117, v7
	v_fma_f32 v4, v26, v4, -v5
	s_wait_loadcnt_dscnt 0x302
	v_dual_mul_f32 v136, v120, v11 :: v_dual_mul_f32 v137, v122, v13
	v_dual_add_f32 v3, 0, v3 :: v_dual_fmac_f32 v134, v117, v6
	s_wait_loadcnt_dscnt 0x201
	v_dual_mul_f32 v138, v124, v15 :: v_dual_mul_f32 v139, v126, v17
	s_delay_alu instid0(VALU_DEP_3) | instskip(SKIP_1) | instid1(VALU_DEP_3)
	v_dual_mul_f32 v5, v119, v9 :: v_dual_fmac_f32 v136, v121, v10
	v_fma_f32 v2, v116, v6, -v2
	v_dual_add_f32 v3, v3, v4 :: v_dual_fmac_f32 v138, v125, v14
	s_delay_alu instid0(VALU_DEP_3)
	v_fma_f32 v5, v118, v8, -v5
	v_mul_f32_e32 v4, v121, v11
	s_wait_loadcnt_dscnt 0x100
	v_dual_mul_f32 v140, v128, v19 :: v_dual_mul_f32 v141, v130, v21
	v_add_f32_e32 v2, v3, v2
	v_mul_f32_e32 v3, v123, v13
	v_fma_f32 v4, v120, v10, -v4
	s_delay_alu instid0(VALU_DEP_4) | instskip(NEXT) | instid1(VALU_DEP_4)
	v_dual_fmac_f32 v140, v129, v18 :: v_dual_fmac_f32 v139, v127, v16
	v_add_f32_e32 v2, v2, v5
	v_add_f32_e32 v1, 0, v1
	v_fma_f32 v3, v122, v12, -v3
	v_fmac_f32_e32 v141, v131, v20
	s_delay_alu instid0(VALU_DEP_3) | instskip(SKIP_1) | instid1(VALU_DEP_2)
	v_dual_add_f32 v2, v2, v4 :: v_dual_add_f32 v1, v1, v22
	v_mul_f32_e32 v4, v127, v17
	v_dual_fmac_f32 v135, v119, v8 :: v_dual_add_f32 v2, v2, v3
	s_delay_alu instid0(VALU_DEP_3) | instskip(NEXT) | instid1(VALU_DEP_3)
	v_add_f32_e32 v1, v1, v134
	v_fma_f32 v4, v126, v16, -v4
	v_mul_f32_e32 v5, v125, v15
	v_mul_f32_e32 v3, v129, v19
	s_delay_alu instid0(VALU_DEP_4) | instskip(NEXT) | instid1(VALU_DEP_3)
	v_add_f32_e32 v1, v1, v135
	v_fma_f32 v5, v124, v14, -v5
	v_fmac_f32_e32 v137, v123, v12
	s_delay_alu instid0(VALU_DEP_4) | instskip(NEXT) | instid1(VALU_DEP_3)
	v_fma_f32 v3, v128, v18, -v3
	v_add_f32_e32 v2, v2, v5
	s_delay_alu instid0(VALU_DEP_1) | instskip(SKIP_1) | instid1(VALU_DEP_2)
	v_dual_mul_f32 v5, v131, v21 :: v_dual_add_f32 v2, v2, v4
	v_add_f32_e32 v1, v1, v136
	v_fma_f32 v4, v130, v20, -v5
	s_delay_alu instid0(VALU_DEP_2) | instskip(NEXT) | instid1(VALU_DEP_1)
	v_dual_add_f32 v2, v2, v3 :: v_dual_add_f32 v1, v1, v137
	v_dual_add_f32 v2, v2, v4 :: v_dual_add_f32 v1, v1, v138
	s_delay_alu instid0(VALU_DEP_1) | instskip(NEXT) | instid1(VALU_DEP_1)
	v_add_f32_e32 v1, v1, v139
	v_add_f32_e32 v1, v1, v140
	s_delay_alu instid0(VALU_DEP_1) | instskip(SKIP_1) | instid1(VALU_DEP_1)
	v_add_f32_e32 v3, v1, v141
	s_wait_loadcnt 0x0
	v_dual_sub_f32 v1, v132, v2 :: v_dual_sub_f32 v2, v133, v3
	scratch_store_b64 off, v[1:2], off offset:264
	v_cmpx_lt_u32_e32 32, v0
	s_cbranch_execz .LBB107_213
; %bb.212:
	scratch_load_b64 v[1:2], off, off offset:256
	v_mov_b32_e32 v3, 0
	s_delay_alu instid0(VALU_DEP_1)
	v_mov_b32_e32 v4, v3
	scratch_store_b64 off, v[3:4], off offset:256
	s_wait_loadcnt 0x0
	ds_store_b64 v23, v[1:2]
.LBB107_213:
	s_wait_alu 0xfffe
	s_or_b32 exec_lo, exec_lo, s0
	s_wait_storecnt_dscnt 0x0
	s_barrier_signal -1
	s_barrier_wait -1
	global_inv scope:SCOPE_SE
	s_clause 0x6
	scratch_load_b128 v[2:5], off, off offset:264
	scratch_load_b128 v[6:9], off, off offset:280
	;; [unrolled: 1-line block ×5, first 2 shown]
	scratch_load_b64 v[132:133], off, off offset:344
	scratch_load_b64 v[134:135], off, off offset:256
	v_mov_b32_e32 v1, 0
	ds_load_2addr_b64 v[24:27], v1 offset0:77 offset1:78
	ds_load_2addr_b64 v[116:119], v1 offset0:79 offset1:80
	;; [unrolled: 1-line block ×5, first 2 shown]
	ds_load_b64 v[136:137], v1 offset:696
	s_mov_b32 s0, exec_lo
	s_wait_loadcnt_dscnt 0x605
	v_mul_f32_e32 v22, v24, v3
	v_dual_mul_f32 v3, v25, v3 :: v_dual_mul_f32 v138, v26, v5
	s_wait_loadcnt_dscnt 0x302
	v_dual_mul_f32 v139, v116, v7 :: v_dual_mul_f32 v144, v126, v17
	v_mul_f32_e32 v5, v27, v5
	s_delay_alu instid0(VALU_DEP_3)
	v_fma_f32 v3, v24, v2, -v3
	v_dual_mul_f32 v140, v118, v9 :: v_dual_mul_f32 v141, v120, v11
	s_wait_loadcnt_dscnt 0x100
	v_dual_mul_f32 v147, v136, v133 :: v_dual_fmac_f32 v22, v25, v2
	v_mul_f32_e32 v2, v117, v7
	v_dual_fmac_f32 v138, v27, v4 :: v_dual_add_f32 v3, 0, v3
	v_fma_f32 v4, v26, v4, -v5
	s_delay_alu instid0(VALU_DEP_4) | instskip(SKIP_2) | instid1(VALU_DEP_4)
	v_dual_add_f32 v5, 0, v22 :: v_dual_fmac_f32 v140, v119, v8
	v_mul_f32_e32 v7, v119, v9
	v_fma_f32 v2, v116, v6, -v2
	v_add_f32_e32 v3, v3, v4
	v_fmac_f32_e32 v139, v117, v6
	v_add_f32_e32 v4, v5, v138
	v_mul_f32_e32 v5, v121, v11
	v_fma_f32 v6, v118, v8, -v7
	v_add_f32_e32 v2, v3, v2
	v_dual_mul_f32 v142, v122, v13 :: v_dual_mul_f32 v143, v124, v15
	v_dual_add_f32 v3, v4, v139 :: v_dual_mul_f32 v4, v123, v13
	v_fma_f32 v5, v120, v10, -v5
	s_delay_alu instid0(VALU_DEP_4)
	v_add_f32_e32 v2, v2, v6
	v_fmac_f32_e32 v141, v121, v10
	v_mul_f32_e32 v6, v125, v15
	v_fmac_f32_e32 v142, v123, v12
	v_add_f32_e32 v3, v3, v140
	v_fma_f32 v4, v122, v12, -v4
	v_add_f32_e32 v2, v2, v5
	v_mul_f32_e32 v5, v127, v17
	v_fma_f32 v6, v124, v14, -v6
	v_add_f32_e32 v3, v3, v141
	v_dual_fmac_f32 v143, v125, v14 :: v_dual_fmac_f32 v144, v127, v16
	v_add_f32_e32 v2, v2, v4
	v_mul_f32_e32 v4, v129, v19
	v_fma_f32 v5, v126, v16, -v5
	v_dual_mul_f32 v145, v128, v19 :: v_dual_mul_f32 v146, v130, v21
	s_delay_alu instid0(VALU_DEP_4) | instskip(SKIP_1) | instid1(VALU_DEP_3)
	v_add_f32_e32 v2, v2, v6
	v_add_f32_e32 v3, v3, v142
	v_dual_mul_f32 v6, v131, v21 :: v_dual_fmac_f32 v145, v129, v18
	v_fma_f32 v4, v128, v18, -v4
	s_delay_alu instid0(VALU_DEP_3) | instskip(SKIP_1) | instid1(VALU_DEP_4)
	v_dual_add_f32 v2, v2, v5 :: v_dual_add_f32 v3, v3, v143
	v_dual_mul_f32 v5, v137, v133 :: v_dual_fmac_f32 v146, v131, v20
	v_fma_f32 v6, v130, v20, -v6
	s_delay_alu instid0(VALU_DEP_3) | instskip(NEXT) | instid1(VALU_DEP_4)
	v_add_f32_e32 v2, v2, v4
	v_add_f32_e32 v3, v3, v144
	s_delay_alu instid0(VALU_DEP_4) | instskip(NEXT) | instid1(VALU_DEP_2)
	v_fma_f32 v4, v136, v132, -v5
	v_dual_add_f32 v2, v2, v6 :: v_dual_add_f32 v3, v3, v145
	s_delay_alu instid0(VALU_DEP_1) | instskip(SKIP_1) | instid1(VALU_DEP_1)
	v_dual_add_f32 v2, v2, v4 :: v_dual_add_f32 v3, v3, v146
	s_wait_loadcnt 0x0
	v_dual_fmac_f32 v147, v137, v132 :: v_dual_sub_f32 v2, v134, v2
	s_delay_alu instid0(VALU_DEP_1) | instskip(NEXT) | instid1(VALU_DEP_1)
	v_add_f32_e32 v3, v3, v147
	v_sub_f32_e32 v3, v135, v3
	scratch_store_b64 off, v[2:3], off offset:256
	v_cmpx_lt_u32_e32 31, v0
	s_cbranch_execz .LBB107_215
; %bb.214:
	scratch_load_b64 v[3:4], off, off offset:248
	v_mov_b32_e32 v2, v1
	scratch_store_b64 off, v[1:2], off offset:248
	s_wait_loadcnt 0x0
	ds_store_b64 v23, v[3:4]
.LBB107_215:
	s_wait_alu 0xfffe
	s_or_b32 exec_lo, exec_lo, s0
	s_wait_storecnt_dscnt 0x0
	s_barrier_signal -1
	s_barrier_wait -1
	global_inv scope:SCOPE_SE
	s_clause 0x6
	scratch_load_b128 v[2:5], off, off offset:256
	scratch_load_b128 v[6:9], off, off offset:272
	;; [unrolled: 1-line block ×6, first 2 shown]
	scratch_load_b64 v[140:141], off, off offset:248
	ds_load_b128 v[116:119], v1 offset:608
	ds_load_b128 v[120:123], v1 offset:624
	;; [unrolled: 1-line block ×6, first 2 shown]
	s_mov_b32 s0, exec_lo
	s_wait_loadcnt_dscnt 0x605
	v_dual_mul_f32 v1, v116, v3 :: v_dual_mul_f32 v22, v118, v5
	v_mul_f32_e32 v3, v117, v3
	s_wait_loadcnt_dscnt 0x504
	v_dual_mul_f32 v5, v119, v5 :: v_dual_mul_f32 v142, v120, v7
	v_mul_f32_e32 v143, v122, v9
	s_wait_loadcnt_dscnt 0x100
	v_mul_f32_e32 v150, v136, v25
	v_fma_f32 v3, v116, v2, -v3
	v_dual_mul_f32 v151, v138, v27 :: v_dual_fmac_f32 v22, v119, v4
	v_fmac_f32_e32 v1, v117, v2
	v_mul_f32_e32 v2, v121, v7
	v_fma_f32 v4, v118, v4, -v5
	v_dual_add_f32 v3, 0, v3 :: v_dual_fmac_f32 v142, v121, v6
	v_dual_mul_f32 v144, v124, v11 :: v_dual_mul_f32 v145, v126, v13
	v_dual_mul_f32 v146, v128, v15 :: v_dual_mul_f32 v147, v130, v17
	s_delay_alu instid0(VALU_DEP_2) | instskip(SKIP_1) | instid1(VALU_DEP_3)
	v_dual_mul_f32 v5, v123, v9 :: v_dual_fmac_f32 v144, v125, v10
	v_fma_f32 v2, v120, v6, -v2
	v_dual_add_f32 v3, v3, v4 :: v_dual_fmac_f32 v146, v129, v14
	s_delay_alu instid0(VALU_DEP_3) | instskip(SKIP_2) | instid1(VALU_DEP_4)
	v_fma_f32 v5, v122, v8, -v5
	v_mul_f32_e32 v4, v125, v11
	v_dual_mul_f32 v148, v132, v19 :: v_dual_mul_f32 v149, v134, v21
	v_add_f32_e32 v2, v3, v2
	v_mul_f32_e32 v3, v127, v13
	s_delay_alu instid0(VALU_DEP_4) | instskip(NEXT) | instid1(VALU_DEP_4)
	v_fma_f32 v4, v124, v10, -v4
	v_dual_fmac_f32 v148, v133, v18 :: v_dual_fmac_f32 v147, v131, v16
	s_delay_alu instid0(VALU_DEP_4) | instskip(SKIP_3) | instid1(VALU_DEP_4)
	v_add_f32_e32 v2, v2, v5
	v_add_f32_e32 v1, 0, v1
	v_fma_f32 v3, v126, v12, -v3
	v_fmac_f32_e32 v149, v135, v20
	v_dual_fmac_f32 v151, v139, v26 :: v_dual_add_f32 v2, v2, v4
	s_delay_alu instid0(VALU_DEP_4) | instskip(SKIP_2) | instid1(VALU_DEP_3)
	v_dual_add_f32 v1, v1, v22 :: v_dual_mul_f32 v4, v131, v17
	v_fmac_f32_e32 v143, v123, v8
	v_fmac_f32_e32 v150, v137, v24
	v_dual_add_f32 v2, v2, v3 :: v_dual_add_f32 v1, v1, v142
	s_delay_alu instid0(VALU_DEP_4) | instskip(SKIP_1) | instid1(VALU_DEP_3)
	v_fma_f32 v4, v130, v16, -v4
	v_mul_f32_e32 v5, v129, v15
	v_add_f32_e32 v1, v1, v143
	s_delay_alu instid0(VALU_DEP_2) | instskip(NEXT) | instid1(VALU_DEP_1)
	v_fma_f32 v5, v128, v14, -v5
	v_dual_fmac_f32 v145, v127, v12 :: v_dual_add_f32 v2, v2, v5
	s_delay_alu instid0(VALU_DEP_1) | instskip(NEXT) | instid1(VALU_DEP_1)
	v_dual_mul_f32 v5, v135, v21 :: v_dual_add_f32 v2, v2, v4
	v_fma_f32 v5, v134, v20, -v5
	v_mul_f32_e32 v3, v133, v19
	v_mul_f32_e32 v4, v137, v25
	s_delay_alu instid0(VALU_DEP_2) | instskip(SKIP_1) | instid1(VALU_DEP_3)
	v_fma_f32 v3, v132, v18, -v3
	v_add_f32_e32 v1, v1, v144
	v_fma_f32 v4, v136, v24, -v4
	s_delay_alu instid0(VALU_DEP_3) | instskip(NEXT) | instid1(VALU_DEP_1)
	v_add_f32_e32 v2, v2, v3
	v_dual_mul_f32 v3, v139, v27 :: v_dual_add_f32 v2, v2, v5
	s_delay_alu instid0(VALU_DEP_4) | instskip(NEXT) | instid1(VALU_DEP_2)
	v_add_f32_e32 v1, v1, v145
	v_fma_f32 v3, v138, v26, -v3
	s_delay_alu instid0(VALU_DEP_2) | instskip(NEXT) | instid1(VALU_DEP_1)
	v_dual_add_f32 v2, v2, v4 :: v_dual_add_f32 v1, v1, v146
	v_add_f32_e32 v2, v2, v3
	s_delay_alu instid0(VALU_DEP_2) | instskip(NEXT) | instid1(VALU_DEP_1)
	v_add_f32_e32 v1, v1, v147
	v_add_f32_e32 v1, v1, v148
	s_delay_alu instid0(VALU_DEP_1) | instskip(NEXT) | instid1(VALU_DEP_1)
	v_add_f32_e32 v1, v1, v149
	v_add_f32_e32 v1, v1, v150
	s_delay_alu instid0(VALU_DEP_1) | instskip(SKIP_1) | instid1(VALU_DEP_1)
	v_add_f32_e32 v3, v1, v151
	s_wait_loadcnt 0x0
	v_dual_sub_f32 v1, v140, v2 :: v_dual_sub_f32 v2, v141, v3
	scratch_store_b64 off, v[1:2], off offset:248
	v_cmpx_lt_u32_e32 30, v0
	s_cbranch_execz .LBB107_217
; %bb.216:
	scratch_load_b64 v[1:2], off, off offset:240
	v_mov_b32_e32 v3, 0
	s_delay_alu instid0(VALU_DEP_1)
	v_mov_b32_e32 v4, v3
	scratch_store_b64 off, v[3:4], off offset:240
	s_wait_loadcnt 0x0
	ds_store_b64 v23, v[1:2]
.LBB107_217:
	s_wait_alu 0xfffe
	s_or_b32 exec_lo, exec_lo, s0
	s_wait_storecnt_dscnt 0x0
	s_barrier_signal -1
	s_barrier_wait -1
	global_inv scope:SCOPE_SE
	s_clause 0x7
	scratch_load_b128 v[2:5], off, off offset:248
	scratch_load_b128 v[6:9], off, off offset:264
	;; [unrolled: 1-line block ×6, first 2 shown]
	scratch_load_b64 v[140:141], off, off offset:344
	scratch_load_b64 v[142:143], off, off offset:240
	v_mov_b32_e32 v1, 0
	ds_load_2addr_b64 v[116:119], v1 offset0:75 offset1:76
	ds_load_2addr_b64 v[120:123], v1 offset0:77 offset1:78
	;; [unrolled: 1-line block ×6, first 2 shown]
	ds_load_b64 v[144:145], v1 offset:696
	s_mov_b32 s0, exec_lo
	s_wait_loadcnt_dscnt 0x706
	v_mul_f32_e32 v22, v116, v3
	v_dual_mul_f32 v3, v117, v3 :: v_dual_mul_f32 v146, v118, v5
	s_wait_loadcnt_dscnt 0x302
	v_dual_mul_f32 v147, v120, v7 :: v_dual_mul_f32 v154, v134, v21
	v_mul_f32_e32 v5, v119, v5
	s_delay_alu instid0(VALU_DEP_3)
	v_fma_f32 v3, v116, v2, -v3
	v_dual_mul_f32 v148, v122, v9 :: v_dual_mul_f32 v149, v124, v11
	s_wait_loadcnt_dscnt 0x100
	v_dual_mul_f32 v157, v144, v141 :: v_dual_fmac_f32 v22, v117, v2
	v_mul_f32_e32 v2, v121, v7
	v_dual_fmac_f32 v146, v119, v4 :: v_dual_add_f32 v3, 0, v3
	v_fma_f32 v4, v118, v4, -v5
	s_delay_alu instid0(VALU_DEP_4) | instskip(SKIP_2) | instid1(VALU_DEP_4)
	v_dual_add_f32 v5, 0, v22 :: v_dual_fmac_f32 v148, v123, v8
	v_mul_f32_e32 v7, v123, v9
	v_fma_f32 v2, v120, v6, -v2
	v_add_f32_e32 v3, v3, v4
	v_fmac_f32_e32 v147, v121, v6
	v_add_f32_e32 v4, v5, v146
	v_mul_f32_e32 v5, v125, v11
	v_fma_f32 v6, v122, v8, -v7
	v_add_f32_e32 v2, v3, v2
	v_dual_mul_f32 v150, v126, v13 :: v_dual_mul_f32 v151, v128, v15
	v_dual_add_f32 v3, v4, v147 :: v_dual_mul_f32 v4, v127, v13
	v_fma_f32 v5, v124, v10, -v5
	s_delay_alu instid0(VALU_DEP_4)
	v_add_f32_e32 v2, v2, v6
	v_fmac_f32_e32 v149, v125, v10
	v_mul_f32_e32 v6, v129, v15
	v_fmac_f32_e32 v150, v127, v12
	v_add_f32_e32 v3, v3, v148
	v_fma_f32 v4, v126, v12, -v4
	v_add_f32_e32 v2, v2, v5
	v_dual_mul_f32 v152, v130, v17 :: v_dual_mul_f32 v153, v132, v19
	s_delay_alu instid0(VALU_DEP_4)
	v_add_f32_e32 v3, v3, v149
	v_mul_f32_e32 v5, v131, v17
	v_fma_f32 v6, v128, v14, -v6
	v_dual_add_f32 v2, v2, v4 :: v_dual_fmac_f32 v151, v129, v14
	v_fmac_f32_e32 v152, v131, v16
	v_mul_f32_e32 v4, v133, v19
	v_fma_f32 v5, v130, v16, -v5
	s_delay_alu instid0(VALU_DEP_4) | instskip(SKIP_3) | instid1(VALU_DEP_3)
	v_add_f32_e32 v2, v2, v6
	v_add_f32_e32 v3, v3, v150
	v_dual_mul_f32 v6, v135, v21 :: v_dual_fmac_f32 v153, v133, v18
	v_fma_f32 v4, v132, v18, -v4
	v_dual_add_f32 v2, v2, v5 :: v_dual_add_f32 v3, v3, v151
	s_delay_alu instid0(VALU_DEP_3) | instskip(SKIP_1) | instid1(VALU_DEP_3)
	v_fma_f32 v6, v134, v20, -v6
	v_dual_mul_f32 v155, v136, v25 :: v_dual_mul_f32 v156, v138, v27
	v_add_f32_e32 v2, v2, v4
	s_delay_alu instid0(VALU_DEP_4) | instskip(SKIP_1) | instid1(VALU_DEP_4)
	v_add_f32_e32 v3, v3, v152
	v_dual_mul_f32 v5, v137, v25 :: v_dual_fmac_f32 v154, v135, v20
	v_dual_mul_f32 v4, v139, v27 :: v_dual_fmac_f32 v155, v137, v24
	s_delay_alu instid0(VALU_DEP_3) | instskip(NEXT) | instid1(VALU_DEP_3)
	v_dual_add_f32 v2, v2, v6 :: v_dual_add_f32 v3, v3, v153
	v_fma_f32 v5, v136, v24, -v5
	v_mul_f32_e32 v6, v145, v141
	v_dual_fmac_f32 v156, v139, v26 :: v_dual_fmac_f32 v157, v145, v140
	s_delay_alu instid0(VALU_DEP_4) | instskip(SKIP_3) | instid1(VALU_DEP_4)
	v_add_f32_e32 v3, v3, v154
	v_fma_f32 v4, v138, v26, -v4
	v_add_f32_e32 v2, v2, v5
	v_fma_f32 v5, v144, v140, -v6
	v_add_f32_e32 v3, v3, v155
	s_delay_alu instid0(VALU_DEP_1) | instskip(NEXT) | instid1(VALU_DEP_1)
	v_add_f32_e32 v3, v3, v156
	v_dual_add_f32 v2, v2, v4 :: v_dual_add_f32 v3, v3, v157
	s_wait_loadcnt 0x0
	s_delay_alu instid0(VALU_DEP_1) | instskip(NEXT) | instid1(VALU_DEP_1)
	v_dual_add_f32 v2, v2, v5 :: v_dual_sub_f32 v3, v143, v3
	v_sub_f32_e32 v2, v142, v2
	scratch_store_b64 off, v[2:3], off offset:240
	v_cmpx_lt_u32_e32 29, v0
	s_cbranch_execz .LBB107_219
; %bb.218:
	scratch_load_b64 v[3:4], off, off offset:232
	v_mov_b32_e32 v2, v1
	scratch_store_b64 off, v[1:2], off offset:232
	s_wait_loadcnt 0x0
	ds_store_b64 v23, v[3:4]
.LBB107_219:
	s_wait_alu 0xfffe
	s_or_b32 exec_lo, exec_lo, s0
	s_wait_storecnt_dscnt 0x0
	s_barrier_signal -1
	s_barrier_wait -1
	global_inv scope:SCOPE_SE
	s_clause 0x7
	scratch_load_b128 v[2:5], off, off offset:240
	scratch_load_b128 v[6:9], off, off offset:256
	;; [unrolled: 1-line block ×7, first 2 shown]
	scratch_load_b64 v[148:149], off, off offset:232
	ds_load_b128 v[120:123], v1 offset:592
	ds_load_b128 v[124:127], v1 offset:608
	;; [unrolled: 1-line block ×7, first 2 shown]
	s_mov_b32 s0, exec_lo
	s_wait_loadcnt_dscnt 0x706
	v_dual_mul_f32 v1, v120, v3 :: v_dual_mul_f32 v22, v122, v5
	v_mul_f32_e32 v3, v121, v3
	s_wait_loadcnt_dscnt 0x605
	v_dual_mul_f32 v5, v123, v5 :: v_dual_mul_f32 v150, v124, v7
	v_mul_f32_e32 v151, v126, v9
	s_wait_loadcnt_dscnt 0x201
	v_mul_f32_e32 v158, v140, v25
	v_fma_f32 v3, v120, v2, -v3
	s_wait_loadcnt_dscnt 0x100
	v_dual_mul_f32 v161, v146, v119 :: v_dual_fmac_f32 v22, v123, v4
	v_fmac_f32_e32 v1, v121, v2
	v_mul_f32_e32 v2, v125, v7
	v_fma_f32 v4, v122, v4, -v5
	v_dual_add_f32 v3, 0, v3 :: v_dual_fmac_f32 v150, v125, v6
	v_dual_mul_f32 v152, v128, v11 :: v_dual_mul_f32 v153, v130, v13
	v_dual_mul_f32 v154, v132, v15 :: v_dual_mul_f32 v155, v134, v17
	s_delay_alu instid0(VALU_DEP_2) | instskip(SKIP_1) | instid1(VALU_DEP_3)
	v_dual_mul_f32 v5, v127, v9 :: v_dual_fmac_f32 v152, v129, v10
	v_fma_f32 v2, v124, v6, -v2
	v_dual_add_f32 v3, v3, v4 :: v_dual_fmac_f32 v154, v133, v14
	s_delay_alu instid0(VALU_DEP_3) | instskip(SKIP_1) | instid1(VALU_DEP_3)
	v_fma_f32 v5, v126, v8, -v5
	v_dual_mul_f32 v156, v136, v19 :: v_dual_mul_f32 v157, v138, v21
	v_add_f32_e32 v2, v3, v2
	v_dual_mul_f32 v4, v129, v11 :: v_dual_mul_f32 v3, v131, v13
	s_delay_alu instid0(VALU_DEP_3) | instskip(NEXT) | instid1(VALU_DEP_3)
	v_dual_fmac_f32 v156, v137, v18 :: v_dual_fmac_f32 v155, v135, v16
	v_add_f32_e32 v2, v2, v5
	v_add_f32_e32 v1, 0, v1
	s_delay_alu instid0(VALU_DEP_4) | instskip(SKIP_2) | instid1(VALU_DEP_3)
	v_fma_f32 v4, v128, v10, -v4
	v_fma_f32 v3, v130, v12, -v3
	v_dual_mul_f32 v159, v142, v27 :: v_dual_mul_f32 v160, v144, v117
	v_dual_add_f32 v1, v1, v22 :: v_dual_add_f32 v2, v2, v4
	v_mul_f32_e32 v4, v135, v17
	v_fmac_f32_e32 v151, v127, v8
	s_delay_alu instid0(VALU_DEP_4) | instskip(NEXT) | instid1(VALU_DEP_4)
	v_fmac_f32_e32 v159, v143, v26
	v_dual_add_f32 v1, v1, v150 :: v_dual_add_f32 v2, v2, v3
	s_delay_alu instid0(VALU_DEP_4) | instskip(SKIP_2) | instid1(VALU_DEP_4)
	v_fma_f32 v4, v134, v16, -v4
	v_mul_f32_e32 v5, v133, v15
	v_fmac_f32_e32 v161, v147, v118
	v_add_f32_e32 v1, v1, v151
	v_fmac_f32_e32 v158, v141, v24
	v_fmac_f32_e32 v160, v145, v116
	v_fma_f32 v5, v132, v14, -v5
	s_delay_alu instid0(VALU_DEP_1) | instskip(NEXT) | instid1(VALU_DEP_1)
	v_dual_fmac_f32 v153, v131, v12 :: v_dual_add_f32 v2, v2, v5
	v_dual_mul_f32 v5, v139, v21 :: v_dual_add_f32 v2, v2, v4
	s_delay_alu instid0(VALU_DEP_1) | instskip(SKIP_2) | instid1(VALU_DEP_2)
	v_fma_f32 v5, v138, v20, -v5
	v_mul_f32_e32 v3, v137, v19
	v_mul_f32_e32 v4, v141, v25
	v_fma_f32 v3, v136, v18, -v3
	v_add_f32_e32 v1, v1, v152
	s_delay_alu instid0(VALU_DEP_3) | instskip(NEXT) | instid1(VALU_DEP_3)
	v_fma_f32 v4, v140, v24, -v4
	v_add_f32_e32 v2, v2, v3
	s_delay_alu instid0(VALU_DEP_1) | instskip(NEXT) | instid1(VALU_DEP_4)
	v_dual_mul_f32 v3, v143, v27 :: v_dual_add_f32 v2, v2, v5
	v_add_f32_e32 v1, v1, v153
	v_mul_f32_e32 v5, v145, v117
	s_delay_alu instid0(VALU_DEP_3) | instskip(NEXT) | instid1(VALU_DEP_3)
	v_fma_f32 v3, v142, v26, -v3
	v_dual_add_f32 v2, v2, v4 :: v_dual_add_f32 v1, v1, v154
	v_mul_f32_e32 v4, v147, v119
	v_fmac_f32_e32 v157, v139, v20
	v_fma_f32 v5, v144, v116, -v5
	s_delay_alu instid0(VALU_DEP_4) | instskip(SKIP_2) | instid1(VALU_DEP_2)
	v_add_f32_e32 v2, v2, v3
	v_add_f32_e32 v1, v1, v155
	v_fma_f32 v3, v146, v118, -v4
	v_dual_add_f32 v2, v2, v5 :: v_dual_add_f32 v1, v1, v156
	s_delay_alu instid0(VALU_DEP_1) | instskip(NEXT) | instid1(VALU_DEP_1)
	v_dual_add_f32 v2, v2, v3 :: v_dual_add_f32 v1, v1, v157
	v_add_f32_e32 v1, v1, v158
	s_delay_alu instid0(VALU_DEP_1) | instskip(NEXT) | instid1(VALU_DEP_1)
	v_add_f32_e32 v1, v1, v159
	v_add_f32_e32 v1, v1, v160
	s_delay_alu instid0(VALU_DEP_1) | instskip(SKIP_1) | instid1(VALU_DEP_1)
	v_add_f32_e32 v3, v1, v161
	s_wait_loadcnt 0x0
	v_dual_sub_f32 v1, v148, v2 :: v_dual_sub_f32 v2, v149, v3
	scratch_store_b64 off, v[1:2], off offset:232
	v_cmpx_lt_u32_e32 28, v0
	s_cbranch_execz .LBB107_221
; %bb.220:
	scratch_load_b64 v[1:2], off, off offset:224
	v_mov_b32_e32 v3, 0
	s_delay_alu instid0(VALU_DEP_1)
	v_mov_b32_e32 v4, v3
	scratch_store_b64 off, v[3:4], off offset:224
	s_wait_loadcnt 0x0
	ds_store_b64 v23, v[1:2]
.LBB107_221:
	s_wait_alu 0xfffe
	s_or_b32 exec_lo, exec_lo, s0
	s_wait_storecnt_dscnt 0x0
	s_barrier_signal -1
	s_barrier_wait -1
	global_inv scope:SCOPE_SE
	s_clause 0x8
	scratch_load_b128 v[2:5], off, off offset:232
	scratch_load_b128 v[6:9], off, off offset:248
	;; [unrolled: 1-line block ×7, first 2 shown]
	scratch_load_b64 v[148:149], off, off offset:344
	scratch_load_b64 v[150:151], off, off offset:224
	v_mov_b32_e32 v1, 0
	ds_load_2addr_b64 v[120:123], v1 offset0:73 offset1:74
	ds_load_2addr_b64 v[124:127], v1 offset0:75 offset1:76
	;; [unrolled: 1-line block ×7, first 2 shown]
	ds_load_b64 v[152:153], v1 offset:696
	s_mov_b32 s0, exec_lo
	s_wait_loadcnt_dscnt 0x807
	v_mul_f32_e32 v22, v120, v3
	v_dual_mul_f32 v3, v121, v3 :: v_dual_mul_f32 v154, v122, v5
	s_wait_loadcnt_dscnt 0x403
	v_dual_mul_f32 v155, v124, v7 :: v_dual_mul_f32 v162, v138, v21
	v_mul_f32_e32 v5, v123, v5
	s_delay_alu instid0(VALU_DEP_3)
	v_fma_f32 v3, v120, v2, -v3
	v_dual_mul_f32 v156, v126, v9 :: v_dual_mul_f32 v157, v128, v11
	s_wait_loadcnt_dscnt 0x100
	v_dual_mul_f32 v167, v152, v149 :: v_dual_fmac_f32 v22, v121, v2
	v_mul_f32_e32 v2, v125, v7
	v_dual_fmac_f32 v154, v123, v4 :: v_dual_add_f32 v3, 0, v3
	v_fma_f32 v4, v122, v4, -v5
	s_delay_alu instid0(VALU_DEP_4) | instskip(SKIP_2) | instid1(VALU_DEP_4)
	v_dual_add_f32 v5, 0, v22 :: v_dual_fmac_f32 v156, v127, v8
	v_mul_f32_e32 v7, v127, v9
	v_fma_f32 v2, v124, v6, -v2
	v_add_f32_e32 v3, v3, v4
	v_fmac_f32_e32 v155, v125, v6
	v_add_f32_e32 v4, v5, v154
	v_mul_f32_e32 v5, v129, v11
	v_fma_f32 v6, v126, v8, -v7
	v_add_f32_e32 v2, v3, v2
	v_dual_mul_f32 v158, v130, v13 :: v_dual_mul_f32 v159, v132, v15
	v_dual_add_f32 v3, v4, v155 :: v_dual_mul_f32 v4, v131, v13
	v_fma_f32 v5, v128, v10, -v5
	s_delay_alu instid0(VALU_DEP_4)
	v_add_f32_e32 v2, v2, v6
	v_fmac_f32_e32 v157, v129, v10
	v_mul_f32_e32 v6, v133, v15
	v_fmac_f32_e32 v158, v131, v12
	v_add_f32_e32 v3, v3, v156
	v_fma_f32 v4, v130, v12, -v4
	v_add_f32_e32 v2, v2, v5
	v_dual_mul_f32 v160, v134, v17 :: v_dual_mul_f32 v161, v136, v19
	s_delay_alu instid0(VALU_DEP_4)
	v_add_f32_e32 v3, v3, v157
	v_mul_f32_e32 v5, v135, v17
	v_fma_f32 v6, v132, v14, -v6
	v_dual_add_f32 v2, v2, v4 :: v_dual_fmac_f32 v159, v133, v14
	v_fmac_f32_e32 v160, v135, v16
	v_mul_f32_e32 v4, v137, v19
	v_fma_f32 v5, v134, v16, -v5
	s_delay_alu instid0(VALU_DEP_4) | instskip(SKIP_3) | instid1(VALU_DEP_3)
	v_add_f32_e32 v2, v2, v6
	v_add_f32_e32 v3, v3, v158
	v_dual_mul_f32 v6, v139, v21 :: v_dual_fmac_f32 v161, v137, v18
	v_fma_f32 v4, v136, v18, -v4
	v_dual_add_f32 v2, v2, v5 :: v_dual_add_f32 v3, v3, v159
	s_delay_alu instid0(VALU_DEP_3) | instskip(SKIP_1) | instid1(VALU_DEP_3)
	v_fma_f32 v6, v138, v20, -v6
	v_dual_mul_f32 v163, v140, v25 :: v_dual_mul_f32 v164, v142, v27
	v_add_f32_e32 v2, v2, v4
	s_delay_alu instid0(VALU_DEP_4) | instskip(SKIP_1) | instid1(VALU_DEP_4)
	v_add_f32_e32 v3, v3, v160
	v_dual_mul_f32 v5, v141, v25 :: v_dual_fmac_f32 v162, v139, v20
	v_dual_mul_f32 v4, v143, v27 :: v_dual_fmac_f32 v163, v141, v24
	s_delay_alu instid0(VALU_DEP_3) | instskip(NEXT) | instid1(VALU_DEP_3)
	v_dual_add_f32 v2, v2, v6 :: v_dual_add_f32 v3, v3, v161
	v_fma_f32 v5, v140, v24, -v5
	v_dual_mul_f32 v165, v144, v117 :: v_dual_mul_f32 v166, v146, v119
	s_delay_alu instid0(VALU_DEP_3) | instskip(NEXT) | instid1(VALU_DEP_2)
	v_dual_mul_f32 v6, v145, v117 :: v_dual_add_f32 v3, v3, v162
	v_dual_fmac_f32 v164, v143, v26 :: v_dual_fmac_f32 v165, v145, v116
	v_fma_f32 v4, v142, v26, -v4
	s_delay_alu instid0(VALU_DEP_3) | instskip(SKIP_3) | instid1(VALU_DEP_4)
	v_dual_add_f32 v2, v2, v5 :: v_dual_add_f32 v3, v3, v163
	v_mul_f32_e32 v5, v147, v119
	v_fma_f32 v6, v144, v116, -v6
	v_dual_fmac_f32 v166, v147, v118 :: v_dual_fmac_f32 v167, v153, v148
	v_add_f32_e32 v2, v2, v4
	v_dual_add_f32 v3, v3, v164 :: v_dual_mul_f32 v4, v153, v149
	v_fma_f32 v5, v146, v118, -v5
	s_delay_alu instid0(VALU_DEP_2) | instskip(NEXT) | instid1(VALU_DEP_3)
	v_dual_add_f32 v2, v2, v6 :: v_dual_add_f32 v3, v3, v165
	v_fma_f32 v4, v152, v148, -v4
	s_delay_alu instid0(VALU_DEP_2) | instskip(NEXT) | instid1(VALU_DEP_1)
	v_dual_add_f32 v2, v2, v5 :: v_dual_add_f32 v3, v3, v166
	v_dual_add_f32 v2, v2, v4 :: v_dual_add_f32 v3, v3, v167
	s_wait_loadcnt 0x0
	s_delay_alu instid0(VALU_DEP_1)
	v_dual_sub_f32 v2, v150, v2 :: v_dual_sub_f32 v3, v151, v3
	scratch_store_b64 off, v[2:3], off offset:224
	v_cmpx_lt_u32_e32 27, v0
	s_cbranch_execz .LBB107_223
; %bb.222:
	scratch_load_b64 v[3:4], off, off offset:216
	v_mov_b32_e32 v2, v1
	scratch_store_b64 off, v[1:2], off offset:216
	s_wait_loadcnt 0x0
	ds_store_b64 v23, v[3:4]
.LBB107_223:
	s_wait_alu 0xfffe
	s_or_b32 exec_lo, exec_lo, s0
	s_wait_storecnt_dscnt 0x0
	s_barrier_signal -1
	s_barrier_wait -1
	global_inv scope:SCOPE_SE
	s_clause 0x8
	scratch_load_b128 v[2:5], off, off offset:224
	scratch_load_b128 v[6:9], off, off offset:240
	;; [unrolled: 1-line block ×8, first 2 shown]
	scratch_load_b64 v[156:157], off, off offset:216
	ds_load_b128 v[124:127], v1 offset:576
	ds_load_b128 v[128:131], v1 offset:592
	;; [unrolled: 1-line block ×8, first 2 shown]
	s_mov_b32 s0, exec_lo
	s_wait_loadcnt_dscnt 0x807
	v_dual_mul_f32 v1, v124, v3 :: v_dual_mul_f32 v22, v126, v5
	v_mul_f32_e32 v3, v125, v3
	s_wait_loadcnt_dscnt 0x706
	v_dual_mul_f32 v5, v127, v5 :: v_dual_mul_f32 v158, v128, v7
	v_mul_f32_e32 v159, v130, v9
	s_wait_loadcnt_dscnt 0x201
	v_mul_f32_e32 v168, v148, v117
	v_fma_f32 v3, v124, v2, -v3
	s_wait_loadcnt_dscnt 0x100
	v_dual_mul_f32 v171, v154, v123 :: v_dual_fmac_f32 v22, v127, v4
	v_fmac_f32_e32 v1, v125, v2
	v_mul_f32_e32 v2, v129, v7
	v_fma_f32 v4, v126, v4, -v5
	v_dual_add_f32 v3, 0, v3 :: v_dual_fmac_f32 v158, v129, v6
	v_dual_mul_f32 v160, v132, v11 :: v_dual_mul_f32 v161, v134, v13
	v_dual_mul_f32 v162, v136, v15 :: v_dual_mul_f32 v163, v138, v17
	s_delay_alu instid0(VALU_DEP_2) | instskip(SKIP_1) | instid1(VALU_DEP_3)
	v_dual_mul_f32 v5, v131, v9 :: v_dual_fmac_f32 v160, v133, v10
	v_fma_f32 v2, v128, v6, -v2
	v_dual_add_f32 v3, v3, v4 :: v_dual_fmac_f32 v162, v137, v14
	s_delay_alu instid0(VALU_DEP_3) | instskip(SKIP_1) | instid1(VALU_DEP_3)
	v_fma_f32 v5, v130, v8, -v5
	v_dual_mul_f32 v164, v140, v19 :: v_dual_mul_f32 v165, v142, v21
	v_add_f32_e32 v2, v3, v2
	v_dual_mul_f32 v4, v133, v11 :: v_dual_mul_f32 v3, v135, v13
	s_delay_alu instid0(VALU_DEP_3) | instskip(SKIP_1) | instid1(VALU_DEP_4)
	v_fmac_f32_e32 v164, v141, v18
	v_dual_mul_f32 v166, v144, v25 :: v_dual_mul_f32 v167, v146, v27
	v_add_f32_e32 v2, v2, v5
	v_add_f32_e32 v1, 0, v1
	v_fma_f32 v4, v132, v10, -v4
	v_fma_f32 v3, v134, v12, -v3
	v_fmac_f32_e32 v163, v139, v16
	v_dual_mul_f32 v169, v150, v119 :: v_dual_mul_f32 v170, v152, v121
	s_delay_alu instid0(VALU_DEP_4) | instskip(SKIP_2) | instid1(VALU_DEP_4)
	v_dual_add_f32 v1, v1, v22 :: v_dual_add_f32 v2, v2, v4
	v_mul_f32_e32 v4, v139, v17
	v_fmac_f32_e32 v159, v131, v8
	v_dual_fmac_f32 v167, v147, v26 :: v_dual_fmac_f32 v170, v153, v120
	s_delay_alu instid0(VALU_DEP_4) | instskip(NEXT) | instid1(VALU_DEP_4)
	v_add_f32_e32 v1, v1, v158
	v_fma_f32 v4, v138, v16, -v4
	v_mul_f32_e32 v5, v137, v15
	v_dual_add_f32 v2, v2, v3 :: v_dual_fmac_f32 v169, v151, v118
	s_delay_alu instid0(VALU_DEP_4) | instskip(SKIP_1) | instid1(VALU_DEP_4)
	v_add_f32_e32 v1, v1, v159
	v_fmac_f32_e32 v166, v145, v24
	v_fma_f32 v5, v136, v14, -v5
	v_fmac_f32_e32 v161, v135, v12
	v_dual_fmac_f32 v171, v155, v122 :: v_dual_fmac_f32 v168, v149, v116
	s_delay_alu instid0(VALU_DEP_3) | instskip(NEXT) | instid1(VALU_DEP_1)
	v_add_f32_e32 v2, v2, v5
	v_dual_mul_f32 v5, v143, v21 :: v_dual_add_f32 v2, v2, v4
	s_delay_alu instid0(VALU_DEP_1) | instskip(SKIP_2) | instid1(VALU_DEP_2)
	v_fma_f32 v5, v142, v20, -v5
	v_mul_f32_e32 v3, v141, v19
	v_mul_f32_e32 v4, v145, v25
	v_fma_f32 v3, v140, v18, -v3
	v_add_f32_e32 v1, v1, v160
	s_delay_alu instid0(VALU_DEP_3) | instskip(NEXT) | instid1(VALU_DEP_3)
	v_fma_f32 v4, v144, v24, -v4
	v_add_f32_e32 v2, v2, v3
	s_delay_alu instid0(VALU_DEP_1) | instskip(NEXT) | instid1(VALU_DEP_4)
	v_dual_mul_f32 v3, v147, v27 :: v_dual_add_f32 v2, v2, v5
	v_add_f32_e32 v1, v1, v161
	s_delay_alu instid0(VALU_DEP_2) | instskip(NEXT) | instid1(VALU_DEP_2)
	v_fma_f32 v3, v146, v26, -v3
	v_dual_add_f32 v2, v2, v4 :: v_dual_add_f32 v1, v1, v162
	v_mul_f32_e32 v4, v151, v119
	s_delay_alu instid0(VALU_DEP_2) | instskip(SKIP_1) | instid1(VALU_DEP_3)
	v_dual_fmac_f32 v165, v143, v20 :: v_dual_add_f32 v2, v2, v3
	v_mul_f32_e32 v3, v153, v121
	v_fma_f32 v4, v150, v118, -v4
	v_mul_f32_e32 v5, v149, v117
	s_delay_alu instid0(VALU_DEP_3) | instskip(NEXT) | instid1(VALU_DEP_2)
	v_fma_f32 v3, v152, v120, -v3
	v_fma_f32 v5, v148, v116, -v5
	s_delay_alu instid0(VALU_DEP_1) | instskip(NEXT) | instid1(VALU_DEP_1)
	v_dual_add_f32 v1, v1, v163 :: v_dual_add_f32 v2, v2, v5
	v_dual_mul_f32 v5, v155, v123 :: v_dual_add_f32 v2, v2, v4
	s_delay_alu instid0(VALU_DEP_2) | instskip(NEXT) | instid1(VALU_DEP_2)
	v_add_f32_e32 v1, v1, v164
	v_fma_f32 v4, v154, v122, -v5
	s_delay_alu instid0(VALU_DEP_2) | instskip(NEXT) | instid1(VALU_DEP_1)
	v_dual_add_f32 v2, v2, v3 :: v_dual_add_f32 v1, v1, v165
	v_dual_add_f32 v2, v2, v4 :: v_dual_add_f32 v1, v1, v166
	s_delay_alu instid0(VALU_DEP_1) | instskip(NEXT) | instid1(VALU_DEP_1)
	v_add_f32_e32 v1, v1, v167
	v_add_f32_e32 v1, v1, v168
	s_delay_alu instid0(VALU_DEP_1) | instskip(NEXT) | instid1(VALU_DEP_1)
	v_add_f32_e32 v1, v1, v169
	v_add_f32_e32 v1, v1, v170
	s_delay_alu instid0(VALU_DEP_1) | instskip(SKIP_1) | instid1(VALU_DEP_1)
	v_add_f32_e32 v3, v1, v171
	s_wait_loadcnt 0x0
	v_dual_sub_f32 v1, v156, v2 :: v_dual_sub_f32 v2, v157, v3
	scratch_store_b64 off, v[1:2], off offset:216
	v_cmpx_lt_u32_e32 26, v0
	s_cbranch_execz .LBB107_225
; %bb.224:
	scratch_load_b64 v[1:2], off, off offset:208
	v_mov_b32_e32 v3, 0
	s_delay_alu instid0(VALU_DEP_1)
	v_mov_b32_e32 v4, v3
	scratch_store_b64 off, v[3:4], off offset:208
	s_wait_loadcnt 0x0
	ds_store_b64 v23, v[1:2]
.LBB107_225:
	s_wait_alu 0xfffe
	s_or_b32 exec_lo, exec_lo, s0
	s_wait_storecnt_dscnt 0x0
	s_barrier_signal -1
	s_barrier_wait -1
	global_inv scope:SCOPE_SE
	s_clause 0x9
	scratch_load_b128 v[2:5], off, off offset:216
	scratch_load_b128 v[6:9], off, off offset:232
	;; [unrolled: 1-line block ×8, first 2 shown]
	scratch_load_b64 v[156:157], off, off offset:344
	scratch_load_b64 v[158:159], off, off offset:208
	v_mov_b32_e32 v1, 0
	ds_load_2addr_b64 v[124:127], v1 offset0:71 offset1:72
	ds_load_2addr_b64 v[128:131], v1 offset0:73 offset1:74
	;; [unrolled: 1-line block ×8, first 2 shown]
	ds_load_b64 v[160:161], v1 offset:696
	s_mov_b32 s0, exec_lo
	s_wait_loadcnt_dscnt 0x908
	v_mul_f32_e32 v22, v124, v3
	v_dual_mul_f32 v3, v125, v3 :: v_dual_mul_f32 v162, v126, v5
	s_wait_loadcnt_dscnt 0x504
	v_dual_mul_f32 v163, v128, v7 :: v_dual_mul_f32 v170, v142, v21
	v_mul_f32_e32 v5, v127, v5
	s_delay_alu instid0(VALU_DEP_3)
	v_fma_f32 v3, v124, v2, -v3
	v_dual_mul_f32 v164, v130, v9 :: v_dual_mul_f32 v165, v132, v11
	s_wait_loadcnt_dscnt 0x100
	v_dual_mul_f32 v177, v160, v157 :: v_dual_fmac_f32 v22, v125, v2
	v_mul_f32_e32 v2, v129, v7
	v_dual_fmac_f32 v162, v127, v4 :: v_dual_add_f32 v3, 0, v3
	v_fma_f32 v4, v126, v4, -v5
	s_delay_alu instid0(VALU_DEP_4) | instskip(SKIP_2) | instid1(VALU_DEP_4)
	v_dual_add_f32 v5, 0, v22 :: v_dual_fmac_f32 v164, v131, v8
	v_mul_f32_e32 v7, v131, v9
	v_fma_f32 v2, v128, v6, -v2
	v_add_f32_e32 v3, v3, v4
	v_fmac_f32_e32 v163, v129, v6
	v_add_f32_e32 v4, v5, v162
	v_mul_f32_e32 v5, v133, v11
	v_fma_f32 v6, v130, v8, -v7
	v_add_f32_e32 v2, v3, v2
	v_dual_mul_f32 v166, v134, v13 :: v_dual_mul_f32 v167, v136, v15
	v_dual_add_f32 v3, v4, v163 :: v_dual_mul_f32 v4, v135, v13
	v_fma_f32 v5, v132, v10, -v5
	s_delay_alu instid0(VALU_DEP_4)
	v_add_f32_e32 v2, v2, v6
	v_fmac_f32_e32 v165, v133, v10
	v_mul_f32_e32 v6, v137, v15
	v_fmac_f32_e32 v166, v135, v12
	v_add_f32_e32 v3, v3, v164
	v_fma_f32 v4, v134, v12, -v4
	v_add_f32_e32 v2, v2, v5
	v_dual_mul_f32 v168, v138, v17 :: v_dual_mul_f32 v169, v140, v19
	s_delay_alu instid0(VALU_DEP_4)
	v_add_f32_e32 v3, v3, v165
	v_mul_f32_e32 v5, v139, v17
	v_fma_f32 v6, v136, v14, -v6
	v_dual_add_f32 v2, v2, v4 :: v_dual_fmac_f32 v167, v137, v14
	v_fmac_f32_e32 v168, v139, v16
	v_mul_f32_e32 v4, v141, v19
	v_fma_f32 v5, v138, v16, -v5
	s_delay_alu instid0(VALU_DEP_4) | instskip(SKIP_3) | instid1(VALU_DEP_3)
	v_add_f32_e32 v2, v2, v6
	v_add_f32_e32 v3, v3, v166
	v_dual_mul_f32 v6, v143, v21 :: v_dual_fmac_f32 v169, v141, v18
	v_fma_f32 v4, v140, v18, -v4
	v_dual_add_f32 v2, v2, v5 :: v_dual_add_f32 v3, v3, v167
	s_delay_alu instid0(VALU_DEP_3) | instskip(SKIP_1) | instid1(VALU_DEP_3)
	v_fma_f32 v6, v142, v20, -v6
	v_dual_mul_f32 v171, v144, v25 :: v_dual_mul_f32 v172, v146, v27
	v_add_f32_e32 v2, v2, v4
	s_delay_alu instid0(VALU_DEP_4) | instskip(SKIP_1) | instid1(VALU_DEP_4)
	v_add_f32_e32 v3, v3, v168
	v_dual_mul_f32 v5, v145, v25 :: v_dual_fmac_f32 v170, v143, v20
	v_dual_mul_f32 v4, v147, v27 :: v_dual_fmac_f32 v171, v145, v24
	s_delay_alu instid0(VALU_DEP_3) | instskip(NEXT) | instid1(VALU_DEP_3)
	v_dual_add_f32 v2, v2, v6 :: v_dual_add_f32 v3, v3, v169
	v_fma_f32 v5, v144, v24, -v5
	v_dual_mul_f32 v173, v148, v117 :: v_dual_mul_f32 v174, v150, v119
	s_delay_alu instid0(VALU_DEP_3) | instskip(NEXT) | instid1(VALU_DEP_2)
	v_dual_mul_f32 v6, v149, v117 :: v_dual_add_f32 v3, v3, v170
	v_dual_fmac_f32 v172, v147, v26 :: v_dual_fmac_f32 v173, v149, v116
	v_fma_f32 v4, v146, v26, -v4
	s_delay_alu instid0(VALU_DEP_3) | instskip(SKIP_3) | instid1(VALU_DEP_4)
	v_dual_add_f32 v2, v2, v5 :: v_dual_add_f32 v3, v3, v171
	v_mul_f32_e32 v5, v151, v119
	v_fma_f32 v6, v148, v116, -v6
	v_dual_mul_f32 v175, v152, v121 :: v_dual_mul_f32 v176, v154, v123
	v_add_f32_e32 v2, v2, v4
	v_dual_add_f32 v3, v3, v172 :: v_dual_mul_f32 v4, v153, v121
	s_delay_alu instid0(VALU_DEP_3) | instskip(SKIP_1) | instid1(VALU_DEP_3)
	v_dual_fmac_f32 v174, v151, v118 :: v_dual_fmac_f32 v175, v153, v120
	v_fma_f32 v5, v150, v118, -v5
	v_dual_add_f32 v2, v2, v6 :: v_dual_add_f32 v3, v3, v173
	v_mul_f32_e32 v6, v155, v123
	v_fma_f32 v4, v152, v120, -v4
	v_dual_fmac_f32 v176, v155, v122 :: v_dual_fmac_f32 v177, v161, v156
	s_delay_alu instid0(VALU_DEP_4) | instskip(SKIP_2) | instid1(VALU_DEP_3)
	v_dual_add_f32 v2, v2, v5 :: v_dual_add_f32 v3, v3, v174
	v_mul_f32_e32 v5, v161, v157
	v_fma_f32 v6, v154, v122, -v6
	v_dual_add_f32 v2, v2, v4 :: v_dual_add_f32 v3, v3, v175
	s_delay_alu instid0(VALU_DEP_3) | instskip(NEXT) | instid1(VALU_DEP_2)
	v_fma_f32 v4, v160, v156, -v5
	v_dual_add_f32 v2, v2, v6 :: v_dual_add_f32 v3, v3, v176
	s_delay_alu instid0(VALU_DEP_1) | instskip(SKIP_1) | instid1(VALU_DEP_1)
	v_dual_add_f32 v2, v2, v4 :: v_dual_add_f32 v3, v3, v177
	s_wait_loadcnt 0x0
	v_dual_sub_f32 v2, v158, v2 :: v_dual_sub_f32 v3, v159, v3
	scratch_store_b64 off, v[2:3], off offset:208
	v_cmpx_lt_u32_e32 25, v0
	s_cbranch_execz .LBB107_227
; %bb.226:
	scratch_load_b64 v[3:4], off, off offset:200
	v_mov_b32_e32 v2, v1
	scratch_store_b64 off, v[1:2], off offset:200
	s_wait_loadcnt 0x0
	ds_store_b64 v23, v[3:4]
.LBB107_227:
	s_wait_alu 0xfffe
	s_or_b32 exec_lo, exec_lo, s0
	s_wait_storecnt_dscnt 0x0
	s_barrier_signal -1
	s_barrier_wait -1
	global_inv scope:SCOPE_SE
	s_clause 0x9
	scratch_load_b128 v[2:5], off, off offset:208
	scratch_load_b128 v[6:9], off, off offset:224
	;; [unrolled: 1-line block ×9, first 2 shown]
	scratch_load_b64 v[164:165], off, off offset:200
	ds_load_b128 v[128:131], v1 offset:560
	ds_load_b128 v[132:135], v1 offset:576
	ds_load_b128 v[136:139], v1 offset:592
	ds_load_b128 v[140:143], v1 offset:608
	ds_load_b128 v[144:147], v1 offset:624
	ds_load_b128 v[148:151], v1 offset:640
	ds_load_b128 v[152:155], v1 offset:656
	ds_load_b128 v[156:159], v1 offset:672
	ds_load_b128 v[160:163], v1 offset:688
	s_mov_b32 s0, exec_lo
	s_wait_loadcnt_dscnt 0x908
	v_dual_mul_f32 v1, v128, v3 :: v_dual_mul_f32 v22, v130, v5
	v_mul_f32_e32 v5, v131, v5
	v_mul_f32_e32 v3, v129, v3
	s_wait_loadcnt_dscnt 0x807
	v_dual_mul_f32 v166, v132, v7 :: v_dual_mul_f32 v167, v134, v9
	s_wait_loadcnt_dscnt 0x201
	v_dual_fmac_f32 v1, v129, v2 :: v_dual_mul_f32 v178, v156, v121
	v_fma_f32 v3, v128, v2, -v3
	s_wait_loadcnt_dscnt 0x100
	v_dual_mul_f32 v181, v162, v127 :: v_dual_fmac_f32 v22, v131, v4
	v_mul_f32_e32 v2, v133, v7
	v_fma_f32 v4, v130, v4, -v5
	v_dual_add_f32 v3, 0, v3 :: v_dual_fmac_f32 v166, v133, v6
	v_dual_mul_f32 v168, v136, v11 :: v_dual_mul_f32 v169, v138, v13
	v_dual_mul_f32 v170, v140, v15 :: v_dual_mul_f32 v171, v142, v17
	s_delay_alu instid0(VALU_DEP_2) | instskip(SKIP_1) | instid1(VALU_DEP_3)
	v_dual_mul_f32 v5, v135, v9 :: v_dual_fmac_f32 v168, v137, v10
	v_fma_f32 v2, v132, v6, -v2
	v_dual_add_f32 v3, v3, v4 :: v_dual_fmac_f32 v170, v141, v14
	s_delay_alu instid0(VALU_DEP_3) | instskip(SKIP_1) | instid1(VALU_DEP_3)
	v_fma_f32 v5, v134, v8, -v5
	v_dual_mul_f32 v172, v144, v19 :: v_dual_mul_f32 v173, v146, v21
	v_add_f32_e32 v2, v3, v2
	v_dual_mul_f32 v4, v137, v11 :: v_dual_mul_f32 v3, v139, v13
	s_delay_alu instid0(VALU_DEP_3) | instskip(SKIP_1) | instid1(VALU_DEP_4)
	v_fmac_f32_e32 v172, v145, v18
	v_dual_mul_f32 v174, v148, v25 :: v_dual_mul_f32 v175, v150, v27
	v_add_f32_e32 v2, v2, v5
	v_add_f32_e32 v1, 0, v1
	v_fma_f32 v4, v136, v10, -v4
	v_fma_f32 v3, v138, v12, -v3
	v_dual_fmac_f32 v171, v143, v16 :: v_dual_mul_f32 v176, v152, v117
	v_mul_f32_e32 v177, v154, v119
	s_delay_alu instid0(VALU_DEP_4) | instskip(SKIP_3) | instid1(VALU_DEP_4)
	v_dual_add_f32 v1, v1, v22 :: v_dual_add_f32 v2, v2, v4
	v_mul_f32_e32 v4, v143, v17
	v_fmac_f32_e32 v167, v135, v8
	v_dual_mul_f32 v179, v158, v123 :: v_dual_mul_f32 v180, v160, v125
	v_add_f32_e32 v1, v1, v166
	s_delay_alu instid0(VALU_DEP_4) | instskip(SKIP_2) | instid1(VALU_DEP_4)
	v_fma_f32 v4, v142, v16, -v4
	v_mul_f32_e32 v5, v141, v15
	v_dual_add_f32 v2, v2, v3 :: v_dual_fmac_f32 v177, v155, v118
	v_add_f32_e32 v1, v1, v167
	v_dual_fmac_f32 v175, v151, v26 :: v_dual_fmac_f32 v178, v157, v120
	s_delay_alu instid0(VALU_DEP_4) | instskip(SKIP_3) | instid1(VALU_DEP_4)
	v_fma_f32 v5, v140, v14, -v5
	v_fmac_f32_e32 v169, v139, v12
	v_dual_fmac_f32 v174, v149, v24 :: v_dual_fmac_f32 v181, v163, v126
	v_fmac_f32_e32 v176, v153, v116
	v_add_f32_e32 v2, v2, v5
	v_dual_mul_f32 v5, v147, v21 :: v_dual_fmac_f32 v180, v161, v124
	s_delay_alu instid0(VALU_DEP_2) | instskip(NEXT) | instid1(VALU_DEP_2)
	v_add_f32_e32 v2, v2, v4
	v_fma_f32 v5, v146, v20, -v5
	v_mul_f32_e32 v3, v145, v19
	v_mul_f32_e32 v4, v149, v25
	s_delay_alu instid0(VALU_DEP_2) | instskip(SKIP_1) | instid1(VALU_DEP_3)
	v_fma_f32 v3, v144, v18, -v3
	v_add_f32_e32 v1, v1, v168
	v_fma_f32 v4, v148, v24, -v4
	s_delay_alu instid0(VALU_DEP_3) | instskip(NEXT) | instid1(VALU_DEP_1)
	v_add_f32_e32 v2, v2, v3
	v_dual_mul_f32 v3, v151, v27 :: v_dual_add_f32 v2, v2, v5
	s_delay_alu instid0(VALU_DEP_4) | instskip(NEXT) | instid1(VALU_DEP_2)
	v_add_f32_e32 v1, v1, v169
	v_fma_f32 v3, v150, v26, -v3
	s_delay_alu instid0(VALU_DEP_2) | instskip(SKIP_1) | instid1(VALU_DEP_2)
	v_dual_add_f32 v2, v2, v4 :: v_dual_add_f32 v1, v1, v170
	v_mul_f32_e32 v4, v155, v119
	v_dual_fmac_f32 v173, v147, v20 :: v_dual_add_f32 v2, v2, v3
	v_mul_f32_e32 v3, v157, v121
	s_delay_alu instid0(VALU_DEP_3) | instskip(SKIP_1) | instid1(VALU_DEP_3)
	v_fma_f32 v4, v154, v118, -v4
	v_mul_f32_e32 v5, v153, v117
	v_fma_f32 v3, v156, v120, -v3
	s_delay_alu instid0(VALU_DEP_2) | instskip(NEXT) | instid1(VALU_DEP_1)
	v_fma_f32 v5, v152, v116, -v5
	v_dual_add_f32 v1, v1, v171 :: v_dual_add_f32 v2, v2, v5
	s_delay_alu instid0(VALU_DEP_1) | instskip(NEXT) | instid1(VALU_DEP_2)
	v_dual_mul_f32 v5, v159, v123 :: v_dual_add_f32 v2, v2, v4
	v_add_f32_e32 v1, v1, v172
	v_mul_f32_e32 v4, v161, v125
	s_delay_alu instid0(VALU_DEP_3) | instskip(NEXT) | instid1(VALU_DEP_4)
	v_fma_f32 v5, v158, v122, -v5
	v_dual_add_f32 v2, v2, v3 :: v_dual_fmac_f32 v179, v159, v122
	v_mul_f32_e32 v3, v163, v127
	s_delay_alu instid0(VALU_DEP_4) | instskip(NEXT) | instid1(VALU_DEP_3)
	v_fma_f32 v4, v160, v124, -v4
	v_add_f32_e32 v2, v2, v5
	v_add_f32_e32 v1, v1, v173
	s_delay_alu instid0(VALU_DEP_4) | instskip(NEXT) | instid1(VALU_DEP_2)
	v_fma_f32 v3, v162, v126, -v3
	v_dual_add_f32 v2, v2, v4 :: v_dual_add_f32 v1, v1, v174
	s_delay_alu instid0(VALU_DEP_1) | instskip(NEXT) | instid1(VALU_DEP_2)
	v_add_f32_e32 v2, v2, v3
	v_add_f32_e32 v1, v1, v175
	s_delay_alu instid0(VALU_DEP_1) | instskip(NEXT) | instid1(VALU_DEP_1)
	v_add_f32_e32 v1, v1, v176
	v_add_f32_e32 v1, v1, v177
	s_delay_alu instid0(VALU_DEP_1) | instskip(NEXT) | instid1(VALU_DEP_1)
	;; [unrolled: 3-line block ×3, first 2 shown]
	v_add_f32_e32 v1, v1, v180
	v_add_f32_e32 v3, v1, v181
	s_wait_loadcnt 0x0
	s_delay_alu instid0(VALU_DEP_1)
	v_dual_sub_f32 v1, v164, v2 :: v_dual_sub_f32 v2, v165, v3
	scratch_store_b64 off, v[1:2], off offset:200
	v_cmpx_lt_u32_e32 24, v0
	s_cbranch_execz .LBB107_229
; %bb.228:
	scratch_load_b64 v[1:2], off, off offset:192
	v_mov_b32_e32 v3, 0
	s_delay_alu instid0(VALU_DEP_1)
	v_mov_b32_e32 v4, v3
	scratch_store_b64 off, v[3:4], off offset:192
	s_wait_loadcnt 0x0
	ds_store_b64 v23, v[1:2]
.LBB107_229:
	s_wait_alu 0xfffe
	s_or_b32 exec_lo, exec_lo, s0
	s_wait_storecnt_dscnt 0x0
	s_barrier_signal -1
	s_barrier_wait -1
	global_inv scope:SCOPE_SE
	s_clause 0xa
	scratch_load_b128 v[2:5], off, off offset:200
	scratch_load_b128 v[6:9], off, off offset:216
	;; [unrolled: 1-line block ×9, first 2 shown]
	scratch_load_b64 v[164:165], off, off offset:344
	scratch_load_b64 v[166:167], off, off offset:192
	v_mov_b32_e32 v1, 0
	ds_load_2addr_b64 v[128:131], v1 offset0:69 offset1:70
	ds_load_2addr_b64 v[132:135], v1 offset0:71 offset1:72
	;; [unrolled: 1-line block ×9, first 2 shown]
	ds_load_b64 v[168:169], v1 offset:696
	s_mov_b32 s0, exec_lo
	s_wait_loadcnt_dscnt 0xa09
	v_mul_f32_e32 v22, v128, v3
	v_dual_mul_f32 v3, v129, v3 :: v_dual_mul_f32 v170, v130, v5
	s_wait_loadcnt_dscnt 0x605
	v_dual_mul_f32 v171, v132, v7 :: v_dual_mul_f32 v178, v146, v21
	v_mul_f32_e32 v5, v131, v5
	s_delay_alu instid0(VALU_DEP_3)
	v_fma_f32 v3, v128, v2, -v3
	v_dual_mul_f32 v172, v134, v9 :: v_dual_mul_f32 v173, v136, v11
	s_wait_loadcnt_dscnt 0x100
	v_dual_mul_f32 v187, v168, v165 :: v_dual_fmac_f32 v22, v129, v2
	v_mul_f32_e32 v2, v133, v7
	v_dual_fmac_f32 v170, v131, v4 :: v_dual_add_f32 v3, 0, v3
	v_fma_f32 v4, v130, v4, -v5
	s_delay_alu instid0(VALU_DEP_4) | instskip(SKIP_2) | instid1(VALU_DEP_4)
	v_dual_add_f32 v5, 0, v22 :: v_dual_fmac_f32 v172, v135, v8
	v_mul_f32_e32 v7, v135, v9
	v_fma_f32 v2, v132, v6, -v2
	v_add_f32_e32 v3, v3, v4
	v_fmac_f32_e32 v171, v133, v6
	v_add_f32_e32 v4, v5, v170
	v_mul_f32_e32 v5, v137, v11
	v_fma_f32 v6, v134, v8, -v7
	v_add_f32_e32 v2, v3, v2
	v_dual_mul_f32 v174, v138, v13 :: v_dual_mul_f32 v175, v140, v15
	v_dual_add_f32 v3, v4, v171 :: v_dual_mul_f32 v4, v139, v13
	v_fma_f32 v5, v136, v10, -v5
	s_delay_alu instid0(VALU_DEP_4)
	v_add_f32_e32 v2, v2, v6
	v_fmac_f32_e32 v173, v137, v10
	v_mul_f32_e32 v6, v141, v15
	v_fmac_f32_e32 v174, v139, v12
	v_add_f32_e32 v3, v3, v172
	v_fma_f32 v4, v138, v12, -v4
	v_add_f32_e32 v2, v2, v5
	v_dual_mul_f32 v176, v142, v17 :: v_dual_mul_f32 v177, v144, v19
	s_delay_alu instid0(VALU_DEP_4)
	v_add_f32_e32 v3, v3, v173
	v_mul_f32_e32 v5, v143, v17
	v_fma_f32 v6, v140, v14, -v6
	v_dual_add_f32 v2, v2, v4 :: v_dual_fmac_f32 v175, v141, v14
	v_fmac_f32_e32 v176, v143, v16
	v_mul_f32_e32 v4, v145, v19
	v_fma_f32 v5, v142, v16, -v5
	s_delay_alu instid0(VALU_DEP_4) | instskip(SKIP_3) | instid1(VALU_DEP_3)
	v_add_f32_e32 v2, v2, v6
	v_add_f32_e32 v3, v3, v174
	v_dual_mul_f32 v6, v147, v21 :: v_dual_fmac_f32 v177, v145, v18
	v_fma_f32 v4, v144, v18, -v4
	v_dual_add_f32 v2, v2, v5 :: v_dual_add_f32 v3, v3, v175
	s_delay_alu instid0(VALU_DEP_3) | instskip(SKIP_1) | instid1(VALU_DEP_3)
	v_fma_f32 v6, v146, v20, -v6
	v_dual_mul_f32 v179, v148, v25 :: v_dual_mul_f32 v180, v150, v27
	v_add_f32_e32 v2, v2, v4
	s_delay_alu instid0(VALU_DEP_4) | instskip(SKIP_1) | instid1(VALU_DEP_4)
	v_add_f32_e32 v3, v3, v176
	v_dual_mul_f32 v5, v149, v25 :: v_dual_fmac_f32 v178, v147, v20
	v_dual_mul_f32 v4, v151, v27 :: v_dual_fmac_f32 v179, v149, v24
	s_delay_alu instid0(VALU_DEP_3) | instskip(NEXT) | instid1(VALU_DEP_3)
	v_dual_add_f32 v2, v2, v6 :: v_dual_add_f32 v3, v3, v177
	v_fma_f32 v5, v148, v24, -v5
	v_dual_mul_f32 v181, v152, v117 :: v_dual_mul_f32 v182, v154, v119
	s_delay_alu instid0(VALU_DEP_3) | instskip(NEXT) | instid1(VALU_DEP_2)
	v_dual_mul_f32 v6, v153, v117 :: v_dual_add_f32 v3, v3, v178
	v_dual_fmac_f32 v180, v151, v26 :: v_dual_fmac_f32 v181, v153, v116
	v_fma_f32 v4, v150, v26, -v4
	s_delay_alu instid0(VALU_DEP_3) | instskip(SKIP_3) | instid1(VALU_DEP_4)
	v_dual_add_f32 v2, v2, v5 :: v_dual_add_f32 v3, v3, v179
	v_mul_f32_e32 v5, v155, v119
	v_fma_f32 v6, v152, v116, -v6
	v_dual_mul_f32 v183, v156, v121 :: v_dual_mul_f32 v184, v158, v123
	v_add_f32_e32 v2, v2, v4
	v_dual_add_f32 v3, v3, v180 :: v_dual_mul_f32 v4, v157, v121
	s_delay_alu instid0(VALU_DEP_3) | instskip(SKIP_1) | instid1(VALU_DEP_3)
	v_dual_fmac_f32 v182, v155, v118 :: v_dual_fmac_f32 v183, v157, v120
	v_fma_f32 v5, v154, v118, -v5
	v_dual_add_f32 v2, v2, v6 :: v_dual_add_f32 v3, v3, v181
	v_mul_f32_e32 v6, v159, v123
	v_fma_f32 v4, v156, v120, -v4
	v_dual_mul_f32 v185, v160, v125 :: v_dual_mul_f32 v186, v162, v127
	s_delay_alu instid0(VALU_DEP_4) | instskip(SKIP_1) | instid1(VALU_DEP_3)
	v_dual_add_f32 v2, v2, v5 :: v_dual_add_f32 v3, v3, v182
	v_dual_mul_f32 v5, v161, v125 :: v_dual_fmac_f32 v184, v159, v122
	v_fmac_f32_e32 v185, v161, v124
	v_fma_f32 v6, v158, v122, -v6
	s_delay_alu instid0(VALU_DEP_4) | instskip(SKIP_2) | instid1(VALU_DEP_3)
	v_dual_add_f32 v2, v2, v4 :: v_dual_add_f32 v3, v3, v183
	v_dual_mul_f32 v4, v163, v127 :: v_dual_fmac_f32 v187, v169, v164
	v_fma_f32 v5, v160, v124, -v5
	v_dual_add_f32 v2, v2, v6 :: v_dual_add_f32 v3, v3, v184
	v_fmac_f32_e32 v186, v163, v126
	s_delay_alu instid0(VALU_DEP_4) | instskip(NEXT) | instid1(VALU_DEP_3)
	v_fma_f32 v4, v162, v126, -v4
	v_add_f32_e32 v3, v3, v185
	s_delay_alu instid0(VALU_DEP_1) | instskip(SKIP_1) | instid1(VALU_DEP_2)
	v_dual_mul_f32 v6, v169, v165 :: v_dual_add_f32 v3, v3, v186
	v_add_f32_e32 v2, v2, v5
	v_fma_f32 v5, v168, v164, -v6
	s_delay_alu instid0(VALU_DEP_2) | instskip(SKIP_1) | instid1(VALU_DEP_1)
	v_dual_add_f32 v3, v3, v187 :: v_dual_add_f32 v2, v2, v4
	s_wait_loadcnt 0x0
	v_dual_sub_f32 v3, v167, v3 :: v_dual_add_f32 v2, v2, v5
	s_delay_alu instid0(VALU_DEP_1)
	v_sub_f32_e32 v2, v166, v2
	scratch_store_b64 off, v[2:3], off offset:192
	v_cmpx_lt_u32_e32 23, v0
	s_cbranch_execz .LBB107_231
; %bb.230:
	scratch_load_b64 v[3:4], off, off offset:184
	v_mov_b32_e32 v2, v1
	scratch_store_b64 off, v[1:2], off offset:184
	s_wait_loadcnt 0x0
	ds_store_b64 v23, v[3:4]
.LBB107_231:
	s_wait_alu 0xfffe
	s_or_b32 exec_lo, exec_lo, s0
	s_wait_storecnt_dscnt 0x0
	s_barrier_signal -1
	s_barrier_wait -1
	global_inv scope:SCOPE_SE
	s_clause 0xa
	scratch_load_b128 v[2:5], off, off offset:192
	scratch_load_b128 v[6:9], off, off offset:208
	scratch_load_b128 v[10:13], off, off offset:224
	scratch_load_b128 v[14:17], off, off offset:240
	scratch_load_b128 v[18:21], off, off offset:256
	scratch_load_b128 v[24:27], off, off offset:272
	scratch_load_b128 v[116:119], off, off offset:288
	scratch_load_b128 v[120:123], off, off offset:304
	scratch_load_b128 v[124:127], off, off offset:320
	scratch_load_b128 v[128:131], off, off offset:336
	scratch_load_b64 v[172:173], off, off offset:184
	ds_load_b128 v[132:135], v1 offset:544
	ds_load_b128 v[136:139], v1 offset:560
	;; [unrolled: 1-line block ×10, first 2 shown]
	s_mov_b32 s0, exec_lo
	s_wait_loadcnt_dscnt 0xa09
	v_dual_mul_f32 v1, v132, v3 :: v_dual_mul_f32 v22, v134, v5
	s_wait_loadcnt_dscnt 0x908
	v_dual_mul_f32 v5, v135, v5 :: v_dual_mul_f32 v174, v136, v7
	v_mul_f32_e32 v175, v138, v9
	v_mul_f32_e32 v3, v133, v3
	v_dual_fmac_f32 v1, v133, v2 :: v_dual_fmac_f32 v22, v135, v4
	s_wait_loadcnt_dscnt 0x100
	v_dual_mul_f32 v188, v164, v125 :: v_dual_mul_f32 v191, v170, v131
	s_delay_alu instid0(VALU_DEP_3) | instskip(SKIP_3) | instid1(VALU_DEP_4)
	v_fma_f32 v3, v132, v2, -v3
	v_mul_f32_e32 v2, v137, v7
	v_fma_f32 v4, v134, v4, -v5
	v_dual_mul_f32 v176, v140, v11 :: v_dual_mul_f32 v177, v142, v13
	v_dual_add_f32 v3, 0, v3 :: v_dual_fmac_f32 v174, v137, v6
	v_dual_mul_f32 v178, v144, v15 :: v_dual_mul_f32 v179, v146, v17
	s_delay_alu instid0(VALU_DEP_3) | instskip(SKIP_1) | instid1(VALU_DEP_3)
	v_dual_mul_f32 v5, v139, v9 :: v_dual_fmac_f32 v176, v141, v10
	v_fma_f32 v2, v136, v6, -v2
	v_dual_add_f32 v3, v3, v4 :: v_dual_fmac_f32 v178, v145, v14
	s_delay_alu instid0(VALU_DEP_3) | instskip(SKIP_1) | instid1(VALU_DEP_3)
	v_fma_f32 v5, v138, v8, -v5
	v_dual_mul_f32 v180, v148, v19 :: v_dual_mul_f32 v181, v150, v21
	v_add_f32_e32 v2, v3, v2
	v_dual_mul_f32 v3, v143, v13 :: v_dual_mul_f32 v4, v141, v11
	s_delay_alu instid0(VALU_DEP_3) | instskip(SKIP_1) | instid1(VALU_DEP_4)
	v_fmac_f32_e32 v180, v149, v18
	v_dual_mul_f32 v182, v152, v25 :: v_dual_mul_f32 v183, v154, v27
	v_add_f32_e32 v2, v2, v5
	v_add_f32_e32 v1, 0, v1
	v_fma_f32 v4, v140, v10, -v4
	v_fma_f32 v3, v142, v12, -v3
	v_dual_fmac_f32 v179, v147, v16 :: v_dual_mul_f32 v184, v156, v117
	v_mul_f32_e32 v185, v158, v119
	s_delay_alu instid0(VALU_DEP_4) | instskip(SKIP_3) | instid1(VALU_DEP_4)
	v_dual_add_f32 v1, v1, v22 :: v_dual_add_f32 v2, v2, v4
	v_mul_f32_e32 v4, v147, v17
	v_dual_fmac_f32 v175, v139, v8 :: v_dual_mul_f32 v186, v160, v121
	v_mul_f32_e32 v187, v162, v123
	v_add_f32_e32 v1, v1, v174
	s_delay_alu instid0(VALU_DEP_4) | instskip(SKIP_2) | instid1(VALU_DEP_4)
	v_fma_f32 v4, v146, v16, -v4
	v_mul_f32_e32 v5, v145, v15
	v_dual_add_f32 v2, v2, v3 :: v_dual_fmac_f32 v185, v159, v118
	v_add_f32_e32 v1, v1, v175
	v_dual_mul_f32 v189, v166, v127 :: v_dual_mul_f32 v190, v168, v129
	s_delay_alu instid0(VALU_DEP_4) | instskip(SKIP_3) | instid1(VALU_DEP_4)
	v_fma_f32 v5, v144, v14, -v5
	v_fmac_f32_e32 v177, v143, v12
	v_dual_fmac_f32 v182, v153, v24 :: v_dual_fmac_f32 v183, v155, v26
	v_fmac_f32_e32 v186, v161, v120
	v_add_f32_e32 v2, v2, v5
	v_mul_f32_e32 v5, v151, v21
	v_fmac_f32_e32 v189, v167, v126
	v_dual_fmac_f32 v191, v171, v130 :: v_dual_fmac_f32 v184, v157, v116
	s_delay_alu instid0(VALU_DEP_4) | instskip(NEXT) | instid1(VALU_DEP_4)
	v_add_f32_e32 v2, v2, v4
	v_fma_f32 v5, v150, v20, -v5
	v_mul_f32_e32 v3, v149, v19
	v_mul_f32_e32 v4, v153, v25
	v_fmac_f32_e32 v188, v165, v124
	v_fmac_f32_e32 v190, v169, v128
	s_delay_alu instid0(VALU_DEP_4) | instskip(SKIP_2) | instid1(VALU_DEP_3)
	v_fma_f32 v3, v148, v18, -v3
	v_add_f32_e32 v1, v1, v176
	v_fma_f32 v4, v152, v24, -v4
	v_add_f32_e32 v2, v2, v3
	s_delay_alu instid0(VALU_DEP_1) | instskip(NEXT) | instid1(VALU_DEP_4)
	v_dual_mul_f32 v3, v155, v27 :: v_dual_add_f32 v2, v2, v5
	v_add_f32_e32 v1, v1, v177
	s_delay_alu instid0(VALU_DEP_2) | instskip(NEXT) | instid1(VALU_DEP_2)
	v_fma_f32 v3, v154, v26, -v3
	v_dual_add_f32 v2, v2, v4 :: v_dual_add_f32 v1, v1, v178
	v_mul_f32_e32 v4, v159, v119
	s_delay_alu instid0(VALU_DEP_2) | instskip(SKIP_1) | instid1(VALU_DEP_3)
	v_dual_fmac_f32 v181, v151, v20 :: v_dual_add_f32 v2, v2, v3
	v_mul_f32_e32 v3, v161, v121
	v_fma_f32 v4, v158, v118, -v4
	v_mul_f32_e32 v5, v157, v117
	s_delay_alu instid0(VALU_DEP_3) | instskip(NEXT) | instid1(VALU_DEP_2)
	v_fma_f32 v3, v160, v120, -v3
	v_fma_f32 v5, v156, v116, -v5
	s_delay_alu instid0(VALU_DEP_1) | instskip(NEXT) | instid1(VALU_DEP_1)
	v_dual_add_f32 v1, v1, v179 :: v_dual_add_f32 v2, v2, v5
	v_dual_mul_f32 v5, v163, v123 :: v_dual_add_f32 v2, v2, v4
	s_delay_alu instid0(VALU_DEP_2) | instskip(SKIP_1) | instid1(VALU_DEP_3)
	v_add_f32_e32 v1, v1, v180
	v_mul_f32_e32 v4, v165, v125
	v_fma_f32 v5, v162, v122, -v5
	s_delay_alu instid0(VALU_DEP_4) | instskip(SKIP_1) | instid1(VALU_DEP_4)
	v_dual_add_f32 v2, v2, v3 :: v_dual_fmac_f32 v187, v163, v122
	v_mul_f32_e32 v3, v167, v127
	v_fma_f32 v4, v164, v124, -v4
	s_delay_alu instid0(VALU_DEP_3) | instskip(SKIP_1) | instid1(VALU_DEP_4)
	v_add_f32_e32 v2, v2, v5
	v_add_f32_e32 v1, v1, v181
	v_fma_f32 v3, v166, v126, -v3
	s_delay_alu instid0(VALU_DEP_2) | instskip(SKIP_1) | instid1(VALU_DEP_2)
	v_dual_add_f32 v2, v2, v4 :: v_dual_add_f32 v1, v1, v182
	v_dual_mul_f32 v4, v171, v131 :: v_dual_mul_f32 v5, v169, v129
	v_add_f32_e32 v2, v2, v3
	s_delay_alu instid0(VALU_DEP_2) | instskip(NEXT) | instid1(VALU_DEP_3)
	v_fma_f32 v3, v170, v130, -v4
	v_fma_f32 v5, v168, v128, -v5
	s_delay_alu instid0(VALU_DEP_1) | instskip(NEXT) | instid1(VALU_DEP_1)
	v_dual_add_f32 v1, v1, v183 :: v_dual_add_f32 v2, v2, v5
	v_dual_add_f32 v1, v1, v184 :: v_dual_add_f32 v2, v2, v3
	s_delay_alu instid0(VALU_DEP_1) | instskip(NEXT) | instid1(VALU_DEP_1)
	v_add_f32_e32 v1, v1, v185
	v_add_f32_e32 v1, v1, v186
	s_delay_alu instid0(VALU_DEP_1) | instskip(NEXT) | instid1(VALU_DEP_1)
	v_add_f32_e32 v1, v1, v187
	v_add_f32_e32 v1, v1, v188
	;; [unrolled: 3-line block ×3, first 2 shown]
	s_delay_alu instid0(VALU_DEP_1) | instskip(SKIP_1) | instid1(VALU_DEP_1)
	v_add_f32_e32 v3, v1, v191
	s_wait_loadcnt 0x0
	v_dual_sub_f32 v1, v172, v2 :: v_dual_sub_f32 v2, v173, v3
	scratch_store_b64 off, v[1:2], off offset:184
	v_cmpx_lt_u32_e32 22, v0
	s_cbranch_execz .LBB107_233
; %bb.232:
	scratch_load_b64 v[1:2], off, off offset:176
	v_mov_b32_e32 v3, 0
	s_delay_alu instid0(VALU_DEP_1)
	v_mov_b32_e32 v4, v3
	scratch_store_b64 off, v[3:4], off offset:176
	s_wait_loadcnt 0x0
	ds_store_b64 v23, v[1:2]
.LBB107_233:
	s_wait_alu 0xfffe
	s_or_b32 exec_lo, exec_lo, s0
	s_wait_storecnt_dscnt 0x0
	s_barrier_signal -1
	s_barrier_wait -1
	global_inv scope:SCOPE_SE
	s_clause 0xb
	scratch_load_b128 v[2:5], off, off offset:184
	scratch_load_b128 v[6:9], off, off offset:200
	;; [unrolled: 1-line block ×10, first 2 shown]
	scratch_load_b64 v[172:173], off, off offset:344
	scratch_load_b64 v[174:175], off, off offset:176
	v_mov_b32_e32 v1, 0
	ds_load_2addr_b64 v[132:135], v1 offset0:67 offset1:68
	ds_load_2addr_b64 v[136:139], v1 offset0:69 offset1:70
	;; [unrolled: 1-line block ×10, first 2 shown]
	ds_load_b64 v[176:177], v1 offset:696
	s_mov_b32 s0, exec_lo
	s_wait_loadcnt_dscnt 0xb0a
	v_mul_f32_e32 v22, v132, v3
	v_dual_mul_f32 v3, v133, v3 :: v_dual_mul_f32 v178, v134, v5
	s_wait_loadcnt_dscnt 0x706
	v_dual_mul_f32 v179, v136, v7 :: v_dual_mul_f32 v186, v150, v21
	v_mul_f32_e32 v5, v135, v5
	s_delay_alu instid0(VALU_DEP_3)
	v_fma_f32 v3, v132, v2, -v3
	v_dual_mul_f32 v180, v138, v9 :: v_dual_mul_f32 v181, v140, v11
	s_wait_loadcnt_dscnt 0x100
	v_dual_fmac_f32 v22, v133, v2 :: v_dual_mul_f32 v197, v176, v173
	v_mul_f32_e32 v2, v137, v7
	v_dual_fmac_f32 v178, v135, v4 :: v_dual_add_f32 v3, 0, v3
	v_fma_f32 v4, v134, v4, -v5
	s_delay_alu instid0(VALU_DEP_4) | instskip(SKIP_2) | instid1(VALU_DEP_4)
	v_dual_add_f32 v5, 0, v22 :: v_dual_fmac_f32 v180, v139, v8
	v_mul_f32_e32 v7, v139, v9
	v_fma_f32 v2, v136, v6, -v2
	v_add_f32_e32 v3, v3, v4
	v_fmac_f32_e32 v179, v137, v6
	v_add_f32_e32 v4, v5, v178
	v_mul_f32_e32 v5, v141, v11
	v_fma_f32 v6, v138, v8, -v7
	v_add_f32_e32 v2, v3, v2
	v_dual_mul_f32 v182, v142, v13 :: v_dual_mul_f32 v183, v144, v15
	v_dual_add_f32 v3, v4, v179 :: v_dual_mul_f32 v4, v143, v13
	v_fma_f32 v5, v140, v10, -v5
	s_delay_alu instid0(VALU_DEP_4)
	v_add_f32_e32 v2, v2, v6
	v_fmac_f32_e32 v181, v141, v10
	v_mul_f32_e32 v6, v145, v15
	v_fmac_f32_e32 v182, v143, v12
	v_add_f32_e32 v3, v3, v180
	v_fma_f32 v4, v142, v12, -v4
	v_add_f32_e32 v2, v2, v5
	v_dual_mul_f32 v184, v146, v17 :: v_dual_mul_f32 v185, v148, v19
	s_delay_alu instid0(VALU_DEP_4)
	v_add_f32_e32 v3, v3, v181
	v_mul_f32_e32 v5, v147, v17
	v_fma_f32 v6, v144, v14, -v6
	v_dual_add_f32 v2, v2, v4 :: v_dual_fmac_f32 v183, v145, v14
	v_fmac_f32_e32 v184, v147, v16
	v_mul_f32_e32 v4, v149, v19
	v_fma_f32 v5, v146, v16, -v5
	s_delay_alu instid0(VALU_DEP_4) | instskip(SKIP_3) | instid1(VALU_DEP_3)
	v_add_f32_e32 v2, v2, v6
	v_add_f32_e32 v3, v3, v182
	v_dual_mul_f32 v6, v151, v21 :: v_dual_fmac_f32 v185, v149, v18
	v_fma_f32 v4, v148, v18, -v4
	v_dual_add_f32 v2, v2, v5 :: v_dual_add_f32 v3, v3, v183
	s_delay_alu instid0(VALU_DEP_3) | instskip(SKIP_1) | instid1(VALU_DEP_3)
	v_fma_f32 v6, v150, v20, -v6
	v_dual_mul_f32 v187, v152, v25 :: v_dual_mul_f32 v188, v154, v27
	v_add_f32_e32 v2, v2, v4
	s_delay_alu instid0(VALU_DEP_4) | instskip(SKIP_1) | instid1(VALU_DEP_4)
	v_add_f32_e32 v3, v3, v184
	v_dual_mul_f32 v5, v153, v25 :: v_dual_fmac_f32 v186, v151, v20
	v_dual_mul_f32 v4, v155, v27 :: v_dual_fmac_f32 v187, v153, v24
	s_delay_alu instid0(VALU_DEP_3) | instskip(NEXT) | instid1(VALU_DEP_3)
	v_dual_add_f32 v2, v2, v6 :: v_dual_add_f32 v3, v3, v185
	v_fma_f32 v5, v152, v24, -v5
	v_dual_mul_f32 v189, v156, v117 :: v_dual_mul_f32 v190, v158, v119
	s_delay_alu instid0(VALU_DEP_3) | instskip(NEXT) | instid1(VALU_DEP_2)
	v_dual_mul_f32 v6, v157, v117 :: v_dual_add_f32 v3, v3, v186
	v_dual_fmac_f32 v188, v155, v26 :: v_dual_fmac_f32 v189, v157, v116
	v_fma_f32 v4, v154, v26, -v4
	s_delay_alu instid0(VALU_DEP_3) | instskip(SKIP_3) | instid1(VALU_DEP_4)
	v_dual_add_f32 v2, v2, v5 :: v_dual_add_f32 v3, v3, v187
	v_mul_f32_e32 v5, v159, v119
	v_fma_f32 v6, v156, v116, -v6
	v_dual_mul_f32 v191, v160, v121 :: v_dual_mul_f32 v192, v162, v123
	v_add_f32_e32 v2, v2, v4
	v_dual_add_f32 v3, v3, v188 :: v_dual_mul_f32 v4, v161, v121
	s_delay_alu instid0(VALU_DEP_3) | instskip(SKIP_1) | instid1(VALU_DEP_3)
	v_dual_fmac_f32 v190, v159, v118 :: v_dual_fmac_f32 v191, v161, v120
	v_fma_f32 v5, v158, v118, -v5
	v_dual_add_f32 v2, v2, v6 :: v_dual_add_f32 v3, v3, v189
	v_mul_f32_e32 v6, v163, v123
	v_fma_f32 v4, v160, v120, -v4
	v_dual_mul_f32 v193, v164, v125 :: v_dual_mul_f32 v194, v166, v127
	s_delay_alu instid0(VALU_DEP_4) | instskip(SKIP_1) | instid1(VALU_DEP_3)
	v_dual_add_f32 v2, v2, v5 :: v_dual_add_f32 v3, v3, v190
	v_dual_mul_f32 v5, v165, v125 :: v_dual_fmac_f32 v192, v163, v122
	v_fmac_f32_e32 v193, v165, v124
	v_fma_f32 v6, v162, v122, -v6
	s_delay_alu instid0(VALU_DEP_4) | instskip(SKIP_2) | instid1(VALU_DEP_3)
	v_dual_add_f32 v2, v2, v4 :: v_dual_add_f32 v3, v3, v191
	v_dual_mul_f32 v195, v168, v129 :: v_dual_mul_f32 v196, v170, v131
	v_mul_f32_e32 v4, v167, v127
	v_dual_add_f32 v2, v2, v6 :: v_dual_add_f32 v3, v3, v192
	v_fma_f32 v5, v164, v124, -v5
	v_dual_fmac_f32 v194, v167, v126 :: v_dual_fmac_f32 v197, v177, v172
	v_fmac_f32_e32 v195, v169, v128
	v_fma_f32 v4, v166, v126, -v4
	v_add_f32_e32 v3, v3, v193
	v_mul_f32_e32 v6, v169, v129
	v_dual_add_f32 v2, v2, v5 :: v_dual_mul_f32 v5, v171, v131
	v_fmac_f32_e32 v196, v171, v130
	s_delay_alu instid0(VALU_DEP_4) | instskip(NEXT) | instid1(VALU_DEP_4)
	v_add_f32_e32 v3, v3, v194
	v_fma_f32 v6, v168, v128, -v6
	s_delay_alu instid0(VALU_DEP_4) | instskip(SKIP_2) | instid1(VALU_DEP_3)
	v_add_f32_e32 v2, v2, v4
	v_mul_f32_e32 v4, v177, v173
	v_fma_f32 v5, v170, v130, -v5
	v_dual_add_f32 v3, v3, v195 :: v_dual_add_f32 v2, v2, v6
	s_delay_alu instid0(VALU_DEP_3) | instskip(NEXT) | instid1(VALU_DEP_2)
	v_fma_f32 v4, v176, v172, -v4
	v_add_f32_e32 v3, v3, v196
	s_delay_alu instid0(VALU_DEP_1) | instskip(SKIP_1) | instid1(VALU_DEP_1)
	v_add_f32_e32 v3, v3, v197
	s_wait_loadcnt 0x0
	v_dual_add_f32 v2, v2, v5 :: v_dual_sub_f32 v3, v175, v3
	s_delay_alu instid0(VALU_DEP_1) | instskip(NEXT) | instid1(VALU_DEP_1)
	v_add_f32_e32 v2, v2, v4
	v_sub_f32_e32 v2, v174, v2
	scratch_store_b64 off, v[2:3], off offset:176
	v_cmpx_lt_u32_e32 21, v0
	s_cbranch_execz .LBB107_235
; %bb.234:
	scratch_load_b64 v[3:4], off, off offset:168
	v_mov_b32_e32 v2, v1
	scratch_store_b64 off, v[1:2], off offset:168
	s_wait_loadcnt 0x0
	ds_store_b64 v23, v[3:4]
.LBB107_235:
	s_wait_alu 0xfffe
	s_or_b32 exec_lo, exec_lo, s0
	s_wait_storecnt_dscnt 0x0
	s_barrier_signal -1
	s_barrier_wait -1
	global_inv scope:SCOPE_SE
	s_clause 0xb
	scratch_load_b128 v[2:5], off, off offset:176
	scratch_load_b128 v[6:9], off, off offset:192
	;; [unrolled: 1-line block ×11, first 2 shown]
	scratch_load_b64 v[180:181], off, off offset:168
	ds_load_b128 v[136:139], v1 offset:528
	ds_load_b128 v[140:143], v1 offset:544
	;; [unrolled: 1-line block ×11, first 2 shown]
	s_mov_b32 s0, exec_lo
	s_wait_loadcnt_dscnt 0xb0a
	v_dual_mul_f32 v1, v136, v3 :: v_dual_mul_f32 v22, v138, v5
	s_wait_loadcnt_dscnt 0xa09
	v_dual_mul_f32 v5, v139, v5 :: v_dual_mul_f32 v182, v140, v7
	v_mul_f32_e32 v183, v142, v9
	v_mul_f32_e32 v3, v137, v3
	v_dual_fmac_f32 v1, v137, v2 :: v_dual_fmac_f32 v22, v139, v4
	s_wait_loadcnt_dscnt 0x908
	v_dual_mul_f32 v184, v144, v11 :: v_dual_mul_f32 v185, v146, v13
	s_wait_loadcnt_dscnt 0x201
	v_mul_f32_e32 v198, v172, v129
	v_fma_f32 v3, v136, v2, -v3
	s_wait_loadcnt_dscnt 0x100
	v_mul_f32_e32 v201, v178, v135
	v_mul_f32_e32 v2, v141, v7
	v_fma_f32 v4, v138, v4, -v5
	v_dual_mul_f32 v186, v148, v15 :: v_dual_mul_f32 v187, v150, v17
	v_dual_add_f32 v3, 0, v3 :: v_dual_fmac_f32 v182, v141, v6
	v_dual_mul_f32 v5, v143, v9 :: v_dual_fmac_f32 v184, v145, v10
	v_fma_f32 v2, v140, v6, -v2
	s_delay_alu instid0(VALU_DEP_3) | instskip(NEXT) | instid1(VALU_DEP_3)
	v_dual_add_f32 v3, v3, v4 :: v_dual_fmac_f32 v186, v149, v14
	v_fma_f32 v5, v142, v8, -v5
	v_dual_mul_f32 v188, v152, v19 :: v_dual_mul_f32 v189, v154, v21
	s_delay_alu instid0(VALU_DEP_3) | instskip(SKIP_3) | instid1(VALU_DEP_4)
	v_add_f32_e32 v2, v3, v2
	v_mul_f32_e32 v3, v147, v13
	v_dual_mul_f32 v190, v156, v25 :: v_dual_mul_f32 v191, v158, v27
	v_mul_f32_e32 v4, v145, v11
	v_add_f32_e32 v2, v2, v5
	v_dual_add_f32 v1, 0, v1 :: v_dual_fmac_f32 v188, v153, v18
	v_fma_f32 v3, v146, v12, -v3
	s_delay_alu instid0(VALU_DEP_4) | instskip(SKIP_1) | instid1(VALU_DEP_4)
	v_fma_f32 v4, v144, v10, -v4
	v_fmac_f32_e32 v187, v151, v16
	v_dual_add_f32 v1, v1, v22 :: v_dual_mul_f32 v192, v160, v117
	v_mul_f32_e32 v193, v162, v119
	s_delay_alu instid0(VALU_DEP_4) | instskip(NEXT) | instid1(VALU_DEP_3)
	v_add_f32_e32 v2, v2, v4
	v_dual_mul_f32 v4, v151, v17 :: v_dual_add_f32 v1, v1, v182
	v_dual_fmac_f32 v183, v143, v8 :: v_dual_mul_f32 v196, v168, v125
	v_mul_f32_e32 v197, v170, v127
	s_delay_alu instid0(VALU_DEP_3) | instskip(SKIP_4) | instid1(VALU_DEP_4)
	v_fma_f32 v4, v150, v16, -v4
	v_mul_f32_e32 v5, v149, v15
	v_add_f32_e32 v2, v2, v3
	v_dual_add_f32 v1, v1, v183 :: v_dual_mul_f32 v194, v164, v121
	v_mul_f32_e32 v195, v166, v123
	v_fma_f32 v5, v148, v14, -v5
	v_fmac_f32_e32 v185, v147, v12
	v_dual_fmac_f32 v190, v157, v24 :: v_dual_fmac_f32 v193, v163, v118
	v_dual_fmac_f32 v191, v159, v26 :: v_dual_fmac_f32 v194, v165, v120
	s_delay_alu instid0(VALU_DEP_4) | instskip(SKIP_2) | instid1(VALU_DEP_3)
	v_add_f32_e32 v2, v2, v5
	v_mul_f32_e32 v5, v155, v21
	v_dual_mul_f32 v199, v174, v131 :: v_dual_mul_f32 v200, v176, v133
	v_dual_fmac_f32 v197, v171, v126 :: v_dual_add_f32 v2, v2, v4
	s_delay_alu instid0(VALU_DEP_3) | instskip(SKIP_4) | instid1(VALU_DEP_4)
	v_fma_f32 v5, v154, v20, -v5
	v_mul_f32_e32 v3, v153, v19
	v_mul_f32_e32 v4, v157, v25
	v_dual_fmac_f32 v200, v177, v132 :: v_dual_fmac_f32 v199, v175, v130
	v_fmac_f32_e32 v192, v161, v116
	v_fma_f32 v3, v152, v18, -v3
	v_add_f32_e32 v1, v1, v184
	v_fma_f32 v4, v156, v24, -v4
	v_dual_fmac_f32 v201, v179, v134 :: v_dual_fmac_f32 v196, v169, v124
	s_delay_alu instid0(VALU_DEP_4) | instskip(SKIP_1) | instid1(VALU_DEP_2)
	v_add_f32_e32 v2, v2, v3
	v_dual_mul_f32 v3, v159, v27 :: v_dual_fmac_f32 v198, v173, v128
	v_add_f32_e32 v2, v2, v5
	v_add_f32_e32 v1, v1, v185
	s_delay_alu instid0(VALU_DEP_3) | instskip(NEXT) | instid1(VALU_DEP_2)
	v_fma_f32 v3, v158, v26, -v3
	v_dual_add_f32 v2, v2, v4 :: v_dual_add_f32 v1, v1, v186
	v_mul_f32_e32 v4, v163, v119
	s_delay_alu instid0(VALU_DEP_2) | instskip(SKIP_1) | instid1(VALU_DEP_3)
	v_dual_fmac_f32 v189, v155, v20 :: v_dual_add_f32 v2, v2, v3
	v_mul_f32_e32 v3, v165, v121
	v_fma_f32 v4, v162, v118, -v4
	v_mul_f32_e32 v5, v161, v117
	s_delay_alu instid0(VALU_DEP_3) | instskip(NEXT) | instid1(VALU_DEP_2)
	v_fma_f32 v3, v164, v120, -v3
	v_fma_f32 v5, v160, v116, -v5
	s_delay_alu instid0(VALU_DEP_1) | instskip(NEXT) | instid1(VALU_DEP_1)
	v_dual_add_f32 v1, v1, v187 :: v_dual_add_f32 v2, v2, v5
	v_dual_mul_f32 v5, v167, v123 :: v_dual_add_f32 v2, v2, v4
	s_delay_alu instid0(VALU_DEP_2) | instskip(SKIP_1) | instid1(VALU_DEP_3)
	v_add_f32_e32 v1, v1, v188
	v_mul_f32_e32 v4, v169, v125
	v_fma_f32 v5, v166, v122, -v5
	s_delay_alu instid0(VALU_DEP_4) | instskip(SKIP_1) | instid1(VALU_DEP_4)
	v_dual_add_f32 v2, v2, v3 :: v_dual_fmac_f32 v195, v167, v122
	v_mul_f32_e32 v3, v171, v127
	v_fma_f32 v4, v168, v124, -v4
	s_delay_alu instid0(VALU_DEP_3) | instskip(SKIP_1) | instid1(VALU_DEP_4)
	v_add_f32_e32 v2, v2, v5
	v_add_f32_e32 v1, v1, v189
	v_fma_f32 v3, v170, v126, -v3
	s_delay_alu instid0(VALU_DEP_3) | instskip(NEXT) | instid1(VALU_DEP_3)
	v_dual_add_f32 v2, v2, v4 :: v_dual_mul_f32 v5, v173, v129
	v_dual_add_f32 v1, v1, v190 :: v_dual_mul_f32 v4, v175, v131
	s_delay_alu instid0(VALU_DEP_2) | instskip(NEXT) | instid1(VALU_DEP_3)
	v_add_f32_e32 v2, v2, v3
	v_fma_f32 v5, v172, v128, -v5
	s_delay_alu instid0(VALU_DEP_3) | instskip(SKIP_2) | instid1(VALU_DEP_4)
	v_add_f32_e32 v1, v1, v191
	v_mul_f32_e32 v3, v177, v133
	v_fma_f32 v4, v174, v130, -v4
	v_dual_add_f32 v2, v2, v5 :: v_dual_mul_f32 v5, v179, v135
	s_delay_alu instid0(VALU_DEP_3) | instskip(NEXT) | instid1(VALU_DEP_2)
	v_fma_f32 v3, v176, v132, -v3
	v_add_f32_e32 v2, v2, v4
	v_add_f32_e32 v1, v1, v192
	s_delay_alu instid0(VALU_DEP_4) | instskip(NEXT) | instid1(VALU_DEP_2)
	v_fma_f32 v4, v178, v134, -v5
	v_dual_add_f32 v2, v2, v3 :: v_dual_add_f32 v1, v1, v193
	s_delay_alu instid0(VALU_DEP_1) | instskip(NEXT) | instid1(VALU_DEP_1)
	v_dual_add_f32 v2, v2, v4 :: v_dual_add_f32 v1, v1, v194
	v_add_f32_e32 v1, v1, v195
	s_delay_alu instid0(VALU_DEP_1) | instskip(NEXT) | instid1(VALU_DEP_1)
	v_add_f32_e32 v1, v1, v196
	v_add_f32_e32 v1, v1, v197
	s_delay_alu instid0(VALU_DEP_1) | instskip(NEXT) | instid1(VALU_DEP_1)
	v_add_f32_e32 v1, v1, v198
	;; [unrolled: 3-line block ×3, first 2 shown]
	v_add_f32_e32 v3, v1, v201
	s_wait_loadcnt 0x0
	s_delay_alu instid0(VALU_DEP_1)
	v_dual_sub_f32 v1, v180, v2 :: v_dual_sub_f32 v2, v181, v3
	scratch_store_b64 off, v[1:2], off offset:168
	v_cmpx_lt_u32_e32 20, v0
	s_cbranch_execz .LBB107_237
; %bb.236:
	scratch_load_b64 v[1:2], off, off offset:160
	v_mov_b32_e32 v3, 0
	s_delay_alu instid0(VALU_DEP_1)
	v_mov_b32_e32 v4, v3
	scratch_store_b64 off, v[3:4], off offset:160
	s_wait_loadcnt 0x0
	ds_store_b64 v23, v[1:2]
.LBB107_237:
	s_wait_alu 0xfffe
	s_or_b32 exec_lo, exec_lo, s0
	s_wait_storecnt_dscnt 0x0
	s_barrier_signal -1
	s_barrier_wait -1
	global_inv scope:SCOPE_SE
	s_clause 0xc
	scratch_load_b128 v[2:5], off, off offset:168
	scratch_load_b128 v[6:9], off, off offset:184
	;; [unrolled: 1-line block ×11, first 2 shown]
	scratch_load_b64 v[180:181], off, off offset:344
	scratch_load_b64 v[182:183], off, off offset:160
	v_mov_b32_e32 v1, 0
	ds_load_2addr_b64 v[136:139], v1 offset0:65 offset1:66
	ds_load_2addr_b64 v[140:143], v1 offset0:67 offset1:68
	ds_load_2addr_b64 v[144:147], v1 offset0:69 offset1:70
	ds_load_2addr_b64 v[148:151], v1 offset0:71 offset1:72
	ds_load_2addr_b64 v[152:155], v1 offset0:73 offset1:74
	ds_load_2addr_b64 v[156:159], v1 offset0:75 offset1:76
	ds_load_2addr_b64 v[160:163], v1 offset0:77 offset1:78
	ds_load_2addr_b64 v[164:167], v1 offset0:79 offset1:80
	ds_load_2addr_b64 v[168:171], v1 offset0:81 offset1:82
	ds_load_2addr_b64 v[172:175], v1 offset0:83 offset1:84
	ds_load_2addr_b64 v[176:179], v1 offset0:85 offset1:86
	ds_load_b64 v[184:185], v1 offset:696
	s_mov_b32 s0, exec_lo
	s_wait_loadcnt_dscnt 0xc0b
	v_mul_f32_e32 v22, v136, v3
	v_dual_mul_f32 v3, v137, v3 :: v_dual_mul_f32 v186, v138, v5
	s_wait_loadcnt_dscnt 0x807
	v_dual_mul_f32 v187, v140, v7 :: v_dual_mul_f32 v194, v154, v21
	v_mul_f32_e32 v5, v139, v5
	s_delay_alu instid0(VALU_DEP_3)
	v_fma_f32 v3, v136, v2, -v3
	v_dual_mul_f32 v188, v142, v9 :: v_dual_mul_f32 v189, v144, v11
	v_fmac_f32_e32 v22, v137, v2
	s_wait_loadcnt_dscnt 0x100
	v_dual_mul_f32 v2, v141, v7 :: v_dual_mul_f32 v207, v184, v181
	v_dual_fmac_f32 v186, v139, v4 :: v_dual_add_f32 v3, 0, v3
	v_fma_f32 v4, v138, v4, -v5
	v_dual_add_f32 v5, 0, v22 :: v_dual_fmac_f32 v188, v143, v8
	v_mul_f32_e32 v7, v143, v9
	v_fma_f32 v2, v140, v6, -v2
	s_delay_alu instid0(VALU_DEP_4)
	v_add_f32_e32 v3, v3, v4
	v_fmac_f32_e32 v187, v141, v6
	v_add_f32_e32 v4, v5, v186
	v_mul_f32_e32 v5, v145, v11
	v_fma_f32 v6, v142, v8, -v7
	v_add_f32_e32 v2, v3, v2
	v_dual_mul_f32 v190, v146, v13 :: v_dual_mul_f32 v191, v148, v15
	v_dual_add_f32 v3, v4, v187 :: v_dual_mul_f32 v4, v147, v13
	v_fma_f32 v5, v144, v10, -v5
	s_delay_alu instid0(VALU_DEP_4)
	v_add_f32_e32 v2, v2, v6
	v_fmac_f32_e32 v189, v145, v10
	v_mul_f32_e32 v6, v149, v15
	v_fmac_f32_e32 v190, v147, v12
	v_add_f32_e32 v3, v3, v188
	v_fma_f32 v4, v146, v12, -v4
	v_add_f32_e32 v2, v2, v5
	v_dual_mul_f32 v192, v150, v17 :: v_dual_mul_f32 v193, v152, v19
	s_delay_alu instid0(VALU_DEP_4)
	v_add_f32_e32 v3, v3, v189
	v_mul_f32_e32 v5, v151, v17
	v_fma_f32 v6, v148, v14, -v6
	v_dual_add_f32 v2, v2, v4 :: v_dual_fmac_f32 v191, v149, v14
	v_fmac_f32_e32 v192, v151, v16
	v_mul_f32_e32 v4, v153, v19
	v_fma_f32 v5, v150, v16, -v5
	s_delay_alu instid0(VALU_DEP_4) | instskip(SKIP_3) | instid1(VALU_DEP_3)
	v_add_f32_e32 v2, v2, v6
	v_add_f32_e32 v3, v3, v190
	v_dual_mul_f32 v6, v155, v21 :: v_dual_fmac_f32 v193, v153, v18
	v_fma_f32 v4, v152, v18, -v4
	v_dual_add_f32 v2, v2, v5 :: v_dual_add_f32 v3, v3, v191
	s_delay_alu instid0(VALU_DEP_3) | instskip(SKIP_1) | instid1(VALU_DEP_3)
	v_fma_f32 v6, v154, v20, -v6
	v_dual_mul_f32 v195, v156, v25 :: v_dual_mul_f32 v196, v158, v27
	v_add_f32_e32 v2, v2, v4
	s_delay_alu instid0(VALU_DEP_4) | instskip(SKIP_1) | instid1(VALU_DEP_4)
	v_add_f32_e32 v3, v3, v192
	v_dual_mul_f32 v5, v157, v25 :: v_dual_fmac_f32 v194, v155, v20
	v_dual_mul_f32 v4, v159, v27 :: v_dual_fmac_f32 v195, v157, v24
	s_delay_alu instid0(VALU_DEP_3) | instskip(NEXT) | instid1(VALU_DEP_3)
	v_dual_add_f32 v2, v2, v6 :: v_dual_add_f32 v3, v3, v193
	v_fma_f32 v5, v156, v24, -v5
	v_dual_mul_f32 v197, v160, v117 :: v_dual_mul_f32 v198, v162, v119
	s_delay_alu instid0(VALU_DEP_3) | instskip(NEXT) | instid1(VALU_DEP_2)
	v_dual_mul_f32 v6, v161, v117 :: v_dual_add_f32 v3, v3, v194
	v_dual_fmac_f32 v196, v159, v26 :: v_dual_fmac_f32 v197, v161, v116
	v_fma_f32 v4, v158, v26, -v4
	s_delay_alu instid0(VALU_DEP_3) | instskip(SKIP_3) | instid1(VALU_DEP_4)
	v_dual_add_f32 v2, v2, v5 :: v_dual_add_f32 v3, v3, v195
	v_mul_f32_e32 v5, v163, v119
	v_fma_f32 v6, v160, v116, -v6
	v_dual_mul_f32 v199, v164, v121 :: v_dual_mul_f32 v200, v166, v123
	v_add_f32_e32 v2, v2, v4
	v_dual_add_f32 v3, v3, v196 :: v_dual_mul_f32 v4, v165, v121
	s_delay_alu instid0(VALU_DEP_3) | instskip(SKIP_1) | instid1(VALU_DEP_3)
	v_dual_fmac_f32 v198, v163, v118 :: v_dual_fmac_f32 v199, v165, v120
	v_fma_f32 v5, v162, v118, -v5
	v_dual_add_f32 v2, v2, v6 :: v_dual_add_f32 v3, v3, v197
	v_mul_f32_e32 v6, v167, v123
	v_fma_f32 v4, v164, v120, -v4
	v_dual_mul_f32 v201, v168, v125 :: v_dual_mul_f32 v202, v170, v127
	s_delay_alu instid0(VALU_DEP_4) | instskip(SKIP_1) | instid1(VALU_DEP_3)
	v_dual_add_f32 v2, v2, v5 :: v_dual_add_f32 v3, v3, v198
	v_dual_mul_f32 v5, v169, v125 :: v_dual_fmac_f32 v200, v167, v122
	v_fmac_f32_e32 v201, v169, v124
	v_fma_f32 v6, v166, v122, -v6
	s_delay_alu instid0(VALU_DEP_4) | instskip(SKIP_2) | instid1(VALU_DEP_2)
	v_dual_add_f32 v2, v2, v4 :: v_dual_add_f32 v3, v3, v199
	v_dual_mul_f32 v203, v172, v129 :: v_dual_mul_f32 v204, v174, v131
	v_dual_mul_f32 v205, v176, v133 :: v_dual_mul_f32 v206, v178, v135
	v_dual_mul_f32 v4, v171, v127 :: v_dual_fmac_f32 v203, v173, v128
	v_fma_f32 v5, v168, v124, -v5
	v_dual_add_f32 v2, v2, v6 :: v_dual_add_f32 v3, v3, v200
	v_mul_f32_e32 v6, v173, v129
	v_dual_fmac_f32 v202, v171, v126 :: v_dual_fmac_f32 v205, v177, v132
	v_fma_f32 v4, v170, v126, -v4
	s_delay_alu instid0(VALU_DEP_4) | instskip(SKIP_3) | instid1(VALU_DEP_3)
	v_add_f32_e32 v3, v3, v201
	v_dual_add_f32 v2, v2, v5 :: v_dual_mul_f32 v5, v175, v131
	v_fma_f32 v6, v172, v128, -v6
	v_fmac_f32_e32 v204, v175, v130
	v_dual_add_f32 v3, v3, v202 :: v_dual_add_f32 v2, v2, v4
	v_mul_f32_e32 v4, v177, v133
	v_fma_f32 v5, v174, v130, -v5
	v_fmac_f32_e32 v206, v179, v134
	s_delay_alu instid0(VALU_DEP_4) | instskip(SKIP_2) | instid1(VALU_DEP_3)
	v_dual_add_f32 v3, v3, v203 :: v_dual_add_f32 v2, v2, v6
	v_dual_mul_f32 v6, v179, v135 :: v_dual_fmac_f32 v207, v185, v180
	v_fma_f32 v4, v176, v132, -v4
	v_add_f32_e32 v2, v2, v5
	v_mul_f32_e32 v5, v185, v181
	v_add_f32_e32 v3, v3, v204
	v_fma_f32 v6, v178, v134, -v6
	s_delay_alu instid0(VALU_DEP_2) | instskip(NEXT) | instid1(VALU_DEP_1)
	v_add_f32_e32 v3, v3, v205
	v_dual_add_f32 v3, v3, v206 :: v_dual_add_f32 v2, v2, v4
	v_fma_f32 v4, v184, v180, -v5
	s_delay_alu instid0(VALU_DEP_2) | instskip(SKIP_1) | instid1(VALU_DEP_1)
	v_dual_add_f32 v3, v3, v207 :: v_dual_add_f32 v2, v2, v6
	s_wait_loadcnt 0x0
	v_dual_sub_f32 v3, v183, v3 :: v_dual_add_f32 v2, v2, v4
	s_delay_alu instid0(VALU_DEP_1)
	v_sub_f32_e32 v2, v182, v2
	scratch_store_b64 off, v[2:3], off offset:160
	v_cmpx_lt_u32_e32 19, v0
	s_cbranch_execz .LBB107_239
; %bb.238:
	scratch_load_b64 v[3:4], off, off offset:152
	v_mov_b32_e32 v2, v1
	scratch_store_b64 off, v[1:2], off offset:152
	s_wait_loadcnt 0x0
	ds_store_b64 v23, v[3:4]
.LBB107_239:
	s_wait_alu 0xfffe
	s_or_b32 exec_lo, exec_lo, s0
	s_wait_storecnt_dscnt 0x0
	s_barrier_signal -1
	s_barrier_wait -1
	global_inv scope:SCOPE_SE
	s_clause 0xc
	scratch_load_b128 v[2:5], off, off offset:160
	scratch_load_b128 v[6:9], off, off offset:176
	;; [unrolled: 1-line block ×12, first 2 shown]
	scratch_load_b64 v[188:189], off, off offset:152
	ds_load_b128 v[140:143], v1 offset:512
	ds_load_b128 v[144:147], v1 offset:528
	;; [unrolled: 1-line block ×12, first 2 shown]
	s_mov_b32 s0, exec_lo
	s_wait_loadcnt_dscnt 0xc0b
	v_dual_mul_f32 v1, v140, v3 :: v_dual_mul_f32 v22, v142, v5
	s_wait_loadcnt_dscnt 0xb0a
	v_dual_mul_f32 v5, v143, v5 :: v_dual_mul_f32 v190, v144, v7
	v_mul_f32_e32 v191, v146, v9
	s_delay_alu instid0(VALU_DEP_3)
	v_fmac_f32_e32 v1, v141, v2
	v_dual_mul_f32 v3, v141, v3 :: v_dual_fmac_f32 v22, v143, v4
	s_wait_loadcnt_dscnt 0xa09
	v_dual_mul_f32 v192, v148, v11 :: v_dual_mul_f32 v193, v150, v13
	s_wait_loadcnt_dscnt 0x201
	v_mul_f32_e32 v208, v180, v133
	v_fma_f32 v3, v140, v2, -v3
	s_wait_loadcnt_dscnt 0x100
	v_mul_f32_e32 v211, v186, v139
	v_mul_f32_e32 v2, v145, v7
	v_fma_f32 v4, v142, v4, -v5
	v_dual_mul_f32 v194, v152, v15 :: v_dual_mul_f32 v195, v154, v17
	v_dual_add_f32 v3, 0, v3 :: v_dual_fmac_f32 v190, v145, v6
	v_dual_mul_f32 v5, v147, v9 :: v_dual_fmac_f32 v192, v149, v10
	v_fma_f32 v2, v144, v6, -v2
	s_delay_alu instid0(VALU_DEP_3) | instskip(NEXT) | instid1(VALU_DEP_3)
	v_dual_add_f32 v3, v3, v4 :: v_dual_fmac_f32 v194, v153, v14
	v_fma_f32 v5, v146, v8, -v5
	v_dual_mul_f32 v196, v156, v19 :: v_dual_mul_f32 v197, v158, v21
	s_delay_alu instid0(VALU_DEP_3) | instskip(SKIP_3) | instid1(VALU_DEP_4)
	v_add_f32_e32 v2, v3, v2
	v_mul_f32_e32 v3, v151, v13
	v_dual_mul_f32 v198, v160, v25 :: v_dual_mul_f32 v199, v162, v27
	v_mul_f32_e32 v4, v149, v11
	v_add_f32_e32 v2, v2, v5
	v_dual_add_f32 v1, 0, v1 :: v_dual_fmac_f32 v196, v157, v18
	v_fma_f32 v3, v150, v12, -v3
	s_delay_alu instid0(VALU_DEP_4) | instskip(SKIP_1) | instid1(VALU_DEP_4)
	v_fma_f32 v4, v148, v10, -v4
	v_fmac_f32_e32 v195, v155, v16
	v_dual_add_f32 v1, v1, v22 :: v_dual_mul_f32 v200, v164, v117
	v_mul_f32_e32 v201, v166, v119
	s_delay_alu instid0(VALU_DEP_4) | instskip(NEXT) | instid1(VALU_DEP_3)
	v_add_f32_e32 v2, v2, v4
	v_dual_mul_f32 v4, v155, v17 :: v_dual_add_f32 v1, v1, v190
	v_dual_fmac_f32 v191, v147, v8 :: v_dual_mul_f32 v204, v172, v125
	v_mul_f32_e32 v205, v174, v127
	s_delay_alu instid0(VALU_DEP_3) | instskip(SKIP_4) | instid1(VALU_DEP_4)
	v_fma_f32 v4, v154, v16, -v4
	v_mul_f32_e32 v5, v153, v15
	v_add_f32_e32 v2, v2, v3
	v_dual_add_f32 v1, v1, v191 :: v_dual_mul_f32 v202, v168, v121
	v_mul_f32_e32 v203, v170, v123
	v_fma_f32 v5, v152, v14, -v5
	v_fmac_f32_e32 v193, v151, v12
	v_dual_fmac_f32 v201, v167, v118 :: v_dual_fmac_f32 v198, v161, v24
	v_dual_mul_f32 v206, v176, v129 :: v_dual_mul_f32 v207, v178, v131
	s_delay_alu instid0(VALU_DEP_4) | instskip(SKIP_3) | instid1(VALU_DEP_3)
	v_add_f32_e32 v2, v2, v5
	v_mul_f32_e32 v5, v159, v21
	v_dual_fmac_f32 v199, v163, v26 :: v_dual_fmac_f32 v202, v169, v120
	v_dual_mul_f32 v209, v182, v135 :: v_dual_mul_f32 v210, v184, v137
	v_fma_f32 v5, v158, v20, -v5
	v_dual_mul_f32 v3, v157, v19 :: v_dual_add_f32 v2, v2, v4
	v_dual_mul_f32 v4, v161, v25 :: v_dual_fmac_f32 v207, v179, v130
	v_dual_fmac_f32 v205, v175, v126 :: v_dual_fmac_f32 v208, v181, v132
	s_delay_alu instid0(VALU_DEP_3) | instskip(SKIP_1) | instid1(VALU_DEP_4)
	v_fma_f32 v3, v156, v18, -v3
	v_add_f32_e32 v1, v1, v192
	v_fma_f32 v4, v160, v24, -v4
	v_dual_fmac_f32 v200, v165, v116 :: v_dual_fmac_f32 v211, v187, v138
	s_delay_alu instid0(VALU_DEP_4) | instskip(SKIP_3) | instid1(VALU_DEP_4)
	v_add_f32_e32 v2, v2, v3
	v_dual_mul_f32 v3, v163, v27 :: v_dual_fmac_f32 v204, v173, v124
	v_fmac_f32_e32 v206, v177, v128
	v_fmac_f32_e32 v210, v185, v136
	v_add_f32_e32 v2, v2, v5
	v_add_f32_e32 v1, v1, v193
	v_fma_f32 v3, v162, v26, -v3
	s_delay_alu instid0(VALU_DEP_2) | instskip(SKIP_1) | instid1(VALU_DEP_2)
	v_dual_add_f32 v2, v2, v4 :: v_dual_add_f32 v1, v1, v194
	v_mul_f32_e32 v4, v167, v119
	v_dual_fmac_f32 v197, v159, v20 :: v_dual_add_f32 v2, v2, v3
	v_mul_f32_e32 v3, v169, v121
	s_delay_alu instid0(VALU_DEP_3) | instskip(SKIP_1) | instid1(VALU_DEP_3)
	v_fma_f32 v4, v166, v118, -v4
	v_mul_f32_e32 v5, v165, v117
	v_fma_f32 v3, v168, v120, -v3
	s_delay_alu instid0(VALU_DEP_2) | instskip(NEXT) | instid1(VALU_DEP_1)
	v_fma_f32 v5, v164, v116, -v5
	v_dual_add_f32 v1, v1, v195 :: v_dual_add_f32 v2, v2, v5
	s_delay_alu instid0(VALU_DEP_1) | instskip(NEXT) | instid1(VALU_DEP_2)
	v_dual_mul_f32 v5, v171, v123 :: v_dual_add_f32 v2, v2, v4
	v_add_f32_e32 v1, v1, v196
	v_mul_f32_e32 v4, v173, v125
	s_delay_alu instid0(VALU_DEP_3) | instskip(NEXT) | instid1(VALU_DEP_4)
	v_fma_f32 v5, v170, v122, -v5
	v_dual_add_f32 v2, v2, v3 :: v_dual_fmac_f32 v203, v171, v122
	v_mul_f32_e32 v3, v175, v127
	s_delay_alu instid0(VALU_DEP_4) | instskip(NEXT) | instid1(VALU_DEP_3)
	v_fma_f32 v4, v172, v124, -v4
	v_add_f32_e32 v2, v2, v5
	v_add_f32_e32 v1, v1, v197
	s_delay_alu instid0(VALU_DEP_4) | instskip(NEXT) | instid1(VALU_DEP_3)
	v_fma_f32 v3, v174, v126, -v3
	v_dual_add_f32 v2, v2, v4 :: v_dual_mul_f32 v5, v177, v129
	s_delay_alu instid0(VALU_DEP_3) | instskip(NEXT) | instid1(VALU_DEP_2)
	v_dual_add_f32 v1, v1, v198 :: v_dual_mul_f32 v4, v179, v131
	v_add_f32_e32 v2, v2, v3
	s_delay_alu instid0(VALU_DEP_3) | instskip(NEXT) | instid1(VALU_DEP_3)
	v_fma_f32 v5, v176, v128, -v5
	v_add_f32_e32 v1, v1, v199
	v_mul_f32_e32 v3, v181, v133
	v_fma_f32 v4, v178, v130, -v4
	s_delay_alu instid0(VALU_DEP_4) | instskip(NEXT) | instid1(VALU_DEP_3)
	v_dual_add_f32 v2, v2, v5 :: v_dual_mul_f32 v5, v183, v135
	v_fma_f32 v3, v180, v132, -v3
	s_delay_alu instid0(VALU_DEP_2) | instskip(SKIP_3) | instid1(VALU_DEP_4)
	v_add_f32_e32 v2, v2, v4
	v_add_f32_e32 v1, v1, v200
	v_mul_f32_e32 v4, v185, v137
	v_fma_f32 v5, v182, v134, -v5
	v_dual_add_f32 v2, v2, v3 :: v_dual_fmac_f32 v209, v183, v134
	v_mul_f32_e32 v3, v187, v139
	s_delay_alu instid0(VALU_DEP_4) | instskip(NEXT) | instid1(VALU_DEP_3)
	v_fma_f32 v4, v184, v136, -v4
	v_add_f32_e32 v2, v2, v5
	v_add_f32_e32 v1, v1, v201
	s_delay_alu instid0(VALU_DEP_4) | instskip(NEXT) | instid1(VALU_DEP_2)
	v_fma_f32 v3, v186, v138, -v3
	v_dual_add_f32 v2, v2, v4 :: v_dual_add_f32 v1, v1, v202
	s_delay_alu instid0(VALU_DEP_1) | instskip(NEXT) | instid1(VALU_DEP_2)
	v_add_f32_e32 v2, v2, v3
	v_add_f32_e32 v1, v1, v203
	s_delay_alu instid0(VALU_DEP_1) | instskip(NEXT) | instid1(VALU_DEP_1)
	v_add_f32_e32 v1, v1, v204
	v_add_f32_e32 v1, v1, v205
	s_delay_alu instid0(VALU_DEP_1) | instskip(NEXT) | instid1(VALU_DEP_1)
	;; [unrolled: 3-line block ×4, first 2 shown]
	v_add_f32_e32 v1, v1, v210
	v_add_f32_e32 v3, v1, v211
	s_wait_loadcnt 0x0
	s_delay_alu instid0(VALU_DEP_1)
	v_dual_sub_f32 v1, v188, v2 :: v_dual_sub_f32 v2, v189, v3
	scratch_store_b64 off, v[1:2], off offset:152
	v_cmpx_lt_u32_e32 18, v0
	s_cbranch_execz .LBB107_241
; %bb.240:
	scratch_load_b64 v[1:2], off, off offset:144
	v_mov_b32_e32 v3, 0
	s_delay_alu instid0(VALU_DEP_1)
	v_mov_b32_e32 v4, v3
	scratch_store_b64 off, v[3:4], off offset:144
	s_wait_loadcnt 0x0
	ds_store_b64 v23, v[1:2]
.LBB107_241:
	s_wait_alu 0xfffe
	s_or_b32 exec_lo, exec_lo, s0
	s_wait_storecnt_dscnt 0x0
	s_barrier_signal -1
	s_barrier_wait -1
	global_inv scope:SCOPE_SE
	s_clause 0xd
	scratch_load_b128 v[2:5], off, off offset:152
	scratch_load_b128 v[6:9], off, off offset:168
	;; [unrolled: 1-line block ×12, first 2 shown]
	scratch_load_b64 v[188:189], off, off offset:344
	scratch_load_b64 v[190:191], off, off offset:144
	v_mov_b32_e32 v1, 0
	ds_load_2addr_b64 v[140:143], v1 offset0:63 offset1:64
	ds_load_2addr_b64 v[144:147], v1 offset0:65 offset1:66
	;; [unrolled: 1-line block ×12, first 2 shown]
	ds_load_b64 v[192:193], v1 offset:696
	s_mov_b32 s0, exec_lo
	s_wait_loadcnt_dscnt 0xd0c
	v_mul_f32_e32 v22, v140, v3
	v_dual_mul_f32 v3, v141, v3 :: v_dual_mul_f32 v194, v142, v5
	s_wait_loadcnt_dscnt 0x908
	v_dual_mul_f32 v195, v144, v7 :: v_dual_mul_f32 v202, v158, v21
	v_mul_f32_e32 v5, v143, v5
	s_delay_alu instid0(VALU_DEP_3) | instskip(SKIP_3) | instid1(VALU_DEP_4)
	v_fma_f32 v3, v140, v2, -v3
	v_dual_mul_f32 v196, v146, v9 :: v_dual_mul_f32 v197, v148, v11
	v_fmac_f32_e32 v22, v141, v2
	v_mul_f32_e32 v2, v145, v7
	v_dual_fmac_f32 v194, v143, v4 :: v_dual_add_f32 v3, 0, v3
	s_wait_loadcnt_dscnt 0x100
	v_mul_f32_e32 v217, v192, v189
	v_fma_f32 v4, v142, v4, -v5
	v_dual_add_f32 v5, 0, v22 :: v_dual_fmac_f32 v196, v147, v8
	v_mul_f32_e32 v7, v147, v9
	v_fma_f32 v2, v144, v6, -v2
	s_delay_alu instid0(VALU_DEP_4)
	v_add_f32_e32 v3, v3, v4
	v_fmac_f32_e32 v195, v145, v6
	v_add_f32_e32 v4, v5, v194
	v_mul_f32_e32 v5, v149, v11
	v_fma_f32 v6, v146, v8, -v7
	v_add_f32_e32 v2, v3, v2
	v_dual_mul_f32 v198, v150, v13 :: v_dual_mul_f32 v199, v152, v15
	v_dual_add_f32 v3, v4, v195 :: v_dual_mul_f32 v4, v151, v13
	v_fma_f32 v5, v148, v10, -v5
	s_delay_alu instid0(VALU_DEP_4)
	v_add_f32_e32 v2, v2, v6
	v_fmac_f32_e32 v197, v149, v10
	v_mul_f32_e32 v6, v153, v15
	v_fmac_f32_e32 v198, v151, v12
	v_add_f32_e32 v3, v3, v196
	v_fma_f32 v4, v150, v12, -v4
	v_add_f32_e32 v2, v2, v5
	v_dual_mul_f32 v200, v154, v17 :: v_dual_mul_f32 v201, v156, v19
	s_delay_alu instid0(VALU_DEP_4)
	v_add_f32_e32 v3, v3, v197
	v_mul_f32_e32 v5, v155, v17
	v_fma_f32 v6, v152, v14, -v6
	v_dual_add_f32 v2, v2, v4 :: v_dual_fmac_f32 v199, v153, v14
	v_fmac_f32_e32 v200, v155, v16
	v_mul_f32_e32 v4, v157, v19
	v_fma_f32 v5, v154, v16, -v5
	s_delay_alu instid0(VALU_DEP_4) | instskip(SKIP_3) | instid1(VALU_DEP_3)
	v_add_f32_e32 v2, v2, v6
	v_add_f32_e32 v3, v3, v198
	v_dual_mul_f32 v6, v159, v21 :: v_dual_fmac_f32 v201, v157, v18
	v_fma_f32 v4, v156, v18, -v4
	v_dual_add_f32 v2, v2, v5 :: v_dual_add_f32 v3, v3, v199
	s_delay_alu instid0(VALU_DEP_3) | instskip(SKIP_1) | instid1(VALU_DEP_3)
	v_fma_f32 v6, v158, v20, -v6
	v_dual_mul_f32 v203, v160, v25 :: v_dual_mul_f32 v204, v162, v27
	v_add_f32_e32 v2, v2, v4
	s_delay_alu instid0(VALU_DEP_4) | instskip(SKIP_1) | instid1(VALU_DEP_4)
	v_add_f32_e32 v3, v3, v200
	v_dual_mul_f32 v5, v161, v25 :: v_dual_fmac_f32 v202, v159, v20
	v_dual_mul_f32 v4, v163, v27 :: v_dual_fmac_f32 v203, v161, v24
	s_delay_alu instid0(VALU_DEP_3) | instskip(NEXT) | instid1(VALU_DEP_3)
	v_dual_add_f32 v2, v2, v6 :: v_dual_add_f32 v3, v3, v201
	v_fma_f32 v5, v160, v24, -v5
	v_dual_mul_f32 v205, v164, v117 :: v_dual_mul_f32 v206, v166, v119
	s_delay_alu instid0(VALU_DEP_3) | instskip(NEXT) | instid1(VALU_DEP_2)
	v_dual_mul_f32 v6, v165, v117 :: v_dual_add_f32 v3, v3, v202
	v_dual_fmac_f32 v204, v163, v26 :: v_dual_fmac_f32 v205, v165, v116
	v_fma_f32 v4, v162, v26, -v4
	s_delay_alu instid0(VALU_DEP_3) | instskip(SKIP_3) | instid1(VALU_DEP_4)
	v_dual_add_f32 v2, v2, v5 :: v_dual_add_f32 v3, v3, v203
	v_mul_f32_e32 v5, v167, v119
	v_fma_f32 v6, v164, v116, -v6
	v_dual_mul_f32 v207, v168, v121 :: v_dual_mul_f32 v208, v170, v123
	v_add_f32_e32 v2, v2, v4
	v_dual_add_f32 v3, v3, v204 :: v_dual_mul_f32 v4, v169, v121
	s_delay_alu instid0(VALU_DEP_3) | instskip(SKIP_1) | instid1(VALU_DEP_3)
	v_dual_fmac_f32 v206, v167, v118 :: v_dual_fmac_f32 v207, v169, v120
	v_fma_f32 v5, v166, v118, -v5
	v_dual_add_f32 v2, v2, v6 :: v_dual_add_f32 v3, v3, v205
	v_mul_f32_e32 v6, v171, v123
	v_fma_f32 v4, v168, v120, -v4
	v_dual_mul_f32 v209, v172, v125 :: v_dual_mul_f32 v210, v174, v127
	s_delay_alu instid0(VALU_DEP_4) | instskip(SKIP_1) | instid1(VALU_DEP_3)
	v_dual_add_f32 v2, v2, v5 :: v_dual_add_f32 v3, v3, v206
	v_dual_mul_f32 v5, v173, v125 :: v_dual_fmac_f32 v208, v171, v122
	v_fmac_f32_e32 v209, v173, v124
	v_fma_f32 v6, v170, v122, -v6
	s_delay_alu instid0(VALU_DEP_4) | instskip(SKIP_2) | instid1(VALU_DEP_2)
	v_dual_add_f32 v2, v2, v4 :: v_dual_add_f32 v3, v3, v207
	v_dual_mul_f32 v211, v176, v129 :: v_dual_mul_f32 v212, v178, v131
	v_dual_mul_f32 v213, v180, v133 :: v_dual_mul_f32 v214, v182, v135
	v_dual_mul_f32 v4, v175, v127 :: v_dual_fmac_f32 v211, v177, v128
	v_fma_f32 v5, v172, v124, -v5
	v_dual_add_f32 v2, v2, v6 :: v_dual_add_f32 v3, v3, v208
	v_mul_f32_e32 v6, v177, v129
	v_dual_fmac_f32 v210, v175, v126 :: v_dual_fmac_f32 v213, v181, v132
	v_fma_f32 v4, v174, v126, -v4
	s_delay_alu instid0(VALU_DEP_4) | instskip(SKIP_3) | instid1(VALU_DEP_3)
	v_add_f32_e32 v3, v3, v209
	v_dual_add_f32 v2, v2, v5 :: v_dual_mul_f32 v5, v179, v131
	v_fma_f32 v6, v176, v128, -v6
	v_fmac_f32_e32 v212, v179, v130
	v_dual_add_f32 v3, v3, v210 :: v_dual_add_f32 v2, v2, v4
	v_mul_f32_e32 v4, v181, v133
	v_fma_f32 v5, v178, v130, -v5
	v_dual_mul_f32 v215, v184, v137 :: v_dual_mul_f32 v216, v186, v139
	s_delay_alu instid0(VALU_DEP_4) | instskip(NEXT) | instid1(VALU_DEP_2)
	v_dual_add_f32 v3, v3, v211 :: v_dual_add_f32 v2, v2, v6
	v_dual_mul_f32 v6, v183, v135 :: v_dual_fmac_f32 v215, v185, v136
	v_dual_fmac_f32 v214, v183, v134 :: v_dual_fmac_f32 v217, v193, v188
	s_delay_alu instid0(VALU_DEP_3)
	v_add_f32_e32 v2, v2, v5
	v_mul_f32_e32 v5, v185, v137
	v_add_f32_e32 v3, v3, v212
	v_fma_f32 v6, v182, v134, -v6
	v_fma_f32 v4, v180, v132, -v4
	v_fmac_f32_e32 v216, v187, v138
	v_fma_f32 v5, v184, v136, -v5
	v_add_f32_e32 v3, v3, v213
	s_delay_alu instid0(VALU_DEP_1) | instskip(SKIP_1) | instid1(VALU_DEP_2)
	v_dual_add_f32 v3, v3, v214 :: v_dual_add_f32 v2, v2, v4
	v_mul_f32_e32 v4, v187, v139
	v_dual_add_f32 v3, v3, v215 :: v_dual_add_f32 v2, v2, v6
	v_mul_f32_e32 v6, v193, v189
	s_delay_alu instid0(VALU_DEP_3) | instskip(NEXT) | instid1(VALU_DEP_3)
	v_fma_f32 v4, v186, v138, -v4
	v_add_f32_e32 v3, v3, v216
	s_delay_alu instid0(VALU_DEP_1) | instskip(SKIP_3) | instid1(VALU_DEP_2)
	v_add_f32_e32 v3, v3, v217
	v_add_f32_e32 v2, v2, v5
	v_fma_f32 v5, v192, v188, -v6
	s_wait_loadcnt 0x0
	v_dual_sub_f32 v3, v191, v3 :: v_dual_add_f32 v2, v2, v4
	s_delay_alu instid0(VALU_DEP_1) | instskip(NEXT) | instid1(VALU_DEP_1)
	v_add_f32_e32 v2, v2, v5
	v_sub_f32_e32 v2, v190, v2
	scratch_store_b64 off, v[2:3], off offset:144
	v_cmpx_lt_u32_e32 17, v0
	s_cbranch_execz .LBB107_243
; %bb.242:
	scratch_load_b64 v[3:4], off, off offset:136
	v_mov_b32_e32 v2, v1
	scratch_store_b64 off, v[1:2], off offset:136
	s_wait_loadcnt 0x0
	ds_store_b64 v23, v[3:4]
.LBB107_243:
	s_wait_alu 0xfffe
	s_or_b32 exec_lo, exec_lo, s0
	s_wait_storecnt_dscnt 0x0
	s_barrier_signal -1
	s_barrier_wait -1
	global_inv scope:SCOPE_SE
	s_clause 0xd
	scratch_load_b128 v[2:5], off, off offset:144
	scratch_load_b128 v[6:9], off, off offset:160
	;; [unrolled: 1-line block ×13, first 2 shown]
	scratch_load_b64 v[196:197], off, off offset:136
	ds_load_b128 v[144:147], v1 offset:496
	ds_load_b128 v[148:151], v1 offset:512
	;; [unrolled: 1-line block ×13, first 2 shown]
	s_mov_b32 s0, exec_lo
	s_wait_loadcnt_dscnt 0xd0c
	v_dual_mul_f32 v1, v144, v3 :: v_dual_mul_f32 v22, v146, v5
	s_wait_loadcnt_dscnt 0xc0b
	v_dual_mul_f32 v5, v147, v5 :: v_dual_mul_f32 v198, v148, v7
	v_mul_f32_e32 v199, v150, v9
	s_wait_loadcnt_dscnt 0xb0a
	v_dual_fmac_f32 v1, v145, v2 :: v_dual_mul_f32 v200, v152, v11
	v_mul_f32_e32 v201, v154, v13
	v_dual_mul_f32 v3, v145, v3 :: v_dual_fmac_f32 v22, v147, v4
	s_wait_loadcnt_dscnt 0xa09
	v_dual_mul_f32 v202, v156, v15 :: v_dual_mul_f32 v203, v158, v17
	s_wait_loadcnt_dscnt 0x201
	v_mul_f32_e32 v218, v188, v137
	v_fma_f32 v3, v144, v2, -v3
	s_wait_loadcnt_dscnt 0x100
	v_mul_f32_e32 v221, v194, v143
	v_mul_f32_e32 v2, v149, v7
	v_fma_f32 v4, v146, v4, -v5
	v_dual_mul_f32 v5, v151, v9 :: v_dual_fmac_f32 v200, v153, v10
	v_dual_add_f32 v3, 0, v3 :: v_dual_fmac_f32 v198, v149, v6
	s_delay_alu instid0(VALU_DEP_4) | instskip(NEXT) | instid1(VALU_DEP_3)
	v_fma_f32 v2, v148, v6, -v2
	v_fma_f32 v5, v150, v8, -v5
	s_delay_alu instid0(VALU_DEP_3) | instskip(SKIP_2) | instid1(VALU_DEP_3)
	v_dual_fmac_f32 v202, v157, v14 :: v_dual_add_f32 v3, v3, v4
	v_dual_mul_f32 v204, v160, v19 :: v_dual_mul_f32 v205, v162, v21
	v_dual_mul_f32 v206, v164, v25 :: v_dual_mul_f32 v207, v166, v27
	v_add_f32_e32 v2, v3, v2
	s_delay_alu instid0(VALU_DEP_3) | instskip(SKIP_1) | instid1(VALU_DEP_3)
	v_dual_mul_f32 v3, v155, v13 :: v_dual_fmac_f32 v204, v161, v18
	v_dual_mul_f32 v4, v153, v11 :: v_dual_fmac_f32 v203, v159, v16
	v_add_f32_e32 v2, v2, v5
	v_add_f32_e32 v1, 0, v1
	s_delay_alu instid0(VALU_DEP_4) | instskip(NEXT) | instid1(VALU_DEP_4)
	v_fma_f32 v3, v154, v12, -v3
	v_fma_f32 v4, v152, v10, -v4
	v_dual_mul_f32 v208, v168, v117 :: v_dual_mul_f32 v209, v170, v119
	s_delay_alu instid0(VALU_DEP_4) | instskip(SKIP_1) | instid1(VALU_DEP_4)
	v_dual_add_f32 v1, v1, v22 :: v_dual_mul_f32 v212, v176, v125
	v_mul_f32_e32 v213, v178, v127
	v_add_f32_e32 v2, v2, v4
	s_delay_alu instid0(VALU_DEP_3) | instskip(SKIP_2) | instid1(VALU_DEP_3)
	v_dual_mul_f32 v4, v159, v17 :: v_dual_add_f32 v1, v1, v198
	v_dual_fmac_f32 v199, v151, v8 :: v_dual_mul_f32 v210, v172, v121
	v_mul_f32_e32 v211, v174, v123
	v_fma_f32 v4, v158, v16, -v4
	v_mul_f32_e32 v5, v157, v15
	v_add_f32_e32 v2, v2, v3
	v_add_f32_e32 v1, v1, v199
	v_dual_fmac_f32 v209, v171, v118 :: v_dual_mul_f32 v214, v180, v129
	v_mul_f32_e32 v215, v182, v131
	v_fma_f32 v5, v156, v14, -v5
	v_fmac_f32_e32 v201, v155, v12
	v_dual_fmac_f32 v206, v165, v24 :: v_dual_fmac_f32 v207, v167, v26
	v_fmac_f32_e32 v210, v173, v120
	s_delay_alu instid0(VALU_DEP_4) | instskip(SKIP_2) | instid1(VALU_DEP_3)
	v_add_f32_e32 v2, v2, v5
	v_mul_f32_e32 v5, v163, v21
	v_dual_mul_f32 v216, v184, v133 :: v_dual_mul_f32 v217, v186, v135
	v_dual_fmac_f32 v215, v183, v130 :: v_dual_add_f32 v2, v2, v4
	s_delay_alu instid0(VALU_DEP_3) | instskip(SKIP_4) | instid1(VALU_DEP_4)
	v_fma_f32 v5, v162, v20, -v5
	v_mul_f32_e32 v3, v161, v19
	v_dual_mul_f32 v4, v165, v25 :: v_dual_mul_f32 v219, v190, v139
	v_mul_f32_e32 v220, v192, v141
	v_fmac_f32_e32 v208, v169, v116
	v_fma_f32 v3, v160, v18, -v3
	v_add_f32_e32 v1, v1, v200
	v_fma_f32 v4, v164, v24, -v4
	v_dual_fmac_f32 v213, v179, v126 :: v_dual_fmac_f32 v216, v185, v132
	s_delay_alu instid0(VALU_DEP_4) | instskip(SKIP_3) | instid1(VALU_DEP_4)
	v_add_f32_e32 v2, v2, v3
	v_mul_f32_e32 v3, v167, v27
	v_fmac_f32_e32 v219, v191, v138
	v_dual_fmac_f32 v221, v195, v142 :: v_dual_fmac_f32 v212, v177, v124
	v_add_f32_e32 v2, v2, v5
	v_add_f32_e32 v1, v1, v201
	v_fma_f32 v3, v166, v26, -v3
	v_fmac_f32_e32 v214, v181, v128
	v_fmac_f32_e32 v218, v189, v136
	s_delay_alu instid0(VALU_DEP_4) | instskip(SKIP_3) | instid1(VALU_DEP_4)
	v_dual_add_f32 v2, v2, v4 :: v_dual_add_f32 v1, v1, v202
	v_mul_f32_e32 v4, v171, v119
	v_fmac_f32_e32 v205, v163, v20
	v_fmac_f32_e32 v220, v193, v140
	v_dual_add_f32 v2, v2, v3 :: v_dual_mul_f32 v3, v173, v121
	s_delay_alu instid0(VALU_DEP_4) | instskip(SKIP_1) | instid1(VALU_DEP_3)
	v_fma_f32 v4, v170, v118, -v4
	v_mul_f32_e32 v5, v169, v117
	v_fma_f32 v3, v172, v120, -v3
	s_delay_alu instid0(VALU_DEP_2) | instskip(NEXT) | instid1(VALU_DEP_1)
	v_fma_f32 v5, v168, v116, -v5
	v_dual_add_f32 v1, v1, v203 :: v_dual_add_f32 v2, v2, v5
	s_delay_alu instid0(VALU_DEP_1) | instskip(NEXT) | instid1(VALU_DEP_2)
	v_dual_mul_f32 v5, v175, v123 :: v_dual_add_f32 v2, v2, v4
	v_add_f32_e32 v1, v1, v204
	v_mul_f32_e32 v4, v177, v125
	s_delay_alu instid0(VALU_DEP_3) | instskip(NEXT) | instid1(VALU_DEP_4)
	v_fma_f32 v5, v174, v122, -v5
	v_dual_add_f32 v2, v2, v3 :: v_dual_fmac_f32 v211, v175, v122
	v_mul_f32_e32 v3, v179, v127
	s_delay_alu instid0(VALU_DEP_4) | instskip(NEXT) | instid1(VALU_DEP_3)
	v_fma_f32 v4, v176, v124, -v4
	v_add_f32_e32 v2, v2, v5
	v_add_f32_e32 v1, v1, v205
	s_delay_alu instid0(VALU_DEP_4) | instskip(NEXT) | instid1(VALU_DEP_3)
	v_fma_f32 v3, v178, v126, -v3
	v_dual_add_f32 v2, v2, v4 :: v_dual_mul_f32 v5, v181, v129
	s_delay_alu instid0(VALU_DEP_3) | instskip(NEXT) | instid1(VALU_DEP_2)
	v_dual_add_f32 v1, v1, v206 :: v_dual_mul_f32 v4, v183, v131
	v_add_f32_e32 v2, v2, v3
	s_delay_alu instid0(VALU_DEP_3) | instskip(NEXT) | instid1(VALU_DEP_3)
	v_fma_f32 v5, v180, v128, -v5
	v_add_f32_e32 v1, v1, v207
	v_mul_f32_e32 v3, v185, v133
	v_fma_f32 v4, v182, v130, -v4
	s_delay_alu instid0(VALU_DEP_4) | instskip(NEXT) | instid1(VALU_DEP_3)
	v_dual_add_f32 v2, v2, v5 :: v_dual_mul_f32 v5, v187, v135
	v_fma_f32 v3, v184, v132, -v3
	s_delay_alu instid0(VALU_DEP_2) | instskip(SKIP_3) | instid1(VALU_DEP_4)
	v_add_f32_e32 v2, v2, v4
	v_add_f32_e32 v1, v1, v208
	v_mul_f32_e32 v4, v189, v137
	v_fma_f32 v5, v186, v134, -v5
	v_dual_add_f32 v2, v2, v3 :: v_dual_fmac_f32 v217, v187, v134
	v_mul_f32_e32 v3, v191, v139
	s_delay_alu instid0(VALU_DEP_4) | instskip(NEXT) | instid1(VALU_DEP_3)
	v_fma_f32 v4, v188, v136, -v4
	v_add_f32_e32 v2, v2, v5
	v_add_f32_e32 v1, v1, v209
	s_delay_alu instid0(VALU_DEP_4) | instskip(NEXT) | instid1(VALU_DEP_2)
	v_fma_f32 v3, v190, v138, -v3
	v_dual_add_f32 v2, v2, v4 :: v_dual_add_f32 v1, v1, v210
	v_dual_mul_f32 v4, v195, v143 :: v_dual_mul_f32 v5, v193, v141
	s_delay_alu instid0(VALU_DEP_2) | instskip(NEXT) | instid1(VALU_DEP_2)
	v_add_f32_e32 v2, v2, v3
	v_fma_f32 v3, v194, v142, -v4
	s_delay_alu instid0(VALU_DEP_3) | instskip(NEXT) | instid1(VALU_DEP_1)
	v_fma_f32 v5, v192, v140, -v5
	v_dual_add_f32 v1, v1, v211 :: v_dual_add_f32 v2, v2, v5
	s_delay_alu instid0(VALU_DEP_1) | instskip(NEXT) | instid1(VALU_DEP_1)
	v_dual_add_f32 v1, v1, v212 :: v_dual_add_f32 v2, v2, v3
	v_add_f32_e32 v1, v1, v213
	s_delay_alu instid0(VALU_DEP_1) | instskip(NEXT) | instid1(VALU_DEP_1)
	v_add_f32_e32 v1, v1, v214
	v_add_f32_e32 v1, v1, v215
	s_delay_alu instid0(VALU_DEP_1) | instskip(NEXT) | instid1(VALU_DEP_1)
	v_add_f32_e32 v1, v1, v216
	;; [unrolled: 3-line block ×4, first 2 shown]
	v_add_f32_e32 v3, v1, v221
	s_wait_loadcnt 0x0
	s_delay_alu instid0(VALU_DEP_1)
	v_dual_sub_f32 v1, v196, v2 :: v_dual_sub_f32 v2, v197, v3
	scratch_store_b64 off, v[1:2], off offset:136
	v_cmpx_lt_u32_e32 16, v0
	s_cbranch_execz .LBB107_245
; %bb.244:
	scratch_load_b64 v[1:2], off, off offset:128
	v_mov_b32_e32 v3, 0
	s_delay_alu instid0(VALU_DEP_1)
	v_mov_b32_e32 v4, v3
	scratch_store_b64 off, v[3:4], off offset:128
	s_wait_loadcnt 0x0
	ds_store_b64 v23, v[1:2]
.LBB107_245:
	s_wait_alu 0xfffe
	s_or_b32 exec_lo, exec_lo, s0
	s_wait_storecnt_dscnt 0x0
	s_barrier_signal -1
	s_barrier_wait -1
	global_inv scope:SCOPE_SE
	s_clause 0xe
	scratch_load_b128 v[2:5], off, off offset:136
	scratch_load_b128 v[6:9], off, off offset:152
	;; [unrolled: 1-line block ×13, first 2 shown]
	scratch_load_b64 v[196:197], off, off offset:344
	scratch_load_b64 v[198:199], off, off offset:128
	v_mov_b32_e32 v1, 0
	ds_load_2addr_b64 v[144:147], v1 offset0:61 offset1:62
	ds_load_2addr_b64 v[148:151], v1 offset0:63 offset1:64
	ds_load_2addr_b64 v[152:155], v1 offset0:65 offset1:66
	ds_load_2addr_b64 v[156:159], v1 offset0:67 offset1:68
	ds_load_2addr_b64 v[160:163], v1 offset0:69 offset1:70
	ds_load_2addr_b64 v[164:167], v1 offset0:71 offset1:72
	ds_load_2addr_b64 v[168:171], v1 offset0:73 offset1:74
	ds_load_2addr_b64 v[172:175], v1 offset0:75 offset1:76
	ds_load_2addr_b64 v[176:179], v1 offset0:77 offset1:78
	ds_load_2addr_b64 v[180:183], v1 offset0:79 offset1:80
	ds_load_2addr_b64 v[184:187], v1 offset0:81 offset1:82
	ds_load_2addr_b64 v[188:191], v1 offset0:83 offset1:84
	ds_load_2addr_b64 v[192:195], v1 offset0:85 offset1:86
	ds_load_b64 v[200:201], v1 offset:696
	s_mov_b32 s0, exec_lo
	s_wait_loadcnt_dscnt 0xe0d
	v_mul_f32_e32 v22, v144, v3
	v_dual_mul_f32 v3, v145, v3 :: v_dual_mul_f32 v202, v146, v5
	s_wait_loadcnt_dscnt 0xa09
	v_dual_mul_f32 v203, v148, v7 :: v_dual_mul_f32 v210, v162, v21
	v_mul_f32_e32 v5, v147, v5
	s_delay_alu instid0(VALU_DEP_3) | instskip(SKIP_3) | instid1(VALU_DEP_4)
	v_fma_f32 v3, v144, v2, -v3
	v_dual_mul_f32 v204, v150, v9 :: v_dual_mul_f32 v205, v152, v11
	v_fmac_f32_e32 v22, v145, v2
	v_mul_f32_e32 v2, v149, v7
	v_dual_fmac_f32 v202, v147, v4 :: v_dual_add_f32 v3, 0, v3
	s_wait_loadcnt_dscnt 0x100
	v_mul_f32_e32 v227, v200, v197
	v_fma_f32 v4, v146, v4, -v5
	v_dual_add_f32 v5, 0, v22 :: v_dual_fmac_f32 v204, v151, v8
	v_mul_f32_e32 v7, v151, v9
	v_fma_f32 v2, v148, v6, -v2
	s_delay_alu instid0(VALU_DEP_4)
	v_add_f32_e32 v3, v3, v4
	v_fmac_f32_e32 v203, v149, v6
	v_add_f32_e32 v4, v5, v202
	v_mul_f32_e32 v5, v153, v11
	v_fma_f32 v6, v150, v8, -v7
	v_add_f32_e32 v2, v3, v2
	v_dual_mul_f32 v206, v154, v13 :: v_dual_mul_f32 v207, v156, v15
	v_dual_add_f32 v3, v4, v203 :: v_dual_mul_f32 v4, v155, v13
	v_fma_f32 v5, v152, v10, -v5
	s_delay_alu instid0(VALU_DEP_4)
	v_add_f32_e32 v2, v2, v6
	v_fmac_f32_e32 v205, v153, v10
	v_mul_f32_e32 v6, v157, v15
	v_fmac_f32_e32 v206, v155, v12
	v_add_f32_e32 v3, v3, v204
	v_fma_f32 v4, v154, v12, -v4
	v_add_f32_e32 v2, v2, v5
	v_dual_mul_f32 v208, v158, v17 :: v_dual_mul_f32 v209, v160, v19
	s_delay_alu instid0(VALU_DEP_4)
	v_add_f32_e32 v3, v3, v205
	v_mul_f32_e32 v5, v159, v17
	v_fma_f32 v6, v156, v14, -v6
	v_dual_add_f32 v2, v2, v4 :: v_dual_fmac_f32 v207, v157, v14
	v_fmac_f32_e32 v208, v159, v16
	v_mul_f32_e32 v4, v161, v19
	v_fma_f32 v5, v158, v16, -v5
	s_delay_alu instid0(VALU_DEP_4) | instskip(SKIP_3) | instid1(VALU_DEP_3)
	v_add_f32_e32 v2, v2, v6
	v_add_f32_e32 v3, v3, v206
	v_dual_mul_f32 v6, v163, v21 :: v_dual_fmac_f32 v209, v161, v18
	v_fma_f32 v4, v160, v18, -v4
	v_dual_add_f32 v2, v2, v5 :: v_dual_add_f32 v3, v3, v207
	s_delay_alu instid0(VALU_DEP_3) | instskip(SKIP_1) | instid1(VALU_DEP_3)
	v_fma_f32 v6, v162, v20, -v6
	v_dual_mul_f32 v211, v164, v25 :: v_dual_mul_f32 v212, v166, v27
	v_add_f32_e32 v2, v2, v4
	s_delay_alu instid0(VALU_DEP_4) | instskip(SKIP_1) | instid1(VALU_DEP_4)
	v_add_f32_e32 v3, v3, v208
	v_dual_mul_f32 v5, v165, v25 :: v_dual_fmac_f32 v210, v163, v20
	v_dual_mul_f32 v4, v167, v27 :: v_dual_fmac_f32 v211, v165, v24
	s_delay_alu instid0(VALU_DEP_3) | instskip(NEXT) | instid1(VALU_DEP_3)
	v_dual_add_f32 v2, v2, v6 :: v_dual_add_f32 v3, v3, v209
	v_fma_f32 v5, v164, v24, -v5
	v_dual_mul_f32 v213, v168, v117 :: v_dual_mul_f32 v214, v170, v119
	s_delay_alu instid0(VALU_DEP_3) | instskip(NEXT) | instid1(VALU_DEP_2)
	v_dual_mul_f32 v6, v169, v117 :: v_dual_add_f32 v3, v3, v210
	v_dual_fmac_f32 v212, v167, v26 :: v_dual_fmac_f32 v213, v169, v116
	v_fma_f32 v4, v166, v26, -v4
	s_delay_alu instid0(VALU_DEP_3) | instskip(SKIP_3) | instid1(VALU_DEP_4)
	v_dual_add_f32 v2, v2, v5 :: v_dual_add_f32 v3, v3, v211
	v_mul_f32_e32 v5, v171, v119
	v_fma_f32 v6, v168, v116, -v6
	v_dual_mul_f32 v215, v172, v121 :: v_dual_mul_f32 v216, v174, v123
	v_add_f32_e32 v2, v2, v4
	v_dual_add_f32 v3, v3, v212 :: v_dual_mul_f32 v4, v173, v121
	s_delay_alu instid0(VALU_DEP_3) | instskip(SKIP_1) | instid1(VALU_DEP_3)
	v_dual_fmac_f32 v214, v171, v118 :: v_dual_fmac_f32 v215, v173, v120
	v_fma_f32 v5, v170, v118, -v5
	v_dual_add_f32 v2, v2, v6 :: v_dual_add_f32 v3, v3, v213
	v_mul_f32_e32 v6, v175, v123
	v_fma_f32 v4, v172, v120, -v4
	v_dual_mul_f32 v217, v176, v125 :: v_dual_mul_f32 v218, v178, v127
	s_delay_alu instid0(VALU_DEP_4) | instskip(SKIP_1) | instid1(VALU_DEP_3)
	v_dual_add_f32 v2, v2, v5 :: v_dual_add_f32 v3, v3, v214
	v_dual_mul_f32 v5, v177, v125 :: v_dual_fmac_f32 v216, v175, v122
	v_fmac_f32_e32 v217, v177, v124
	v_fma_f32 v6, v174, v122, -v6
	s_delay_alu instid0(VALU_DEP_4) | instskip(SKIP_2) | instid1(VALU_DEP_2)
	v_dual_add_f32 v2, v2, v4 :: v_dual_add_f32 v3, v3, v215
	v_dual_mul_f32 v219, v180, v129 :: v_dual_mul_f32 v220, v182, v131
	v_dual_mul_f32 v221, v184, v133 :: v_dual_mul_f32 v222, v186, v135
	v_dual_mul_f32 v4, v179, v127 :: v_dual_fmac_f32 v219, v181, v128
	v_fma_f32 v5, v176, v124, -v5
	v_dual_add_f32 v2, v2, v6 :: v_dual_add_f32 v3, v3, v216
	v_mul_f32_e32 v6, v181, v129
	v_dual_fmac_f32 v218, v179, v126 :: v_dual_fmac_f32 v221, v185, v132
	v_fma_f32 v4, v178, v126, -v4
	s_delay_alu instid0(VALU_DEP_4) | instskip(SKIP_3) | instid1(VALU_DEP_3)
	v_add_f32_e32 v3, v3, v217
	v_dual_add_f32 v2, v2, v5 :: v_dual_mul_f32 v5, v183, v131
	v_fma_f32 v6, v180, v128, -v6
	v_dual_mul_f32 v225, v192, v141 :: v_dual_mul_f32 v226, v194, v143
	v_dual_add_f32 v3, v3, v218 :: v_dual_add_f32 v2, v2, v4
	v_mul_f32_e32 v4, v185, v133
	v_fmac_f32_e32 v220, v183, v130
	v_fma_f32 v5, v182, v130, -v5
	s_delay_alu instid0(VALU_DEP_4) | instskip(SKIP_3) | instid1(VALU_DEP_4)
	v_dual_add_f32 v3, v3, v219 :: v_dual_add_f32 v2, v2, v6
	v_dual_mul_f32 v223, v188, v137 :: v_dual_mul_f32 v224, v190, v139
	v_mul_f32_e32 v6, v187, v135
	v_dual_fmac_f32 v222, v187, v134 :: v_dual_fmac_f32 v225, v193, v140
	v_add_f32_e32 v2, v2, v5
	v_mul_f32_e32 v5, v189, v137
	v_add_f32_e32 v3, v3, v220
	v_fma_f32 v4, v184, v132, -v4
	v_fmac_f32_e32 v223, v189, v136
	v_fma_f32 v6, v186, v134, -v6
	v_fma_f32 v5, v188, v136, -v5
	v_add_f32_e32 v3, v3, v221
	v_dual_fmac_f32 v224, v191, v138 :: v_dual_fmac_f32 v227, v201, v196
	v_fmac_f32_e32 v226, v195, v142
	s_delay_alu instid0(VALU_DEP_3) | instskip(SKIP_1) | instid1(VALU_DEP_2)
	v_dual_add_f32 v3, v3, v222 :: v_dual_add_f32 v2, v2, v4
	v_mul_f32_e32 v4, v191, v139
	v_dual_add_f32 v3, v3, v223 :: v_dual_add_f32 v2, v2, v6
	v_mul_f32_e32 v6, v193, v141
	s_delay_alu instid0(VALU_DEP_3) | instskip(NEXT) | instid1(VALU_DEP_3)
	v_fma_f32 v4, v190, v138, -v4
	v_dual_add_f32 v3, v3, v224 :: v_dual_add_f32 v2, v2, v5
	v_mul_f32_e32 v5, v195, v143
	s_delay_alu instid0(VALU_DEP_4) | instskip(NEXT) | instid1(VALU_DEP_3)
	v_fma_f32 v6, v192, v140, -v6
	v_dual_add_f32 v3, v3, v225 :: v_dual_add_f32 v2, v2, v4
	v_mul_f32_e32 v4, v201, v197
	s_delay_alu instid0(VALU_DEP_4) | instskip(NEXT) | instid1(VALU_DEP_3)
	v_fma_f32 v5, v194, v142, -v5
	v_add_f32_e32 v3, v3, v226
	s_delay_alu instid0(VALU_DEP_4) | instskip(NEXT) | instid1(VALU_DEP_4)
	v_add_f32_e32 v2, v2, v6
	v_fma_f32 v4, v200, v196, -v4
	s_delay_alu instid0(VALU_DEP_2) | instskip(SKIP_1) | instid1(VALU_DEP_1)
	v_dual_add_f32 v3, v3, v227 :: v_dual_add_f32 v2, v2, v5
	s_wait_loadcnt 0x0
	v_dual_sub_f32 v3, v199, v3 :: v_dual_add_f32 v2, v2, v4
	s_delay_alu instid0(VALU_DEP_1)
	v_sub_f32_e32 v2, v198, v2
	scratch_store_b64 off, v[2:3], off offset:128
	v_cmpx_lt_u32_e32 15, v0
	s_cbranch_execz .LBB107_247
; %bb.246:
	scratch_load_b64 v[3:4], off, off offset:120
	v_mov_b32_e32 v2, v1
	scratch_store_b64 off, v[1:2], off offset:120
	s_wait_loadcnt 0x0
	ds_store_b64 v23, v[3:4]
.LBB107_247:
	s_wait_alu 0xfffe
	s_or_b32 exec_lo, exec_lo, s0
	s_wait_storecnt_dscnt 0x0
	s_barrier_signal -1
	s_barrier_wait -1
	global_inv scope:SCOPE_SE
	s_clause 0xe
	scratch_load_b128 v[2:5], off, off offset:128
	scratch_load_b128 v[6:9], off, off offset:144
	;; [unrolled: 1-line block ×14, first 2 shown]
	scratch_load_b64 v[204:205], off, off offset:120
	ds_load_b128 v[148:151], v1 offset:480
	ds_load_b128 v[152:155], v1 offset:496
	ds_load_b128 v[156:159], v1 offset:512
	ds_load_b128 v[160:163], v1 offset:528
	ds_load_b128 v[164:167], v1 offset:544
	ds_load_b128 v[168:171], v1 offset:560
	ds_load_b128 v[172:175], v1 offset:576
	ds_load_b128 v[176:179], v1 offset:592
	ds_load_b128 v[180:183], v1 offset:608
	ds_load_b128 v[184:187], v1 offset:624
	ds_load_b128 v[188:191], v1 offset:640
	ds_load_b128 v[192:195], v1 offset:656
	ds_load_b128 v[196:199], v1 offset:672
	ds_load_b128 v[200:203], v1 offset:688
	s_mov_b32 s0, exec_lo
	s_wait_loadcnt_dscnt 0xe0d
	v_dual_mul_f32 v1, v148, v3 :: v_dual_mul_f32 v22, v150, v5
	s_wait_loadcnt_dscnt 0xd0c
	v_dual_mul_f32 v5, v151, v5 :: v_dual_mul_f32 v206, v152, v7
	v_mul_f32_e32 v207, v154, v9
	s_wait_loadcnt_dscnt 0xc0b
	v_dual_fmac_f32 v1, v149, v2 :: v_dual_mul_f32 v208, v156, v11
	v_mul_f32_e32 v209, v158, v13
	v_dual_mul_f32 v3, v149, v3 :: v_dual_fmac_f32 v22, v151, v4
	s_wait_loadcnt_dscnt 0xb0a
	v_dual_mul_f32 v210, v160, v15 :: v_dual_mul_f32 v211, v162, v17
	s_wait_loadcnt_dscnt 0x201
	v_mul_f32_e32 v228, v196, v141
	v_fma_f32 v3, v148, v2, -v3
	s_wait_loadcnt_dscnt 0x100
	v_mul_f32_e32 v231, v202, v147
	v_mul_f32_e32 v2, v153, v7
	v_fma_f32 v4, v150, v4, -v5
	v_dual_mul_f32 v5, v155, v9 :: v_dual_fmac_f32 v208, v157, v10
	v_dual_add_f32 v3, 0, v3 :: v_dual_fmac_f32 v206, v153, v6
	s_delay_alu instid0(VALU_DEP_4) | instskip(NEXT) | instid1(VALU_DEP_3)
	v_fma_f32 v2, v152, v6, -v2
	v_fma_f32 v5, v154, v8, -v5
	s_delay_alu instid0(VALU_DEP_3) | instskip(SKIP_2) | instid1(VALU_DEP_3)
	v_dual_fmac_f32 v210, v161, v14 :: v_dual_add_f32 v3, v3, v4
	v_dual_mul_f32 v212, v164, v19 :: v_dual_mul_f32 v213, v166, v21
	v_dual_mul_f32 v214, v168, v25 :: v_dual_mul_f32 v215, v170, v27
	v_add_f32_e32 v2, v3, v2
	s_delay_alu instid0(VALU_DEP_3) | instskip(SKIP_1) | instid1(VALU_DEP_3)
	v_dual_mul_f32 v3, v159, v13 :: v_dual_fmac_f32 v212, v165, v18
	v_dual_fmac_f32 v211, v163, v16 :: v_dual_mul_f32 v4, v157, v11
	v_add_f32_e32 v2, v2, v5
	v_add_f32_e32 v1, 0, v1
	s_delay_alu instid0(VALU_DEP_4) | instskip(SKIP_2) | instid1(VALU_DEP_4)
	v_fma_f32 v3, v158, v12, -v3
	v_dual_mul_f32 v216, v172, v117 :: v_dual_mul_f32 v217, v174, v119
	v_fma_f32 v4, v156, v10, -v4
	v_dual_add_f32 v1, v1, v22 :: v_dual_mul_f32 v220, v180, v125
	v_dual_mul_f32 v221, v182, v127 :: v_dual_mul_f32 v218, v176, v121
	v_mul_f32_e32 v219, v178, v123
	s_delay_alu instid0(VALU_DEP_3) | instskip(SKIP_2) | instid1(VALU_DEP_3)
	v_dual_add_f32 v2, v2, v4 :: v_dual_add_f32 v1, v1, v206
	v_mul_f32_e32 v4, v163, v17
	v_fmac_f32_e32 v207, v155, v8
	v_dual_fmac_f32 v217, v175, v118 :: v_dual_add_f32 v2, v2, v3
	v_dual_mul_f32 v222, v184, v129 :: v_dual_mul_f32 v223, v186, v131
	s_delay_alu instid0(VALU_DEP_4) | instskip(SKIP_4) | instid1(VALU_DEP_4)
	v_fma_f32 v4, v162, v16, -v4
	v_mul_f32_e32 v5, v161, v15
	v_add_f32_e32 v1, v1, v207
	v_dual_fmac_f32 v215, v171, v26 :: v_dual_fmac_f32 v218, v177, v120
	v_fmac_f32_e32 v214, v169, v24
	v_fma_f32 v5, v160, v14, -v5
	v_dual_fmac_f32 v209, v159, v12 :: v_dual_mul_f32 v226, v192, v137
	v_dual_mul_f32 v227, v194, v139 :: v_dual_mul_f32 v224, v188, v133
	v_mul_f32_e32 v225, v190, v135
	s_delay_alu instid0(VALU_DEP_4) | instskip(SKIP_3) | instid1(VALU_DEP_4)
	v_add_f32_e32 v2, v2, v5
	v_mul_f32_e32 v5, v167, v21
	v_fmac_f32_e32 v223, v187, v130
	v_dual_fmac_f32 v221, v183, v126 :: v_dual_fmac_f32 v224, v189, v132
	v_add_f32_e32 v2, v2, v4
	s_delay_alu instid0(VALU_DEP_4) | instskip(SKIP_4) | instid1(VALU_DEP_4)
	v_fma_f32 v5, v166, v20, -v5
	v_mul_f32_e32 v3, v165, v19
	v_mul_f32_e32 v4, v169, v25
	v_dual_fmac_f32 v216, v173, v116 :: v_dual_mul_f32 v229, v198, v143
	v_mul_f32_e32 v230, v200, v145
	v_fma_f32 v3, v164, v18, -v3
	v_add_f32_e32 v1, v1, v208
	v_fma_f32 v4, v168, v24, -v4
	s_delay_alu instid0(VALU_DEP_4) | instskip(NEXT) | instid1(VALU_DEP_4)
	v_dual_fmac_f32 v227, v195, v138 :: v_dual_fmac_f32 v230, v201, v144
	v_add_f32_e32 v2, v2, v3
	v_mul_f32_e32 v3, v171, v27
	v_fmac_f32_e32 v229, v199, v142
	v_dual_fmac_f32 v231, v203, v146 :: v_dual_fmac_f32 v220, v181, v124
	s_delay_alu instid0(VALU_DEP_4) | instskip(SKIP_4) | instid1(VALU_DEP_4)
	v_add_f32_e32 v2, v2, v5
	v_add_f32_e32 v1, v1, v209
	v_fma_f32 v3, v170, v26, -v3
	v_fmac_f32_e32 v222, v185, v128
	v_fmac_f32_e32 v226, v193, v136
	v_dual_add_f32 v2, v2, v4 :: v_dual_add_f32 v1, v1, v210
	v_mul_f32_e32 v4, v175, v119
	v_fmac_f32_e32 v213, v167, v20
	v_fmac_f32_e32 v228, v197, v140
	s_delay_alu instid0(VALU_DEP_4) | instskip(NEXT) | instid1(VALU_DEP_4)
	v_dual_add_f32 v2, v2, v3 :: v_dual_mul_f32 v3, v177, v121
	v_fma_f32 v4, v174, v118, -v4
	v_mul_f32_e32 v5, v173, v117
	s_delay_alu instid0(VALU_DEP_3) | instskip(NEXT) | instid1(VALU_DEP_2)
	v_fma_f32 v3, v176, v120, -v3
	v_fma_f32 v5, v172, v116, -v5
	s_delay_alu instid0(VALU_DEP_1) | instskip(NEXT) | instid1(VALU_DEP_1)
	v_dual_add_f32 v1, v1, v211 :: v_dual_add_f32 v2, v2, v5
	v_dual_mul_f32 v5, v179, v123 :: v_dual_add_f32 v2, v2, v4
	s_delay_alu instid0(VALU_DEP_2) | instskip(SKIP_1) | instid1(VALU_DEP_3)
	v_add_f32_e32 v1, v1, v212
	v_mul_f32_e32 v4, v181, v125
	v_fma_f32 v5, v178, v122, -v5
	s_delay_alu instid0(VALU_DEP_4) | instskip(SKIP_1) | instid1(VALU_DEP_4)
	v_dual_add_f32 v2, v2, v3 :: v_dual_fmac_f32 v219, v179, v122
	v_mul_f32_e32 v3, v183, v127
	v_fma_f32 v4, v180, v124, -v4
	s_delay_alu instid0(VALU_DEP_3) | instskip(SKIP_1) | instid1(VALU_DEP_4)
	v_add_f32_e32 v2, v2, v5
	v_add_f32_e32 v1, v1, v213
	v_fma_f32 v3, v182, v126, -v3
	s_delay_alu instid0(VALU_DEP_3) | instskip(NEXT) | instid1(VALU_DEP_3)
	v_dual_add_f32 v2, v2, v4 :: v_dual_mul_f32 v5, v185, v129
	v_dual_add_f32 v1, v1, v214 :: v_dual_mul_f32 v4, v187, v131
	s_delay_alu instid0(VALU_DEP_2) | instskip(NEXT) | instid1(VALU_DEP_3)
	v_add_f32_e32 v2, v2, v3
	v_fma_f32 v5, v184, v128, -v5
	s_delay_alu instid0(VALU_DEP_3) | instskip(SKIP_2) | instid1(VALU_DEP_4)
	v_add_f32_e32 v1, v1, v215
	v_mul_f32_e32 v3, v189, v133
	v_fma_f32 v4, v186, v130, -v4
	v_dual_add_f32 v2, v2, v5 :: v_dual_mul_f32 v5, v191, v135
	s_delay_alu instid0(VALU_DEP_3) | instskip(NEXT) | instid1(VALU_DEP_2)
	v_fma_f32 v3, v188, v132, -v3
	v_add_f32_e32 v2, v2, v4
	v_add_f32_e32 v1, v1, v216
	v_mul_f32_e32 v4, v193, v137
	v_fma_f32 v5, v190, v134, -v5
	s_delay_alu instid0(VALU_DEP_4) | instskip(SKIP_1) | instid1(VALU_DEP_4)
	v_dual_add_f32 v2, v2, v3 :: v_dual_fmac_f32 v225, v191, v134
	v_mul_f32_e32 v3, v195, v139
	v_fma_f32 v4, v192, v136, -v4
	s_delay_alu instid0(VALU_DEP_3) | instskip(SKIP_1) | instid1(VALU_DEP_4)
	v_add_f32_e32 v2, v2, v5
	v_add_f32_e32 v1, v1, v217
	v_fma_f32 v3, v194, v138, -v3
	s_delay_alu instid0(VALU_DEP_3) | instskip(NEXT) | instid1(VALU_DEP_3)
	v_dual_add_f32 v2, v2, v4 :: v_dual_mul_f32 v5, v197, v141
	v_dual_add_f32 v1, v1, v218 :: v_dual_mul_f32 v4, v199, v143
	s_delay_alu instid0(VALU_DEP_2) | instskip(NEXT) | instid1(VALU_DEP_3)
	v_add_f32_e32 v2, v2, v3
	v_fma_f32 v5, v196, v140, -v5
	s_delay_alu instid0(VALU_DEP_3) | instskip(SKIP_2) | instid1(VALU_DEP_4)
	v_add_f32_e32 v1, v1, v219
	v_mul_f32_e32 v3, v201, v145
	v_fma_f32 v4, v198, v142, -v4
	v_dual_add_f32 v2, v2, v5 :: v_dual_mul_f32 v5, v203, v147
	s_delay_alu instid0(VALU_DEP_3) | instskip(NEXT) | instid1(VALU_DEP_2)
	v_fma_f32 v3, v200, v144, -v3
	v_add_f32_e32 v2, v2, v4
	v_add_f32_e32 v1, v1, v220
	s_delay_alu instid0(VALU_DEP_4) | instskip(NEXT) | instid1(VALU_DEP_2)
	v_fma_f32 v4, v202, v146, -v5
	v_dual_add_f32 v2, v2, v3 :: v_dual_add_f32 v1, v1, v221
	s_delay_alu instid0(VALU_DEP_1) | instskip(NEXT) | instid1(VALU_DEP_1)
	v_dual_add_f32 v2, v2, v4 :: v_dual_add_f32 v1, v1, v222
	v_add_f32_e32 v1, v1, v223
	s_delay_alu instid0(VALU_DEP_1) | instskip(NEXT) | instid1(VALU_DEP_1)
	v_add_f32_e32 v1, v1, v224
	v_add_f32_e32 v1, v1, v225
	s_delay_alu instid0(VALU_DEP_1) | instskip(NEXT) | instid1(VALU_DEP_1)
	v_add_f32_e32 v1, v1, v226
	;; [unrolled: 3-line block ×4, first 2 shown]
	v_add_f32_e32 v3, v1, v231
	s_wait_loadcnt 0x0
	s_delay_alu instid0(VALU_DEP_1)
	v_dual_sub_f32 v1, v204, v2 :: v_dual_sub_f32 v2, v205, v3
	scratch_store_b64 off, v[1:2], off offset:120
	v_cmpx_lt_u32_e32 14, v0
	s_cbranch_execz .LBB107_249
; %bb.248:
	scratch_load_b64 v[1:2], off, off offset:112
	v_mov_b32_e32 v3, 0
	s_delay_alu instid0(VALU_DEP_1)
	v_mov_b32_e32 v4, v3
	scratch_store_b64 off, v[3:4], off offset:112
	s_wait_loadcnt 0x0
	ds_store_b64 v23, v[1:2]
.LBB107_249:
	s_wait_alu 0xfffe
	s_or_b32 exec_lo, exec_lo, s0
	s_wait_storecnt_dscnt 0x0
	s_barrier_signal -1
	s_barrier_wait -1
	global_inv scope:SCOPE_SE
	s_clause 0xf
	scratch_load_b128 v[2:5], off, off offset:120
	scratch_load_b128 v[6:9], off, off offset:136
	;; [unrolled: 1-line block ×14, first 2 shown]
	scratch_load_b64 v[204:205], off, off offset:344
	scratch_load_b64 v[206:207], off, off offset:112
	v_mov_b32_e32 v1, 0
	ds_load_2addr_b64 v[148:151], v1 offset0:59 offset1:60
	ds_load_2addr_b64 v[152:155], v1 offset0:61 offset1:62
	;; [unrolled: 1-line block ×14, first 2 shown]
	ds_load_b64 v[208:209], v1 offset:696
	s_mov_b32 s0, exec_lo
	s_wait_loadcnt_dscnt 0xf0e
	v_mul_f32_e32 v22, v148, v3
	v_dual_mul_f32 v3, v149, v3 :: v_dual_mul_f32 v210, v150, v5
	s_wait_loadcnt_dscnt 0xb0a
	v_dual_mul_f32 v211, v152, v7 :: v_dual_mul_f32 v218, v166, v21
	v_mul_f32_e32 v5, v151, v5
	s_delay_alu instid0(VALU_DEP_3)
	v_fma_f32 v3, v148, v2, -v3
	v_dual_mul_f32 v212, v154, v9 :: v_dual_mul_f32 v213, v156, v11
	v_fmac_f32_e32 v210, v151, v4
	v_fmac_f32_e32 v22, v149, v2
	v_mul_f32_e32 v2, v153, v7
	v_fma_f32 v4, v150, v4, -v5
	v_add_f32_e32 v3, 0, v3
	s_wait_loadcnt_dscnt 0x100
	v_mul_f32_e32 v237, v208, v205
	v_dual_add_f32 v5, 0, v22 :: v_dual_fmac_f32 v212, v155, v8
	v_mul_f32_e32 v7, v155, v9
	v_fma_f32 v2, v152, v6, -v2
	v_add_f32_e32 v3, v3, v4
	v_fmac_f32_e32 v211, v153, v6
	v_add_f32_e32 v4, v5, v210
	v_mul_f32_e32 v5, v157, v11
	v_fma_f32 v6, v154, v8, -v7
	v_add_f32_e32 v2, v3, v2
	v_dual_mul_f32 v214, v158, v13 :: v_dual_mul_f32 v215, v160, v15
	v_dual_add_f32 v3, v4, v211 :: v_dual_mul_f32 v4, v159, v13
	v_fma_f32 v5, v156, v10, -v5
	s_delay_alu instid0(VALU_DEP_4)
	v_add_f32_e32 v2, v2, v6
	v_fmac_f32_e32 v213, v157, v10
	v_mul_f32_e32 v6, v161, v15
	v_fmac_f32_e32 v214, v159, v12
	v_add_f32_e32 v3, v3, v212
	v_fma_f32 v4, v158, v12, -v4
	v_add_f32_e32 v2, v2, v5
	v_dual_mul_f32 v216, v162, v17 :: v_dual_mul_f32 v217, v164, v19
	s_delay_alu instid0(VALU_DEP_4)
	v_add_f32_e32 v3, v3, v213
	v_mul_f32_e32 v5, v163, v17
	v_fma_f32 v6, v160, v14, -v6
	v_dual_add_f32 v2, v2, v4 :: v_dual_fmac_f32 v215, v161, v14
	v_fmac_f32_e32 v216, v163, v16
	v_mul_f32_e32 v4, v165, v19
	v_fma_f32 v5, v162, v16, -v5
	s_delay_alu instid0(VALU_DEP_4) | instskip(SKIP_3) | instid1(VALU_DEP_3)
	v_add_f32_e32 v2, v2, v6
	v_add_f32_e32 v3, v3, v214
	v_dual_mul_f32 v6, v167, v21 :: v_dual_fmac_f32 v217, v165, v18
	v_fma_f32 v4, v164, v18, -v4
	v_dual_add_f32 v2, v2, v5 :: v_dual_add_f32 v3, v3, v215
	s_delay_alu instid0(VALU_DEP_3) | instskip(SKIP_1) | instid1(VALU_DEP_3)
	v_fma_f32 v6, v166, v20, -v6
	v_dual_mul_f32 v219, v168, v25 :: v_dual_mul_f32 v220, v170, v27
	v_add_f32_e32 v2, v2, v4
	s_delay_alu instid0(VALU_DEP_4) | instskip(SKIP_1) | instid1(VALU_DEP_4)
	v_add_f32_e32 v3, v3, v216
	v_dual_mul_f32 v5, v169, v25 :: v_dual_fmac_f32 v218, v167, v20
	v_dual_mul_f32 v4, v171, v27 :: v_dual_fmac_f32 v219, v169, v24
	s_delay_alu instid0(VALU_DEP_3) | instskip(NEXT) | instid1(VALU_DEP_3)
	v_dual_add_f32 v2, v2, v6 :: v_dual_add_f32 v3, v3, v217
	v_fma_f32 v5, v168, v24, -v5
	v_dual_mul_f32 v221, v172, v117 :: v_dual_mul_f32 v222, v174, v119
	s_delay_alu instid0(VALU_DEP_3) | instskip(NEXT) | instid1(VALU_DEP_2)
	v_dual_mul_f32 v6, v173, v117 :: v_dual_add_f32 v3, v3, v218
	v_dual_fmac_f32 v220, v171, v26 :: v_dual_fmac_f32 v221, v173, v116
	v_fma_f32 v4, v170, v26, -v4
	s_delay_alu instid0(VALU_DEP_3) | instskip(SKIP_3) | instid1(VALU_DEP_4)
	v_dual_add_f32 v2, v2, v5 :: v_dual_add_f32 v3, v3, v219
	v_mul_f32_e32 v5, v175, v119
	v_fma_f32 v6, v172, v116, -v6
	v_dual_mul_f32 v223, v176, v121 :: v_dual_mul_f32 v224, v178, v123
	v_add_f32_e32 v2, v2, v4
	v_dual_add_f32 v3, v3, v220 :: v_dual_mul_f32 v4, v177, v121
	s_delay_alu instid0(VALU_DEP_3) | instskip(SKIP_1) | instid1(VALU_DEP_3)
	v_dual_fmac_f32 v222, v175, v118 :: v_dual_fmac_f32 v223, v177, v120
	v_fma_f32 v5, v174, v118, -v5
	v_dual_add_f32 v2, v2, v6 :: v_dual_add_f32 v3, v3, v221
	v_mul_f32_e32 v6, v179, v123
	v_fma_f32 v4, v176, v120, -v4
	v_dual_mul_f32 v225, v180, v125 :: v_dual_mul_f32 v226, v182, v127
	s_delay_alu instid0(VALU_DEP_4) | instskip(SKIP_1) | instid1(VALU_DEP_3)
	v_dual_add_f32 v2, v2, v5 :: v_dual_add_f32 v3, v3, v222
	v_dual_mul_f32 v5, v181, v125 :: v_dual_fmac_f32 v224, v179, v122
	v_fmac_f32_e32 v225, v181, v124
	v_fma_f32 v6, v178, v122, -v6
	s_delay_alu instid0(VALU_DEP_4) | instskip(SKIP_2) | instid1(VALU_DEP_2)
	v_dual_add_f32 v2, v2, v4 :: v_dual_add_f32 v3, v3, v223
	v_dual_mul_f32 v227, v184, v129 :: v_dual_mul_f32 v228, v186, v131
	v_dual_mul_f32 v229, v188, v133 :: v_dual_mul_f32 v230, v190, v135
	v_dual_mul_f32 v4, v183, v127 :: v_dual_fmac_f32 v227, v185, v128
	v_fma_f32 v5, v180, v124, -v5
	v_dual_add_f32 v2, v2, v6 :: v_dual_add_f32 v3, v3, v224
	v_mul_f32_e32 v6, v185, v129
	v_dual_fmac_f32 v226, v183, v126 :: v_dual_fmac_f32 v229, v189, v132
	v_fma_f32 v4, v182, v126, -v4
	s_delay_alu instid0(VALU_DEP_4) | instskip(SKIP_3) | instid1(VALU_DEP_3)
	v_add_f32_e32 v3, v3, v225
	v_dual_add_f32 v2, v2, v5 :: v_dual_mul_f32 v5, v187, v131
	v_fma_f32 v6, v184, v128, -v6
	v_dual_mul_f32 v233, v196, v141 :: v_dual_mul_f32 v234, v198, v143
	v_dual_add_f32 v3, v3, v226 :: v_dual_add_f32 v2, v2, v4
	v_mul_f32_e32 v4, v189, v133
	v_fmac_f32_e32 v228, v187, v130
	v_fma_f32 v5, v186, v130, -v5
	s_delay_alu instid0(VALU_DEP_4) | instskip(SKIP_3) | instid1(VALU_DEP_4)
	v_dual_add_f32 v3, v3, v227 :: v_dual_add_f32 v2, v2, v6
	v_dual_mul_f32 v231, v192, v137 :: v_dual_mul_f32 v232, v194, v139
	v_mul_f32_e32 v6, v191, v135
	v_dual_fmac_f32 v230, v191, v134 :: v_dual_fmac_f32 v233, v197, v140
	v_add_f32_e32 v2, v2, v5
	v_mul_f32_e32 v5, v193, v137
	v_add_f32_e32 v3, v3, v228
	v_fma_f32 v4, v188, v132, -v4
	v_fmac_f32_e32 v231, v193, v136
	v_fma_f32 v6, v190, v134, -v6
	v_dual_mul_f32 v235, v200, v145 :: v_dual_mul_f32 v236, v202, v147
	v_add_f32_e32 v3, v3, v229
	v_fma_f32 v5, v192, v136, -v5
	s_delay_alu instid0(VALU_DEP_3) | instskip(NEXT) | instid1(VALU_DEP_4)
	v_dual_fmac_f32 v232, v195, v138 :: v_dual_fmac_f32 v235, v201, v144
	v_fmac_f32_e32 v236, v203, v146
	s_delay_alu instid0(VALU_DEP_4) | instskip(SKIP_2) | instid1(VALU_DEP_3)
	v_dual_add_f32 v3, v3, v230 :: v_dual_add_f32 v2, v2, v4
	v_mul_f32_e32 v4, v195, v139
	v_dual_fmac_f32 v234, v199, v142 :: v_dual_fmac_f32 v237, v209, v204
	v_dual_add_f32 v3, v3, v231 :: v_dual_add_f32 v2, v2, v6
	v_mul_f32_e32 v6, v197, v141
	s_delay_alu instid0(VALU_DEP_4) | instskip(NEXT) | instid1(VALU_DEP_3)
	v_fma_f32 v4, v194, v138, -v4
	v_dual_add_f32 v2, v2, v5 :: v_dual_mul_f32 v5, v199, v143
	s_delay_alu instid0(VALU_DEP_3) | instskip(NEXT) | instid1(VALU_DEP_2)
	v_fma_f32 v6, v196, v140, -v6
	v_add_f32_e32 v2, v2, v4
	s_delay_alu instid0(VALU_DEP_3) | instskip(NEXT) | instid1(VALU_DEP_2)
	v_fma_f32 v5, v198, v142, -v5
	v_add_f32_e32 v2, v2, v6
	v_mul_f32_e32 v6, v203, v147
	s_delay_alu instid0(VALU_DEP_2) | instskip(SKIP_2) | instid1(VALU_DEP_4)
	v_add_f32_e32 v2, v2, v5
	v_mul_f32_e32 v5, v209, v205
	v_add_f32_e32 v3, v3, v232
	v_fma_f32 v6, v202, v146, -v6
	s_delay_alu instid0(VALU_DEP_2) | instskip(NEXT) | instid1(VALU_DEP_1)
	v_add_f32_e32 v3, v3, v233
	v_dual_mul_f32 v4, v201, v145 :: v_dual_add_f32 v3, v3, v234
	s_delay_alu instid0(VALU_DEP_1) | instskip(NEXT) | instid1(VALU_DEP_2)
	v_fma_f32 v4, v200, v144, -v4
	v_add_f32_e32 v3, v3, v235
	s_delay_alu instid0(VALU_DEP_1) | instskip(NEXT) | instid1(VALU_DEP_3)
	v_add_f32_e32 v3, v3, v236
	v_add_f32_e32 v2, v2, v4
	v_fma_f32 v4, v208, v204, -v5
	s_delay_alu instid0(VALU_DEP_2) | instskip(SKIP_1) | instid1(VALU_DEP_1)
	v_dual_add_f32 v3, v3, v237 :: v_dual_add_f32 v2, v2, v6
	s_wait_loadcnt 0x0
	v_dual_sub_f32 v3, v207, v3 :: v_dual_add_f32 v2, v2, v4
	s_delay_alu instid0(VALU_DEP_1)
	v_sub_f32_e32 v2, v206, v2
	scratch_store_b64 off, v[2:3], off offset:112
	v_cmpx_lt_u32_e32 13, v0
	s_cbranch_execz .LBB107_251
; %bb.250:
	scratch_load_b64 v[3:4], off, off offset:104
	v_mov_b32_e32 v2, v1
	scratch_store_b64 off, v[1:2], off offset:104
	s_wait_loadcnt 0x0
	ds_store_b64 v23, v[3:4]
.LBB107_251:
	s_wait_alu 0xfffe
	s_or_b32 exec_lo, exec_lo, s0
	s_wait_storecnt_dscnt 0x0
	s_barrier_signal -1
	s_barrier_wait -1
	global_inv scope:SCOPE_SE
	s_clause 0xf
	scratch_load_b128 v[2:5], off, off offset:112
	scratch_load_b128 v[6:9], off, off offset:128
	scratch_load_b128 v[10:13], off, off offset:144
	scratch_load_b128 v[14:17], off, off offset:160
	scratch_load_b128 v[18:21], off, off offset:176
	scratch_load_b128 v[24:27], off, off offset:192
	scratch_load_b128 v[116:119], off, off offset:208
	scratch_load_b128 v[120:123], off, off offset:224
	scratch_load_b128 v[124:127], off, off offset:240
	scratch_load_b128 v[128:131], off, off offset:256
	scratch_load_b128 v[132:135], off, off offset:272
	scratch_load_b128 v[136:139], off, off offset:288
	scratch_load_b128 v[140:143], off, off offset:304
	scratch_load_b128 v[144:147], off, off offset:320
	scratch_load_b128 v[148:151], off, off offset:336
	scratch_load_b64 v[212:213], off, off offset:104
	ds_load_b128 v[152:155], v1 offset:464
	ds_load_b128 v[156:159], v1 offset:480
	;; [unrolled: 1-line block ×15, first 2 shown]
	s_mov_b32 s0, exec_lo
	s_wait_loadcnt_dscnt 0xf0e
	v_dual_mul_f32 v1, v152, v3 :: v_dual_mul_f32 v22, v154, v5
	s_wait_loadcnt_dscnt 0xe0d
	v_dual_mul_f32 v5, v155, v5 :: v_dual_mul_f32 v214, v156, v7
	v_mul_f32_e32 v215, v158, v9
	s_wait_loadcnt_dscnt 0xd0c
	v_dual_fmac_f32 v1, v153, v2 :: v_dual_mul_f32 v216, v160, v11
	s_wait_loadcnt_dscnt 0xc0b
	v_dual_mul_f32 v217, v162, v13 :: v_dual_mul_f32 v218, v164, v15
	v_mul_f32_e32 v219, v166, v17
	v_dual_mul_f32 v3, v153, v3 :: v_dual_fmac_f32 v22, v155, v4
	s_wait_loadcnt_dscnt 0xb0a
	v_dual_mul_f32 v220, v168, v19 :: v_dual_mul_f32 v221, v170, v21
	s_wait_loadcnt_dscnt 0x201
	v_mul_f32_e32 v238, v204, v145
	v_fma_f32 v3, v152, v2, -v3
	s_wait_loadcnt_dscnt 0x100
	v_mul_f32_e32 v241, v210, v151
	v_mul_f32_e32 v2, v157, v7
	v_fma_f32 v4, v154, v4, -v5
	v_dual_mul_f32 v5, v159, v9 :: v_dual_fmac_f32 v216, v161, v10
	v_dual_add_f32 v3, 0, v3 :: v_dual_fmac_f32 v214, v157, v6
	s_delay_alu instid0(VALU_DEP_4) | instskip(NEXT) | instid1(VALU_DEP_3)
	v_fma_f32 v2, v156, v6, -v2
	v_fma_f32 v5, v158, v8, -v5
	s_delay_alu instid0(VALU_DEP_3) | instskip(SKIP_2) | instid1(VALU_DEP_3)
	v_dual_fmac_f32 v218, v165, v14 :: v_dual_add_f32 v3, v3, v4
	v_dual_mul_f32 v222, v172, v25 :: v_dual_mul_f32 v223, v174, v27
	v_dual_fmac_f32 v220, v169, v18 :: v_dual_fmac_f32 v219, v167, v16
	v_add_f32_e32 v2, v3, v2
	v_mul_f32_e32 v3, v163, v13
	v_dual_mul_f32 v224, v176, v117 :: v_dual_mul_f32 v225, v178, v119
	v_mul_f32_e32 v4, v161, v11
	s_delay_alu instid0(VALU_DEP_4) | instskip(SKIP_4) | instid1(VALU_DEP_4)
	v_add_f32_e32 v2, v2, v5
	v_add_f32_e32 v1, 0, v1
	v_fma_f32 v3, v162, v12, -v3
	v_dual_mul_f32 v228, v184, v125 :: v_dual_mul_f32 v229, v186, v127
	v_fma_f32 v4, v160, v10, -v4
	v_dual_add_f32 v1, v1, v22 :: v_dual_mul_f32 v226, v180, v121
	v_mul_f32_e32 v227, v182, v123
	s_delay_alu instid0(VALU_DEP_3) | instskip(NEXT) | instid1(VALU_DEP_3)
	v_dual_fmac_f32 v225, v179, v118 :: v_dual_add_f32 v2, v2, v4
	v_dual_add_f32 v1, v1, v214 :: v_dual_mul_f32 v4, v167, v17
	v_dual_fmac_f32 v215, v159, v8 :: v_dual_mul_f32 v230, v188, v129
	v_mul_f32_e32 v231, v190, v131
	s_delay_alu instid0(VALU_DEP_4) | instskip(NEXT) | instid1(VALU_DEP_4)
	v_add_f32_e32 v2, v2, v3
	v_fma_f32 v4, v166, v16, -v4
	v_mul_f32_e32 v5, v165, v15
	v_add_f32_e32 v1, v1, v215
	v_dual_fmac_f32 v223, v175, v26 :: v_dual_fmac_f32 v226, v181, v120
	v_dual_mul_f32 v234, v196, v137 :: v_dual_mul_f32 v235, v198, v139
	s_delay_alu instid0(VALU_DEP_4) | instskip(SKIP_3) | instid1(VALU_DEP_4)
	v_fma_f32 v5, v164, v14, -v5
	v_fmac_f32_e32 v217, v163, v12
	v_fmac_f32_e32 v222, v173, v24
	v_dual_mul_f32 v232, v192, v133 :: v_dual_mul_f32 v233, v194, v135
	v_add_f32_e32 v2, v2, v5
	v_mul_f32_e32 v5, v171, v21
	v_dual_fmac_f32 v231, v191, v130 :: v_dual_mul_f32 v236, v200, v141
	v_mul_f32_e32 v237, v202, v143
	s_delay_alu instid0(VALU_DEP_4) | instskip(NEXT) | instid1(VALU_DEP_4)
	v_add_f32_e32 v2, v2, v4
	v_fma_f32 v5, v170, v20, -v5
	v_mul_f32_e32 v3, v169, v19
	v_mul_f32_e32 v4, v173, v25
	v_dual_fmac_f32 v224, v177, v116 :: v_dual_mul_f32 v239, v206, v147
	v_mul_f32_e32 v240, v208, v149
	s_delay_alu instid0(VALU_DEP_4) | instskip(SKIP_3) | instid1(VALU_DEP_4)
	v_fma_f32 v3, v168, v18, -v3
	v_add_f32_e32 v1, v1, v216
	v_fma_f32 v4, v172, v24, -v4
	v_dual_fmac_f32 v229, v187, v126 :: v_dual_fmac_f32 v232, v193, v132
	v_add_f32_e32 v2, v2, v3
	v_mul_f32_e32 v3, v175, v27
	v_fmac_f32_e32 v237, v203, v142
	v_dual_fmac_f32 v235, v199, v138 :: v_dual_fmac_f32 v238, v205, v144
	s_delay_alu instid0(VALU_DEP_4) | instskip(SKIP_3) | instid1(VALU_DEP_3)
	v_add_f32_e32 v2, v2, v5
	v_add_f32_e32 v1, v1, v217
	v_fma_f32 v3, v174, v26, -v3
	v_dual_fmac_f32 v241, v211, v150 :: v_dual_fmac_f32 v228, v185, v124
	v_dual_add_f32 v2, v2, v4 :: v_dual_add_f32 v1, v1, v218
	v_mul_f32_e32 v4, v179, v119
	v_fmac_f32_e32 v221, v171, v20
	v_fmac_f32_e32 v230, v189, v128
	s_delay_alu instid0(VALU_DEP_4) | instskip(NEXT) | instid1(VALU_DEP_4)
	v_dual_add_f32 v2, v2, v3 :: v_dual_mul_f32 v3, v181, v121
	v_fma_f32 v4, v178, v118, -v4
	v_mul_f32_e32 v5, v177, v117
	v_fmac_f32_e32 v234, v197, v136
	v_fmac_f32_e32 v236, v201, v140
	v_fma_f32 v3, v180, v120, -v3
	v_fmac_f32_e32 v240, v209, v148
	v_fma_f32 v5, v176, v116, -v5
	s_delay_alu instid0(VALU_DEP_1) | instskip(NEXT) | instid1(VALU_DEP_1)
	v_dual_add_f32 v1, v1, v219 :: v_dual_add_f32 v2, v2, v5
	v_dual_mul_f32 v5, v183, v123 :: v_dual_add_f32 v2, v2, v4
	s_delay_alu instid0(VALU_DEP_2) | instskip(SKIP_1) | instid1(VALU_DEP_3)
	v_add_f32_e32 v1, v1, v220
	v_mul_f32_e32 v4, v185, v125
	v_fma_f32 v5, v182, v122, -v5
	s_delay_alu instid0(VALU_DEP_4) | instskip(SKIP_1) | instid1(VALU_DEP_4)
	v_dual_add_f32 v2, v2, v3 :: v_dual_fmac_f32 v227, v183, v122
	v_mul_f32_e32 v3, v187, v127
	v_fma_f32 v4, v184, v124, -v4
	s_delay_alu instid0(VALU_DEP_3) | instskip(SKIP_1) | instid1(VALU_DEP_4)
	v_add_f32_e32 v2, v2, v5
	v_add_f32_e32 v1, v1, v221
	v_fma_f32 v3, v186, v126, -v3
	s_delay_alu instid0(VALU_DEP_3) | instskip(NEXT) | instid1(VALU_DEP_3)
	v_dual_add_f32 v2, v2, v4 :: v_dual_mul_f32 v5, v189, v129
	v_dual_add_f32 v1, v1, v222 :: v_dual_mul_f32 v4, v191, v131
	s_delay_alu instid0(VALU_DEP_2) | instskip(NEXT) | instid1(VALU_DEP_3)
	v_add_f32_e32 v2, v2, v3
	v_fma_f32 v5, v188, v128, -v5
	s_delay_alu instid0(VALU_DEP_3) | instskip(SKIP_2) | instid1(VALU_DEP_4)
	v_add_f32_e32 v1, v1, v223
	v_mul_f32_e32 v3, v193, v133
	v_fma_f32 v4, v190, v130, -v4
	v_dual_add_f32 v2, v2, v5 :: v_dual_mul_f32 v5, v195, v135
	s_delay_alu instid0(VALU_DEP_3) | instskip(NEXT) | instid1(VALU_DEP_2)
	v_fma_f32 v3, v192, v132, -v3
	v_add_f32_e32 v2, v2, v4
	v_add_f32_e32 v1, v1, v224
	v_mul_f32_e32 v4, v197, v137
	v_fma_f32 v5, v194, v134, -v5
	s_delay_alu instid0(VALU_DEP_4) | instskip(SKIP_1) | instid1(VALU_DEP_4)
	v_dual_add_f32 v2, v2, v3 :: v_dual_fmac_f32 v233, v195, v134
	v_mul_f32_e32 v3, v199, v139
	v_fma_f32 v4, v196, v136, -v4
	s_delay_alu instid0(VALU_DEP_3) | instskip(SKIP_1) | instid1(VALU_DEP_4)
	v_add_f32_e32 v2, v2, v5
	v_add_f32_e32 v1, v1, v225
	v_fma_f32 v3, v198, v138, -v3
	s_delay_alu instid0(VALU_DEP_3) | instskip(NEXT) | instid1(VALU_DEP_3)
	v_dual_add_f32 v2, v2, v4 :: v_dual_mul_f32 v5, v201, v141
	v_dual_add_f32 v1, v1, v226 :: v_dual_mul_f32 v4, v203, v143
	s_delay_alu instid0(VALU_DEP_2) | instskip(NEXT) | instid1(VALU_DEP_3)
	v_add_f32_e32 v2, v2, v3
	v_fma_f32 v5, v200, v140, -v5
	s_delay_alu instid0(VALU_DEP_3) | instskip(SKIP_2) | instid1(VALU_DEP_4)
	v_add_f32_e32 v1, v1, v227
	v_mul_f32_e32 v3, v205, v145
	v_fma_f32 v4, v202, v142, -v4
	v_dual_add_f32 v2, v2, v5 :: v_dual_mul_f32 v5, v207, v147
	s_delay_alu instid0(VALU_DEP_3) | instskip(NEXT) | instid1(VALU_DEP_2)
	v_fma_f32 v3, v204, v144, -v3
	v_add_f32_e32 v2, v2, v4
	v_add_f32_e32 v1, v1, v228
	v_mul_f32_e32 v4, v209, v149
	v_fma_f32 v5, v206, v146, -v5
	s_delay_alu instid0(VALU_DEP_4) | instskip(SKIP_1) | instid1(VALU_DEP_4)
	v_dual_add_f32 v2, v2, v3 :: v_dual_fmac_f32 v239, v207, v146
	v_mul_f32_e32 v3, v211, v151
	v_fma_f32 v4, v208, v148, -v4
	s_delay_alu instid0(VALU_DEP_3) | instskip(SKIP_1) | instid1(VALU_DEP_4)
	v_add_f32_e32 v2, v2, v5
	v_add_f32_e32 v1, v1, v229
	v_fma_f32 v3, v210, v150, -v3
	s_delay_alu instid0(VALU_DEP_2) | instskip(NEXT) | instid1(VALU_DEP_1)
	v_dual_add_f32 v2, v2, v4 :: v_dual_add_f32 v1, v1, v230
	v_add_f32_e32 v2, v2, v3
	s_delay_alu instid0(VALU_DEP_2) | instskip(NEXT) | instid1(VALU_DEP_1)
	v_add_f32_e32 v1, v1, v231
	v_add_f32_e32 v1, v1, v232
	s_delay_alu instid0(VALU_DEP_1) | instskip(NEXT) | instid1(VALU_DEP_1)
	v_add_f32_e32 v1, v1, v233
	v_add_f32_e32 v1, v1, v234
	s_delay_alu instid0(VALU_DEP_1) | instskip(NEXT) | instid1(VALU_DEP_1)
	;; [unrolled: 3-line block ×4, first 2 shown]
	v_add_f32_e32 v1, v1, v239
	v_add_f32_e32 v1, v1, v240
	s_delay_alu instid0(VALU_DEP_1) | instskip(SKIP_1) | instid1(VALU_DEP_1)
	v_add_f32_e32 v3, v1, v241
	s_wait_loadcnt 0x0
	v_dual_sub_f32 v1, v212, v2 :: v_dual_sub_f32 v2, v213, v3
	scratch_store_b64 off, v[1:2], off offset:104
	v_cmpx_lt_u32_e32 12, v0
	s_cbranch_execz .LBB107_253
; %bb.252:
	scratch_load_b64 v[1:2], off, off offset:96
	v_mov_b32_e32 v3, 0
	s_delay_alu instid0(VALU_DEP_1)
	v_mov_b32_e32 v4, v3
	scratch_store_b64 off, v[3:4], off offset:96
	s_wait_loadcnt 0x0
	ds_store_b64 v23, v[1:2]
.LBB107_253:
	s_wait_alu 0xfffe
	s_or_b32 exec_lo, exec_lo, s0
	s_wait_storecnt_dscnt 0x0
	s_barrier_signal -1
	s_barrier_wait -1
	global_inv scope:SCOPE_SE
	s_clause 0x10
	scratch_load_b128 v[2:5], off, off offset:104
	scratch_load_b128 v[6:9], off, off offset:120
	;; [unrolled: 1-line block ×15, first 2 shown]
	scratch_load_b64 v[212:213], off, off offset:344
	scratch_load_b64 v[214:215], off, off offset:96
	v_mov_b32_e32 v1, 0
	ds_load_2addr_b64 v[152:155], v1 offset0:57 offset1:58
	ds_load_2addr_b64 v[156:159], v1 offset0:59 offset1:60
	;; [unrolled: 1-line block ×15, first 2 shown]
	ds_load_b64 v[216:217], v1 offset:696
	s_mov_b32 s0, exec_lo
	s_wait_loadcnt_dscnt 0x100f
	v_mul_f32_e32 v22, v152, v3
	v_dual_mul_f32 v3, v153, v3 :: v_dual_mul_f32 v218, v154, v5
	s_wait_loadcnt_dscnt 0xc0b
	v_dual_mul_f32 v219, v156, v7 :: v_dual_mul_f32 v226, v170, v21
	v_mul_f32_e32 v5, v155, v5
	s_delay_alu instid0(VALU_DEP_3) | instskip(SKIP_1) | instid1(VALU_DEP_4)
	v_fma_f32 v3, v152, v2, -v3
	v_dual_mul_f32 v220, v158, v9 :: v_dual_mul_f32 v221, v160, v11
	v_dual_fmac_f32 v218, v155, v4 :: v_dual_fmac_f32 v219, v157, v6
	v_fmac_f32_e32 v22, v153, v2
	v_mul_f32_e32 v2, v157, v7
	v_fma_f32 v4, v154, v4, -v5
	v_add_f32_e32 v3, 0, v3
	s_wait_loadcnt_dscnt 0x100
	v_mul_f32_e32 v247, v216, v213
	v_dual_add_f32 v5, 0, v22 :: v_dual_fmac_f32 v220, v159, v8
	v_mul_f32_e32 v7, v159, v9
	v_fma_f32 v2, v156, v6, -v2
	s_delay_alu instid0(VALU_DEP_3) | instskip(SKIP_1) | instid1(VALU_DEP_4)
	v_dual_add_f32 v3, v3, v4 :: v_dual_add_f32 v4, v5, v218
	v_mul_f32_e32 v5, v161, v11
	v_fma_f32 v6, v158, v8, -v7
	v_dual_mul_f32 v222, v162, v13 :: v_dual_mul_f32 v223, v164, v15
	s_delay_alu instid0(VALU_DEP_4) | instskip(SKIP_2) | instid1(VALU_DEP_4)
	v_dual_add_f32 v2, v3, v2 :: v_dual_add_f32 v3, v4, v219
	v_mul_f32_e32 v4, v163, v13
	v_fma_f32 v5, v160, v10, -v5
	v_fmac_f32_e32 v222, v163, v12
	s_delay_alu instid0(VALU_DEP_4) | instskip(SKIP_3) | instid1(VALU_DEP_4)
	v_add_f32_e32 v2, v2, v6
	v_fmac_f32_e32 v221, v161, v10
	v_dual_add_f32 v3, v3, v220 :: v_dual_mul_f32 v6, v165, v15
	v_fma_f32 v4, v162, v12, -v4
	v_add_f32_e32 v2, v2, v5
	v_dual_mul_f32 v224, v166, v17 :: v_dual_mul_f32 v225, v168, v19
	s_delay_alu instid0(VALU_DEP_4)
	v_add_f32_e32 v3, v3, v221
	v_mul_f32_e32 v5, v167, v17
	v_fma_f32 v6, v164, v14, -v6
	v_dual_add_f32 v2, v2, v4 :: v_dual_fmac_f32 v223, v165, v14
	v_fmac_f32_e32 v224, v167, v16
	v_mul_f32_e32 v4, v169, v19
	v_fma_f32 v5, v166, v16, -v5
	s_delay_alu instid0(VALU_DEP_4) | instskip(SKIP_3) | instid1(VALU_DEP_3)
	v_add_f32_e32 v2, v2, v6
	v_add_f32_e32 v3, v3, v222
	v_dual_mul_f32 v6, v171, v21 :: v_dual_fmac_f32 v225, v169, v18
	v_fma_f32 v4, v168, v18, -v4
	v_dual_add_f32 v2, v2, v5 :: v_dual_add_f32 v3, v3, v223
	s_delay_alu instid0(VALU_DEP_3) | instskip(SKIP_1) | instid1(VALU_DEP_3)
	v_fma_f32 v6, v170, v20, -v6
	v_dual_mul_f32 v227, v172, v25 :: v_dual_mul_f32 v228, v174, v27
	v_add_f32_e32 v2, v2, v4
	s_delay_alu instid0(VALU_DEP_4) | instskip(SKIP_1) | instid1(VALU_DEP_4)
	v_add_f32_e32 v3, v3, v224
	v_dual_mul_f32 v5, v173, v25 :: v_dual_fmac_f32 v226, v171, v20
	v_dual_mul_f32 v4, v175, v27 :: v_dual_fmac_f32 v227, v173, v24
	s_delay_alu instid0(VALU_DEP_3) | instskip(NEXT) | instid1(VALU_DEP_3)
	v_dual_add_f32 v2, v2, v6 :: v_dual_add_f32 v3, v3, v225
	v_fma_f32 v5, v172, v24, -v5
	v_dual_mul_f32 v229, v176, v117 :: v_dual_mul_f32 v230, v178, v119
	s_delay_alu instid0(VALU_DEP_3) | instskip(NEXT) | instid1(VALU_DEP_2)
	v_dual_mul_f32 v6, v177, v117 :: v_dual_add_f32 v3, v3, v226
	v_dual_fmac_f32 v228, v175, v26 :: v_dual_fmac_f32 v229, v177, v116
	v_fma_f32 v4, v174, v26, -v4
	s_delay_alu instid0(VALU_DEP_3) | instskip(SKIP_3) | instid1(VALU_DEP_4)
	v_dual_add_f32 v2, v2, v5 :: v_dual_add_f32 v3, v3, v227
	v_mul_f32_e32 v5, v179, v119
	v_fma_f32 v6, v176, v116, -v6
	v_dual_mul_f32 v231, v180, v121 :: v_dual_mul_f32 v232, v182, v123
	v_add_f32_e32 v2, v2, v4
	v_dual_add_f32 v3, v3, v228 :: v_dual_mul_f32 v4, v181, v121
	s_delay_alu instid0(VALU_DEP_3) | instskip(SKIP_1) | instid1(VALU_DEP_3)
	v_dual_fmac_f32 v230, v179, v118 :: v_dual_fmac_f32 v231, v181, v120
	v_fma_f32 v5, v178, v118, -v5
	v_dual_add_f32 v2, v2, v6 :: v_dual_add_f32 v3, v3, v229
	v_mul_f32_e32 v6, v183, v123
	v_fma_f32 v4, v180, v120, -v4
	v_dual_mul_f32 v233, v184, v125 :: v_dual_mul_f32 v234, v186, v127
	s_delay_alu instid0(VALU_DEP_4) | instskip(SKIP_1) | instid1(VALU_DEP_3)
	v_dual_add_f32 v2, v2, v5 :: v_dual_add_f32 v3, v3, v230
	v_dual_mul_f32 v5, v185, v125 :: v_dual_fmac_f32 v232, v183, v122
	v_fmac_f32_e32 v233, v185, v124
	v_fma_f32 v6, v182, v122, -v6
	s_delay_alu instid0(VALU_DEP_4) | instskip(SKIP_2) | instid1(VALU_DEP_2)
	v_dual_add_f32 v2, v2, v4 :: v_dual_add_f32 v3, v3, v231
	v_dual_mul_f32 v235, v188, v129 :: v_dual_mul_f32 v236, v190, v131
	v_dual_mul_f32 v237, v192, v133 :: v_dual_mul_f32 v238, v194, v135
	v_dual_mul_f32 v4, v187, v127 :: v_dual_fmac_f32 v235, v189, v128
	v_fma_f32 v5, v184, v124, -v5
	v_dual_add_f32 v2, v2, v6 :: v_dual_add_f32 v3, v3, v232
	v_mul_f32_e32 v6, v189, v129
	v_dual_fmac_f32 v234, v187, v126 :: v_dual_fmac_f32 v237, v193, v132
	v_fma_f32 v4, v186, v126, -v4
	s_delay_alu instid0(VALU_DEP_4) | instskip(SKIP_3) | instid1(VALU_DEP_3)
	v_add_f32_e32 v3, v3, v233
	v_dual_add_f32 v2, v2, v5 :: v_dual_mul_f32 v5, v191, v131
	v_fma_f32 v6, v188, v128, -v6
	v_dual_mul_f32 v241, v200, v141 :: v_dual_mul_f32 v242, v202, v143
	v_dual_add_f32 v3, v3, v234 :: v_dual_add_f32 v2, v2, v4
	v_mul_f32_e32 v4, v193, v133
	v_fmac_f32_e32 v236, v191, v130
	v_fma_f32 v5, v190, v130, -v5
	s_delay_alu instid0(VALU_DEP_4) | instskip(SKIP_3) | instid1(VALU_DEP_4)
	v_dual_add_f32 v3, v3, v235 :: v_dual_add_f32 v2, v2, v6
	v_dual_mul_f32 v239, v196, v137 :: v_dual_mul_f32 v240, v198, v139
	v_mul_f32_e32 v6, v195, v135
	v_dual_fmac_f32 v238, v195, v134 :: v_dual_fmac_f32 v241, v201, v140
	v_add_f32_e32 v2, v2, v5
	v_mul_f32_e32 v5, v197, v137
	v_add_f32_e32 v3, v3, v236
	v_fma_f32 v4, v192, v132, -v4
	v_fmac_f32_e32 v239, v197, v136
	v_fma_f32 v6, v194, v134, -v6
	v_dual_mul_f32 v243, v204, v145 :: v_dual_mul_f32 v244, v206, v147
	v_add_f32_e32 v3, v3, v237
	v_fma_f32 v5, v196, v136, -v5
	s_delay_alu instid0(VALU_DEP_3) | instskip(NEXT) | instid1(VALU_DEP_4)
	v_dual_fmac_f32 v240, v199, v138 :: v_dual_fmac_f32 v243, v205, v144
	v_fmac_f32_e32 v244, v207, v146
	s_delay_alu instid0(VALU_DEP_4) | instskip(SKIP_2) | instid1(VALU_DEP_3)
	v_dual_add_f32 v3, v3, v238 :: v_dual_add_f32 v2, v2, v4
	v_dual_mul_f32 v4, v199, v139 :: v_dual_mul_f32 v245, v208, v149
	v_mul_f32_e32 v246, v210, v151
	v_dual_add_f32 v3, v3, v239 :: v_dual_add_f32 v2, v2, v6
	v_mul_f32_e32 v6, v201, v141
	s_delay_alu instid0(VALU_DEP_4) | instskip(SKIP_1) | instid1(VALU_DEP_4)
	v_fma_f32 v4, v198, v138, -v4
	v_dual_fmac_f32 v242, v203, v142 :: v_dual_fmac_f32 v245, v209, v148
	v_dual_add_f32 v2, v2, v5 :: v_dual_mul_f32 v5, v203, v143
	s_delay_alu instid0(VALU_DEP_4) | instskip(SKIP_1) | instid1(VALU_DEP_3)
	v_fma_f32 v6, v200, v140, -v6
	v_dual_fmac_f32 v246, v211, v150 :: v_dual_fmac_f32 v247, v217, v212
	v_add_f32_e32 v2, v2, v4
	s_delay_alu instid0(VALU_DEP_4) | instskip(NEXT) | instid1(VALU_DEP_2)
	v_fma_f32 v5, v202, v142, -v5
	v_add_f32_e32 v2, v2, v6
	v_mul_f32_e32 v6, v207, v147
	s_delay_alu instid0(VALU_DEP_2) | instskip(SKIP_2) | instid1(VALU_DEP_4)
	v_add_f32_e32 v2, v2, v5
	v_mul_f32_e32 v5, v209, v149
	v_add_f32_e32 v3, v3, v240
	v_fma_f32 v6, v206, v146, -v6
	s_delay_alu instid0(VALU_DEP_3) | instskip(NEXT) | instid1(VALU_DEP_3)
	v_fma_f32 v5, v208, v148, -v5
	v_add_f32_e32 v3, v3, v241
	s_delay_alu instid0(VALU_DEP_1) | instskip(NEXT) | instid1(VALU_DEP_1)
	v_dual_mul_f32 v4, v205, v145 :: v_dual_add_f32 v3, v3, v242
	v_fma_f32 v4, v204, v144, -v4
	s_delay_alu instid0(VALU_DEP_2) | instskip(NEXT) | instid1(VALU_DEP_1)
	v_add_f32_e32 v3, v3, v243
	v_add_f32_e32 v3, v3, v244
	s_delay_alu instid0(VALU_DEP_3) | instskip(SKIP_1) | instid1(VALU_DEP_3)
	v_add_f32_e32 v2, v2, v4
	v_mul_f32_e32 v4, v211, v151
	v_add_f32_e32 v3, v3, v245
	s_delay_alu instid0(VALU_DEP_2) | instskip(NEXT) | instid1(VALU_DEP_2)
	v_fma_f32 v4, v210, v150, -v4
	v_add_f32_e32 v3, v3, v246
	s_delay_alu instid0(VALU_DEP_1) | instskip(SKIP_2) | instid1(VALU_DEP_2)
	v_dual_add_f32 v2, v2, v6 :: v_dual_add_f32 v3, v3, v247
	v_mul_f32_e32 v6, v217, v213
	s_wait_loadcnt 0x0
	v_dual_add_f32 v2, v2, v5 :: v_dual_sub_f32 v3, v215, v3
	s_delay_alu instid0(VALU_DEP_2) | instskip(NEXT) | instid1(VALU_DEP_2)
	v_fma_f32 v5, v216, v212, -v6
	v_add_f32_e32 v2, v2, v4
	s_delay_alu instid0(VALU_DEP_1) | instskip(NEXT) | instid1(VALU_DEP_1)
	v_add_f32_e32 v2, v2, v5
	v_sub_f32_e32 v2, v214, v2
	scratch_store_b64 off, v[2:3], off offset:96
	v_cmpx_lt_u32_e32 11, v0
	s_cbranch_execz .LBB107_255
; %bb.254:
	scratch_load_b64 v[3:4], off, off offset:88
	v_mov_b32_e32 v2, v1
	scratch_store_b64 off, v[1:2], off offset:88
	s_wait_loadcnt 0x0
	ds_store_b64 v23, v[3:4]
.LBB107_255:
	s_wait_alu 0xfffe
	s_or_b32 exec_lo, exec_lo, s0
	s_wait_storecnt_dscnt 0x0
	s_barrier_signal -1
	s_barrier_wait -1
	global_inv scope:SCOPE_SE
	s_clause 0x10
	scratch_load_b128 v[2:5], off, off offset:96
	scratch_load_b128 v[6:9], off, off offset:112
	;; [unrolled: 1-line block ×16, first 2 shown]
	scratch_load_b64 v[220:221], off, off offset:88
	ds_load_b128 v[156:159], v1 offset:448
	ds_load_b128 v[160:163], v1 offset:464
	;; [unrolled: 1-line block ×16, first 2 shown]
	s_mov_b32 s0, exec_lo
	s_wait_loadcnt_dscnt 0x100f
	v_dual_mul_f32 v1, v156, v3 :: v_dual_mul_f32 v22, v158, v5
	s_wait_loadcnt_dscnt 0xf0e
	v_dual_mul_f32 v5, v159, v5 :: v_dual_mul_f32 v222, v160, v7
	v_mul_f32_e32 v223, v162, v9
	s_wait_loadcnt_dscnt 0xe0d
	v_dual_fmac_f32 v1, v157, v2 :: v_dual_mul_f32 v224, v164, v11
	s_wait_loadcnt_dscnt 0xd0c
	v_dual_mul_f32 v225, v166, v13 :: v_dual_mul_f32 v226, v168, v15
	v_mul_f32_e32 v227, v170, v17
	v_dual_mul_f32 v3, v157, v3 :: v_dual_fmac_f32 v22, v159, v4
	s_wait_loadcnt_dscnt 0xc0b
	v_dual_mul_f32 v228, v172, v19 :: v_dual_mul_f32 v229, v174, v21
	s_wait_loadcnt_dscnt 0x201
	v_mul_f32_e32 v248, v212, v149
	v_fma_f32 v3, v156, v2, -v3
	s_wait_loadcnt_dscnt 0x100
	v_mul_f32_e32 v251, v218, v155
	v_mul_f32_e32 v2, v161, v7
	v_fma_f32 v4, v158, v4, -v5
	v_dual_mul_f32 v5, v163, v9 :: v_dual_fmac_f32 v224, v165, v10
	v_dual_add_f32 v3, 0, v3 :: v_dual_fmac_f32 v222, v161, v6
	s_delay_alu instid0(VALU_DEP_4) | instskip(NEXT) | instid1(VALU_DEP_3)
	v_fma_f32 v2, v160, v6, -v2
	v_fma_f32 v5, v162, v8, -v5
	s_delay_alu instid0(VALU_DEP_3) | instskip(SKIP_2) | instid1(VALU_DEP_3)
	v_dual_fmac_f32 v226, v169, v14 :: v_dual_add_f32 v3, v3, v4
	v_dual_mul_f32 v230, v176, v25 :: v_dual_mul_f32 v231, v178, v27
	v_dual_fmac_f32 v227, v171, v16 :: v_dual_fmac_f32 v228, v173, v18
	v_add_f32_e32 v2, v3, v2
	v_mul_f32_e32 v3, v167, v13
	v_dual_mul_f32 v232, v180, v117 :: v_dual_mul_f32 v233, v182, v119
	v_mul_f32_e32 v4, v165, v11
	s_delay_alu instid0(VALU_DEP_4) | instskip(SKIP_4) | instid1(VALU_DEP_4)
	v_add_f32_e32 v2, v2, v5
	v_add_f32_e32 v1, 0, v1
	v_fma_f32 v3, v166, v12, -v3
	v_dual_mul_f32 v236, v188, v125 :: v_dual_mul_f32 v237, v190, v127
	v_fma_f32 v4, v164, v10, -v4
	v_dual_add_f32 v1, v1, v22 :: v_dual_mul_f32 v234, v184, v121
	v_mul_f32_e32 v235, v186, v123
	s_delay_alu instid0(VALU_DEP_3) | instskip(NEXT) | instid1(VALU_DEP_3)
	v_dual_fmac_f32 v233, v183, v118 :: v_dual_add_f32 v2, v2, v4
	v_dual_add_f32 v1, v1, v222 :: v_dual_mul_f32 v4, v171, v17
	v_dual_fmac_f32 v223, v163, v8 :: v_dual_mul_f32 v238, v192, v129
	v_mul_f32_e32 v239, v194, v131
	s_delay_alu instid0(VALU_DEP_4) | instskip(NEXT) | instid1(VALU_DEP_4)
	v_add_f32_e32 v2, v2, v3
	v_fma_f32 v4, v170, v16, -v4
	v_mul_f32_e32 v5, v169, v15
	v_add_f32_e32 v1, v1, v223
	v_dual_fmac_f32 v231, v179, v26 :: v_dual_fmac_f32 v234, v185, v120
	v_dual_mul_f32 v242, v200, v137 :: v_dual_mul_f32 v243, v202, v139
	s_delay_alu instid0(VALU_DEP_4) | instskip(SKIP_3) | instid1(VALU_DEP_4)
	v_fma_f32 v5, v168, v14, -v5
	v_fmac_f32_e32 v225, v167, v12
	v_fmac_f32_e32 v230, v177, v24
	v_dual_mul_f32 v240, v196, v133 :: v_dual_mul_f32 v241, v198, v135
	v_add_f32_e32 v2, v2, v5
	v_mul_f32_e32 v5, v175, v21
	v_dual_fmac_f32 v239, v195, v130 :: v_dual_mul_f32 v244, v204, v141
	v_mul_f32_e32 v245, v206, v143
	s_delay_alu instid0(VALU_DEP_4) | instskip(NEXT) | instid1(VALU_DEP_4)
	v_add_f32_e32 v2, v2, v4
	v_fma_f32 v5, v174, v20, -v5
	v_mul_f32_e32 v3, v173, v19
	v_mul_f32_e32 v4, v177, v25
	v_dual_mul_f32 v246, v208, v145 :: v_dual_mul_f32 v247, v210, v147
	v_fmac_f32_e32 v232, v181, v116
	s_delay_alu instid0(VALU_DEP_4) | instskip(SKIP_3) | instid1(VALU_DEP_4)
	v_fma_f32 v3, v172, v18, -v3
	v_add_f32_e32 v1, v1, v224
	v_fma_f32 v4, v176, v24, -v4
	v_dual_fmac_f32 v237, v191, v126 :: v_dual_fmac_f32 v240, v197, v132
	v_add_f32_e32 v2, v2, v3
	v_mul_f32_e32 v3, v179, v27
	v_fmac_f32_e32 v245, v207, v142
	v_dual_mul_f32 v249, v214, v151 :: v_dual_mul_f32 v250, v216, v153
	s_delay_alu instid0(VALU_DEP_4) | instskip(SKIP_3) | instid1(VALU_DEP_3)
	v_add_f32_e32 v2, v2, v5
	v_add_f32_e32 v1, v1, v225
	v_fma_f32 v3, v178, v26, -v3
	v_dual_fmac_f32 v243, v203, v138 :: v_dual_fmac_f32 v246, v209, v144
	v_dual_add_f32 v2, v2, v4 :: v_dual_add_f32 v1, v1, v226
	v_mul_f32_e32 v4, v183, v119
	v_fmac_f32_e32 v229, v175, v20
	s_delay_alu instid0(VALU_DEP_3) | instskip(SKIP_1) | instid1(VALU_DEP_4)
	v_dual_fmac_f32 v249, v215, v150 :: v_dual_add_f32 v2, v2, v3
	v_mul_f32_e32 v3, v185, v121
	v_fma_f32 v4, v182, v118, -v4
	v_mul_f32_e32 v5, v181, v117
	v_dual_fmac_f32 v236, v189, v124 :: v_dual_fmac_f32 v251, v219, v154
	s_delay_alu instid0(VALU_DEP_4) | instskip(SKIP_1) | instid1(VALU_DEP_4)
	v_fma_f32 v3, v184, v120, -v3
	v_fmac_f32_e32 v238, v193, v128
	v_fma_f32 v5, v180, v116, -v5
	v_add_f32_e32 v1, v1, v227
	v_fmac_f32_e32 v242, v201, v136
	v_fmac_f32_e32 v244, v205, v140
	v_fmac_f32_e32 v248, v213, v148
	v_dual_add_f32 v2, v2, v5 :: v_dual_mul_f32 v5, v187, v123
	v_fmac_f32_e32 v250, v217, v152
	s_delay_alu instid0(VALU_DEP_2) | instskip(SKIP_3) | instid1(VALU_DEP_4)
	v_add_f32_e32 v2, v2, v4
	v_add_f32_e32 v1, v1, v228
	v_mul_f32_e32 v4, v189, v125
	v_fma_f32 v5, v186, v122, -v5
	v_dual_add_f32 v2, v2, v3 :: v_dual_fmac_f32 v235, v187, v122
	v_mul_f32_e32 v3, v191, v127
	s_delay_alu instid0(VALU_DEP_4) | instskip(NEXT) | instid1(VALU_DEP_3)
	v_fma_f32 v4, v188, v124, -v4
	v_add_f32_e32 v2, v2, v5
	v_add_f32_e32 v1, v1, v229
	s_delay_alu instid0(VALU_DEP_4) | instskip(NEXT) | instid1(VALU_DEP_3)
	v_fma_f32 v3, v190, v126, -v3
	v_dual_add_f32 v2, v2, v4 :: v_dual_mul_f32 v5, v193, v129
	s_delay_alu instid0(VALU_DEP_3) | instskip(NEXT) | instid1(VALU_DEP_2)
	v_dual_add_f32 v1, v1, v230 :: v_dual_mul_f32 v4, v195, v131
	v_add_f32_e32 v2, v2, v3
	s_delay_alu instid0(VALU_DEP_3) | instskip(NEXT) | instid1(VALU_DEP_3)
	v_fma_f32 v5, v192, v128, -v5
	v_add_f32_e32 v1, v1, v231
	v_mul_f32_e32 v3, v197, v133
	v_fma_f32 v4, v194, v130, -v4
	s_delay_alu instid0(VALU_DEP_4) | instskip(NEXT) | instid1(VALU_DEP_3)
	v_dual_add_f32 v2, v2, v5 :: v_dual_mul_f32 v5, v199, v135
	v_fma_f32 v3, v196, v132, -v3
	s_delay_alu instid0(VALU_DEP_2) | instskip(SKIP_3) | instid1(VALU_DEP_4)
	v_add_f32_e32 v2, v2, v4
	v_add_f32_e32 v1, v1, v232
	v_mul_f32_e32 v4, v201, v137
	v_fma_f32 v5, v198, v134, -v5
	v_dual_add_f32 v2, v2, v3 :: v_dual_fmac_f32 v241, v199, v134
	v_mul_f32_e32 v3, v203, v139
	s_delay_alu instid0(VALU_DEP_4) | instskip(NEXT) | instid1(VALU_DEP_3)
	v_fma_f32 v4, v200, v136, -v4
	v_add_f32_e32 v2, v2, v5
	v_add_f32_e32 v1, v1, v233
	s_delay_alu instid0(VALU_DEP_4) | instskip(NEXT) | instid1(VALU_DEP_3)
	v_fma_f32 v3, v202, v138, -v3
	v_dual_add_f32 v2, v2, v4 :: v_dual_mul_f32 v5, v205, v141
	s_delay_alu instid0(VALU_DEP_3) | instskip(NEXT) | instid1(VALU_DEP_2)
	v_dual_add_f32 v1, v1, v234 :: v_dual_mul_f32 v4, v207, v143
	v_add_f32_e32 v2, v2, v3
	s_delay_alu instid0(VALU_DEP_3) | instskip(NEXT) | instid1(VALU_DEP_3)
	v_fma_f32 v5, v204, v140, -v5
	v_add_f32_e32 v1, v1, v235
	v_mul_f32_e32 v3, v209, v145
	v_fma_f32 v4, v206, v142, -v4
	s_delay_alu instid0(VALU_DEP_4) | instskip(NEXT) | instid1(VALU_DEP_3)
	v_dual_add_f32 v2, v2, v5 :: v_dual_mul_f32 v5, v211, v147
	v_fma_f32 v3, v208, v144, -v3
	s_delay_alu instid0(VALU_DEP_2) | instskip(SKIP_3) | instid1(VALU_DEP_4)
	v_add_f32_e32 v2, v2, v4
	v_add_f32_e32 v1, v1, v236
	v_mul_f32_e32 v4, v213, v149
	v_fma_f32 v5, v210, v146, -v5
	v_dual_add_f32 v2, v2, v3 :: v_dual_fmac_f32 v247, v211, v146
	v_mul_f32_e32 v3, v215, v151
	s_delay_alu instid0(VALU_DEP_4) | instskip(NEXT) | instid1(VALU_DEP_3)
	v_fma_f32 v4, v212, v148, -v4
	v_add_f32_e32 v2, v2, v5
	v_add_f32_e32 v1, v1, v237
	s_delay_alu instid0(VALU_DEP_4) | instskip(NEXT) | instid1(VALU_DEP_2)
	v_fma_f32 v3, v214, v150, -v3
	v_dual_add_f32 v2, v2, v4 :: v_dual_add_f32 v1, v1, v238
	v_dual_mul_f32 v4, v219, v155 :: v_dual_mul_f32 v5, v217, v153
	s_delay_alu instid0(VALU_DEP_2) | instskip(NEXT) | instid1(VALU_DEP_2)
	v_add_f32_e32 v2, v2, v3
	v_fma_f32 v3, v218, v154, -v4
	s_delay_alu instid0(VALU_DEP_3) | instskip(NEXT) | instid1(VALU_DEP_1)
	v_fma_f32 v5, v216, v152, -v5
	v_dual_add_f32 v1, v1, v239 :: v_dual_add_f32 v2, v2, v5
	s_delay_alu instid0(VALU_DEP_1) | instskip(NEXT) | instid1(VALU_DEP_1)
	v_dual_add_f32 v1, v1, v240 :: v_dual_add_f32 v2, v2, v3
	v_add_f32_e32 v1, v1, v241
	s_delay_alu instid0(VALU_DEP_1) | instskip(NEXT) | instid1(VALU_DEP_1)
	v_add_f32_e32 v1, v1, v242
	v_add_f32_e32 v1, v1, v243
	s_delay_alu instid0(VALU_DEP_1) | instskip(NEXT) | instid1(VALU_DEP_1)
	v_add_f32_e32 v1, v1, v244
	;; [unrolled: 3-line block ×5, first 2 shown]
	v_add_f32_e32 v3, v1, v251
	s_wait_loadcnt 0x0
	s_delay_alu instid0(VALU_DEP_1)
	v_dual_sub_f32 v1, v220, v2 :: v_dual_sub_f32 v2, v221, v3
	scratch_store_b64 off, v[1:2], off offset:88
	v_cmpx_lt_u32_e32 10, v0
	s_cbranch_execz .LBB107_257
; %bb.256:
	scratch_load_b64 v[1:2], off, off offset:80
	v_mov_b32_e32 v3, 0
	s_delay_alu instid0(VALU_DEP_1)
	v_mov_b32_e32 v4, v3
	scratch_store_b64 off, v[3:4], off offset:80
	s_wait_loadcnt 0x0
	ds_store_b64 v23, v[1:2]
.LBB107_257:
	s_wait_alu 0xfffe
	s_or_b32 exec_lo, exec_lo, s0
	s_wait_storecnt_dscnt 0x0
	s_barrier_signal -1
	s_barrier_wait -1
	global_inv scope:SCOPE_SE
	s_clause 0x4
	scratch_load_b128 v[5:8], off, off offset:88
	scratch_load_b128 v[1:4], off, off offset:104
	;; [unrolled: 1-line block ×5, first 2 shown]
	v_mov_b32_e32 v21, 0
	ds_load_2addr_b64 v[24:27], v21 offset0:55 offset1:56
	ds_load_2addr_b64 v[116:119], v21 offset0:57 offset1:58
	;; [unrolled: 1-line block ×3, first 2 shown]
	scratch_load_b64 v[124:125], off, off offset:80
	s_mov_b32 s0, exec_lo
	s_wait_loadcnt_dscnt 0x502
	v_mul_f32_e32 v22, v25, v6
	v_dual_mul_f32 v126, v24, v6 :: v_dual_mul_f32 v127, v26, v8
	v_mul_f32_e32 v6, v27, v8
	s_delay_alu instid0(VALU_DEP_3) | instskip(NEXT) | instid1(VALU_DEP_3)
	v_fma_f32 v22, v24, v5, -v22
	v_dual_fmac_f32 v126, v25, v5 :: v_dual_fmac_f32 v127, v27, v7
	s_wait_loadcnt_dscnt 0x401
	v_mul_f32_e32 v25, v116, v2
	v_fma_f32 v24, v26, v7, -v6
	ds_load_2addr_b64 v[5:8], v21 offset0:61 offset1:62
	s_wait_loadcnt_dscnt 0x301
	v_dual_mul_f32 v26, v118, v4 :: v_dual_mul_f32 v27, v120, v10
	v_dual_mul_f32 v4, v119, v4 :: v_dual_fmac_f32 v25, v117, v1
	v_mul_f32_e32 v10, v121, v10
	s_delay_alu instid0(VALU_DEP_3)
	v_dual_mul_f32 v128, v122, v12 :: v_dual_fmac_f32 v27, v121, v9
	v_mul_f32_e32 v12, v123, v12
	v_mul_f32_e32 v2, v117, v2
	v_fmac_f32_e32 v26, v119, v3
	v_fma_f32 v117, v118, v3, -v4
	v_fma_f32 v118, v120, v9, -v10
	v_fmac_f32_e32 v128, v123, v11
	v_fma_f32 v119, v122, v11, -v12
	ds_load_2addr_b64 v[9:12], v21 offset0:63 offset1:64
	s_wait_loadcnt_dscnt 0x201
	v_mul_f32_e32 v121, v7, v16
	v_fma_f32 v116, v116, v1, -v2
	scratch_load_b128 v[1:4], off, off offset:168
	v_mul_f32_e32 v120, v5, v14
	v_mul_f32_e32 v14, v6, v14
	;; [unrolled: 1-line block ×3, first 2 shown]
	s_delay_alu instid0(VALU_DEP_3) | instskip(NEXT) | instid1(VALU_DEP_3)
	v_dual_fmac_f32 v121, v8, v15 :: v_dual_fmac_f32 v120, v6, v13
	v_fma_f32 v13, v5, v13, -v14
	s_delay_alu instid0(VALU_DEP_3)
	v_fma_f32 v14, v7, v15, -v16
	ds_load_2addr_b64 v[5:8], v21 offset0:65 offset1:66
	s_wait_loadcnt_dscnt 0x201
	v_mul_f32_e32 v15, v9, v18
	v_mul_f32_e32 v16, v10, v18
	v_mul_f32_e32 v18, v11, v20
	s_delay_alu instid0(VALU_DEP_3) | instskip(NEXT) | instid1(VALU_DEP_3)
	v_dual_mul_f32 v20, v12, v20 :: v_dual_fmac_f32 v15, v10, v17
	v_fma_f32 v16, v9, v17, -v16
	s_delay_alu instid0(VALU_DEP_3) | instskip(NEXT) | instid1(VALU_DEP_3)
	v_fmac_f32_e32 v18, v12, v19
	v_fma_f32 v17, v11, v19, -v20
	scratch_load_b128 v[9:12], off, off offset:184
	s_wait_loadcnt_dscnt 0x100
	v_mul_f32_e32 v19, v5, v2
	v_mul_f32_e32 v2, v6, v2
	;; [unrolled: 1-line block ×3, first 2 shown]
	s_delay_alu instid0(VALU_DEP_3) | instskip(NEXT) | instid1(VALU_DEP_3)
	v_dual_mul_f32 v4, v8, v4 :: v_dual_fmac_f32 v19, v6, v1
	v_fma_f32 v122, v5, v1, -v2
	s_delay_alu instid0(VALU_DEP_3) | instskip(NEXT) | instid1(VALU_DEP_3)
	v_fmac_f32_e32 v20, v8, v3
	v_fma_f32 v123, v7, v3, -v4
	ds_load_2addr_b64 v[1:4], v21 offset0:67 offset1:68
	ds_load_2addr_b64 v[5:8], v21 offset0:69 offset1:70
	s_wait_loadcnt_dscnt 0x1
	v_mul_f32_e32 v129, v1, v10
	v_mul_f32_e32 v10, v2, v10
	s_delay_alu instid0(VALU_DEP_2) | instskip(NEXT) | instid1(VALU_DEP_2)
	v_dual_mul_f32 v130, v3, v12 :: v_dual_fmac_f32 v129, v2, v9
	v_fma_f32 v131, v1, v9, -v10
	v_mul_f32_e32 v1, v4, v12
	s_delay_alu instid0(VALU_DEP_3) | instskip(NEXT) | instid1(VALU_DEP_2)
	v_fmac_f32_e32 v130, v4, v11
	v_fma_f32 v132, v3, v11, -v1
	s_clause 0x1
	scratch_load_b128 v[1:4], off, off offset:200
	scratch_load_b128 v[9:12], off, off offset:216
	s_wait_loadcnt_dscnt 0x100
	v_mul_f32_e32 v133, v5, v2
	v_dual_mul_f32 v2, v6, v2 :: v_dual_mul_f32 v135, v7, v4
	s_delay_alu instid0(VALU_DEP_2) | instskip(NEXT) | instid1(VALU_DEP_2)
	v_fmac_f32_e32 v133, v6, v1
	v_fma_f32 v134, v5, v1, -v2
	v_mul_f32_e32 v1, v8, v4
	s_delay_alu instid0(VALU_DEP_4) | instskip(NEXT) | instid1(VALU_DEP_2)
	v_fmac_f32_e32 v135, v8, v3
	v_fma_f32 v136, v7, v3, -v1
	ds_load_2addr_b64 v[1:4], v21 offset0:71 offset1:72
	ds_load_2addr_b64 v[5:8], v21 offset0:73 offset1:74
	s_wait_loadcnt_dscnt 0x1
	v_mul_f32_e32 v137, v1, v10
	v_mul_f32_e32 v139, v3, v12
	s_delay_alu instid0(VALU_DEP_2) | instskip(NEXT) | instid1(VALU_DEP_2)
	v_fmac_f32_e32 v137, v2, v9
	v_dual_mul_f32 v2, v2, v10 :: v_dual_fmac_f32 v139, v4, v11
	s_delay_alu instid0(VALU_DEP_1) | instskip(SKIP_1) | instid1(VALU_DEP_1)
	v_fma_f32 v138, v1, v9, -v2
	v_mul_f32_e32 v1, v4, v12
	v_fma_f32 v140, v3, v11, -v1
	s_clause 0x1
	scratch_load_b128 v[1:4], off, off offset:232
	scratch_load_b128 v[9:12], off, off offset:248
	s_wait_loadcnt_dscnt 0x100
	v_mul_f32_e32 v141, v5, v2
	v_dual_mul_f32 v143, v7, v4 :: v_dual_mul_f32 v2, v6, v2
	s_delay_alu instid0(VALU_DEP_2) | instskip(NEXT) | instid1(VALU_DEP_2)
	v_fmac_f32_e32 v141, v6, v1
	v_fmac_f32_e32 v143, v8, v3
	s_delay_alu instid0(VALU_DEP_3) | instskip(SKIP_1) | instid1(VALU_DEP_1)
	v_fma_f32 v142, v5, v1, -v2
	v_mul_f32_e32 v1, v8, v4
	v_fma_f32 v144, v7, v3, -v1
	ds_load_2addr_b64 v[1:4], v21 offset0:75 offset1:76
	ds_load_2addr_b64 v[5:8], v21 offset0:77 offset1:78
	s_wait_loadcnt_dscnt 0x1
	v_mul_f32_e32 v145, v1, v10
	v_mul_f32_e32 v147, v3, v12
	s_delay_alu instid0(VALU_DEP_2) | instskip(NEXT) | instid1(VALU_DEP_2)
	v_fmac_f32_e32 v145, v2, v9
	v_dual_mul_f32 v2, v2, v10 :: v_dual_fmac_f32 v147, v4, v11
	s_delay_alu instid0(VALU_DEP_1) | instskip(SKIP_1) | instid1(VALU_DEP_1)
	v_fma_f32 v146, v1, v9, -v2
	v_mul_f32_e32 v1, v4, v12
	v_fma_f32 v148, v3, v11, -v1
	s_clause 0x1
	scratch_load_b128 v[1:4], off, off offset:264
	scratch_load_b128 v[9:12], off, off offset:280
	s_wait_loadcnt_dscnt 0x100
	v_mul_f32_e32 v149, v5, v2
	v_mul_f32_e32 v2, v6, v2
	s_delay_alu instid0(VALU_DEP_1) | instskip(SKIP_1) | instid1(VALU_DEP_1)
	v_fma_f32 v150, v5, v1, -v2
	v_add_f32_e32 v2, 0, v126
	v_add_f32_e32 v2, v2, v127
	s_delay_alu instid0(VALU_DEP_1) | instskip(NEXT) | instid1(VALU_DEP_1)
	v_add_f32_e32 v2, v2, v25
	v_add_f32_e32 v2, v2, v26
	s_delay_alu instid0(VALU_DEP_1) | instskip(NEXT) | instid1(VALU_DEP_1)
	;; [unrolled: 3-line block ×3, first 2 shown]
	v_add_f32_e32 v2, v2, v120
	v_dual_mul_f32 v151, v7, v4 :: v_dual_add_f32 v2, v2, v121
	s_delay_alu instid0(VALU_DEP_1) | instskip(NEXT) | instid1(VALU_DEP_1)
	v_add_f32_e32 v5, v2, v15
	v_add_f32_e32 v5, v5, v18
	s_delay_alu instid0(VALU_DEP_1) | instskip(SKIP_2) | instid1(VALU_DEP_1)
	v_add_f32_e32 v5, v5, v19
	v_fmac_f32_e32 v149, v6, v1
	v_mul_f32_e32 v1, v8, v4
	v_fma_f32 v152, v7, v3, -v1
	v_add_f32_e32 v1, 0, v22
	s_delay_alu instid0(VALU_DEP_1) | instskip(NEXT) | instid1(VALU_DEP_1)
	v_add_f32_e32 v1, v1, v24
	v_add_f32_e32 v1, v1, v116
	s_delay_alu instid0(VALU_DEP_1) | instskip(SKIP_2) | instid1(VALU_DEP_1)
	v_add_f32_e32 v1, v1, v117
	scratch_load_b64 v[116:117], off, off offset:344
	v_add_f32_e32 v1, v1, v118
	v_add_f32_e32 v1, v1, v119
	s_delay_alu instid0(VALU_DEP_1) | instskip(NEXT) | instid1(VALU_DEP_1)
	v_add_f32_e32 v1, v1, v13
	v_add_f32_e32 v1, v1, v14
	s_delay_alu instid0(VALU_DEP_1) | instskip(NEXT) | instid1(VALU_DEP_1)
	v_add_f32_e32 v1, v1, v16
	v_dual_fmac_f32 v151, v8, v3 :: v_dual_add_f32 v6, v1, v17
	ds_load_2addr_b64 v[1:4], v21 offset0:79 offset1:80
	v_add_f32_e32 v6, v6, v122
	s_delay_alu instid0(VALU_DEP_1) | instskip(NEXT) | instid1(VALU_DEP_1)
	v_add_f32_e32 v13, v6, v123
	v_add_f32_e32 v13, v13, v131
	s_delay_alu instid0(VALU_DEP_1) | instskip(NEXT) | instid1(VALU_DEP_1)
	v_add_f32_e32 v13, v13, v132
	;; [unrolled: 3-line block ×3, first 2 shown]
	v_add_f32_e32 v18, v18, v138
	v_add_f32_e32 v14, v5, v20
	ds_load_2addr_b64 v[5:8], v21 offset0:81 offset1:82
	s_wait_loadcnt_dscnt 0x101
	v_mul_f32_e32 v22, v1, v10
	v_mul_f32_e32 v10, v2, v10
	v_mul_f32_e32 v120, v3, v12
	v_mul_f32_e32 v12, v4, v12
	v_add_f32_e32 v14, v14, v129
	v_fmac_f32_e32 v22, v2, v9
	v_fma_f32 v121, v1, v9, -v10
	v_fmac_f32_e32 v120, v4, v11
	v_fma_f32 v122, v3, v11, -v12
	s_clause 0x1
	scratch_load_b128 v[1:4], off, off offset:296
	scratch_load_b128 v[9:12], off, off offset:312
	v_add_f32_e32 v14, v14, v130
	v_add_f32_e32 v18, v18, v140
	s_delay_alu instid0(VALU_DEP_2) | instskip(SKIP_2) | instid1(VALU_DEP_1)
	v_add_f32_e32 v17, v14, v133
	scratch_load_b128 v[13:16], off, off offset:328
	v_dual_add_f32 v18, v18, v142 :: v_dual_add_f32 v17, v17, v135
	v_dual_add_f32 v18, v18, v144 :: v_dual_add_f32 v17, v17, v137
	s_delay_alu instid0(VALU_DEP_1) | instskip(NEXT) | instid1(VALU_DEP_1)
	v_add_f32_e32 v118, v18, v146
	v_add_f32_e32 v123, v118, v148
	s_wait_loadcnt_dscnt 0x200
	v_mul_f32_e32 v127, v5, v2
	v_dual_mul_f32 v2, v6, v2 :: v_dual_add_f32 v17, v17, v139
	v_mul_f32_e32 v128, v7, v4
	v_mul_f32_e32 v4, v8, v4
	s_delay_alu instid0(VALU_DEP_3) | instskip(NEXT) | instid1(VALU_DEP_3)
	v_fma_f32 v2, v5, v1, -v2
	v_dual_add_f32 v17, v17, v141 :: v_dual_fmac_f32 v128, v8, v3
	s_delay_alu instid0(VALU_DEP_1)
	v_add_f32_e32 v24, v17, v143
	ds_load_2addr_b64 v[17:20], v21 offset0:83 offset1:84
	v_add_f32_e32 v119, v24, v145
	ds_load_2addr_b64 v[24:27], v21 offset0:85 offset1:86
	v_add_f32_e32 v123, v123, v150
	v_add_f32_e32 v126, v119, v147
	ds_load_b64 v[118:119], v21 offset:696
	v_add_f32_e32 v126, v126, v149
	s_delay_alu instid0(VALU_DEP_1) | instskip(SKIP_1) | instid1(VALU_DEP_1)
	v_dual_add_f32 v126, v126, v151 :: v_dual_add_f32 v123, v123, v152
	s_wait_loadcnt_dscnt 0x102
	v_dual_mul_f32 v5, v20, v12 :: v_dual_add_f32 v22, v126, v22
	s_delay_alu instid0(VALU_DEP_2) | instskip(SKIP_1) | instid1(VALU_DEP_2)
	v_add_f32_e32 v121, v123, v121
	v_dual_mul_f32 v126, v19, v12 :: v_dual_mul_f32 v123, v17, v10
	v_dual_add_f32 v22, v22, v120 :: v_dual_add_f32 v121, v121, v122
	v_fmac_f32_e32 v127, v6, v1
	v_fma_f32 v1, v7, v3, -v4
	s_wait_loadcnt_dscnt 0x1
	v_mul_f32_e32 v122, v26, v16
	s_wait_dscnt 0x0
	v_mul_f32_e32 v120, v118, v117
	v_add_f32_e32 v2, v121, v2
	v_dual_mul_f32 v129, v24, v14 :: v_dual_add_f32 v4, v22, v127
	v_mul_f32_e32 v3, v18, v10
	v_dual_fmac_f32 v123, v18, v9 :: v_dual_fmac_f32 v126, v20, v11
	s_delay_alu instid0(VALU_DEP_4) | instskip(NEXT) | instid1(VALU_DEP_4)
	v_dual_add_f32 v1, v2, v1 :: v_dual_fmac_f32 v122, v27, v15
	v_add_f32_e32 v2, v4, v128
	s_delay_alu instid0(VALU_DEP_4)
	v_fma_f32 v3, v17, v9, -v3
	v_mul_f32_e32 v4, v25, v14
	v_fma_f32 v5, v19, v11, -v5
	v_dual_fmac_f32 v129, v25, v13 :: v_dual_fmac_f32 v120, v119, v116
	v_add_f32_e32 v2, v2, v123
	v_add_f32_e32 v1, v1, v3
	v_mul_f32_e32 v3, v27, v16
	v_fma_f32 v4, v24, v13, -v4
	s_delay_alu instid0(VALU_DEP_4) | instskip(NEXT) | instid1(VALU_DEP_3)
	v_add_f32_e32 v2, v2, v126
	v_fma_f32 v3, v26, v15, -v3
	s_delay_alu instid0(VALU_DEP_2) | instskip(NEXT) | instid1(VALU_DEP_1)
	v_add_f32_e32 v2, v2, v129
	v_dual_add_f32 v1, v1, v5 :: v_dual_add_f32 v2, v2, v122
	v_mul_f32_e32 v5, v119, v117
	s_delay_alu instid0(VALU_DEP_2) | instskip(NEXT) | instid1(VALU_DEP_3)
	v_add_f32_e32 v1, v1, v4
	v_add_f32_e32 v2, v2, v120
	s_delay_alu instid0(VALU_DEP_3) | instskip(NEXT) | instid1(VALU_DEP_3)
	v_fma_f32 v4, v118, v116, -v5
	v_add_f32_e32 v1, v1, v3
	s_delay_alu instid0(VALU_DEP_3) | instskip(NEXT) | instid1(VALU_DEP_2)
	v_sub_f32_e32 v2, v125, v2
	v_add_f32_e32 v1, v1, v4
	s_delay_alu instid0(VALU_DEP_1)
	v_sub_f32_e32 v1, v124, v1
	scratch_store_b64 off, v[1:2], off offset:80
	v_cmpx_lt_u32_e32 9, v0
	s_cbranch_execz .LBB107_259
; %bb.258:
	scratch_load_b64 v[1:2], off, off offset:72
	v_mov_b32_e32 v22, v21
	scratch_store_b64 off, v[21:22], off offset:72
	s_wait_loadcnt 0x0
	ds_store_b64 v23, v[1:2]
.LBB107_259:
	s_wait_alu 0xfffe
	s_or_b32 exec_lo, exec_lo, s0
	s_wait_storecnt_dscnt 0x0
	s_barrier_signal -1
	s_barrier_wait -1
	global_inv scope:SCOPE_SE
	s_clause 0x4
	scratch_load_b128 v[5:8], off, off offset:80
	scratch_load_b128 v[1:4], off, off offset:96
	;; [unrolled: 1-line block ×5, first 2 shown]
	ds_load_b128 v[24:27], v21 offset:432
	ds_load_b128 v[116:119], v21 offset:448
	;; [unrolled: 1-line block ×3, first 2 shown]
	scratch_load_b64 v[124:125], off, off offset:72
	s_mov_b32 s0, exec_lo
	s_wait_loadcnt_dscnt 0x502
	v_dual_mul_f32 v22, v25, v6 :: v_dual_mul_f32 v127, v26, v8
	v_mul_f32_e32 v126, v24, v6
	v_mul_f32_e32 v6, v27, v8
	s_wait_loadcnt_dscnt 0x300
	v_mul_f32_e32 v128, v122, v12
	v_fma_f32 v22, v24, v5, -v22
	v_dual_fmac_f32 v127, v27, v7 :: v_dual_fmac_f32 v126, v25, v5
	v_mul_f32_e32 v27, v120, v10
	v_mul_f32_e32 v25, v116, v2
	v_fma_f32 v24, v26, v7, -v6
	ds_load_b128 v[5:8], v21 offset:480
	v_mul_f32_e32 v26, v118, v4
	v_dual_mul_f32 v4, v119, v4 :: v_dual_fmac_f32 v27, v121, v9
	v_mul_f32_e32 v10, v121, v10
	v_mul_f32_e32 v12, v123, v12
	v_mul_f32_e32 v2, v117, v2
	v_dual_fmac_f32 v25, v117, v1 :: v_dual_fmac_f32 v26, v119, v3
	v_fma_f32 v117, v118, v3, -v4
	v_fma_f32 v118, v120, v9, -v10
	v_fmac_f32_e32 v128, v123, v11
	v_fma_f32 v119, v122, v11, -v12
	ds_load_b128 v[9:12], v21 offset:496
	s_wait_loadcnt_dscnt 0x201
	v_mul_f32_e32 v121, v7, v16
	v_fma_f32 v116, v116, v1, -v2
	scratch_load_b128 v[1:4], off, off offset:160
	v_mul_f32_e32 v120, v5, v14
	v_mul_f32_e32 v14, v6, v14
	;; [unrolled: 1-line block ×3, first 2 shown]
	s_delay_alu instid0(VALU_DEP_3) | instskip(NEXT) | instid1(VALU_DEP_3)
	v_dual_fmac_f32 v121, v8, v15 :: v_dual_fmac_f32 v120, v6, v13
	v_fma_f32 v13, v5, v13, -v14
	s_delay_alu instid0(VALU_DEP_3)
	v_fma_f32 v14, v7, v15, -v16
	ds_load_b128 v[5:8], v21 offset:512
	s_wait_loadcnt_dscnt 0x201
	v_mul_f32_e32 v15, v9, v18
	v_mul_f32_e32 v16, v10, v18
	v_mul_f32_e32 v18, v11, v20
	s_delay_alu instid0(VALU_DEP_3) | instskip(NEXT) | instid1(VALU_DEP_3)
	v_dual_mul_f32 v20, v12, v20 :: v_dual_fmac_f32 v15, v10, v17
	v_fma_f32 v16, v9, v17, -v16
	s_delay_alu instid0(VALU_DEP_3) | instskip(NEXT) | instid1(VALU_DEP_3)
	v_fmac_f32_e32 v18, v12, v19
	v_fma_f32 v17, v11, v19, -v20
	scratch_load_b128 v[9:12], off, off offset:176
	s_wait_loadcnt_dscnt 0x100
	v_mul_f32_e32 v19, v5, v2
	v_mul_f32_e32 v2, v6, v2
	;; [unrolled: 1-line block ×3, first 2 shown]
	s_delay_alu instid0(VALU_DEP_3) | instskip(NEXT) | instid1(VALU_DEP_3)
	v_dual_mul_f32 v4, v8, v4 :: v_dual_fmac_f32 v19, v6, v1
	v_fma_f32 v122, v5, v1, -v2
	s_delay_alu instid0(VALU_DEP_3) | instskip(NEXT) | instid1(VALU_DEP_3)
	v_fmac_f32_e32 v20, v8, v3
	v_fma_f32 v123, v7, v3, -v4
	ds_load_b128 v[1:4], v21 offset:528
	ds_load_b128 v[5:8], v21 offset:544
	s_wait_loadcnt_dscnt 0x1
	v_mul_f32_e32 v129, v1, v10
	v_mul_f32_e32 v10, v2, v10
	s_delay_alu instid0(VALU_DEP_2) | instskip(NEXT) | instid1(VALU_DEP_2)
	v_dual_mul_f32 v130, v3, v12 :: v_dual_fmac_f32 v129, v2, v9
	v_fma_f32 v131, v1, v9, -v10
	v_mul_f32_e32 v1, v4, v12
	s_delay_alu instid0(VALU_DEP_3) | instskip(NEXT) | instid1(VALU_DEP_2)
	v_fmac_f32_e32 v130, v4, v11
	v_fma_f32 v132, v3, v11, -v1
	s_clause 0x1
	scratch_load_b128 v[1:4], off, off offset:192
	scratch_load_b128 v[9:12], off, off offset:208
	s_wait_loadcnt_dscnt 0x100
	v_mul_f32_e32 v133, v5, v2
	v_dual_mul_f32 v2, v6, v2 :: v_dual_mul_f32 v135, v7, v4
	s_delay_alu instid0(VALU_DEP_2) | instskip(NEXT) | instid1(VALU_DEP_2)
	v_fmac_f32_e32 v133, v6, v1
	v_fma_f32 v134, v5, v1, -v2
	v_mul_f32_e32 v1, v8, v4
	s_delay_alu instid0(VALU_DEP_4) | instskip(NEXT) | instid1(VALU_DEP_2)
	v_fmac_f32_e32 v135, v8, v3
	v_fma_f32 v136, v7, v3, -v1
	ds_load_b128 v[1:4], v21 offset:560
	ds_load_b128 v[5:8], v21 offset:576
	s_wait_loadcnt_dscnt 0x1
	v_mul_f32_e32 v137, v1, v10
	v_mul_f32_e32 v139, v3, v12
	s_delay_alu instid0(VALU_DEP_2) | instskip(NEXT) | instid1(VALU_DEP_2)
	v_fmac_f32_e32 v137, v2, v9
	v_dual_mul_f32 v2, v2, v10 :: v_dual_fmac_f32 v139, v4, v11
	s_delay_alu instid0(VALU_DEP_1) | instskip(SKIP_1) | instid1(VALU_DEP_1)
	v_fma_f32 v138, v1, v9, -v2
	v_mul_f32_e32 v1, v4, v12
	v_fma_f32 v140, v3, v11, -v1
	s_clause 0x1
	scratch_load_b128 v[1:4], off, off offset:224
	scratch_load_b128 v[9:12], off, off offset:240
	s_wait_loadcnt_dscnt 0x100
	v_mul_f32_e32 v141, v5, v2
	v_dual_mul_f32 v2, v6, v2 :: v_dual_mul_f32 v143, v7, v4
	s_delay_alu instid0(VALU_DEP_2) | instskip(NEXT) | instid1(VALU_DEP_2)
	v_fmac_f32_e32 v141, v6, v1
	v_fma_f32 v142, v5, v1, -v2
	v_mul_f32_e32 v1, v8, v4
	s_delay_alu instid0(VALU_DEP_4) | instskip(NEXT) | instid1(VALU_DEP_2)
	v_fmac_f32_e32 v143, v8, v3
	v_fma_f32 v144, v7, v3, -v1
	ds_load_b128 v[1:4], v21 offset:592
	ds_load_b128 v[5:8], v21 offset:608
	s_wait_loadcnt_dscnt 0x1
	v_mul_f32_e32 v145, v1, v10
	v_mul_f32_e32 v147, v3, v12
	s_delay_alu instid0(VALU_DEP_2) | instskip(NEXT) | instid1(VALU_DEP_2)
	v_fmac_f32_e32 v145, v2, v9
	v_dual_mul_f32 v2, v2, v10 :: v_dual_fmac_f32 v147, v4, v11
	s_delay_alu instid0(VALU_DEP_1) | instskip(SKIP_1) | instid1(VALU_DEP_1)
	v_fma_f32 v146, v1, v9, -v2
	v_mul_f32_e32 v1, v4, v12
	v_fma_f32 v148, v3, v11, -v1
	s_clause 0x1
	scratch_load_b128 v[1:4], off, off offset:256
	scratch_load_b128 v[9:12], off, off offset:272
	s_wait_loadcnt_dscnt 0x100
	v_mul_f32_e32 v149, v5, v2
	v_mul_f32_e32 v2, v6, v2
	s_delay_alu instid0(VALU_DEP_1) | instskip(SKIP_1) | instid1(VALU_DEP_1)
	v_fma_f32 v150, v5, v1, -v2
	v_add_f32_e32 v2, 0, v126
	v_add_f32_e32 v2, v2, v127
	s_delay_alu instid0(VALU_DEP_1) | instskip(NEXT) | instid1(VALU_DEP_1)
	v_dual_add_f32 v2, v2, v25 :: v_dual_mul_f32 v151, v7, v4
	v_add_f32_e32 v2, v2, v26
	s_delay_alu instid0(VALU_DEP_1) | instskip(NEXT) | instid1(VALU_DEP_3)
	v_add_f32_e32 v2, v2, v27
	v_fmac_f32_e32 v151, v8, v3
	v_fmac_f32_e32 v149, v6, v1
	s_delay_alu instid0(VALU_DEP_3) | instskip(NEXT) | instid1(VALU_DEP_1)
	v_add_f32_e32 v2, v2, v128
	v_add_f32_e32 v2, v2, v120
	s_delay_alu instid0(VALU_DEP_1) | instskip(NEXT) | instid1(VALU_DEP_1)
	v_dual_mul_f32 v1, v8, v4 :: v_dual_add_f32 v2, v2, v121
	v_fma_f32 v152, v7, v3, -v1
	s_delay_alu instid0(VALU_DEP_2) | instskip(NEXT) | instid1(VALU_DEP_1)
	v_dual_add_f32 v1, 0, v22 :: v_dual_add_f32 v2, v2, v15
	v_add_f32_e32 v1, v1, v24
	s_delay_alu instid0(VALU_DEP_2) | instskip(NEXT) | instid1(VALU_DEP_2)
	v_add_f32_e32 v5, v2, v18
	v_add_f32_e32 v1, v1, v116
	s_delay_alu instid0(VALU_DEP_1) | instskip(NEXT) | instid1(VALU_DEP_1)
	v_add_f32_e32 v1, v1, v117
	v_add_f32_e32 v1, v1, v118
	s_delay_alu instid0(VALU_DEP_1) | instskip(NEXT) | instid1(VALU_DEP_1)
	v_add_f32_e32 v1, v1, v119
	v_add_f32_e32 v1, v1, v13
	;; [unrolled: 1-line block ×3, first 2 shown]
	s_delay_alu instid0(VALU_DEP_2) | instskip(NEXT) | instid1(VALU_DEP_2)
	v_add_f32_e32 v1, v1, v14
	v_add_f32_e32 v13, v13, v20
	s_delay_alu instid0(VALU_DEP_2) | instskip(NEXT) | instid1(VALU_DEP_1)
	v_add_f32_e32 v1, v1, v16
	v_add_f32_e32 v1, v1, v17
	s_delay_alu instid0(VALU_DEP_1) | instskip(SKIP_4) | instid1(VALU_DEP_1)
	v_add_f32_e32 v6, v1, v122
	ds_load_b128 v[1:4], v21 offset:624
	v_add_f32_e32 v14, v6, v123
	scratch_load_b128 v[5:8], off, off offset:288
	v_dual_add_f32 v13, v13, v129 :: v_dual_add_f32 v14, v14, v131
	v_dual_add_f32 v18, v13, v130 :: v_dual_add_f32 v17, v14, v132
	ds_load_b128 v[13:16], v21 offset:640
	v_add_f32_e32 v18, v18, v133
	s_wait_loadcnt_dscnt 0x101
	v_mul_f32_e32 v22, v1, v10
	s_delay_alu instid0(VALU_DEP_2)
	v_add_f32_e32 v18, v18, v135
	v_mul_f32_e32 v10, v2, v10
	v_mul_f32_e32 v116, v3, v12
	;; [unrolled: 1-line block ×3, first 2 shown]
	v_fmac_f32_e32 v22, v2, v9
	v_add_f32_e32 v24, v18, v137
	v_fma_f32 v117, v1, v9, -v10
	v_fmac_f32_e32 v116, v4, v11
	v_fma_f32 v118, v3, v11, -v12
	scratch_load_b128 v[1:4], off, off offset:304
	v_dual_add_f32 v24, v24, v139 :: v_dual_add_f32 v17, v17, v134
	scratch_load_b128 v[9:12], off, off offset:320
	s_wait_loadcnt_dscnt 0x200
	v_dual_add_f32 v24, v24, v141 :: v_dual_mul_f32 v119, v13, v6
	v_mul_f32_e32 v120, v15, v8
	v_add_f32_e32 v17, v17, v136
	v_mul_f32_e32 v8, v16, v8
	v_mul_f32_e32 v6, v14, v6
	s_delay_alu instid0(VALU_DEP_4) | instskip(NEXT) | instid1(VALU_DEP_4)
	v_dual_fmac_f32 v119, v14, v5 :: v_dual_fmac_f32 v120, v16, v7
	v_add_f32_e32 v17, v17, v138
	s_delay_alu instid0(VALU_DEP_4) | instskip(NEXT) | instid1(VALU_DEP_4)
	v_fma_f32 v122, v15, v7, -v8
	v_fma_f32 v121, v13, v5, -v6
	ds_load_b128 v[5:8], v21 offset:656
	v_add_f32_e32 v25, v17, v140
	scratch_load_b128 v[17:20], off, off offset:336
	v_add_f32_e32 v25, v25, v142
	s_delay_alu instid0(VALU_DEP_1) | instskip(NEXT) | instid1(VALU_DEP_1)
	v_add_f32_e32 v25, v25, v144
	v_dual_add_f32 v13, v24, v143 :: v_dual_add_f32 v24, v25, v146
	s_delay_alu instid0(VALU_DEP_1)
	v_add_f32_e32 v25, v13, v145
	ds_load_b128 v[13:16], v21 offset:672
	v_dual_add_f32 v123, v24, v148 :: v_dual_add_f32 v126, v25, v147
	ds_load_b128 v[24:27], v21 offset:688
	v_add_f32_e32 v21, v123, v150
	s_wait_loadcnt_dscnt 0x202
	v_dual_add_f32 v123, v126, v149 :: v_dual_mul_f32 v126, v5, v2
	s_delay_alu instid0(VALU_DEP_1) | instskip(NEXT) | instid1(VALU_DEP_2)
	v_dual_mul_f32 v2, v6, v2 :: v_dual_add_f32 v123, v123, v151
	v_fmac_f32_e32 v126, v6, v1
	s_delay_alu instid0(VALU_DEP_2) | instskip(NEXT) | instid1(VALU_DEP_3)
	v_fma_f32 v2, v5, v1, -v2
	v_add_f32_e32 v22, v123, v22
	s_wait_loadcnt_dscnt 0x101
	v_mul_f32_e32 v123, v13, v10
	v_mul_f32_e32 v6, v14, v10
	s_delay_alu instid0(VALU_DEP_3) | instskip(NEXT) | instid1(VALU_DEP_1)
	v_add_f32_e32 v22, v22, v116
	v_dual_add_f32 v21, v21, v152 :: v_dual_add_f32 v22, v22, v119
	s_delay_alu instid0(VALU_DEP_1) | instskip(SKIP_4) | instid1(VALU_DEP_1)
	v_add_f32_e32 v21, v21, v117
	v_mul_f32_e32 v117, v7, v4
	v_mul_f32_e32 v4, v8, v4
	s_wait_loadcnt_dscnt 0x0
	v_dual_mul_f32 v116, v24, v18 :: v_dual_add_f32 v5, v22, v120
	v_dual_fmac_f32 v116, v25, v17 :: v_dual_fmac_f32 v117, v8, v3
	v_add_f32_e32 v21, v21, v118
	v_fma_f32 v3, v7, v3, -v4
	v_dual_mul_f32 v4, v16, v12 :: v_dual_fmac_f32 v123, v14, v9
	v_mul_f32_e32 v127, v15, v12
	s_delay_alu instid0(VALU_DEP_4) | instskip(NEXT) | instid1(VALU_DEP_3)
	v_dual_add_f32 v21, v21, v121 :: v_dual_mul_f32 v118, v26, v20
	v_fma_f32 v4, v15, v11, -v4
	s_delay_alu instid0(VALU_DEP_2) | instskip(NEXT) | instid1(VALU_DEP_1)
	v_dual_add_f32 v1, v21, v122 :: v_dual_fmac_f32 v118, v27, v19
	v_add_f32_e32 v1, v1, v2
	v_dual_add_f32 v2, v5, v126 :: v_dual_fmac_f32 v127, v16, v11
	v_fma_f32 v5, v13, v9, -v6
	s_delay_alu instid0(VALU_DEP_2) | instskip(NEXT) | instid1(VALU_DEP_1)
	v_add_f32_e32 v2, v2, v117
	v_add_f32_e32 v2, v2, v123
	s_delay_alu instid0(VALU_DEP_1) | instskip(NEXT) | instid1(VALU_DEP_1)
	v_add_f32_e32 v2, v2, v127
	v_dual_add_f32 v2, v2, v116 :: v_dual_add_f32 v1, v1, v3
	v_mul_f32_e32 v3, v25, v18
	s_delay_alu instid0(VALU_DEP_2) | instskip(SKIP_1) | instid1(VALU_DEP_3)
	v_dual_add_f32 v2, v2, v118 :: v_dual_add_f32 v1, v1, v5
	v_mul_f32_e32 v5, v27, v20
	v_fma_f32 v3, v24, v17, -v3
	s_delay_alu instid0(VALU_DEP_3) | instskip(NEXT) | instid1(VALU_DEP_4)
	v_sub_f32_e32 v2, v125, v2
	v_add_f32_e32 v1, v1, v4
	s_delay_alu instid0(VALU_DEP_4) | instskip(NEXT) | instid1(VALU_DEP_2)
	v_fma_f32 v4, v26, v19, -v5
	v_add_f32_e32 v1, v1, v3
	s_delay_alu instid0(VALU_DEP_1) | instskip(NEXT) | instid1(VALU_DEP_1)
	v_add_f32_e32 v1, v1, v4
	v_sub_f32_e32 v1, v124, v1
	scratch_store_b64 off, v[1:2], off offset:72
	v_cmpx_lt_u32_e32 8, v0
	s_cbranch_execz .LBB107_261
; %bb.260:
	scratch_load_b64 v[1:2], off, off offset:64
	v_mov_b32_e32 v3, 0
	s_delay_alu instid0(VALU_DEP_1)
	v_mov_b32_e32 v4, v3
	scratch_store_b64 off, v[3:4], off offset:64
	s_wait_loadcnt 0x0
	ds_store_b64 v23, v[1:2]
.LBB107_261:
	s_wait_alu 0xfffe
	s_or_b32 exec_lo, exec_lo, s0
	s_wait_storecnt_dscnt 0x0
	s_barrier_signal -1
	s_barrier_wait -1
	global_inv scope:SCOPE_SE
	s_clause 0x4
	scratch_load_b128 v[5:8], off, off offset:72
	scratch_load_b128 v[1:4], off, off offset:88
	;; [unrolled: 1-line block ×5, first 2 shown]
	v_mov_b32_e32 v21, 0
	ds_load_2addr_b64 v[24:27], v21 offset0:53 offset1:54
	ds_load_2addr_b64 v[116:119], v21 offset0:55 offset1:56
	;; [unrolled: 1-line block ×3, first 2 shown]
	scratch_load_b64 v[124:125], off, off offset:64
	s_mov_b32 s0, exec_lo
	s_wait_loadcnt_dscnt 0x502
	v_mul_f32_e32 v22, v25, v6
	v_dual_mul_f32 v126, v24, v6 :: v_dual_mul_f32 v127, v26, v8
	v_mul_f32_e32 v6, v27, v8
	s_delay_alu instid0(VALU_DEP_3) | instskip(NEXT) | instid1(VALU_DEP_3)
	v_fma_f32 v22, v24, v5, -v22
	v_dual_fmac_f32 v126, v25, v5 :: v_dual_fmac_f32 v127, v27, v7
	s_wait_loadcnt_dscnt 0x401
	v_mul_f32_e32 v25, v116, v2
	v_fma_f32 v24, v26, v7, -v6
	ds_load_2addr_b64 v[5:8], v21 offset0:59 offset1:60
	s_wait_loadcnt_dscnt 0x301
	v_dual_mul_f32 v26, v118, v4 :: v_dual_mul_f32 v27, v120, v10
	v_dual_mul_f32 v4, v119, v4 :: v_dual_fmac_f32 v25, v117, v1
	v_mul_f32_e32 v10, v121, v10
	s_delay_alu instid0(VALU_DEP_3)
	v_dual_mul_f32 v128, v122, v12 :: v_dual_fmac_f32 v27, v121, v9
	v_mul_f32_e32 v12, v123, v12
	v_mul_f32_e32 v2, v117, v2
	v_fmac_f32_e32 v26, v119, v3
	v_fma_f32 v117, v118, v3, -v4
	v_fma_f32 v118, v120, v9, -v10
	v_fmac_f32_e32 v128, v123, v11
	v_fma_f32 v119, v122, v11, -v12
	ds_load_2addr_b64 v[9:12], v21 offset0:61 offset1:62
	s_wait_loadcnt_dscnt 0x201
	v_mul_f32_e32 v121, v7, v16
	v_fma_f32 v116, v116, v1, -v2
	scratch_load_b128 v[1:4], off, off offset:152
	v_mul_f32_e32 v120, v5, v14
	v_mul_f32_e32 v14, v6, v14
	;; [unrolled: 1-line block ×3, first 2 shown]
	s_delay_alu instid0(VALU_DEP_3) | instskip(NEXT) | instid1(VALU_DEP_3)
	v_dual_fmac_f32 v121, v8, v15 :: v_dual_fmac_f32 v120, v6, v13
	v_fma_f32 v13, v5, v13, -v14
	s_delay_alu instid0(VALU_DEP_3)
	v_fma_f32 v14, v7, v15, -v16
	ds_load_2addr_b64 v[5:8], v21 offset0:63 offset1:64
	s_wait_loadcnt_dscnt 0x201
	v_mul_f32_e32 v15, v9, v18
	v_mul_f32_e32 v16, v10, v18
	;; [unrolled: 1-line block ×3, first 2 shown]
	s_delay_alu instid0(VALU_DEP_3) | instskip(NEXT) | instid1(VALU_DEP_3)
	v_dual_mul_f32 v20, v12, v20 :: v_dual_fmac_f32 v15, v10, v17
	v_fma_f32 v16, v9, v17, -v16
	s_delay_alu instid0(VALU_DEP_3) | instskip(NEXT) | instid1(VALU_DEP_3)
	v_fmac_f32_e32 v18, v12, v19
	v_fma_f32 v17, v11, v19, -v20
	scratch_load_b128 v[9:12], off, off offset:168
	s_wait_loadcnt_dscnt 0x100
	v_mul_f32_e32 v19, v5, v2
	v_mul_f32_e32 v2, v6, v2
	;; [unrolled: 1-line block ×3, first 2 shown]
	s_delay_alu instid0(VALU_DEP_3) | instskip(NEXT) | instid1(VALU_DEP_3)
	v_dual_mul_f32 v4, v8, v4 :: v_dual_fmac_f32 v19, v6, v1
	v_fma_f32 v122, v5, v1, -v2
	s_delay_alu instid0(VALU_DEP_3) | instskip(NEXT) | instid1(VALU_DEP_3)
	v_fmac_f32_e32 v20, v8, v3
	v_fma_f32 v123, v7, v3, -v4
	ds_load_2addr_b64 v[1:4], v21 offset0:65 offset1:66
	ds_load_2addr_b64 v[5:8], v21 offset0:67 offset1:68
	s_wait_loadcnt_dscnt 0x1
	v_mul_f32_e32 v129, v1, v10
	v_mul_f32_e32 v10, v2, v10
	s_delay_alu instid0(VALU_DEP_2) | instskip(NEXT) | instid1(VALU_DEP_2)
	v_dual_mul_f32 v130, v3, v12 :: v_dual_fmac_f32 v129, v2, v9
	v_fma_f32 v131, v1, v9, -v10
	v_mul_f32_e32 v1, v4, v12
	s_delay_alu instid0(VALU_DEP_3) | instskip(NEXT) | instid1(VALU_DEP_2)
	v_fmac_f32_e32 v130, v4, v11
	v_fma_f32 v132, v3, v11, -v1
	s_clause 0x1
	scratch_load_b128 v[1:4], off, off offset:184
	scratch_load_b128 v[9:12], off, off offset:200
	s_wait_loadcnt_dscnt 0x100
	v_mul_f32_e32 v133, v5, v2
	v_dual_mul_f32 v2, v6, v2 :: v_dual_mul_f32 v135, v7, v4
	s_delay_alu instid0(VALU_DEP_2) | instskip(NEXT) | instid1(VALU_DEP_2)
	v_fmac_f32_e32 v133, v6, v1
	v_fma_f32 v134, v5, v1, -v2
	v_mul_f32_e32 v1, v8, v4
	s_delay_alu instid0(VALU_DEP_4) | instskip(NEXT) | instid1(VALU_DEP_2)
	v_fmac_f32_e32 v135, v8, v3
	v_fma_f32 v136, v7, v3, -v1
	ds_load_2addr_b64 v[1:4], v21 offset0:69 offset1:70
	ds_load_2addr_b64 v[5:8], v21 offset0:71 offset1:72
	s_wait_loadcnt_dscnt 0x1
	v_mul_f32_e32 v137, v1, v10
	v_mul_f32_e32 v139, v3, v12
	s_delay_alu instid0(VALU_DEP_2) | instskip(NEXT) | instid1(VALU_DEP_2)
	v_fmac_f32_e32 v137, v2, v9
	v_dual_mul_f32 v2, v2, v10 :: v_dual_fmac_f32 v139, v4, v11
	s_delay_alu instid0(VALU_DEP_1) | instskip(SKIP_1) | instid1(VALU_DEP_1)
	v_fma_f32 v138, v1, v9, -v2
	v_mul_f32_e32 v1, v4, v12
	v_fma_f32 v140, v3, v11, -v1
	s_clause 0x1
	scratch_load_b128 v[1:4], off, off offset:216
	scratch_load_b128 v[9:12], off, off offset:232
	s_wait_loadcnt_dscnt 0x100
	v_mul_f32_e32 v141, v5, v2
	v_dual_mul_f32 v143, v7, v4 :: v_dual_mul_f32 v2, v6, v2
	s_delay_alu instid0(VALU_DEP_2) | instskip(NEXT) | instid1(VALU_DEP_2)
	v_fmac_f32_e32 v141, v6, v1
	v_fmac_f32_e32 v143, v8, v3
	s_delay_alu instid0(VALU_DEP_3) | instskip(SKIP_1) | instid1(VALU_DEP_1)
	v_fma_f32 v142, v5, v1, -v2
	v_mul_f32_e32 v1, v8, v4
	v_fma_f32 v144, v7, v3, -v1
	ds_load_2addr_b64 v[1:4], v21 offset0:73 offset1:74
	ds_load_2addr_b64 v[5:8], v21 offset0:75 offset1:76
	s_wait_loadcnt_dscnt 0x1
	v_mul_f32_e32 v145, v1, v10
	v_mul_f32_e32 v147, v3, v12
	s_delay_alu instid0(VALU_DEP_2) | instskip(NEXT) | instid1(VALU_DEP_2)
	v_fmac_f32_e32 v145, v2, v9
	v_dual_mul_f32 v2, v2, v10 :: v_dual_fmac_f32 v147, v4, v11
	s_delay_alu instid0(VALU_DEP_1) | instskip(SKIP_1) | instid1(VALU_DEP_1)
	v_fma_f32 v146, v1, v9, -v2
	v_mul_f32_e32 v1, v4, v12
	v_fma_f32 v148, v3, v11, -v1
	s_clause 0x1
	scratch_load_b128 v[1:4], off, off offset:248
	scratch_load_b128 v[9:12], off, off offset:264
	s_wait_loadcnt_dscnt 0x100
	v_mul_f32_e32 v149, v5, v2
	v_mul_f32_e32 v2, v6, v2
	s_delay_alu instid0(VALU_DEP_1) | instskip(SKIP_1) | instid1(VALU_DEP_1)
	v_fma_f32 v150, v5, v1, -v2
	v_add_f32_e32 v2, 0, v126
	v_add_f32_e32 v2, v2, v127
	s_delay_alu instid0(VALU_DEP_1) | instskip(NEXT) | instid1(VALU_DEP_1)
	v_add_f32_e32 v2, v2, v25
	v_add_f32_e32 v2, v2, v26
	s_delay_alu instid0(VALU_DEP_1) | instskip(SKIP_1) | instid1(VALU_DEP_2)
	v_add_f32_e32 v2, v2, v27
	v_fmac_f32_e32 v149, v6, v1
	v_add_f32_e32 v2, v2, v128
	s_delay_alu instid0(VALU_DEP_1) | instskip(NEXT) | instid1(VALU_DEP_1)
	v_add_f32_e32 v2, v2, v120
	v_dual_mul_f32 v151, v7, v4 :: v_dual_add_f32 v2, v2, v121
	s_delay_alu instid0(VALU_DEP_1) | instskip(NEXT) | instid1(VALU_DEP_1)
	v_dual_mul_f32 v1, v8, v4 :: v_dual_add_f32 v2, v2, v15
	v_fma_f32 v152, v7, v3, -v1
	v_add_f32_e32 v1, 0, v22
	s_delay_alu instid0(VALU_DEP_3) | instskip(NEXT) | instid1(VALU_DEP_2)
	v_add_f32_e32 v5, v2, v18
	v_add_f32_e32 v1, v1, v24
	s_delay_alu instid0(VALU_DEP_1) | instskip(NEXT) | instid1(VALU_DEP_1)
	v_add_f32_e32 v1, v1, v116
	v_add_f32_e32 v1, v1, v117
	scratch_load_b64 v[116:117], off, off offset:344
	v_add_f32_e32 v1, v1, v118
	s_delay_alu instid0(VALU_DEP_1) | instskip(NEXT) | instid1(VALU_DEP_1)
	v_add_f32_e32 v1, v1, v119
	v_add_f32_e32 v1, v1, v13
	;; [unrolled: 1-line block ×3, first 2 shown]
	s_delay_alu instid0(VALU_DEP_2) | instskip(NEXT) | instid1(VALU_DEP_2)
	v_add_f32_e32 v1, v1, v14
	v_add_f32_e32 v13, v13, v20
	s_delay_alu instid0(VALU_DEP_2) | instskip(NEXT) | instid1(VALU_DEP_2)
	v_add_f32_e32 v1, v1, v16
	v_add_f32_e32 v13, v13, v129
	v_fmac_f32_e32 v151, v8, v3
	s_delay_alu instid0(VALU_DEP_3) | instskip(NEXT) | instid1(VALU_DEP_3)
	v_add_f32_e32 v1, v1, v17
	v_add_f32_e32 v18, v13, v130
	s_delay_alu instid0(VALU_DEP_2)
	v_add_f32_e32 v6, v1, v122
	scratch_load_b128 v[1:4], off, off offset:280
	v_add_f32_e32 v18, v18, v133
	v_add_f32_e32 v14, v6, v123
	ds_load_2addr_b64 v[5:8], v21 offset0:77 offset1:78
	v_add_f32_e32 v18, v18, v135
	v_add_f32_e32 v14, v14, v131
	s_delay_alu instid0(VALU_DEP_2) | instskip(NEXT) | instid1(VALU_DEP_2)
	v_add_f32_e32 v24, v18, v137
	v_add_f32_e32 v17, v14, v132
	ds_load_2addr_b64 v[13:16], v21 offset0:79 offset1:80
	v_add_f32_e32 v24, v24, v139
	s_delay_alu instid0(VALU_DEP_1)
	v_add_f32_e32 v24, v24, v141
	s_wait_loadcnt_dscnt 0x201
	v_mul_f32_e32 v22, v5, v10
	v_mul_f32_e32 v10, v6, v10
	;; [unrolled: 1-line block ×3, first 2 shown]
	v_dual_mul_f32 v12, v8, v12 :: v_dual_add_f32 v17, v17, v134
	s_delay_alu instid0(VALU_DEP_4) | instskip(NEXT) | instid1(VALU_DEP_4)
	v_fmac_f32_e32 v22, v6, v9
	v_fma_f32 v121, v5, v9, -v10
	s_delay_alu instid0(VALU_DEP_4) | instskip(NEXT) | instid1(VALU_DEP_4)
	v_fmac_f32_e32 v120, v8, v11
	v_fma_f32 v122, v7, v11, -v12
	s_clause 0x1
	scratch_load_b128 v[5:8], off, off offset:296
	scratch_load_b128 v[9:12], off, off offset:312
	v_dual_add_f32 v17, v17, v136 :: v_dual_add_f32 v24, v24, v143
	s_wait_loadcnt_dscnt 0x200
	s_delay_alu instid0(VALU_DEP_1) | instskip(NEXT) | instid1(VALU_DEP_1)
	v_dual_add_f32 v17, v17, v138 :: v_dual_mul_f32 v126, v15, v4
	v_add_f32_e32 v25, v17, v140
	scratch_load_b128 v[17:20], off, off offset:328
	v_mul_f32_e32 v123, v13, v2
	v_mul_f32_e32 v2, v14, v2
	v_dual_fmac_f32 v126, v16, v3 :: v_dual_add_f32 v25, v25, v142
	v_mul_f32_e32 v4, v16, v4
	s_delay_alu instid0(VALU_DEP_3) | instskip(SKIP_1) | instid1(VALU_DEP_4)
	v_fma_f32 v127, v13, v1, -v2
	v_add_f32_e32 v13, v24, v145
	v_add_f32_e32 v25, v25, v144
	s_delay_alu instid0(VALU_DEP_4) | instskip(NEXT) | instid1(VALU_DEP_3)
	v_fma_f32 v128, v15, v3, -v4
	v_add_f32_e32 v24, v13, v147
	s_delay_alu instid0(VALU_DEP_1) | instskip(NEXT) | instid1(VALU_DEP_1)
	v_add_f32_e32 v119, v24, v149
	v_add_f32_e32 v130, v119, v151
	s_delay_alu instid0(VALU_DEP_1) | instskip(NEXT) | instid1(VALU_DEP_1)
	v_add_f32_e32 v22, v130, v22
	v_dual_add_f32 v25, v25, v146 :: v_dual_add_f32 v22, v22, v120
	s_delay_alu instid0(VALU_DEP_1)
	v_dual_fmac_f32 v123, v14, v1 :: v_dual_add_f32 v14, v25, v148
	ds_load_2addr_b64 v[1:4], v21 offset0:81 offset1:82
	ds_load_2addr_b64 v[24:27], v21 offset0:85 offset1:86
	v_add_f32_e32 v22, v22, v123
	v_add_f32_e32 v118, v14, v150
	ds_load_2addr_b64 v[13:16], v21 offset0:83 offset1:84
	v_add_f32_e32 v22, v22, v126
	v_add_f32_e32 v129, v118, v152
	ds_load_b64 v[118:119], v21 offset:696
	s_wait_loadcnt_dscnt 0x203
	v_dual_add_f32 v121, v129, v121 :: v_dual_mul_f32 v120, v3, v8
	s_delay_alu instid0(VALU_DEP_1)
	v_add_f32_e32 v121, v121, v122
	v_dual_mul_f32 v129, v1, v6 :: v_dual_mul_f32 v8, v4, v8
	v_mul_f32_e32 v6, v2, v6
	s_wait_loadcnt_dscnt 0x101
	v_dual_mul_f32 v122, v13, v10 :: v_dual_mul_f32 v123, v15, v12
	v_add_f32_e32 v121, v121, v127
	v_dual_fmac_f32 v129, v2, v5 :: v_dual_fmac_f32 v120, v4, v7
	v_fma_f32 v1, v1, v5, -v6
	v_fma_f32 v2, v3, v7, -v8
	s_delay_alu instid0(VALU_DEP_3) | instskip(SKIP_2) | instid1(VALU_DEP_3)
	v_dual_add_f32 v121, v121, v128 :: v_dual_add_f32 v4, v22, v129
	v_dual_mul_f32 v5, v16, v12 :: v_dual_fmac_f32 v122, v14, v9
	v_mul_f32_e32 v3, v14, v10
	v_add_f32_e32 v1, v121, v1
	s_wait_dscnt 0x0
	v_dual_fmac_f32 v123, v16, v11 :: v_dual_mul_f32 v126, v118, v117
	v_fma_f32 v5, v15, v11, -v5
	s_delay_alu instid0(VALU_DEP_3) | instskip(SKIP_1) | instid1(VALU_DEP_4)
	v_dual_add_f32 v1, v1, v2 :: v_dual_add_f32 v2, v4, v120
	v_fma_f32 v3, v13, v9, -v3
	v_fmac_f32_e32 v126, v119, v116
	s_delay_alu instid0(VALU_DEP_2) | instskip(SKIP_1) | instid1(VALU_DEP_1)
	v_dual_add_f32 v2, v2, v122 :: v_dual_add_f32 v1, v1, v3
	s_wait_loadcnt 0x0
	v_dual_add_f32 v2, v2, v123 :: v_dual_mul_f32 v3, v27, v20
	v_mul_f32_e32 v127, v24, v18
	v_mul_f32_e32 v4, v25, v18
	v_mul_f32_e32 v128, v26, v20
	s_delay_alu instid0(VALU_DEP_4) | instskip(NEXT) | instid1(VALU_DEP_4)
	v_fma_f32 v3, v26, v19, -v3
	v_fmac_f32_e32 v127, v25, v17
	s_delay_alu instid0(VALU_DEP_4) | instskip(NEXT) | instid1(VALU_DEP_4)
	v_fma_f32 v4, v24, v17, -v4
	v_dual_fmac_f32 v128, v27, v19 :: v_dual_add_f32 v1, v1, v5
	s_delay_alu instid0(VALU_DEP_3) | instskip(NEXT) | instid1(VALU_DEP_1)
	v_dual_add_f32 v2, v2, v127 :: v_dual_mul_f32 v5, v119, v117
	v_add_f32_e32 v2, v2, v128
	s_delay_alu instid0(VALU_DEP_3) | instskip(NEXT) | instid1(VALU_DEP_3)
	v_add_f32_e32 v1, v1, v4
	v_fma_f32 v4, v118, v116, -v5
	s_delay_alu instid0(VALU_DEP_2) | instskip(NEXT) | instid1(VALU_DEP_1)
	v_dual_add_f32 v2, v2, v126 :: v_dual_add_f32 v1, v1, v3
	v_sub_f32_e32 v2, v125, v2
	s_delay_alu instid0(VALU_DEP_2) | instskip(NEXT) | instid1(VALU_DEP_1)
	v_add_f32_e32 v1, v1, v4
	v_sub_f32_e32 v1, v124, v1
	scratch_store_b64 off, v[1:2], off offset:64
	v_cmpx_lt_u32_e32 7, v0
	s_cbranch_execz .LBB107_263
; %bb.262:
	scratch_load_b64 v[1:2], off, off offset:56
	v_mov_b32_e32 v22, v21
	scratch_store_b64 off, v[21:22], off offset:56
	s_wait_loadcnt 0x0
	ds_store_b64 v23, v[1:2]
.LBB107_263:
	s_wait_alu 0xfffe
	s_or_b32 exec_lo, exec_lo, s0
	s_wait_storecnt_dscnt 0x0
	s_barrier_signal -1
	s_barrier_wait -1
	global_inv scope:SCOPE_SE
	s_clause 0x4
	scratch_load_b128 v[5:8], off, off offset:64
	scratch_load_b128 v[1:4], off, off offset:80
	scratch_load_b128 v[9:12], off, off offset:96
	scratch_load_b128 v[13:16], off, off offset:112
	scratch_load_b128 v[17:20], off, off offset:128
	ds_load_b128 v[24:27], v21 offset:416
	ds_load_b128 v[116:119], v21 offset:432
	;; [unrolled: 1-line block ×3, first 2 shown]
	scratch_load_b64 v[124:125], off, off offset:56
	s_mov_b32 s0, exec_lo
	s_wait_loadcnt_dscnt 0x502
	v_dual_mul_f32 v22, v25, v6 :: v_dual_mul_f32 v127, v26, v8
	v_mul_f32_e32 v126, v24, v6
	v_mul_f32_e32 v6, v27, v8
	s_wait_loadcnt_dscnt 0x300
	v_mul_f32_e32 v128, v122, v12
	v_fma_f32 v22, v24, v5, -v22
	v_dual_fmac_f32 v127, v27, v7 :: v_dual_fmac_f32 v126, v25, v5
	v_mul_f32_e32 v27, v120, v10
	v_mul_f32_e32 v25, v116, v2
	v_fma_f32 v24, v26, v7, -v6
	ds_load_b128 v[5:8], v21 offset:464
	v_mul_f32_e32 v26, v118, v4
	v_dual_mul_f32 v4, v119, v4 :: v_dual_fmac_f32 v27, v121, v9
	v_mul_f32_e32 v10, v121, v10
	v_mul_f32_e32 v12, v123, v12
	;; [unrolled: 1-line block ×3, first 2 shown]
	v_dual_fmac_f32 v25, v117, v1 :: v_dual_fmac_f32 v26, v119, v3
	v_fma_f32 v117, v118, v3, -v4
	v_fma_f32 v118, v120, v9, -v10
	v_fmac_f32_e32 v128, v123, v11
	v_fma_f32 v119, v122, v11, -v12
	ds_load_b128 v[9:12], v21 offset:480
	s_wait_loadcnt_dscnt 0x201
	v_mul_f32_e32 v121, v7, v16
	v_fma_f32 v116, v116, v1, -v2
	scratch_load_b128 v[1:4], off, off offset:144
	v_mul_f32_e32 v120, v5, v14
	v_mul_f32_e32 v14, v6, v14
	;; [unrolled: 1-line block ×3, first 2 shown]
	s_delay_alu instid0(VALU_DEP_3) | instskip(NEXT) | instid1(VALU_DEP_3)
	v_dual_fmac_f32 v121, v8, v15 :: v_dual_fmac_f32 v120, v6, v13
	v_fma_f32 v13, v5, v13, -v14
	s_delay_alu instid0(VALU_DEP_3)
	v_fma_f32 v14, v7, v15, -v16
	ds_load_b128 v[5:8], v21 offset:496
	s_wait_loadcnt_dscnt 0x201
	v_mul_f32_e32 v15, v9, v18
	v_mul_f32_e32 v16, v10, v18
	;; [unrolled: 1-line block ×3, first 2 shown]
	s_delay_alu instid0(VALU_DEP_3) | instskip(NEXT) | instid1(VALU_DEP_3)
	v_dual_mul_f32 v20, v12, v20 :: v_dual_fmac_f32 v15, v10, v17
	v_fma_f32 v16, v9, v17, -v16
	s_delay_alu instid0(VALU_DEP_3) | instskip(NEXT) | instid1(VALU_DEP_3)
	v_fmac_f32_e32 v18, v12, v19
	v_fma_f32 v17, v11, v19, -v20
	scratch_load_b128 v[9:12], off, off offset:160
	s_wait_loadcnt_dscnt 0x100
	v_mul_f32_e32 v19, v5, v2
	v_mul_f32_e32 v2, v6, v2
	;; [unrolled: 1-line block ×3, first 2 shown]
	s_delay_alu instid0(VALU_DEP_3) | instskip(NEXT) | instid1(VALU_DEP_3)
	v_dual_mul_f32 v4, v8, v4 :: v_dual_fmac_f32 v19, v6, v1
	v_fma_f32 v122, v5, v1, -v2
	s_delay_alu instid0(VALU_DEP_3) | instskip(NEXT) | instid1(VALU_DEP_3)
	v_fmac_f32_e32 v20, v8, v3
	v_fma_f32 v123, v7, v3, -v4
	ds_load_b128 v[1:4], v21 offset:512
	ds_load_b128 v[5:8], v21 offset:528
	s_wait_loadcnt_dscnt 0x1
	v_mul_f32_e32 v129, v1, v10
	v_mul_f32_e32 v10, v2, v10
	s_delay_alu instid0(VALU_DEP_2) | instskip(NEXT) | instid1(VALU_DEP_2)
	v_dual_mul_f32 v130, v3, v12 :: v_dual_fmac_f32 v129, v2, v9
	v_fma_f32 v131, v1, v9, -v10
	v_mul_f32_e32 v1, v4, v12
	s_delay_alu instid0(VALU_DEP_3) | instskip(NEXT) | instid1(VALU_DEP_2)
	v_fmac_f32_e32 v130, v4, v11
	v_fma_f32 v132, v3, v11, -v1
	s_clause 0x1
	scratch_load_b128 v[1:4], off, off offset:176
	scratch_load_b128 v[9:12], off, off offset:192
	s_wait_loadcnt_dscnt 0x100
	v_mul_f32_e32 v133, v5, v2
	v_dual_mul_f32 v2, v6, v2 :: v_dual_mul_f32 v135, v7, v4
	s_delay_alu instid0(VALU_DEP_2) | instskip(NEXT) | instid1(VALU_DEP_2)
	v_fmac_f32_e32 v133, v6, v1
	v_fma_f32 v134, v5, v1, -v2
	v_mul_f32_e32 v1, v8, v4
	s_delay_alu instid0(VALU_DEP_4) | instskip(NEXT) | instid1(VALU_DEP_2)
	v_fmac_f32_e32 v135, v8, v3
	v_fma_f32 v136, v7, v3, -v1
	ds_load_b128 v[1:4], v21 offset:544
	ds_load_b128 v[5:8], v21 offset:560
	s_wait_loadcnt_dscnt 0x1
	v_mul_f32_e32 v137, v1, v10
	v_mul_f32_e32 v139, v3, v12
	s_delay_alu instid0(VALU_DEP_2) | instskip(NEXT) | instid1(VALU_DEP_2)
	v_fmac_f32_e32 v137, v2, v9
	v_dual_mul_f32 v2, v2, v10 :: v_dual_fmac_f32 v139, v4, v11
	s_delay_alu instid0(VALU_DEP_1) | instskip(SKIP_1) | instid1(VALU_DEP_1)
	v_fma_f32 v138, v1, v9, -v2
	v_mul_f32_e32 v1, v4, v12
	v_fma_f32 v140, v3, v11, -v1
	s_clause 0x1
	scratch_load_b128 v[1:4], off, off offset:208
	scratch_load_b128 v[9:12], off, off offset:224
	s_wait_loadcnt_dscnt 0x100
	v_mul_f32_e32 v141, v5, v2
	v_dual_mul_f32 v2, v6, v2 :: v_dual_mul_f32 v143, v7, v4
	s_delay_alu instid0(VALU_DEP_2) | instskip(NEXT) | instid1(VALU_DEP_2)
	v_fmac_f32_e32 v141, v6, v1
	v_fma_f32 v142, v5, v1, -v2
	v_mul_f32_e32 v1, v8, v4
	s_delay_alu instid0(VALU_DEP_4) | instskip(NEXT) | instid1(VALU_DEP_2)
	v_fmac_f32_e32 v143, v8, v3
	v_fma_f32 v144, v7, v3, -v1
	ds_load_b128 v[1:4], v21 offset:576
	ds_load_b128 v[5:8], v21 offset:592
	s_wait_loadcnt_dscnt 0x1
	v_mul_f32_e32 v145, v1, v10
	v_mul_f32_e32 v147, v3, v12
	s_delay_alu instid0(VALU_DEP_2) | instskip(NEXT) | instid1(VALU_DEP_2)
	v_fmac_f32_e32 v145, v2, v9
	v_dual_mul_f32 v2, v2, v10 :: v_dual_fmac_f32 v147, v4, v11
	s_delay_alu instid0(VALU_DEP_1) | instskip(SKIP_1) | instid1(VALU_DEP_1)
	v_fma_f32 v146, v1, v9, -v2
	v_mul_f32_e32 v1, v4, v12
	;; [unrolled: 25-line block ×3, first 2 shown]
	v_fma_f32 v156, v3, v11, -v1
	s_clause 0x1
	scratch_load_b128 v[1:4], off, off offset:272
	scratch_load_b128 v[9:12], off, off offset:288
	s_wait_loadcnt_dscnt 0x100
	v_mul_f32_e32 v157, v5, v2
	v_mul_f32_e32 v2, v6, v2
	s_delay_alu instid0(VALU_DEP_1) | instskip(SKIP_1) | instid1(VALU_DEP_1)
	v_fma_f32 v158, v5, v1, -v2
	v_add_f32_e32 v2, 0, v126
	v_add_f32_e32 v2, v2, v127
	s_delay_alu instid0(VALU_DEP_1) | instskip(NEXT) | instid1(VALU_DEP_1)
	v_add_f32_e32 v2, v2, v25
	v_add_f32_e32 v2, v2, v26
	s_delay_alu instid0(VALU_DEP_1) | instskip(NEXT) | instid1(VALU_DEP_1)
	;; [unrolled: 3-line block ×4, first 2 shown]
	v_dual_add_f32 v2, v2, v15 :: v_dual_mul_f32 v159, v7, v4
	v_add_f32_e32 v2, v2, v18
	s_delay_alu instid0(VALU_DEP_1) | instskip(SKIP_2) | instid1(VALU_DEP_3)
	v_add_f32_e32 v2, v2, v19
	v_fmac_f32_e32 v157, v6, v1
	v_mul_f32_e32 v1, v8, v4
	v_dual_fmac_f32 v159, v8, v3 :: v_dual_add_f32 v2, v2, v20
	s_delay_alu instid0(VALU_DEP_2) | instskip(SKIP_1) | instid1(VALU_DEP_3)
	v_fma_f32 v160, v7, v3, -v1
	v_add_f32_e32 v1, 0, v22
	v_add_f32_e32 v5, v2, v129
	s_delay_alu instid0(VALU_DEP_2) | instskip(NEXT) | instid1(VALU_DEP_2)
	v_add_f32_e32 v1, v1, v24
	v_add_f32_e32 v5, v5, v130
	s_delay_alu instid0(VALU_DEP_2) | instskip(NEXT) | instid1(VALU_DEP_2)
	v_add_f32_e32 v1, v1, v116
	v_add_f32_e32 v5, v5, v133
	s_delay_alu instid0(VALU_DEP_2) | instskip(NEXT) | instid1(VALU_DEP_1)
	v_add_f32_e32 v1, v1, v117
	v_add_f32_e32 v1, v1, v118
	s_delay_alu instid0(VALU_DEP_1) | instskip(NEXT) | instid1(VALU_DEP_1)
	v_add_f32_e32 v1, v1, v119
	v_add_f32_e32 v1, v1, v13
	s_delay_alu instid0(VALU_DEP_1) | instskip(SKIP_1) | instid1(VALU_DEP_1)
	v_add_f32_e32 v1, v1, v14
	v_add_f32_e32 v14, v5, v135
	;; [unrolled: 1-line block ×3, first 2 shown]
	s_delay_alu instid0(VALU_DEP_1) | instskip(NEXT) | instid1(VALU_DEP_1)
	v_dual_add_f32 v14, v14, v139 :: v_dual_add_f32 v1, v1, v16
	v_add_f32_e32 v1, v1, v17
	s_delay_alu instid0(VALU_DEP_2) | instskip(NEXT) | instid1(VALU_DEP_2)
	v_add_f32_e32 v17, v14, v141
	v_add_f32_e32 v1, v1, v122
	s_delay_alu instid0(VALU_DEP_2) | instskip(NEXT) | instid1(VALU_DEP_2)
	v_add_f32_e32 v17, v17, v143
	;; [unrolled: 3-line block ×4, first 2 shown]
	v_add_f32_e32 v6, v1, v132
	ds_load_b128 v[1:4], v21 offset:640
	v_dual_add_f32 v25, v17, v149 :: v_dual_add_f32 v6, v6, v134
	s_delay_alu instid0(VALU_DEP_1)
	v_dual_add_f32 v120, v25, v151 :: v_dual_add_f32 v13, v6, v136
	ds_load_b128 v[5:8], v21 offset:656
	s_wait_loadcnt_dscnt 0x1
	v_mul_f32_e32 v22, v1, v10
	v_mul_f32_e32 v116, v3, v12
	;; [unrolled: 1-line block ×4, first 2 shown]
	s_delay_alu instid0(VALU_DEP_4) | instskip(NEXT) | instid1(VALU_DEP_4)
	v_fmac_f32_e32 v22, v2, v9
	v_fmac_f32_e32 v116, v4, v11
	s_delay_alu instid0(VALU_DEP_4) | instskip(NEXT) | instid1(VALU_DEP_4)
	v_fma_f32 v117, v1, v9, -v10
	v_fma_f32 v118, v3, v11, -v12
	s_clause 0x1
	scratch_load_b128 v[1:4], off, off offset:304
	scratch_load_b128 v[9:12], off, off offset:320
	v_add_f32_e32 v13, v13, v138
	s_delay_alu instid0(VALU_DEP_1) | instskip(NEXT) | instid1(VALU_DEP_1)
	v_add_f32_e32 v13, v13, v140
	v_add_f32_e32 v13, v13, v142
	s_delay_alu instid0(VALU_DEP_1) | instskip(SKIP_2) | instid1(VALU_DEP_1)
	v_add_f32_e32 v18, v13, v144
	scratch_load_b128 v[13:16], off, off offset:336
	v_add_f32_e32 v18, v18, v146
	v_add_f32_e32 v18, v18, v148
	s_delay_alu instid0(VALU_DEP_1)
	v_add_f32_e32 v24, v18, v150
	ds_load_b128 v[17:20], v21 offset:672
	v_add_f32_e32 v119, v24, v152
	ds_load_b128 v[24:27], v21 offset:688
	s_wait_loadcnt_dscnt 0x101
	v_dual_mul_f32 v121, v7, v4 :: v_dual_mul_f32 v122, v17, v10
	v_add_f32_e32 v21, v119, v154
	v_dual_add_f32 v119, v120, v153 :: v_dual_mul_f32 v120, v5, v2
	v_mul_f32_e32 v2, v6, v2
	v_mul_f32_e32 v4, v8, v4
	s_delay_alu instid0(VALU_DEP_4) | instskip(NEXT) | instid1(VALU_DEP_4)
	v_add_f32_e32 v21, v21, v156
	v_dual_fmac_f32 v121, v8, v3 :: v_dual_fmac_f32 v120, v6, v1
	s_delay_alu instid0(VALU_DEP_4) | instskip(SKIP_1) | instid1(VALU_DEP_4)
	v_fma_f32 v2, v5, v1, -v2
	v_mul_f32_e32 v6, v18, v10
	v_add_f32_e32 v21, v21, v158
	v_fma_f32 v3, v7, v3, -v4
	v_mul_f32_e32 v123, v19, v12
	v_mul_f32_e32 v4, v20, v12
	s_delay_alu instid0(VALU_DEP_4)
	v_dual_fmac_f32 v122, v18, v9 :: v_dual_add_f32 v21, v21, v160
	s_wait_loadcnt_dscnt 0x0
	v_dual_mul_f32 v126, v24, v14 :: v_dual_add_f32 v119, v119, v155
	v_fmac_f32_e32 v123, v20, v11
	v_fma_f32 v4, v19, v11, -v4
	v_add_f32_e32 v21, v21, v117
	s_delay_alu instid0(VALU_DEP_4) | instskip(SKIP_2) | instid1(VALU_DEP_4)
	v_fmac_f32_e32 v126, v25, v13
	v_add_f32_e32 v119, v119, v157
	v_mul_f32_e32 v117, v26, v16
	v_add_f32_e32 v1, v21, v118
	s_delay_alu instid0(VALU_DEP_3) | instskip(NEXT) | instid1(VALU_DEP_3)
	v_add_f32_e32 v119, v119, v159
	v_fmac_f32_e32 v117, v27, v15
	s_delay_alu instid0(VALU_DEP_3) | instskip(NEXT) | instid1(VALU_DEP_1)
	v_add_f32_e32 v1, v1, v2
	v_dual_add_f32 v22, v119, v22 :: v_dual_add_f32 v1, v1, v3
	v_mul_f32_e32 v3, v25, v14
	s_delay_alu instid0(VALU_DEP_2) | instskip(NEXT) | instid1(VALU_DEP_2)
	v_add_f32_e32 v5, v22, v116
	v_fma_f32 v3, v24, v13, -v3
	s_delay_alu instid0(VALU_DEP_2) | instskip(SKIP_1) | instid1(VALU_DEP_2)
	v_add_f32_e32 v2, v5, v120
	v_fma_f32 v5, v17, v9, -v6
	v_add_f32_e32 v2, v2, v121
	s_delay_alu instid0(VALU_DEP_2) | instskip(NEXT) | instid1(VALU_DEP_2)
	v_add_f32_e32 v1, v1, v5
	v_dual_mul_f32 v5, v27, v16 :: v_dual_add_f32 v2, v2, v122
	s_delay_alu instid0(VALU_DEP_2) | instskip(NEXT) | instid1(VALU_DEP_2)
	v_add_f32_e32 v1, v1, v4
	v_fma_f32 v4, v26, v15, -v5
	s_delay_alu instid0(VALU_DEP_3) | instskip(NEXT) | instid1(VALU_DEP_1)
	v_add_f32_e32 v2, v2, v123
	v_dual_add_f32 v1, v1, v3 :: v_dual_add_f32 v2, v2, v126
	s_delay_alu instid0(VALU_DEP_1) | instskip(NEXT) | instid1(VALU_DEP_1)
	v_dual_add_f32 v1, v1, v4 :: v_dual_add_f32 v2, v2, v117
	v_dual_sub_f32 v1, v124, v1 :: v_dual_sub_f32 v2, v125, v2
	scratch_store_b64 off, v[1:2], off offset:56
	v_cmpx_lt_u32_e32 6, v0
	s_cbranch_execz .LBB107_265
; %bb.264:
	scratch_load_b64 v[1:2], off, off offset:48
	v_mov_b32_e32 v3, 0
	s_delay_alu instid0(VALU_DEP_1)
	v_mov_b32_e32 v4, v3
	scratch_store_b64 off, v[3:4], off offset:48
	s_wait_loadcnt 0x0
	ds_store_b64 v23, v[1:2]
.LBB107_265:
	s_wait_alu 0xfffe
	s_or_b32 exec_lo, exec_lo, s0
	s_wait_storecnt_dscnt 0x0
	s_barrier_signal -1
	s_barrier_wait -1
	global_inv scope:SCOPE_SE
	s_clause 0x4
	scratch_load_b128 v[5:8], off, off offset:56
	scratch_load_b128 v[1:4], off, off offset:72
	;; [unrolled: 1-line block ×5, first 2 shown]
	v_mov_b32_e32 v21, 0
	ds_load_2addr_b64 v[24:27], v21 offset0:51 offset1:52
	ds_load_2addr_b64 v[116:119], v21 offset0:53 offset1:54
	;; [unrolled: 1-line block ×3, first 2 shown]
	scratch_load_b64 v[124:125], off, off offset:48
	s_mov_b32 s0, exec_lo
	s_wait_loadcnt_dscnt 0x502
	v_mul_f32_e32 v22, v25, v6
	v_dual_mul_f32 v126, v24, v6 :: v_dual_mul_f32 v127, v26, v8
	v_mul_f32_e32 v6, v27, v8
	s_delay_alu instid0(VALU_DEP_3) | instskip(NEXT) | instid1(VALU_DEP_3)
	v_fma_f32 v22, v24, v5, -v22
	v_dual_fmac_f32 v126, v25, v5 :: v_dual_fmac_f32 v127, v27, v7
	s_wait_loadcnt_dscnt 0x401
	v_mul_f32_e32 v25, v116, v2
	v_fma_f32 v24, v26, v7, -v6
	ds_load_2addr_b64 v[5:8], v21 offset0:57 offset1:58
	s_wait_loadcnt_dscnt 0x301
	v_dual_mul_f32 v26, v118, v4 :: v_dual_mul_f32 v27, v120, v10
	v_dual_mul_f32 v4, v119, v4 :: v_dual_fmac_f32 v25, v117, v1
	v_mul_f32_e32 v10, v121, v10
	s_delay_alu instid0(VALU_DEP_3)
	v_dual_mul_f32 v128, v122, v12 :: v_dual_fmac_f32 v27, v121, v9
	v_mul_f32_e32 v12, v123, v12
	v_mul_f32_e32 v2, v117, v2
	v_fmac_f32_e32 v26, v119, v3
	v_fma_f32 v117, v118, v3, -v4
	v_fma_f32 v118, v120, v9, -v10
	v_fmac_f32_e32 v128, v123, v11
	v_fma_f32 v119, v122, v11, -v12
	ds_load_2addr_b64 v[9:12], v21 offset0:59 offset1:60
	s_wait_loadcnt_dscnt 0x201
	v_mul_f32_e32 v121, v7, v16
	v_fma_f32 v116, v116, v1, -v2
	scratch_load_b128 v[1:4], off, off offset:136
	v_mul_f32_e32 v120, v5, v14
	v_mul_f32_e32 v14, v6, v14
	;; [unrolled: 1-line block ×3, first 2 shown]
	s_delay_alu instid0(VALU_DEP_3) | instskip(NEXT) | instid1(VALU_DEP_3)
	v_dual_fmac_f32 v121, v8, v15 :: v_dual_fmac_f32 v120, v6, v13
	v_fma_f32 v13, v5, v13, -v14
	s_delay_alu instid0(VALU_DEP_3)
	v_fma_f32 v14, v7, v15, -v16
	ds_load_2addr_b64 v[5:8], v21 offset0:61 offset1:62
	s_wait_loadcnt_dscnt 0x201
	v_mul_f32_e32 v15, v9, v18
	v_mul_f32_e32 v16, v10, v18
	;; [unrolled: 1-line block ×3, first 2 shown]
	s_delay_alu instid0(VALU_DEP_3) | instskip(NEXT) | instid1(VALU_DEP_3)
	v_dual_mul_f32 v20, v12, v20 :: v_dual_fmac_f32 v15, v10, v17
	v_fma_f32 v16, v9, v17, -v16
	s_delay_alu instid0(VALU_DEP_3) | instskip(NEXT) | instid1(VALU_DEP_3)
	v_fmac_f32_e32 v18, v12, v19
	v_fma_f32 v17, v11, v19, -v20
	scratch_load_b128 v[9:12], off, off offset:152
	s_wait_loadcnt_dscnt 0x100
	v_mul_f32_e32 v19, v5, v2
	v_mul_f32_e32 v2, v6, v2
	v_mul_f32_e32 v20, v7, v4
	s_delay_alu instid0(VALU_DEP_3) | instskip(NEXT) | instid1(VALU_DEP_3)
	v_dual_mul_f32 v4, v8, v4 :: v_dual_fmac_f32 v19, v6, v1
	v_fma_f32 v122, v5, v1, -v2
	s_delay_alu instid0(VALU_DEP_3) | instskip(NEXT) | instid1(VALU_DEP_3)
	v_fmac_f32_e32 v20, v8, v3
	v_fma_f32 v123, v7, v3, -v4
	ds_load_2addr_b64 v[1:4], v21 offset0:63 offset1:64
	ds_load_2addr_b64 v[5:8], v21 offset0:65 offset1:66
	s_wait_loadcnt_dscnt 0x1
	v_mul_f32_e32 v129, v1, v10
	v_mul_f32_e32 v10, v2, v10
	s_delay_alu instid0(VALU_DEP_2) | instskip(NEXT) | instid1(VALU_DEP_2)
	v_dual_mul_f32 v130, v3, v12 :: v_dual_fmac_f32 v129, v2, v9
	v_fma_f32 v131, v1, v9, -v10
	v_mul_f32_e32 v1, v4, v12
	s_delay_alu instid0(VALU_DEP_3) | instskip(NEXT) | instid1(VALU_DEP_2)
	v_fmac_f32_e32 v130, v4, v11
	v_fma_f32 v132, v3, v11, -v1
	s_clause 0x1
	scratch_load_b128 v[1:4], off, off offset:168
	scratch_load_b128 v[9:12], off, off offset:184
	s_wait_loadcnt_dscnt 0x100
	v_mul_f32_e32 v133, v5, v2
	v_dual_mul_f32 v2, v6, v2 :: v_dual_mul_f32 v135, v7, v4
	s_delay_alu instid0(VALU_DEP_2) | instskip(NEXT) | instid1(VALU_DEP_2)
	v_fmac_f32_e32 v133, v6, v1
	v_fma_f32 v134, v5, v1, -v2
	v_mul_f32_e32 v1, v8, v4
	s_delay_alu instid0(VALU_DEP_4) | instskip(NEXT) | instid1(VALU_DEP_2)
	v_fmac_f32_e32 v135, v8, v3
	v_fma_f32 v136, v7, v3, -v1
	ds_load_2addr_b64 v[1:4], v21 offset0:67 offset1:68
	ds_load_2addr_b64 v[5:8], v21 offset0:69 offset1:70
	s_wait_loadcnt_dscnt 0x1
	v_mul_f32_e32 v137, v1, v10
	v_mul_f32_e32 v139, v3, v12
	s_delay_alu instid0(VALU_DEP_2) | instskip(NEXT) | instid1(VALU_DEP_2)
	v_fmac_f32_e32 v137, v2, v9
	v_dual_mul_f32 v2, v2, v10 :: v_dual_fmac_f32 v139, v4, v11
	s_delay_alu instid0(VALU_DEP_1) | instskip(SKIP_1) | instid1(VALU_DEP_1)
	v_fma_f32 v138, v1, v9, -v2
	v_mul_f32_e32 v1, v4, v12
	v_fma_f32 v140, v3, v11, -v1
	s_clause 0x1
	scratch_load_b128 v[1:4], off, off offset:200
	scratch_load_b128 v[9:12], off, off offset:216
	s_wait_loadcnt_dscnt 0x100
	v_mul_f32_e32 v141, v5, v2
	v_dual_mul_f32 v143, v7, v4 :: v_dual_mul_f32 v2, v6, v2
	s_delay_alu instid0(VALU_DEP_2) | instskip(NEXT) | instid1(VALU_DEP_2)
	v_fmac_f32_e32 v141, v6, v1
	v_fmac_f32_e32 v143, v8, v3
	s_delay_alu instid0(VALU_DEP_3) | instskip(SKIP_1) | instid1(VALU_DEP_1)
	v_fma_f32 v142, v5, v1, -v2
	v_mul_f32_e32 v1, v8, v4
	v_fma_f32 v144, v7, v3, -v1
	ds_load_2addr_b64 v[1:4], v21 offset0:71 offset1:72
	ds_load_2addr_b64 v[5:8], v21 offset0:73 offset1:74
	s_wait_loadcnt_dscnt 0x1
	v_mul_f32_e32 v145, v1, v10
	v_mul_f32_e32 v147, v3, v12
	s_delay_alu instid0(VALU_DEP_2) | instskip(NEXT) | instid1(VALU_DEP_2)
	v_fmac_f32_e32 v145, v2, v9
	v_dual_mul_f32 v2, v2, v10 :: v_dual_fmac_f32 v147, v4, v11
	s_delay_alu instid0(VALU_DEP_1) | instskip(SKIP_1) | instid1(VALU_DEP_1)
	v_fma_f32 v146, v1, v9, -v2
	v_mul_f32_e32 v1, v4, v12
	v_fma_f32 v148, v3, v11, -v1
	s_clause 0x1
	scratch_load_b128 v[1:4], off, off offset:232
	scratch_load_b128 v[9:12], off, off offset:248
	s_wait_loadcnt_dscnt 0x100
	v_mul_f32_e32 v149, v5, v2
	v_dual_mul_f32 v2, v6, v2 :: v_dual_mul_f32 v151, v7, v4
	s_delay_alu instid0(VALU_DEP_2) | instskip(NEXT) | instid1(VALU_DEP_2)
	v_fmac_f32_e32 v149, v6, v1
	v_fma_f32 v150, v5, v1, -v2
	v_mul_f32_e32 v1, v8, v4
	s_delay_alu instid0(VALU_DEP_4) | instskip(NEXT) | instid1(VALU_DEP_2)
	v_fmac_f32_e32 v151, v8, v3
	v_fma_f32 v152, v7, v3, -v1
	ds_load_2addr_b64 v[1:4], v21 offset0:75 offset1:76
	ds_load_2addr_b64 v[5:8], v21 offset0:77 offset1:78
	s_wait_loadcnt_dscnt 0x1
	v_mul_f32_e32 v153, v1, v10
	v_mul_f32_e32 v155, v3, v12
	s_delay_alu instid0(VALU_DEP_2) | instskip(NEXT) | instid1(VALU_DEP_2)
	v_fmac_f32_e32 v153, v2, v9
	v_dual_mul_f32 v2, v2, v10 :: v_dual_fmac_f32 v155, v4, v11
	s_delay_alu instid0(VALU_DEP_1) | instskip(SKIP_1) | instid1(VALU_DEP_1)
	v_fma_f32 v154, v1, v9, -v2
	v_mul_f32_e32 v1, v4, v12
	v_fma_f32 v156, v3, v11, -v1
	s_clause 0x1
	scratch_load_b128 v[1:4], off, off offset:264
	scratch_load_b128 v[9:12], off, off offset:280
	s_wait_loadcnt_dscnt 0x100
	v_mul_f32_e32 v157, v5, v2
	v_mul_f32_e32 v2, v6, v2
	s_delay_alu instid0(VALU_DEP_1) | instskip(SKIP_1) | instid1(VALU_DEP_1)
	v_fma_f32 v158, v5, v1, -v2
	v_add_f32_e32 v2, 0, v126
	v_add_f32_e32 v2, v2, v127
	s_delay_alu instid0(VALU_DEP_1) | instskip(NEXT) | instid1(VALU_DEP_1)
	v_add_f32_e32 v2, v2, v25
	v_add_f32_e32 v2, v2, v26
	s_delay_alu instid0(VALU_DEP_1) | instskip(NEXT) | instid1(VALU_DEP_1)
	;; [unrolled: 3-line block ×4, first 2 shown]
	v_add_f32_e32 v2, v2, v15
	v_add_f32_e32 v2, v2, v18
	s_delay_alu instid0(VALU_DEP_1) | instskip(SKIP_2) | instid1(VALU_DEP_3)
	v_add_f32_e32 v2, v2, v19
	v_fmac_f32_e32 v157, v6, v1
	v_mul_f32_e32 v1, v8, v4
	v_add_f32_e32 v2, v2, v20
	s_delay_alu instid0(VALU_DEP_2) | instskip(SKIP_1) | instid1(VALU_DEP_1)
	v_fma_f32 v160, v7, v3, -v1
	v_add_f32_e32 v1, 0, v22
	v_add_f32_e32 v1, v1, v24
	s_delay_alu instid0(VALU_DEP_1) | instskip(NEXT) | instid1(VALU_DEP_1)
	v_add_f32_e32 v1, v1, v116
	v_add_f32_e32 v1, v1, v117
	scratch_load_b64 v[116:117], off, off offset:344
	v_add_f32_e32 v1, v1, v118
	s_delay_alu instid0(VALU_DEP_1) | instskip(NEXT) | instid1(VALU_DEP_1)
	v_add_f32_e32 v1, v1, v119
	v_add_f32_e32 v1, v1, v13
	s_delay_alu instid0(VALU_DEP_1) | instskip(NEXT) | instid1(VALU_DEP_1)
	v_add_f32_e32 v1, v1, v14
	;; [unrolled: 3-line block ×5, first 2 shown]
	v_dual_mul_f32 v159, v7, v4 :: v_dual_add_f32 v6, v6, v134
	s_delay_alu instid0(VALU_DEP_1) | instskip(NEXT) | instid1(VALU_DEP_2)
	v_fmac_f32_e32 v159, v8, v3
	v_add_f32_e32 v13, v6, v136
	s_delay_alu instid0(VALU_DEP_1) | instskip(NEXT) | instid1(VALU_DEP_1)
	v_add_f32_e32 v13, v13, v138
	v_add_f32_e32 v13, v13, v140
	s_delay_alu instid0(VALU_DEP_1) | instskip(SKIP_4) | instid1(VALU_DEP_1)
	v_add_f32_e32 v13, v13, v142
	v_add_f32_e32 v5, v2, v129
	ds_load_2addr_b64 v[1:4], v21 offset0:79 offset1:80
	v_add_f32_e32 v18, v13, v144
	v_add_f32_e32 v5, v5, v130
	v_dual_add_f32 v18, v18, v146 :: v_dual_add_f32 v5, v5, v133
	s_delay_alu instid0(VALU_DEP_1) | instskip(NEXT) | instid1(VALU_DEP_2)
	v_add_f32_e32 v18, v18, v148
	v_add_f32_e32 v14, v5, v135
	ds_load_2addr_b64 v[5:8], v21 offset0:81 offset1:82
	v_add_f32_e32 v18, v18, v150
	v_add_f32_e32 v14, v14, v137
	s_wait_loadcnt_dscnt 0x101
	v_mul_f32_e32 v22, v1, v10
	v_mul_f32_e32 v10, v2, v10
	v_mul_f32_e32 v120, v3, v12
	v_mul_f32_e32 v12, v4, v12
	v_add_f32_e32 v14, v14, v139
	v_fmac_f32_e32 v22, v2, v9
	v_fma_f32 v121, v1, v9, -v10
	v_fmac_f32_e32 v120, v4, v11
	v_fma_f32 v122, v3, v11, -v12
	s_clause 0x1
	scratch_load_b128 v[1:4], off, off offset:296
	scratch_load_b128 v[9:12], off, off offset:312
	v_add_f32_e32 v17, v14, v141
	scratch_load_b128 v[13:16], off, off offset:328
	v_dual_add_f32 v18, v18, v152 :: v_dual_add_f32 v17, v17, v143
	s_delay_alu instid0(VALU_DEP_1) | instskip(NEXT) | instid1(VALU_DEP_1)
	v_dual_add_f32 v118, v18, v154 :: v_dual_add_f32 v17, v17, v145
	v_add_f32_e32 v123, v118, v156
	s_wait_loadcnt_dscnt 0x200
	s_delay_alu instid0(VALU_DEP_2) | instskip(NEXT) | instid1(VALU_DEP_1)
	v_dual_add_f32 v17, v17, v147 :: v_dual_mul_f32 v128, v7, v4
	v_dual_add_f32 v17, v17, v149 :: v_dual_mul_f32 v4, v8, v4
	s_delay_alu instid0(VALU_DEP_2) | instskip(NEXT) | instid1(VALU_DEP_2)
	v_dual_fmac_f32 v128, v8, v3 :: v_dual_mul_f32 v127, v5, v2
	v_add_f32_e32 v24, v17, v151
	ds_load_2addr_b64 v[17:20], v21 offset0:83 offset1:84
	v_mul_f32_e32 v2, v6, v2
	v_fmac_f32_e32 v127, v6, v1
	v_add_f32_e32 v123, v123, v158
	s_delay_alu instid0(VALU_DEP_3) | instskip(SKIP_1) | instid1(VALU_DEP_3)
	v_fma_f32 v2, v5, v1, -v2
	v_fma_f32 v1, v7, v3, -v4
	v_add_f32_e32 v123, v123, v160
	s_delay_alu instid0(VALU_DEP_1) | instskip(NEXT) | instid1(VALU_DEP_1)
	v_add_f32_e32 v121, v123, v121
	v_add_f32_e32 v121, v121, v122
	;; [unrolled: 1-line block ×3, first 2 shown]
	ds_load_2addr_b64 v[24:27], v21 offset0:85 offset1:86
	s_wait_loadcnt_dscnt 0x101
	v_mul_f32_e32 v3, v18, v10
	v_add_f32_e32 v2, v121, v2
	v_add_f32_e32 v126, v119, v155
	ds_load_b64 v[118:119], v21 offset:696
	v_fma_f32 v3, v17, v9, -v3
	v_add_f32_e32 v1, v2, v1
	v_add_f32_e32 v126, v126, v157
	s_delay_alu instid0(VALU_DEP_1) | instskip(NEXT) | instid1(VALU_DEP_1)
	v_add_f32_e32 v126, v126, v159
	v_add_f32_e32 v22, v126, v22
	s_wait_loadcnt_dscnt 0x1
	v_dual_mul_f32 v122, v26, v16 :: v_dual_mul_f32 v123, v17, v10
	v_mul_f32_e32 v126, v19, v12
	s_delay_alu instid0(VALU_DEP_3) | instskip(NEXT) | instid1(VALU_DEP_3)
	v_add_f32_e32 v22, v22, v120
	v_dual_fmac_f32 v122, v27, v15 :: v_dual_fmac_f32 v123, v18, v9
	s_wait_dscnt 0x0
	v_dual_mul_f32 v120, v118, v117 :: v_dual_mul_f32 v129, v24, v14
	s_delay_alu instid0(VALU_DEP_3) | instskip(SKIP_1) | instid1(VALU_DEP_3)
	v_add_f32_e32 v4, v22, v127
	v_fmac_f32_e32 v126, v20, v11
	v_dual_fmac_f32 v120, v119, v116 :: v_dual_fmac_f32 v129, v25, v13
	s_delay_alu instid0(VALU_DEP_3) | instskip(SKIP_1) | instid1(VALU_DEP_2)
	v_add_f32_e32 v2, v4, v128
	v_mul_f32_e32 v4, v25, v14
	v_dual_add_f32 v2, v2, v123 :: v_dual_mul_f32 v5, v20, v12
	s_delay_alu instid0(VALU_DEP_2) | instskip(NEXT) | instid1(VALU_DEP_2)
	v_fma_f32 v4, v24, v13, -v4
	v_add_f32_e32 v2, v2, v126
	s_delay_alu instid0(VALU_DEP_3) | instskip(NEXT) | instid1(VALU_DEP_2)
	v_fma_f32 v5, v19, v11, -v5
	v_dual_add_f32 v2, v2, v129 :: v_dual_add_f32 v1, v1, v3
	s_delay_alu instid0(VALU_DEP_1) | instskip(NEXT) | instid1(VALU_DEP_2)
	v_dual_mul_f32 v3, v27, v16 :: v_dual_add_f32 v2, v2, v122
	v_add_f32_e32 v1, v1, v5
	v_mul_f32_e32 v5, v119, v117
	s_delay_alu instid0(VALU_DEP_3) | instskip(NEXT) | instid1(VALU_DEP_4)
	v_fma_f32 v3, v26, v15, -v3
	v_add_f32_e32 v2, v2, v120
	s_delay_alu instid0(VALU_DEP_4) | instskip(NEXT) | instid1(VALU_DEP_4)
	v_add_f32_e32 v1, v1, v4
	v_fma_f32 v4, v118, v116, -v5
	s_delay_alu instid0(VALU_DEP_3) | instskip(NEXT) | instid1(VALU_DEP_3)
	v_sub_f32_e32 v2, v125, v2
	v_add_f32_e32 v1, v1, v3
	s_delay_alu instid0(VALU_DEP_1) | instskip(NEXT) | instid1(VALU_DEP_1)
	v_add_f32_e32 v1, v1, v4
	v_sub_f32_e32 v1, v124, v1
	scratch_store_b64 off, v[1:2], off offset:48
	v_cmpx_lt_u32_e32 5, v0
	s_cbranch_execz .LBB107_267
; %bb.266:
	scratch_load_b64 v[1:2], off, off offset:40
	v_mov_b32_e32 v22, v21
	scratch_store_b64 off, v[21:22], off offset:40
	s_wait_loadcnt 0x0
	ds_store_b64 v23, v[1:2]
.LBB107_267:
	s_wait_alu 0xfffe
	s_or_b32 exec_lo, exec_lo, s0
	s_wait_storecnt_dscnt 0x0
	s_barrier_signal -1
	s_barrier_wait -1
	global_inv scope:SCOPE_SE
	s_clause 0x4
	scratch_load_b128 v[5:8], off, off offset:48
	scratch_load_b128 v[1:4], off, off offset:64
	;; [unrolled: 1-line block ×5, first 2 shown]
	ds_load_b128 v[24:27], v21 offset:400
	ds_load_b128 v[116:119], v21 offset:416
	;; [unrolled: 1-line block ×3, first 2 shown]
	scratch_load_b64 v[124:125], off, off offset:40
	s_mov_b32 s0, exec_lo
	s_wait_loadcnt_dscnt 0x502
	v_dual_mul_f32 v22, v25, v6 :: v_dual_mul_f32 v127, v26, v8
	v_mul_f32_e32 v126, v24, v6
	v_mul_f32_e32 v6, v27, v8
	s_wait_loadcnt_dscnt 0x300
	v_mul_f32_e32 v128, v122, v12
	v_fma_f32 v22, v24, v5, -v22
	v_dual_fmac_f32 v127, v27, v7 :: v_dual_fmac_f32 v126, v25, v5
	v_mul_f32_e32 v27, v120, v10
	v_mul_f32_e32 v25, v116, v2
	v_fma_f32 v24, v26, v7, -v6
	ds_load_b128 v[5:8], v21 offset:448
	v_mul_f32_e32 v26, v118, v4
	v_dual_mul_f32 v4, v119, v4 :: v_dual_fmac_f32 v27, v121, v9
	v_mul_f32_e32 v10, v121, v10
	v_mul_f32_e32 v12, v123, v12
	;; [unrolled: 1-line block ×3, first 2 shown]
	v_dual_fmac_f32 v25, v117, v1 :: v_dual_fmac_f32 v26, v119, v3
	v_fma_f32 v117, v118, v3, -v4
	v_fma_f32 v118, v120, v9, -v10
	v_fmac_f32_e32 v128, v123, v11
	v_fma_f32 v119, v122, v11, -v12
	ds_load_b128 v[9:12], v21 offset:464
	s_wait_loadcnt_dscnt 0x201
	v_mul_f32_e32 v121, v7, v16
	v_fma_f32 v116, v116, v1, -v2
	scratch_load_b128 v[1:4], off, off offset:128
	v_mul_f32_e32 v120, v5, v14
	v_mul_f32_e32 v14, v6, v14
	;; [unrolled: 1-line block ×3, first 2 shown]
	s_delay_alu instid0(VALU_DEP_3) | instskip(NEXT) | instid1(VALU_DEP_3)
	v_dual_fmac_f32 v121, v8, v15 :: v_dual_fmac_f32 v120, v6, v13
	v_fma_f32 v13, v5, v13, -v14
	s_delay_alu instid0(VALU_DEP_3)
	v_fma_f32 v14, v7, v15, -v16
	ds_load_b128 v[5:8], v21 offset:480
	s_wait_loadcnt_dscnt 0x201
	v_mul_f32_e32 v15, v9, v18
	v_mul_f32_e32 v16, v10, v18
	;; [unrolled: 1-line block ×3, first 2 shown]
	s_delay_alu instid0(VALU_DEP_3) | instskip(NEXT) | instid1(VALU_DEP_3)
	v_dual_mul_f32 v20, v12, v20 :: v_dual_fmac_f32 v15, v10, v17
	v_fma_f32 v16, v9, v17, -v16
	s_delay_alu instid0(VALU_DEP_3) | instskip(NEXT) | instid1(VALU_DEP_3)
	v_fmac_f32_e32 v18, v12, v19
	v_fma_f32 v17, v11, v19, -v20
	scratch_load_b128 v[9:12], off, off offset:144
	s_wait_loadcnt_dscnt 0x100
	v_mul_f32_e32 v19, v5, v2
	v_mul_f32_e32 v2, v6, v2
	;; [unrolled: 1-line block ×3, first 2 shown]
	s_delay_alu instid0(VALU_DEP_3) | instskip(NEXT) | instid1(VALU_DEP_3)
	v_dual_mul_f32 v4, v8, v4 :: v_dual_fmac_f32 v19, v6, v1
	v_fma_f32 v122, v5, v1, -v2
	s_delay_alu instid0(VALU_DEP_3) | instskip(NEXT) | instid1(VALU_DEP_3)
	v_fmac_f32_e32 v20, v8, v3
	v_fma_f32 v123, v7, v3, -v4
	ds_load_b128 v[1:4], v21 offset:496
	ds_load_b128 v[5:8], v21 offset:512
	s_wait_loadcnt_dscnt 0x1
	v_mul_f32_e32 v129, v1, v10
	v_mul_f32_e32 v10, v2, v10
	s_delay_alu instid0(VALU_DEP_2) | instskip(NEXT) | instid1(VALU_DEP_2)
	v_dual_mul_f32 v130, v3, v12 :: v_dual_fmac_f32 v129, v2, v9
	v_fma_f32 v131, v1, v9, -v10
	v_mul_f32_e32 v1, v4, v12
	s_delay_alu instid0(VALU_DEP_3) | instskip(NEXT) | instid1(VALU_DEP_2)
	v_fmac_f32_e32 v130, v4, v11
	v_fma_f32 v132, v3, v11, -v1
	s_clause 0x1
	scratch_load_b128 v[1:4], off, off offset:160
	scratch_load_b128 v[9:12], off, off offset:176
	s_wait_loadcnt_dscnt 0x100
	v_mul_f32_e32 v133, v5, v2
	v_dual_mul_f32 v2, v6, v2 :: v_dual_mul_f32 v135, v7, v4
	s_delay_alu instid0(VALU_DEP_2) | instskip(NEXT) | instid1(VALU_DEP_2)
	v_fmac_f32_e32 v133, v6, v1
	v_fma_f32 v134, v5, v1, -v2
	v_mul_f32_e32 v1, v8, v4
	s_delay_alu instid0(VALU_DEP_4) | instskip(NEXT) | instid1(VALU_DEP_2)
	v_fmac_f32_e32 v135, v8, v3
	v_fma_f32 v136, v7, v3, -v1
	ds_load_b128 v[1:4], v21 offset:528
	ds_load_b128 v[5:8], v21 offset:544
	s_wait_loadcnt_dscnt 0x1
	v_mul_f32_e32 v137, v1, v10
	v_mul_f32_e32 v139, v3, v12
	s_delay_alu instid0(VALU_DEP_2) | instskip(NEXT) | instid1(VALU_DEP_2)
	v_fmac_f32_e32 v137, v2, v9
	v_dual_mul_f32 v2, v2, v10 :: v_dual_fmac_f32 v139, v4, v11
	s_delay_alu instid0(VALU_DEP_1) | instskip(SKIP_1) | instid1(VALU_DEP_1)
	v_fma_f32 v138, v1, v9, -v2
	v_mul_f32_e32 v1, v4, v12
	v_fma_f32 v140, v3, v11, -v1
	s_clause 0x1
	scratch_load_b128 v[1:4], off, off offset:192
	scratch_load_b128 v[9:12], off, off offset:208
	s_wait_loadcnt_dscnt 0x100
	v_mul_f32_e32 v141, v5, v2
	v_dual_mul_f32 v2, v6, v2 :: v_dual_mul_f32 v143, v7, v4
	s_delay_alu instid0(VALU_DEP_2) | instskip(NEXT) | instid1(VALU_DEP_2)
	v_fmac_f32_e32 v141, v6, v1
	v_fma_f32 v142, v5, v1, -v2
	v_mul_f32_e32 v1, v8, v4
	s_delay_alu instid0(VALU_DEP_4) | instskip(NEXT) | instid1(VALU_DEP_2)
	v_fmac_f32_e32 v143, v8, v3
	v_fma_f32 v144, v7, v3, -v1
	ds_load_b128 v[1:4], v21 offset:560
	ds_load_b128 v[5:8], v21 offset:576
	s_wait_loadcnt_dscnt 0x1
	v_mul_f32_e32 v145, v1, v10
	v_mul_f32_e32 v147, v3, v12
	s_delay_alu instid0(VALU_DEP_2) | instskip(NEXT) | instid1(VALU_DEP_2)
	v_fmac_f32_e32 v145, v2, v9
	v_dual_mul_f32 v2, v2, v10 :: v_dual_fmac_f32 v147, v4, v11
	s_delay_alu instid0(VALU_DEP_1) | instskip(SKIP_1) | instid1(VALU_DEP_1)
	v_fma_f32 v146, v1, v9, -v2
	v_mul_f32_e32 v1, v4, v12
	;; [unrolled: 25-line block ×3, first 2 shown]
	v_fma_f32 v156, v3, v11, -v1
	s_clause 0x1
	scratch_load_b128 v[1:4], off, off offset:256
	scratch_load_b128 v[9:12], off, off offset:272
	s_wait_loadcnt_dscnt 0x100
	v_mul_f32_e32 v157, v5, v2
	v_mul_f32_e32 v2, v6, v2
	s_delay_alu instid0(VALU_DEP_1) | instskip(SKIP_1) | instid1(VALU_DEP_1)
	v_fma_f32 v158, v5, v1, -v2
	v_add_f32_e32 v2, 0, v126
	v_add_f32_e32 v2, v2, v127
	s_delay_alu instid0(VALU_DEP_1) | instskip(NEXT) | instid1(VALU_DEP_1)
	v_add_f32_e32 v2, v2, v25
	v_add_f32_e32 v2, v2, v26
	s_delay_alu instid0(VALU_DEP_1) | instskip(NEXT) | instid1(VALU_DEP_1)
	v_add_f32_e32 v2, v2, v27
	v_add_f32_e32 v2, v2, v128
	s_delay_alu instid0(VALU_DEP_1) | instskip(NEXT) | instid1(VALU_DEP_1)
	v_add_f32_e32 v2, v2, v120
	v_add_f32_e32 v2, v2, v121
	s_delay_alu instid0(VALU_DEP_1) | instskip(NEXT) | instid1(VALU_DEP_1)
	v_dual_add_f32 v2, v2, v15 :: v_dual_mul_f32 v159, v7, v4
	v_add_f32_e32 v2, v2, v18
	s_delay_alu instid0(VALU_DEP_1) | instskip(SKIP_1) | instid1(VALU_DEP_2)
	v_add_f32_e32 v2, v2, v19
	v_fmac_f32_e32 v157, v6, v1
	v_dual_fmac_f32 v159, v8, v3 :: v_dual_add_f32 v2, v2, v20
	s_delay_alu instid0(VALU_DEP_1) | instskip(NEXT) | instid1(VALU_DEP_1)
	v_dual_mul_f32 v1, v8, v4 :: v_dual_add_f32 v2, v2, v129
	v_fma_f32 v160, v7, v3, -v1
	v_add_f32_e32 v1, 0, v22
	s_delay_alu instid0(VALU_DEP_3) | instskip(NEXT) | instid1(VALU_DEP_2)
	v_add_f32_e32 v5, v2, v130
	v_add_f32_e32 v1, v1, v24
	s_delay_alu instid0(VALU_DEP_1) | instskip(NEXT) | instid1(VALU_DEP_1)
	v_add_f32_e32 v1, v1, v116
	v_add_f32_e32 v1, v1, v117
	s_delay_alu instid0(VALU_DEP_1) | instskip(NEXT) | instid1(VALU_DEP_1)
	v_add_f32_e32 v1, v1, v118
	v_add_f32_e32 v1, v1, v119
	s_delay_alu instid0(VALU_DEP_1) | instskip(SKIP_1) | instid1(VALU_DEP_2)
	v_add_f32_e32 v1, v1, v13
	v_add_f32_e32 v13, v5, v133
	;; [unrolled: 1-line block ×3, first 2 shown]
	s_delay_alu instid0(VALU_DEP_2) | instskip(NEXT) | instid1(VALU_DEP_1)
	v_add_f32_e32 v13, v13, v135
	v_add_f32_e32 v13, v13, v137
	s_delay_alu instid0(VALU_DEP_1) | instskip(NEXT) | instid1(VALU_DEP_1)
	v_add_f32_e32 v18, v13, v139
	v_dual_add_f32 v18, v18, v141 :: v_dual_add_f32 v1, v1, v16
	s_delay_alu instid0(VALU_DEP_1) | instskip(NEXT) | instid1(VALU_DEP_1)
	v_add_f32_e32 v18, v18, v143
	v_add_f32_e32 v24, v18, v145
	s_delay_alu instid0(VALU_DEP_1) | instskip(NEXT) | instid1(VALU_DEP_1)
	v_dual_add_f32 v1, v1, v17 :: v_dual_add_f32 v24, v24, v147
	v_add_f32_e32 v1, v1, v122
	s_delay_alu instid0(VALU_DEP_1) | instskip(NEXT) | instid1(VALU_DEP_1)
	v_add_f32_e32 v1, v1, v123
	v_add_f32_e32 v1, v1, v131
	s_delay_alu instid0(VALU_DEP_1) | instskip(NEXT) | instid1(VALU_DEP_1)
	v_add_f32_e32 v1, v1, v132
	v_add_f32_e32 v6, v1, v134
	ds_load_b128 v[1:4], v21 offset:624
	v_add_f32_e32 v24, v24, v149
	v_add_f32_e32 v14, v6, v136
	scratch_load_b128 v[5:8], off, off offset:288
	v_add_f32_e32 v14, v14, v138
	s_delay_alu instid0(VALU_DEP_1)
	v_add_f32_e32 v17, v14, v140
	ds_load_b128 v[13:16], v21 offset:640
	s_wait_loadcnt_dscnt 0x101
	v_mul_f32_e32 v22, v1, v10
	v_mul_f32_e32 v10, v2, v10
	v_mul_f32_e32 v116, v3, v12
	v_mul_f32_e32 v12, v4, v12
	s_delay_alu instid0(VALU_DEP_4) | instskip(NEXT) | instid1(VALU_DEP_4)
	v_fmac_f32_e32 v22, v2, v9
	v_fma_f32 v117, v1, v9, -v10
	s_delay_alu instid0(VALU_DEP_4) | instskip(NEXT) | instid1(VALU_DEP_4)
	v_fmac_f32_e32 v116, v4, v11
	v_fma_f32 v118, v3, v11, -v12
	s_clause 0x1
	scratch_load_b128 v[1:4], off, off offset:304
	scratch_load_b128 v[9:12], off, off offset:320
	s_wait_loadcnt_dscnt 0x200
	v_mul_f32_e32 v119, v13, v6
	v_mul_f32_e32 v6, v14, v6
	;; [unrolled: 1-line block ×3, first 2 shown]
	s_delay_alu instid0(VALU_DEP_3) | instskip(NEXT) | instid1(VALU_DEP_3)
	v_dual_mul_f32 v8, v16, v8 :: v_dual_fmac_f32 v119, v14, v5
	v_fma_f32 v121, v13, v5, -v6
	s_delay_alu instid0(VALU_DEP_3) | instskip(NEXT) | instid1(VALU_DEP_3)
	v_fmac_f32_e32 v120, v16, v7
	v_fma_f32 v122, v15, v7, -v8
	ds_load_b128 v[5:8], v21 offset:656
	v_add_f32_e32 v17, v17, v142
	v_add_f32_e32 v13, v24, v151
	s_delay_alu instid0(VALU_DEP_2) | instskip(NEXT) | instid1(VALU_DEP_1)
	v_add_f32_e32 v17, v17, v144
	v_add_f32_e32 v17, v17, v146
	s_delay_alu instid0(VALU_DEP_1) | instskip(SKIP_2) | instid1(VALU_DEP_1)
	v_add_f32_e32 v25, v17, v148
	scratch_load_b128 v[17:20], off, off offset:336
	v_add_f32_e32 v25, v25, v150
	v_add_f32_e32 v25, v25, v152
	s_delay_alu instid0(VALU_DEP_1)
	v_add_f32_e32 v24, v25, v154
	v_add_f32_e32 v25, v13, v153
	ds_load_b128 v[13:16], v21 offset:672
	v_dual_add_f32 v123, v24, v156 :: v_dual_add_f32 v126, v25, v155
	ds_load_b128 v[24:27], v21 offset:688
	v_add_f32_e32 v21, v123, v158
	s_delay_alu instid0(VALU_DEP_1) | instskip(SKIP_2) | instid1(VALU_DEP_1)
	v_add_f32_e32 v21, v21, v160
	s_wait_loadcnt_dscnt 0x101
	v_mul_f32_e32 v127, v15, v12
	v_fmac_f32_e32 v127, v16, v11
	s_delay_alu instid0(VALU_DEP_3) | instskip(NEXT) | instid1(VALU_DEP_1)
	v_add_f32_e32 v21, v21, v117
	v_add_f32_e32 v21, v21, v118
	s_wait_loadcnt_dscnt 0x0
	s_delay_alu instid0(VALU_DEP_1) | instskip(SKIP_2) | instid1(VALU_DEP_3)
	v_dual_add_f32 v21, v21, v121 :: v_dual_mul_f32 v118, v26, v20
	v_dual_add_f32 v123, v126, v157 :: v_dual_mul_f32 v126, v5, v2
	v_mul_f32_e32 v2, v6, v2
	v_fmac_f32_e32 v118, v27, v19
	s_delay_alu instid0(VALU_DEP_3)
	v_add_f32_e32 v123, v123, v159
	v_mul_f32_e32 v117, v7, v4
	v_mul_f32_e32 v4, v8, v4
	v_fma_f32 v2, v5, v1, -v2
	v_fmac_f32_e32 v126, v6, v1
	v_add_f32_e32 v22, v123, v22
	v_add_f32_e32 v1, v21, v122
	v_dual_mul_f32 v6, v14, v10 :: v_dual_fmac_f32 v117, v8, v3
	v_fma_f32 v3, v7, v3, -v4
	s_delay_alu instid0(VALU_DEP_4) | instskip(SKIP_2) | instid1(VALU_DEP_3)
	v_add_f32_e32 v22, v22, v116
	v_mul_f32_e32 v116, v24, v18
	v_dual_add_f32 v1, v1, v2 :: v_dual_mul_f32 v4, v16, v12
	v_add_f32_e32 v22, v22, v119
	s_delay_alu instid0(VALU_DEP_3) | instskip(SKIP_1) | instid1(VALU_DEP_4)
	v_fmac_f32_e32 v116, v25, v17
	v_mul_f32_e32 v123, v13, v10
	v_add_f32_e32 v1, v1, v3
	v_mul_f32_e32 v3, v25, v18
	v_add_f32_e32 v5, v22, v120
	v_fma_f32 v4, v15, v11, -v4
	v_fmac_f32_e32 v123, v14, v9
	s_delay_alu instid0(VALU_DEP_4) | instskip(NEXT) | instid1(VALU_DEP_4)
	v_fma_f32 v3, v24, v17, -v3
	v_add_f32_e32 v2, v5, v126
	v_fma_f32 v5, v13, v9, -v6
	s_delay_alu instid0(VALU_DEP_2) | instskip(NEXT) | instid1(VALU_DEP_2)
	v_add_f32_e32 v2, v2, v117
	v_add_f32_e32 v1, v1, v5
	s_delay_alu instid0(VALU_DEP_2) | instskip(NEXT) | instid1(VALU_DEP_2)
	v_dual_mul_f32 v5, v27, v20 :: v_dual_add_f32 v2, v2, v123
	v_add_f32_e32 v1, v1, v4
	s_delay_alu instid0(VALU_DEP_2) | instskip(NEXT) | instid1(VALU_DEP_3)
	v_fma_f32 v4, v26, v19, -v5
	v_add_f32_e32 v2, v2, v127
	s_delay_alu instid0(VALU_DEP_1) | instskip(NEXT) | instid1(VALU_DEP_1)
	v_dual_add_f32 v1, v1, v3 :: v_dual_add_f32 v2, v2, v116
	v_dual_add_f32 v1, v1, v4 :: v_dual_add_f32 v2, v2, v118
	s_delay_alu instid0(VALU_DEP_1)
	v_dual_sub_f32 v1, v124, v1 :: v_dual_sub_f32 v2, v125, v2
	scratch_store_b64 off, v[1:2], off offset:40
	v_cmpx_lt_u32_e32 4, v0
	s_cbranch_execz .LBB107_269
; %bb.268:
	scratch_load_b64 v[1:2], off, off offset:32
	v_mov_b32_e32 v3, 0
	s_delay_alu instid0(VALU_DEP_1)
	v_mov_b32_e32 v4, v3
	scratch_store_b64 off, v[3:4], off offset:32
	s_wait_loadcnt 0x0
	ds_store_b64 v23, v[1:2]
.LBB107_269:
	s_wait_alu 0xfffe
	s_or_b32 exec_lo, exec_lo, s0
	s_wait_storecnt_dscnt 0x0
	s_barrier_signal -1
	s_barrier_wait -1
	global_inv scope:SCOPE_SE
	s_clause 0x4
	scratch_load_b128 v[5:8], off, off offset:40
	scratch_load_b128 v[1:4], off, off offset:56
	;; [unrolled: 1-line block ×5, first 2 shown]
	v_mov_b32_e32 v21, 0
	ds_load_2addr_b64 v[24:27], v21 offset0:49 offset1:50
	ds_load_2addr_b64 v[116:119], v21 offset0:51 offset1:52
	;; [unrolled: 1-line block ×3, first 2 shown]
	scratch_load_b64 v[124:125], off, off offset:32
	s_mov_b32 s0, exec_lo
	s_wait_loadcnt_dscnt 0x502
	v_mul_f32_e32 v22, v25, v6
	v_dual_mul_f32 v126, v24, v6 :: v_dual_mul_f32 v127, v26, v8
	v_mul_f32_e32 v6, v27, v8
	s_delay_alu instid0(VALU_DEP_3) | instskip(NEXT) | instid1(VALU_DEP_3)
	v_fma_f32 v22, v24, v5, -v22
	v_dual_fmac_f32 v126, v25, v5 :: v_dual_fmac_f32 v127, v27, v7
	s_wait_loadcnt_dscnt 0x401
	v_mul_f32_e32 v25, v116, v2
	v_fma_f32 v24, v26, v7, -v6
	ds_load_2addr_b64 v[5:8], v21 offset0:55 offset1:56
	s_wait_loadcnt_dscnt 0x301
	v_dual_mul_f32 v26, v118, v4 :: v_dual_mul_f32 v27, v120, v10
	v_dual_mul_f32 v4, v119, v4 :: v_dual_fmac_f32 v25, v117, v1
	v_mul_f32_e32 v10, v121, v10
	s_delay_alu instid0(VALU_DEP_3)
	v_dual_mul_f32 v128, v122, v12 :: v_dual_fmac_f32 v27, v121, v9
	v_mul_f32_e32 v12, v123, v12
	v_mul_f32_e32 v2, v117, v2
	v_fmac_f32_e32 v26, v119, v3
	v_fma_f32 v117, v118, v3, -v4
	v_fma_f32 v118, v120, v9, -v10
	v_fmac_f32_e32 v128, v123, v11
	v_fma_f32 v119, v122, v11, -v12
	ds_load_2addr_b64 v[9:12], v21 offset0:57 offset1:58
	s_wait_loadcnt_dscnt 0x201
	v_mul_f32_e32 v121, v7, v16
	v_fma_f32 v116, v116, v1, -v2
	scratch_load_b128 v[1:4], off, off offset:120
	v_mul_f32_e32 v120, v5, v14
	v_mul_f32_e32 v14, v6, v14
	;; [unrolled: 1-line block ×3, first 2 shown]
	s_delay_alu instid0(VALU_DEP_3) | instskip(NEXT) | instid1(VALU_DEP_3)
	v_dual_fmac_f32 v121, v8, v15 :: v_dual_fmac_f32 v120, v6, v13
	v_fma_f32 v13, v5, v13, -v14
	s_delay_alu instid0(VALU_DEP_3)
	v_fma_f32 v14, v7, v15, -v16
	ds_load_2addr_b64 v[5:8], v21 offset0:59 offset1:60
	s_wait_loadcnt_dscnt 0x201
	v_mul_f32_e32 v15, v9, v18
	v_mul_f32_e32 v16, v10, v18
	;; [unrolled: 1-line block ×3, first 2 shown]
	s_delay_alu instid0(VALU_DEP_3) | instskip(NEXT) | instid1(VALU_DEP_3)
	v_dual_mul_f32 v20, v12, v20 :: v_dual_fmac_f32 v15, v10, v17
	v_fma_f32 v16, v9, v17, -v16
	s_delay_alu instid0(VALU_DEP_3) | instskip(NEXT) | instid1(VALU_DEP_3)
	v_fmac_f32_e32 v18, v12, v19
	v_fma_f32 v17, v11, v19, -v20
	scratch_load_b128 v[9:12], off, off offset:136
	s_wait_loadcnt_dscnt 0x100
	v_mul_f32_e32 v19, v5, v2
	v_mul_f32_e32 v2, v6, v2
	;; [unrolled: 1-line block ×3, first 2 shown]
	s_delay_alu instid0(VALU_DEP_3) | instskip(NEXT) | instid1(VALU_DEP_3)
	v_dual_mul_f32 v4, v8, v4 :: v_dual_fmac_f32 v19, v6, v1
	v_fma_f32 v122, v5, v1, -v2
	s_delay_alu instid0(VALU_DEP_3) | instskip(NEXT) | instid1(VALU_DEP_3)
	v_fmac_f32_e32 v20, v8, v3
	v_fma_f32 v123, v7, v3, -v4
	ds_load_2addr_b64 v[1:4], v21 offset0:61 offset1:62
	ds_load_2addr_b64 v[5:8], v21 offset0:63 offset1:64
	s_wait_loadcnt_dscnt 0x1
	v_mul_f32_e32 v129, v1, v10
	v_mul_f32_e32 v10, v2, v10
	s_delay_alu instid0(VALU_DEP_2) | instskip(NEXT) | instid1(VALU_DEP_2)
	v_dual_mul_f32 v130, v3, v12 :: v_dual_fmac_f32 v129, v2, v9
	v_fma_f32 v131, v1, v9, -v10
	v_mul_f32_e32 v1, v4, v12
	s_delay_alu instid0(VALU_DEP_3) | instskip(NEXT) | instid1(VALU_DEP_2)
	v_fmac_f32_e32 v130, v4, v11
	v_fma_f32 v132, v3, v11, -v1
	s_clause 0x1
	scratch_load_b128 v[1:4], off, off offset:152
	scratch_load_b128 v[9:12], off, off offset:168
	s_wait_loadcnt_dscnt 0x100
	v_mul_f32_e32 v133, v5, v2
	v_dual_mul_f32 v2, v6, v2 :: v_dual_mul_f32 v135, v7, v4
	s_delay_alu instid0(VALU_DEP_2) | instskip(NEXT) | instid1(VALU_DEP_2)
	v_fmac_f32_e32 v133, v6, v1
	v_fma_f32 v134, v5, v1, -v2
	v_mul_f32_e32 v1, v8, v4
	s_delay_alu instid0(VALU_DEP_4) | instskip(NEXT) | instid1(VALU_DEP_2)
	v_fmac_f32_e32 v135, v8, v3
	v_fma_f32 v136, v7, v3, -v1
	ds_load_2addr_b64 v[1:4], v21 offset0:65 offset1:66
	ds_load_2addr_b64 v[5:8], v21 offset0:67 offset1:68
	s_wait_loadcnt_dscnt 0x1
	v_mul_f32_e32 v137, v1, v10
	v_mul_f32_e32 v139, v3, v12
	s_delay_alu instid0(VALU_DEP_2) | instskip(NEXT) | instid1(VALU_DEP_2)
	v_fmac_f32_e32 v137, v2, v9
	v_dual_mul_f32 v2, v2, v10 :: v_dual_fmac_f32 v139, v4, v11
	s_delay_alu instid0(VALU_DEP_1) | instskip(SKIP_1) | instid1(VALU_DEP_1)
	v_fma_f32 v138, v1, v9, -v2
	v_mul_f32_e32 v1, v4, v12
	v_fma_f32 v140, v3, v11, -v1
	s_clause 0x1
	scratch_load_b128 v[1:4], off, off offset:184
	scratch_load_b128 v[9:12], off, off offset:200
	s_wait_loadcnt_dscnt 0x100
	v_mul_f32_e32 v141, v5, v2
	v_dual_mul_f32 v143, v7, v4 :: v_dual_mul_f32 v2, v6, v2
	s_delay_alu instid0(VALU_DEP_2) | instskip(NEXT) | instid1(VALU_DEP_2)
	v_fmac_f32_e32 v141, v6, v1
	v_fmac_f32_e32 v143, v8, v3
	s_delay_alu instid0(VALU_DEP_3) | instskip(SKIP_1) | instid1(VALU_DEP_1)
	v_fma_f32 v142, v5, v1, -v2
	v_mul_f32_e32 v1, v8, v4
	v_fma_f32 v144, v7, v3, -v1
	ds_load_2addr_b64 v[1:4], v21 offset0:69 offset1:70
	ds_load_2addr_b64 v[5:8], v21 offset0:71 offset1:72
	s_wait_loadcnt_dscnt 0x1
	v_mul_f32_e32 v145, v1, v10
	v_mul_f32_e32 v147, v3, v12
	s_delay_alu instid0(VALU_DEP_2) | instskip(NEXT) | instid1(VALU_DEP_2)
	v_fmac_f32_e32 v145, v2, v9
	v_dual_mul_f32 v2, v2, v10 :: v_dual_fmac_f32 v147, v4, v11
	s_delay_alu instid0(VALU_DEP_1) | instskip(SKIP_1) | instid1(VALU_DEP_1)
	v_fma_f32 v146, v1, v9, -v2
	v_mul_f32_e32 v1, v4, v12
	v_fma_f32 v148, v3, v11, -v1
	s_clause 0x1
	scratch_load_b128 v[1:4], off, off offset:216
	scratch_load_b128 v[9:12], off, off offset:232
	s_wait_loadcnt_dscnt 0x100
	v_mul_f32_e32 v149, v5, v2
	v_dual_mul_f32 v2, v6, v2 :: v_dual_mul_f32 v151, v7, v4
	s_delay_alu instid0(VALU_DEP_2) | instskip(NEXT) | instid1(VALU_DEP_2)
	v_fmac_f32_e32 v149, v6, v1
	v_fma_f32 v150, v5, v1, -v2
	v_mul_f32_e32 v1, v8, v4
	s_delay_alu instid0(VALU_DEP_4) | instskip(NEXT) | instid1(VALU_DEP_2)
	v_fmac_f32_e32 v151, v8, v3
	v_fma_f32 v152, v7, v3, -v1
	ds_load_2addr_b64 v[1:4], v21 offset0:73 offset1:74
	ds_load_2addr_b64 v[5:8], v21 offset0:75 offset1:76
	s_wait_loadcnt_dscnt 0x1
	v_mul_f32_e32 v153, v1, v10
	v_mul_f32_e32 v155, v3, v12
	s_delay_alu instid0(VALU_DEP_2) | instskip(NEXT) | instid1(VALU_DEP_2)
	v_fmac_f32_e32 v153, v2, v9
	v_dual_mul_f32 v2, v2, v10 :: v_dual_fmac_f32 v155, v4, v11
	s_delay_alu instid0(VALU_DEP_1) | instskip(SKIP_1) | instid1(VALU_DEP_1)
	v_fma_f32 v154, v1, v9, -v2
	v_mul_f32_e32 v1, v4, v12
	v_fma_f32 v156, v3, v11, -v1
	s_clause 0x1
	scratch_load_b128 v[1:4], off, off offset:248
	scratch_load_b128 v[9:12], off, off offset:264
	s_wait_loadcnt_dscnt 0x100
	v_mul_f32_e32 v157, v5, v2
	v_mul_f32_e32 v2, v6, v2
	s_delay_alu instid0(VALU_DEP_1) | instskip(SKIP_1) | instid1(VALU_DEP_1)
	v_fma_f32 v158, v5, v1, -v2
	v_add_f32_e32 v2, 0, v126
	v_add_f32_e32 v2, v2, v127
	s_delay_alu instid0(VALU_DEP_1) | instskip(NEXT) | instid1(VALU_DEP_1)
	v_add_f32_e32 v2, v2, v25
	v_add_f32_e32 v2, v2, v26
	s_delay_alu instid0(VALU_DEP_1) | instskip(NEXT) | instid1(VALU_DEP_1)
	;; [unrolled: 3-line block ×4, first 2 shown]
	v_add_f32_e32 v2, v2, v15
	v_add_f32_e32 v2, v2, v18
	s_delay_alu instid0(VALU_DEP_1) | instskip(SKIP_2) | instid1(VALU_DEP_3)
	v_add_f32_e32 v2, v2, v19
	v_fmac_f32_e32 v157, v6, v1
	v_mul_f32_e32 v1, v8, v4
	v_add_f32_e32 v2, v2, v20
	v_mul_f32_e32 v159, v7, v4
	s_delay_alu instid0(VALU_DEP_3) | instskip(NEXT) | instid1(VALU_DEP_3)
	v_fma_f32 v160, v7, v3, -v1
	v_dual_add_f32 v1, 0, v22 :: v_dual_add_f32 v2, v2, v129
	s_delay_alu instid0(VALU_DEP_1) | instskip(NEXT) | instid1(VALU_DEP_2)
	v_add_f32_e32 v1, v1, v24
	v_add_f32_e32 v5, v2, v130
	s_delay_alu instid0(VALU_DEP_2) | instskip(NEXT) | instid1(VALU_DEP_1)
	v_add_f32_e32 v1, v1, v116
	v_add_f32_e32 v1, v1, v117
	scratch_load_b64 v[116:117], off, off offset:344
	v_add_f32_e32 v1, v1, v118
	s_delay_alu instid0(VALU_DEP_1) | instskip(NEXT) | instid1(VALU_DEP_1)
	v_add_f32_e32 v1, v1, v119
	v_add_f32_e32 v1, v1, v13
	;; [unrolled: 1-line block ×3, first 2 shown]
	s_delay_alu instid0(VALU_DEP_1) | instskip(NEXT) | instid1(VALU_DEP_1)
	v_add_f32_e32 v13, v13, v135
	v_add_f32_e32 v13, v13, v137
	s_delay_alu instid0(VALU_DEP_1) | instskip(NEXT) | instid1(VALU_DEP_1)
	v_add_f32_e32 v18, v13, v139
	v_dual_add_f32 v18, v18, v141 :: v_dual_add_f32 v1, v1, v14
	s_delay_alu instid0(VALU_DEP_1) | instskip(NEXT) | instid1(VALU_DEP_1)
	v_dual_add_f32 v18, v18, v143 :: v_dual_add_f32 v1, v1, v16
	v_add_f32_e32 v24, v18, v145
	s_delay_alu instid0(VALU_DEP_1) | instskip(NEXT) | instid1(VALU_DEP_1)
	v_dual_add_f32 v1, v1, v17 :: v_dual_add_f32 v24, v24, v147
	v_add_f32_e32 v1, v1, v122
	s_delay_alu instid0(VALU_DEP_1) | instskip(NEXT) | instid1(VALU_DEP_1)
	v_add_f32_e32 v1, v1, v123
	v_add_f32_e32 v1, v1, v131
	s_delay_alu instid0(VALU_DEP_1) | instskip(NEXT) | instid1(VALU_DEP_1)
	v_add_f32_e32 v1, v1, v132
	v_dual_add_f32 v6, v1, v134 :: v_dual_fmac_f32 v159, v8, v3
	scratch_load_b128 v[1:4], off, off offset:280
	v_add_f32_e32 v24, v24, v149
	v_add_f32_e32 v14, v6, v136
	ds_load_2addr_b64 v[5:8], v21 offset0:77 offset1:78
	v_add_f32_e32 v24, v24, v151
	v_add_f32_e32 v14, v14, v138
	s_delay_alu instid0(VALU_DEP_1)
	v_add_f32_e32 v17, v14, v140
	ds_load_2addr_b64 v[13:16], v21 offset0:79 offset1:80
	s_wait_loadcnt_dscnt 0x201
	v_mul_f32_e32 v22, v5, v10
	v_mul_f32_e32 v10, v6, v10
	;; [unrolled: 1-line block ×4, first 2 shown]
	s_delay_alu instid0(VALU_DEP_4) | instskip(NEXT) | instid1(VALU_DEP_4)
	v_fmac_f32_e32 v22, v6, v9
	v_fma_f32 v121, v5, v9, -v10
	s_delay_alu instid0(VALU_DEP_4) | instskip(NEXT) | instid1(VALU_DEP_4)
	v_fmac_f32_e32 v120, v8, v11
	v_fma_f32 v122, v7, v11, -v12
	s_clause 0x1
	scratch_load_b128 v[5:8], off, off offset:296
	scratch_load_b128 v[9:12], off, off offset:312
	s_wait_loadcnt_dscnt 0x200
	v_mul_f32_e32 v123, v13, v2
	v_mul_f32_e32 v2, v14, v2
	;; [unrolled: 1-line block ×3, first 2 shown]
	s_delay_alu instid0(VALU_DEP_3) | instskip(NEXT) | instid1(VALU_DEP_3)
	v_dual_mul_f32 v4, v16, v4 :: v_dual_fmac_f32 v123, v14, v1
	v_fma_f32 v127, v13, v1, -v2
	v_add_f32_e32 v13, v24, v153
	s_delay_alu instid0(VALU_DEP_4) | instskip(NEXT) | instid1(VALU_DEP_4)
	v_fmac_f32_e32 v126, v16, v3
	v_fma_f32 v128, v15, v3, -v4
	ds_load_2addr_b64 v[1:4], v21 offset0:81 offset1:82
	v_add_f32_e32 v24, v13, v155
	s_delay_alu instid0(VALU_DEP_1) | instskip(NEXT) | instid1(VALU_DEP_1)
	v_add_f32_e32 v119, v24, v157
	v_add_f32_e32 v130, v119, v159
	s_delay_alu instid0(VALU_DEP_1) | instskip(NEXT) | instid1(VALU_DEP_1)
	v_add_f32_e32 v22, v130, v22
	v_dual_add_f32 v17, v17, v142 :: v_dual_add_f32 v22, v22, v120
	s_delay_alu instid0(VALU_DEP_1) | instskip(NEXT) | instid1(VALU_DEP_1)
	v_dual_add_f32 v17, v17, v144 :: v_dual_add_f32 v22, v22, v123
	v_add_f32_e32 v17, v17, v146
	s_delay_alu instid0(VALU_DEP_1) | instskip(SKIP_2) | instid1(VALU_DEP_1)
	v_dual_add_f32 v22, v22, v126 :: v_dual_add_f32 v25, v17, v148
	scratch_load_b128 v[17:20], off, off offset:328
	v_add_f32_e32 v25, v25, v150
	v_add_f32_e32 v25, v25, v152
	s_delay_alu instid0(VALU_DEP_1) | instskip(NEXT) | instid1(VALU_DEP_1)
	v_add_f32_e32 v25, v25, v154
	v_add_f32_e32 v14, v25, v156
	ds_load_2addr_b64 v[24:27], v21 offset0:85 offset1:86
	v_add_f32_e32 v118, v14, v158
	ds_load_2addr_b64 v[13:16], v21 offset0:83 offset1:84
	s_wait_loadcnt_dscnt 0x202
	v_mul_f32_e32 v120, v3, v8
	v_mul_f32_e32 v8, v4, v8
	v_add_f32_e32 v129, v118, v160
	ds_load_b64 v[118:119], v21 offset:696
	v_dual_fmac_f32 v120, v4, v7 :: v_dual_add_f32 v121, v129, v121
	s_delay_alu instid0(VALU_DEP_1)
	v_add_f32_e32 v121, v121, v122
	s_wait_loadcnt_dscnt 0x101
	v_mul_f32_e32 v122, v13, v10
	v_mul_f32_e32 v129, v1, v6
	v_dual_mul_f32 v6, v2, v6 :: v_dual_mul_f32 v123, v15, v12
	s_wait_dscnt 0x0
	v_mul_f32_e32 v126, v118, v117
	v_fmac_f32_e32 v122, v14, v9
	v_fmac_f32_e32 v129, v2, v5
	v_fma_f32 v1, v1, v5, -v6
	v_fma_f32 v2, v3, v7, -v8
	v_dual_fmac_f32 v126, v119, v116 :: v_dual_mul_f32 v3, v14, v10
	s_delay_alu instid0(VALU_DEP_4) | instskip(NEXT) | instid1(VALU_DEP_2)
	v_dual_add_f32 v4, v22, v129 :: v_dual_add_f32 v121, v121, v127
	v_fma_f32 v3, v13, v9, -v3
	s_delay_alu instid0(VALU_DEP_2) | instskip(SKIP_2) | instid1(VALU_DEP_1)
	v_add_f32_e32 v121, v121, v128
	s_wait_loadcnt 0x0
	v_mul_f32_e32 v128, v26, v20
	v_dual_fmac_f32 v128, v27, v19 :: v_dual_add_f32 v1, v121, v1
	s_delay_alu instid0(VALU_DEP_1) | instskip(SKIP_1) | instid1(VALU_DEP_2)
	v_dual_add_f32 v1, v1, v2 :: v_dual_add_f32 v2, v4, v120
	v_dual_mul_f32 v4, v25, v18 :: v_dual_fmac_f32 v123, v16, v11
	v_add_f32_e32 v2, v2, v122
	v_mul_f32_e32 v127, v24, v18
	s_delay_alu instid0(VALU_DEP_3) | instskip(NEXT) | instid1(VALU_DEP_2)
	v_fma_f32 v4, v24, v17, -v4
	v_dual_add_f32 v2, v2, v123 :: v_dual_fmac_f32 v127, v25, v17
	s_delay_alu instid0(VALU_DEP_1) | instskip(NEXT) | instid1(VALU_DEP_1)
	v_add_f32_e32 v2, v2, v127
	v_add_f32_e32 v2, v2, v128
	v_mul_f32_e32 v5, v16, v12
	v_add_f32_e32 v1, v1, v3
	s_delay_alu instid0(VALU_DEP_3) | instskip(NEXT) | instid1(VALU_DEP_3)
	v_dual_mul_f32 v3, v27, v20 :: v_dual_add_f32 v2, v2, v126
	v_fma_f32 v5, v15, v11, -v5
	s_delay_alu instid0(VALU_DEP_2) | instskip(NEXT) | instid1(VALU_DEP_3)
	v_fma_f32 v3, v26, v19, -v3
	v_sub_f32_e32 v2, v125, v2
	s_delay_alu instid0(VALU_DEP_3) | instskip(SKIP_1) | instid1(VALU_DEP_2)
	v_add_f32_e32 v1, v1, v5
	v_mul_f32_e32 v5, v119, v117
	v_add_f32_e32 v1, v1, v4
	s_delay_alu instid0(VALU_DEP_2) | instskip(NEXT) | instid1(VALU_DEP_2)
	v_fma_f32 v4, v118, v116, -v5
	v_add_f32_e32 v1, v1, v3
	s_delay_alu instid0(VALU_DEP_1) | instskip(NEXT) | instid1(VALU_DEP_1)
	v_add_f32_e32 v1, v1, v4
	v_sub_f32_e32 v1, v124, v1
	scratch_store_b64 off, v[1:2], off offset:32
	v_cmpx_lt_u32_e32 3, v0
	s_cbranch_execz .LBB107_271
; %bb.270:
	scratch_load_b64 v[1:2], off, off offset:24
	v_mov_b32_e32 v22, v21
	scratch_store_b64 off, v[21:22], off offset:24
	s_wait_loadcnt 0x0
	ds_store_b64 v23, v[1:2]
.LBB107_271:
	s_wait_alu 0xfffe
	s_or_b32 exec_lo, exec_lo, s0
	s_wait_storecnt_dscnt 0x0
	s_barrier_signal -1
	s_barrier_wait -1
	global_inv scope:SCOPE_SE
	s_clause 0x4
	scratch_load_b128 v[5:8], off, off offset:32
	scratch_load_b128 v[1:4], off, off offset:48
	;; [unrolled: 1-line block ×5, first 2 shown]
	ds_load_b128 v[24:27], v21 offset:384
	ds_load_b128 v[116:119], v21 offset:400
	;; [unrolled: 1-line block ×3, first 2 shown]
	scratch_load_b64 v[124:125], off, off offset:24
	s_mov_b32 s0, exec_lo
	s_wait_loadcnt_dscnt 0x502
	v_dual_mul_f32 v22, v25, v6 :: v_dual_mul_f32 v127, v26, v8
	v_mul_f32_e32 v126, v24, v6
	v_mul_f32_e32 v6, v27, v8
	s_wait_loadcnt_dscnt 0x300
	v_mul_f32_e32 v128, v122, v12
	v_fma_f32 v22, v24, v5, -v22
	v_dual_fmac_f32 v127, v27, v7 :: v_dual_fmac_f32 v126, v25, v5
	v_mul_f32_e32 v27, v120, v10
	v_mul_f32_e32 v25, v116, v2
	v_fma_f32 v24, v26, v7, -v6
	ds_load_b128 v[5:8], v21 offset:432
	v_mul_f32_e32 v26, v118, v4
	v_dual_mul_f32 v4, v119, v4 :: v_dual_fmac_f32 v27, v121, v9
	v_mul_f32_e32 v10, v121, v10
	v_mul_f32_e32 v12, v123, v12
	;; [unrolled: 1-line block ×3, first 2 shown]
	v_dual_fmac_f32 v25, v117, v1 :: v_dual_fmac_f32 v26, v119, v3
	v_fma_f32 v117, v118, v3, -v4
	v_fma_f32 v118, v120, v9, -v10
	v_fmac_f32_e32 v128, v123, v11
	v_fma_f32 v119, v122, v11, -v12
	ds_load_b128 v[9:12], v21 offset:448
	s_wait_loadcnt_dscnt 0x201
	v_mul_f32_e32 v121, v7, v16
	v_fma_f32 v116, v116, v1, -v2
	scratch_load_b128 v[1:4], off, off offset:112
	v_mul_f32_e32 v120, v5, v14
	v_mul_f32_e32 v14, v6, v14
	;; [unrolled: 1-line block ×3, first 2 shown]
	s_delay_alu instid0(VALU_DEP_3) | instskip(NEXT) | instid1(VALU_DEP_3)
	v_dual_fmac_f32 v121, v8, v15 :: v_dual_fmac_f32 v120, v6, v13
	v_fma_f32 v13, v5, v13, -v14
	s_delay_alu instid0(VALU_DEP_3)
	v_fma_f32 v14, v7, v15, -v16
	ds_load_b128 v[5:8], v21 offset:464
	s_wait_loadcnt_dscnt 0x201
	v_mul_f32_e32 v15, v9, v18
	v_mul_f32_e32 v16, v10, v18
	;; [unrolled: 1-line block ×3, first 2 shown]
	s_delay_alu instid0(VALU_DEP_3) | instskip(NEXT) | instid1(VALU_DEP_3)
	v_dual_mul_f32 v20, v12, v20 :: v_dual_fmac_f32 v15, v10, v17
	v_fma_f32 v16, v9, v17, -v16
	s_delay_alu instid0(VALU_DEP_3) | instskip(NEXT) | instid1(VALU_DEP_3)
	v_fmac_f32_e32 v18, v12, v19
	v_fma_f32 v17, v11, v19, -v20
	scratch_load_b128 v[9:12], off, off offset:128
	s_wait_loadcnt_dscnt 0x100
	v_mul_f32_e32 v19, v5, v2
	v_mul_f32_e32 v2, v6, v2
	v_mul_f32_e32 v20, v7, v4
	s_delay_alu instid0(VALU_DEP_3) | instskip(NEXT) | instid1(VALU_DEP_3)
	v_dual_mul_f32 v4, v8, v4 :: v_dual_fmac_f32 v19, v6, v1
	v_fma_f32 v122, v5, v1, -v2
	s_delay_alu instid0(VALU_DEP_3) | instskip(NEXT) | instid1(VALU_DEP_3)
	v_fmac_f32_e32 v20, v8, v3
	v_fma_f32 v123, v7, v3, -v4
	ds_load_b128 v[1:4], v21 offset:480
	ds_load_b128 v[5:8], v21 offset:496
	s_wait_loadcnt_dscnt 0x1
	v_mul_f32_e32 v129, v1, v10
	v_mul_f32_e32 v10, v2, v10
	s_delay_alu instid0(VALU_DEP_2) | instskip(NEXT) | instid1(VALU_DEP_2)
	v_dual_mul_f32 v130, v3, v12 :: v_dual_fmac_f32 v129, v2, v9
	v_fma_f32 v131, v1, v9, -v10
	v_mul_f32_e32 v1, v4, v12
	s_delay_alu instid0(VALU_DEP_3) | instskip(NEXT) | instid1(VALU_DEP_2)
	v_fmac_f32_e32 v130, v4, v11
	v_fma_f32 v132, v3, v11, -v1
	s_clause 0x1
	scratch_load_b128 v[1:4], off, off offset:144
	scratch_load_b128 v[9:12], off, off offset:160
	s_wait_loadcnt_dscnt 0x100
	v_mul_f32_e32 v133, v5, v2
	v_dual_mul_f32 v2, v6, v2 :: v_dual_mul_f32 v135, v7, v4
	s_delay_alu instid0(VALU_DEP_2) | instskip(NEXT) | instid1(VALU_DEP_2)
	v_fmac_f32_e32 v133, v6, v1
	v_fma_f32 v134, v5, v1, -v2
	v_mul_f32_e32 v1, v8, v4
	s_delay_alu instid0(VALU_DEP_4) | instskip(NEXT) | instid1(VALU_DEP_2)
	v_fmac_f32_e32 v135, v8, v3
	v_fma_f32 v136, v7, v3, -v1
	ds_load_b128 v[1:4], v21 offset:512
	ds_load_b128 v[5:8], v21 offset:528
	s_wait_loadcnt_dscnt 0x1
	v_mul_f32_e32 v137, v1, v10
	v_mul_f32_e32 v139, v3, v12
	s_delay_alu instid0(VALU_DEP_2) | instskip(NEXT) | instid1(VALU_DEP_2)
	v_fmac_f32_e32 v137, v2, v9
	v_dual_mul_f32 v2, v2, v10 :: v_dual_fmac_f32 v139, v4, v11
	s_delay_alu instid0(VALU_DEP_1) | instskip(SKIP_1) | instid1(VALU_DEP_1)
	v_fma_f32 v138, v1, v9, -v2
	v_mul_f32_e32 v1, v4, v12
	v_fma_f32 v140, v3, v11, -v1
	s_clause 0x1
	scratch_load_b128 v[1:4], off, off offset:176
	scratch_load_b128 v[9:12], off, off offset:192
	s_wait_loadcnt_dscnt 0x100
	v_mul_f32_e32 v141, v5, v2
	v_dual_mul_f32 v2, v6, v2 :: v_dual_mul_f32 v143, v7, v4
	s_delay_alu instid0(VALU_DEP_2) | instskip(NEXT) | instid1(VALU_DEP_2)
	v_fmac_f32_e32 v141, v6, v1
	v_fma_f32 v142, v5, v1, -v2
	v_mul_f32_e32 v1, v8, v4
	s_delay_alu instid0(VALU_DEP_4) | instskip(NEXT) | instid1(VALU_DEP_2)
	v_fmac_f32_e32 v143, v8, v3
	v_fma_f32 v144, v7, v3, -v1
	ds_load_b128 v[1:4], v21 offset:544
	ds_load_b128 v[5:8], v21 offset:560
	s_wait_loadcnt_dscnt 0x1
	v_mul_f32_e32 v145, v1, v10
	v_mul_f32_e32 v147, v3, v12
	s_delay_alu instid0(VALU_DEP_2) | instskip(NEXT) | instid1(VALU_DEP_2)
	v_fmac_f32_e32 v145, v2, v9
	v_dual_mul_f32 v2, v2, v10 :: v_dual_fmac_f32 v147, v4, v11
	s_delay_alu instid0(VALU_DEP_1) | instskip(SKIP_1) | instid1(VALU_DEP_1)
	v_fma_f32 v146, v1, v9, -v2
	v_mul_f32_e32 v1, v4, v12
	;; [unrolled: 25-line block ×4, first 2 shown]
	v_fma_f32 v164, v3, v11, -v1
	s_clause 0x1
	scratch_load_b128 v[1:4], off, off offset:272
	scratch_load_b128 v[9:12], off, off offset:288
	s_wait_loadcnt_dscnt 0x100
	v_mul_f32_e32 v165, v5, v2
	v_mul_f32_e32 v2, v6, v2
	s_delay_alu instid0(VALU_DEP_1) | instskip(SKIP_1) | instid1(VALU_DEP_1)
	v_fma_f32 v166, v5, v1, -v2
	v_add_f32_e32 v2, 0, v126
	v_add_f32_e32 v2, v2, v127
	s_delay_alu instid0(VALU_DEP_1) | instskip(NEXT) | instid1(VALU_DEP_1)
	v_add_f32_e32 v2, v2, v25
	v_add_f32_e32 v2, v2, v26
	s_delay_alu instid0(VALU_DEP_1) | instskip(NEXT) | instid1(VALU_DEP_1)
	;; [unrolled: 3-line block ×7, first 2 shown]
	v_add_f32_e32 v2, v2, v133
	v_add_f32_e32 v2, v2, v135
	v_fmac_f32_e32 v165, v6, v1
	v_mul_f32_e32 v1, v8, v4
	s_delay_alu instid0(VALU_DEP_1) | instskip(SKIP_1) | instid1(VALU_DEP_1)
	v_fma_f32 v168, v7, v3, -v1
	v_add_f32_e32 v1, 0, v22
	v_add_f32_e32 v1, v1, v24
	s_delay_alu instid0(VALU_DEP_1) | instskip(NEXT) | instid1(VALU_DEP_1)
	v_add_f32_e32 v1, v1, v116
	v_add_f32_e32 v1, v1, v117
	s_delay_alu instid0(VALU_DEP_1) | instskip(NEXT) | instid1(VALU_DEP_1)
	;; [unrolled: 3-line block ×9, first 2 shown]
	v_dual_mul_f32 v167, v7, v4 :: v_dual_add_f32 v6, v6, v142
	v_add_f32_e32 v13, v6, v144
	s_delay_alu instid0(VALU_DEP_1) | instskip(NEXT) | instid1(VALU_DEP_1)
	v_add_f32_e32 v13, v13, v146
	v_add_f32_e32 v13, v13, v148
	s_delay_alu instid0(VALU_DEP_1) | instskip(NEXT) | instid1(VALU_DEP_1)
	v_add_f32_e32 v13, v13, v150
	v_dual_add_f32 v5, v2, v137 :: v_dual_add_f32 v18, v13, v152
	s_delay_alu instid0(VALU_DEP_1) | instskip(NEXT) | instid1(VALU_DEP_1)
	v_dual_add_f32 v5, v5, v139 :: v_dual_add_f32 v18, v18, v154
	v_dual_add_f32 v5, v5, v141 :: v_dual_add_f32 v18, v18, v156
	s_delay_alu instid0(VALU_DEP_1)
	v_add_f32_e32 v14, v5, v143
	v_fmac_f32_e32 v167, v8, v3
	ds_load_b128 v[1:4], v21 offset:640
	ds_load_b128 v[5:8], v21 offset:656
	v_add_f32_e32 v24, v18, v158
	v_add_f32_e32 v14, v14, v145
	s_delay_alu instid0(VALU_DEP_1)
	v_add_f32_e32 v14, v14, v147
	s_wait_loadcnt_dscnt 0x1
	v_mul_f32_e32 v22, v1, v10
	v_mul_f32_e32 v116, v3, v12
	;; [unrolled: 1-line block ×4, first 2 shown]
	s_delay_alu instid0(VALU_DEP_4) | instskip(NEXT) | instid1(VALU_DEP_4)
	v_fmac_f32_e32 v22, v2, v9
	v_fmac_f32_e32 v116, v4, v11
	s_delay_alu instid0(VALU_DEP_4) | instskip(NEXT) | instid1(VALU_DEP_4)
	v_fma_f32 v117, v1, v9, -v10
	v_fma_f32 v118, v3, v11, -v12
	s_clause 0x1
	scratch_load_b128 v[1:4], off, off offset:304
	scratch_load_b128 v[9:12], off, off offset:320
	v_add_f32_e32 v17, v14, v149
	scratch_load_b128 v[13:16], off, off offset:336
	v_add_f32_e32 v17, v17, v151
	s_delay_alu instid0(VALU_DEP_1) | instskip(NEXT) | instid1(VALU_DEP_1)
	v_add_f32_e32 v17, v17, v153
	v_add_f32_e32 v17, v17, v155
	s_delay_alu instid0(VALU_DEP_1)
	v_add_f32_e32 v25, v17, v157
	ds_load_b128 v[17:20], v21 offset:672
	v_dual_add_f32 v119, v24, v160 :: v_dual_add_f32 v120, v25, v159
	ds_load_b128 v[24:27], v21 offset:688
	s_wait_loadcnt_dscnt 0x101
	v_dual_mul_f32 v121, v7, v4 :: v_dual_mul_f32 v122, v17, v10
	v_add_f32_e32 v21, v119, v162
	v_add_f32_e32 v119, v120, v161
	s_wait_loadcnt_dscnt 0x0
	v_mul_f32_e32 v126, v24, v14
	v_mul_f32_e32 v120, v5, v2
	v_dual_mul_f32 v2, v6, v2 :: v_dual_add_f32 v21, v21, v164
	s_delay_alu instid0(VALU_DEP_3) | instskip(SKIP_1) | instid1(VALU_DEP_3)
	v_dual_add_f32 v119, v119, v163 :: v_dual_fmac_f32 v126, v25, v13
	v_mul_f32_e32 v4, v8, v4
	v_fma_f32 v2, v5, v1, -v2
	s_delay_alu instid0(VALU_DEP_4) | instskip(NEXT) | instid1(VALU_DEP_4)
	v_add_f32_e32 v21, v21, v166
	v_add_f32_e32 v119, v119, v165
	v_fmac_f32_e32 v120, v6, v1
	v_dual_mul_f32 v6, v18, v10 :: v_dual_fmac_f32 v121, v8, v3
	s_delay_alu instid0(VALU_DEP_4) | instskip(NEXT) | instid1(VALU_DEP_4)
	v_add_f32_e32 v21, v21, v168
	v_add_f32_e32 v119, v119, v167
	v_fma_f32 v3, v7, v3, -v4
	v_mul_f32_e32 v123, v19, v12
	s_delay_alu instid0(VALU_DEP_4) | instskip(NEXT) | instid1(VALU_DEP_4)
	v_dual_mul_f32 v4, v20, v12 :: v_dual_add_f32 v21, v21, v117
	v_add_f32_e32 v22, v119, v22
	s_delay_alu instid0(VALU_DEP_3) | instskip(NEXT) | instid1(VALU_DEP_3)
	v_dual_fmac_f32 v122, v18, v9 :: v_dual_fmac_f32 v123, v20, v11
	v_fma_f32 v4, v19, v11, -v4
	s_delay_alu instid0(VALU_DEP_4) | instskip(NEXT) | instid1(VALU_DEP_4)
	v_add_f32_e32 v1, v21, v118
	v_add_f32_e32 v5, v22, v116
	v_mul_f32_e32 v117, v26, v16
	s_delay_alu instid0(VALU_DEP_3) | instskip(NEXT) | instid1(VALU_DEP_3)
	v_add_f32_e32 v1, v1, v2
	v_add_f32_e32 v2, v5, v120
	v_fma_f32 v5, v17, v9, -v6
	s_delay_alu instid0(VALU_DEP_4) | instskip(NEXT) | instid1(VALU_DEP_3)
	v_fmac_f32_e32 v117, v27, v15
	v_dual_add_f32 v1, v1, v3 :: v_dual_add_f32 v2, v2, v121
	v_mul_f32_e32 v3, v25, v14
	s_delay_alu instid0(VALU_DEP_2) | instskip(SKIP_1) | instid1(VALU_DEP_3)
	v_dual_add_f32 v1, v1, v5 :: v_dual_add_f32 v2, v2, v122
	v_mul_f32_e32 v5, v27, v16
	v_fma_f32 v3, v24, v13, -v3
	s_delay_alu instid0(VALU_DEP_3) | instskip(NEXT) | instid1(VALU_DEP_3)
	v_dual_add_f32 v1, v1, v4 :: v_dual_add_f32 v2, v2, v123
	v_fma_f32 v4, v26, v15, -v5
	s_delay_alu instid0(VALU_DEP_2) | instskip(NEXT) | instid1(VALU_DEP_1)
	v_dual_add_f32 v1, v1, v3 :: v_dual_add_f32 v2, v2, v126
	v_dual_add_f32 v1, v1, v4 :: v_dual_add_f32 v2, v2, v117
	s_delay_alu instid0(VALU_DEP_1)
	v_dual_sub_f32 v1, v124, v1 :: v_dual_sub_f32 v2, v125, v2
	scratch_store_b64 off, v[1:2], off offset:24
	v_cmpx_lt_u32_e32 2, v0
	s_cbranch_execz .LBB107_273
; %bb.272:
	scratch_load_b64 v[1:2], off, off offset:16
	v_mov_b32_e32 v3, 0
	s_delay_alu instid0(VALU_DEP_1)
	v_mov_b32_e32 v4, v3
	scratch_store_b64 off, v[3:4], off offset:16
	s_wait_loadcnt 0x0
	ds_store_b64 v23, v[1:2]
.LBB107_273:
	s_wait_alu 0xfffe
	s_or_b32 exec_lo, exec_lo, s0
	s_wait_storecnt_dscnt 0x0
	s_barrier_signal -1
	s_barrier_wait -1
	global_inv scope:SCOPE_SE
	s_clause 0x4
	scratch_load_b128 v[5:8], off, off offset:24
	scratch_load_b128 v[1:4], off, off offset:40
	;; [unrolled: 1-line block ×5, first 2 shown]
	v_mov_b32_e32 v21, 0
	ds_load_2addr_b64 v[24:27], v21 offset0:47 offset1:48
	ds_load_2addr_b64 v[116:119], v21 offset0:49 offset1:50
	ds_load_2addr_b64 v[120:123], v21 offset0:51 offset1:52
	scratch_load_b64 v[124:125], off, off offset:16
	s_mov_b32 s0, exec_lo
	s_wait_loadcnt_dscnt 0x502
	v_mul_f32_e32 v22, v25, v6
	v_dual_mul_f32 v126, v24, v6 :: v_dual_mul_f32 v127, v26, v8
	v_mul_f32_e32 v6, v27, v8
	s_delay_alu instid0(VALU_DEP_3) | instskip(NEXT) | instid1(VALU_DEP_3)
	v_fma_f32 v22, v24, v5, -v22
	v_dual_fmac_f32 v126, v25, v5 :: v_dual_fmac_f32 v127, v27, v7
	s_wait_loadcnt_dscnt 0x401
	v_mul_f32_e32 v25, v116, v2
	v_fma_f32 v24, v26, v7, -v6
	ds_load_2addr_b64 v[5:8], v21 offset0:53 offset1:54
	s_wait_loadcnt_dscnt 0x301
	v_dual_mul_f32 v26, v118, v4 :: v_dual_mul_f32 v27, v120, v10
	v_dual_mul_f32 v4, v119, v4 :: v_dual_fmac_f32 v25, v117, v1
	v_mul_f32_e32 v10, v121, v10
	s_delay_alu instid0(VALU_DEP_3)
	v_dual_mul_f32 v128, v122, v12 :: v_dual_fmac_f32 v27, v121, v9
	v_mul_f32_e32 v12, v123, v12
	v_mul_f32_e32 v2, v117, v2
	v_fmac_f32_e32 v26, v119, v3
	v_fma_f32 v117, v118, v3, -v4
	v_fma_f32 v118, v120, v9, -v10
	v_fmac_f32_e32 v128, v123, v11
	v_fma_f32 v119, v122, v11, -v12
	ds_load_2addr_b64 v[9:12], v21 offset0:55 offset1:56
	s_wait_loadcnt_dscnt 0x201
	v_mul_f32_e32 v121, v7, v16
	v_fma_f32 v116, v116, v1, -v2
	scratch_load_b128 v[1:4], off, off offset:104
	v_mul_f32_e32 v120, v5, v14
	v_mul_f32_e32 v14, v6, v14
	;; [unrolled: 1-line block ×3, first 2 shown]
	s_delay_alu instid0(VALU_DEP_3) | instskip(NEXT) | instid1(VALU_DEP_3)
	v_dual_fmac_f32 v121, v8, v15 :: v_dual_fmac_f32 v120, v6, v13
	v_fma_f32 v13, v5, v13, -v14
	s_delay_alu instid0(VALU_DEP_3)
	v_fma_f32 v14, v7, v15, -v16
	ds_load_2addr_b64 v[5:8], v21 offset0:57 offset1:58
	s_wait_loadcnt_dscnt 0x201
	v_mul_f32_e32 v15, v9, v18
	v_mul_f32_e32 v16, v10, v18
	;; [unrolled: 1-line block ×3, first 2 shown]
	s_delay_alu instid0(VALU_DEP_3) | instskip(NEXT) | instid1(VALU_DEP_3)
	v_dual_mul_f32 v20, v12, v20 :: v_dual_fmac_f32 v15, v10, v17
	v_fma_f32 v16, v9, v17, -v16
	s_delay_alu instid0(VALU_DEP_3) | instskip(NEXT) | instid1(VALU_DEP_3)
	v_fmac_f32_e32 v18, v12, v19
	v_fma_f32 v17, v11, v19, -v20
	scratch_load_b128 v[9:12], off, off offset:120
	s_wait_loadcnt_dscnt 0x100
	v_mul_f32_e32 v19, v5, v2
	v_mul_f32_e32 v2, v6, v2
	;; [unrolled: 1-line block ×3, first 2 shown]
	s_delay_alu instid0(VALU_DEP_3) | instskip(NEXT) | instid1(VALU_DEP_3)
	v_dual_mul_f32 v4, v8, v4 :: v_dual_fmac_f32 v19, v6, v1
	v_fma_f32 v122, v5, v1, -v2
	s_delay_alu instid0(VALU_DEP_3) | instskip(NEXT) | instid1(VALU_DEP_3)
	v_fmac_f32_e32 v20, v8, v3
	v_fma_f32 v123, v7, v3, -v4
	ds_load_2addr_b64 v[1:4], v21 offset0:59 offset1:60
	ds_load_2addr_b64 v[5:8], v21 offset0:61 offset1:62
	s_wait_loadcnt_dscnt 0x1
	v_mul_f32_e32 v129, v1, v10
	v_mul_f32_e32 v10, v2, v10
	s_delay_alu instid0(VALU_DEP_2) | instskip(NEXT) | instid1(VALU_DEP_2)
	v_dual_mul_f32 v130, v3, v12 :: v_dual_fmac_f32 v129, v2, v9
	v_fma_f32 v131, v1, v9, -v10
	v_mul_f32_e32 v1, v4, v12
	s_delay_alu instid0(VALU_DEP_3) | instskip(NEXT) | instid1(VALU_DEP_2)
	v_fmac_f32_e32 v130, v4, v11
	v_fma_f32 v132, v3, v11, -v1
	s_clause 0x1
	scratch_load_b128 v[1:4], off, off offset:136
	scratch_load_b128 v[9:12], off, off offset:152
	s_wait_loadcnt_dscnt 0x100
	v_mul_f32_e32 v133, v5, v2
	v_dual_mul_f32 v2, v6, v2 :: v_dual_mul_f32 v135, v7, v4
	s_delay_alu instid0(VALU_DEP_2) | instskip(NEXT) | instid1(VALU_DEP_2)
	v_fmac_f32_e32 v133, v6, v1
	v_fma_f32 v134, v5, v1, -v2
	v_mul_f32_e32 v1, v8, v4
	s_delay_alu instid0(VALU_DEP_4) | instskip(NEXT) | instid1(VALU_DEP_2)
	v_fmac_f32_e32 v135, v8, v3
	v_fma_f32 v136, v7, v3, -v1
	ds_load_2addr_b64 v[1:4], v21 offset0:63 offset1:64
	ds_load_2addr_b64 v[5:8], v21 offset0:65 offset1:66
	s_wait_loadcnt_dscnt 0x1
	v_mul_f32_e32 v137, v1, v10
	v_mul_f32_e32 v139, v3, v12
	s_delay_alu instid0(VALU_DEP_2) | instskip(NEXT) | instid1(VALU_DEP_2)
	v_fmac_f32_e32 v137, v2, v9
	v_dual_mul_f32 v2, v2, v10 :: v_dual_fmac_f32 v139, v4, v11
	s_delay_alu instid0(VALU_DEP_1) | instskip(SKIP_1) | instid1(VALU_DEP_1)
	v_fma_f32 v138, v1, v9, -v2
	v_mul_f32_e32 v1, v4, v12
	v_fma_f32 v140, v3, v11, -v1
	s_clause 0x1
	scratch_load_b128 v[1:4], off, off offset:168
	scratch_load_b128 v[9:12], off, off offset:184
	s_wait_loadcnt_dscnt 0x100
	v_mul_f32_e32 v141, v5, v2
	v_dual_mul_f32 v143, v7, v4 :: v_dual_mul_f32 v2, v6, v2
	s_delay_alu instid0(VALU_DEP_2) | instskip(NEXT) | instid1(VALU_DEP_2)
	v_fmac_f32_e32 v141, v6, v1
	v_fmac_f32_e32 v143, v8, v3
	s_delay_alu instid0(VALU_DEP_3) | instskip(SKIP_1) | instid1(VALU_DEP_1)
	v_fma_f32 v142, v5, v1, -v2
	v_mul_f32_e32 v1, v8, v4
	v_fma_f32 v144, v7, v3, -v1
	ds_load_2addr_b64 v[1:4], v21 offset0:67 offset1:68
	ds_load_2addr_b64 v[5:8], v21 offset0:69 offset1:70
	s_wait_loadcnt_dscnt 0x1
	v_mul_f32_e32 v145, v1, v10
	v_mul_f32_e32 v147, v3, v12
	s_delay_alu instid0(VALU_DEP_2) | instskip(NEXT) | instid1(VALU_DEP_2)
	v_fmac_f32_e32 v145, v2, v9
	v_dual_mul_f32 v2, v2, v10 :: v_dual_fmac_f32 v147, v4, v11
	s_delay_alu instid0(VALU_DEP_1) | instskip(SKIP_1) | instid1(VALU_DEP_1)
	v_fma_f32 v146, v1, v9, -v2
	v_mul_f32_e32 v1, v4, v12
	v_fma_f32 v148, v3, v11, -v1
	s_clause 0x1
	scratch_load_b128 v[1:4], off, off offset:200
	scratch_load_b128 v[9:12], off, off offset:216
	s_wait_loadcnt_dscnt 0x100
	v_mul_f32_e32 v149, v5, v2
	v_dual_mul_f32 v2, v6, v2 :: v_dual_mul_f32 v151, v7, v4
	s_delay_alu instid0(VALU_DEP_2) | instskip(NEXT) | instid1(VALU_DEP_2)
	v_fmac_f32_e32 v149, v6, v1
	v_fma_f32 v150, v5, v1, -v2
	v_mul_f32_e32 v1, v8, v4
	s_delay_alu instid0(VALU_DEP_4) | instskip(NEXT) | instid1(VALU_DEP_2)
	v_fmac_f32_e32 v151, v8, v3
	v_fma_f32 v152, v7, v3, -v1
	ds_load_2addr_b64 v[1:4], v21 offset0:71 offset1:72
	ds_load_2addr_b64 v[5:8], v21 offset0:73 offset1:74
	s_wait_loadcnt_dscnt 0x1
	v_mul_f32_e32 v153, v1, v10
	v_mul_f32_e32 v155, v3, v12
	s_delay_alu instid0(VALU_DEP_2) | instskip(NEXT) | instid1(VALU_DEP_2)
	v_fmac_f32_e32 v153, v2, v9
	v_dual_mul_f32 v2, v2, v10 :: v_dual_fmac_f32 v155, v4, v11
	s_delay_alu instid0(VALU_DEP_1) | instskip(SKIP_1) | instid1(VALU_DEP_1)
	v_fma_f32 v154, v1, v9, -v2
	v_mul_f32_e32 v1, v4, v12
	v_fma_f32 v156, v3, v11, -v1
	s_clause 0x1
	scratch_load_b128 v[1:4], off, off offset:232
	scratch_load_b128 v[9:12], off, off offset:248
	s_wait_loadcnt_dscnt 0x100
	v_mul_f32_e32 v157, v5, v2
	v_dual_mul_f32 v2, v6, v2 :: v_dual_mul_f32 v159, v7, v4
	s_delay_alu instid0(VALU_DEP_2) | instskip(NEXT) | instid1(VALU_DEP_2)
	v_fmac_f32_e32 v157, v6, v1
	v_fma_f32 v158, v5, v1, -v2
	v_mul_f32_e32 v1, v8, v4
	s_delay_alu instid0(VALU_DEP_4) | instskip(NEXT) | instid1(VALU_DEP_2)
	v_fmac_f32_e32 v159, v8, v3
	v_fma_f32 v160, v7, v3, -v1
	ds_load_2addr_b64 v[1:4], v21 offset0:75 offset1:76
	ds_load_2addr_b64 v[5:8], v21 offset0:77 offset1:78
	s_wait_loadcnt_dscnt 0x1
	v_mul_f32_e32 v161, v1, v10
	v_mul_f32_e32 v163, v3, v12
	s_delay_alu instid0(VALU_DEP_2) | instskip(NEXT) | instid1(VALU_DEP_2)
	v_fmac_f32_e32 v161, v2, v9
	v_dual_mul_f32 v2, v2, v10 :: v_dual_fmac_f32 v163, v4, v11
	s_delay_alu instid0(VALU_DEP_1) | instskip(SKIP_1) | instid1(VALU_DEP_1)
	v_fma_f32 v162, v1, v9, -v2
	v_mul_f32_e32 v1, v4, v12
	v_fma_f32 v164, v3, v11, -v1
	s_clause 0x1
	scratch_load_b128 v[1:4], off, off offset:264
	scratch_load_b128 v[9:12], off, off offset:280
	s_wait_loadcnt_dscnt 0x100
	v_mul_f32_e32 v165, v5, v2
	v_mul_f32_e32 v2, v6, v2
	s_delay_alu instid0(VALU_DEP_2) | instskip(NEXT) | instid1(VALU_DEP_2)
	v_fmac_f32_e32 v165, v6, v1
	v_fma_f32 v166, v5, v1, -v2
	v_dual_add_f32 v2, 0, v126 :: v_dual_mul_f32 v1, v8, v4
	s_delay_alu instid0(VALU_DEP_1) | instskip(NEXT) | instid1(VALU_DEP_2)
	v_add_f32_e32 v2, v2, v127
	v_fma_f32 v168, v7, v3, -v1
	s_delay_alu instid0(VALU_DEP_2) | instskip(NEXT) | instid1(VALU_DEP_1)
	v_dual_add_f32 v1, 0, v22 :: v_dual_add_f32 v2, v2, v25
	v_dual_add_f32 v1, v1, v24 :: v_dual_add_f32 v2, v2, v26
	s_delay_alu instid0(VALU_DEP_1) | instskip(NEXT) | instid1(VALU_DEP_1)
	v_dual_add_f32 v1, v1, v116 :: v_dual_add_f32 v2, v2, v27
	v_add_f32_e32 v1, v1, v117
	scratch_load_b64 v[116:117], off, off offset:344
	v_dual_add_f32 v2, v2, v128 :: v_dual_add_f32 v1, v1, v118
	s_delay_alu instid0(VALU_DEP_1) | instskip(NEXT) | instid1(VALU_DEP_1)
	v_dual_add_f32 v2, v2, v120 :: v_dual_add_f32 v1, v1, v119
	v_add_f32_e32 v2, v2, v121
	s_delay_alu instid0(VALU_DEP_1) | instskip(NEXT) | instid1(VALU_DEP_1)
	v_dual_add_f32 v1, v1, v13 :: v_dual_add_f32 v2, v2, v15
	v_add_f32_e32 v2, v2, v18
	s_delay_alu instid0(VALU_DEP_1) | instskip(NEXT) | instid1(VALU_DEP_1)
	v_add_f32_e32 v2, v2, v19
	v_add_f32_e32 v2, v2, v20
	s_delay_alu instid0(VALU_DEP_1) | instskip(NEXT) | instid1(VALU_DEP_1)
	v_add_f32_e32 v2, v2, v129
	v_add_f32_e32 v2, v2, v130
	s_delay_alu instid0(VALU_DEP_1) | instskip(NEXT) | instid1(VALU_DEP_1)
	v_dual_add_f32 v2, v2, v133 :: v_dual_add_f32 v1, v1, v14
	v_dual_add_f32 v2, v2, v135 :: v_dual_add_f32 v1, v1, v16
	s_delay_alu instid0(VALU_DEP_1) | instskip(NEXT) | instid1(VALU_DEP_1)
	v_add_f32_e32 v1, v1, v17
	v_add_f32_e32 v1, v1, v122
	s_delay_alu instid0(VALU_DEP_1) | instskip(NEXT) | instid1(VALU_DEP_1)
	v_add_f32_e32 v1, v1, v123
	v_add_f32_e32 v1, v1, v131
	;; [unrolled: 3-line block ×4, first 2 shown]
	s_delay_alu instid0(VALU_DEP_1) | instskip(NEXT) | instid1(VALU_DEP_1)
	v_add_f32_e32 v6, v1, v140
	v_dual_mul_f32 v167, v7, v4 :: v_dual_add_f32 v6, v6, v142
	s_delay_alu instid0(VALU_DEP_1) | instskip(NEXT) | instid1(VALU_DEP_2)
	v_fmac_f32_e32 v167, v8, v3
	v_add_f32_e32 v13, v6, v144
	s_delay_alu instid0(VALU_DEP_1) | instskip(NEXT) | instid1(VALU_DEP_1)
	v_add_f32_e32 v13, v13, v146
	v_add_f32_e32 v13, v13, v148
	s_delay_alu instid0(VALU_DEP_1) | instskip(SKIP_3) | instid1(VALU_DEP_1)
	v_add_f32_e32 v13, v13, v150
	v_add_f32_e32 v5, v2, v137
	ds_load_2addr_b64 v[1:4], v21 offset0:79 offset1:80
	v_add_f32_e32 v18, v13, v152
	v_dual_add_f32 v5, v5, v139 :: v_dual_add_f32 v18, v18, v154
	s_delay_alu instid0(VALU_DEP_1) | instskip(NEXT) | instid1(VALU_DEP_1)
	v_dual_add_f32 v5, v5, v141 :: v_dual_add_f32 v18, v18, v156
	v_add_f32_e32 v14, v5, v143
	ds_load_2addr_b64 v[5:8], v21 offset0:81 offset1:82
	v_add_f32_e32 v18, v18, v158
	v_add_f32_e32 v14, v14, v145
	s_wait_loadcnt_dscnt 0x101
	v_mul_f32_e32 v22, v1, v10
	v_mul_f32_e32 v10, v2, v10
	;; [unrolled: 1-line block ×4, first 2 shown]
	v_add_f32_e32 v18, v18, v160
	v_fmac_f32_e32 v22, v2, v9
	v_fma_f32 v121, v1, v9, -v10
	v_fmac_f32_e32 v120, v4, v11
	v_fma_f32 v122, v3, v11, -v12
	s_clause 0x1
	scratch_load_b128 v[1:4], off, off offset:296
	scratch_load_b128 v[9:12], off, off offset:312
	v_add_f32_e32 v118, v18, v162
	v_add_f32_e32 v14, v14, v147
	s_delay_alu instid0(VALU_DEP_2) | instskip(NEXT) | instid1(VALU_DEP_1)
	v_add_f32_e32 v123, v118, v164
	v_add_f32_e32 v123, v123, v166
	s_delay_alu instid0(VALU_DEP_1) | instskip(NEXT) | instid1(VALU_DEP_1)
	v_add_f32_e32 v123, v123, v168
	v_add_f32_e32 v121, v123, v121
	s_delay_alu instid0(VALU_DEP_1)
	v_add_f32_e32 v121, v121, v122
	s_wait_loadcnt_dscnt 0x100
	v_mul_f32_e32 v127, v5, v2
	v_mul_f32_e32 v2, v6, v2
	;; [unrolled: 1-line block ×4, first 2 shown]
	s_delay_alu instid0(VALU_DEP_3)
	v_fma_f32 v2, v5, v1, -v2
	v_add_f32_e32 v17, v14, v149
	scratch_load_b128 v[13:16], off, off offset:328
	v_fmac_f32_e32 v128, v8, v3
	v_add_f32_e32 v2, v121, v2
	v_add_f32_e32 v17, v17, v151
	s_delay_alu instid0(VALU_DEP_1) | instskip(NEXT) | instid1(VALU_DEP_1)
	v_add_f32_e32 v17, v17, v153
	v_add_f32_e32 v17, v17, v155
	s_delay_alu instid0(VALU_DEP_1) | instskip(NEXT) | instid1(VALU_DEP_1)
	v_add_f32_e32 v17, v17, v157
	v_add_f32_e32 v24, v17, v159
	ds_load_2addr_b64 v[17:20], v21 offset0:83 offset1:84
	v_add_f32_e32 v119, v24, v161
	ds_load_2addr_b64 v[24:27], v21 offset0:85 offset1:86
	v_add_f32_e32 v126, v119, v163
	ds_load_b64 v[118:119], v21 offset:696
	v_add_f32_e32 v126, v126, v165
	s_wait_loadcnt_dscnt 0x102
	s_delay_alu instid0(VALU_DEP_1) | instskip(NEXT) | instid1(VALU_DEP_1)
	v_dual_add_f32 v126, v126, v167 :: v_dual_mul_f32 v123, v17, v10
	v_dual_mul_f32 v5, v20, v12 :: v_dual_add_f32 v22, v126, v22
	s_delay_alu instid0(VALU_DEP_2) | instskip(NEXT) | instid1(VALU_DEP_2)
	v_dual_mul_f32 v126, v19, v12 :: v_dual_fmac_f32 v123, v18, v9
	v_fma_f32 v5, v19, v11, -v5
	s_delay_alu instid0(VALU_DEP_3) | instskip(NEXT) | instid1(VALU_DEP_3)
	v_add_f32_e32 v22, v22, v120
	v_fmac_f32_e32 v126, v20, v11
	s_wait_dscnt 0x0
	v_mul_f32_e32 v120, v118, v117
	s_delay_alu instid0(VALU_DEP_1) | instskip(SKIP_2) | instid1(VALU_DEP_3)
	v_dual_fmac_f32 v120, v119, v116 :: v_dual_fmac_f32 v127, v6, v1
	v_fma_f32 v1, v7, v3, -v4
	v_mul_f32_e32 v3, v18, v10
	v_add_f32_e32 v4, v22, v127
	s_delay_alu instid0(VALU_DEP_3) | instskip(NEXT) | instid1(VALU_DEP_3)
	v_add_f32_e32 v1, v2, v1
	v_fma_f32 v3, v17, v9, -v3
	s_delay_alu instid0(VALU_DEP_1) | instskip(NEXT) | instid1(VALU_DEP_1)
	v_dual_add_f32 v2, v4, v128 :: v_dual_add_f32 v1, v1, v3
	v_dual_add_f32 v2, v2, v123 :: v_dual_add_f32 v1, v1, v5
	s_delay_alu instid0(VALU_DEP_1)
	v_dual_mul_f32 v5, v119, v117 :: v_dual_add_f32 v2, v2, v126
	s_wait_loadcnt 0x0
	v_mul_f32_e32 v129, v24, v14
	v_mul_f32_e32 v4, v25, v14
	;; [unrolled: 1-line block ×4, first 2 shown]
	s_delay_alu instid0(VALU_DEP_4) | instskip(NEXT) | instid1(VALU_DEP_4)
	v_fmac_f32_e32 v129, v25, v13
	v_fma_f32 v4, v24, v13, -v4
	s_delay_alu instid0(VALU_DEP_4) | instskip(NEXT) | instid1(VALU_DEP_4)
	v_fmac_f32_e32 v122, v27, v15
	v_fma_f32 v3, v26, v15, -v3
	s_delay_alu instid0(VALU_DEP_3) | instskip(SKIP_1) | instid1(VALU_DEP_2)
	v_dual_add_f32 v2, v2, v129 :: v_dual_add_f32 v1, v1, v4
	v_fma_f32 v4, v118, v116, -v5
	v_dual_add_f32 v2, v2, v122 :: v_dual_add_f32 v1, v1, v3
	s_delay_alu instid0(VALU_DEP_1) | instskip(NEXT) | instid1(VALU_DEP_2)
	v_add_f32_e32 v2, v2, v120
	v_add_f32_e32 v1, v1, v4
	s_delay_alu instid0(VALU_DEP_1)
	v_dual_sub_f32 v2, v125, v2 :: v_dual_sub_f32 v1, v124, v1
	scratch_store_b64 off, v[1:2], off offset:16
	v_cmpx_lt_u32_e32 1, v0
	s_cbranch_execz .LBB107_275
; %bb.274:
	scratch_load_b64 v[1:2], off, off offset:8
	v_mov_b32_e32 v22, v21
	scratch_store_b64 off, v[21:22], off offset:8
	s_wait_loadcnt 0x0
	ds_store_b64 v23, v[1:2]
.LBB107_275:
	s_wait_alu 0xfffe
	s_or_b32 exec_lo, exec_lo, s0
	s_wait_storecnt_dscnt 0x0
	s_barrier_signal -1
	s_barrier_wait -1
	global_inv scope:SCOPE_SE
	s_clause 0x4
	scratch_load_b128 v[5:8], off, off offset:16
	scratch_load_b128 v[1:4], off, off offset:32
	scratch_load_b128 v[9:12], off, off offset:48
	scratch_load_b128 v[13:16], off, off offset:64
	scratch_load_b128 v[17:20], off, off offset:80
	ds_load_b128 v[24:27], v21 offset:368
	ds_load_b128 v[116:119], v21 offset:384
	;; [unrolled: 1-line block ×3, first 2 shown]
	scratch_load_b64 v[124:125], off, off offset:8
	s_mov_b32 s0, exec_lo
	s_wait_loadcnt_dscnt 0x502
	v_dual_mul_f32 v22, v25, v6 :: v_dual_mul_f32 v127, v26, v8
	v_mul_f32_e32 v126, v24, v6
	v_mul_f32_e32 v6, v27, v8
	s_wait_loadcnt_dscnt 0x300
	v_mul_f32_e32 v128, v122, v12
	v_fma_f32 v22, v24, v5, -v22
	v_dual_fmac_f32 v127, v27, v7 :: v_dual_fmac_f32 v126, v25, v5
	v_mul_f32_e32 v27, v120, v10
	v_mul_f32_e32 v25, v116, v2
	v_fma_f32 v24, v26, v7, -v6
	ds_load_b128 v[5:8], v21 offset:416
	v_mul_f32_e32 v26, v118, v4
	v_dual_mul_f32 v4, v119, v4 :: v_dual_fmac_f32 v27, v121, v9
	v_mul_f32_e32 v10, v121, v10
	v_mul_f32_e32 v12, v123, v12
	;; [unrolled: 1-line block ×3, first 2 shown]
	v_dual_fmac_f32 v25, v117, v1 :: v_dual_fmac_f32 v26, v119, v3
	v_fma_f32 v117, v118, v3, -v4
	v_fma_f32 v118, v120, v9, -v10
	v_fmac_f32_e32 v128, v123, v11
	v_fma_f32 v119, v122, v11, -v12
	ds_load_b128 v[9:12], v21 offset:432
	s_wait_loadcnt_dscnt 0x201
	v_mul_f32_e32 v121, v7, v16
	v_fma_f32 v116, v116, v1, -v2
	scratch_load_b128 v[1:4], off, off offset:96
	v_mul_f32_e32 v120, v5, v14
	v_mul_f32_e32 v14, v6, v14
	;; [unrolled: 1-line block ×3, first 2 shown]
	s_delay_alu instid0(VALU_DEP_3) | instskip(NEXT) | instid1(VALU_DEP_3)
	v_dual_fmac_f32 v121, v8, v15 :: v_dual_fmac_f32 v120, v6, v13
	v_fma_f32 v13, v5, v13, -v14
	s_delay_alu instid0(VALU_DEP_3)
	v_fma_f32 v14, v7, v15, -v16
	ds_load_b128 v[5:8], v21 offset:448
	s_wait_loadcnt_dscnt 0x201
	v_mul_f32_e32 v15, v9, v18
	v_mul_f32_e32 v16, v10, v18
	;; [unrolled: 1-line block ×3, first 2 shown]
	s_delay_alu instid0(VALU_DEP_3) | instskip(NEXT) | instid1(VALU_DEP_3)
	v_dual_mul_f32 v20, v12, v20 :: v_dual_fmac_f32 v15, v10, v17
	v_fma_f32 v16, v9, v17, -v16
	s_delay_alu instid0(VALU_DEP_3) | instskip(NEXT) | instid1(VALU_DEP_3)
	v_fmac_f32_e32 v18, v12, v19
	v_fma_f32 v17, v11, v19, -v20
	scratch_load_b128 v[9:12], off, off offset:112
	s_wait_loadcnt_dscnt 0x100
	v_mul_f32_e32 v19, v5, v2
	v_mul_f32_e32 v2, v6, v2
	v_mul_f32_e32 v20, v7, v4
	s_delay_alu instid0(VALU_DEP_3) | instskip(NEXT) | instid1(VALU_DEP_3)
	v_dual_mul_f32 v4, v8, v4 :: v_dual_fmac_f32 v19, v6, v1
	v_fma_f32 v122, v5, v1, -v2
	s_delay_alu instid0(VALU_DEP_3) | instskip(NEXT) | instid1(VALU_DEP_3)
	v_fmac_f32_e32 v20, v8, v3
	v_fma_f32 v123, v7, v3, -v4
	ds_load_b128 v[1:4], v21 offset:464
	ds_load_b128 v[5:8], v21 offset:480
	s_wait_loadcnt_dscnt 0x1
	v_mul_f32_e32 v129, v1, v10
	v_mul_f32_e32 v10, v2, v10
	s_delay_alu instid0(VALU_DEP_2) | instskip(NEXT) | instid1(VALU_DEP_2)
	v_dual_mul_f32 v130, v3, v12 :: v_dual_fmac_f32 v129, v2, v9
	v_fma_f32 v131, v1, v9, -v10
	v_mul_f32_e32 v1, v4, v12
	s_delay_alu instid0(VALU_DEP_3) | instskip(NEXT) | instid1(VALU_DEP_2)
	v_fmac_f32_e32 v130, v4, v11
	v_fma_f32 v132, v3, v11, -v1
	s_clause 0x1
	scratch_load_b128 v[1:4], off, off offset:128
	scratch_load_b128 v[9:12], off, off offset:144
	s_wait_loadcnt_dscnt 0x100
	v_mul_f32_e32 v133, v5, v2
	v_dual_mul_f32 v2, v6, v2 :: v_dual_mul_f32 v135, v7, v4
	s_delay_alu instid0(VALU_DEP_2) | instskip(NEXT) | instid1(VALU_DEP_2)
	v_fmac_f32_e32 v133, v6, v1
	v_fma_f32 v134, v5, v1, -v2
	v_mul_f32_e32 v1, v8, v4
	s_delay_alu instid0(VALU_DEP_4) | instskip(NEXT) | instid1(VALU_DEP_2)
	v_fmac_f32_e32 v135, v8, v3
	v_fma_f32 v136, v7, v3, -v1
	ds_load_b128 v[1:4], v21 offset:496
	ds_load_b128 v[5:8], v21 offset:512
	s_wait_loadcnt_dscnt 0x1
	v_mul_f32_e32 v137, v1, v10
	v_mul_f32_e32 v139, v3, v12
	s_delay_alu instid0(VALU_DEP_2) | instskip(NEXT) | instid1(VALU_DEP_2)
	v_fmac_f32_e32 v137, v2, v9
	v_dual_mul_f32 v2, v2, v10 :: v_dual_fmac_f32 v139, v4, v11
	s_delay_alu instid0(VALU_DEP_1) | instskip(SKIP_1) | instid1(VALU_DEP_1)
	v_fma_f32 v138, v1, v9, -v2
	v_mul_f32_e32 v1, v4, v12
	v_fma_f32 v140, v3, v11, -v1
	s_clause 0x1
	scratch_load_b128 v[1:4], off, off offset:160
	scratch_load_b128 v[9:12], off, off offset:176
	s_wait_loadcnt_dscnt 0x100
	v_mul_f32_e32 v141, v5, v2
	v_dual_mul_f32 v2, v6, v2 :: v_dual_mul_f32 v143, v7, v4
	s_delay_alu instid0(VALU_DEP_2) | instskip(NEXT) | instid1(VALU_DEP_2)
	v_fmac_f32_e32 v141, v6, v1
	v_fma_f32 v142, v5, v1, -v2
	v_mul_f32_e32 v1, v8, v4
	s_delay_alu instid0(VALU_DEP_4) | instskip(NEXT) | instid1(VALU_DEP_2)
	v_fmac_f32_e32 v143, v8, v3
	v_fma_f32 v144, v7, v3, -v1
	ds_load_b128 v[1:4], v21 offset:528
	ds_load_b128 v[5:8], v21 offset:544
	s_wait_loadcnt_dscnt 0x1
	v_mul_f32_e32 v145, v1, v10
	v_mul_f32_e32 v147, v3, v12
	s_delay_alu instid0(VALU_DEP_2) | instskip(NEXT) | instid1(VALU_DEP_2)
	v_fmac_f32_e32 v145, v2, v9
	v_dual_mul_f32 v2, v2, v10 :: v_dual_fmac_f32 v147, v4, v11
	s_delay_alu instid0(VALU_DEP_1) | instskip(SKIP_1) | instid1(VALU_DEP_1)
	v_fma_f32 v146, v1, v9, -v2
	v_mul_f32_e32 v1, v4, v12
	;; [unrolled: 25-line block ×4, first 2 shown]
	v_fma_f32 v164, v3, v11, -v1
	s_clause 0x1
	scratch_load_b128 v[1:4], off, off offset:256
	scratch_load_b128 v[9:12], off, off offset:272
	s_wait_loadcnt_dscnt 0x100
	v_mul_f32_e32 v165, v5, v2
	v_mul_f32_e32 v2, v6, v2
	s_delay_alu instid0(VALU_DEP_1) | instskip(SKIP_1) | instid1(VALU_DEP_1)
	v_fma_f32 v166, v5, v1, -v2
	v_add_f32_e32 v2, 0, v126
	v_add_f32_e32 v2, v2, v127
	s_delay_alu instid0(VALU_DEP_1) | instskip(NEXT) | instid1(VALU_DEP_1)
	v_add_f32_e32 v2, v2, v25
	v_add_f32_e32 v2, v2, v26
	s_delay_alu instid0(VALU_DEP_1) | instskip(NEXT) | instid1(VALU_DEP_1)
	;; [unrolled: 3-line block ×7, first 2 shown]
	v_add_f32_e32 v2, v2, v133
	v_add_f32_e32 v2, v2, v135
	v_fmac_f32_e32 v165, v6, v1
	v_mul_f32_e32 v1, v8, v4
	s_delay_alu instid0(VALU_DEP_3) | instskip(NEXT) | instid1(VALU_DEP_2)
	v_dual_mul_f32 v167, v7, v4 :: v_dual_add_f32 v2, v2, v137
	v_fma_f32 v168, v7, v3, -v1
	v_add_f32_e32 v1, 0, v22
	s_delay_alu instid0(VALU_DEP_1) | instskip(NEXT) | instid1(VALU_DEP_1)
	v_add_f32_e32 v1, v1, v24
	v_add_f32_e32 v1, v1, v116
	s_delay_alu instid0(VALU_DEP_1) | instskip(NEXT) | instid1(VALU_DEP_1)
	v_add_f32_e32 v1, v1, v117
	;; [unrolled: 3-line block ×9, first 2 shown]
	v_dual_add_f32 v6, v1, v142 :: v_dual_fmac_f32 v167, v8, v3
	s_delay_alu instid0(VALU_DEP_1) | instskip(NEXT) | instid1(VALU_DEP_1)
	v_add_f32_e32 v14, v6, v144
	v_add_f32_e32 v14, v14, v146
	s_delay_alu instid0(VALU_DEP_1) | instskip(NEXT) | instid1(VALU_DEP_1)
	v_add_f32_e32 v17, v14, v148
	v_add_f32_e32 v17, v17, v150
	;; [unrolled: 3-line block ×4, first 2 shown]
	s_delay_alu instid0(VALU_DEP_1)
	v_add_f32_e32 v25, v25, v160
	v_add_f32_e32 v5, v2, v139
	ds_load_b128 v[1:4], v21 offset:624
	v_add_f32_e32 v13, v5, v141
	scratch_load_b128 v[5:8], off, off offset:288
	v_add_f32_e32 v13, v13, v143
	s_delay_alu instid0(VALU_DEP_1) | instskip(NEXT) | instid1(VALU_DEP_1)
	v_add_f32_e32 v13, v13, v145
	v_add_f32_e32 v18, v13, v147
	ds_load_b128 v[13:16], v21 offset:640
	s_wait_loadcnt_dscnt 0x101
	v_mul_f32_e32 v22, v1, v10
	v_mul_f32_e32 v10, v2, v10
	;; [unrolled: 1-line block ×4, first 2 shown]
	v_add_f32_e32 v18, v18, v149
	v_fmac_f32_e32 v22, v2, v9
	v_fma_f32 v117, v1, v9, -v10
	v_fmac_f32_e32 v116, v4, v11
	v_fma_f32 v118, v3, v11, -v12
	s_clause 0x1
	scratch_load_b128 v[1:4], off, off offset:304
	scratch_load_b128 v[9:12], off, off offset:320
	v_add_f32_e32 v18, v18, v151
	s_delay_alu instid0(VALU_DEP_1) | instskip(SKIP_3) | instid1(VALU_DEP_1)
	v_add_f32_e32 v24, v18, v153
	scratch_load_b128 v[17:20], off, off offset:336
	v_add_f32_e32 v24, v24, v155
	s_wait_loadcnt_dscnt 0x300
	v_dual_add_f32 v24, v24, v157 :: v_dual_mul_f32 v119, v13, v6
	v_mul_f32_e32 v6, v14, v6
	v_mul_f32_e32 v120, v15, v8
	s_delay_alu instid0(VALU_DEP_3) | instskip(NEXT) | instid1(VALU_DEP_3)
	v_dual_mul_f32 v8, v16, v8 :: v_dual_fmac_f32 v119, v14, v5
	v_fma_f32 v121, v13, v5, -v6
	v_dual_add_f32 v13, v24, v159 :: v_dual_add_f32 v24, v25, v162
	s_delay_alu instid0(VALU_DEP_4) | instskip(NEXT) | instid1(VALU_DEP_4)
	v_fmac_f32_e32 v120, v16, v7
	v_fma_f32 v122, v15, v7, -v8
	ds_load_b128 v[5:8], v21 offset:656
	v_add_f32_e32 v25, v13, v161
	v_add_f32_e32 v123, v24, v164
	ds_load_b128 v[13:16], v21 offset:672
	v_add_f32_e32 v126, v25, v163
	ds_load_b128 v[24:27], v21 offset:688
	v_add_f32_e32 v21, v123, v166
	v_add_f32_e32 v123, v126, v165
	s_delay_alu instid0(VALU_DEP_2) | instskip(NEXT) | instid1(VALU_DEP_2)
	v_add_f32_e32 v21, v21, v168
	v_add_f32_e32 v123, v123, v167
	s_delay_alu instid0(VALU_DEP_2) | instskip(SKIP_2) | instid1(VALU_DEP_3)
	v_add_f32_e32 v21, v21, v117
	s_wait_loadcnt_dscnt 0x202
	v_mul_f32_e32 v126, v5, v2
	v_add_f32_e32 v22, v123, v22
	v_mul_f32_e32 v2, v6, v2
	v_add_f32_e32 v21, v21, v118
	v_mul_f32_e32 v117, v7, v4
	v_mul_f32_e32 v4, v8, v4
	v_add_f32_e32 v22, v22, v116
	v_fma_f32 v2, v5, v1, -v2
	v_add_f32_e32 v21, v21, v121
	s_wait_loadcnt_dscnt 0x101
	v_dual_fmac_f32 v126, v6, v1 :: v_dual_mul_f32 v123, v13, v10
	v_add_f32_e32 v22, v22, v119
	v_mul_f32_e32 v6, v14, v10
	v_add_f32_e32 v1, v21, v122
	v_fmac_f32_e32 v117, v8, v3
	v_fma_f32 v3, v7, v3, -v4
	v_add_f32_e32 v5, v22, v120
	v_mul_f32_e32 v127, v15, v12
	v_dual_add_f32 v1, v1, v2 :: v_dual_mul_f32 v4, v16, v12
	s_delay_alu instid0(VALU_DEP_3) | instskip(SKIP_2) | instid1(VALU_DEP_3)
	v_dual_fmac_f32 v123, v14, v9 :: v_dual_add_f32 v2, v5, v126
	v_fma_f32 v5, v13, v9, -v6
	s_wait_loadcnt_dscnt 0x0
	v_dual_add_f32 v1, v1, v3 :: v_dual_mul_f32 v116, v24, v18
	s_delay_alu instid0(VALU_DEP_3) | instskip(SKIP_2) | instid1(VALU_DEP_4)
	v_dual_mul_f32 v3, v25, v18 :: v_dual_add_f32 v2, v2, v117
	v_fmac_f32_e32 v127, v16, v11
	v_fma_f32 v4, v15, v11, -v4
	v_dual_add_f32 v1, v1, v5 :: v_dual_mul_f32 v118, v26, v20
	s_delay_alu instid0(VALU_DEP_4) | instskip(SKIP_2) | instid1(VALU_DEP_3)
	v_dual_add_f32 v2, v2, v123 :: v_dual_mul_f32 v5, v27, v20
	v_fmac_f32_e32 v116, v25, v17
	v_fma_f32 v3, v24, v17, -v3
	v_dual_add_f32 v1, v1, v4 :: v_dual_add_f32 v2, v2, v127
	v_fmac_f32_e32 v118, v27, v19
	v_fma_f32 v4, v26, v19, -v5
	s_delay_alu instid0(VALU_DEP_3) | instskip(NEXT) | instid1(VALU_DEP_1)
	v_dual_add_f32 v1, v1, v3 :: v_dual_add_f32 v2, v2, v116
	v_dual_add_f32 v1, v1, v4 :: v_dual_add_f32 v2, v2, v118
	s_delay_alu instid0(VALU_DEP_1)
	v_dual_sub_f32 v1, v124, v1 :: v_dual_sub_f32 v2, v125, v2
	scratch_store_b64 off, v[1:2], off offset:8
	v_cmpx_ne_u32_e32 0, v0
	s_cbranch_execz .LBB107_277
; %bb.276:
	scratch_load_b64 v[0:1], off, off
	v_mov_b32_e32 v2, 0
	s_delay_alu instid0(VALU_DEP_1)
	v_mov_b32_e32 v3, v2
	scratch_store_b64 off, v[2:3], off
	s_wait_loadcnt 0x0
	ds_store_b64 v23, v[0:1]
.LBB107_277:
	s_wait_alu 0xfffe
	s_or_b32 exec_lo, exec_lo, s0
	s_wait_storecnt_dscnt 0x0
	s_barrier_signal -1
	s_barrier_wait -1
	global_inv scope:SCOPE_SE
	s_clause 0x6
	scratch_load_b128 v[0:3], off, off offset:8
	scratch_load_b128 v[4:7], off, off offset:24
	;; [unrolled: 1-line block ×7, first 2 shown]
	v_mov_b32_e32 v116, 0
	scratch_load_b64 v[125:126], off, off
	s_and_b32 vcc_lo, exec_lo, s12
	ds_load_2addr_b64 v[117:120], v116 offset0:45 offset1:46
	ds_load_2addr_b64 v[121:124], v116 offset0:47 offset1:48
	s_wait_loadcnt_dscnt 0x701
	v_mul_f32_e32 v127, v118, v1
	v_dual_mul_f32 v128, v117, v1 :: v_dual_mul_f32 v129, v119, v3
	v_mul_f32_e32 v1, v120, v3
	s_delay_alu instid0(VALU_DEP_3) | instskip(NEXT) | instid1(VALU_DEP_3)
	v_fma_f32 v117, v117, v0, -v127
	v_dual_fmac_f32 v128, v118, v0 :: v_dual_fmac_f32 v129, v120, v2
	s_wait_loadcnt_dscnt 0x600
	v_mul_f32_e32 v120, v123, v7
	v_fma_f32 v118, v119, v2, -v1
	ds_load_2addr_b64 v[0:3], v116 offset0:49 offset1:50
	v_mul_f32_e32 v119, v121, v5
	v_mul_f32_e32 v5, v122, v5
	v_mul_f32_e32 v7, v124, v7
	s_delay_alu instid0(VALU_DEP_3) | instskip(NEXT) | instid1(VALU_DEP_3)
	v_dual_fmac_f32 v120, v124, v6 :: v_dual_fmac_f32 v119, v122, v4
	v_fma_f32 v121, v121, v4, -v5
	s_delay_alu instid0(VALU_DEP_3)
	v_fma_f32 v122, v123, v6, -v7
	ds_load_2addr_b64 v[4:7], v116 offset0:51 offset1:52
	s_wait_loadcnt_dscnt 0x501
	v_dual_mul_f32 v123, v0, v9 :: v_dual_mul_f32 v124, v2, v11
	v_mul_f32_e32 v9, v1, v9
	v_mul_f32_e32 v11, v3, v11
	s_delay_alu instid0(VALU_DEP_3) | instskip(NEXT) | instid1(VALU_DEP_3)
	v_dual_fmac_f32 v123, v1, v8 :: v_dual_fmac_f32 v124, v3, v10
	v_fma_f32 v127, v0, v8, -v9
	s_delay_alu instid0(VALU_DEP_3)
	v_fma_f32 v130, v2, v10, -v11
	ds_load_2addr_b64 v[0:3], v116 offset0:53 offset1:54
	s_wait_loadcnt_dscnt 0x401
	v_mul_f32_e32 v131, v4, v13
	v_dual_mul_f32 v8, v5, v13 :: v_dual_mul_f32 v13, v6, v15
	v_mul_f32_e32 v9, v7, v15
	s_delay_alu instid0(VALU_DEP_3) | instskip(NEXT) | instid1(VALU_DEP_3)
	v_fmac_f32_e32 v131, v5, v12
	v_fma_f32 v12, v4, v12, -v8
	s_delay_alu instid0(VALU_DEP_4) | instskip(NEXT) | instid1(VALU_DEP_4)
	v_fmac_f32_e32 v13, v7, v14
	v_fma_f32 v14, v6, v14, -v9
	ds_load_2addr_b64 v[4:7], v116 offset0:55 offset1:56
	s_wait_loadcnt_dscnt 0x301
	v_mul_f32_e32 v15, v0, v17
	v_dual_mul_f32 v8, v1, v17 :: v_dual_mul_f32 v17, v2, v19
	v_mul_f32_e32 v9, v3, v19
	s_delay_alu instid0(VALU_DEP_3) | instskip(NEXT) | instid1(VALU_DEP_3)
	v_fmac_f32_e32 v15, v1, v16
	v_fma_f32 v16, v0, v16, -v8
	s_delay_alu instid0(VALU_DEP_4) | instskip(NEXT) | instid1(VALU_DEP_4)
	v_fmac_f32_e32 v17, v3, v18
	;; [unrolled: 11-line block ×4, first 2 shown]
	v_fma_f32 v26, v2, v26, -v9
	s_clause 0x1
	scratch_load_b128 v[0:3], off, off offset:120
	scratch_load_b128 v[8:11], off, off offset:136
	s_wait_loadcnt_dscnt 0x100
	v_mul_f32_e32 v27, v4, v1
	v_mul_f32_e32 v1, v5, v1
	s_delay_alu instid0(VALU_DEP_2) | instskip(NEXT) | instid1(VALU_DEP_2)
	v_fmac_f32_e32 v27, v5, v0
	v_fma_f32 v132, v4, v0, -v1
	v_mul_f32_e32 v133, v6, v3
	v_mul_f32_e32 v0, v7, v3
	s_delay_alu instid0(VALU_DEP_2) | instskip(NEXT) | instid1(VALU_DEP_2)
	v_fmac_f32_e32 v133, v7, v2
	v_fma_f32 v134, v6, v2, -v0
	ds_load_2addr_b64 v[0:3], v116 offset0:61 offset1:62
	ds_load_2addr_b64 v[4:7], v116 offset0:63 offset1:64
	s_wait_loadcnt_dscnt 0x1
	v_mul_f32_e32 v135, v0, v9
	v_mul_f32_e32 v137, v2, v11
	s_delay_alu instid0(VALU_DEP_2) | instskip(SKIP_1) | instid1(VALU_DEP_3)
	v_fmac_f32_e32 v135, v1, v8
	v_mul_f32_e32 v1, v1, v9
	v_fmac_f32_e32 v137, v3, v10
	s_delay_alu instid0(VALU_DEP_2) | instskip(SKIP_1) | instid1(VALU_DEP_1)
	v_fma_f32 v136, v0, v8, -v1
	v_mul_f32_e32 v0, v3, v11
	v_fma_f32 v138, v2, v10, -v0
	s_clause 0x1
	scratch_load_b128 v[0:3], off, off offset:152
	scratch_load_b128 v[8:11], off, off offset:168
	s_wait_loadcnt_dscnt 0x100
	v_mul_f32_e32 v139, v4, v1
	v_mul_f32_e32 v1, v5, v1
	v_mul_f32_e32 v141, v6, v3
	s_delay_alu instid0(VALU_DEP_3) | instskip(NEXT) | instid1(VALU_DEP_3)
	v_fmac_f32_e32 v139, v5, v0
	v_fma_f32 v140, v4, v0, -v1
	v_mul_f32_e32 v0, v7, v3
	s_delay_alu instid0(VALU_DEP_4) | instskip(NEXT) | instid1(VALU_DEP_2)
	v_fmac_f32_e32 v141, v7, v2
	v_fma_f32 v142, v6, v2, -v0
	ds_load_2addr_b64 v[0:3], v116 offset0:65 offset1:66
	ds_load_2addr_b64 v[4:7], v116 offset0:67 offset1:68
	s_wait_loadcnt_dscnt 0x1
	v_mul_f32_e32 v143, v0, v9
	v_mul_f32_e32 v145, v2, v11
	s_delay_alu instid0(VALU_DEP_2) | instskip(SKIP_1) | instid1(VALU_DEP_3)
	v_fmac_f32_e32 v143, v1, v8
	v_mul_f32_e32 v1, v1, v9
	v_fmac_f32_e32 v145, v3, v10
	s_delay_alu instid0(VALU_DEP_2) | instskip(SKIP_1) | instid1(VALU_DEP_1)
	v_fma_f32 v144, v0, v8, -v1
	v_mul_f32_e32 v0, v3, v11
	v_fma_f32 v146, v2, v10, -v0
	s_clause 0x1
	scratch_load_b128 v[0:3], off, off offset:184
	scratch_load_b128 v[8:11], off, off offset:200
	s_wait_loadcnt_dscnt 0x100
	v_mul_f32_e32 v147, v4, v1
	v_mul_f32_e32 v1, v5, v1
	v_mul_f32_e32 v149, v6, v3
	s_delay_alu instid0(VALU_DEP_3) | instskip(NEXT) | instid1(VALU_DEP_3)
	v_fmac_f32_e32 v147, v5, v0
	v_fma_f32 v148, v4, v0, -v1
	v_mul_f32_e32 v0, v7, v3
	s_delay_alu instid0(VALU_DEP_4) | instskip(NEXT) | instid1(VALU_DEP_2)
	;; [unrolled: 27-line block ×3, first 2 shown]
	v_fmac_f32_e32 v157, v7, v2
	v_fma_f32 v158, v6, v2, -v0
	ds_load_2addr_b64 v[0:3], v116 offset0:73 offset1:74
	ds_load_2addr_b64 v[4:7], v116 offset0:75 offset1:76
	s_wait_loadcnt_dscnt 0x1
	v_mul_f32_e32 v159, v0, v9
	v_mul_f32_e32 v161, v2, v11
	s_delay_alu instid0(VALU_DEP_2) | instskip(SKIP_1) | instid1(VALU_DEP_3)
	v_fmac_f32_e32 v159, v1, v8
	v_mul_f32_e32 v1, v1, v9
	v_fmac_f32_e32 v161, v3, v10
	s_delay_alu instid0(VALU_DEP_2) | instskip(SKIP_1) | instid1(VALU_DEP_1)
	v_fma_f32 v160, v0, v8, -v1
	v_mul_f32_e32 v0, v3, v11
	v_fma_f32 v162, v2, v10, -v0
	s_clause 0x1
	scratch_load_b128 v[0:3], off, off offset:248
	scratch_load_b128 v[8:11], off, off offset:264
	s_wait_loadcnt_dscnt 0x100
	v_mul_f32_e32 v163, v4, v1
	v_mul_f32_e32 v1, v5, v1
	;; [unrolled: 1-line block ×3, first 2 shown]
	s_delay_alu instid0(VALU_DEP_3) | instskip(NEXT) | instid1(VALU_DEP_3)
	v_fmac_f32_e32 v163, v5, v0
	v_fma_f32 v164, v4, v0, -v1
	v_dual_mul_f32 v0, v7, v3 :: v_dual_add_f32 v1, 0, v128
	s_delay_alu instid0(VALU_DEP_4) | instskip(NEXT) | instid1(VALU_DEP_2)
	v_fmac_f32_e32 v165, v7, v2
	v_fma_f32 v166, v6, v2, -v0
	v_add_f32_e32 v0, 0, v117
	s_delay_alu instid0(VALU_DEP_1) | instskip(NEXT) | instid1(VALU_DEP_1)
	v_dual_add_f32 v1, v1, v129 :: v_dual_add_f32 v0, v0, v118
	v_dual_add_f32 v1, v1, v119 :: v_dual_add_f32 v0, v0, v121
	s_delay_alu instid0(VALU_DEP_1) | instskip(NEXT) | instid1(VALU_DEP_1)
	v_dual_add_f32 v1, v1, v120 :: v_dual_add_f32 v0, v0, v122
	v_add_f32_e32 v1, v1, v123
	s_delay_alu instid0(VALU_DEP_1) | instskip(NEXT) | instid1(VALU_DEP_1)
	v_dual_add_f32 v0, v0, v127 :: v_dual_add_f32 v1, v1, v124
	v_dual_add_f32 v0, v0, v130 :: v_dual_add_f32 v1, v1, v131
	s_delay_alu instid0(VALU_DEP_1) | instskip(NEXT) | instid1(VALU_DEP_1)
	v_dual_add_f32 v0, v0, v12 :: v_dual_add_f32 v1, v1, v13
	v_dual_add_f32 v0, v0, v14 :: v_dual_add_f32 v1, v1, v15
	;; [unrolled: 3-line block ×4, first 2 shown]
	s_delay_alu instid0(VALU_DEP_1) | instskip(SKIP_2) | instid1(VALU_DEP_1)
	v_dual_add_f32 v0, v0, v24 :: v_dual_add_f32 v1, v1, v25
	scratch_load_b64 v[24:25], off, off offset:344
	v_dual_add_f32 v0, v0, v26 :: v_dual_add_f32 v1, v1, v27
	v_add_f32_e32 v0, v0, v132
	s_delay_alu instid0(VALU_DEP_1) | instskip(NEXT) | instid1(VALU_DEP_1)
	v_add_f32_e32 v0, v0, v134
	v_dual_add_f32 v0, v0, v136 :: v_dual_add_f32 v1, v1, v133
	s_delay_alu instid0(VALU_DEP_1) | instskip(SKIP_4) | instid1(VALU_DEP_1)
	v_dual_add_f32 v5, v0, v138 :: v_dual_add_f32 v4, v1, v135
	scratch_load_b128 v[0:3], off, off offset:280
	v_dual_add_f32 v13, v5, v140 :: v_dual_add_f32 v12, v4, v137
	ds_load_2addr_b64 v[4:7], v116 offset0:77 offset1:78
	v_dual_add_f32 v13, v13, v142 :: v_dual_add_f32 v12, v12, v139
	v_add_f32_e32 v16, v13, v144
	s_delay_alu instid0(VALU_DEP_2) | instskip(NEXT) | instid1(VALU_DEP_2)
	v_add_f32_e32 v12, v12, v141
	v_add_f32_e32 v16, v16, v146
	s_delay_alu instid0(VALU_DEP_1) | instskip(NEXT) | instid1(VALU_DEP_1)
	v_add_f32_e32 v16, v16, v148
	v_add_f32_e32 v16, v16, v150
	s_delay_alu instid0(VALU_DEP_4)
	v_add_f32_e32 v17, v12, v143
	ds_load_2addr_b64 v[12:15], v116 offset0:79 offset1:80
	s_wait_loadcnt_dscnt 0x201
	v_mul_f32_e32 v117, v4, v9
	v_dual_mul_f32 v9, v5, v9 :: v_dual_mul_f32 v118, v6, v11
	v_mul_f32_e32 v11, v7, v11
	v_add_f32_e32 v17, v17, v145
	s_delay_alu instid0(VALU_DEP_4) | instskip(NEXT) | instid1(VALU_DEP_4)
	v_fmac_f32_e32 v117, v5, v8
	v_fma_f32 v119, v4, v8, -v9
	v_fmac_f32_e32 v118, v7, v10
	v_fma_f32 v120, v6, v10, -v11
	s_clause 0x1
	scratch_load_b128 v[4:7], off, off offset:296
	scratch_load_b128 v[8:11], off, off offset:312
	v_add_f32_e32 v17, v17, v147
	s_delay_alu instid0(VALU_DEP_1) | instskip(SKIP_2) | instid1(VALU_DEP_1)
	v_dual_add_f32 v21, v16, v152 :: v_dual_add_f32 v20, v17, v149
	scratch_load_b128 v[16:19], off, off offset:328
	v_dual_add_f32 v21, v21, v154 :: v_dual_add_f32 v20, v20, v151
	v_dual_add_f32 v21, v21, v156 :: v_dual_add_f32 v20, v20, v153
	s_delay_alu instid0(VALU_DEP_1) | instskip(SKIP_4) | instid1(VALU_DEP_3)
	v_dual_add_f32 v21, v21, v158 :: v_dual_add_f32 v20, v20, v155
	s_wait_loadcnt_dscnt 0x300
	v_mul_f32_e32 v121, v12, v1
	v_dual_mul_f32 v1, v13, v1 :: v_dual_mul_f32 v122, v14, v3
	v_mul_f32_e32 v3, v15, v3
	v_fmac_f32_e32 v121, v13, v0
	s_delay_alu instid0(VALU_DEP_3)
	v_fma_f32 v123, v12, v0, -v1
	v_dual_add_f32 v12, v20, v157 :: v_dual_add_f32 v13, v21, v160
	v_fmac_f32_e32 v122, v15, v2
	v_fma_f32 v124, v14, v2, -v3
	ds_load_2addr_b64 v[0:3], v116 offset0:81 offset1:82
	v_add_f32_e32 v20, v12, v159
	v_add_f32_e32 v26, v13, v162
	ds_load_2addr_b64 v[12:15], v116 offset0:83 offset1:84
	v_add_f32_e32 v27, v20, v161
	v_add_f32_e32 v127, v26, v164
	;; [unrolled: 3-line block ×3, first 2 shown]
	ds_load_b64 v[26:27], v116 offset:696
	v_dual_add_f32 v128, v128, v165 :: v_dual_add_f32 v119, v127, v119
	s_delay_alu instid0(VALU_DEP_1) | instskip(NEXT) | instid1(VALU_DEP_2)
	v_add_f32_e32 v117, v128, v117
	v_add_f32_e32 v119, v119, v120
	s_delay_alu instid0(VALU_DEP_2) | instskip(NEXT) | instid1(VALU_DEP_2)
	v_add_f32_e32 v117, v117, v118
	v_add_f32_e32 v119, v119, v123
	s_wait_loadcnt_dscnt 0x203
	v_mul_f32_e32 v129, v0, v5
	v_mul_f32_e32 v5, v1, v5
	v_add_f32_e32 v117, v117, v121
	v_mul_f32_e32 v127, v2, v7
	v_mul_f32_e32 v7, v3, v7
	v_fmac_f32_e32 v129, v1, v4
	v_fma_f32 v0, v0, v4, -v5
	v_dual_add_f32 v1, v119, v124 :: v_dual_add_f32 v4, v117, v122
	s_wait_loadcnt_dscnt 0x102
	v_mul_f32_e32 v120, v12, v9
	v_mul_f32_e32 v5, v13, v9
	v_fmac_f32_e32 v127, v3, v6
	v_fma_f32 v2, v2, v6, -v7
	v_dual_add_f32 v0, v1, v0 :: v_dual_add_f32 v1, v4, v129
	v_mul_f32_e32 v118, v14, v11
	v_dual_mul_f32 v3, v15, v11 :: v_dual_fmac_f32 v120, v13, v8
	v_fma_f32 v4, v12, v8, -v5
	s_delay_alu instid0(VALU_DEP_4)
	v_dual_add_f32 v0, v0, v2 :: v_dual_add_f32 v1, v1, v127
	s_wait_loadcnt_dscnt 0x1
	v_mul_f32_e32 v128, v20, v17
	v_mul_f32_e32 v2, v21, v17
	v_fmac_f32_e32 v118, v15, v10
	v_fma_f32 v3, v14, v10, -v3
	v_add_f32_e32 v0, v0, v4
	v_add_f32_e32 v1, v1, v120
	v_mul_f32_e32 v123, v22, v19
	v_mul_f32_e32 v4, v23, v19
	v_fmac_f32_e32 v128, v21, v16
	v_fma_f32 v2, v20, v16, -v2
	v_dual_add_f32 v0, v0, v3 :: v_dual_add_f32 v1, v1, v118
	s_wait_dscnt 0x0
	v_mul_f32_e32 v121, v26, v25
	v_mul_f32_e32 v3, v27, v25
	v_fmac_f32_e32 v123, v23, v18
	v_fma_f32 v4, v22, v18, -v4
	v_dual_add_f32 v0, v0, v2 :: v_dual_add_f32 v1, v1, v128
	v_fmac_f32_e32 v121, v27, v24
	v_fma_f32 v2, v26, v24, -v3
	s_delay_alu instid0(VALU_DEP_3) | instskip(NEXT) | instid1(VALU_DEP_1)
	v_dual_add_f32 v0, v0, v4 :: v_dual_add_f32 v1, v1, v123
	v_dual_add_f32 v0, v0, v2 :: v_dual_add_f32 v1, v1, v121
	s_delay_alu instid0(VALU_DEP_1)
	v_dual_sub_f32 v0, v125, v0 :: v_dual_sub_f32 v1, v126, v1
	scratch_store_b64 off, v[0:1], off
	s_wait_alu 0xfffe
	s_cbranch_vccz .LBB107_364
; %bb.278:
	global_load_b32 v0, v116, s[2:3] offset:168
	s_wait_loadcnt 0x0
	v_cmp_ne_u32_e32 vcc_lo, 43, v0
	s_cbranch_vccz .LBB107_280
; %bb.279:
	v_lshlrev_b32_e32 v0, 3, v0
	s_delay_alu instid0(VALU_DEP_1)
	v_mov_b32_e32 v4, v0
	scratch_load_b64 v[0:1], v4, off offset:-8
	scratch_load_b64 v[2:3], off, off offset:336
	s_wait_loadcnt 0x1
	scratch_store_b64 off, v[0:1], off offset:336
	s_wait_loadcnt 0x0
	scratch_store_b64 v4, v[2:3], off offset:-8
.LBB107_280:
	v_mov_b32_e32 v0, 0
	global_load_b32 v1, v0, s[2:3] offset:164
	s_wait_loadcnt 0x0
	v_cmp_eq_u32_e32 vcc_lo, 42, v1
	s_cbranch_vccnz .LBB107_282
; %bb.281:
	v_lshlrev_b32_e32 v1, 3, v1
	s_delay_alu instid0(VALU_DEP_1)
	v_mov_b32_e32 v5, v1
	scratch_load_b64 v[1:2], v5, off offset:-8
	scratch_load_b64 v[3:4], off, off offset:328
	s_wait_loadcnt 0x1
	scratch_store_b64 off, v[1:2], off offset:328
	s_wait_loadcnt 0x0
	scratch_store_b64 v5, v[3:4], off offset:-8
.LBB107_282:
	global_load_b32 v0, v0, s[2:3] offset:160
	s_wait_loadcnt 0x0
	v_cmp_eq_u32_e32 vcc_lo, 41, v0
	s_cbranch_vccnz .LBB107_284
; %bb.283:
	v_lshlrev_b32_e32 v0, 3, v0
	s_delay_alu instid0(VALU_DEP_1)
	v_mov_b32_e32 v4, v0
	scratch_load_b64 v[0:1], v4, off offset:-8
	scratch_load_b64 v[2:3], off, off offset:320
	s_wait_loadcnt 0x1
	scratch_store_b64 off, v[0:1], off offset:320
	s_wait_loadcnt 0x0
	scratch_store_b64 v4, v[2:3], off offset:-8
.LBB107_284:
	v_mov_b32_e32 v0, 0
	global_load_b32 v1, v0, s[2:3] offset:156
	s_wait_loadcnt 0x0
	v_cmp_eq_u32_e32 vcc_lo, 40, v1
	s_cbranch_vccnz .LBB107_286
; %bb.285:
	v_lshlrev_b32_e32 v1, 3, v1
	s_delay_alu instid0(VALU_DEP_1)
	v_mov_b32_e32 v5, v1
	scratch_load_b64 v[1:2], v5, off offset:-8
	scratch_load_b64 v[3:4], off, off offset:312
	s_wait_loadcnt 0x1
	scratch_store_b64 off, v[1:2], off offset:312
	s_wait_loadcnt 0x0
	scratch_store_b64 v5, v[3:4], off offset:-8
.LBB107_286:
	global_load_b32 v0, v0, s[2:3] offset:152
	s_wait_loadcnt 0x0
	v_cmp_eq_u32_e32 vcc_lo, 39, v0
	s_cbranch_vccnz .LBB107_288
; %bb.287:
	v_lshlrev_b32_e32 v0, 3, v0
	s_delay_alu instid0(VALU_DEP_1)
	v_mov_b32_e32 v4, v0
	scratch_load_b64 v[0:1], v4, off offset:-8
	scratch_load_b64 v[2:3], off, off offset:304
	s_wait_loadcnt 0x1
	scratch_store_b64 off, v[0:1], off offset:304
	s_wait_loadcnt 0x0
	scratch_store_b64 v4, v[2:3], off offset:-8
.LBB107_288:
	;; [unrolled: 31-line block ×20, first 2 shown]
	v_mov_b32_e32 v0, 0
	global_load_b32 v1, v0, s[2:3] offset:4
	s_wait_loadcnt 0x0
	v_cmp_eq_u32_e32 vcc_lo, 2, v1
	s_cbranch_vccnz .LBB107_362
; %bb.361:
	v_lshlrev_b32_e32 v1, 3, v1
	s_delay_alu instid0(VALU_DEP_1)
	v_mov_b32_e32 v5, v1
	scratch_load_b64 v[1:2], v5, off offset:-8
	scratch_load_b64 v[3:4], off, off offset:8
	s_wait_loadcnt 0x1
	scratch_store_b64 off, v[1:2], off offset:8
	s_wait_loadcnt 0x0
	scratch_store_b64 v5, v[3:4], off offset:-8
.LBB107_362:
	global_load_b32 v0, v0, s[2:3]
	s_wait_loadcnt 0x0
	v_cmp_eq_u32_e32 vcc_lo, 1, v0
	s_cbranch_vccnz .LBB107_364
; %bb.363:
	v_lshlrev_b32_e32 v0, 3, v0
	s_delay_alu instid0(VALU_DEP_1)
	v_mov_b32_e32 v4, v0
	scratch_load_b64 v[0:1], v4, off offset:-8
	scratch_load_b64 v[2:3], off, off
	s_wait_loadcnt 0x1
	scratch_store_b64 off, v[0:1], off
	s_wait_loadcnt 0x0
	scratch_store_b64 v4, v[2:3], off offset:-8
.LBB107_364:
	scratch_load_b64 v[0:1], off, off
	s_wait_loadcnt 0x0
	flat_store_b64 v[28:29], v[0:1]
	scratch_load_b64 v[0:1], off, off offset:8
	s_wait_loadcnt 0x0
	flat_store_b64 v[30:31], v[0:1]
	scratch_load_b64 v[0:1], off, off offset:16
	;; [unrolled: 3-line block ×43, first 2 shown]
	s_wait_loadcnt 0x0
	flat_store_b64 v[114:115], v[0:1]
	s_nop 0
	s_sendmsg sendmsg(MSG_DEALLOC_VGPRS)
	s_endpgm
	.section	.rodata,"a",@progbits
	.p2align	6, 0x0
	.amdhsa_kernel _ZN9rocsolver6v33100L18getri_kernel_smallILi44E19rocblas_complex_numIfEPKPS3_EEvT1_iilPiilS8_bb
		.amdhsa_group_segment_fixed_size 708
		.amdhsa_private_segment_fixed_size 368
		.amdhsa_kernarg_size 60
		.amdhsa_user_sgpr_count 2
		.amdhsa_user_sgpr_dispatch_ptr 0
		.amdhsa_user_sgpr_queue_ptr 0
		.amdhsa_user_sgpr_kernarg_segment_ptr 1
		.amdhsa_user_sgpr_dispatch_id 0
		.amdhsa_user_sgpr_private_segment_size 0
		.amdhsa_wavefront_size32 1
		.amdhsa_uses_dynamic_stack 0
		.amdhsa_enable_private_segment 1
		.amdhsa_system_sgpr_workgroup_id_x 1
		.amdhsa_system_sgpr_workgroup_id_y 0
		.amdhsa_system_sgpr_workgroup_id_z 0
		.amdhsa_system_sgpr_workgroup_info 0
		.amdhsa_system_vgpr_workitem_id 0
		.amdhsa_next_free_vgpr 252
		.amdhsa_next_free_sgpr 19
		.amdhsa_reserve_vcc 1
		.amdhsa_float_round_mode_32 0
		.amdhsa_float_round_mode_16_64 0
		.amdhsa_float_denorm_mode_32 3
		.amdhsa_float_denorm_mode_16_64 3
		.amdhsa_fp16_overflow 0
		.amdhsa_workgroup_processor_mode 1
		.amdhsa_memory_ordered 1
		.amdhsa_forward_progress 1
		.amdhsa_inst_pref_size 255
		.amdhsa_round_robin_scheduling 0
		.amdhsa_exception_fp_ieee_invalid_op 0
		.amdhsa_exception_fp_denorm_src 0
		.amdhsa_exception_fp_ieee_div_zero 0
		.amdhsa_exception_fp_ieee_overflow 0
		.amdhsa_exception_fp_ieee_underflow 0
		.amdhsa_exception_fp_ieee_inexact 0
		.amdhsa_exception_int_div_zero 0
	.end_amdhsa_kernel
	.section	.text._ZN9rocsolver6v33100L18getri_kernel_smallILi44E19rocblas_complex_numIfEPKPS3_EEvT1_iilPiilS8_bb,"axG",@progbits,_ZN9rocsolver6v33100L18getri_kernel_smallILi44E19rocblas_complex_numIfEPKPS3_EEvT1_iilPiilS8_bb,comdat
.Lfunc_end107:
	.size	_ZN9rocsolver6v33100L18getri_kernel_smallILi44E19rocblas_complex_numIfEPKPS3_EEvT1_iilPiilS8_bb, .Lfunc_end107-_ZN9rocsolver6v33100L18getri_kernel_smallILi44E19rocblas_complex_numIfEPKPS3_EEvT1_iilPiilS8_bb
                                        ; -- End function
	.set _ZN9rocsolver6v33100L18getri_kernel_smallILi44E19rocblas_complex_numIfEPKPS3_EEvT1_iilPiilS8_bb.num_vgpr, 252
	.set _ZN9rocsolver6v33100L18getri_kernel_smallILi44E19rocblas_complex_numIfEPKPS3_EEvT1_iilPiilS8_bb.num_agpr, 0
	.set _ZN9rocsolver6v33100L18getri_kernel_smallILi44E19rocblas_complex_numIfEPKPS3_EEvT1_iilPiilS8_bb.numbered_sgpr, 19
	.set _ZN9rocsolver6v33100L18getri_kernel_smallILi44E19rocblas_complex_numIfEPKPS3_EEvT1_iilPiilS8_bb.num_named_barrier, 0
	.set _ZN9rocsolver6v33100L18getri_kernel_smallILi44E19rocblas_complex_numIfEPKPS3_EEvT1_iilPiilS8_bb.private_seg_size, 368
	.set _ZN9rocsolver6v33100L18getri_kernel_smallILi44E19rocblas_complex_numIfEPKPS3_EEvT1_iilPiilS8_bb.uses_vcc, 1
	.set _ZN9rocsolver6v33100L18getri_kernel_smallILi44E19rocblas_complex_numIfEPKPS3_EEvT1_iilPiilS8_bb.uses_flat_scratch, 1
	.set _ZN9rocsolver6v33100L18getri_kernel_smallILi44E19rocblas_complex_numIfEPKPS3_EEvT1_iilPiilS8_bb.has_dyn_sized_stack, 0
	.set _ZN9rocsolver6v33100L18getri_kernel_smallILi44E19rocblas_complex_numIfEPKPS3_EEvT1_iilPiilS8_bb.has_recursion, 0
	.set _ZN9rocsolver6v33100L18getri_kernel_smallILi44E19rocblas_complex_numIfEPKPS3_EEvT1_iilPiilS8_bb.has_indirect_call, 0
	.section	.AMDGPU.csdata,"",@progbits
; Kernel info:
; codeLenInByte = 69152
; TotalNumSgprs: 21
; NumVgprs: 252
; ScratchSize: 368
; MemoryBound: 0
; FloatMode: 240
; IeeeMode: 1
; LDSByteSize: 708 bytes/workgroup (compile time only)
; SGPRBlocks: 0
; VGPRBlocks: 31
; NumSGPRsForWavesPerEU: 21
; NumVGPRsForWavesPerEU: 252
; Occupancy: 5
; WaveLimiterHint : 1
; COMPUTE_PGM_RSRC2:SCRATCH_EN: 1
; COMPUTE_PGM_RSRC2:USER_SGPR: 2
; COMPUTE_PGM_RSRC2:TRAP_HANDLER: 0
; COMPUTE_PGM_RSRC2:TGID_X_EN: 1
; COMPUTE_PGM_RSRC2:TGID_Y_EN: 0
; COMPUTE_PGM_RSRC2:TGID_Z_EN: 0
; COMPUTE_PGM_RSRC2:TIDIG_COMP_CNT: 0
	.section	.text._ZN9rocsolver6v33100L18getri_kernel_smallILi45E19rocblas_complex_numIfEPKPS3_EEvT1_iilPiilS8_bb,"axG",@progbits,_ZN9rocsolver6v33100L18getri_kernel_smallILi45E19rocblas_complex_numIfEPKPS3_EEvT1_iilPiilS8_bb,comdat
	.globl	_ZN9rocsolver6v33100L18getri_kernel_smallILi45E19rocblas_complex_numIfEPKPS3_EEvT1_iilPiilS8_bb ; -- Begin function _ZN9rocsolver6v33100L18getri_kernel_smallILi45E19rocblas_complex_numIfEPKPS3_EEvT1_iilPiilS8_bb
	.p2align	8
	.type	_ZN9rocsolver6v33100L18getri_kernel_smallILi45E19rocblas_complex_numIfEPKPS3_EEvT1_iilPiilS8_bb,@function
_ZN9rocsolver6v33100L18getri_kernel_smallILi45E19rocblas_complex_numIfEPKPS3_EEvT1_iilPiilS8_bb: ; @_ZN9rocsolver6v33100L18getri_kernel_smallILi45E19rocblas_complex_numIfEPKPS3_EEvT1_iilPiilS8_bb
; %bb.0:
	s_mov_b32 s2, exec_lo
	v_cmpx_gt_u32_e32 45, v0
	s_cbranch_execz .LBB108_194
; %bb.1:
	s_clause 0x1
	s_load_b32 s13, s[0:1], 0x38
	s_load_b64 s[2:3], s[0:1], 0x0
	s_mov_b32 s8, ttmp9
	s_load_b128 s[4:7], s[0:1], 0x28
	s_wait_kmcnt 0x0
	s_bitcmp1_b32 s13, 8
	s_cselect_b32 s12, -1, 0
	s_ashr_i32 s9, ttmp9, 31
	s_delay_alu instid0(SALU_CYCLE_1) | instskip(NEXT) | instid1(SALU_CYCLE_1)
	s_lshl_b64 s[10:11], s[8:9], 3
	s_add_nc_u64 s[2:3], s[2:3], s[10:11]
	s_load_b64 s[10:11], s[2:3], 0x0
	s_bfe_u32 s2, s13, 0x10008
	s_delay_alu instid0(SALU_CYCLE_1)
	s_cmp_eq_u32 s2, 0
                                        ; implicit-def: $sgpr2_sgpr3
	s_cbranch_scc1 .LBB108_3
; %bb.2:
	s_load_b96 s[16:18], s[0:1], 0x18
	s_mul_u64 s[2:3], s[4:5], s[8:9]
	s_delay_alu instid0(SALU_CYCLE_1)
	s_lshl_b64 s[2:3], s[2:3], 2
	s_wait_kmcnt 0x0
	s_ashr_i32 s5, s18, 31
	s_mov_b32 s4, s18
	s_add_nc_u64 s[2:3], s[16:17], s[2:3]
	s_lshl_b64 s[4:5], s[4:5], 2
	s_delay_alu instid0(SALU_CYCLE_1)
	s_add_nc_u64 s[2:3], s[2:3], s[4:5]
.LBB108_3:
	s_clause 0x1
	s_load_b64 s[4:5], s[0:1], 0x8
	s_load_b32 s13, s[0:1], 0x38
	v_lshlrev_b32_e32 v7, 3, v0
	s_wait_kmcnt 0x0
	s_ashr_i32 s1, s4, 31
	s_mov_b32 s0, s4
	v_add3_u32 v3, s5, s5, v0
	s_lshl_b64 s[0:1], s[0:1], 3
	s_delay_alu instid0(SALU_CYCLE_1)
	s_add_nc_u64 s[0:1], s[10:11], s[0:1]
	s_ashr_i32 s11, s5, 31
	v_add_co_u32 v24, s4, s0, v7
	s_wait_alu 0xf1ff
	v_add_co_ci_u32_e64 v25, null, s1, 0, s4
	s_mov_b32 s10, s5
	v_ashrrev_i32_e32 v4, 31, v3
	s_lshl_b64 s[10:11], s[10:11], 3
	flat_load_b64 v[1:2], v[24:25]
	v_add_co_u32 v26, vcc_lo, v24, s10
	s_delay_alu instid0(VALU_DEP_1) | instskip(SKIP_3) | instid1(VALU_DEP_2)
	v_add_co_ci_u32_e64 v27, null, s11, v25, vcc_lo
	v_lshlrev_b64_e32 v[4:5], 3, v[3:4]
	v_add_nc_u32_e32 v3, s5, v3
	s_bitcmp0_b32 s13, 0
	v_add_co_u32 v28, vcc_lo, s0, v4
	s_wait_alu 0xfffd
	s_delay_alu instid0(VALU_DEP_3) | instskip(SKIP_1) | instid1(VALU_DEP_1)
	v_add_co_ci_u32_e64 v29, null, s1, v5, vcc_lo
	v_ashrrev_i32_e32 v4, 31, v3
	v_lshlrev_b64_e32 v[4:5], 3, v[3:4]
	v_add_nc_u32_e32 v3, s5, v3
	s_delay_alu instid0(VALU_DEP_2) | instskip(SKIP_1) | instid1(VALU_DEP_3)
	v_add_co_u32 v30, vcc_lo, s0, v4
	s_wait_alu 0xfffd
	v_add_co_ci_u32_e64 v31, null, s1, v5, vcc_lo
	s_delay_alu instid0(VALU_DEP_3) | instskip(NEXT) | instid1(VALU_DEP_1)
	v_ashrrev_i32_e32 v4, 31, v3
	v_lshlrev_b64_e32 v[4:5], 3, v[3:4]
	v_add_nc_u32_e32 v3, s5, v3
	s_delay_alu instid0(VALU_DEP_2) | instskip(SKIP_1) | instid1(VALU_DEP_3)
	v_add_co_u32 v32, vcc_lo, s0, v4
	s_wait_alu 0xfffd
	v_add_co_ci_u32_e64 v33, null, s1, v5, vcc_lo
	s_delay_alu instid0(VALU_DEP_3) | instskip(NEXT) | instid1(VALU_DEP_1)
	;; [unrolled: 8-line block ×20, first 2 shown]
	v_ashrrev_i32_e32 v4, 31, v3
	v_lshlrev_b64_e32 v[4:5], 3, v[3:4]
	s_wait_loadcnt_dscnt 0x0
	scratch_store_b64 off, v[1:2], off
	flat_load_b64 v[1:2], v[26:27]
	v_add_nc_u32_e32 v3, s5, v3
	v_add_co_u32 v70, vcc_lo, s0, v4
	s_wait_alu 0xfffd
	v_add_co_ci_u32_e64 v71, null, s1, v5, vcc_lo
	s_delay_alu instid0(VALU_DEP_3) | instskip(NEXT) | instid1(VALU_DEP_1)
	v_ashrrev_i32_e32 v4, 31, v3
	v_lshlrev_b64_e32 v[4:5], 3, v[3:4]
	v_add_nc_u32_e32 v3, s5, v3
	s_delay_alu instid0(VALU_DEP_2) | instskip(SKIP_1) | instid1(VALU_DEP_3)
	v_add_co_u32 v72, vcc_lo, s0, v4
	s_wait_alu 0xfffd
	v_add_co_ci_u32_e64 v73, null, s1, v5, vcc_lo
	s_delay_alu instid0(VALU_DEP_3) | instskip(NEXT) | instid1(VALU_DEP_1)
	v_ashrrev_i32_e32 v4, 31, v3
	v_lshlrev_b64_e32 v[4:5], 3, v[3:4]
	v_add_nc_u32_e32 v3, s5, v3
	s_delay_alu instid0(VALU_DEP_2) | instskip(SKIP_1) | instid1(VALU_DEP_3)
	;; [unrolled: 8-line block ×20, first 2 shown]
	v_add_co_u32 v110, vcc_lo, s0, v4
	s_wait_alu 0xfffd
	v_add_co_ci_u32_e64 v111, null, s1, v5, vcc_lo
	s_delay_alu instid0(VALU_DEP_3) | instskip(NEXT) | instid1(VALU_DEP_1)
	v_ashrrev_i32_e32 v4, 31, v3
	v_lshlrev_b64_e32 v[3:4], 3, v[3:4]
	s_delay_alu instid0(VALU_DEP_1)
	v_add_co_u32 v112, vcc_lo, s0, v3
	s_wait_loadcnt_dscnt 0x0
	scratch_store_b64 off, v[1:2], off offset:8
	flat_load_b64 v[1:2], v[28:29]
	s_wait_alu 0xfffd
	v_add_co_ci_u32_e64 v113, null, s1, v4, vcc_lo
	s_mov_b32 s1, -1
	s_wait_loadcnt_dscnt 0x0
	scratch_store_b64 off, v[1:2], off offset:16
	flat_load_b64 v[1:2], v[30:31]
	s_wait_loadcnt_dscnt 0x0
	scratch_store_b64 off, v[1:2], off offset:24
	flat_load_b64 v[1:2], v[32:33]
	;; [unrolled: 3-line block ×42, first 2 shown]
	s_wait_loadcnt_dscnt 0x0
	scratch_store_b64 off, v[1:2], off offset:352
	s_cbranch_scc1 .LBB108_192
; %bb.4:
	v_cmp_eq_u32_e64 s0, 0, v0
	s_and_saveexec_b32 s1, s0
; %bb.5:
	v_mov_b32_e32 v1, 0
	ds_store_b32 v1, v1 offset:360
; %bb.6:
	s_wait_alu 0xfffe
	s_or_b32 exec_lo, exec_lo, s1
	s_wait_storecnt_dscnt 0x0
	s_barrier_signal -1
	s_barrier_wait -1
	global_inv scope:SCOPE_SE
	scratch_load_b64 v[1:2], v7, off
	s_wait_loadcnt 0x0
	v_cmp_eq_f32_e32 vcc_lo, 0, v1
	v_cmp_eq_f32_e64 s1, 0, v2
	s_and_b32 s1, vcc_lo, s1
	s_wait_alu 0xfffe
	s_and_saveexec_b32 s4, s1
	s_cbranch_execz .LBB108_10
; %bb.7:
	v_mov_b32_e32 v1, 0
	s_mov_b32 s5, 0
	ds_load_b32 v2, v1 offset:360
	s_wait_dscnt 0x0
	v_readfirstlane_b32 s1, v2
	v_add_nc_u32_e32 v2, 1, v0
	s_cmp_eq_u32 s1, 0
	s_delay_alu instid0(VALU_DEP_1)
	v_cmp_gt_i32_e32 vcc_lo, s1, v2
	s_cselect_b32 s10, -1, 0
	s_wait_alu 0xfffe
	s_or_b32 s10, s10, vcc_lo
	s_wait_alu 0xfffe
	s_and_b32 exec_lo, exec_lo, s10
	s_cbranch_execz .LBB108_10
; %bb.8:
	v_mov_b32_e32 v3, s1
.LBB108_9:                              ; =>This Inner Loop Header: Depth=1
	ds_cmpstore_rtn_b32 v3, v1, v2, v3 offset:360
	s_wait_dscnt 0x0
	v_cmp_ne_u32_e32 vcc_lo, 0, v3
	v_cmp_le_i32_e64 s1, v3, v2
	s_and_b32 s1, vcc_lo, s1
	s_wait_alu 0xfffe
	s_and_b32 s1, exec_lo, s1
	s_wait_alu 0xfffe
	s_or_b32 s5, s1, s5
	s_wait_alu 0xfffe
	s_and_not1_b32 exec_lo, exec_lo, s5
	s_cbranch_execnz .LBB108_9
.LBB108_10:
	s_wait_alu 0xfffe
	s_or_b32 exec_lo, exec_lo, s4
	v_mov_b32_e32 v1, 0
	s_barrier_signal -1
	s_barrier_wait -1
	global_inv scope:SCOPE_SE
	ds_load_b32 v2, v1 offset:360
	s_and_saveexec_b32 s1, s0
	s_cbranch_execz .LBB108_12
; %bb.11:
	s_lshl_b64 s[4:5], s[8:9], 2
	s_wait_alu 0xfffe
	s_add_nc_u64 s[4:5], s[6:7], s[4:5]
	s_wait_dscnt 0x0
	global_store_b32 v1, v2, s[4:5]
.LBB108_12:
	s_wait_alu 0xfffe
	s_or_b32 exec_lo, exec_lo, s1
	s_wait_dscnt 0x0
	v_cmp_ne_u32_e32 vcc_lo, 0, v2
	s_mov_b32 s1, 0
	s_cbranch_vccnz .LBB108_192
; %bb.13:
	v_mov_b32_e32 v8, v7
                                        ; implicit-def: $vgpr3
                                        ; implicit-def: $vgpr5
	scratch_load_b64 v[1:2], v8, off
	s_wait_loadcnt 0x0
	v_cmp_ngt_f32_e64 s1, |v1|, |v2|
	s_wait_alu 0xfffe
	s_and_saveexec_b32 s4, s1
	s_wait_alu 0xfffe
	s_xor_b32 s1, exec_lo, s4
	s_cbranch_execz .LBB108_15
; %bb.14:
	v_div_scale_f32 v3, null, v2, v2, v1
	v_div_scale_f32 v6, vcc_lo, v1, v2, v1
	s_delay_alu instid0(VALU_DEP_2) | instskip(NEXT) | instid1(TRANS32_DEP_1)
	v_rcp_f32_e32 v4, v3
	v_fma_f32 v5, -v3, v4, 1.0
	s_delay_alu instid0(VALU_DEP_1) | instskip(NEXT) | instid1(VALU_DEP_1)
	v_fmac_f32_e32 v4, v5, v4
	v_mul_f32_e32 v5, v6, v4
	s_delay_alu instid0(VALU_DEP_1) | instskip(NEXT) | instid1(VALU_DEP_1)
	v_fma_f32 v9, -v3, v5, v6
	v_fmac_f32_e32 v5, v9, v4
	s_delay_alu instid0(VALU_DEP_1) | instskip(SKIP_1) | instid1(VALU_DEP_1)
	v_fma_f32 v3, -v3, v5, v6
	s_wait_alu 0xfffd
	v_div_fmas_f32 v3, v3, v4, v5
	s_delay_alu instid0(VALU_DEP_1) | instskip(NEXT) | instid1(VALU_DEP_1)
	v_div_fixup_f32 v3, v3, v2, v1
	v_fmac_f32_e32 v2, v1, v3
	s_delay_alu instid0(VALU_DEP_1) | instskip(NEXT) | instid1(VALU_DEP_1)
	v_div_scale_f32 v1, null, v2, v2, 1.0
	v_rcp_f32_e32 v4, v1
	s_delay_alu instid0(TRANS32_DEP_1) | instskip(NEXT) | instid1(VALU_DEP_1)
	v_fma_f32 v5, -v1, v4, 1.0
	v_fmac_f32_e32 v4, v5, v4
	v_div_scale_f32 v5, vcc_lo, 1.0, v2, 1.0
	s_delay_alu instid0(VALU_DEP_1) | instskip(NEXT) | instid1(VALU_DEP_1)
	v_mul_f32_e32 v6, v5, v4
	v_fma_f32 v9, -v1, v6, v5
	s_delay_alu instid0(VALU_DEP_1) | instskip(NEXT) | instid1(VALU_DEP_1)
	v_fmac_f32_e32 v6, v9, v4
	v_fma_f32 v1, -v1, v6, v5
	s_wait_alu 0xfffd
	s_delay_alu instid0(VALU_DEP_1) | instskip(NEXT) | instid1(VALU_DEP_1)
	v_div_fmas_f32 v1, v1, v4, v6
	v_div_fixup_f32 v1, v1, v2, 1.0
	s_delay_alu instid0(VALU_DEP_1) | instskip(SKIP_1) | instid1(VALU_DEP_2)
	v_mul_f32_e32 v3, v3, v1
	v_xor_b32_e32 v4, 0x80000000, v1
                                        ; implicit-def: $vgpr1_vgpr2
	v_xor_b32_e32 v5, 0x80000000, v3
.LBB108_15:
	s_wait_alu 0xfffe
	s_and_not1_saveexec_b32 s1, s1
	s_cbranch_execz .LBB108_17
; %bb.16:
	v_div_scale_f32 v3, null, v1, v1, v2
	v_div_scale_f32 v6, vcc_lo, v2, v1, v2
	s_delay_alu instid0(VALU_DEP_2) | instskip(NEXT) | instid1(TRANS32_DEP_1)
	v_rcp_f32_e32 v4, v3
	v_fma_f32 v5, -v3, v4, 1.0
	s_delay_alu instid0(VALU_DEP_1) | instskip(NEXT) | instid1(VALU_DEP_1)
	v_fmac_f32_e32 v4, v5, v4
	v_mul_f32_e32 v5, v6, v4
	s_delay_alu instid0(VALU_DEP_1) | instskip(NEXT) | instid1(VALU_DEP_1)
	v_fma_f32 v9, -v3, v5, v6
	v_fmac_f32_e32 v5, v9, v4
	s_delay_alu instid0(VALU_DEP_1) | instskip(SKIP_1) | instid1(VALU_DEP_1)
	v_fma_f32 v3, -v3, v5, v6
	s_wait_alu 0xfffd
	v_div_fmas_f32 v3, v3, v4, v5
	s_delay_alu instid0(VALU_DEP_1) | instskip(NEXT) | instid1(VALU_DEP_1)
	v_div_fixup_f32 v4, v3, v1, v2
	v_fmac_f32_e32 v1, v2, v4
	s_delay_alu instid0(VALU_DEP_1) | instskip(SKIP_1) | instid1(VALU_DEP_2)
	v_div_scale_f32 v2, null, v1, v1, 1.0
	v_div_scale_f32 v6, vcc_lo, 1.0, v1, 1.0
	v_rcp_f32_e32 v3, v2
	s_delay_alu instid0(TRANS32_DEP_1) | instskip(NEXT) | instid1(VALU_DEP_1)
	v_fma_f32 v5, -v2, v3, 1.0
	v_fmac_f32_e32 v3, v5, v3
	s_delay_alu instid0(VALU_DEP_1) | instskip(NEXT) | instid1(VALU_DEP_1)
	v_mul_f32_e32 v5, v6, v3
	v_fma_f32 v9, -v2, v5, v6
	s_delay_alu instid0(VALU_DEP_1) | instskip(NEXT) | instid1(VALU_DEP_1)
	v_fmac_f32_e32 v5, v9, v3
	v_fma_f32 v2, -v2, v5, v6
	s_wait_alu 0xfffd
	s_delay_alu instid0(VALU_DEP_1) | instskip(NEXT) | instid1(VALU_DEP_1)
	v_div_fmas_f32 v2, v2, v3, v5
	v_div_fixup_f32 v3, v2, v1, 1.0
	s_delay_alu instid0(VALU_DEP_1)
	v_xor_b32_e32 v5, 0x80000000, v3
	v_mul_f32_e64 v4, v4, -v3
.LBB108_17:
	s_wait_alu 0xfffe
	s_or_b32 exec_lo, exec_lo, s1
	scratch_store_b64 v8, v[3:4], off
	scratch_load_b64 v[2:3], off, off offset:8
	v_xor_b32_e32 v6, 0x80000000, v4
	v_add_nc_u32_e32 v1, 0x170, v7
	s_wait_loadcnt 0x0
	ds_store_2addr_b64 v7, v[5:6], v[2:3] offset1:46
	s_wait_storecnt_dscnt 0x0
	s_barrier_signal -1
	s_barrier_wait -1
	global_inv scope:SCOPE_SE
	s_and_saveexec_b32 s1, s0
	s_cbranch_execz .LBB108_19
; %bb.18:
	scratch_load_b64 v[2:3], v8, off
	ds_load_b64 v[4:5], v1
	v_mov_b32_e32 v6, 0
	ds_load_b64 v[9:10], v6 offset:8
	s_wait_loadcnt_dscnt 0x1
	v_mul_f32_e32 v6, v4, v3
	v_mul_f32_e32 v3, v5, v3
	s_delay_alu instid0(VALU_DEP_2) | instskip(NEXT) | instid1(VALU_DEP_2)
	v_fmac_f32_e32 v6, v5, v2
	v_fma_f32 v2, v4, v2, -v3
	s_delay_alu instid0(VALU_DEP_2) | instskip(NEXT) | instid1(VALU_DEP_2)
	v_add_f32_e32 v4, 0, v6
	v_add_f32_e32 v2, 0, v2
	s_wait_dscnt 0x0
	s_delay_alu instid0(VALU_DEP_2) | instskip(NEXT) | instid1(VALU_DEP_2)
	v_mul_f32_e32 v5, v4, v10
	v_mul_f32_e32 v3, v2, v10
	s_delay_alu instid0(VALU_DEP_2) | instskip(NEXT) | instid1(VALU_DEP_2)
	v_fma_f32 v2, v2, v9, -v5
	v_fmac_f32_e32 v3, v4, v9
	scratch_store_b64 off, v[2:3], off offset:8
.LBB108_19:
	s_wait_alu 0xfffe
	s_or_b32 exec_lo, exec_lo, s1
	s_wait_loadcnt 0x0
	s_wait_storecnt 0x0
	s_barrier_signal -1
	s_barrier_wait -1
	global_inv scope:SCOPE_SE
	scratch_load_b64 v[2:3], off, off offset:16
	s_mov_b32 s1, exec_lo
	s_wait_loadcnt 0x0
	ds_store_b64 v1, v[2:3]
	s_wait_dscnt 0x0
	s_barrier_signal -1
	s_barrier_wait -1
	global_inv scope:SCOPE_SE
	v_cmpx_gt_u32_e32 2, v0
	s_cbranch_execz .LBB108_23
; %bb.20:
	scratch_load_b64 v[2:3], v8, off
	ds_load_b64 v[4:5], v1
	s_wait_loadcnt_dscnt 0x0
	v_mul_f32_e32 v6, v5, v3
	v_mul_f32_e32 v9, v4, v3
	s_delay_alu instid0(VALU_DEP_2) | instskip(NEXT) | instid1(VALU_DEP_2)
	v_fma_f32 v3, v4, v2, -v6
	v_fmac_f32_e32 v9, v5, v2
	s_delay_alu instid0(VALU_DEP_1)
	v_dual_add_f32 v3, 0, v3 :: v_dual_add_f32 v2, 0, v9
	s_and_saveexec_b32 s4, s0
	s_cbranch_execz .LBB108_22
; %bb.21:
	scratch_load_b64 v[4:5], off, off offset:8
	v_mov_b32_e32 v6, 0
	ds_load_b64 v[9:10], v6 offset:376
	s_wait_loadcnt_dscnt 0x0
	v_mul_f32_e32 v6, v9, v5
	v_mul_f32_e32 v5, v10, v5
	s_delay_alu instid0(VALU_DEP_2) | instskip(NEXT) | instid1(VALU_DEP_2)
	v_fmac_f32_e32 v6, v10, v4
	v_fma_f32 v4, v9, v4, -v5
	s_delay_alu instid0(VALU_DEP_1)
	v_dual_add_f32 v2, v2, v6 :: v_dual_add_f32 v3, v3, v4
.LBB108_22:
	s_wait_alu 0xfffe
	s_or_b32 exec_lo, exec_lo, s4
	v_mov_b32_e32 v4, 0
	ds_load_b64 v[4:5], v4 offset:16
	s_wait_dscnt 0x0
	v_mul_f32_e32 v9, v2, v5
	v_mul_f32_e32 v6, v3, v5
	s_delay_alu instid0(VALU_DEP_2) | instskip(NEXT) | instid1(VALU_DEP_2)
	v_fma_f32 v5, v3, v4, -v9
	v_fmac_f32_e32 v6, v2, v4
	scratch_store_b64 off, v[5:6], off offset:16
.LBB108_23:
	s_wait_alu 0xfffe
	s_or_b32 exec_lo, exec_lo, s1
	s_wait_loadcnt 0x0
	s_wait_storecnt 0x0
	s_barrier_signal -1
	s_barrier_wait -1
	global_inv scope:SCOPE_SE
	scratch_load_b64 v[3:4], off, off offset:24
	v_add_nc_u32_e32 v2, -1, v0
	s_mov_b32 s0, exec_lo
	s_wait_loadcnt 0x0
	ds_store_b64 v1, v[3:4]
	s_wait_dscnt 0x0
	s_barrier_signal -1
	s_barrier_wait -1
	global_inv scope:SCOPE_SE
	v_cmpx_gt_u32_e32 3, v0
	s_cbranch_execz .LBB108_27
; %bb.24:
	v_dual_mov_b32 v3, 0 :: v_dual_add_nc_u32 v4, -1, v0
	v_dual_mov_b32 v6, v7 :: v_dual_add_nc_u32 v5, 0x170, v7
	v_mov_b32_e32 v9, 0
	s_mov_b32 s1, 0
.LBB108_25:                             ; =>This Inner Loop Header: Depth=1
	scratch_load_b64 v[10:11], v6, off
	ds_load_b64 v[12:13], v5
	v_add_nc_u32_e32 v4, 1, v4
	v_add_nc_u32_e32 v5, 8, v5
	s_delay_alu instid0(VALU_DEP_2)
	v_cmp_lt_u32_e32 vcc_lo, 1, v4
	s_wait_alu 0xfffe
	s_or_b32 s1, vcc_lo, s1
	s_wait_loadcnt_dscnt 0x0
	v_mul_f32_e32 v14, v13, v11
	v_mul_f32_e32 v11, v12, v11
	s_delay_alu instid0(VALU_DEP_2) | instskip(NEXT) | instid1(VALU_DEP_2)
	v_fma_f32 v12, v12, v10, -v14
	v_fmac_f32_e32 v11, v13, v10
	s_delay_alu instid0(VALU_DEP_2) | instskip(NEXT) | instid1(VALU_DEP_2)
	v_dual_add_f32 v9, v9, v12 :: v_dual_add_nc_u32 v6, 8, v6
	v_add_f32_e32 v3, v3, v11
	s_wait_alu 0xfffe
	s_and_not1_b32 exec_lo, exec_lo, s1
	s_cbranch_execnz .LBB108_25
; %bb.26:
	s_or_b32 exec_lo, exec_lo, s1
	v_mov_b32_e32 v4, 0
	ds_load_b64 v[4:5], v4 offset:24
	s_wait_dscnt 0x0
	v_mul_f32_e32 v10, v3, v5
	v_mul_f32_e32 v6, v9, v5
	s_delay_alu instid0(VALU_DEP_2) | instskip(NEXT) | instid1(VALU_DEP_2)
	v_fma_f32 v5, v9, v4, -v10
	v_fmac_f32_e32 v6, v3, v4
	scratch_store_b64 off, v[5:6], off offset:24
.LBB108_27:
	s_wait_alu 0xfffe
	s_or_b32 exec_lo, exec_lo, s0
	s_wait_loadcnt 0x0
	s_wait_storecnt 0x0
	s_barrier_signal -1
	s_barrier_wait -1
	global_inv scope:SCOPE_SE
	scratch_load_b64 v[3:4], off, off offset:32
	s_mov_b32 s0, exec_lo
	s_wait_loadcnt 0x0
	ds_store_b64 v1, v[3:4]
	s_wait_dscnt 0x0
	s_barrier_signal -1
	s_barrier_wait -1
	global_inv scope:SCOPE_SE
	v_cmpx_gt_u32_e32 4, v0
	s_cbranch_execz .LBB108_31
; %bb.28:
	v_dual_mov_b32 v3, 0 :: v_dual_add_nc_u32 v4, -1, v0
	v_dual_mov_b32 v6, v7 :: v_dual_add_nc_u32 v5, 0x170, v7
	v_mov_b32_e32 v9, 0
	s_mov_b32 s1, 0
.LBB108_29:                             ; =>This Inner Loop Header: Depth=1
	scratch_load_b64 v[10:11], v6, off
	ds_load_b64 v[12:13], v5
	v_add_nc_u32_e32 v4, 1, v4
	v_add_nc_u32_e32 v5, 8, v5
	s_delay_alu instid0(VALU_DEP_2)
	v_cmp_lt_u32_e32 vcc_lo, 2, v4
	s_wait_alu 0xfffe
	s_or_b32 s1, vcc_lo, s1
	s_wait_loadcnt_dscnt 0x0
	v_mul_f32_e32 v14, v13, v11
	v_mul_f32_e32 v11, v12, v11
	s_delay_alu instid0(VALU_DEP_2) | instskip(NEXT) | instid1(VALU_DEP_2)
	v_fma_f32 v12, v12, v10, -v14
	v_fmac_f32_e32 v11, v13, v10
	s_delay_alu instid0(VALU_DEP_2) | instskip(NEXT) | instid1(VALU_DEP_2)
	v_dual_add_f32 v9, v9, v12 :: v_dual_add_nc_u32 v6, 8, v6
	v_add_f32_e32 v3, v3, v11
	s_wait_alu 0xfffe
	s_and_not1_b32 exec_lo, exec_lo, s1
	s_cbranch_execnz .LBB108_29
; %bb.30:
	s_or_b32 exec_lo, exec_lo, s1
	v_mov_b32_e32 v4, 0
	ds_load_b64 v[4:5], v4 offset:32
	s_wait_dscnt 0x0
	v_mul_f32_e32 v10, v3, v5
	v_mul_f32_e32 v6, v9, v5
	s_delay_alu instid0(VALU_DEP_2) | instskip(NEXT) | instid1(VALU_DEP_2)
	v_fma_f32 v5, v9, v4, -v10
	v_fmac_f32_e32 v6, v3, v4
	scratch_store_b64 off, v[5:6], off offset:32
.LBB108_31:
	s_wait_alu 0xfffe
	s_or_b32 exec_lo, exec_lo, s0
	s_wait_loadcnt 0x0
	s_wait_storecnt 0x0
	s_barrier_signal -1
	s_barrier_wait -1
	global_inv scope:SCOPE_SE
	scratch_load_b64 v[3:4], off, off offset:40
	;; [unrolled: 55-line block ×19, first 2 shown]
	s_mov_b32 s0, exec_lo
	s_wait_loadcnt 0x0
	ds_store_b64 v1, v[3:4]
	s_wait_dscnt 0x0
	s_barrier_signal -1
	s_barrier_wait -1
	global_inv scope:SCOPE_SE
	v_cmpx_gt_u32_e32 22, v0
	s_cbranch_execz .LBB108_103
; %bb.100:
	v_dual_mov_b32 v3, 0 :: v_dual_add_nc_u32 v4, -1, v0
	v_dual_mov_b32 v6, v7 :: v_dual_add_nc_u32 v5, 0x170, v7
	v_mov_b32_e32 v9, 0
	s_mov_b32 s1, 0
.LBB108_101:                            ; =>This Inner Loop Header: Depth=1
	scratch_load_b64 v[10:11], v6, off
	ds_load_b64 v[12:13], v5
	v_add_nc_u32_e32 v4, 1, v4
	v_add_nc_u32_e32 v5, 8, v5
	s_delay_alu instid0(VALU_DEP_2)
	v_cmp_lt_u32_e32 vcc_lo, 20, v4
	s_wait_alu 0xfffe
	s_or_b32 s1, vcc_lo, s1
	s_wait_loadcnt_dscnt 0x0
	v_mul_f32_e32 v14, v13, v11
	v_mul_f32_e32 v11, v12, v11
	s_delay_alu instid0(VALU_DEP_2) | instskip(NEXT) | instid1(VALU_DEP_2)
	v_fma_f32 v12, v12, v10, -v14
	v_fmac_f32_e32 v11, v13, v10
	s_delay_alu instid0(VALU_DEP_2) | instskip(NEXT) | instid1(VALU_DEP_2)
	v_dual_add_f32 v9, v9, v12 :: v_dual_add_nc_u32 v6, 8, v6
	v_add_f32_e32 v3, v3, v11
	s_wait_alu 0xfffe
	s_and_not1_b32 exec_lo, exec_lo, s1
	s_cbranch_execnz .LBB108_101
; %bb.102:
	s_or_b32 exec_lo, exec_lo, s1
	v_mov_b32_e32 v4, 0
	ds_load_b64 v[4:5], v4 offset:176
	s_wait_dscnt 0x0
	v_mul_f32_e32 v10, v3, v5
	v_mul_f32_e32 v6, v9, v5
	s_delay_alu instid0(VALU_DEP_2) | instskip(NEXT) | instid1(VALU_DEP_2)
	v_fma_f32 v5, v9, v4, -v10
	v_fmac_f32_e32 v6, v3, v4
	scratch_store_b64 off, v[5:6], off offset:176
.LBB108_103:
	s_wait_alu 0xfffe
	s_or_b32 exec_lo, exec_lo, s0
	s_wait_loadcnt 0x0
	s_wait_storecnt 0x0
	s_barrier_signal -1
	s_barrier_wait -1
	global_inv scope:SCOPE_SE
	scratch_load_b64 v[3:4], off, off offset:184
	s_mov_b32 s0, exec_lo
	s_wait_loadcnt 0x0
	ds_store_b64 v1, v[3:4]
	s_wait_dscnt 0x0
	s_barrier_signal -1
	s_barrier_wait -1
	global_inv scope:SCOPE_SE
	v_cmpx_gt_u32_e32 23, v0
	s_cbranch_execz .LBB108_107
; %bb.104:
	v_dual_mov_b32 v3, 0 :: v_dual_add_nc_u32 v4, -1, v0
	v_dual_mov_b32 v6, v7 :: v_dual_add_nc_u32 v5, 0x170, v7
	v_mov_b32_e32 v9, 0
	s_mov_b32 s1, 0
.LBB108_105:                            ; =>This Inner Loop Header: Depth=1
	scratch_load_b64 v[10:11], v6, off
	ds_load_b64 v[12:13], v5
	v_add_nc_u32_e32 v4, 1, v4
	v_add_nc_u32_e32 v5, 8, v5
	s_delay_alu instid0(VALU_DEP_2)
	v_cmp_lt_u32_e32 vcc_lo, 21, v4
	s_wait_alu 0xfffe
	s_or_b32 s1, vcc_lo, s1
	s_wait_loadcnt_dscnt 0x0
	v_mul_f32_e32 v14, v13, v11
	v_mul_f32_e32 v11, v12, v11
	s_delay_alu instid0(VALU_DEP_2) | instskip(NEXT) | instid1(VALU_DEP_2)
	v_fma_f32 v12, v12, v10, -v14
	v_fmac_f32_e32 v11, v13, v10
	s_delay_alu instid0(VALU_DEP_2) | instskip(NEXT) | instid1(VALU_DEP_2)
	v_dual_add_f32 v9, v9, v12 :: v_dual_add_nc_u32 v6, 8, v6
	v_add_f32_e32 v3, v3, v11
	s_wait_alu 0xfffe
	s_and_not1_b32 exec_lo, exec_lo, s1
	s_cbranch_execnz .LBB108_105
; %bb.106:
	s_or_b32 exec_lo, exec_lo, s1
	v_mov_b32_e32 v4, 0
	ds_load_b64 v[4:5], v4 offset:184
	s_wait_dscnt 0x0
	v_mul_f32_e32 v10, v3, v5
	v_mul_f32_e32 v6, v9, v5
	s_delay_alu instid0(VALU_DEP_2) | instskip(NEXT) | instid1(VALU_DEP_2)
	v_fma_f32 v5, v9, v4, -v10
	v_fmac_f32_e32 v6, v3, v4
	scratch_store_b64 off, v[5:6], off offset:184
.LBB108_107:
	s_wait_alu 0xfffe
	s_or_b32 exec_lo, exec_lo, s0
	s_wait_loadcnt 0x0
	s_wait_storecnt 0x0
	s_barrier_signal -1
	s_barrier_wait -1
	global_inv scope:SCOPE_SE
	scratch_load_b64 v[3:4], off, off offset:192
	;; [unrolled: 55-line block ×21, first 2 shown]
	s_mov_b32 s0, exec_lo
	s_wait_loadcnt 0x0
	ds_store_b64 v1, v[3:4]
	s_wait_dscnt 0x0
	s_barrier_signal -1
	s_barrier_wait -1
	global_inv scope:SCOPE_SE
	v_cmpx_gt_u32_e32 43, v0
	s_cbranch_execz .LBB108_187
; %bb.184:
	v_dual_mov_b32 v3, 0 :: v_dual_add_nc_u32 v4, -1, v0
	v_dual_mov_b32 v6, v7 :: v_dual_add_nc_u32 v5, 0x170, v7
	v_mov_b32_e32 v7, 0
	s_mov_b32 s1, 0
.LBB108_185:                            ; =>This Inner Loop Header: Depth=1
	scratch_load_b64 v[9:10], v6, off
	ds_load_b64 v[11:12], v5
	v_add_nc_u32_e32 v6, 8, v6
	v_add_nc_u32_e32 v4, 1, v4
	;; [unrolled: 1-line block ×3, first 2 shown]
	s_delay_alu instid0(VALU_DEP_2)
	v_cmp_lt_u32_e32 vcc_lo, 41, v4
	s_wait_alu 0xfffe
	s_or_b32 s1, vcc_lo, s1
	s_wait_loadcnt_dscnt 0x0
	v_mul_f32_e32 v13, v12, v10
	v_mul_f32_e32 v10, v11, v10
	s_delay_alu instid0(VALU_DEP_2) | instskip(NEXT) | instid1(VALU_DEP_1)
	v_fma_f32 v11, v11, v9, -v13
	v_dual_fmac_f32 v10, v12, v9 :: v_dual_add_f32 v7, v7, v11
	s_delay_alu instid0(VALU_DEP_1)
	v_add_f32_e32 v3, v3, v10
	s_wait_alu 0xfffe
	s_and_not1_b32 exec_lo, exec_lo, s1
	s_cbranch_execnz .LBB108_185
; %bb.186:
	s_or_b32 exec_lo, exec_lo, s1
	v_mov_b32_e32 v4, 0
	ds_load_b64 v[4:5], v4 offset:344
	s_wait_dscnt 0x0
	v_mul_f32_e32 v9, v3, v5
	v_mul_f32_e32 v6, v7, v5
	s_delay_alu instid0(VALU_DEP_2) | instskip(NEXT) | instid1(VALU_DEP_2)
	v_fma_f32 v5, v7, v4, -v9
	v_fmac_f32_e32 v6, v3, v4
	scratch_store_b64 off, v[5:6], off offset:344
.LBB108_187:
	s_wait_alu 0xfffe
	s_or_b32 exec_lo, exec_lo, s0
	s_wait_loadcnt 0x0
	s_wait_storecnt 0x0
	s_barrier_signal -1
	s_barrier_wait -1
	global_inv scope:SCOPE_SE
	scratch_load_b64 v[3:4], off, off offset:352
	s_mov_b32 s0, exec_lo
	s_wait_loadcnt 0x0
	ds_store_b64 v1, v[3:4]
	s_wait_dscnt 0x0
	s_barrier_signal -1
	s_barrier_wait -1
	global_inv scope:SCOPE_SE
	v_cmpx_ne_u32_e32 44, v0
	s_cbranch_execz .LBB108_191
; %bb.188:
	v_dual_mov_b32 v3, 0 :: v_dual_mov_b32 v4, 0
	s_mov_b32 s1, 0
.LBB108_189:                            ; =>This Inner Loop Header: Depth=1
	scratch_load_b64 v[5:6], v8, off
	ds_load_b64 v[9:10], v1
	v_add_nc_u32_e32 v2, 1, v2
	v_add_nc_u32_e32 v1, 8, v1
	;; [unrolled: 1-line block ×3, first 2 shown]
	s_delay_alu instid0(VALU_DEP_3)
	v_cmp_lt_u32_e32 vcc_lo, 42, v2
	s_wait_alu 0xfffe
	s_or_b32 s1, vcc_lo, s1
	s_wait_loadcnt_dscnt 0x0
	v_mul_f32_e32 v7, v10, v6
	v_mul_f32_e32 v6, v9, v6
	s_delay_alu instid0(VALU_DEP_2) | instskip(NEXT) | instid1(VALU_DEP_2)
	v_fma_f32 v7, v9, v5, -v7
	v_fmac_f32_e32 v6, v10, v5
	s_delay_alu instid0(VALU_DEP_1)
	v_dual_add_f32 v4, v4, v7 :: v_dual_add_f32 v3, v3, v6
	s_wait_alu 0xfffe
	s_and_not1_b32 exec_lo, exec_lo, s1
	s_cbranch_execnz .LBB108_189
; %bb.190:
	s_or_b32 exec_lo, exec_lo, s1
	v_mov_b32_e32 v1, 0
	ds_load_b64 v[1:2], v1 offset:352
	s_wait_dscnt 0x0
	v_mul_f32_e32 v6, v3, v2
	v_mul_f32_e32 v5, v4, v2
	s_delay_alu instid0(VALU_DEP_2) | instskip(NEXT) | instid1(VALU_DEP_2)
	v_fma_f32 v4, v4, v1, -v6
	v_fmac_f32_e32 v5, v3, v1
	scratch_store_b64 off, v[4:5], off offset:352
.LBB108_191:
	s_wait_alu 0xfffe
	s_or_b32 exec_lo, exec_lo, s0
	s_mov_b32 s1, -1
	s_wait_loadcnt 0x0
	s_wait_storecnt 0x0
	s_barrier_signal -1
	s_barrier_wait -1
	global_inv scope:SCOPE_SE
.LBB108_192:
	s_wait_alu 0xfffe
	s_and_b32 vcc_lo, exec_lo, s1
	s_wait_alu 0xfffe
	s_cbranch_vccz .LBB108_194
; %bb.193:
	v_mov_b32_e32 v1, 0
	s_lshl_b64 s[0:1], s[8:9], 2
	s_wait_alu 0xfffe
	s_add_nc_u64 s[0:1], s[6:7], s[0:1]
	global_load_b32 v1, v1, s[0:1]
	s_wait_loadcnt 0x0
	v_cmp_ne_u32_e32 vcc_lo, 0, v1
	s_cbranch_vccz .LBB108_195
.LBB108_194:
	s_nop 0
	s_sendmsg sendmsg(MSG_DEALLOC_VGPRS)
	s_endpgm
.LBB108_195:
	v_lshl_add_u32 v23, v0, 3, 0x170
	s_mov_b32 s0, exec_lo
	v_cmpx_eq_u32_e32 44, v0
	s_cbranch_execz .LBB108_197
; %bb.196:
	scratch_load_b64 v[1:2], off, off offset:344
	v_mov_b32_e32 v3, 0
	s_delay_alu instid0(VALU_DEP_1)
	v_mov_b32_e32 v4, v3
	scratch_store_b64 off, v[3:4], off offset:344
	s_wait_loadcnt 0x0
	ds_store_b64 v23, v[1:2]
.LBB108_197:
	s_wait_alu 0xfffe
	s_or_b32 exec_lo, exec_lo, s0
	s_wait_storecnt_dscnt 0x0
	s_barrier_signal -1
	s_barrier_wait -1
	global_inv scope:SCOPE_SE
	s_clause 0x1
	scratch_load_b64 v[2:3], off, off offset:352
	scratch_load_b64 v[4:5], off, off offset:344
	v_mov_b32_e32 v1, 0
	s_mov_b32 s0, exec_lo
	ds_load_b64 v[6:7], v1 offset:720
	s_wait_loadcnt_dscnt 0x100
	v_mul_f32_e32 v8, v7, v3
	v_mul_f32_e32 v3, v6, v3
	s_delay_alu instid0(VALU_DEP_2) | instskip(NEXT) | instid1(VALU_DEP_2)
	v_fma_f32 v6, v6, v2, -v8
	v_fmac_f32_e32 v3, v7, v2
	s_delay_alu instid0(VALU_DEP_1) | instskip(SKIP_1) | instid1(VALU_DEP_1)
	v_dual_add_f32 v2, 0, v6 :: v_dual_add_f32 v3, 0, v3
	s_wait_loadcnt 0x0
	v_dual_sub_f32 v2, v4, v2 :: v_dual_sub_f32 v3, v5, v3
	scratch_store_b64 off, v[2:3], off offset:344
	v_cmpx_lt_u32_e32 42, v0
	s_cbranch_execz .LBB108_199
; %bb.198:
	scratch_load_b64 v[3:4], off, off offset:336
	v_mov_b32_e32 v2, v1
	scratch_store_b64 off, v[1:2], off offset:336
	s_wait_loadcnt 0x0
	ds_store_b64 v23, v[3:4]
.LBB108_199:
	s_wait_alu 0xfffe
	s_or_b32 exec_lo, exec_lo, s0
	s_wait_storecnt_dscnt 0x0
	s_barrier_signal -1
	s_barrier_wait -1
	global_inv scope:SCOPE_SE
	s_clause 0x1
	scratch_load_b128 v[2:5], off, off offset:344
	scratch_load_b64 v[10:11], off, off offset:336
	ds_load_2addr_b64 v[6:9], v1 offset0:89 offset1:90
	s_mov_b32 s0, exec_lo
	s_wait_loadcnt_dscnt 0x100
	v_dual_mul_f32 v1, v7, v3 :: v_dual_mul_f32 v12, v8, v5
	v_mul_f32_e32 v3, v6, v3
	s_delay_alu instid0(VALU_DEP_2) | instskip(NEXT) | instid1(VALU_DEP_2)
	v_fma_f32 v1, v6, v2, -v1
	v_dual_fmac_f32 v12, v9, v4 :: v_dual_fmac_f32 v3, v7, v2
	s_delay_alu instid0(VALU_DEP_2) | instskip(NEXT) | instid1(VALU_DEP_2)
	v_add_f32_e32 v1, 0, v1
	v_add_f32_e32 v3, 0, v3
	v_mul_f32_e32 v5, v9, v5
	s_delay_alu instid0(VALU_DEP_1) | instskip(NEXT) | instid1(VALU_DEP_1)
	v_fma_f32 v2, v8, v4, -v5
	v_dual_add_f32 v1, v1, v2 :: v_dual_add_f32 v2, v3, v12
	s_wait_loadcnt 0x0
	s_delay_alu instid0(VALU_DEP_1)
	v_dual_sub_f32 v1, v10, v1 :: v_dual_sub_f32 v2, v11, v2
	scratch_store_b64 off, v[1:2], off offset:336
	v_cmpx_lt_u32_e32 41, v0
	s_cbranch_execz .LBB108_201
; %bb.200:
	scratch_load_b64 v[1:2], off, off offset:328
	v_mov_b32_e32 v3, 0
	s_delay_alu instid0(VALU_DEP_1)
	v_mov_b32_e32 v4, v3
	scratch_store_b64 off, v[3:4], off offset:328
	s_wait_loadcnt 0x0
	ds_store_b64 v23, v[1:2]
.LBB108_201:
	s_wait_alu 0xfffe
	s_or_b32 exec_lo, exec_lo, s0
	s_wait_storecnt_dscnt 0x0
	s_barrier_signal -1
	s_barrier_wait -1
	global_inv scope:SCOPE_SE
	s_clause 0x2
	scratch_load_b128 v[2:5], off, off offset:336
	scratch_load_b64 v[10:11], off, off offset:352
	scratch_load_b64 v[12:13], off, off offset:328
	v_mov_b32_e32 v1, 0
	ds_load_b128 v[6:9], v1 offset:704
	ds_load_b64 v[14:15], v1 offset:720
	s_mov_b32 s0, exec_lo
	s_wait_loadcnt_dscnt 0x201
	v_dual_mul_f32 v16, v7, v3 :: v_dual_mul_f32 v17, v8, v5
	s_wait_loadcnt_dscnt 0x100
	v_mul_f32_e32 v18, v14, v11
	v_mul_f32_e32 v3, v6, v3
	;; [unrolled: 1-line block ×3, first 2 shown]
	v_fma_f32 v6, v6, v2, -v16
	s_delay_alu instid0(VALU_DEP_4) | instskip(NEXT) | instid1(VALU_DEP_4)
	v_fmac_f32_e32 v18, v15, v10
	v_fmac_f32_e32 v3, v7, v2
	v_mul_f32_e32 v2, v15, v11
	s_delay_alu instid0(VALU_DEP_1) | instskip(SKIP_3) | instid1(VALU_DEP_1)
	v_fma_f32 v2, v14, v10, -v2
	v_fmac_f32_e32 v17, v9, v4
	v_fma_f32 v4, v8, v4, -v5
	v_add_f32_e32 v5, 0, v6
	v_add_f32_e32 v4, v5, v4
	s_delay_alu instid0(VALU_DEP_1) | instskip(SKIP_1) | instid1(VALU_DEP_1)
	v_dual_add_f32 v2, v4, v2 :: v_dual_add_f32 v3, 0, v3
	s_wait_loadcnt 0x0
	v_dual_sub_f32 v2, v12, v2 :: v_dual_add_f32 v3, v3, v17
	s_delay_alu instid0(VALU_DEP_1) | instskip(NEXT) | instid1(VALU_DEP_1)
	v_add_f32_e32 v3, v3, v18
	v_sub_f32_e32 v3, v13, v3
	scratch_store_b64 off, v[2:3], off offset:328
	v_cmpx_lt_u32_e32 40, v0
	s_cbranch_execz .LBB108_203
; %bb.202:
	scratch_load_b64 v[3:4], off, off offset:320
	v_mov_b32_e32 v2, v1
	scratch_store_b64 off, v[1:2], off offset:320
	s_wait_loadcnt 0x0
	ds_store_b64 v23, v[3:4]
.LBB108_203:
	s_wait_alu 0xfffe
	s_or_b32 exec_lo, exec_lo, s0
	s_wait_storecnt_dscnt 0x0
	s_barrier_signal -1
	s_barrier_wait -1
	global_inv scope:SCOPE_SE
	s_clause 0x2
	scratch_load_b128 v[2:5], off, off offset:328
	scratch_load_b128 v[6:9], off, off offset:344
	scratch_load_b64 v[18:19], off, off offset:320
	ds_load_2addr_b64 v[10:13], v1 offset0:87 offset1:88
	ds_load_2addr_b64 v[14:17], v1 offset0:89 offset1:90
	s_mov_b32 s0, exec_lo
	s_wait_loadcnt_dscnt 0x201
	v_dual_mul_f32 v1, v10, v3 :: v_dual_mul_f32 v20, v12, v5
	s_wait_loadcnt_dscnt 0x100
	v_dual_mul_f32 v3, v11, v3 :: v_dual_mul_f32 v22, v16, v9
	v_mul_f32_e32 v5, v13, v5
	s_delay_alu instid0(VALU_DEP_3) | instskip(NEXT) | instid1(VALU_DEP_3)
	v_dual_mul_f32 v21, v14, v7 :: v_dual_fmac_f32 v20, v13, v4
	v_fma_f32 v3, v10, v2, -v3
	s_delay_alu instid0(VALU_DEP_4) | instskip(SKIP_2) | instid1(VALU_DEP_4)
	v_dual_fmac_f32 v1, v11, v2 :: v_dual_fmac_f32 v22, v17, v8
	v_mul_f32_e32 v2, v15, v7
	v_fma_f32 v4, v12, v4, -v5
	v_add_f32_e32 v3, 0, v3
	v_fmac_f32_e32 v21, v15, v6
	s_delay_alu instid0(VALU_DEP_4) | instskip(NEXT) | instid1(VALU_DEP_3)
	v_fma_f32 v2, v14, v6, -v2
	v_add_f32_e32 v3, v3, v4
	s_delay_alu instid0(VALU_DEP_1) | instskip(NEXT) | instid1(VALU_DEP_1)
	v_dual_add_f32 v1, 0, v1 :: v_dual_add_f32 v2, v3, v2
	v_add_f32_e32 v1, v1, v20
	s_delay_alu instid0(VALU_DEP_1) | instskip(NEXT) | instid1(VALU_DEP_1)
	v_add_f32_e32 v1, v1, v21
	v_add_f32_e32 v3, v1, v22
	v_mul_f32_e32 v5, v17, v9
	s_delay_alu instid0(VALU_DEP_1) | instskip(NEXT) | instid1(VALU_DEP_1)
	v_fma_f32 v4, v16, v8, -v5
	v_add_f32_e32 v2, v2, v4
	s_wait_loadcnt 0x0
	s_delay_alu instid0(VALU_DEP_1)
	v_dual_sub_f32 v1, v18, v2 :: v_dual_sub_f32 v2, v19, v3
	scratch_store_b64 off, v[1:2], off offset:320
	v_cmpx_lt_u32_e32 39, v0
	s_cbranch_execz .LBB108_205
; %bb.204:
	scratch_load_b64 v[1:2], off, off offset:312
	v_mov_b32_e32 v3, 0
	s_delay_alu instid0(VALU_DEP_1)
	v_mov_b32_e32 v4, v3
	scratch_store_b64 off, v[3:4], off offset:312
	s_wait_loadcnt 0x0
	ds_store_b64 v23, v[1:2]
.LBB108_205:
	s_wait_alu 0xfffe
	s_or_b32 exec_lo, exec_lo, s0
	s_wait_storecnt_dscnt 0x0
	s_barrier_signal -1
	s_barrier_wait -1
	global_inv scope:SCOPE_SE
	s_clause 0x3
	scratch_load_b128 v[2:5], off, off offset:320
	scratch_load_b128 v[6:9], off, off offset:336
	scratch_load_b64 v[18:19], off, off offset:352
	scratch_load_b64 v[20:21], off, off offset:312
	v_mov_b32_e32 v1, 0
	ds_load_b128 v[10:13], v1 offset:688
	ds_load_b128 v[14:17], v1 offset:704
	ds_load_b64 v[114:115], v1 offset:720
	s_mov_b32 s0, exec_lo
	s_wait_loadcnt_dscnt 0x302
	v_mul_f32_e32 v22, v10, v3
	v_dual_mul_f32 v116, v12, v5 :: v_dual_mul_f32 v3, v11, v3
	v_mul_f32_e32 v5, v13, v5
	s_wait_loadcnt_dscnt 0x100
	s_delay_alu instid0(VALU_DEP_3)
	v_dual_mul_f32 v119, v114, v19 :: v_dual_fmac_f32 v22, v11, v2
	v_dual_mul_f32 v117, v14, v7 :: v_dual_mul_f32 v118, v16, v9
	v_fma_f32 v3, v10, v2, -v3
	v_mul_f32_e32 v2, v15, v7
	v_fmac_f32_e32 v116, v13, v4
	v_fma_f32 v4, v12, v4, -v5
	v_dual_add_f32 v5, 0, v22 :: v_dual_fmac_f32 v118, v17, v8
	v_add_f32_e32 v3, 0, v3
	v_fma_f32 v2, v14, v6, -v2
	v_fmac_f32_e32 v117, v15, v6
	v_fmac_f32_e32 v119, v115, v18
	s_delay_alu instid0(VALU_DEP_4) | instskip(SKIP_2) | instid1(VALU_DEP_3)
	v_add_f32_e32 v3, v3, v4
	v_mul_f32_e32 v7, v17, v9
	v_add_f32_e32 v4, v5, v116
	v_add_f32_e32 v2, v3, v2
	s_delay_alu instid0(VALU_DEP_3) | instskip(NEXT) | instid1(VALU_DEP_1)
	v_fma_f32 v6, v16, v8, -v7
	v_dual_add_f32 v3, v4, v117 :: v_dual_add_f32 v2, v2, v6
	v_mul_f32_e32 v5, v115, v19
	s_delay_alu instid0(VALU_DEP_2) | instskip(NEXT) | instid1(VALU_DEP_2)
	v_add_f32_e32 v3, v3, v118
	v_fma_f32 v4, v114, v18, -v5
	s_delay_alu instid0(VALU_DEP_1) | instskip(SKIP_1) | instid1(VALU_DEP_1)
	v_dual_add_f32 v2, v2, v4 :: v_dual_add_f32 v3, v3, v119
	s_wait_loadcnt 0x0
	v_dual_sub_f32 v2, v20, v2 :: v_dual_sub_f32 v3, v21, v3
	scratch_store_b64 off, v[2:3], off offset:312
	v_cmpx_lt_u32_e32 38, v0
	s_cbranch_execz .LBB108_207
; %bb.206:
	scratch_load_b64 v[3:4], off, off offset:304
	v_mov_b32_e32 v2, v1
	scratch_store_b64 off, v[1:2], off offset:304
	s_wait_loadcnt 0x0
	ds_store_b64 v23, v[3:4]
.LBB108_207:
	s_wait_alu 0xfffe
	s_or_b32 exec_lo, exec_lo, s0
	s_wait_storecnt_dscnt 0x0
	s_barrier_signal -1
	s_barrier_wait -1
	global_inv scope:SCOPE_SE
	s_clause 0x3
	scratch_load_b128 v[2:5], off, off offset:312
	scratch_load_b128 v[6:9], off, off offset:328
	;; [unrolled: 1-line block ×3, first 2 shown]
	scratch_load_b64 v[118:119], off, off offset:304
	ds_load_2addr_b64 v[14:17], v1 offset0:85 offset1:86
	ds_load_2addr_b64 v[18:21], v1 offset0:87 offset1:88
	;; [unrolled: 1-line block ×3, first 2 shown]
	s_mov_b32 s0, exec_lo
	s_wait_loadcnt_dscnt 0x302
	v_dual_mul_f32 v1, v14, v3 :: v_dual_mul_f32 v22, v16, v5
	v_mul_f32_e32 v3, v15, v3
	s_wait_loadcnt_dscnt 0x201
	v_dual_mul_f32 v5, v17, v5 :: v_dual_mul_f32 v120, v18, v7
	s_delay_alu instid0(VALU_DEP_3) | instskip(NEXT) | instid1(VALU_DEP_3)
	v_dual_mul_f32 v121, v20, v9 :: v_dual_fmac_f32 v22, v17, v4
	v_fma_f32 v3, v14, v2, -v3
	v_fmac_f32_e32 v1, v15, v2
	v_mul_f32_e32 v2, v19, v7
	v_fma_f32 v4, v16, v4, -v5
	s_delay_alu instid0(VALU_DEP_4)
	v_dual_fmac_f32 v120, v19, v6 :: v_dual_add_f32 v3, 0, v3
	s_wait_loadcnt_dscnt 0x100
	v_dual_mul_f32 v122, v114, v11 :: v_dual_mul_f32 v123, v116, v13
	v_fma_f32 v2, v18, v6, -v2
	v_fmac_f32_e32 v121, v21, v8
	v_add_f32_e32 v3, v3, v4
	s_delay_alu instid0(VALU_DEP_4) | instskip(SKIP_1) | instid1(VALU_DEP_3)
	v_dual_mul_f32 v5, v21, v9 :: v_dual_fmac_f32 v122, v115, v10
	v_dual_fmac_f32 v123, v117, v12 :: v_dual_mul_f32 v4, v115, v11
	v_add_f32_e32 v2, v3, v2
	s_delay_alu instid0(VALU_DEP_3) | instskip(SKIP_1) | instid1(VALU_DEP_4)
	v_fma_f32 v5, v20, v8, -v5
	v_mul_f32_e32 v3, v117, v13
	v_fma_f32 v4, v114, v10, -v4
	s_delay_alu instid0(VALU_DEP_3) | instskip(SKIP_1) | instid1(VALU_DEP_4)
	v_add_f32_e32 v2, v2, v5
	v_add_f32_e32 v1, 0, v1
	v_fma_f32 v3, v116, v12, -v3
	s_delay_alu instid0(VALU_DEP_2) | instskip(NEXT) | instid1(VALU_DEP_1)
	v_dual_add_f32 v2, v2, v4 :: v_dual_add_f32 v1, v1, v22
	v_dual_add_f32 v2, v2, v3 :: v_dual_add_f32 v1, v1, v120
	s_delay_alu instid0(VALU_DEP_1) | instskip(NEXT) | instid1(VALU_DEP_1)
	v_add_f32_e32 v1, v1, v121
	v_add_f32_e32 v1, v1, v122
	s_delay_alu instid0(VALU_DEP_1) | instskip(SKIP_1) | instid1(VALU_DEP_1)
	v_add_f32_e32 v3, v1, v123
	s_wait_loadcnt 0x0
	v_dual_sub_f32 v1, v118, v2 :: v_dual_sub_f32 v2, v119, v3
	scratch_store_b64 off, v[1:2], off offset:304
	v_cmpx_lt_u32_e32 37, v0
	s_cbranch_execz .LBB108_209
; %bb.208:
	scratch_load_b64 v[1:2], off, off offset:296
	v_mov_b32_e32 v3, 0
	s_delay_alu instid0(VALU_DEP_1)
	v_mov_b32_e32 v4, v3
	scratch_store_b64 off, v[3:4], off offset:296
	s_wait_loadcnt 0x0
	ds_store_b64 v23, v[1:2]
.LBB108_209:
	s_wait_alu 0xfffe
	s_or_b32 exec_lo, exec_lo, s0
	s_wait_storecnt_dscnt 0x0
	s_barrier_signal -1
	s_barrier_wait -1
	global_inv scope:SCOPE_SE
	s_clause 0x4
	scratch_load_b128 v[2:5], off, off offset:304
	scratch_load_b128 v[6:9], off, off offset:320
	;; [unrolled: 1-line block ×3, first 2 shown]
	scratch_load_b64 v[118:119], off, off offset:352
	scratch_load_b64 v[120:121], off, off offset:296
	v_mov_b32_e32 v1, 0
	ds_load_b128 v[14:17], v1 offset:672
	ds_load_b128 v[18:21], v1 offset:688
	;; [unrolled: 1-line block ×3, first 2 shown]
	ds_load_b64 v[122:123], v1 offset:720
	s_mov_b32 s0, exec_lo
	s_wait_loadcnt_dscnt 0x403
	v_mul_f32_e32 v22, v14, v3
	s_wait_loadcnt_dscnt 0x302
	v_dual_mul_f32 v126, v20, v9 :: v_dual_mul_f32 v3, v15, v3
	v_dual_mul_f32 v124, v16, v5 :: v_dual_mul_f32 v125, v18, v7
	v_mul_f32_e32 v5, v17, v5
	s_wait_loadcnt_dscnt 0x100
	v_dual_mul_f32 v129, v122, v119 :: v_dual_fmac_f32 v22, v15, v2
	v_fma_f32 v3, v14, v2, -v3
	v_mul_f32_e32 v2, v19, v7
	v_fmac_f32_e32 v124, v17, v4
	v_fma_f32 v4, v16, v4, -v5
	v_dual_add_f32 v5, 0, v22 :: v_dual_fmac_f32 v126, v21, v8
	v_add_f32_e32 v3, 0, v3
	v_fma_f32 v2, v18, v6, -v2
	v_fmac_f32_e32 v125, v19, v6
	v_dual_mul_f32 v127, v114, v11 :: v_dual_mul_f32 v128, v116, v13
	s_delay_alu instid0(VALU_DEP_4) | instskip(SKIP_1) | instid1(VALU_DEP_3)
	v_add_f32_e32 v3, v3, v4
	v_mul_f32_e32 v7, v21, v9
	v_dual_add_f32 v4, v5, v124 :: v_dual_fmac_f32 v127, v115, v10
	s_delay_alu instid0(VALU_DEP_4) | instskip(NEXT) | instid1(VALU_DEP_4)
	v_fmac_f32_e32 v128, v117, v12
	v_add_f32_e32 v2, v3, v2
	s_delay_alu instid0(VALU_DEP_4) | instskip(SKIP_3) | instid1(VALU_DEP_4)
	v_fma_f32 v6, v20, v8, -v7
	v_mul_f32_e32 v5, v115, v11
	v_add_f32_e32 v3, v4, v125
	v_mul_f32_e32 v4, v117, v13
	v_add_f32_e32 v2, v2, v6
	s_delay_alu instid0(VALU_DEP_4) | instskip(SKIP_3) | instid1(VALU_DEP_4)
	v_fma_f32 v5, v114, v10, -v5
	v_mul_f32_e32 v6, v123, v119
	v_add_f32_e32 v3, v3, v126
	v_fma_f32 v4, v116, v12, -v4
	v_add_f32_e32 v2, v2, v5
	s_delay_alu instid0(VALU_DEP_4) | instskip(NEXT) | instid1(VALU_DEP_2)
	v_fma_f32 v5, v122, v118, -v6
	v_dual_add_f32 v3, v3, v127 :: v_dual_add_f32 v2, v2, v4
	s_delay_alu instid0(VALU_DEP_1) | instskip(SKIP_1) | instid1(VALU_DEP_1)
	v_dual_fmac_f32 v129, v123, v118 :: v_dual_add_f32 v2, v2, v5
	s_wait_loadcnt 0x0
	v_dual_add_f32 v3, v3, v128 :: v_dual_sub_f32 v2, v120, v2
	s_delay_alu instid0(VALU_DEP_1) | instskip(NEXT) | instid1(VALU_DEP_1)
	v_add_f32_e32 v3, v3, v129
	v_sub_f32_e32 v3, v121, v3
	scratch_store_b64 off, v[2:3], off offset:296
	v_cmpx_lt_u32_e32 36, v0
	s_cbranch_execz .LBB108_211
; %bb.210:
	scratch_load_b64 v[3:4], off, off offset:288
	v_mov_b32_e32 v2, v1
	scratch_store_b64 off, v[1:2], off offset:288
	s_wait_loadcnt 0x0
	ds_store_b64 v23, v[3:4]
.LBB108_211:
	s_wait_alu 0xfffe
	s_or_b32 exec_lo, exec_lo, s0
	s_wait_storecnt_dscnt 0x0
	s_barrier_signal -1
	s_barrier_wait -1
	global_inv scope:SCOPE_SE
	s_clause 0x4
	scratch_load_b128 v[2:5], off, off offset:296
	scratch_load_b128 v[6:9], off, off offset:312
	scratch_load_b128 v[10:13], off, off offset:328
	scratch_load_b128 v[14:17], off, off offset:344
	scratch_load_b64 v[126:127], off, off offset:288
	ds_load_2addr_b64 v[18:21], v1 offset0:83 offset1:84
	ds_load_2addr_b64 v[114:117], v1 offset0:85 offset1:86
	;; [unrolled: 1-line block ×4, first 2 shown]
	s_mov_b32 s0, exec_lo
	s_wait_loadcnt_dscnt 0x403
	v_dual_mul_f32 v1, v18, v3 :: v_dual_mul_f32 v22, v20, v5
	v_mul_f32_e32 v3, v19, v3
	s_wait_loadcnt_dscnt 0x302
	v_dual_mul_f32 v5, v21, v5 :: v_dual_mul_f32 v128, v114, v7
	s_delay_alu instid0(VALU_DEP_3) | instskip(NEXT) | instid1(VALU_DEP_3)
	v_dual_mul_f32 v129, v116, v9 :: v_dual_fmac_f32 v22, v21, v4
	v_fma_f32 v3, v18, v2, -v3
	v_fmac_f32_e32 v1, v19, v2
	v_mul_f32_e32 v2, v115, v7
	v_fma_f32 v4, v20, v4, -v5
	s_delay_alu instid0(VALU_DEP_4)
	v_dual_fmac_f32 v128, v115, v6 :: v_dual_add_f32 v3, 0, v3
	s_wait_loadcnt_dscnt 0x201
	v_dual_mul_f32 v130, v118, v11 :: v_dual_mul_f32 v131, v120, v13
	v_fma_f32 v2, v114, v6, -v2
	s_wait_loadcnt_dscnt 0x100
	v_dual_mul_f32 v132, v122, v15 :: v_dual_mul_f32 v133, v124, v17
	v_add_f32_e32 v3, v3, v4
	v_mul_f32_e32 v5, v117, v9
	v_dual_fmac_f32 v129, v117, v8 :: v_dual_fmac_f32 v130, v119, v10
	v_mul_f32_e32 v4, v119, v11
	s_delay_alu instid0(VALU_DEP_4) | instskip(NEXT) | instid1(VALU_DEP_4)
	v_add_f32_e32 v2, v3, v2
	v_fma_f32 v5, v116, v8, -v5
	v_mul_f32_e32 v3, v121, v13
	v_fmac_f32_e32 v133, v125, v16
	v_fma_f32 v4, v118, v10, -v4
	v_fmac_f32_e32 v132, v123, v14
	v_add_f32_e32 v2, v2, v5
	v_add_f32_e32 v1, 0, v1
	v_mul_f32_e32 v5, v123, v15
	v_fma_f32 v3, v120, v12, -v3
	s_delay_alu instid0(VALU_DEP_3) | instskip(SKIP_1) | instid1(VALU_DEP_4)
	v_dual_add_f32 v2, v2, v4 :: v_dual_add_f32 v1, v1, v22
	v_mul_f32_e32 v4, v125, v17
	v_fma_f32 v5, v122, v14, -v5
	s_delay_alu instid0(VALU_DEP_3) | instskip(SKIP_1) | instid1(VALU_DEP_4)
	v_dual_add_f32 v2, v2, v3 :: v_dual_add_f32 v1, v1, v128
	v_fmac_f32_e32 v131, v121, v12
	v_fma_f32 v3, v124, v16, -v4
	s_delay_alu instid0(VALU_DEP_3) | instskip(NEXT) | instid1(VALU_DEP_1)
	v_add_f32_e32 v2, v2, v5
	v_dual_add_f32 v1, v1, v129 :: v_dual_add_f32 v2, v2, v3
	s_delay_alu instid0(VALU_DEP_1) | instskip(NEXT) | instid1(VALU_DEP_1)
	v_add_f32_e32 v1, v1, v130
	v_add_f32_e32 v1, v1, v131
	s_delay_alu instid0(VALU_DEP_1) | instskip(NEXT) | instid1(VALU_DEP_1)
	v_add_f32_e32 v1, v1, v132
	v_add_f32_e32 v3, v1, v133
	s_wait_loadcnt 0x0
	s_delay_alu instid0(VALU_DEP_1)
	v_dual_sub_f32 v1, v126, v2 :: v_dual_sub_f32 v2, v127, v3
	scratch_store_b64 off, v[1:2], off offset:288
	v_cmpx_lt_u32_e32 35, v0
	s_cbranch_execz .LBB108_213
; %bb.212:
	scratch_load_b64 v[1:2], off, off offset:280
	v_mov_b32_e32 v3, 0
	s_delay_alu instid0(VALU_DEP_1)
	v_mov_b32_e32 v4, v3
	scratch_store_b64 off, v[3:4], off offset:280
	s_wait_loadcnt 0x0
	ds_store_b64 v23, v[1:2]
.LBB108_213:
	s_wait_alu 0xfffe
	s_or_b32 exec_lo, exec_lo, s0
	s_wait_storecnt_dscnt 0x0
	s_barrier_signal -1
	s_barrier_wait -1
	global_inv scope:SCOPE_SE
	s_clause 0x5
	scratch_load_b128 v[2:5], off, off offset:288
	scratch_load_b128 v[6:9], off, off offset:304
	;; [unrolled: 1-line block ×4, first 2 shown]
	scratch_load_b64 v[126:127], off, off offset:352
	scratch_load_b64 v[128:129], off, off offset:280
	v_mov_b32_e32 v1, 0
	ds_load_b128 v[18:21], v1 offset:656
	ds_load_b128 v[114:117], v1 offset:672
	;; [unrolled: 1-line block ×4, first 2 shown]
	ds_load_b64 v[130:131], v1 offset:720
	s_mov_b32 s0, exec_lo
	s_wait_loadcnt_dscnt 0x504
	v_mul_f32_e32 v22, v18, v3
	s_wait_loadcnt_dscnt 0x302
	v_dual_mul_f32 v3, v19, v3 :: v_dual_mul_f32 v136, v120, v13
	v_dual_mul_f32 v132, v20, v5 :: v_dual_mul_f32 v133, v114, v7
	v_mul_f32_e32 v5, v21, v5
	s_delay_alu instid0(VALU_DEP_3) | instskip(SKIP_3) | instid1(VALU_DEP_3)
	v_fma_f32 v3, v18, v2, -v3
	s_wait_loadcnt_dscnt 0x100
	v_dual_mul_f32 v139, v130, v127 :: v_dual_fmac_f32 v22, v19, v2
	v_mul_f32_e32 v2, v115, v7
	v_dual_fmac_f32 v132, v21, v4 :: v_dual_add_f32 v3, 0, v3
	v_fma_f32 v4, v20, v4, -v5
	v_dual_mul_f32 v134, v116, v9 :: v_dual_mul_f32 v135, v118, v11
	v_add_f32_e32 v5, 0, v22
	v_fma_f32 v2, v114, v6, -v2
	s_delay_alu instid0(VALU_DEP_4) | instskip(SKIP_3) | instid1(VALU_DEP_4)
	v_add_f32_e32 v3, v3, v4
	v_mul_f32_e32 v7, v117, v9
	v_dual_fmac_f32 v134, v117, v8 :: v_dual_fmac_f32 v133, v115, v6
	v_add_f32_e32 v4, v5, v132
	v_add_f32_e32 v2, v3, v2
	s_delay_alu instid0(VALU_DEP_4)
	v_fma_f32 v6, v116, v8, -v7
	v_mul_f32_e32 v5, v119, v11
	v_dual_fmac_f32 v135, v119, v10 :: v_dual_fmac_f32 v136, v121, v12
	v_add_f32_e32 v3, v4, v133
	v_mul_f32_e32 v4, v121, v13
	v_add_f32_e32 v2, v2, v6
	v_fma_f32 v5, v118, v10, -v5
	v_mul_f32_e32 v6, v123, v15
	v_add_f32_e32 v3, v3, v134
	v_fma_f32 v4, v120, v12, -v4
	v_dual_mul_f32 v137, v122, v15 :: v_dual_mul_f32 v138, v124, v17
	s_delay_alu instid0(VALU_DEP_3) | instskip(SKIP_2) | instid1(VALU_DEP_4)
	v_dual_add_f32 v2, v2, v5 :: v_dual_add_f32 v3, v3, v135
	v_mul_f32_e32 v5, v125, v17
	v_fma_f32 v6, v122, v14, -v6
	v_dual_fmac_f32 v137, v123, v14 :: v_dual_fmac_f32 v138, v125, v16
	s_delay_alu instid0(VALU_DEP_4) | instskip(SKIP_3) | instid1(VALU_DEP_4)
	v_add_f32_e32 v2, v2, v4
	v_add_f32_e32 v3, v3, v136
	v_mul_f32_e32 v4, v131, v127
	v_fma_f32 v5, v124, v16, -v5
	v_add_f32_e32 v2, v2, v6
	v_fmac_f32_e32 v139, v131, v126
	s_delay_alu instid0(VALU_DEP_4) | instskip(NEXT) | instid1(VALU_DEP_3)
	v_fma_f32 v4, v130, v126, -v4
	v_add_f32_e32 v2, v2, v5
	s_delay_alu instid0(VALU_DEP_1) | instskip(NEXT) | instid1(VALU_DEP_1)
	v_dual_add_f32 v3, v3, v137 :: v_dual_add_f32 v2, v2, v4
	v_add_f32_e32 v3, v3, v138
	s_wait_loadcnt 0x0
	s_delay_alu instid0(VALU_DEP_1) | instskip(NEXT) | instid1(VALU_DEP_1)
	v_dual_sub_f32 v2, v128, v2 :: v_dual_add_f32 v3, v3, v139
	v_sub_f32_e32 v3, v129, v3
	scratch_store_b64 off, v[2:3], off offset:280
	v_cmpx_lt_u32_e32 34, v0
	s_cbranch_execz .LBB108_215
; %bb.214:
	scratch_load_b64 v[3:4], off, off offset:272
	v_mov_b32_e32 v2, v1
	scratch_store_b64 off, v[1:2], off offset:272
	s_wait_loadcnt 0x0
	ds_store_b64 v23, v[3:4]
.LBB108_215:
	s_wait_alu 0xfffe
	s_or_b32 exec_lo, exec_lo, s0
	s_wait_storecnt_dscnt 0x0
	s_barrier_signal -1
	s_barrier_wait -1
	global_inv scope:SCOPE_SE
	s_clause 0x5
	scratch_load_b128 v[2:5], off, off offset:280
	scratch_load_b128 v[6:9], off, off offset:296
	;; [unrolled: 1-line block ×5, first 2 shown]
	scratch_load_b64 v[134:135], off, off offset:272
	ds_load_2addr_b64 v[114:117], v1 offset0:81 offset1:82
	ds_load_2addr_b64 v[118:121], v1 offset0:83 offset1:84
	;; [unrolled: 1-line block ×5, first 2 shown]
	s_mov_b32 s0, exec_lo
	s_wait_loadcnt_dscnt 0x504
	v_dual_mul_f32 v1, v114, v3 :: v_dual_mul_f32 v22, v116, v5
	v_mul_f32_e32 v3, v115, v3
	s_wait_loadcnt_dscnt 0x403
	v_dual_mul_f32 v5, v117, v5 :: v_dual_mul_f32 v136, v118, v7
	s_delay_alu instid0(VALU_DEP_3) | instskip(NEXT) | instid1(VALU_DEP_3)
	v_dual_mul_f32 v137, v120, v9 :: v_dual_fmac_f32 v22, v117, v4
	v_fma_f32 v3, v114, v2, -v3
	v_fmac_f32_e32 v1, v115, v2
	v_mul_f32_e32 v2, v119, v7
	v_fma_f32 v4, v116, v4, -v5
	s_delay_alu instid0(VALU_DEP_4)
	v_dual_fmac_f32 v136, v119, v6 :: v_dual_add_f32 v3, 0, v3
	s_wait_loadcnt_dscnt 0x100
	v_dual_mul_f32 v142, v130, v19 :: v_dual_mul_f32 v143, v132, v21
	v_fma_f32 v2, v118, v6, -v2
	v_dual_mul_f32 v138, v122, v11 :: v_dual_mul_f32 v139, v124, v13
	v_add_f32_e32 v3, v3, v4
	v_dual_mul_f32 v5, v121, v9 :: v_dual_mul_f32 v140, v126, v15
	v_dual_mul_f32 v141, v128, v17 :: v_dual_mul_f32 v4, v123, v11
	s_delay_alu instid0(VALU_DEP_3) | instskip(NEXT) | instid1(VALU_DEP_3)
	v_add_f32_e32 v2, v3, v2
	v_fma_f32 v5, v120, v8, -v5
	v_dual_mul_f32 v3, v125, v13 :: v_dual_fmac_f32 v142, v131, v18
	s_delay_alu instid0(VALU_DEP_4) | instskip(SKIP_1) | instid1(VALU_DEP_4)
	v_fma_f32 v4, v122, v10, -v4
	v_dual_fmac_f32 v137, v121, v8 :: v_dual_fmac_f32 v138, v123, v10
	v_add_f32_e32 v2, v2, v5
	v_add_f32_e32 v1, 0, v1
	v_fma_f32 v3, v124, v12, -v3
	v_dual_fmac_f32 v140, v127, v14 :: v_dual_fmac_f32 v141, v129, v16
	s_delay_alu instid0(VALU_DEP_3) | instskip(SKIP_1) | instid1(VALU_DEP_2)
	v_dual_add_f32 v2, v2, v4 :: v_dual_add_f32 v1, v1, v22
	v_mul_f32_e32 v4, v129, v17
	v_dual_fmac_f32 v143, v133, v20 :: v_dual_add_f32 v2, v2, v3
	s_delay_alu instid0(VALU_DEP_3) | instskip(NEXT) | instid1(VALU_DEP_3)
	v_add_f32_e32 v1, v1, v136
	v_fma_f32 v4, v128, v16, -v4
	v_mul_f32_e32 v5, v127, v15
	v_mul_f32_e32 v3, v131, v19
	s_delay_alu instid0(VALU_DEP_4) | instskip(NEXT) | instid1(VALU_DEP_3)
	v_add_f32_e32 v1, v1, v137
	v_fma_f32 v5, v126, v14, -v5
	v_fmac_f32_e32 v139, v125, v12
	s_delay_alu instid0(VALU_DEP_4) | instskip(NEXT) | instid1(VALU_DEP_3)
	v_fma_f32 v3, v130, v18, -v3
	v_add_f32_e32 v2, v2, v5
	s_delay_alu instid0(VALU_DEP_1) | instskip(SKIP_1) | instid1(VALU_DEP_2)
	v_dual_mul_f32 v5, v133, v21 :: v_dual_add_f32 v2, v2, v4
	v_add_f32_e32 v1, v1, v138
	v_fma_f32 v4, v132, v20, -v5
	s_delay_alu instid0(VALU_DEP_3) | instskip(NEXT) | instid1(VALU_DEP_1)
	v_add_f32_e32 v2, v2, v3
	v_dual_add_f32 v1, v1, v139 :: v_dual_add_f32 v2, v2, v4
	s_delay_alu instid0(VALU_DEP_1) | instskip(NEXT) | instid1(VALU_DEP_1)
	v_add_f32_e32 v1, v1, v140
	v_add_f32_e32 v1, v1, v141
	s_delay_alu instid0(VALU_DEP_1) | instskip(NEXT) | instid1(VALU_DEP_1)
	v_add_f32_e32 v1, v1, v142
	v_add_f32_e32 v3, v1, v143
	s_wait_loadcnt 0x0
	s_delay_alu instid0(VALU_DEP_1)
	v_dual_sub_f32 v1, v134, v2 :: v_dual_sub_f32 v2, v135, v3
	scratch_store_b64 off, v[1:2], off offset:272
	v_cmpx_lt_u32_e32 33, v0
	s_cbranch_execz .LBB108_217
; %bb.216:
	scratch_load_b64 v[1:2], off, off offset:264
	v_mov_b32_e32 v3, 0
	s_delay_alu instid0(VALU_DEP_1)
	v_mov_b32_e32 v4, v3
	scratch_store_b64 off, v[3:4], off offset:264
	s_wait_loadcnt 0x0
	ds_store_b64 v23, v[1:2]
.LBB108_217:
	s_wait_alu 0xfffe
	s_or_b32 exec_lo, exec_lo, s0
	s_wait_storecnt_dscnt 0x0
	s_barrier_signal -1
	s_barrier_wait -1
	global_inv scope:SCOPE_SE
	s_clause 0x6
	scratch_load_b128 v[2:5], off, off offset:272
	scratch_load_b128 v[6:9], off, off offset:288
	;; [unrolled: 1-line block ×5, first 2 shown]
	scratch_load_b64 v[134:135], off, off offset:352
	scratch_load_b64 v[136:137], off, off offset:264
	v_mov_b32_e32 v1, 0
	ds_load_b128 v[114:117], v1 offset:640
	ds_load_b128 v[118:121], v1 offset:656
	;; [unrolled: 1-line block ×5, first 2 shown]
	ds_load_b64 v[138:139], v1 offset:720
	s_mov_b32 s0, exec_lo
	s_wait_loadcnt_dscnt 0x605
	v_mul_f32_e32 v22, v114, v3
	v_dual_mul_f32 v3, v115, v3 :: v_dual_mul_f32 v140, v116, v5
	s_wait_loadcnt_dscnt 0x302
	v_dual_mul_f32 v141, v118, v7 :: v_dual_mul_f32 v146, v128, v17
	v_mul_f32_e32 v5, v117, v5
	s_delay_alu instid0(VALU_DEP_3) | instskip(SKIP_3) | instid1(VALU_DEP_3)
	v_fma_f32 v3, v114, v2, -v3
	s_wait_loadcnt_dscnt 0x100
	v_dual_mul_f32 v149, v138, v135 :: v_dual_fmac_f32 v22, v115, v2
	v_mul_f32_e32 v2, v119, v7
	v_dual_fmac_f32 v140, v117, v4 :: v_dual_add_f32 v3, 0, v3
	v_fma_f32 v4, v116, v4, -v5
	v_dual_mul_f32 v142, v120, v9 :: v_dual_mul_f32 v143, v122, v11
	v_add_f32_e32 v5, 0, v22
	v_fma_f32 v2, v118, v6, -v2
	s_delay_alu instid0(VALU_DEP_4) | instskip(SKIP_3) | instid1(VALU_DEP_4)
	v_add_f32_e32 v3, v3, v4
	v_mul_f32_e32 v7, v121, v9
	v_dual_fmac_f32 v142, v121, v8 :: v_dual_fmac_f32 v141, v119, v6
	v_add_f32_e32 v4, v5, v140
	v_add_f32_e32 v2, v3, v2
	s_delay_alu instid0(VALU_DEP_4)
	v_fma_f32 v6, v120, v8, -v7
	v_dual_mul_f32 v5, v123, v11 :: v_dual_mul_f32 v144, v124, v13
	v_mul_f32_e32 v145, v126, v15
	v_add_f32_e32 v3, v4, v141
	v_mul_f32_e32 v4, v125, v13
	v_add_f32_e32 v2, v2, v6
	v_fma_f32 v5, v122, v10, -v5
	v_dual_fmac_f32 v143, v123, v10 :: v_dual_fmac_f32 v144, v125, v12
	v_mul_f32_e32 v6, v127, v15
	s_delay_alu instid0(VALU_DEP_3) | instskip(SKIP_2) | instid1(VALU_DEP_4)
	v_dual_add_f32 v3, v3, v142 :: v_dual_add_f32 v2, v2, v5
	v_fma_f32 v4, v124, v12, -v4
	v_mul_f32_e32 v5, v129, v17
	v_fma_f32 v6, v126, v14, -v6
	s_delay_alu instid0(VALU_DEP_4) | instskip(SKIP_3) | instid1(VALU_DEP_4)
	v_add_f32_e32 v3, v3, v143
	v_dual_mul_f32 v147, v130, v19 :: v_dual_mul_f32 v148, v132, v21
	v_dual_add_f32 v2, v2, v4 :: v_dual_fmac_f32 v145, v127, v14
	v_fmac_f32_e32 v146, v129, v16
	v_add_f32_e32 v3, v3, v144
	v_mul_f32_e32 v4, v131, v19
	v_fma_f32 v5, v128, v16, -v5
	v_add_f32_e32 v2, v2, v6
	v_dual_mul_f32 v6, v133, v21 :: v_dual_fmac_f32 v147, v131, v18
	v_dual_add_f32 v3, v3, v145 :: v_dual_fmac_f32 v148, v133, v20
	v_fma_f32 v4, v130, v18, -v4
	s_delay_alu instid0(VALU_DEP_4) | instskip(NEXT) | instid1(VALU_DEP_4)
	v_add_f32_e32 v2, v2, v5
	v_fma_f32 v6, v132, v20, -v6
	s_delay_alu instid0(VALU_DEP_4) | instskip(NEXT) | instid1(VALU_DEP_3)
	v_add_f32_e32 v3, v3, v146
	v_dual_mul_f32 v5, v139, v135 :: v_dual_add_f32 v2, v2, v4
	s_delay_alu instid0(VALU_DEP_2) | instskip(NEXT) | instid1(VALU_DEP_2)
	v_add_f32_e32 v3, v3, v147
	v_fma_f32 v4, v138, v134, -v5
	s_delay_alu instid0(VALU_DEP_3) | instskip(NEXT) | instid1(VALU_DEP_1)
	v_add_f32_e32 v2, v2, v6
	v_dual_fmac_f32 v149, v139, v134 :: v_dual_add_f32 v2, v2, v4
	s_wait_loadcnt 0x0
	s_delay_alu instid0(VALU_DEP_1) | instskip(NEXT) | instid1(VALU_DEP_1)
	v_dual_add_f32 v3, v3, v148 :: v_dual_sub_f32 v2, v136, v2
	v_add_f32_e32 v3, v3, v149
	s_delay_alu instid0(VALU_DEP_1)
	v_sub_f32_e32 v3, v137, v3
	scratch_store_b64 off, v[2:3], off offset:264
	v_cmpx_lt_u32_e32 32, v0
	s_cbranch_execz .LBB108_219
; %bb.218:
	scratch_load_b64 v[3:4], off, off offset:256
	v_mov_b32_e32 v2, v1
	scratch_store_b64 off, v[1:2], off offset:256
	s_wait_loadcnt 0x0
	ds_store_b64 v23, v[3:4]
.LBB108_219:
	s_wait_alu 0xfffe
	s_or_b32 exec_lo, exec_lo, s0
	s_wait_storecnt_dscnt 0x0
	s_barrier_signal -1
	s_barrier_wait -1
	global_inv scope:SCOPE_SE
	s_clause 0x6
	scratch_load_b128 v[2:5], off, off offset:264
	scratch_load_b128 v[6:9], off, off offset:280
	;; [unrolled: 1-line block ×6, first 2 shown]
	scratch_load_b64 v[142:143], off, off offset:256
	ds_load_2addr_b64 v[118:121], v1 offset0:79 offset1:80
	ds_load_2addr_b64 v[122:125], v1 offset0:81 offset1:82
	ds_load_2addr_b64 v[126:129], v1 offset0:83 offset1:84
	ds_load_2addr_b64 v[130:133], v1 offset0:85 offset1:86
	ds_load_2addr_b64 v[134:137], v1 offset0:87 offset1:88
	ds_load_2addr_b64 v[138:141], v1 offset0:89 offset1:90
	s_mov_b32 s0, exec_lo
	s_wait_loadcnt_dscnt 0x605
	v_dual_mul_f32 v1, v118, v3 :: v_dual_mul_f32 v22, v120, v5
	v_mul_f32_e32 v3, v119, v3
	s_wait_loadcnt_dscnt 0x504
	v_dual_mul_f32 v5, v121, v5 :: v_dual_mul_f32 v144, v122, v7
	s_delay_alu instid0(VALU_DEP_3) | instskip(NEXT) | instid1(VALU_DEP_3)
	v_dual_mul_f32 v145, v124, v9 :: v_dual_fmac_f32 v22, v121, v4
	v_fma_f32 v3, v118, v2, -v3
	v_fmac_f32_e32 v1, v119, v2
	v_mul_f32_e32 v2, v123, v7
	v_fma_f32 v4, v120, v4, -v5
	s_delay_alu instid0(VALU_DEP_4)
	v_dual_fmac_f32 v144, v123, v6 :: v_dual_add_f32 v3, 0, v3
	s_wait_loadcnt_dscnt 0x201
	v_dual_mul_f32 v150, v134, v19 :: v_dual_mul_f32 v151, v136, v21
	v_fma_f32 v2, v122, v6, -v2
	v_dual_mul_f32 v146, v126, v11 :: v_dual_mul_f32 v147, v128, v13
	v_add_f32_e32 v3, v3, v4
	v_dual_mul_f32 v5, v125, v9 :: v_dual_mul_f32 v148, v130, v15
	v_dual_mul_f32 v149, v132, v17 :: v_dual_mul_f32 v4, v127, v11
	s_delay_alu instid0(VALU_DEP_3) | instskip(NEXT) | instid1(VALU_DEP_3)
	v_add_f32_e32 v2, v3, v2
	v_fma_f32 v5, v124, v8, -v5
	v_dual_mul_f32 v3, v129, v13 :: v_dual_fmac_f32 v150, v135, v18
	s_delay_alu instid0(VALU_DEP_4) | instskip(SKIP_1) | instid1(VALU_DEP_4)
	v_fma_f32 v4, v126, v10, -v4
	v_dual_fmac_f32 v145, v125, v8 :: v_dual_fmac_f32 v146, v127, v10
	v_add_f32_e32 v2, v2, v5
	v_add_f32_e32 v1, 0, v1
	v_fma_f32 v3, v128, v12, -v3
	v_fmac_f32_e32 v148, v131, v14
	s_wait_loadcnt_dscnt 0x100
	v_dual_mul_f32 v152, v138, v115 :: v_dual_mul_f32 v153, v140, v117
	v_dual_add_f32 v1, v1, v22 :: v_dual_add_f32 v2, v2, v4
	v_mul_f32_e32 v4, v133, v17
	v_fmac_f32_e32 v151, v137, v20
	s_delay_alu instid0(VALU_DEP_4) | instskip(NEXT) | instid1(VALU_DEP_4)
	v_fmac_f32_e32 v153, v141, v116
	v_dual_add_f32 v1, v1, v144 :: v_dual_add_f32 v2, v2, v3
	s_delay_alu instid0(VALU_DEP_4) | instskip(SKIP_1) | instid1(VALU_DEP_3)
	v_fma_f32 v4, v132, v16, -v4
	v_mul_f32_e32 v5, v131, v15
	v_dual_fmac_f32 v152, v139, v114 :: v_dual_add_f32 v1, v1, v145
	s_delay_alu instid0(VALU_DEP_2) | instskip(SKIP_1) | instid1(VALU_DEP_2)
	v_fma_f32 v5, v130, v14, -v5
	v_fmac_f32_e32 v147, v129, v12
	v_dual_add_f32 v1, v1, v146 :: v_dual_add_f32 v2, v2, v5
	s_delay_alu instid0(VALU_DEP_1) | instskip(SKIP_1) | instid1(VALU_DEP_3)
	v_add_f32_e32 v2, v2, v4
	v_mul_f32_e32 v4, v139, v115
	v_add_f32_e32 v1, v1, v147
	s_delay_alu instid0(VALU_DEP_2) | instskip(SKIP_1) | instid1(VALU_DEP_1)
	v_fma_f32 v4, v138, v114, -v4
	v_mul_f32_e32 v5, v137, v21
	v_fma_f32 v5, v136, v20, -v5
	v_mul_f32_e32 v3, v135, v19
	s_delay_alu instid0(VALU_DEP_1) | instskip(NEXT) | instid1(VALU_DEP_1)
	v_fma_f32 v3, v134, v18, -v3
	v_dual_fmac_f32 v149, v133, v16 :: v_dual_add_f32 v2, v2, v3
	v_mul_f32_e32 v3, v141, v117
	s_delay_alu instid0(VALU_DEP_2) | instskip(NEXT) | instid1(VALU_DEP_2)
	v_add_f32_e32 v2, v2, v5
	v_fma_f32 v3, v140, v116, -v3
	s_delay_alu instid0(VALU_DEP_2) | instskip(NEXT) | instid1(VALU_DEP_1)
	v_add_f32_e32 v2, v2, v4
	v_dual_add_f32 v1, v1, v148 :: v_dual_add_f32 v2, v2, v3
	s_delay_alu instid0(VALU_DEP_1) | instskip(NEXT) | instid1(VALU_DEP_1)
	v_add_f32_e32 v1, v1, v149
	v_add_f32_e32 v1, v1, v150
	s_delay_alu instid0(VALU_DEP_1) | instskip(NEXT) | instid1(VALU_DEP_1)
	v_add_f32_e32 v1, v1, v151
	v_add_f32_e32 v1, v1, v152
	s_delay_alu instid0(VALU_DEP_1) | instskip(SKIP_1) | instid1(VALU_DEP_1)
	v_add_f32_e32 v3, v1, v153
	s_wait_loadcnt 0x0
	v_dual_sub_f32 v1, v142, v2 :: v_dual_sub_f32 v2, v143, v3
	scratch_store_b64 off, v[1:2], off offset:256
	v_cmpx_lt_u32_e32 31, v0
	s_cbranch_execz .LBB108_221
; %bb.220:
	scratch_load_b64 v[1:2], off, off offset:248
	v_mov_b32_e32 v3, 0
	s_delay_alu instid0(VALU_DEP_1)
	v_mov_b32_e32 v4, v3
	scratch_store_b64 off, v[3:4], off offset:248
	s_wait_loadcnt 0x0
	ds_store_b64 v23, v[1:2]
.LBB108_221:
	s_wait_alu 0xfffe
	s_or_b32 exec_lo, exec_lo, s0
	s_wait_storecnt_dscnt 0x0
	s_barrier_signal -1
	s_barrier_wait -1
	global_inv scope:SCOPE_SE
	s_clause 0x7
	scratch_load_b128 v[2:5], off, off offset:256
	scratch_load_b128 v[6:9], off, off offset:272
	;; [unrolled: 1-line block ×6, first 2 shown]
	scratch_load_b64 v[142:143], off, off offset:352
	scratch_load_b64 v[144:145], off, off offset:248
	v_mov_b32_e32 v1, 0
	ds_load_b128 v[118:121], v1 offset:624
	ds_load_b128 v[122:125], v1 offset:640
	;; [unrolled: 1-line block ×6, first 2 shown]
	ds_load_b64 v[146:147], v1 offset:720
	s_mov_b32 s0, exec_lo
	s_wait_loadcnt_dscnt 0x706
	v_mul_f32_e32 v22, v118, v3
	v_dual_mul_f32 v3, v119, v3 :: v_dual_mul_f32 v148, v120, v5
	s_wait_loadcnt_dscnt 0x302
	v_dual_mul_f32 v149, v122, v7 :: v_dual_mul_f32 v156, v136, v21
	v_mul_f32_e32 v5, v121, v5
	s_wait_loadcnt_dscnt 0x100
	v_dual_mul_f32 v159, v146, v143 :: v_dual_fmac_f32 v22, v119, v2
	v_fma_f32 v3, v118, v2, -v3
	v_dual_mul_f32 v150, v124, v9 :: v_dual_mul_f32 v151, v126, v11
	v_mul_f32_e32 v2, v123, v7
	s_delay_alu instid0(VALU_DEP_3) | instskip(SKIP_1) | instid1(VALU_DEP_4)
	v_dual_fmac_f32 v148, v121, v4 :: v_dual_add_f32 v3, 0, v3
	v_fma_f32 v4, v120, v4, -v5
	v_dual_add_f32 v5, 0, v22 :: v_dual_fmac_f32 v150, v125, v8
	v_fmac_f32_e32 v149, v123, v6
	v_fma_f32 v2, v122, v6, -v2
	s_delay_alu instid0(VALU_DEP_4) | instskip(SKIP_3) | instid1(VALU_DEP_4)
	v_add_f32_e32 v3, v3, v4
	v_mul_f32_e32 v7, v125, v9
	v_add_f32_e32 v4, v5, v148
	v_dual_mul_f32 v152, v128, v13 :: v_dual_mul_f32 v153, v130, v15
	v_add_f32_e32 v2, v3, v2
	s_delay_alu instid0(VALU_DEP_4)
	v_fma_f32 v6, v124, v8, -v7
	v_mul_f32_e32 v5, v127, v11
	v_add_f32_e32 v3, v4, v149
	v_dual_mul_f32 v4, v129, v13 :: v_dual_fmac_f32 v151, v127, v10
	v_fmac_f32_e32 v152, v129, v12
	v_add_f32_e32 v2, v2, v6
	v_fma_f32 v5, v126, v10, -v5
	v_mul_f32_e32 v6, v131, v15
	v_add_f32_e32 v3, v3, v150
	v_fma_f32 v4, v128, v12, -v4
	v_dual_mul_f32 v154, v132, v17 :: v_dual_mul_f32 v155, v134, v19
	s_delay_alu instid0(VALU_DEP_3) | instskip(SKIP_1) | instid1(VALU_DEP_3)
	v_dual_add_f32 v2, v2, v5 :: v_dual_add_f32 v3, v3, v151
	v_mul_f32_e32 v5, v133, v17
	v_dual_fmac_f32 v153, v131, v14 :: v_dual_fmac_f32 v154, v133, v16
	v_fma_f32 v6, v130, v14, -v6
	s_delay_alu instid0(VALU_DEP_4) | instskip(SKIP_4) | instid1(VALU_DEP_4)
	v_add_f32_e32 v2, v2, v4
	v_add_f32_e32 v3, v3, v152
	v_mul_f32_e32 v4, v135, v19
	v_fma_f32 v5, v132, v16, -v5
	v_fmac_f32_e32 v155, v135, v18
	v_dual_add_f32 v2, v2, v6 :: v_dual_add_f32 v3, v3, v153
	v_fmac_f32_e32 v156, v137, v20
	v_mul_f32_e32 v6, v137, v21
	v_fma_f32 v4, v134, v18, -v4
	s_delay_alu instid0(VALU_DEP_4) | instskip(SKIP_1) | instid1(VALU_DEP_2)
	v_dual_add_f32 v2, v2, v5 :: v_dual_add_f32 v3, v3, v154
	v_dual_mul_f32 v157, v138, v115 :: v_dual_mul_f32 v158, v140, v117
	v_dual_mul_f32 v5, v139, v115 :: v_dual_add_f32 v2, v2, v4
	v_fma_f32 v6, v136, v20, -v6
	s_delay_alu instid0(VALU_DEP_4) | instskip(NEXT) | instid1(VALU_DEP_4)
	v_dual_add_f32 v3, v3, v155 :: v_dual_mul_f32 v4, v141, v117
	v_dual_fmac_f32 v157, v139, v114 :: v_dual_fmac_f32 v158, v141, v116
	s_delay_alu instid0(VALU_DEP_4) | instskip(NEXT) | instid1(VALU_DEP_3)
	v_fma_f32 v5, v138, v114, -v5
	v_dual_add_f32 v2, v2, v6 :: v_dual_add_f32 v3, v3, v156
	v_mul_f32_e32 v6, v147, v143
	v_fma_f32 v4, v140, v116, -v4
	s_delay_alu instid0(VALU_DEP_3) | instskip(NEXT) | instid1(VALU_DEP_4)
	v_dual_fmac_f32 v159, v147, v142 :: v_dual_add_f32 v2, v2, v5
	v_add_f32_e32 v3, v3, v157
	s_delay_alu instid0(VALU_DEP_4) | instskip(NEXT) | instid1(VALU_DEP_2)
	v_fma_f32 v5, v146, v142, -v6
	v_dual_add_f32 v2, v2, v4 :: v_dual_add_f32 v3, v3, v158
	s_delay_alu instid0(VALU_DEP_1) | instskip(SKIP_1) | instid1(VALU_DEP_1)
	v_dual_add_f32 v2, v2, v5 :: v_dual_add_f32 v3, v3, v159
	s_wait_loadcnt 0x0
	v_dual_sub_f32 v2, v144, v2 :: v_dual_sub_f32 v3, v145, v3
	scratch_store_b64 off, v[2:3], off offset:248
	v_cmpx_lt_u32_e32 30, v0
	s_cbranch_execz .LBB108_223
; %bb.222:
	scratch_load_b64 v[3:4], off, off offset:240
	v_mov_b32_e32 v2, v1
	scratch_store_b64 off, v[1:2], off offset:240
	s_wait_loadcnt 0x0
	ds_store_b64 v23, v[3:4]
.LBB108_223:
	s_wait_alu 0xfffe
	s_or_b32 exec_lo, exec_lo, s0
	s_wait_storecnt_dscnt 0x0
	s_barrier_signal -1
	s_barrier_wait -1
	global_inv scope:SCOPE_SE
	s_clause 0x7
	scratch_load_b128 v[2:5], off, off offset:248
	scratch_load_b128 v[6:9], off, off offset:264
	;; [unrolled: 1-line block ×7, first 2 shown]
	scratch_load_b64 v[150:151], off, off offset:240
	ds_load_2addr_b64 v[122:125], v1 offset0:77 offset1:78
	ds_load_2addr_b64 v[126:129], v1 offset0:79 offset1:80
	;; [unrolled: 1-line block ×7, first 2 shown]
	s_mov_b32 s0, exec_lo
	s_wait_loadcnt_dscnt 0x706
	v_dual_mul_f32 v1, v122, v3 :: v_dual_mul_f32 v22, v124, v5
	v_mul_f32_e32 v3, v123, v3
	s_wait_loadcnt_dscnt 0x605
	v_dual_mul_f32 v5, v125, v5 :: v_dual_mul_f32 v152, v126, v7
	s_delay_alu instid0(VALU_DEP_3) | instskip(NEXT) | instid1(VALU_DEP_3)
	v_dual_mul_f32 v153, v128, v9 :: v_dual_fmac_f32 v22, v125, v4
	v_fma_f32 v3, v122, v2, -v3
	v_fmac_f32_e32 v1, v123, v2
	v_mul_f32_e32 v2, v127, v7
	v_fma_f32 v4, v124, v4, -v5
	s_delay_alu instid0(VALU_DEP_4)
	v_dual_fmac_f32 v152, v127, v6 :: v_dual_add_f32 v3, 0, v3
	s_wait_loadcnt_dscnt 0x302
	v_dual_mul_f32 v158, v138, v19 :: v_dual_mul_f32 v159, v140, v21
	v_fma_f32 v2, v126, v6, -v2
	v_dual_mul_f32 v154, v130, v11 :: v_dual_mul_f32 v155, v132, v13
	v_add_f32_e32 v3, v3, v4
	v_dual_mul_f32 v5, v129, v9 :: v_dual_mul_f32 v156, v134, v15
	v_dual_mul_f32 v157, v136, v17 :: v_dual_mul_f32 v4, v131, v11
	s_delay_alu instid0(VALU_DEP_3) | instskip(NEXT) | instid1(VALU_DEP_3)
	v_add_f32_e32 v2, v3, v2
	v_fma_f32 v5, v128, v8, -v5
	v_dual_mul_f32 v3, v133, v13 :: v_dual_fmac_f32 v158, v139, v18
	s_delay_alu instid0(VALU_DEP_4) | instskip(SKIP_1) | instid1(VALU_DEP_4)
	v_fma_f32 v4, v130, v10, -v4
	v_dual_fmac_f32 v153, v129, v8 :: v_dual_fmac_f32 v154, v131, v10
	v_add_f32_e32 v2, v2, v5
	v_add_f32_e32 v1, 0, v1
	v_fma_f32 v3, v132, v12, -v3
	v_fmac_f32_e32 v156, v135, v14
	s_wait_loadcnt_dscnt 0x201
	v_dual_mul_f32 v160, v142, v115 :: v_dual_mul_f32 v161, v144, v117
	v_dual_add_f32 v1, v1, v22 :: v_dual_add_f32 v2, v2, v4
	v_mul_f32_e32 v4, v137, v17
	s_wait_loadcnt_dscnt 0x100
	v_dual_mul_f32 v162, v146, v119 :: v_dual_mul_f32 v163, v148, v121
	s_delay_alu instid0(VALU_DEP_3) | instskip(NEXT) | instid1(VALU_DEP_3)
	v_dual_add_f32 v1, v1, v152 :: v_dual_add_f32 v2, v2, v3
	v_fma_f32 v4, v136, v16, -v4
	v_mul_f32_e32 v5, v135, v15
	v_fmac_f32_e32 v161, v145, v116
	s_delay_alu instid0(VALU_DEP_4) | instskip(SKIP_1) | instid1(VALU_DEP_4)
	v_add_f32_e32 v1, v1, v153
	v_dual_fmac_f32 v163, v149, v120 :: v_dual_fmac_f32 v160, v143, v114
	v_fma_f32 v5, v134, v14, -v5
	v_fmac_f32_e32 v155, v133, v12
	s_delay_alu instid0(VALU_DEP_4) | instskip(SKIP_1) | instid1(VALU_DEP_4)
	v_add_f32_e32 v1, v1, v154
	v_fmac_f32_e32 v162, v147, v118
	v_add_f32_e32 v2, v2, v5
	s_delay_alu instid0(VALU_DEP_1) | instskip(SKIP_2) | instid1(VALU_DEP_2)
	v_add_f32_e32 v2, v2, v4
	v_mul_f32_e32 v4, v143, v115
	v_add_f32_e32 v1, v1, v155
	v_fma_f32 v4, v142, v114, -v4
	v_mul_f32_e32 v5, v141, v21
	s_delay_alu instid0(VALU_DEP_3) | instskip(NEXT) | instid1(VALU_DEP_2)
	v_add_f32_e32 v1, v1, v156
	v_fma_f32 v5, v140, v20, -v5
	v_mul_f32_e32 v3, v139, v19
	s_delay_alu instid0(VALU_DEP_1) | instskip(NEXT) | instid1(VALU_DEP_1)
	v_fma_f32 v3, v138, v18, -v3
	v_dual_fmac_f32 v157, v137, v16 :: v_dual_add_f32 v2, v2, v3
	v_mul_f32_e32 v3, v145, v117
	s_delay_alu instid0(VALU_DEP_2) | instskip(NEXT) | instid1(VALU_DEP_2)
	v_dual_add_f32 v2, v2, v5 :: v_dual_mul_f32 v5, v147, v119
	v_fma_f32 v3, v144, v116, -v3
	s_delay_alu instid0(VALU_DEP_2) | instskip(SKIP_1) | instid1(VALU_DEP_4)
	v_dual_add_f32 v2, v2, v4 :: v_dual_add_f32 v1, v1, v157
	v_mul_f32_e32 v4, v149, v121
	v_fma_f32 v5, v146, v118, -v5
	s_delay_alu instid0(VALU_DEP_3) | instskip(NEXT) | instid1(VALU_DEP_3)
	v_dual_add_f32 v2, v2, v3 :: v_dual_fmac_f32 v159, v141, v20
	v_fma_f32 v3, v148, v120, -v4
	s_delay_alu instid0(VALU_DEP_2) | instskip(NEXT) | instid1(VALU_DEP_1)
	v_dual_add_f32 v2, v2, v5 :: v_dual_add_f32 v1, v1, v158
	v_add_f32_e32 v2, v2, v3
	s_delay_alu instid0(VALU_DEP_2) | instskip(NEXT) | instid1(VALU_DEP_1)
	v_add_f32_e32 v1, v1, v159
	v_add_f32_e32 v1, v1, v160
	s_delay_alu instid0(VALU_DEP_1) | instskip(NEXT) | instid1(VALU_DEP_1)
	v_add_f32_e32 v1, v1, v161
	v_add_f32_e32 v1, v1, v162
	s_delay_alu instid0(VALU_DEP_1) | instskip(SKIP_1) | instid1(VALU_DEP_1)
	v_add_f32_e32 v3, v1, v163
	s_wait_loadcnt 0x0
	v_dual_sub_f32 v1, v150, v2 :: v_dual_sub_f32 v2, v151, v3
	scratch_store_b64 off, v[1:2], off offset:240
	v_cmpx_lt_u32_e32 29, v0
	s_cbranch_execz .LBB108_225
; %bb.224:
	scratch_load_b64 v[1:2], off, off offset:232
	v_mov_b32_e32 v3, 0
	s_delay_alu instid0(VALU_DEP_1)
	v_mov_b32_e32 v4, v3
	scratch_store_b64 off, v[3:4], off offset:232
	s_wait_loadcnt 0x0
	ds_store_b64 v23, v[1:2]
.LBB108_225:
	s_wait_alu 0xfffe
	s_or_b32 exec_lo, exec_lo, s0
	s_wait_storecnt_dscnt 0x0
	s_barrier_signal -1
	s_barrier_wait -1
	global_inv scope:SCOPE_SE
	s_clause 0x8
	scratch_load_b128 v[2:5], off, off offset:240
	scratch_load_b128 v[6:9], off, off offset:256
	;; [unrolled: 1-line block ×7, first 2 shown]
	scratch_load_b64 v[150:151], off, off offset:352
	scratch_load_b64 v[152:153], off, off offset:232
	v_mov_b32_e32 v1, 0
	ds_load_b128 v[122:125], v1 offset:608
	ds_load_b128 v[126:129], v1 offset:624
	ds_load_b128 v[130:133], v1 offset:640
	ds_load_b128 v[134:137], v1 offset:656
	ds_load_b128 v[138:141], v1 offset:672
	ds_load_b128 v[142:145], v1 offset:688
	ds_load_b128 v[146:149], v1 offset:704
	ds_load_b64 v[154:155], v1 offset:720
	s_mov_b32 s0, exec_lo
	s_wait_loadcnt_dscnt 0x807
	v_mul_f32_e32 v22, v122, v3
	v_dual_mul_f32 v3, v123, v3 :: v_dual_mul_f32 v156, v124, v5
	s_wait_loadcnt_dscnt 0x706
	v_mul_f32_e32 v157, v126, v7
	v_mul_f32_e32 v5, v125, v5
	s_wait_loadcnt_dscnt 0x302
	v_mul_f32_e32 v166, v144, v117
	v_fma_f32 v3, v122, v2, -v3
	s_wait_loadcnt_dscnt 0x100
	v_dual_mul_f32 v169, v154, v151 :: v_dual_fmac_f32 v22, v123, v2
	v_mul_f32_e32 v2, v127, v7
	s_delay_alu instid0(VALU_DEP_3) | instskip(SKIP_4) | instid1(VALU_DEP_4)
	v_dual_fmac_f32 v156, v125, v4 :: v_dual_add_f32 v3, 0, v3
	v_fma_f32 v4, v124, v4, -v5
	v_dual_mul_f32 v158, v128, v9 :: v_dual_mul_f32 v159, v130, v11
	v_add_f32_e32 v5, 0, v22
	v_fma_f32 v2, v126, v6, -v2
	v_add_f32_e32 v3, v3, v4
	v_mul_f32_e32 v7, v129, v9
	v_dual_fmac_f32 v158, v129, v8 :: v_dual_fmac_f32 v157, v127, v6
	v_add_f32_e32 v4, v5, v156
	s_delay_alu instid0(VALU_DEP_4) | instskip(NEXT) | instid1(VALU_DEP_4)
	v_add_f32_e32 v2, v3, v2
	v_fma_f32 v6, v128, v8, -v7
	v_dual_mul_f32 v5, v131, v11 :: v_dual_mul_f32 v160, v132, v13
	v_mul_f32_e32 v161, v134, v15
	v_add_f32_e32 v3, v4, v157
	v_mul_f32_e32 v4, v133, v13
	v_add_f32_e32 v2, v2, v6
	v_fma_f32 v5, v130, v10, -v5
	v_dual_fmac_f32 v159, v131, v10 :: v_dual_fmac_f32 v160, v133, v12
	v_mul_f32_e32 v6, v135, v15
	s_delay_alu instid0(VALU_DEP_3) | instskip(SKIP_2) | instid1(VALU_DEP_4)
	v_dual_add_f32 v3, v3, v158 :: v_dual_add_f32 v2, v2, v5
	v_fma_f32 v4, v132, v12, -v4
	v_mul_f32_e32 v5, v137, v17
	v_fma_f32 v6, v134, v14, -v6
	s_delay_alu instid0(VALU_DEP_4) | instskip(SKIP_3) | instid1(VALU_DEP_4)
	v_dual_add_f32 v3, v3, v159 :: v_dual_mul_f32 v162, v136, v17
	v_mul_f32_e32 v163, v138, v19
	v_add_f32_e32 v2, v2, v4
	v_dual_mul_f32 v164, v140, v21 :: v_dual_mul_f32 v165, v142, v115
	v_dual_fmac_f32 v161, v135, v14 :: v_dual_fmac_f32 v162, v137, v16
	s_delay_alu instid0(VALU_DEP_3) | instskip(SKIP_3) | instid1(VALU_DEP_4)
	v_dual_add_f32 v3, v3, v160 :: v_dual_add_f32 v2, v2, v6
	v_mul_f32_e32 v4, v139, v19
	v_fma_f32 v5, v136, v16, -v5
	v_dual_mul_f32 v6, v141, v21 :: v_dual_fmac_f32 v163, v139, v18
	v_dual_add_f32 v3, v3, v161 :: v_dual_fmac_f32 v164, v141, v20
	s_delay_alu instid0(VALU_DEP_4) | instskip(NEXT) | instid1(VALU_DEP_4)
	v_fma_f32 v4, v138, v18, -v4
	v_add_f32_e32 v2, v2, v5
	s_delay_alu instid0(VALU_DEP_4) | instskip(NEXT) | instid1(VALU_DEP_4)
	v_fma_f32 v6, v140, v20, -v6
	v_add_f32_e32 v3, v3, v162
	v_mul_f32_e32 v5, v143, v115
	v_dual_mul_f32 v167, v146, v119 :: v_dual_mul_f32 v168, v148, v121
	s_delay_alu instid0(VALU_DEP_3) | instskip(SKIP_1) | instid1(VALU_DEP_4)
	v_dual_add_f32 v2, v2, v4 :: v_dual_add_f32 v3, v3, v163
	v_mul_f32_e32 v4, v145, v117
	v_fma_f32 v5, v142, v114, -v5
	v_dual_fmac_f32 v165, v143, v114 :: v_dual_fmac_f32 v166, v145, v116
	s_delay_alu instid0(VALU_DEP_4) | instskip(SKIP_2) | instid1(VALU_DEP_3)
	v_dual_add_f32 v2, v2, v6 :: v_dual_add_f32 v3, v3, v164
	v_mul_f32_e32 v6, v147, v119
	v_fma_f32 v4, v144, v116, -v4
	v_dual_fmac_f32 v167, v147, v118 :: v_dual_add_f32 v2, v2, v5
	s_delay_alu instid0(VALU_DEP_4) | instskip(SKIP_3) | instid1(VALU_DEP_4)
	v_add_f32_e32 v3, v3, v165
	v_mul_f32_e32 v5, v149, v121
	v_fma_f32 v6, v146, v118, -v6
	v_fmac_f32_e32 v168, v149, v120
	v_dual_add_f32 v2, v2, v4 :: v_dual_add_f32 v3, v3, v166
	v_mul_f32_e32 v4, v155, v151
	v_fma_f32 v5, v148, v120, -v5
	s_delay_alu instid0(VALU_DEP_3) | instskip(SKIP_1) | instid1(VALU_DEP_4)
	v_dual_add_f32 v2, v2, v6 :: v_dual_add_f32 v3, v3, v167
	v_fmac_f32_e32 v169, v155, v150
	v_fma_f32 v4, v154, v150, -v4
	s_delay_alu instid0(VALU_DEP_3) | instskip(NEXT) | instid1(VALU_DEP_1)
	v_add_f32_e32 v2, v2, v5
	v_add_f32_e32 v2, v2, v4
	s_wait_loadcnt 0x0
	s_delay_alu instid0(VALU_DEP_1) | instskip(NEXT) | instid1(VALU_DEP_1)
	v_dual_add_f32 v3, v3, v168 :: v_dual_sub_f32 v2, v152, v2
	v_add_f32_e32 v3, v3, v169
	s_delay_alu instid0(VALU_DEP_1)
	v_sub_f32_e32 v3, v153, v3
	scratch_store_b64 off, v[2:3], off offset:232
	v_cmpx_lt_u32_e32 28, v0
	s_cbranch_execz .LBB108_227
; %bb.226:
	scratch_load_b64 v[3:4], off, off offset:224
	v_mov_b32_e32 v2, v1
	scratch_store_b64 off, v[1:2], off offset:224
	s_wait_loadcnt 0x0
	ds_store_b64 v23, v[3:4]
.LBB108_227:
	s_wait_alu 0xfffe
	s_or_b32 exec_lo, exec_lo, s0
	s_wait_storecnt_dscnt 0x0
	s_barrier_signal -1
	s_barrier_wait -1
	global_inv scope:SCOPE_SE
	s_clause 0x8
	scratch_load_b128 v[2:5], off, off offset:232
	scratch_load_b128 v[6:9], off, off offset:248
	;; [unrolled: 1-line block ×8, first 2 shown]
	scratch_load_b64 v[158:159], off, off offset:224
	ds_load_2addr_b64 v[126:129], v1 offset0:75 offset1:76
	ds_load_2addr_b64 v[130:133], v1 offset0:77 offset1:78
	;; [unrolled: 1-line block ×8, first 2 shown]
	s_mov_b32 s0, exec_lo
	s_wait_loadcnt_dscnt 0x807
	v_dual_mul_f32 v1, v126, v3 :: v_dual_mul_f32 v22, v128, v5
	v_mul_f32_e32 v3, v127, v3
	s_wait_loadcnt_dscnt 0x706
	v_dual_mul_f32 v5, v129, v5 :: v_dual_mul_f32 v160, v130, v7
	s_delay_alu instid0(VALU_DEP_3) | instskip(NEXT) | instid1(VALU_DEP_3)
	v_dual_mul_f32 v161, v132, v9 :: v_dual_fmac_f32 v22, v129, v4
	v_fma_f32 v3, v126, v2, -v3
	v_fmac_f32_e32 v1, v127, v2
	v_mul_f32_e32 v2, v131, v7
	v_fma_f32 v4, v128, v4, -v5
	s_delay_alu instid0(VALU_DEP_4)
	v_dual_fmac_f32 v160, v131, v6 :: v_dual_add_f32 v3, 0, v3
	s_wait_loadcnt_dscnt 0x403
	v_dual_mul_f32 v166, v142, v19 :: v_dual_mul_f32 v167, v144, v21
	v_fma_f32 v2, v130, v6, -v2
	v_dual_mul_f32 v162, v134, v11 :: v_dual_mul_f32 v163, v136, v13
	v_add_f32_e32 v3, v3, v4
	v_dual_mul_f32 v5, v133, v9 :: v_dual_mul_f32 v164, v138, v15
	v_dual_mul_f32 v165, v140, v17 :: v_dual_mul_f32 v4, v135, v11
	s_delay_alu instid0(VALU_DEP_3) | instskip(NEXT) | instid1(VALU_DEP_3)
	v_add_f32_e32 v2, v3, v2
	v_fma_f32 v5, v132, v8, -v5
	v_dual_mul_f32 v3, v137, v13 :: v_dual_fmac_f32 v166, v143, v18
	s_delay_alu instid0(VALU_DEP_4) | instskip(SKIP_1) | instid1(VALU_DEP_4)
	v_fma_f32 v4, v134, v10, -v4
	v_dual_fmac_f32 v161, v133, v8 :: v_dual_fmac_f32 v162, v135, v10
	v_add_f32_e32 v2, v2, v5
	v_add_f32_e32 v1, 0, v1
	v_fma_f32 v3, v136, v12, -v3
	v_fmac_f32_e32 v164, v139, v14
	s_wait_loadcnt_dscnt 0x302
	v_dual_mul_f32 v168, v146, v115 :: v_dual_mul_f32 v169, v148, v117
	v_dual_add_f32 v1, v1, v22 :: v_dual_add_f32 v2, v2, v4
	v_mul_f32_e32 v4, v141, v17
	s_wait_loadcnt_dscnt 0x100
	v_dual_mul_f32 v172, v154, v123 :: v_dual_mul_f32 v173, v156, v125
	s_delay_alu instid0(VALU_DEP_3) | instskip(NEXT) | instid1(VALU_DEP_3)
	v_dual_add_f32 v1, v1, v160 :: v_dual_add_f32 v2, v2, v3
	v_fma_f32 v4, v140, v16, -v4
	v_mul_f32_e32 v5, v139, v15
	v_dual_mul_f32 v170, v150, v119 :: v_dual_mul_f32 v171, v152, v121
	s_delay_alu instid0(VALU_DEP_4) | instskip(SKIP_1) | instid1(VALU_DEP_4)
	v_add_f32_e32 v1, v1, v161
	v_fmac_f32_e32 v173, v157, v124
	v_fma_f32 v5, v138, v14, -v5
	v_dual_fmac_f32 v163, v137, v12 :: v_dual_fmac_f32 v168, v147, v114
	s_delay_alu instid0(VALU_DEP_4) | instskip(NEXT) | instid1(VALU_DEP_3)
	v_add_f32_e32 v1, v1, v162
	v_dual_fmac_f32 v171, v153, v120 :: v_dual_add_f32 v2, v2, v5
	v_fmac_f32_e32 v170, v151, v118
	v_fmac_f32_e32 v172, v155, v122
	s_delay_alu instid0(VALU_DEP_3) | instskip(SKIP_2) | instid1(VALU_DEP_2)
	v_add_f32_e32 v2, v2, v4
	v_mul_f32_e32 v4, v147, v115
	v_add_f32_e32 v1, v1, v163
	v_fma_f32 v4, v146, v114, -v4
	v_mul_f32_e32 v5, v145, v21
	s_delay_alu instid0(VALU_DEP_3) | instskip(NEXT) | instid1(VALU_DEP_2)
	v_add_f32_e32 v1, v1, v164
	v_fma_f32 v5, v144, v20, -v5
	v_mul_f32_e32 v3, v143, v19
	s_delay_alu instid0(VALU_DEP_1) | instskip(NEXT) | instid1(VALU_DEP_1)
	v_fma_f32 v3, v142, v18, -v3
	v_dual_fmac_f32 v165, v141, v16 :: v_dual_add_f32 v2, v2, v3
	v_mul_f32_e32 v3, v149, v117
	s_delay_alu instid0(VALU_DEP_2) | instskip(NEXT) | instid1(VALU_DEP_2)
	v_dual_add_f32 v2, v2, v5 :: v_dual_mul_f32 v5, v151, v119
	v_fma_f32 v3, v148, v116, -v3
	s_delay_alu instid0(VALU_DEP_2) | instskip(SKIP_1) | instid1(VALU_DEP_4)
	v_dual_add_f32 v2, v2, v4 :: v_dual_add_f32 v1, v1, v165
	v_mul_f32_e32 v4, v153, v121
	v_fma_f32 v5, v150, v118, -v5
	s_delay_alu instid0(VALU_DEP_3) | instskip(SKIP_1) | instid1(VALU_DEP_4)
	v_dual_add_f32 v2, v2, v3 :: v_dual_fmac_f32 v167, v145, v20
	v_mul_f32_e32 v3, v155, v123
	v_fma_f32 v4, v152, v120, -v4
	s_delay_alu instid0(VALU_DEP_3) | instskip(SKIP_1) | instid1(VALU_DEP_4)
	v_dual_add_f32 v2, v2, v5 :: v_dual_add_f32 v1, v1, v166
	v_mul_f32_e32 v5, v157, v125
	v_fma_f32 v3, v154, v122, -v3
	s_delay_alu instid0(VALU_DEP_3) | instskip(SKIP_1) | instid1(VALU_DEP_4)
	v_add_f32_e32 v2, v2, v4
	v_fmac_f32_e32 v169, v149, v116
	v_fma_f32 v4, v156, v124, -v5
	s_delay_alu instid0(VALU_DEP_3) | instskip(NEXT) | instid1(VALU_DEP_1)
	v_add_f32_e32 v2, v2, v3
	v_dual_add_f32 v1, v1, v167 :: v_dual_add_f32 v2, v2, v4
	s_delay_alu instid0(VALU_DEP_1) | instskip(NEXT) | instid1(VALU_DEP_1)
	v_add_f32_e32 v1, v1, v168
	v_add_f32_e32 v1, v1, v169
	s_delay_alu instid0(VALU_DEP_1) | instskip(NEXT) | instid1(VALU_DEP_1)
	v_add_f32_e32 v1, v1, v170
	v_add_f32_e32 v1, v1, v171
	;; [unrolled: 3-line block ×3, first 2 shown]
	s_wait_loadcnt 0x0
	s_delay_alu instid0(VALU_DEP_1)
	v_dual_sub_f32 v1, v158, v2 :: v_dual_sub_f32 v2, v159, v3
	scratch_store_b64 off, v[1:2], off offset:224
	v_cmpx_lt_u32_e32 27, v0
	s_cbranch_execz .LBB108_229
; %bb.228:
	scratch_load_b64 v[1:2], off, off offset:216
	v_mov_b32_e32 v3, 0
	s_delay_alu instid0(VALU_DEP_1)
	v_mov_b32_e32 v4, v3
	scratch_store_b64 off, v[3:4], off offset:216
	s_wait_loadcnt 0x0
	ds_store_b64 v23, v[1:2]
.LBB108_229:
	s_wait_alu 0xfffe
	s_or_b32 exec_lo, exec_lo, s0
	s_wait_storecnt_dscnt 0x0
	s_barrier_signal -1
	s_barrier_wait -1
	global_inv scope:SCOPE_SE
	s_clause 0x9
	scratch_load_b128 v[2:5], off, off offset:224
	scratch_load_b128 v[6:9], off, off offset:240
	;; [unrolled: 1-line block ×8, first 2 shown]
	scratch_load_b64 v[158:159], off, off offset:352
	scratch_load_b64 v[160:161], off, off offset:216
	v_mov_b32_e32 v1, 0
	ds_load_b128 v[126:129], v1 offset:592
	ds_load_b128 v[130:133], v1 offset:608
	;; [unrolled: 1-line block ×8, first 2 shown]
	ds_load_b64 v[162:163], v1 offset:720
	s_mov_b32 s0, exec_lo
	s_wait_loadcnt_dscnt 0x908
	v_mul_f32_e32 v22, v126, v3
	s_wait_loadcnt_dscnt 0x807
	v_dual_mul_f32 v164, v128, v5 :: v_dual_mul_f32 v165, v130, v7
	v_mul_f32_e32 v3, v127, v3
	s_delay_alu instid0(VALU_DEP_3)
	v_dual_mul_f32 v5, v129, v5 :: v_dual_fmac_f32 v22, v127, v2
	s_wait_loadcnt_dscnt 0x302
	v_mul_f32_e32 v176, v152, v121
	v_dual_mul_f32 v166, v132, v9 :: v_dual_mul_f32 v167, v134, v11
	s_wait_loadcnt_dscnt 0x100
	v_mul_f32_e32 v179, v162, v159
	v_fma_f32 v3, v126, v2, -v3
	v_mul_f32_e32 v2, v131, v7
	v_fmac_f32_e32 v164, v129, v4
	v_fma_f32 v4, v128, v4, -v5
	v_dual_add_f32 v5, 0, v22 :: v_dual_fmac_f32 v166, v133, v8
	v_add_f32_e32 v3, 0, v3
	v_fmac_f32_e32 v165, v131, v6
	v_fma_f32 v2, v130, v6, -v2
	v_dual_mul_f32 v168, v136, v13 :: v_dual_mul_f32 v169, v138, v15
	s_delay_alu instid0(VALU_DEP_4) | instskip(SKIP_2) | instid1(VALU_DEP_4)
	v_add_f32_e32 v3, v3, v4
	v_mul_f32_e32 v7, v133, v9
	v_dual_add_f32 v4, v5, v164 :: v_dual_fmac_f32 v167, v135, v10
	v_fmac_f32_e32 v168, v137, v12
	s_delay_alu instid0(VALU_DEP_4) | instskip(NEXT) | instid1(VALU_DEP_4)
	v_add_f32_e32 v2, v3, v2
	v_fma_f32 v6, v132, v8, -v7
	v_mul_f32_e32 v5, v135, v11
	v_add_f32_e32 v3, v4, v165
	v_mul_f32_e32 v4, v137, v13
	v_dual_mul_f32 v170, v140, v17 :: v_dual_mul_f32 v171, v142, v19
	v_add_f32_e32 v2, v2, v6
	v_fma_f32 v5, v134, v10, -v5
	v_mul_f32_e32 v6, v139, v15
	v_add_f32_e32 v3, v3, v166
	v_fma_f32 v4, v136, v12, -v4
	v_dual_fmac_f32 v169, v139, v14 :: v_dual_fmac_f32 v170, v141, v16
	s_delay_alu instid0(VALU_DEP_3) | instskip(SKIP_3) | instid1(VALU_DEP_4)
	v_dual_add_f32 v2, v2, v5 :: v_dual_add_f32 v3, v3, v167
	v_mul_f32_e32 v5, v141, v17
	v_fma_f32 v6, v138, v14, -v6
	v_dual_mul_f32 v172, v144, v21 :: v_dual_mul_f32 v173, v146, v115
	v_add_f32_e32 v2, v2, v4
	v_add_f32_e32 v3, v3, v168
	v_mul_f32_e32 v4, v143, v19
	v_fma_f32 v5, v140, v16, -v5
	v_fmac_f32_e32 v171, v143, v18
	s_delay_alu instid0(VALU_DEP_4) | instskip(SKIP_3) | instid1(VALU_DEP_4)
	v_dual_add_f32 v2, v2, v6 :: v_dual_add_f32 v3, v3, v169
	v_fmac_f32_e32 v172, v145, v20
	v_mul_f32_e32 v6, v145, v21
	v_fma_f32 v4, v142, v18, -v4
	v_dual_add_f32 v2, v2, v5 :: v_dual_add_f32 v3, v3, v170
	v_mul_f32_e32 v5, v147, v115
	s_delay_alu instid0(VALU_DEP_4) | instskip(SKIP_1) | instid1(VALU_DEP_4)
	v_fma_f32 v6, v144, v20, -v6
	v_dual_mul_f32 v174, v148, v117 :: v_dual_mul_f32 v175, v150, v119
	v_dual_add_f32 v2, v2, v4 :: v_dual_add_f32 v3, v3, v171
	v_dual_mul_f32 v4, v149, v117 :: v_dual_fmac_f32 v173, v147, v114
	s_delay_alu instid0(VALU_DEP_3) | instskip(SKIP_1) | instid1(VALU_DEP_4)
	v_fmac_f32_e32 v174, v149, v116
	v_fma_f32 v5, v146, v114, -v5
	v_dual_add_f32 v2, v2, v6 :: v_dual_add_f32 v3, v3, v172
	v_mul_f32_e32 v6, v151, v119
	v_fma_f32 v4, v148, v116, -v4
	s_delay_alu instid0(VALU_DEP_3) | instskip(NEXT) | instid1(VALU_DEP_4)
	v_dual_fmac_f32 v175, v151, v118 :: v_dual_add_f32 v2, v2, v5
	v_add_f32_e32 v3, v3, v173
	v_mul_f32_e32 v5, v153, v121
	v_fma_f32 v6, v150, v118, -v6
	v_dual_mul_f32 v177, v154, v123 :: v_dual_mul_f32 v178, v156, v125
	s_delay_alu instid0(VALU_DEP_4) | instskip(SKIP_3) | instid1(VALU_DEP_4)
	v_dual_add_f32 v2, v2, v4 :: v_dual_add_f32 v3, v3, v174
	v_fmac_f32_e32 v176, v153, v120
	v_mul_f32_e32 v4, v155, v123
	v_fma_f32 v5, v152, v120, -v5
	v_dual_add_f32 v2, v2, v6 :: v_dual_add_f32 v3, v3, v175
	v_dual_mul_f32 v6, v157, v125 :: v_dual_fmac_f32 v177, v155, v122
	s_delay_alu instid0(VALU_DEP_4) | instskip(NEXT) | instid1(VALU_DEP_3)
	v_fma_f32 v4, v154, v122, -v4
	v_dual_add_f32 v2, v2, v5 :: v_dual_add_f32 v3, v3, v176
	v_dual_mul_f32 v5, v163, v159 :: v_dual_fmac_f32 v178, v157, v124
	s_delay_alu instid0(VALU_DEP_4) | instskip(NEXT) | instid1(VALU_DEP_3)
	v_fma_f32 v6, v156, v124, -v6
	v_dual_add_f32 v2, v2, v4 :: v_dual_add_f32 v3, v3, v177
	s_delay_alu instid0(VALU_DEP_3) | instskip(NEXT) | instid1(VALU_DEP_2)
	v_fma_f32 v4, v162, v158, -v5
	v_add_f32_e32 v3, v3, v178
	s_delay_alu instid0(VALU_DEP_3) | instskip(NEXT) | instid1(VALU_DEP_1)
	v_add_f32_e32 v2, v2, v6
	v_dual_fmac_f32 v179, v163, v158 :: v_dual_add_f32 v2, v2, v4
	s_wait_loadcnt 0x0
	s_delay_alu instid0(VALU_DEP_1) | instskip(NEXT) | instid1(VALU_DEP_1)
	v_dual_add_f32 v3, v3, v179 :: v_dual_sub_f32 v2, v160, v2
	v_sub_f32_e32 v3, v161, v3
	scratch_store_b64 off, v[2:3], off offset:216
	v_cmpx_lt_u32_e32 26, v0
	s_cbranch_execz .LBB108_231
; %bb.230:
	scratch_load_b64 v[3:4], off, off offset:208
	v_mov_b32_e32 v2, v1
	scratch_store_b64 off, v[1:2], off offset:208
	s_wait_loadcnt 0x0
	ds_store_b64 v23, v[3:4]
.LBB108_231:
	s_wait_alu 0xfffe
	s_or_b32 exec_lo, exec_lo, s0
	s_wait_storecnt_dscnt 0x0
	s_barrier_signal -1
	s_barrier_wait -1
	global_inv scope:SCOPE_SE
	s_clause 0x9
	scratch_load_b128 v[2:5], off, off offset:216
	scratch_load_b128 v[6:9], off, off offset:232
	;; [unrolled: 1-line block ×9, first 2 shown]
	scratch_load_b64 v[166:167], off, off offset:208
	ds_load_2addr_b64 v[130:133], v1 offset0:73 offset1:74
	ds_load_2addr_b64 v[134:137], v1 offset0:75 offset1:76
	;; [unrolled: 1-line block ×9, first 2 shown]
	s_mov_b32 s0, exec_lo
	s_wait_loadcnt_dscnt 0x908
	v_dual_mul_f32 v1, v130, v3 :: v_dual_mul_f32 v22, v132, v5
	v_mul_f32_e32 v3, v131, v3
	s_wait_loadcnt_dscnt 0x807
	v_dual_mul_f32 v5, v133, v5 :: v_dual_mul_f32 v168, v134, v7
	s_delay_alu instid0(VALU_DEP_3) | instskip(NEXT) | instid1(VALU_DEP_3)
	v_dual_mul_f32 v169, v136, v9 :: v_dual_fmac_f32 v22, v133, v4
	v_fma_f32 v3, v130, v2, -v3
	v_fmac_f32_e32 v1, v131, v2
	v_mul_f32_e32 v2, v135, v7
	v_fma_f32 v4, v132, v4, -v5
	s_delay_alu instid0(VALU_DEP_4)
	v_dual_fmac_f32 v168, v135, v6 :: v_dual_add_f32 v3, 0, v3
	s_wait_loadcnt_dscnt 0x504
	v_dual_mul_f32 v174, v146, v19 :: v_dual_mul_f32 v175, v148, v21
	v_fma_f32 v2, v134, v6, -v2
	v_dual_mul_f32 v170, v138, v11 :: v_dual_mul_f32 v171, v140, v13
	v_add_f32_e32 v3, v3, v4
	v_dual_mul_f32 v5, v137, v9 :: v_dual_mul_f32 v172, v142, v15
	v_dual_mul_f32 v173, v144, v17 :: v_dual_mul_f32 v4, v139, v11
	s_delay_alu instid0(VALU_DEP_3) | instskip(NEXT) | instid1(VALU_DEP_3)
	v_add_f32_e32 v2, v3, v2
	v_fma_f32 v5, v136, v8, -v5
	v_dual_mul_f32 v3, v141, v13 :: v_dual_fmac_f32 v174, v147, v18
	s_delay_alu instid0(VALU_DEP_4) | instskip(SKIP_1) | instid1(VALU_DEP_4)
	v_fma_f32 v4, v138, v10, -v4
	v_dual_fmac_f32 v169, v137, v8 :: v_dual_fmac_f32 v170, v139, v10
	v_add_f32_e32 v2, v2, v5
	v_add_f32_e32 v1, 0, v1
	v_fma_f32 v3, v140, v12, -v3
	v_fmac_f32_e32 v172, v143, v14
	s_wait_loadcnt_dscnt 0x403
	v_dual_mul_f32 v176, v150, v115 :: v_dual_mul_f32 v177, v152, v117
	v_dual_add_f32 v1, v1, v22 :: v_dual_add_f32 v2, v2, v4
	v_mul_f32_e32 v4, v145, v17
	s_wait_loadcnt_dscnt 0x201
	v_dual_mul_f32 v180, v158, v123 :: v_dual_mul_f32 v181, v160, v125
	s_delay_alu instid0(VALU_DEP_3) | instskip(NEXT) | instid1(VALU_DEP_3)
	v_dual_add_f32 v1, v1, v168 :: v_dual_add_f32 v2, v2, v3
	v_fma_f32 v4, v144, v16, -v4
	v_mul_f32_e32 v5, v143, v15
	v_dual_mul_f32 v178, v154, v119 :: v_dual_mul_f32 v179, v156, v121
	s_wait_loadcnt_dscnt 0x100
	v_dual_add_f32 v1, v1, v169 :: v_dual_mul_f32 v182, v162, v127
	v_mul_f32_e32 v183, v164, v129
	v_fma_f32 v5, v142, v14, -v5
	v_fmac_f32_e32 v171, v141, v12
	s_delay_alu instid0(VALU_DEP_4) | instskip(SKIP_1) | instid1(VALU_DEP_4)
	v_add_f32_e32 v1, v1, v170
	v_dual_fmac_f32 v176, v151, v114 :: v_dual_fmac_f32 v177, v153, v116
	v_add_f32_e32 v2, v2, v5
	v_dual_fmac_f32 v178, v155, v118 :: v_dual_fmac_f32 v181, v161, v124
	v_dual_fmac_f32 v183, v165, v128 :: v_dual_fmac_f32 v180, v159, v122
	s_delay_alu instid0(VALU_DEP_3) | instskip(SKIP_2) | instid1(VALU_DEP_2)
	v_add_f32_e32 v2, v2, v4
	v_mul_f32_e32 v4, v151, v115
	v_dual_add_f32 v1, v1, v171 :: v_dual_fmac_f32 v182, v163, v126
	v_fma_f32 v4, v150, v114, -v4
	v_mul_f32_e32 v5, v149, v21
	s_delay_alu instid0(VALU_DEP_3) | instskip(NEXT) | instid1(VALU_DEP_2)
	v_add_f32_e32 v1, v1, v172
	v_fma_f32 v5, v148, v20, -v5
	v_mul_f32_e32 v3, v147, v19
	s_delay_alu instid0(VALU_DEP_1) | instskip(NEXT) | instid1(VALU_DEP_1)
	v_fma_f32 v3, v146, v18, -v3
	v_dual_fmac_f32 v173, v145, v16 :: v_dual_add_f32 v2, v2, v3
	v_mul_f32_e32 v3, v153, v117
	s_delay_alu instid0(VALU_DEP_2) | instskip(NEXT) | instid1(VALU_DEP_2)
	v_dual_add_f32 v2, v2, v5 :: v_dual_mul_f32 v5, v155, v119
	v_fma_f32 v3, v152, v116, -v3
	s_delay_alu instid0(VALU_DEP_2) | instskip(SKIP_1) | instid1(VALU_DEP_4)
	v_dual_add_f32 v2, v2, v4 :: v_dual_add_f32 v1, v1, v173
	v_mul_f32_e32 v4, v157, v121
	v_fma_f32 v5, v154, v118, -v5
	s_delay_alu instid0(VALU_DEP_3) | instskip(NEXT) | instid1(VALU_DEP_3)
	v_dual_add_f32 v2, v2, v3 :: v_dual_fmac_f32 v175, v149, v20
	v_fma_f32 v4, v156, v120, -v4
	s_delay_alu instid0(VALU_DEP_2) | instskip(SKIP_1) | instid1(VALU_DEP_2)
	v_add_f32_e32 v2, v2, v5
	v_mul_f32_e32 v5, v161, v125
	v_dual_add_f32 v1, v1, v174 :: v_dual_add_f32 v2, v2, v4
	s_delay_alu instid0(VALU_DEP_2) | instskip(SKIP_1) | instid1(VALU_DEP_3)
	v_fma_f32 v5, v160, v124, -v5
	v_mul_f32_e32 v3, v159, v123
	v_add_f32_e32 v1, v1, v175
	v_mul_f32_e32 v4, v163, v127
	s_delay_alu instid0(VALU_DEP_3) | instskip(NEXT) | instid1(VALU_DEP_3)
	v_fma_f32 v3, v158, v122, -v3
	v_add_f32_e32 v1, v1, v176
	s_delay_alu instid0(VALU_DEP_3) | instskip(NEXT) | instid1(VALU_DEP_3)
	v_fma_f32 v4, v162, v126, -v4
	v_dual_add_f32 v2, v2, v3 :: v_dual_mul_f32 v3, v165, v129
	s_delay_alu instid0(VALU_DEP_1) | instskip(NEXT) | instid1(VALU_DEP_4)
	v_add_f32_e32 v2, v2, v5
	v_add_f32_e32 v1, v1, v177
	s_delay_alu instid0(VALU_DEP_3) | instskip(NEXT) | instid1(VALU_DEP_3)
	v_fma_f32 v3, v164, v128, -v3
	v_add_f32_e32 v2, v2, v4
	v_fmac_f32_e32 v179, v157, v120
	s_delay_alu instid0(VALU_DEP_2) | instskip(NEXT) | instid1(VALU_DEP_1)
	v_dual_add_f32 v1, v1, v178 :: v_dual_add_f32 v2, v2, v3
	v_add_f32_e32 v1, v1, v179
	s_delay_alu instid0(VALU_DEP_1) | instskip(NEXT) | instid1(VALU_DEP_1)
	v_add_f32_e32 v1, v1, v180
	v_add_f32_e32 v1, v1, v181
	s_delay_alu instid0(VALU_DEP_1) | instskip(NEXT) | instid1(VALU_DEP_1)
	v_add_f32_e32 v1, v1, v182
	v_add_f32_e32 v3, v1, v183
	s_wait_loadcnt 0x0
	s_delay_alu instid0(VALU_DEP_1)
	v_dual_sub_f32 v1, v166, v2 :: v_dual_sub_f32 v2, v167, v3
	scratch_store_b64 off, v[1:2], off offset:208
	v_cmpx_lt_u32_e32 25, v0
	s_cbranch_execz .LBB108_233
; %bb.232:
	scratch_load_b64 v[1:2], off, off offset:200
	v_mov_b32_e32 v3, 0
	s_delay_alu instid0(VALU_DEP_1)
	v_mov_b32_e32 v4, v3
	scratch_store_b64 off, v[3:4], off offset:200
	s_wait_loadcnt 0x0
	ds_store_b64 v23, v[1:2]
.LBB108_233:
	s_wait_alu 0xfffe
	s_or_b32 exec_lo, exec_lo, s0
	s_wait_storecnt_dscnt 0x0
	s_barrier_signal -1
	s_barrier_wait -1
	global_inv scope:SCOPE_SE
	s_clause 0xa
	scratch_load_b128 v[2:5], off, off offset:208
	scratch_load_b128 v[6:9], off, off offset:224
	;; [unrolled: 1-line block ×9, first 2 shown]
	scratch_load_b64 v[166:167], off, off offset:352
	scratch_load_b64 v[168:169], off, off offset:200
	v_mov_b32_e32 v1, 0
	ds_load_b128 v[130:133], v1 offset:576
	ds_load_b128 v[134:137], v1 offset:592
	;; [unrolled: 1-line block ×9, first 2 shown]
	ds_load_b64 v[170:171], v1 offset:720
	s_mov_b32 s0, exec_lo
	s_wait_loadcnt_dscnt 0xa09
	v_mul_f32_e32 v22, v130, v3
	s_wait_loadcnt_dscnt 0x908
	v_dual_mul_f32 v172, v132, v5 :: v_dual_mul_f32 v173, v134, v7
	v_mul_f32_e32 v3, v131, v3
	s_delay_alu instid0(VALU_DEP_3)
	v_dual_mul_f32 v5, v133, v5 :: v_dual_fmac_f32 v22, v131, v2
	s_wait_loadcnt_dscnt 0x807
	v_dual_mul_f32 v174, v136, v9 :: v_dual_mul_f32 v175, v138, v11
	s_wait_loadcnt_dscnt 0x100
	v_dual_mul_f32 v186, v160, v125 :: v_dual_mul_f32 v189, v170, v167
	v_fma_f32 v3, v130, v2, -v3
	v_mul_f32_e32 v2, v135, v7
	v_fmac_f32_e32 v172, v133, v4
	v_fma_f32 v4, v132, v4, -v5
	v_dual_add_f32 v5, 0, v22 :: v_dual_fmac_f32 v174, v137, v8
	v_add_f32_e32 v3, 0, v3
	v_fmac_f32_e32 v173, v135, v6
	v_fma_f32 v2, v134, v6, -v2
	v_dual_mul_f32 v176, v140, v13 :: v_dual_mul_f32 v177, v142, v15
	s_delay_alu instid0(VALU_DEP_4) | instskip(SKIP_2) | instid1(VALU_DEP_4)
	v_add_f32_e32 v3, v3, v4
	v_mul_f32_e32 v7, v137, v9
	v_dual_add_f32 v4, v5, v172 :: v_dual_fmac_f32 v175, v139, v10
	v_fmac_f32_e32 v176, v141, v12
	s_delay_alu instid0(VALU_DEP_4) | instskip(NEXT) | instid1(VALU_DEP_4)
	v_add_f32_e32 v2, v3, v2
	v_fma_f32 v6, v136, v8, -v7
	v_mul_f32_e32 v5, v139, v11
	v_add_f32_e32 v3, v4, v173
	v_mul_f32_e32 v4, v141, v13
	v_dual_mul_f32 v178, v144, v17 :: v_dual_mul_f32 v179, v146, v19
	v_add_f32_e32 v2, v2, v6
	v_fma_f32 v5, v138, v10, -v5
	v_mul_f32_e32 v6, v143, v15
	v_add_f32_e32 v3, v3, v174
	v_fma_f32 v4, v140, v12, -v4
	v_dual_fmac_f32 v177, v143, v14 :: v_dual_fmac_f32 v178, v145, v16
	s_delay_alu instid0(VALU_DEP_3) | instskip(SKIP_3) | instid1(VALU_DEP_4)
	v_dual_add_f32 v2, v2, v5 :: v_dual_add_f32 v3, v3, v175
	v_mul_f32_e32 v5, v145, v17
	v_fma_f32 v6, v142, v14, -v6
	v_dual_mul_f32 v180, v148, v21 :: v_dual_mul_f32 v181, v150, v115
	v_add_f32_e32 v2, v2, v4
	v_add_f32_e32 v3, v3, v176
	v_mul_f32_e32 v4, v147, v19
	v_fma_f32 v5, v144, v16, -v5
	v_fmac_f32_e32 v179, v147, v18
	s_delay_alu instid0(VALU_DEP_4) | instskip(SKIP_3) | instid1(VALU_DEP_4)
	v_dual_add_f32 v2, v2, v6 :: v_dual_add_f32 v3, v3, v177
	v_fmac_f32_e32 v180, v149, v20
	v_mul_f32_e32 v6, v149, v21
	v_fma_f32 v4, v146, v18, -v4
	v_dual_add_f32 v2, v2, v5 :: v_dual_add_f32 v3, v3, v178
	v_mul_f32_e32 v5, v151, v115
	s_delay_alu instid0(VALU_DEP_4) | instskip(SKIP_1) | instid1(VALU_DEP_4)
	v_fma_f32 v6, v148, v20, -v6
	v_dual_mul_f32 v182, v152, v117 :: v_dual_mul_f32 v183, v154, v119
	v_dual_add_f32 v2, v2, v4 :: v_dual_add_f32 v3, v3, v179
	v_dual_mul_f32 v4, v153, v117 :: v_dual_fmac_f32 v181, v151, v114
	s_delay_alu instid0(VALU_DEP_3) | instskip(SKIP_1) | instid1(VALU_DEP_4)
	v_fmac_f32_e32 v182, v153, v116
	v_fma_f32 v5, v150, v114, -v5
	v_dual_add_f32 v2, v2, v6 :: v_dual_add_f32 v3, v3, v180
	v_mul_f32_e32 v6, v155, v119
	v_fma_f32 v4, v152, v116, -v4
	s_delay_alu instid0(VALU_DEP_3) | instskip(NEXT) | instid1(VALU_DEP_4)
	v_dual_fmac_f32 v183, v155, v118 :: v_dual_add_f32 v2, v2, v5
	v_add_f32_e32 v3, v3, v181
	v_dual_mul_f32 v184, v156, v121 :: v_dual_mul_f32 v185, v158, v123
	v_mul_f32_e32 v5, v157, v121
	v_fma_f32 v6, v154, v118, -v6
	s_delay_alu instid0(VALU_DEP_4) | instskip(NEXT) | instid1(VALU_DEP_4)
	v_dual_add_f32 v2, v2, v4 :: v_dual_add_f32 v3, v3, v182
	v_fmac_f32_e32 v184, v157, v120
	v_mul_f32_e32 v4, v159, v123
	v_fma_f32 v5, v156, v120, -v5
	s_delay_alu instid0(VALU_DEP_4) | instskip(SKIP_1) | instid1(VALU_DEP_4)
	v_dual_add_f32 v2, v2, v6 :: v_dual_add_f32 v3, v3, v183
	v_dual_mul_f32 v6, v161, v125 :: v_dual_fmac_f32 v185, v159, v122
	v_fma_f32 v4, v158, v122, -v4
	s_delay_alu instid0(VALU_DEP_3) | instskip(SKIP_3) | instid1(VALU_DEP_4)
	v_dual_add_f32 v2, v2, v5 :: v_dual_add_f32 v3, v3, v184
	v_dual_mul_f32 v187, v162, v127 :: v_dual_mul_f32 v188, v164, v129
	v_dual_mul_f32 v5, v163, v127 :: v_dual_fmac_f32 v186, v161, v124
	v_fma_f32 v6, v160, v124, -v6
	v_dual_add_f32 v2, v2, v4 :: v_dual_add_f32 v3, v3, v185
	s_delay_alu instid0(VALU_DEP_4) | instskip(NEXT) | instid1(VALU_DEP_4)
	v_dual_mul_f32 v4, v165, v129 :: v_dual_fmac_f32 v187, v163, v126
	v_fma_f32 v5, v162, v126, -v5
	s_delay_alu instid0(VALU_DEP_3) | instskip(NEXT) | instid1(VALU_DEP_4)
	v_dual_fmac_f32 v188, v165, v128 :: v_dual_add_f32 v3, v3, v186
	v_add_f32_e32 v2, v2, v6
	v_mul_f32_e32 v6, v171, v167
	v_fma_f32 v4, v164, v128, -v4
	v_fmac_f32_e32 v189, v171, v166
	s_delay_alu instid0(VALU_DEP_4) | instskip(NEXT) | instid1(VALU_DEP_4)
	v_dual_add_f32 v3, v3, v187 :: v_dual_add_f32 v2, v2, v5
	v_fma_f32 v5, v170, v166, -v6
	s_delay_alu instid0(VALU_DEP_2) | instskip(NEXT) | instid1(VALU_DEP_1)
	v_add_f32_e32 v3, v3, v188
	v_dual_add_f32 v2, v2, v4 :: v_dual_add_f32 v3, v3, v189
	s_wait_loadcnt 0x0
	s_delay_alu instid0(VALU_DEP_1) | instskip(NEXT) | instid1(VALU_DEP_1)
	v_dual_add_f32 v2, v2, v5 :: v_dual_sub_f32 v3, v169, v3
	v_sub_f32_e32 v2, v168, v2
	scratch_store_b64 off, v[2:3], off offset:200
	v_cmpx_lt_u32_e32 24, v0
	s_cbranch_execz .LBB108_235
; %bb.234:
	scratch_load_b64 v[3:4], off, off offset:192
	v_mov_b32_e32 v2, v1
	scratch_store_b64 off, v[1:2], off offset:192
	s_wait_loadcnt 0x0
	ds_store_b64 v23, v[3:4]
.LBB108_235:
	s_wait_alu 0xfffe
	s_or_b32 exec_lo, exec_lo, s0
	s_wait_storecnt_dscnt 0x0
	s_barrier_signal -1
	s_barrier_wait -1
	global_inv scope:SCOPE_SE
	s_clause 0xa
	scratch_load_b128 v[2:5], off, off offset:200
	scratch_load_b128 v[6:9], off, off offset:216
	;; [unrolled: 1-line block ×10, first 2 shown]
	scratch_load_b64 v[174:175], off, off offset:192
	ds_load_2addr_b64 v[134:137], v1 offset0:71 offset1:72
	ds_load_2addr_b64 v[138:141], v1 offset0:73 offset1:74
	;; [unrolled: 1-line block ×10, first 2 shown]
	s_mov_b32 s0, exec_lo
	s_wait_loadcnt_dscnt 0xa09
	v_dual_mul_f32 v1, v134, v3 :: v_dual_mul_f32 v22, v136, v5
	v_mul_f32_e32 v3, v135, v3
	s_wait_loadcnt_dscnt 0x908
	v_dual_mul_f32 v5, v137, v5 :: v_dual_mul_f32 v176, v138, v7
	s_delay_alu instid0(VALU_DEP_3) | instskip(NEXT) | instid1(VALU_DEP_3)
	v_dual_mul_f32 v177, v140, v9 :: v_dual_fmac_f32 v22, v137, v4
	v_fma_f32 v3, v134, v2, -v3
	v_fmac_f32_e32 v1, v135, v2
	v_mul_f32_e32 v2, v139, v7
	v_fma_f32 v4, v136, v4, -v5
	s_delay_alu instid0(VALU_DEP_4)
	v_dual_fmac_f32 v176, v139, v6 :: v_dual_add_f32 v3, 0, v3
	s_wait_loadcnt_dscnt 0x605
	v_dual_mul_f32 v182, v150, v19 :: v_dual_mul_f32 v183, v152, v21
	v_fma_f32 v2, v138, v6, -v2
	v_dual_mul_f32 v178, v142, v11 :: v_dual_mul_f32 v179, v144, v13
	v_add_f32_e32 v3, v3, v4
	v_dual_mul_f32 v5, v141, v9 :: v_dual_mul_f32 v180, v146, v15
	v_dual_mul_f32 v181, v148, v17 :: v_dual_mul_f32 v4, v143, v11
	s_delay_alu instid0(VALU_DEP_3) | instskip(NEXT) | instid1(VALU_DEP_3)
	v_add_f32_e32 v2, v3, v2
	v_fma_f32 v5, v140, v8, -v5
	v_dual_mul_f32 v3, v145, v13 :: v_dual_fmac_f32 v182, v151, v18
	s_delay_alu instid0(VALU_DEP_4) | instskip(SKIP_1) | instid1(VALU_DEP_4)
	v_fma_f32 v4, v142, v10, -v4
	v_dual_fmac_f32 v177, v141, v8 :: v_dual_fmac_f32 v178, v143, v10
	v_add_f32_e32 v2, v2, v5
	v_add_f32_e32 v1, 0, v1
	v_fma_f32 v3, v144, v12, -v3
	v_fmac_f32_e32 v180, v147, v14
	s_wait_loadcnt_dscnt 0x504
	v_dual_mul_f32 v184, v154, v115 :: v_dual_mul_f32 v185, v156, v117
	v_dual_add_f32 v1, v1, v22 :: v_dual_add_f32 v2, v2, v4
	v_mul_f32_e32 v4, v149, v17
	s_wait_loadcnt_dscnt 0x302
	v_dual_mul_f32 v188, v162, v123 :: v_dual_mul_f32 v189, v164, v125
	s_delay_alu instid0(VALU_DEP_3) | instskip(NEXT) | instid1(VALU_DEP_3)
	v_dual_add_f32 v1, v1, v176 :: v_dual_add_f32 v2, v2, v3
	v_fma_f32 v4, v148, v16, -v4
	v_mul_f32_e32 v5, v147, v15
	v_dual_mul_f32 v186, v158, v119 :: v_dual_mul_f32 v187, v160, v121
	s_wait_loadcnt_dscnt 0x201
	v_dual_add_f32 v1, v1, v177 :: v_dual_mul_f32 v190, v166, v127
	v_mul_f32_e32 v191, v168, v129
	v_fma_f32 v5, v146, v14, -v5
	v_fmac_f32_e32 v179, v145, v12
	s_delay_alu instid0(VALU_DEP_4) | instskip(SKIP_1) | instid1(VALU_DEP_4)
	v_add_f32_e32 v1, v1, v178
	v_dual_fmac_f32 v184, v155, v114 :: v_dual_fmac_f32 v185, v157, v116
	v_add_f32_e32 v2, v2, v5
	v_fmac_f32_e32 v186, v159, v118
	s_wait_loadcnt_dscnt 0x100
	v_dual_mul_f32 v192, v170, v131 :: v_dual_mul_f32 v193, v172, v133
	v_fmac_f32_e32 v187, v161, v120
	v_add_f32_e32 v2, v2, v4
	v_mul_f32_e32 v4, v155, v115
	s_delay_alu instid0(VALU_DEP_4) | instskip(SKIP_2) | instid1(VALU_DEP_4)
	v_dual_add_f32 v1, v1, v179 :: v_dual_fmac_f32 v192, v171, v130
	v_fmac_f32_e32 v189, v165, v124
	v_fmac_f32_e32 v191, v169, v128
	v_fma_f32 v4, v154, v114, -v4
	v_mul_f32_e32 v5, v153, v21
	v_add_f32_e32 v1, v1, v180
	v_dual_fmac_f32 v193, v173, v132 :: v_dual_fmac_f32 v188, v163, v122
	v_fmac_f32_e32 v190, v167, v126
	s_delay_alu instid0(VALU_DEP_4) | instskip(SKIP_1) | instid1(VALU_DEP_1)
	v_fma_f32 v5, v152, v20, -v5
	v_mul_f32_e32 v3, v151, v19
	v_fma_f32 v3, v150, v18, -v3
	s_delay_alu instid0(VALU_DEP_1) | instskip(SKIP_1) | instid1(VALU_DEP_2)
	v_dual_fmac_f32 v181, v149, v16 :: v_dual_add_f32 v2, v2, v3
	v_mul_f32_e32 v3, v157, v117
	v_dual_add_f32 v2, v2, v5 :: v_dual_mul_f32 v5, v159, v119
	s_delay_alu instid0(VALU_DEP_2) | instskip(NEXT) | instid1(VALU_DEP_2)
	v_fma_f32 v3, v156, v116, -v3
	v_dual_add_f32 v2, v2, v4 :: v_dual_add_f32 v1, v1, v181
	v_mul_f32_e32 v4, v161, v121
	s_delay_alu instid0(VALU_DEP_4) | instskip(NEXT) | instid1(VALU_DEP_3)
	v_fma_f32 v5, v158, v118, -v5
	v_dual_add_f32 v2, v2, v3 :: v_dual_fmac_f32 v183, v153, v20
	s_delay_alu instid0(VALU_DEP_3) | instskip(NEXT) | instid1(VALU_DEP_2)
	v_fma_f32 v4, v160, v120, -v4
	v_add_f32_e32 v2, v2, v5
	v_mul_f32_e32 v5, v165, v125
	s_delay_alu instid0(VALU_DEP_2) | instskip(NEXT) | instid1(VALU_DEP_2)
	v_dual_add_f32 v1, v1, v182 :: v_dual_add_f32 v2, v2, v4
	v_fma_f32 v5, v164, v124, -v5
	v_mul_f32_e32 v3, v163, v123
	s_delay_alu instid0(VALU_DEP_3) | instskip(SKIP_1) | instid1(VALU_DEP_3)
	v_add_f32_e32 v1, v1, v183
	v_mul_f32_e32 v4, v167, v127
	v_fma_f32 v3, v162, v122, -v3
	s_delay_alu instid0(VALU_DEP_3) | instskip(NEXT) | instid1(VALU_DEP_3)
	v_add_f32_e32 v1, v1, v184
	v_fma_f32 v4, v166, v126, -v4
	s_delay_alu instid0(VALU_DEP_3) | instskip(NEXT) | instid1(VALU_DEP_1)
	v_dual_add_f32 v2, v2, v3 :: v_dual_mul_f32 v3, v169, v129
	v_add_f32_e32 v2, v2, v5
	s_delay_alu instid0(VALU_DEP_4) | instskip(SKIP_1) | instid1(VALU_DEP_4)
	v_add_f32_e32 v1, v1, v185
	v_mul_f32_e32 v5, v171, v131
	v_fma_f32 v3, v168, v128, -v3
	s_delay_alu instid0(VALU_DEP_3) | instskip(SKIP_1) | instid1(VALU_DEP_4)
	v_dual_add_f32 v2, v2, v4 :: v_dual_add_f32 v1, v1, v186
	v_mul_f32_e32 v4, v173, v133
	v_fma_f32 v5, v170, v130, -v5
	s_delay_alu instid0(VALU_DEP_3) | instskip(NEXT) | instid1(VALU_DEP_4)
	v_add_f32_e32 v2, v2, v3
	v_add_f32_e32 v1, v1, v187
	s_delay_alu instid0(VALU_DEP_4) | instskip(NEXT) | instid1(VALU_DEP_2)
	v_fma_f32 v3, v172, v132, -v4
	v_dual_add_f32 v2, v2, v5 :: v_dual_add_f32 v1, v1, v188
	s_delay_alu instid0(VALU_DEP_1) | instskip(NEXT) | instid1(VALU_DEP_1)
	v_dual_add_f32 v2, v2, v3 :: v_dual_add_f32 v1, v1, v189
	v_add_f32_e32 v1, v1, v190
	s_delay_alu instid0(VALU_DEP_1) | instskip(NEXT) | instid1(VALU_DEP_1)
	v_add_f32_e32 v1, v1, v191
	v_add_f32_e32 v1, v1, v192
	s_delay_alu instid0(VALU_DEP_1) | instskip(SKIP_1) | instid1(VALU_DEP_1)
	v_add_f32_e32 v3, v1, v193
	s_wait_loadcnt 0x0
	v_dual_sub_f32 v1, v174, v2 :: v_dual_sub_f32 v2, v175, v3
	scratch_store_b64 off, v[1:2], off offset:192
	v_cmpx_lt_u32_e32 23, v0
	s_cbranch_execz .LBB108_237
; %bb.236:
	scratch_load_b64 v[1:2], off, off offset:184
	v_mov_b32_e32 v3, 0
	s_delay_alu instid0(VALU_DEP_1)
	v_mov_b32_e32 v4, v3
	scratch_store_b64 off, v[3:4], off offset:184
	s_wait_loadcnt 0x0
	ds_store_b64 v23, v[1:2]
.LBB108_237:
	s_wait_alu 0xfffe
	s_or_b32 exec_lo, exec_lo, s0
	s_wait_storecnt_dscnt 0x0
	s_barrier_signal -1
	s_barrier_wait -1
	global_inv scope:SCOPE_SE
	s_clause 0xb
	scratch_load_b128 v[2:5], off, off offset:192
	scratch_load_b128 v[6:9], off, off offset:208
	;; [unrolled: 1-line block ×10, first 2 shown]
	scratch_load_b64 v[174:175], off, off offset:352
	scratch_load_b64 v[176:177], off, off offset:184
	v_mov_b32_e32 v1, 0
	ds_load_b128 v[134:137], v1 offset:560
	ds_load_b128 v[138:141], v1 offset:576
	;; [unrolled: 1-line block ×10, first 2 shown]
	ds_load_b64 v[178:179], v1 offset:720
	s_mov_b32 s0, exec_lo
	s_wait_loadcnt_dscnt 0xb0a
	v_mul_f32_e32 v22, v134, v3
	s_wait_loadcnt_dscnt 0xa09
	v_dual_mul_f32 v180, v136, v5 :: v_dual_mul_f32 v181, v138, v7
	v_mul_f32_e32 v5, v137, v5
	v_dual_mul_f32 v3, v135, v3 :: v_dual_mul_f32 v182, v140, v9
	s_wait_loadcnt_dscnt 0x908
	v_dual_mul_f32 v183, v142, v11 :: v_dual_fmac_f32 v22, v135, v2
	s_wait_loadcnt_dscnt 0x302
	v_mul_f32_e32 v196, v168, v129
	v_fma_f32 v3, v134, v2, -v3
	s_wait_loadcnt_dscnt 0x100
	v_mul_f32_e32 v199, v178, v175
	v_mul_f32_e32 v2, v139, v7
	v_fmac_f32_e32 v180, v137, v4
	v_fma_f32 v4, v136, v4, -v5
	v_add_f32_e32 v3, 0, v3
	v_dual_add_f32 v5, 0, v22 :: v_dual_fmac_f32 v182, v141, v8
	v_fmac_f32_e32 v181, v139, v6
	v_fma_f32 v2, v138, v6, -v2
	s_delay_alu instid0(VALU_DEP_4) | instskip(SKIP_3) | instid1(VALU_DEP_4)
	v_add_f32_e32 v3, v3, v4
	v_mul_f32_e32 v7, v141, v9
	v_add_f32_e32 v4, v5, v180
	v_dual_mul_f32 v184, v144, v13 :: v_dual_mul_f32 v185, v146, v15
	v_add_f32_e32 v2, v3, v2
	s_delay_alu instid0(VALU_DEP_4)
	v_fma_f32 v6, v140, v8, -v7
	v_mul_f32_e32 v5, v143, v11
	v_add_f32_e32 v3, v4, v181
	v_dual_mul_f32 v4, v145, v13 :: v_dual_fmac_f32 v183, v143, v10
	v_fmac_f32_e32 v184, v145, v12
	v_add_f32_e32 v2, v2, v6
	v_fma_f32 v5, v142, v10, -v5
	v_mul_f32_e32 v6, v147, v15
	v_add_f32_e32 v3, v3, v182
	v_fma_f32 v4, v144, v12, -v4
	v_dual_mul_f32 v186, v148, v17 :: v_dual_mul_f32 v187, v150, v19
	s_delay_alu instid0(VALU_DEP_3) | instskip(SKIP_1) | instid1(VALU_DEP_3)
	v_dual_add_f32 v2, v2, v5 :: v_dual_add_f32 v3, v3, v183
	v_mul_f32_e32 v5, v149, v17
	v_dual_fmac_f32 v185, v147, v14 :: v_dual_fmac_f32 v186, v149, v16
	v_fma_f32 v6, v146, v14, -v6
	s_delay_alu instid0(VALU_DEP_4) | instskip(SKIP_4) | instid1(VALU_DEP_4)
	v_add_f32_e32 v2, v2, v4
	v_dual_add_f32 v3, v3, v184 :: v_dual_mul_f32 v188, v152, v21
	v_mul_f32_e32 v189, v154, v115
	v_mul_f32_e32 v4, v151, v19
	v_fma_f32 v5, v148, v16, -v5
	v_dual_add_f32 v2, v2, v6 :: v_dual_add_f32 v3, v3, v185
	v_fmac_f32_e32 v188, v153, v20
	v_dual_mul_f32 v6, v153, v21 :: v_dual_fmac_f32 v187, v151, v18
	v_fma_f32 v4, v150, v18, -v4
	s_delay_alu instid0(VALU_DEP_4) | instskip(SKIP_1) | instid1(VALU_DEP_4)
	v_dual_add_f32 v2, v2, v5 :: v_dual_add_f32 v3, v3, v186
	v_mul_f32_e32 v5, v155, v115
	v_fma_f32 v6, v152, v20, -v6
	v_dual_mul_f32 v190, v156, v117 :: v_dual_mul_f32 v191, v158, v119
	s_delay_alu instid0(VALU_DEP_4) | instskip(SKIP_1) | instid1(VALU_DEP_3)
	v_dual_add_f32 v2, v2, v4 :: v_dual_add_f32 v3, v3, v187
	v_dual_mul_f32 v4, v157, v117 :: v_dual_fmac_f32 v189, v155, v114
	v_fmac_f32_e32 v190, v157, v116
	v_fma_f32 v5, v154, v114, -v5
	s_delay_alu instid0(VALU_DEP_4) | instskip(SKIP_2) | instid1(VALU_DEP_3)
	v_dual_add_f32 v2, v2, v6 :: v_dual_add_f32 v3, v3, v188
	v_mul_f32_e32 v6, v159, v119
	v_fma_f32 v4, v156, v116, -v4
	v_dual_fmac_f32 v191, v159, v118 :: v_dual_add_f32 v2, v2, v5
	s_delay_alu instid0(VALU_DEP_4) | instskip(SKIP_3) | instid1(VALU_DEP_4)
	v_add_f32_e32 v3, v3, v189
	v_dual_mul_f32 v192, v160, v121 :: v_dual_mul_f32 v193, v162, v123
	v_mul_f32_e32 v5, v161, v121
	v_fma_f32 v6, v158, v118, -v6
	v_dual_add_f32 v2, v2, v4 :: v_dual_add_f32 v3, v3, v190
	s_delay_alu instid0(VALU_DEP_4) | instskip(SKIP_2) | instid1(VALU_DEP_4)
	v_fmac_f32_e32 v192, v161, v120
	v_mul_f32_e32 v4, v163, v123
	v_fma_f32 v5, v160, v120, -v5
	v_dual_add_f32 v2, v2, v6 :: v_dual_add_f32 v3, v3, v191
	v_dual_mul_f32 v194, v164, v125 :: v_dual_mul_f32 v195, v166, v127
	v_dual_mul_f32 v6, v165, v125 :: v_dual_fmac_f32 v193, v163, v122
	v_fma_f32 v4, v162, v122, -v4
	s_delay_alu instid0(VALU_DEP_4) | instskip(NEXT) | instid1(VALU_DEP_4)
	v_dual_add_f32 v2, v2, v5 :: v_dual_add_f32 v3, v3, v192
	v_dual_mul_f32 v5, v167, v127 :: v_dual_fmac_f32 v194, v165, v124
	s_delay_alu instid0(VALU_DEP_4) | instskip(NEXT) | instid1(VALU_DEP_3)
	v_fma_f32 v6, v164, v124, -v6
	v_dual_add_f32 v2, v2, v4 :: v_dual_add_f32 v3, v3, v193
	v_dual_mul_f32 v4, v169, v129 :: v_dual_fmac_f32 v195, v167, v126
	s_delay_alu instid0(VALU_DEP_4) | instskip(NEXT) | instid1(VALU_DEP_3)
	v_fma_f32 v5, v166, v126, -v5
	v_dual_fmac_f32 v196, v169, v128 :: v_dual_add_f32 v3, v3, v194
	s_delay_alu instid0(VALU_DEP_4) | instskip(SKIP_3) | instid1(VALU_DEP_4)
	v_add_f32_e32 v2, v2, v6
	v_dual_mul_f32 v197, v170, v131 :: v_dual_mul_f32 v198, v172, v133
	v_mul_f32_e32 v6, v171, v131
	v_fma_f32 v4, v168, v128, -v4
	v_dual_add_f32 v3, v3, v195 :: v_dual_add_f32 v2, v2, v5
	s_delay_alu instid0(VALU_DEP_4) | instskip(SKIP_2) | instid1(VALU_DEP_4)
	v_fmac_f32_e32 v197, v171, v130
	v_mul_f32_e32 v5, v173, v133
	v_fma_f32 v6, v170, v130, -v6
	v_add_f32_e32 v3, v3, v196
	v_add_f32_e32 v2, v2, v4
	v_mul_f32_e32 v4, v179, v175
	v_dual_fmac_f32 v198, v173, v132 :: v_dual_fmac_f32 v199, v179, v174
	v_fma_f32 v5, v172, v132, -v5
	s_delay_alu instid0(VALU_DEP_4) | instskip(NEXT) | instid1(VALU_DEP_4)
	v_dual_add_f32 v3, v3, v197 :: v_dual_add_f32 v2, v2, v6
	v_fma_f32 v4, v178, v174, -v4
	s_delay_alu instid0(VALU_DEP_2) | instskip(NEXT) | instid1(VALU_DEP_1)
	v_dual_add_f32 v3, v3, v198 :: v_dual_add_f32 v2, v2, v5
	v_dual_add_f32 v3, v3, v199 :: v_dual_add_f32 v2, v2, v4
	s_wait_loadcnt 0x0
	s_delay_alu instid0(VALU_DEP_1)
	v_dual_sub_f32 v3, v177, v3 :: v_dual_sub_f32 v2, v176, v2
	scratch_store_b64 off, v[2:3], off offset:184
	v_cmpx_lt_u32_e32 22, v0
	s_cbranch_execz .LBB108_239
; %bb.238:
	scratch_load_b64 v[3:4], off, off offset:176
	v_mov_b32_e32 v2, v1
	scratch_store_b64 off, v[1:2], off offset:176
	s_wait_loadcnt 0x0
	ds_store_b64 v23, v[3:4]
.LBB108_239:
	s_wait_alu 0xfffe
	s_or_b32 exec_lo, exec_lo, s0
	s_wait_storecnt_dscnt 0x0
	s_barrier_signal -1
	s_barrier_wait -1
	global_inv scope:SCOPE_SE
	s_clause 0xb
	scratch_load_b128 v[2:5], off, off offset:184
	scratch_load_b128 v[6:9], off, off offset:200
	;; [unrolled: 1-line block ×11, first 2 shown]
	scratch_load_b64 v[182:183], off, off offset:176
	ds_load_2addr_b64 v[138:141], v1 offset0:69 offset1:70
	ds_load_2addr_b64 v[142:145], v1 offset0:71 offset1:72
	;; [unrolled: 1-line block ×11, first 2 shown]
	s_mov_b32 s0, exec_lo
	s_wait_loadcnt_dscnt 0xb0a
	v_dual_mul_f32 v1, v138, v3 :: v_dual_mul_f32 v22, v140, v5
	v_mul_f32_e32 v3, v139, v3
	s_wait_loadcnt_dscnt 0xa09
	v_dual_mul_f32 v5, v141, v5 :: v_dual_mul_f32 v184, v142, v7
	s_delay_alu instid0(VALU_DEP_3) | instskip(NEXT) | instid1(VALU_DEP_3)
	v_dual_mul_f32 v185, v144, v9 :: v_dual_fmac_f32 v22, v141, v4
	v_fma_f32 v3, v138, v2, -v3
	v_fmac_f32_e32 v1, v139, v2
	v_mul_f32_e32 v2, v143, v7
	v_fma_f32 v4, v140, v4, -v5
	s_delay_alu instid0(VALU_DEP_4)
	v_dual_fmac_f32 v184, v143, v6 :: v_dual_add_f32 v3, 0, v3
	s_wait_loadcnt_dscnt 0x706
	v_dual_mul_f32 v190, v154, v19 :: v_dual_mul_f32 v191, v156, v21
	v_fma_f32 v2, v142, v6, -v2
	v_dual_mul_f32 v186, v146, v11 :: v_dual_mul_f32 v187, v148, v13
	v_add_f32_e32 v3, v3, v4
	v_dual_mul_f32 v5, v145, v9 :: v_dual_mul_f32 v188, v150, v15
	v_dual_mul_f32 v189, v152, v17 :: v_dual_mul_f32 v4, v147, v11
	s_delay_alu instid0(VALU_DEP_3) | instskip(NEXT) | instid1(VALU_DEP_3)
	v_add_f32_e32 v2, v3, v2
	v_fma_f32 v5, v144, v8, -v5
	v_dual_mul_f32 v3, v149, v13 :: v_dual_fmac_f32 v190, v155, v18
	s_delay_alu instid0(VALU_DEP_4) | instskip(SKIP_1) | instid1(VALU_DEP_4)
	v_fma_f32 v4, v146, v10, -v4
	v_dual_fmac_f32 v185, v145, v8 :: v_dual_fmac_f32 v186, v147, v10
	v_add_f32_e32 v2, v2, v5
	v_add_f32_e32 v1, 0, v1
	v_fma_f32 v3, v148, v12, -v3
	v_fmac_f32_e32 v188, v151, v14
	s_wait_loadcnt_dscnt 0x605
	v_dual_mul_f32 v192, v158, v115 :: v_dual_mul_f32 v193, v160, v117
	v_dual_add_f32 v1, v1, v22 :: v_dual_add_f32 v2, v2, v4
	v_mul_f32_e32 v4, v153, v17
	s_wait_loadcnt_dscnt 0x403
	v_dual_mul_f32 v196, v166, v123 :: v_dual_mul_f32 v197, v168, v125
	s_delay_alu instid0(VALU_DEP_3) | instskip(NEXT) | instid1(VALU_DEP_3)
	v_dual_add_f32 v1, v1, v184 :: v_dual_add_f32 v2, v2, v3
	v_fma_f32 v4, v152, v16, -v4
	v_mul_f32_e32 v5, v151, v15
	v_dual_mul_f32 v194, v162, v119 :: v_dual_mul_f32 v195, v164, v121
	s_wait_loadcnt_dscnt 0x100
	v_dual_add_f32 v1, v1, v185 :: v_dual_mul_f32 v202, v178, v135
	v_mul_f32_e32 v203, v180, v137
	v_fma_f32 v5, v150, v14, -v5
	v_fmac_f32_e32 v187, v149, v12
	s_delay_alu instid0(VALU_DEP_4)
	v_add_f32_e32 v1, v1, v186
	v_fmac_f32_e32 v192, v159, v114
	v_dual_mul_f32 v198, v170, v127 :: v_dual_mul_f32 v199, v172, v129
	v_add_f32_e32 v2, v2, v5
	v_dual_fmac_f32 v194, v163, v118 :: v_dual_fmac_f32 v193, v161, v116
	v_dual_mul_f32 v200, v174, v131 :: v_dual_mul_f32 v201, v176, v133
	s_delay_alu instid0(VALU_DEP_3) | instskip(SKIP_2) | instid1(VALU_DEP_4)
	v_add_f32_e32 v2, v2, v4
	v_mul_f32_e32 v4, v159, v115
	v_add_f32_e32 v1, v1, v187
	v_dual_fmac_f32 v195, v165, v120 :: v_dual_fmac_f32 v200, v175, v130
	v_fmac_f32_e32 v199, v173, v128
	s_delay_alu instid0(VALU_DEP_4) | instskip(SKIP_4) | instid1(VALU_DEP_4)
	v_fma_f32 v4, v158, v114, -v4
	v_mul_f32_e32 v5, v157, v21
	v_add_f32_e32 v1, v1, v188
	v_dual_fmac_f32 v201, v177, v132 :: v_dual_fmac_f32 v196, v167, v122
	v_fmac_f32_e32 v203, v181, v136
	v_fma_f32 v5, v156, v20, -v5
	v_mul_f32_e32 v3, v155, v19
	v_fmac_f32_e32 v202, v179, v134
	v_fmac_f32_e32 v198, v171, v126
	s_delay_alu instid0(VALU_DEP_3) | instskip(NEXT) | instid1(VALU_DEP_1)
	v_fma_f32 v3, v154, v18, -v3
	v_dual_fmac_f32 v189, v153, v16 :: v_dual_add_f32 v2, v2, v3
	v_mul_f32_e32 v3, v161, v117
	s_delay_alu instid0(VALU_DEP_2) | instskip(NEXT) | instid1(VALU_DEP_2)
	v_dual_add_f32 v2, v2, v5 :: v_dual_mul_f32 v5, v163, v119
	v_fma_f32 v3, v160, v116, -v3
	s_delay_alu instid0(VALU_DEP_2) | instskip(SKIP_1) | instid1(VALU_DEP_4)
	v_dual_add_f32 v2, v2, v4 :: v_dual_add_f32 v1, v1, v189
	v_mul_f32_e32 v4, v165, v121
	v_fma_f32 v5, v162, v118, -v5
	s_delay_alu instid0(VALU_DEP_3) | instskip(NEXT) | instid1(VALU_DEP_3)
	v_dual_add_f32 v2, v2, v3 :: v_dual_fmac_f32 v191, v157, v20
	v_fma_f32 v4, v164, v120, -v4
	s_delay_alu instid0(VALU_DEP_2) | instskip(SKIP_1) | instid1(VALU_DEP_2)
	v_add_f32_e32 v2, v2, v5
	v_mul_f32_e32 v5, v169, v125
	v_dual_add_f32 v1, v1, v190 :: v_dual_add_f32 v2, v2, v4
	s_delay_alu instid0(VALU_DEP_2) | instskip(SKIP_1) | instid1(VALU_DEP_3)
	v_fma_f32 v5, v168, v124, -v5
	v_mul_f32_e32 v3, v167, v123
	v_add_f32_e32 v1, v1, v191
	v_mul_f32_e32 v4, v171, v127
	s_delay_alu instid0(VALU_DEP_3) | instskip(NEXT) | instid1(VALU_DEP_3)
	v_fma_f32 v3, v166, v122, -v3
	v_add_f32_e32 v1, v1, v192
	s_delay_alu instid0(VALU_DEP_3) | instskip(NEXT) | instid1(VALU_DEP_3)
	v_fma_f32 v4, v170, v126, -v4
	v_add_f32_e32 v2, v2, v3
	s_delay_alu instid0(VALU_DEP_1) | instskip(NEXT) | instid1(VALU_DEP_4)
	v_add_f32_e32 v2, v2, v5
	v_add_f32_e32 v1, v1, v193
	s_delay_alu instid0(VALU_DEP_2) | instskip(SKIP_1) | instid1(VALU_DEP_2)
	v_dual_mul_f32 v5, v175, v131 :: v_dual_add_f32 v2, v2, v4
	v_mul_f32_e32 v4, v177, v133
	v_fma_f32 v5, v174, v130, -v5
	s_delay_alu instid0(VALU_DEP_2) | instskip(SKIP_1) | instid1(VALU_DEP_1)
	v_fma_f32 v4, v176, v132, -v4
	v_mul_f32_e32 v3, v173, v129
	v_fma_f32 v3, v172, v128, -v3
	s_delay_alu instid0(VALU_DEP_1) | instskip(NEXT) | instid1(VALU_DEP_1)
	v_dual_add_f32 v1, v1, v194 :: v_dual_add_f32 v2, v2, v3
	v_add_f32_e32 v1, v1, v195
	s_delay_alu instid0(VALU_DEP_2) | instskip(NEXT) | instid1(VALU_DEP_2)
	v_dual_mul_f32 v3, v179, v135 :: v_dual_add_f32 v2, v2, v5
	v_add_f32_e32 v1, v1, v196
	v_mul_f32_e32 v5, v181, v137
	s_delay_alu instid0(VALU_DEP_3) | instskip(NEXT) | instid1(VALU_DEP_4)
	v_fma_f32 v3, v178, v134, -v3
	v_add_f32_e32 v2, v2, v4
	v_fmac_f32_e32 v197, v169, v124
	s_delay_alu instid0(VALU_DEP_4) | instskip(NEXT) | instid1(VALU_DEP_2)
	v_fma_f32 v4, v180, v136, -v5
	v_dual_add_f32 v2, v2, v3 :: v_dual_add_f32 v1, v1, v197
	s_delay_alu instid0(VALU_DEP_1) | instskip(NEXT) | instid1(VALU_DEP_1)
	v_dual_add_f32 v2, v2, v4 :: v_dual_add_f32 v1, v1, v198
	v_add_f32_e32 v1, v1, v199
	s_delay_alu instid0(VALU_DEP_1) | instskip(NEXT) | instid1(VALU_DEP_1)
	v_add_f32_e32 v1, v1, v200
	v_add_f32_e32 v1, v1, v201
	s_delay_alu instid0(VALU_DEP_1) | instskip(NEXT) | instid1(VALU_DEP_1)
	v_add_f32_e32 v1, v1, v202
	v_add_f32_e32 v3, v1, v203
	s_wait_loadcnt 0x0
	s_delay_alu instid0(VALU_DEP_1)
	v_dual_sub_f32 v1, v182, v2 :: v_dual_sub_f32 v2, v183, v3
	scratch_store_b64 off, v[1:2], off offset:176
	v_cmpx_lt_u32_e32 21, v0
	s_cbranch_execz .LBB108_241
; %bb.240:
	scratch_load_b64 v[1:2], off, off offset:168
	v_mov_b32_e32 v3, 0
	s_delay_alu instid0(VALU_DEP_1)
	v_mov_b32_e32 v4, v3
	scratch_store_b64 off, v[3:4], off offset:168
	s_wait_loadcnt 0x0
	ds_store_b64 v23, v[1:2]
.LBB108_241:
	s_wait_alu 0xfffe
	s_or_b32 exec_lo, exec_lo, s0
	s_wait_storecnt_dscnt 0x0
	s_barrier_signal -1
	s_barrier_wait -1
	global_inv scope:SCOPE_SE
	s_clause 0xc
	scratch_load_b128 v[2:5], off, off offset:176
	scratch_load_b128 v[6:9], off, off offset:192
	;; [unrolled: 1-line block ×11, first 2 shown]
	scratch_load_b64 v[182:183], off, off offset:352
	scratch_load_b64 v[184:185], off, off offset:168
	v_mov_b32_e32 v1, 0
	ds_load_b128 v[138:141], v1 offset:544
	ds_load_b128 v[142:145], v1 offset:560
	;; [unrolled: 1-line block ×11, first 2 shown]
	ds_load_b64 v[186:187], v1 offset:720
	s_mov_b32 s0, exec_lo
	s_wait_loadcnt_dscnt 0xc0b
	v_mul_f32_e32 v22, v138, v3
	s_wait_loadcnt_dscnt 0xb0a
	v_dual_mul_f32 v188, v140, v5 :: v_dual_mul_f32 v189, v142, v7
	v_mul_f32_e32 v5, v141, v5
	s_wait_loadcnt_dscnt 0xa09
	v_dual_mul_f32 v190, v144, v9 :: v_dual_mul_f32 v191, v146, v11
	v_mul_f32_e32 v3, v139, v3
	v_fmac_f32_e32 v22, v139, v2
	s_wait_loadcnt_dscnt 0x908
	v_dual_mul_f32 v192, v148, v13 :: v_dual_mul_f32 v193, v150, v15
	s_wait_loadcnt_dscnt 0x100
	v_dual_mul_f32 v206, v176, v133 :: v_dual_mul_f32 v209, v186, v183
	v_fma_f32 v3, v138, v2, -v3
	v_mul_f32_e32 v2, v143, v7
	v_fmac_f32_e32 v188, v141, v4
	v_fma_f32 v4, v140, v4, -v5
	v_dual_add_f32 v5, 0, v22 :: v_dual_fmac_f32 v190, v145, v8
	v_add_f32_e32 v3, 0, v3
	v_fmac_f32_e32 v189, v143, v6
	v_fma_f32 v2, v142, v6, -v2
	v_dual_fmac_f32 v191, v147, v10 :: v_dual_fmac_f32 v192, v149, v12
	s_delay_alu instid0(VALU_DEP_4) | instskip(SKIP_3) | instid1(VALU_DEP_4)
	v_add_f32_e32 v3, v3, v4
	v_mul_f32_e32 v7, v145, v9
	v_add_f32_e32 v4, v5, v188
	v_dual_mul_f32 v194, v152, v17 :: v_dual_mul_f32 v195, v154, v19
	v_add_f32_e32 v2, v3, v2
	s_delay_alu instid0(VALU_DEP_4)
	v_fma_f32 v6, v144, v8, -v7
	v_mul_f32_e32 v5, v147, v11
	v_add_f32_e32 v3, v4, v189
	v_dual_mul_f32 v4, v149, v13 :: v_dual_fmac_f32 v193, v151, v14
	v_fmac_f32_e32 v194, v153, v16
	v_add_f32_e32 v2, v2, v6
	v_fma_f32 v5, v146, v10, -v5
	v_mul_f32_e32 v6, v151, v15
	v_add_f32_e32 v3, v3, v190
	v_fma_f32 v4, v148, v12, -v4
	v_dual_mul_f32 v196, v156, v21 :: v_dual_mul_f32 v197, v158, v115
	s_delay_alu instid0(VALU_DEP_3) | instskip(SKIP_2) | instid1(VALU_DEP_3)
	v_dual_add_f32 v2, v2, v5 :: v_dual_add_f32 v3, v3, v191
	v_mul_f32_e32 v5, v153, v17
	v_fma_f32 v6, v150, v14, -v6
	v_dual_fmac_f32 v195, v155, v18 :: v_dual_add_f32 v2, v2, v4
	s_delay_alu instid0(VALU_DEP_4) | instskip(SKIP_3) | instid1(VALU_DEP_4)
	v_add_f32_e32 v3, v3, v192
	v_mul_f32_e32 v4, v155, v19
	v_fma_f32 v5, v152, v16, -v5
	v_fmac_f32_e32 v196, v157, v20
	v_dual_add_f32 v2, v2, v6 :: v_dual_add_f32 v3, v3, v193
	v_mul_f32_e32 v6, v157, v21
	v_fma_f32 v4, v154, v18, -v4
	v_dual_mul_f32 v198, v160, v117 :: v_dual_mul_f32 v199, v162, v119
	s_delay_alu instid0(VALU_DEP_4) | instskip(SKIP_2) | instid1(VALU_DEP_4)
	v_dual_add_f32 v2, v2, v5 :: v_dual_add_f32 v3, v3, v194
	v_mul_f32_e32 v5, v159, v115
	v_fma_f32 v6, v156, v20, -v6
	v_dual_fmac_f32 v197, v159, v114 :: v_dual_fmac_f32 v198, v161, v116
	s_delay_alu instid0(VALU_DEP_4) | instskip(SKIP_3) | instid1(VALU_DEP_4)
	v_dual_add_f32 v2, v2, v4 :: v_dual_add_f32 v3, v3, v195
	v_mul_f32_e32 v4, v161, v117
	v_fma_f32 v5, v158, v114, -v5
	v_fmac_f32_e32 v199, v163, v118
	v_dual_add_f32 v2, v2, v6 :: v_dual_add_f32 v3, v3, v196
	v_mul_f32_e32 v6, v163, v119
	v_fma_f32 v4, v160, v116, -v4
	v_dual_mul_f32 v200, v164, v121 :: v_dual_mul_f32 v201, v166, v123
	s_delay_alu instid0(VALU_DEP_4) | instskip(SKIP_4) | instid1(VALU_DEP_4)
	v_add_f32_e32 v2, v2, v5
	v_add_f32_e32 v3, v3, v197
	v_mul_f32_e32 v5, v165, v121
	v_fma_f32 v6, v162, v118, -v6
	v_fmac_f32_e32 v200, v165, v120
	v_dual_add_f32 v2, v2, v4 :: v_dual_add_f32 v3, v3, v198
	v_mul_f32_e32 v4, v167, v123
	v_fma_f32 v5, v164, v120, -v5
	v_dual_mul_f32 v202, v168, v125 :: v_dual_mul_f32 v203, v170, v127
	s_delay_alu instid0(VALU_DEP_4) | instskip(SKIP_2) | instid1(VALU_DEP_3)
	v_dual_add_f32 v2, v2, v6 :: v_dual_add_f32 v3, v3, v199
	v_dual_mul_f32 v6, v169, v125 :: v_dual_fmac_f32 v201, v167, v122
	v_fma_f32 v4, v166, v122, -v4
	v_dual_add_f32 v2, v2, v5 :: v_dual_add_f32 v3, v3, v200
	v_dual_mul_f32 v204, v172, v129 :: v_dual_mul_f32 v205, v174, v131
	v_dual_mul_f32 v5, v171, v127 :: v_dual_fmac_f32 v202, v169, v124
	v_fma_f32 v6, v168, v124, -v6
	s_delay_alu instid0(VALU_DEP_4) | instskip(SKIP_1) | instid1(VALU_DEP_4)
	v_dual_add_f32 v2, v2, v4 :: v_dual_add_f32 v3, v3, v201
	v_dual_mul_f32 v4, v173, v129 :: v_dual_fmac_f32 v203, v171, v126
	v_fma_f32 v5, v170, v126, -v5
	s_delay_alu instid0(VALU_DEP_3) | instskip(NEXT) | instid1(VALU_DEP_4)
	v_dual_fmac_f32 v204, v173, v128 :: v_dual_add_f32 v3, v3, v202
	v_add_f32_e32 v2, v2, v6
	v_mul_f32_e32 v6, v175, v131
	v_fma_f32 v4, v172, v128, -v4
	v_fmac_f32_e32 v205, v175, v130
	s_delay_alu instid0(VALU_DEP_4) | instskip(SKIP_3) | instid1(VALU_DEP_4)
	v_dual_add_f32 v3, v3, v203 :: v_dual_add_f32 v2, v2, v5
	v_mul_f32_e32 v5, v177, v133
	v_fma_f32 v6, v174, v130, -v6
	v_dual_mul_f32 v207, v178, v135 :: v_dual_mul_f32 v208, v180, v137
	v_add_f32_e32 v3, v3, v204
	v_add_f32_e32 v2, v2, v4
	v_mul_f32_e32 v4, v179, v135
	s_delay_alu instid0(VALU_DEP_4) | instskip(SKIP_1) | instid1(VALU_DEP_4)
	v_dual_fmac_f32 v206, v177, v132 :: v_dual_fmac_f32 v207, v179, v134
	v_fma_f32 v5, v176, v132, -v5
	v_dual_add_f32 v3, v3, v205 :: v_dual_add_f32 v2, v2, v6
	v_mul_f32_e32 v6, v181, v137
	v_fma_f32 v4, v178, v134, -v4
	v_fmac_f32_e32 v209, v187, v182
	s_delay_alu instid0(VALU_DEP_4) | instskip(SKIP_2) | instid1(VALU_DEP_3)
	v_dual_add_f32 v3, v3, v206 :: v_dual_add_f32 v2, v2, v5
	v_dual_mul_f32 v5, v187, v183 :: v_dual_fmac_f32 v208, v181, v136
	v_fma_f32 v6, v180, v136, -v6
	v_dual_add_f32 v3, v3, v207 :: v_dual_add_f32 v2, v2, v4
	s_delay_alu instid0(VALU_DEP_3) | instskip(NEXT) | instid1(VALU_DEP_2)
	v_fma_f32 v4, v186, v182, -v5
	v_dual_add_f32 v3, v3, v208 :: v_dual_add_f32 v2, v2, v6
	s_delay_alu instid0(VALU_DEP_1) | instskip(SKIP_1) | instid1(VALU_DEP_1)
	v_dual_add_f32 v3, v3, v209 :: v_dual_add_f32 v2, v2, v4
	s_wait_loadcnt 0x0
	v_dual_sub_f32 v3, v185, v3 :: v_dual_sub_f32 v2, v184, v2
	scratch_store_b64 off, v[2:3], off offset:168
	v_cmpx_lt_u32_e32 20, v0
	s_cbranch_execz .LBB108_243
; %bb.242:
	scratch_load_b64 v[3:4], off, off offset:160
	v_mov_b32_e32 v2, v1
	scratch_store_b64 off, v[1:2], off offset:160
	s_wait_loadcnt 0x0
	ds_store_b64 v23, v[3:4]
.LBB108_243:
	s_wait_alu 0xfffe
	s_or_b32 exec_lo, exec_lo, s0
	s_wait_storecnt_dscnt 0x0
	s_barrier_signal -1
	s_barrier_wait -1
	global_inv scope:SCOPE_SE
	s_clause 0xc
	scratch_load_b128 v[2:5], off, off offset:168
	scratch_load_b128 v[6:9], off, off offset:184
	scratch_load_b128 v[10:13], off, off offset:200
	scratch_load_b128 v[14:17], off, off offset:216
	scratch_load_b128 v[18:21], off, off offset:232
	scratch_load_b128 v[114:117], off, off offset:248
	scratch_load_b128 v[118:121], off, off offset:264
	scratch_load_b128 v[122:125], off, off offset:280
	scratch_load_b128 v[126:129], off, off offset:296
	scratch_load_b128 v[130:133], off, off offset:312
	scratch_load_b128 v[134:137], off, off offset:328
	scratch_load_b128 v[138:141], off, off offset:344
	scratch_load_b64 v[190:191], off, off offset:160
	ds_load_2addr_b64 v[142:145], v1 offset0:67 offset1:68
	ds_load_2addr_b64 v[146:149], v1 offset0:69 offset1:70
	;; [unrolled: 1-line block ×12, first 2 shown]
	s_mov_b32 s0, exec_lo
	s_wait_loadcnt_dscnt 0xc0b
	v_dual_mul_f32 v1, v142, v3 :: v_dual_mul_f32 v22, v144, v5
	v_mul_f32_e32 v3, v143, v3
	s_wait_loadcnt_dscnt 0xb0a
	v_dual_mul_f32 v5, v145, v5 :: v_dual_mul_f32 v192, v146, v7
	s_delay_alu instid0(VALU_DEP_3) | instskip(NEXT) | instid1(VALU_DEP_3)
	v_dual_mul_f32 v193, v148, v9 :: v_dual_fmac_f32 v22, v145, v4
	v_fma_f32 v3, v142, v2, -v3
	v_fmac_f32_e32 v1, v143, v2
	v_mul_f32_e32 v2, v147, v7
	v_fma_f32 v4, v144, v4, -v5
	s_delay_alu instid0(VALU_DEP_4)
	v_dual_fmac_f32 v192, v147, v6 :: v_dual_add_f32 v3, 0, v3
	s_wait_loadcnt_dscnt 0x807
	v_dual_mul_f32 v198, v158, v19 :: v_dual_mul_f32 v199, v160, v21
	v_fma_f32 v2, v146, v6, -v2
	v_dual_mul_f32 v194, v150, v11 :: v_dual_mul_f32 v195, v152, v13
	v_add_f32_e32 v3, v3, v4
	v_dual_mul_f32 v5, v149, v9 :: v_dual_mul_f32 v196, v154, v15
	v_dual_mul_f32 v197, v156, v17 :: v_dual_mul_f32 v4, v151, v11
	s_delay_alu instid0(VALU_DEP_3) | instskip(NEXT) | instid1(VALU_DEP_3)
	v_add_f32_e32 v2, v3, v2
	v_fma_f32 v5, v148, v8, -v5
	v_dual_mul_f32 v3, v153, v13 :: v_dual_fmac_f32 v198, v159, v18
	s_delay_alu instid0(VALU_DEP_4) | instskip(SKIP_1) | instid1(VALU_DEP_4)
	v_fma_f32 v4, v150, v10, -v4
	v_dual_fmac_f32 v193, v149, v8 :: v_dual_fmac_f32 v194, v151, v10
	v_add_f32_e32 v2, v2, v5
	v_add_f32_e32 v1, 0, v1
	v_fma_f32 v3, v152, v12, -v3
	v_fmac_f32_e32 v196, v155, v14
	s_wait_loadcnt_dscnt 0x706
	v_dual_mul_f32 v200, v162, v115 :: v_dual_mul_f32 v201, v164, v117
	v_dual_add_f32 v1, v1, v22 :: v_dual_add_f32 v2, v2, v4
	v_mul_f32_e32 v4, v157, v17
	s_wait_loadcnt_dscnt 0x504
	v_dual_mul_f32 v204, v170, v123 :: v_dual_mul_f32 v205, v172, v125
	s_delay_alu instid0(VALU_DEP_3) | instskip(NEXT) | instid1(VALU_DEP_3)
	v_dual_add_f32 v1, v1, v192 :: v_dual_add_f32 v2, v2, v3
	v_fma_f32 v4, v156, v16, -v4
	v_mul_f32_e32 v5, v155, v15
	v_dual_mul_f32 v202, v166, v119 :: v_dual_mul_f32 v203, v168, v121
	s_wait_loadcnt_dscnt 0x201
	v_dual_add_f32 v1, v1, v193 :: v_dual_mul_f32 v210, v182, v135
	v_mul_f32_e32 v211, v184, v137
	v_fma_f32 v5, v154, v14, -v5
	v_fmac_f32_e32 v195, v153, v12
	s_delay_alu instid0(VALU_DEP_4)
	v_add_f32_e32 v1, v1, v194
	v_fmac_f32_e32 v200, v163, v114
	v_dual_mul_f32 v206, v174, v127 :: v_dual_mul_f32 v207, v176, v129
	v_add_f32_e32 v2, v2, v5
	v_dual_fmac_f32 v202, v167, v118 :: v_dual_fmac_f32 v201, v165, v116
	v_dual_mul_f32 v208, v178, v131 :: v_dual_mul_f32 v209, v180, v133
	s_delay_alu instid0(VALU_DEP_3) | instskip(SKIP_2) | instid1(VALU_DEP_4)
	v_add_f32_e32 v2, v2, v4
	v_mul_f32_e32 v4, v163, v115
	v_add_f32_e32 v1, v1, v195
	v_dual_fmac_f32 v203, v169, v120 :: v_dual_fmac_f32 v208, v179, v130
	v_fmac_f32_e32 v205, v173, v124
	s_delay_alu instid0(VALU_DEP_4) | instskip(SKIP_4) | instid1(VALU_DEP_3)
	v_fma_f32 v4, v162, v114, -v4
	v_mul_f32_e32 v5, v161, v21
	s_wait_loadcnt_dscnt 0x100
	v_dual_add_f32 v1, v1, v196 :: v_dual_mul_f32 v212, v186, v139
	v_dual_mul_f32 v213, v188, v141 :: v_dual_fmac_f32 v204, v171, v122
	v_fma_f32 v5, v160, v20, -v5
	v_mul_f32_e32 v3, v159, v19
	v_fmac_f32_e32 v211, v185, v136
	s_delay_alu instid0(VALU_DEP_4) | instskip(SKIP_1) | instid1(VALU_DEP_4)
	v_dual_fmac_f32 v213, v189, v140 :: v_dual_fmac_f32 v210, v183, v134
	v_fmac_f32_e32 v206, v175, v126
	v_fma_f32 v3, v158, v18, -v3
	v_dual_fmac_f32 v197, v157, v16 :: v_dual_fmac_f32 v212, v187, v138
	s_delay_alu instid0(VALU_DEP_2) | instskip(NEXT) | instid1(VALU_DEP_1)
	v_dual_add_f32 v2, v2, v3 :: v_dual_mul_f32 v3, v165, v117
	v_dual_add_f32 v2, v2, v5 :: v_dual_mul_f32 v5, v167, v119
	s_delay_alu instid0(VALU_DEP_2) | instskip(NEXT) | instid1(VALU_DEP_2)
	v_fma_f32 v3, v164, v116, -v3
	v_dual_add_f32 v2, v2, v4 :: v_dual_add_f32 v1, v1, v197
	v_mul_f32_e32 v4, v169, v121
	s_delay_alu instid0(VALU_DEP_4) | instskip(NEXT) | instid1(VALU_DEP_3)
	v_fma_f32 v5, v166, v118, -v5
	v_dual_add_f32 v2, v2, v3 :: v_dual_fmac_f32 v199, v161, v20
	s_delay_alu instid0(VALU_DEP_3) | instskip(NEXT) | instid1(VALU_DEP_2)
	v_fma_f32 v4, v168, v120, -v4
	v_add_f32_e32 v2, v2, v5
	v_mul_f32_e32 v5, v173, v125
	s_delay_alu instid0(VALU_DEP_2) | instskip(NEXT) | instid1(VALU_DEP_2)
	v_dual_add_f32 v1, v1, v198 :: v_dual_add_f32 v2, v2, v4
	v_fma_f32 v5, v172, v124, -v5
	v_mul_f32_e32 v3, v171, v123
	s_delay_alu instid0(VALU_DEP_3) | instskip(SKIP_1) | instid1(VALU_DEP_3)
	v_add_f32_e32 v1, v1, v199
	v_mul_f32_e32 v4, v175, v127
	v_fma_f32 v3, v170, v122, -v3
	s_delay_alu instid0(VALU_DEP_3) | instskip(NEXT) | instid1(VALU_DEP_3)
	v_add_f32_e32 v1, v1, v200
	v_fma_f32 v4, v174, v126, -v4
	s_delay_alu instid0(VALU_DEP_3) | instskip(NEXT) | instid1(VALU_DEP_1)
	v_add_f32_e32 v2, v2, v3
	v_add_f32_e32 v2, v2, v5
	s_delay_alu instid0(VALU_DEP_4) | instskip(NEXT) | instid1(VALU_DEP_2)
	v_add_f32_e32 v1, v1, v201
	v_dual_mul_f32 v5, v179, v131 :: v_dual_add_f32 v2, v2, v4
	v_mul_f32_e32 v4, v181, v133
	s_delay_alu instid0(VALU_DEP_2) | instskip(NEXT) | instid1(VALU_DEP_2)
	v_fma_f32 v5, v178, v130, -v5
	v_fma_f32 v4, v180, v132, -v4
	v_mul_f32_e32 v3, v177, v129
	s_delay_alu instid0(VALU_DEP_1) | instskip(NEXT) | instid1(VALU_DEP_1)
	v_fma_f32 v3, v176, v128, -v3
	v_dual_add_f32 v1, v1, v202 :: v_dual_add_f32 v2, v2, v3
	s_delay_alu instid0(VALU_DEP_1) | instskip(NEXT) | instid1(VALU_DEP_2)
	v_add_f32_e32 v1, v1, v203
	v_dual_mul_f32 v3, v183, v135 :: v_dual_add_f32 v2, v2, v5
	v_mul_f32_e32 v5, v185, v137
	s_delay_alu instid0(VALU_DEP_2) | instskip(NEXT) | instid1(VALU_DEP_3)
	v_fma_f32 v3, v182, v134, -v3
	v_add_f32_e32 v2, v2, v4
	v_dual_add_f32 v1, v1, v204 :: v_dual_mul_f32 v4, v187, v139
	s_delay_alu instid0(VALU_DEP_4) | instskip(NEXT) | instid1(VALU_DEP_2)
	v_fma_f32 v5, v184, v136, -v5
	v_dual_add_f32 v2, v2, v3 :: v_dual_add_f32 v1, v1, v205
	v_fmac_f32_e32 v207, v177, v128
	s_delay_alu instid0(VALU_DEP_4) | instskip(SKIP_1) | instid1(VALU_DEP_4)
	v_fma_f32 v4, v186, v138, -v4
	v_mul_f32_e32 v3, v189, v141
	v_dual_add_f32 v2, v2, v5 :: v_dual_add_f32 v1, v1, v206
	s_delay_alu instid0(VALU_DEP_2) | instskip(NEXT) | instid1(VALU_DEP_2)
	v_fma_f32 v3, v188, v140, -v3
	v_dual_add_f32 v2, v2, v4 :: v_dual_add_f32 v1, v1, v207
	s_delay_alu instid0(VALU_DEP_1) | instskip(NEXT) | instid1(VALU_DEP_2)
	v_dual_fmac_f32 v209, v181, v132 :: v_dual_add_f32 v2, v2, v3
	v_add_f32_e32 v1, v1, v208
	s_delay_alu instid0(VALU_DEP_1) | instskip(NEXT) | instid1(VALU_DEP_1)
	v_add_f32_e32 v1, v1, v209
	v_add_f32_e32 v1, v1, v210
	s_delay_alu instid0(VALU_DEP_1) | instskip(NEXT) | instid1(VALU_DEP_1)
	v_add_f32_e32 v1, v1, v211
	v_add_f32_e32 v1, v1, v212
	s_delay_alu instid0(VALU_DEP_1) | instskip(SKIP_1) | instid1(VALU_DEP_1)
	v_add_f32_e32 v3, v1, v213
	s_wait_loadcnt 0x0
	v_dual_sub_f32 v1, v190, v2 :: v_dual_sub_f32 v2, v191, v3
	scratch_store_b64 off, v[1:2], off offset:160
	v_cmpx_lt_u32_e32 19, v0
	s_cbranch_execz .LBB108_245
; %bb.244:
	scratch_load_b64 v[1:2], off, off offset:152
	v_mov_b32_e32 v3, 0
	s_delay_alu instid0(VALU_DEP_1)
	v_mov_b32_e32 v4, v3
	scratch_store_b64 off, v[3:4], off offset:152
	s_wait_loadcnt 0x0
	ds_store_b64 v23, v[1:2]
.LBB108_245:
	s_wait_alu 0xfffe
	s_or_b32 exec_lo, exec_lo, s0
	s_wait_storecnt_dscnt 0x0
	s_barrier_signal -1
	s_barrier_wait -1
	global_inv scope:SCOPE_SE
	s_clause 0xd
	scratch_load_b128 v[2:5], off, off offset:160
	scratch_load_b128 v[6:9], off, off offset:176
	;; [unrolled: 1-line block ×12, first 2 shown]
	scratch_load_b64 v[190:191], off, off offset:352
	scratch_load_b64 v[192:193], off, off offset:152
	v_mov_b32_e32 v1, 0
	ds_load_b128 v[142:145], v1 offset:528
	ds_load_b128 v[146:149], v1 offset:544
	;; [unrolled: 1-line block ×12, first 2 shown]
	ds_load_b64 v[194:195], v1 offset:720
	s_mov_b32 s0, exec_lo
	s_wait_loadcnt_dscnt 0xd0c
	v_mul_f32_e32 v22, v142, v3
	s_wait_loadcnt_dscnt 0xc0b
	v_dual_mul_f32 v196, v144, v5 :: v_dual_mul_f32 v197, v146, v7
	v_mul_f32_e32 v5, v145, v5
	s_wait_loadcnt_dscnt 0xb0a
	v_dual_mul_f32 v198, v148, v9 :: v_dual_mul_f32 v199, v150, v11
	v_dual_mul_f32 v3, v143, v3 :: v_dual_mul_f32 v200, v152, v13
	s_wait_loadcnt_dscnt 0xa09
	v_dual_mul_f32 v201, v154, v15 :: v_dual_fmac_f32 v22, v143, v2
	s_wait_loadcnt_dscnt 0x302
	v_mul_f32_e32 v216, v184, v137
	v_fma_f32 v3, v142, v2, -v3
	s_wait_loadcnt_dscnt 0x100
	v_mul_f32_e32 v219, v194, v191
	v_mul_f32_e32 v2, v147, v7
	v_fmac_f32_e32 v196, v145, v4
	v_fma_f32 v4, v144, v4, -v5
	v_add_f32_e32 v3, 0, v3
	v_dual_add_f32 v5, 0, v22 :: v_dual_fmac_f32 v198, v149, v8
	v_fmac_f32_e32 v197, v147, v6
	v_fma_f32 v2, v146, v6, -v2
	s_delay_alu instid0(VALU_DEP_4) | instskip(SKIP_3) | instid1(VALU_DEP_4)
	v_add_f32_e32 v3, v3, v4
	v_mul_f32_e32 v7, v149, v9
	v_dual_add_f32 v4, v5, v196 :: v_dual_fmac_f32 v199, v151, v10
	v_fmac_f32_e32 v200, v153, v12
	v_add_f32_e32 v2, v3, v2
	s_delay_alu instid0(VALU_DEP_4)
	v_fma_f32 v6, v148, v8, -v7
	v_mul_f32_e32 v5, v151, v11
	v_add_f32_e32 v3, v4, v197
	v_mul_f32_e32 v4, v153, v13
	v_dual_mul_f32 v202, v156, v17 :: v_dual_mul_f32 v203, v158, v19
	v_add_f32_e32 v2, v2, v6
	v_fma_f32 v5, v150, v10, -v5
	v_mul_f32_e32 v6, v155, v15
	v_add_f32_e32 v3, v3, v198
	v_fma_f32 v4, v152, v12, -v4
	v_dual_fmac_f32 v201, v155, v14 :: v_dual_fmac_f32 v202, v157, v16
	s_delay_alu instid0(VALU_DEP_3) | instskip(SKIP_3) | instid1(VALU_DEP_4)
	v_dual_add_f32 v2, v2, v5 :: v_dual_add_f32 v3, v3, v199
	v_mul_f32_e32 v5, v157, v17
	v_fma_f32 v6, v154, v14, -v6
	v_dual_mul_f32 v204, v160, v21 :: v_dual_mul_f32 v205, v162, v115
	v_add_f32_e32 v2, v2, v4
	v_add_f32_e32 v3, v3, v200
	v_mul_f32_e32 v4, v159, v19
	v_fma_f32 v5, v156, v16, -v5
	v_fmac_f32_e32 v203, v159, v18
	s_delay_alu instid0(VALU_DEP_4) | instskip(SKIP_3) | instid1(VALU_DEP_4)
	v_dual_add_f32 v2, v2, v6 :: v_dual_add_f32 v3, v3, v201
	v_fmac_f32_e32 v204, v161, v20
	v_mul_f32_e32 v6, v161, v21
	v_fma_f32 v4, v158, v18, -v4
	v_dual_add_f32 v2, v2, v5 :: v_dual_add_f32 v3, v3, v202
	v_mul_f32_e32 v5, v163, v115
	s_delay_alu instid0(VALU_DEP_4) | instskip(SKIP_1) | instid1(VALU_DEP_4)
	v_fma_f32 v6, v160, v20, -v6
	v_dual_mul_f32 v206, v164, v117 :: v_dual_mul_f32 v207, v166, v119
	v_dual_add_f32 v2, v2, v4 :: v_dual_add_f32 v3, v3, v203
	v_dual_mul_f32 v4, v165, v117 :: v_dual_fmac_f32 v205, v163, v114
	s_delay_alu instid0(VALU_DEP_3) | instskip(SKIP_1) | instid1(VALU_DEP_4)
	v_fmac_f32_e32 v206, v165, v116
	v_fma_f32 v5, v162, v114, -v5
	v_dual_add_f32 v2, v2, v6 :: v_dual_add_f32 v3, v3, v204
	v_mul_f32_e32 v6, v167, v119
	v_fma_f32 v4, v164, v116, -v4
	s_delay_alu instid0(VALU_DEP_3) | instskip(NEXT) | instid1(VALU_DEP_4)
	v_dual_fmac_f32 v207, v167, v118 :: v_dual_add_f32 v2, v2, v5
	v_add_f32_e32 v3, v3, v205
	v_dual_mul_f32 v208, v168, v121 :: v_dual_mul_f32 v209, v170, v123
	v_mul_f32_e32 v5, v169, v121
	v_fma_f32 v6, v166, v118, -v6
	s_delay_alu instid0(VALU_DEP_4) | instskip(NEXT) | instid1(VALU_DEP_4)
	v_dual_add_f32 v2, v2, v4 :: v_dual_add_f32 v3, v3, v206
	v_fmac_f32_e32 v208, v169, v120
	v_mul_f32_e32 v4, v171, v123
	v_fma_f32 v5, v168, v120, -v5
	s_delay_alu instid0(VALU_DEP_4) | instskip(SKIP_3) | instid1(VALU_DEP_4)
	v_dual_add_f32 v2, v2, v6 :: v_dual_add_f32 v3, v3, v207
	v_dual_mul_f32 v210, v172, v125 :: v_dual_mul_f32 v211, v174, v127
	v_dual_mul_f32 v6, v173, v125 :: v_dual_fmac_f32 v209, v171, v122
	v_fma_f32 v4, v170, v122, -v4
	v_dual_add_f32 v2, v2, v5 :: v_dual_add_f32 v3, v3, v208
	v_dual_mul_f32 v212, v176, v129 :: v_dual_mul_f32 v213, v178, v131
	v_dual_mul_f32 v5, v175, v127 :: v_dual_fmac_f32 v210, v173, v124
	v_fma_f32 v6, v172, v124, -v6
	s_delay_alu instid0(VALU_DEP_4) | instskip(SKIP_1) | instid1(VALU_DEP_4)
	v_dual_add_f32 v2, v2, v4 :: v_dual_add_f32 v3, v3, v209
	v_dual_mul_f32 v4, v177, v129 :: v_dual_fmac_f32 v211, v175, v126
	v_fma_f32 v5, v174, v126, -v5
	s_delay_alu instid0(VALU_DEP_3) | instskip(NEXT) | instid1(VALU_DEP_4)
	v_dual_fmac_f32 v212, v177, v128 :: v_dual_add_f32 v3, v3, v210
	v_add_f32_e32 v2, v2, v6
	v_mul_f32_e32 v6, v179, v131
	v_fma_f32 v4, v176, v128, -v4
	v_dual_mul_f32 v214, v180, v133 :: v_dual_mul_f32 v215, v182, v135
	s_delay_alu instid0(VALU_DEP_4) | instskip(SKIP_3) | instid1(VALU_DEP_4)
	v_dual_add_f32 v3, v3, v211 :: v_dual_add_f32 v2, v2, v5
	v_fmac_f32_e32 v213, v179, v130
	v_mul_f32_e32 v5, v181, v133
	v_fma_f32 v6, v178, v130, -v6
	v_add_f32_e32 v3, v3, v212
	v_add_f32_e32 v2, v2, v4
	v_mul_f32_e32 v4, v183, v135
	v_dual_fmac_f32 v214, v181, v132 :: v_dual_fmac_f32 v215, v183, v134
	v_fma_f32 v5, v180, v132, -v5
	s_delay_alu instid0(VALU_DEP_4) | instskip(SKIP_3) | instid1(VALU_DEP_4)
	v_dual_add_f32 v3, v3, v213 :: v_dual_add_f32 v2, v2, v6
	v_mul_f32_e32 v6, v185, v137
	v_fma_f32 v4, v182, v134, -v4
	v_dual_mul_f32 v217, v186, v139 :: v_dual_mul_f32 v218, v188, v141
	v_dual_add_f32 v2, v2, v5 :: v_dual_mul_f32 v5, v187, v139
	v_dual_add_f32 v3, v3, v214 :: v_dual_fmac_f32 v216, v185, v136
	v_fma_f32 v6, v184, v136, -v6
	s_delay_alu instid0(VALU_DEP_3) | instskip(NEXT) | instid1(VALU_DEP_3)
	v_dual_add_f32 v2, v2, v4 :: v_dual_fmac_f32 v217, v187, v138
	v_dual_add_f32 v3, v3, v215 :: v_dual_mul_f32 v4, v189, v141
	v_fma_f32 v5, v186, v138, -v5
	v_dual_fmac_f32 v218, v189, v140 :: v_dual_fmac_f32 v219, v195, v190
	s_delay_alu instid0(VALU_DEP_3) | instskip(SKIP_2) | instid1(VALU_DEP_3)
	v_dual_add_f32 v3, v3, v216 :: v_dual_add_f32 v2, v2, v6
	v_mul_f32_e32 v6, v195, v191
	v_fma_f32 v4, v188, v140, -v4
	v_add_f32_e32 v3, v3, v217
	s_delay_alu instid0(VALU_DEP_4) | instskip(NEXT) | instid1(VALU_DEP_4)
	v_add_f32_e32 v2, v2, v5
	v_fma_f32 v5, v194, v190, -v6
	s_delay_alu instid0(VALU_DEP_2) | instskip(NEXT) | instid1(VALU_DEP_1)
	v_dual_add_f32 v3, v3, v218 :: v_dual_add_f32 v2, v2, v4
	v_dual_add_f32 v3, v3, v219 :: v_dual_add_f32 v2, v2, v5
	s_wait_loadcnt 0x0
	s_delay_alu instid0(VALU_DEP_1)
	v_dual_sub_f32 v3, v193, v3 :: v_dual_sub_f32 v2, v192, v2
	scratch_store_b64 off, v[2:3], off offset:152
	v_cmpx_lt_u32_e32 18, v0
	s_cbranch_execz .LBB108_247
; %bb.246:
	scratch_load_b64 v[3:4], off, off offset:144
	v_mov_b32_e32 v2, v1
	scratch_store_b64 off, v[1:2], off offset:144
	s_wait_loadcnt 0x0
	ds_store_b64 v23, v[3:4]
.LBB108_247:
	s_wait_alu 0xfffe
	s_or_b32 exec_lo, exec_lo, s0
	s_wait_storecnt_dscnt 0x0
	s_barrier_signal -1
	s_barrier_wait -1
	global_inv scope:SCOPE_SE
	s_clause 0xd
	scratch_load_b128 v[2:5], off, off offset:152
	scratch_load_b128 v[6:9], off, off offset:168
	;; [unrolled: 1-line block ×13, first 2 shown]
	scratch_load_b64 v[198:199], off, off offset:144
	ds_load_2addr_b64 v[146:149], v1 offset0:65 offset1:66
	ds_load_2addr_b64 v[150:153], v1 offset0:67 offset1:68
	;; [unrolled: 1-line block ×13, first 2 shown]
	s_mov_b32 s0, exec_lo
	s_wait_loadcnt_dscnt 0xd0c
	v_dual_mul_f32 v1, v146, v3 :: v_dual_mul_f32 v22, v148, v5
	v_mul_f32_e32 v3, v147, v3
	s_wait_loadcnt_dscnt 0xc0b
	v_dual_mul_f32 v5, v149, v5 :: v_dual_mul_f32 v200, v150, v7
	s_delay_alu instid0(VALU_DEP_3) | instskip(NEXT) | instid1(VALU_DEP_3)
	v_dual_mul_f32 v201, v152, v9 :: v_dual_fmac_f32 v22, v149, v4
	v_fma_f32 v3, v146, v2, -v3
	v_fmac_f32_e32 v1, v147, v2
	v_mul_f32_e32 v2, v151, v7
	v_fma_f32 v4, v148, v4, -v5
	s_delay_alu instid0(VALU_DEP_4)
	v_dual_fmac_f32 v200, v151, v6 :: v_dual_add_f32 v3, 0, v3
	s_wait_loadcnt_dscnt 0x908
	v_dual_mul_f32 v206, v162, v19 :: v_dual_mul_f32 v207, v164, v21
	v_fma_f32 v2, v150, v6, -v2
	v_dual_mul_f32 v202, v154, v11 :: v_dual_mul_f32 v203, v156, v13
	v_add_f32_e32 v3, v3, v4
	v_dual_mul_f32 v5, v153, v9 :: v_dual_mul_f32 v204, v158, v15
	v_dual_mul_f32 v205, v160, v17 :: v_dual_mul_f32 v4, v155, v11
	s_delay_alu instid0(VALU_DEP_3) | instskip(NEXT) | instid1(VALU_DEP_3)
	v_add_f32_e32 v2, v3, v2
	v_fma_f32 v5, v152, v8, -v5
	v_dual_mul_f32 v3, v157, v13 :: v_dual_fmac_f32 v206, v163, v18
	s_delay_alu instid0(VALU_DEP_4) | instskip(SKIP_1) | instid1(VALU_DEP_4)
	v_fma_f32 v4, v154, v10, -v4
	v_dual_fmac_f32 v201, v153, v8 :: v_dual_fmac_f32 v202, v155, v10
	v_add_f32_e32 v2, v2, v5
	v_add_f32_e32 v1, 0, v1
	v_fma_f32 v3, v156, v12, -v3
	v_fmac_f32_e32 v204, v159, v14
	s_wait_loadcnt_dscnt 0x807
	v_dual_mul_f32 v208, v166, v115 :: v_dual_mul_f32 v209, v168, v117
	v_dual_add_f32 v1, v1, v22 :: v_dual_add_f32 v2, v2, v4
	v_mul_f32_e32 v4, v161, v17
	s_wait_loadcnt_dscnt 0x605
	v_dual_mul_f32 v212, v174, v123 :: v_dual_mul_f32 v213, v176, v125
	s_delay_alu instid0(VALU_DEP_3) | instskip(NEXT) | instid1(VALU_DEP_3)
	v_dual_add_f32 v1, v1, v200 :: v_dual_add_f32 v2, v2, v3
	v_fma_f32 v4, v160, v16, -v4
	v_mul_f32_e32 v5, v159, v15
	v_dual_mul_f32 v210, v170, v119 :: v_dual_mul_f32 v211, v172, v121
	s_wait_loadcnt_dscnt 0x302
	v_dual_add_f32 v1, v1, v201 :: v_dual_mul_f32 v218, v186, v135
	v_mul_f32_e32 v219, v188, v137
	v_fma_f32 v5, v158, v14, -v5
	v_fmac_f32_e32 v203, v157, v12
	s_delay_alu instid0(VALU_DEP_4)
	v_add_f32_e32 v1, v1, v202
	v_fmac_f32_e32 v208, v167, v114
	v_dual_mul_f32 v214, v178, v127 :: v_dual_mul_f32 v215, v180, v129
	v_add_f32_e32 v2, v2, v5
	v_dual_fmac_f32 v210, v171, v118 :: v_dual_fmac_f32 v209, v169, v116
	v_dual_mul_f32 v216, v182, v131 :: v_dual_mul_f32 v217, v184, v133
	s_delay_alu instid0(VALU_DEP_3) | instskip(SKIP_2) | instid1(VALU_DEP_4)
	v_add_f32_e32 v2, v2, v4
	v_mul_f32_e32 v4, v167, v115
	v_add_f32_e32 v1, v1, v203
	v_dual_fmac_f32 v211, v173, v120 :: v_dual_fmac_f32 v216, v183, v130
	v_fmac_f32_e32 v213, v177, v124
	s_delay_alu instid0(VALU_DEP_4) | instskip(SKIP_4) | instid1(VALU_DEP_3)
	v_fma_f32 v4, v166, v114, -v4
	v_mul_f32_e32 v5, v165, v21
	s_wait_loadcnt_dscnt 0x201
	v_dual_add_f32 v1, v1, v204 :: v_dual_mul_f32 v220, v190, v139
	v_dual_mul_f32 v221, v192, v141 :: v_dual_fmac_f32 v212, v175, v122
	v_fma_f32 v5, v164, v20, -v5
	v_mul_f32_e32 v3, v163, v19
	s_wait_loadcnt_dscnt 0x100
	v_dual_mul_f32 v222, v194, v143 :: v_dual_mul_f32 v223, v196, v145
	v_fmac_f32_e32 v219, v189, v136
	v_fmac_f32_e32 v221, v193, v140
	v_fma_f32 v3, v162, v18, -v3
	v_fmac_f32_e32 v205, v161, v16
	v_dual_fmac_f32 v223, v197, v144 :: v_dual_fmac_f32 v218, v187, v134
	v_fmac_f32_e32 v214, v179, v126
	s_delay_alu instid0(VALU_DEP_4) | instskip(SKIP_2) | instid1(VALU_DEP_3)
	v_dual_add_f32 v2, v2, v3 :: v_dual_mul_f32 v3, v169, v117
	v_fmac_f32_e32 v220, v191, v138
	v_fmac_f32_e32 v222, v195, v142
	v_dual_add_f32 v2, v2, v5 :: v_dual_mul_f32 v5, v171, v119
	s_delay_alu instid0(VALU_DEP_4) | instskip(NEXT) | instid1(VALU_DEP_2)
	v_fma_f32 v3, v168, v116, -v3
	v_dual_add_f32 v2, v2, v4 :: v_dual_add_f32 v1, v1, v205
	v_mul_f32_e32 v4, v173, v121
	s_delay_alu instid0(VALU_DEP_4) | instskip(NEXT) | instid1(VALU_DEP_3)
	v_fma_f32 v5, v170, v118, -v5
	v_dual_add_f32 v2, v2, v3 :: v_dual_fmac_f32 v207, v165, v20
	s_delay_alu instid0(VALU_DEP_3) | instskip(NEXT) | instid1(VALU_DEP_2)
	v_fma_f32 v4, v172, v120, -v4
	v_add_f32_e32 v2, v2, v5
	v_mul_f32_e32 v5, v177, v125
	s_delay_alu instid0(VALU_DEP_2) | instskip(NEXT) | instid1(VALU_DEP_2)
	v_dual_add_f32 v1, v1, v206 :: v_dual_add_f32 v2, v2, v4
	v_fma_f32 v5, v176, v124, -v5
	v_mul_f32_e32 v3, v175, v123
	s_delay_alu instid0(VALU_DEP_3) | instskip(SKIP_1) | instid1(VALU_DEP_3)
	v_add_f32_e32 v1, v1, v207
	v_mul_f32_e32 v4, v179, v127
	v_fma_f32 v3, v174, v122, -v3
	s_delay_alu instid0(VALU_DEP_3) | instskip(NEXT) | instid1(VALU_DEP_3)
	v_add_f32_e32 v1, v1, v208
	v_fma_f32 v4, v178, v126, -v4
	s_delay_alu instid0(VALU_DEP_3) | instskip(NEXT) | instid1(VALU_DEP_1)
	v_add_f32_e32 v2, v2, v3
	v_add_f32_e32 v2, v2, v5
	s_delay_alu instid0(VALU_DEP_4) | instskip(NEXT) | instid1(VALU_DEP_2)
	v_add_f32_e32 v1, v1, v209
	v_dual_mul_f32 v5, v183, v131 :: v_dual_add_f32 v2, v2, v4
	v_mul_f32_e32 v4, v185, v133
	s_delay_alu instid0(VALU_DEP_2) | instskip(NEXT) | instid1(VALU_DEP_2)
	v_fma_f32 v5, v182, v130, -v5
	v_fma_f32 v4, v184, v132, -v4
	v_mul_f32_e32 v3, v181, v129
	s_delay_alu instid0(VALU_DEP_1) | instskip(NEXT) | instid1(VALU_DEP_1)
	v_fma_f32 v3, v180, v128, -v3
	v_dual_add_f32 v1, v1, v210 :: v_dual_add_f32 v2, v2, v3
	s_delay_alu instid0(VALU_DEP_1) | instskip(NEXT) | instid1(VALU_DEP_2)
	v_add_f32_e32 v1, v1, v211
	v_dual_mul_f32 v3, v187, v135 :: v_dual_add_f32 v2, v2, v5
	v_mul_f32_e32 v5, v189, v137
	s_delay_alu instid0(VALU_DEP_2) | instskip(NEXT) | instid1(VALU_DEP_3)
	v_fma_f32 v3, v186, v134, -v3
	v_add_f32_e32 v2, v2, v4
	v_dual_add_f32 v1, v1, v212 :: v_dual_mul_f32 v4, v191, v139
	s_delay_alu instid0(VALU_DEP_4) | instskip(NEXT) | instid1(VALU_DEP_2)
	v_fma_f32 v5, v188, v136, -v5
	v_dual_add_f32 v2, v2, v3 :: v_dual_add_f32 v1, v1, v213
	v_fmac_f32_e32 v215, v181, v128
	v_mul_f32_e32 v3, v193, v141
	v_fma_f32 v4, v190, v138, -v4
	s_delay_alu instid0(VALU_DEP_4) | instskip(SKIP_1) | instid1(VALU_DEP_4)
	v_dual_add_f32 v2, v2, v5 :: v_dual_add_f32 v1, v1, v214
	v_mul_f32_e32 v5, v195, v143
	v_fma_f32 v3, v192, v140, -v3
	s_delay_alu instid0(VALU_DEP_3) | instskip(SKIP_1) | instid1(VALU_DEP_4)
	v_dual_add_f32 v2, v2, v4 :: v_dual_add_f32 v1, v1, v215
	v_fmac_f32_e32 v217, v185, v132
	v_fma_f32 v5, v194, v142, -v5
	v_mul_f32_e32 v4, v197, v145
	s_delay_alu instid0(VALU_DEP_4) | instskip(NEXT) | instid1(VALU_DEP_2)
	v_dual_add_f32 v2, v2, v3 :: v_dual_add_f32 v1, v1, v216
	v_fma_f32 v3, v196, v144, -v4
	s_delay_alu instid0(VALU_DEP_2) | instskip(NEXT) | instid1(VALU_DEP_1)
	v_add_f32_e32 v2, v2, v5
	v_dual_add_f32 v1, v1, v217 :: v_dual_add_f32 v2, v2, v3
	s_delay_alu instid0(VALU_DEP_1) | instskip(NEXT) | instid1(VALU_DEP_1)
	v_add_f32_e32 v1, v1, v218
	v_add_f32_e32 v1, v1, v219
	s_delay_alu instid0(VALU_DEP_1) | instskip(NEXT) | instid1(VALU_DEP_1)
	v_add_f32_e32 v1, v1, v220
	v_add_f32_e32 v1, v1, v221
	;; [unrolled: 3-line block ×3, first 2 shown]
	s_wait_loadcnt 0x0
	s_delay_alu instid0(VALU_DEP_1)
	v_dual_sub_f32 v1, v198, v2 :: v_dual_sub_f32 v2, v199, v3
	scratch_store_b64 off, v[1:2], off offset:144
	v_cmpx_lt_u32_e32 17, v0
	s_cbranch_execz .LBB108_249
; %bb.248:
	scratch_load_b64 v[1:2], off, off offset:136
	v_mov_b32_e32 v3, 0
	s_delay_alu instid0(VALU_DEP_1)
	v_mov_b32_e32 v4, v3
	scratch_store_b64 off, v[3:4], off offset:136
	s_wait_loadcnt 0x0
	ds_store_b64 v23, v[1:2]
.LBB108_249:
	s_wait_alu 0xfffe
	s_or_b32 exec_lo, exec_lo, s0
	s_wait_storecnt_dscnt 0x0
	s_barrier_signal -1
	s_barrier_wait -1
	global_inv scope:SCOPE_SE
	s_clause 0xe
	scratch_load_b128 v[2:5], off, off offset:144
	scratch_load_b128 v[6:9], off, off offset:160
	;; [unrolled: 1-line block ×13, first 2 shown]
	scratch_load_b64 v[198:199], off, off offset:352
	scratch_load_b64 v[200:201], off, off offset:136
	v_mov_b32_e32 v1, 0
	ds_load_b128 v[146:149], v1 offset:512
	ds_load_b128 v[150:153], v1 offset:528
	;; [unrolled: 1-line block ×13, first 2 shown]
	ds_load_b64 v[202:203], v1 offset:720
	s_mov_b32 s0, exec_lo
	s_wait_loadcnt_dscnt 0xe0d
	v_mul_f32_e32 v22, v146, v3
	s_wait_loadcnt_dscnt 0xd0c
	v_dual_mul_f32 v204, v148, v5 :: v_dual_mul_f32 v205, v150, v7
	v_mul_f32_e32 v5, v149, v5
	s_wait_loadcnt_dscnt 0xc0b
	v_dual_mul_f32 v206, v152, v9 :: v_dual_mul_f32 v207, v154, v11
	s_wait_loadcnt_dscnt 0xb0a
	v_dual_mul_f32 v208, v156, v13 :: v_dual_mul_f32 v209, v158, v15
	v_mul_f32_e32 v3, v147, v3
	v_fmac_f32_e32 v22, v147, v2
	s_delay_alu instid0(VALU_DEP_3)
	v_dual_fmac_f32 v207, v155, v10 :: v_dual_fmac_f32 v208, v157, v12
	s_wait_loadcnt_dscnt 0x100
	v_dual_mul_f32 v226, v192, v141 :: v_dual_mul_f32 v229, v202, v199
	v_fma_f32 v3, v146, v2, -v3
	v_mul_f32_e32 v2, v151, v7
	v_fmac_f32_e32 v204, v149, v4
	v_fma_f32 v4, v148, v4, -v5
	v_dual_add_f32 v5, 0, v22 :: v_dual_fmac_f32 v206, v153, v8
	v_add_f32_e32 v3, 0, v3
	v_fmac_f32_e32 v205, v151, v6
	v_fma_f32 v2, v150, v6, -v2
	v_dual_mul_f32 v210, v160, v17 :: v_dual_mul_f32 v211, v162, v19
	s_delay_alu instid0(VALU_DEP_4) | instskip(SKIP_2) | instid1(VALU_DEP_4)
	v_add_f32_e32 v3, v3, v4
	v_mul_f32_e32 v7, v153, v9
	v_dual_add_f32 v4, v5, v204 :: v_dual_fmac_f32 v209, v159, v14
	v_fmac_f32_e32 v210, v161, v16
	s_delay_alu instid0(VALU_DEP_4) | instskip(NEXT) | instid1(VALU_DEP_4)
	v_add_f32_e32 v2, v3, v2
	v_fma_f32 v6, v152, v8, -v7
	v_mul_f32_e32 v5, v155, v11
	v_add_f32_e32 v3, v4, v205
	v_mul_f32_e32 v4, v157, v13
	v_dual_mul_f32 v212, v164, v21 :: v_dual_mul_f32 v213, v166, v115
	v_add_f32_e32 v2, v2, v6
	v_fma_f32 v5, v154, v10, -v5
	v_mul_f32_e32 v6, v159, v15
	v_add_f32_e32 v3, v3, v206
	v_fma_f32 v4, v156, v12, -v4
	v_dual_mul_f32 v214, v168, v117 :: v_dual_mul_f32 v215, v170, v119
	s_delay_alu instid0(VALU_DEP_3) | instskip(SKIP_2) | instid1(VALU_DEP_3)
	v_dual_add_f32 v2, v2, v5 :: v_dual_add_f32 v3, v3, v207
	v_mul_f32_e32 v5, v161, v17
	v_fma_f32 v6, v158, v14, -v6
	v_dual_fmac_f32 v211, v163, v18 :: v_dual_add_f32 v2, v2, v4
	s_delay_alu instid0(VALU_DEP_4) | instskip(SKIP_3) | instid1(VALU_DEP_4)
	v_add_f32_e32 v3, v3, v208
	v_mul_f32_e32 v4, v163, v19
	v_fma_f32 v5, v160, v16, -v5
	v_fmac_f32_e32 v212, v165, v20
	v_dual_add_f32 v2, v2, v6 :: v_dual_add_f32 v3, v3, v209
	v_mul_f32_e32 v6, v165, v21
	v_fma_f32 v4, v162, v18, -v4
	v_dual_fmac_f32 v213, v167, v114 :: v_dual_fmac_f32 v214, v169, v116
	s_delay_alu instid0(VALU_DEP_4) | instskip(SKIP_3) | instid1(VALU_DEP_4)
	v_dual_add_f32 v2, v2, v5 :: v_dual_add_f32 v3, v3, v210
	v_mul_f32_e32 v5, v167, v115
	v_fma_f32 v6, v164, v20, -v6
	v_dual_mul_f32 v216, v172, v121 :: v_dual_mul_f32 v217, v174, v123
	v_dual_add_f32 v2, v2, v4 :: v_dual_add_f32 v3, v3, v211
	v_mul_f32_e32 v4, v169, v117
	v_fma_f32 v5, v166, v114, -v5
	v_fmac_f32_e32 v215, v171, v118
	s_delay_alu instid0(VALU_DEP_4) | instskip(SKIP_3) | instid1(VALU_DEP_4)
	v_dual_add_f32 v2, v2, v6 :: v_dual_add_f32 v3, v3, v212
	v_mul_f32_e32 v6, v171, v119
	v_fma_f32 v4, v168, v116, -v4
	v_fmac_f32_e32 v216, v173, v120
	v_add_f32_e32 v2, v2, v5
	v_add_f32_e32 v3, v3, v213
	v_mul_f32_e32 v5, v173, v121
	v_fma_f32 v6, v170, v118, -v6
	v_dual_mul_f32 v218, v176, v125 :: v_dual_mul_f32 v219, v178, v127
	s_delay_alu instid0(VALU_DEP_4) | instskip(SKIP_3) | instid1(VALU_DEP_4)
	v_dual_add_f32 v2, v2, v4 :: v_dual_add_f32 v3, v3, v214
	v_mul_f32_e32 v4, v175, v123
	v_fma_f32 v5, v172, v120, -v5
	v_fmac_f32_e32 v217, v175, v122
	v_dual_add_f32 v2, v2, v6 :: v_dual_add_f32 v3, v3, v215
	v_mul_f32_e32 v6, v177, v125
	v_fma_f32 v4, v174, v122, -v4
	v_fmac_f32_e32 v218, v177, v124
	s_delay_alu instid0(VALU_DEP_4) | instskip(SKIP_2) | instid1(VALU_DEP_3)
	v_dual_add_f32 v2, v2, v5 :: v_dual_add_f32 v3, v3, v216
	v_dual_mul_f32 v5, v179, v127 :: v_dual_mul_f32 v220, v180, v129
	v_mul_f32_e32 v221, v182, v131
	v_dual_add_f32 v2, v2, v4 :: v_dual_add_f32 v3, v3, v217
	v_fma_f32 v6, v176, v124, -v6
	v_dual_mul_f32 v4, v181, v129 :: v_dual_fmac_f32 v219, v179, v126
	v_fma_f32 v5, v178, v126, -v5
	s_delay_alu instid0(VALU_DEP_4) | instskip(NEXT) | instid1(VALU_DEP_4)
	v_dual_add_f32 v3, v3, v218 :: v_dual_fmac_f32 v220, v181, v128
	v_add_f32_e32 v2, v2, v6
	v_mul_f32_e32 v6, v183, v131
	v_dual_mul_f32 v222, v184, v133 :: v_dual_mul_f32 v223, v186, v135
	s_delay_alu instid0(VALU_DEP_4) | instskip(SKIP_3) | instid1(VALU_DEP_4)
	v_add_f32_e32 v3, v3, v219
	v_fma_f32 v4, v180, v128, -v4
	v_dual_add_f32 v2, v2, v5 :: v_dual_fmac_f32 v221, v183, v130
	v_fma_f32 v6, v182, v130, -v6
	v_add_f32_e32 v3, v3, v220
	s_delay_alu instid0(VALU_DEP_3) | instskip(SKIP_1) | instid1(VALU_DEP_3)
	v_dual_mul_f32 v5, v185, v133 :: v_dual_add_f32 v2, v2, v4
	v_dual_fmac_f32 v222, v185, v132 :: v_dual_fmac_f32 v223, v187, v134
	v_add_f32_e32 v3, v3, v221
	v_dual_mul_f32 v224, v188, v137 :: v_dual_mul_f32 v225, v190, v139
	v_mul_f32_e32 v4, v187, v135
	v_fma_f32 v5, v184, v132, -v5
	v_add_f32_e32 v2, v2, v6
	v_dual_mul_f32 v6, v189, v137 :: v_dual_add_f32 v3, v3, v222
	s_delay_alu instid0(VALU_DEP_4) | instskip(SKIP_1) | instid1(VALU_DEP_4)
	v_fma_f32 v4, v186, v134, -v4
	v_fmac_f32_e32 v224, v189, v136
	v_dual_add_f32 v2, v2, v5 :: v_dual_mul_f32 v5, v191, v139
	s_delay_alu instid0(VALU_DEP_4) | instskip(SKIP_1) | instid1(VALU_DEP_3)
	v_add_f32_e32 v3, v3, v223
	v_fma_f32 v6, v188, v136, -v6
	v_dual_fmac_f32 v225, v191, v138 :: v_dual_add_f32 v2, v2, v4
	s_delay_alu instid0(VALU_DEP_3) | instskip(SKIP_2) | instid1(VALU_DEP_3)
	v_dual_mul_f32 v4, v193, v141 :: v_dual_add_f32 v3, v3, v224
	v_dual_mul_f32 v227, v194, v143 :: v_dual_mul_f32 v228, v196, v145
	v_fma_f32 v5, v190, v138, -v5
	v_dual_add_f32 v2, v2, v6 :: v_dual_add_f32 v3, v3, v225
	s_delay_alu instid0(VALU_DEP_3) | instskip(SKIP_2) | instid1(VALU_DEP_3)
	v_dual_fmac_f32 v226, v193, v140 :: v_dual_fmac_f32 v227, v195, v142
	v_mul_f32_e32 v6, v195, v143
	v_fma_f32 v4, v192, v140, -v4
	v_dual_add_f32 v2, v2, v5 :: v_dual_add_f32 v3, v3, v226
	v_mul_f32_e32 v5, v197, v145
	s_delay_alu instid0(VALU_DEP_4) | instskip(SKIP_1) | instid1(VALU_DEP_4)
	v_fma_f32 v6, v194, v142, -v6
	v_dual_fmac_f32 v228, v197, v144 :: v_dual_fmac_f32 v229, v203, v198
	v_dual_add_f32 v2, v2, v4 :: v_dual_add_f32 v3, v3, v227
	v_mul_f32_e32 v4, v203, v199
	v_fma_f32 v5, v196, v144, -v5
	s_delay_alu instid0(VALU_DEP_3) | instskip(NEXT) | instid1(VALU_DEP_3)
	v_dual_add_f32 v2, v2, v6 :: v_dual_add_f32 v3, v3, v228
	v_fma_f32 v4, v202, v198, -v4
	s_delay_alu instid0(VALU_DEP_2) | instskip(SKIP_1) | instid1(VALU_DEP_1)
	v_add_f32_e32 v3, v3, v229
	s_wait_loadcnt 0x0
	v_dual_add_f32 v2, v2, v5 :: v_dual_sub_f32 v3, v201, v3
	s_delay_alu instid0(VALU_DEP_1) | instskip(NEXT) | instid1(VALU_DEP_1)
	v_add_f32_e32 v2, v2, v4
	v_sub_f32_e32 v2, v200, v2
	scratch_store_b64 off, v[2:3], off offset:136
	v_cmpx_lt_u32_e32 16, v0
	s_cbranch_execz .LBB108_251
; %bb.250:
	scratch_load_b64 v[3:4], off, off offset:128
	v_mov_b32_e32 v2, v1
	scratch_store_b64 off, v[1:2], off offset:128
	s_wait_loadcnt 0x0
	ds_store_b64 v23, v[3:4]
.LBB108_251:
	s_wait_alu 0xfffe
	s_or_b32 exec_lo, exec_lo, s0
	s_wait_storecnt_dscnt 0x0
	s_barrier_signal -1
	s_barrier_wait -1
	global_inv scope:SCOPE_SE
	s_clause 0xe
	scratch_load_b128 v[2:5], off, off offset:136
	scratch_load_b128 v[6:9], off, off offset:152
	;; [unrolled: 1-line block ×14, first 2 shown]
	scratch_load_b64 v[206:207], off, off offset:128
	ds_load_2addr_b64 v[150:153], v1 offset0:63 offset1:64
	ds_load_2addr_b64 v[154:157], v1 offset0:65 offset1:66
	;; [unrolled: 1-line block ×14, first 2 shown]
	s_mov_b32 s0, exec_lo
	s_wait_loadcnt_dscnt 0xe0d
	v_dual_mul_f32 v1, v150, v3 :: v_dual_mul_f32 v22, v152, v5
	v_mul_f32_e32 v3, v151, v3
	s_wait_loadcnt_dscnt 0xd0c
	v_dual_mul_f32 v5, v153, v5 :: v_dual_mul_f32 v208, v154, v7
	s_delay_alu instid0(VALU_DEP_3) | instskip(NEXT) | instid1(VALU_DEP_3)
	v_dual_mul_f32 v209, v156, v9 :: v_dual_fmac_f32 v22, v153, v4
	v_fma_f32 v3, v150, v2, -v3
	v_fmac_f32_e32 v1, v151, v2
	v_mul_f32_e32 v2, v155, v7
	v_fma_f32 v4, v152, v4, -v5
	s_delay_alu instid0(VALU_DEP_4)
	v_dual_fmac_f32 v208, v155, v6 :: v_dual_add_f32 v3, 0, v3
	s_wait_loadcnt_dscnt 0xa09
	v_dual_mul_f32 v214, v166, v19 :: v_dual_mul_f32 v215, v168, v21
	v_fma_f32 v2, v154, v6, -v2
	v_dual_mul_f32 v210, v158, v11 :: v_dual_mul_f32 v211, v160, v13
	v_add_f32_e32 v3, v3, v4
	v_dual_mul_f32 v5, v157, v9 :: v_dual_mul_f32 v212, v162, v15
	v_dual_mul_f32 v213, v164, v17 :: v_dual_mul_f32 v4, v159, v11
	s_delay_alu instid0(VALU_DEP_3) | instskip(NEXT) | instid1(VALU_DEP_3)
	v_add_f32_e32 v2, v3, v2
	v_fma_f32 v5, v156, v8, -v5
	v_dual_mul_f32 v3, v161, v13 :: v_dual_fmac_f32 v214, v167, v18
	s_delay_alu instid0(VALU_DEP_4) | instskip(SKIP_1) | instid1(VALU_DEP_4)
	v_fma_f32 v4, v158, v10, -v4
	v_dual_fmac_f32 v209, v157, v8 :: v_dual_fmac_f32 v210, v159, v10
	v_add_f32_e32 v2, v2, v5
	v_add_f32_e32 v1, 0, v1
	v_fma_f32 v3, v160, v12, -v3
	v_fmac_f32_e32 v212, v163, v14
	s_wait_loadcnt_dscnt 0x908
	v_dual_mul_f32 v216, v170, v115 :: v_dual_mul_f32 v217, v172, v117
	v_dual_add_f32 v1, v1, v22 :: v_dual_add_f32 v2, v2, v4
	v_mul_f32_e32 v4, v165, v17
	s_wait_loadcnt_dscnt 0x706
	v_dual_mul_f32 v220, v178, v123 :: v_dual_mul_f32 v221, v180, v125
	s_delay_alu instid0(VALU_DEP_3) | instskip(NEXT) | instid1(VALU_DEP_3)
	v_dual_add_f32 v1, v1, v208 :: v_dual_add_f32 v2, v2, v3
	v_fma_f32 v4, v164, v16, -v4
	v_mul_f32_e32 v5, v163, v15
	v_dual_mul_f32 v218, v174, v119 :: v_dual_mul_f32 v219, v176, v121
	s_wait_loadcnt_dscnt 0x403
	v_dual_add_f32 v1, v1, v209 :: v_dual_mul_f32 v226, v190, v135
	v_mul_f32_e32 v227, v192, v137
	v_fma_f32 v5, v162, v14, -v5
	v_fmac_f32_e32 v211, v161, v12
	s_delay_alu instid0(VALU_DEP_4)
	v_add_f32_e32 v1, v1, v210
	v_fmac_f32_e32 v216, v171, v114
	v_dual_mul_f32 v222, v182, v127 :: v_dual_mul_f32 v223, v184, v129
	v_add_f32_e32 v2, v2, v5
	v_dual_fmac_f32 v218, v175, v118 :: v_dual_fmac_f32 v217, v173, v116
	v_dual_mul_f32 v224, v186, v131 :: v_dual_mul_f32 v225, v188, v133
	s_delay_alu instid0(VALU_DEP_3) | instskip(SKIP_2) | instid1(VALU_DEP_4)
	v_add_f32_e32 v2, v2, v4
	v_mul_f32_e32 v4, v171, v115
	v_add_f32_e32 v1, v1, v211
	v_dual_fmac_f32 v219, v177, v120 :: v_dual_fmac_f32 v224, v187, v130
	s_wait_loadcnt_dscnt 0x100
	v_dual_mul_f32 v232, v202, v147 :: v_dual_mul_f32 v233, v204, v149
	v_fma_f32 v4, v170, v114, -v4
	v_mul_f32_e32 v5, v169, v21
	v_dual_add_f32 v1, v1, v212 :: v_dual_fmac_f32 v220, v179, v122
	v_dual_fmac_f32 v221, v181, v124 :: v_dual_mul_f32 v228, v194, v139
	v_mul_f32_e32 v229, v196, v141
	s_delay_alu instid0(VALU_DEP_4) | instskip(SKIP_2) | instid1(VALU_DEP_4)
	v_fma_f32 v5, v168, v20, -v5
	v_mul_f32_e32 v3, v167, v19
	v_dual_mul_f32 v230, v198, v143 :: v_dual_mul_f32 v231, v200, v145
	v_fmac_f32_e32 v229, v197, v140
	v_fmac_f32_e32 v233, v205, v148
	s_delay_alu instid0(VALU_DEP_4) | instskip(SKIP_3) | instid1(VALU_DEP_4)
	v_fma_f32 v3, v166, v18, -v3
	v_fmac_f32_e32 v213, v165, v16
	v_dual_fmac_f32 v231, v201, v144 :: v_dual_fmac_f32 v226, v191, v134
	v_fmac_f32_e32 v222, v183, v126
	v_dual_add_f32 v2, v2, v3 :: v_dual_mul_f32 v3, v173, v117
	v_fmac_f32_e32 v232, v203, v146
	v_fmac_f32_e32 v228, v195, v138
	;; [unrolled: 1-line block ×3, first 2 shown]
	s_delay_alu instid0(VALU_DEP_4) | instskip(SKIP_1) | instid1(VALU_DEP_2)
	v_dual_add_f32 v2, v2, v5 :: v_dual_mul_f32 v5, v175, v119
	v_fma_f32 v3, v172, v116, -v3
	v_dual_add_f32 v2, v2, v4 :: v_dual_add_f32 v1, v1, v213
	v_mul_f32_e32 v4, v177, v121
	s_delay_alu instid0(VALU_DEP_4) | instskip(NEXT) | instid1(VALU_DEP_3)
	v_fma_f32 v5, v174, v118, -v5
	v_dual_add_f32 v2, v2, v3 :: v_dual_fmac_f32 v215, v169, v20
	s_delay_alu instid0(VALU_DEP_3) | instskip(NEXT) | instid1(VALU_DEP_2)
	v_fma_f32 v4, v176, v120, -v4
	v_add_f32_e32 v2, v2, v5
	v_mul_f32_e32 v5, v181, v125
	s_delay_alu instid0(VALU_DEP_2) | instskip(NEXT) | instid1(VALU_DEP_2)
	v_dual_add_f32 v1, v1, v214 :: v_dual_add_f32 v2, v2, v4
	v_fma_f32 v5, v180, v124, -v5
	v_mul_f32_e32 v3, v179, v123
	s_delay_alu instid0(VALU_DEP_3) | instskip(SKIP_1) | instid1(VALU_DEP_3)
	v_add_f32_e32 v1, v1, v215
	v_mul_f32_e32 v4, v183, v127
	v_fma_f32 v3, v178, v122, -v3
	s_delay_alu instid0(VALU_DEP_3) | instskip(NEXT) | instid1(VALU_DEP_3)
	v_add_f32_e32 v1, v1, v216
	v_fma_f32 v4, v182, v126, -v4
	s_delay_alu instid0(VALU_DEP_3) | instskip(NEXT) | instid1(VALU_DEP_1)
	v_add_f32_e32 v2, v2, v3
	v_add_f32_e32 v2, v2, v5
	s_delay_alu instid0(VALU_DEP_4) | instskip(NEXT) | instid1(VALU_DEP_2)
	v_add_f32_e32 v1, v1, v217
	v_dual_mul_f32 v5, v187, v131 :: v_dual_add_f32 v2, v2, v4
	v_mul_f32_e32 v4, v189, v133
	s_delay_alu instid0(VALU_DEP_2) | instskip(NEXT) | instid1(VALU_DEP_2)
	v_fma_f32 v5, v186, v130, -v5
	v_fma_f32 v4, v188, v132, -v4
	v_mul_f32_e32 v3, v185, v129
	s_delay_alu instid0(VALU_DEP_1) | instskip(NEXT) | instid1(VALU_DEP_1)
	v_fma_f32 v3, v184, v128, -v3
	v_dual_add_f32 v1, v1, v218 :: v_dual_add_f32 v2, v2, v3
	s_delay_alu instid0(VALU_DEP_1) | instskip(NEXT) | instid1(VALU_DEP_2)
	v_add_f32_e32 v1, v1, v219
	v_dual_mul_f32 v3, v191, v135 :: v_dual_add_f32 v2, v2, v5
	v_mul_f32_e32 v5, v193, v137
	s_delay_alu instid0(VALU_DEP_2) | instskip(NEXT) | instid1(VALU_DEP_3)
	v_fma_f32 v3, v190, v134, -v3
	v_add_f32_e32 v2, v2, v4
	v_dual_add_f32 v1, v1, v220 :: v_dual_mul_f32 v4, v195, v139
	s_delay_alu instid0(VALU_DEP_4) | instskip(NEXT) | instid1(VALU_DEP_2)
	v_fma_f32 v5, v192, v136, -v5
	v_dual_add_f32 v2, v2, v3 :: v_dual_add_f32 v1, v1, v221
	v_fmac_f32_e32 v223, v185, v128
	v_mul_f32_e32 v3, v197, v141
	v_fma_f32 v4, v194, v138, -v4
	s_delay_alu instid0(VALU_DEP_4) | instskip(SKIP_1) | instid1(VALU_DEP_4)
	v_dual_add_f32 v2, v2, v5 :: v_dual_add_f32 v1, v1, v222
	v_mul_f32_e32 v5, v199, v143
	v_fma_f32 v3, v196, v140, -v3
	s_delay_alu instid0(VALU_DEP_3) | instskip(SKIP_3) | instid1(VALU_DEP_4)
	v_dual_add_f32 v2, v2, v4 :: v_dual_add_f32 v1, v1, v223
	v_fmac_f32_e32 v225, v189, v132
	v_mul_f32_e32 v4, v201, v145
	v_fma_f32 v5, v198, v142, -v5
	v_dual_add_f32 v2, v2, v3 :: v_dual_add_f32 v1, v1, v224
	v_mul_f32_e32 v3, v203, v147
	s_delay_alu instid0(VALU_DEP_4) | instskip(NEXT) | instid1(VALU_DEP_3)
	v_fma_f32 v4, v200, v144, -v4
	v_add_f32_e32 v2, v2, v5
	s_delay_alu instid0(VALU_DEP_4) | instskip(SKIP_2) | instid1(VALU_DEP_4)
	v_add_f32_e32 v1, v1, v225
	v_mul_f32_e32 v5, v205, v149
	v_fma_f32 v3, v202, v146, -v3
	v_add_f32_e32 v2, v2, v4
	v_fmac_f32_e32 v227, v193, v136
	s_delay_alu instid0(VALU_DEP_4) | instskip(NEXT) | instid1(VALU_DEP_3)
	v_fma_f32 v4, v204, v148, -v5
	v_dual_add_f32 v2, v2, v3 :: v_dual_add_f32 v1, v1, v226
	s_delay_alu instid0(VALU_DEP_1) | instskip(NEXT) | instid1(VALU_DEP_1)
	v_dual_add_f32 v2, v2, v4 :: v_dual_add_f32 v1, v1, v227
	v_add_f32_e32 v1, v1, v228
	s_delay_alu instid0(VALU_DEP_1) | instskip(NEXT) | instid1(VALU_DEP_1)
	v_add_f32_e32 v1, v1, v229
	v_add_f32_e32 v1, v1, v230
	s_delay_alu instid0(VALU_DEP_1) | instskip(NEXT) | instid1(VALU_DEP_1)
	v_add_f32_e32 v1, v1, v231
	v_add_f32_e32 v1, v1, v232
	s_delay_alu instid0(VALU_DEP_1) | instskip(SKIP_1) | instid1(VALU_DEP_1)
	v_add_f32_e32 v3, v1, v233
	s_wait_loadcnt 0x0
	v_dual_sub_f32 v1, v206, v2 :: v_dual_sub_f32 v2, v207, v3
	scratch_store_b64 off, v[1:2], off offset:128
	v_cmpx_lt_u32_e32 15, v0
	s_cbranch_execz .LBB108_253
; %bb.252:
	scratch_load_b64 v[1:2], off, off offset:120
	v_mov_b32_e32 v3, 0
	s_delay_alu instid0(VALU_DEP_1)
	v_mov_b32_e32 v4, v3
	scratch_store_b64 off, v[3:4], off offset:120
	s_wait_loadcnt 0x0
	ds_store_b64 v23, v[1:2]
.LBB108_253:
	s_wait_alu 0xfffe
	s_or_b32 exec_lo, exec_lo, s0
	s_wait_storecnt_dscnt 0x0
	s_barrier_signal -1
	s_barrier_wait -1
	global_inv scope:SCOPE_SE
	s_clause 0xf
	scratch_load_b128 v[2:5], off, off offset:128
	scratch_load_b128 v[6:9], off, off offset:144
	;; [unrolled: 1-line block ×14, first 2 shown]
	scratch_load_b64 v[206:207], off, off offset:352
	scratch_load_b64 v[208:209], off, off offset:120
	v_mov_b32_e32 v1, 0
	ds_load_b128 v[150:153], v1 offset:496
	ds_load_b128 v[154:157], v1 offset:512
	;; [unrolled: 1-line block ×14, first 2 shown]
	ds_load_b64 v[210:211], v1 offset:720
	s_mov_b32 s0, exec_lo
	s_wait_loadcnt_dscnt 0xf0e
	v_mul_f32_e32 v22, v150, v3
	s_wait_loadcnt_dscnt 0xe0d
	v_dual_mul_f32 v212, v152, v5 :: v_dual_mul_f32 v213, v154, v7
	v_mul_f32_e32 v5, v153, v5
	s_wait_loadcnt_dscnt 0xd0c
	v_dual_mul_f32 v214, v156, v9 :: v_dual_mul_f32 v215, v158, v11
	s_wait_loadcnt_dscnt 0xc0b
	v_dual_mul_f32 v216, v160, v13 :: v_dual_mul_f32 v217, v162, v15
	v_dual_mul_f32 v3, v151, v3 :: v_dual_mul_f32 v218, v164, v17
	s_wait_loadcnt_dscnt 0xb0a
	v_dual_mul_f32 v219, v166, v19 :: v_dual_fmac_f32 v22, v151, v2
	s_wait_loadcnt_dscnt 0x302
	v_mul_f32_e32 v236, v200, v145
	v_fma_f32 v3, v150, v2, -v3
	s_wait_loadcnt_dscnt 0x100
	v_mul_f32_e32 v239, v210, v207
	v_mul_f32_e32 v2, v155, v7
	v_fmac_f32_e32 v212, v153, v4
	v_fma_f32 v4, v152, v4, -v5
	v_add_f32_e32 v3, 0, v3
	v_dual_add_f32 v5, 0, v22 :: v_dual_fmac_f32 v214, v157, v8
	v_fmac_f32_e32 v213, v155, v6
	v_fma_f32 v2, v154, v6, -v2
	s_delay_alu instid0(VALU_DEP_4) | instskip(SKIP_3) | instid1(VALU_DEP_4)
	v_add_f32_e32 v3, v3, v4
	v_mul_f32_e32 v7, v157, v9
	v_dual_add_f32 v4, v5, v212 :: v_dual_fmac_f32 v215, v159, v10
	v_fmac_f32_e32 v216, v161, v12
	v_add_f32_e32 v2, v3, v2
	s_delay_alu instid0(VALU_DEP_4)
	v_fma_f32 v6, v156, v8, -v7
	v_mul_f32_e32 v5, v159, v11
	v_add_f32_e32 v3, v4, v213
	v_dual_mul_f32 v4, v161, v13 :: v_dual_fmac_f32 v217, v163, v14
	v_fmac_f32_e32 v218, v165, v16
	v_add_f32_e32 v2, v2, v6
	v_fma_f32 v5, v158, v10, -v5
	v_mul_f32_e32 v6, v163, v15
	v_add_f32_e32 v3, v3, v214
	v_fma_f32 v4, v160, v12, -v4
	v_dual_mul_f32 v220, v168, v21 :: v_dual_mul_f32 v221, v170, v115
	s_delay_alu instid0(VALU_DEP_3) | instskip(SKIP_3) | instid1(VALU_DEP_4)
	v_dual_add_f32 v2, v2, v5 :: v_dual_add_f32 v3, v3, v215
	v_mul_f32_e32 v5, v165, v17
	v_fma_f32 v6, v162, v14, -v6
	v_dual_mul_f32 v222, v172, v117 :: v_dual_mul_f32 v223, v174, v119
	v_add_f32_e32 v2, v2, v4
	v_add_f32_e32 v3, v3, v216
	v_mul_f32_e32 v4, v167, v19
	v_fma_f32 v5, v164, v16, -v5
	v_fmac_f32_e32 v219, v167, v18
	s_delay_alu instid0(VALU_DEP_4) | instskip(SKIP_3) | instid1(VALU_DEP_4)
	v_dual_add_f32 v2, v2, v6 :: v_dual_add_f32 v3, v3, v217
	v_fmac_f32_e32 v220, v169, v20
	v_mul_f32_e32 v6, v169, v21
	v_fma_f32 v4, v166, v18, -v4
	v_dual_add_f32 v2, v2, v5 :: v_dual_add_f32 v3, v3, v218
	v_mul_f32_e32 v5, v171, v115
	s_delay_alu instid0(VALU_DEP_4) | instskip(SKIP_1) | instid1(VALU_DEP_4)
	v_fma_f32 v6, v168, v20, -v6
	v_dual_fmac_f32 v221, v171, v114 :: v_dual_fmac_f32 v222, v173, v116
	v_dual_add_f32 v2, v2, v4 :: v_dual_add_f32 v3, v3, v219
	v_mul_f32_e32 v4, v173, v117
	v_fma_f32 v5, v170, v114, -v5
	v_fmac_f32_e32 v223, v175, v118
	s_delay_alu instid0(VALU_DEP_4) | instskip(SKIP_3) | instid1(VALU_DEP_4)
	v_dual_add_f32 v2, v2, v6 :: v_dual_add_f32 v3, v3, v220
	v_mul_f32_e32 v6, v175, v119
	v_fma_f32 v4, v172, v116, -v4
	v_dual_mul_f32 v224, v176, v121 :: v_dual_mul_f32 v225, v178, v123
	v_add_f32_e32 v2, v2, v5
	v_add_f32_e32 v3, v3, v221
	v_mul_f32_e32 v5, v177, v121
	v_fma_f32 v6, v174, v118, -v6
	v_fmac_f32_e32 v224, v177, v120
	s_delay_alu instid0(VALU_DEP_4) | instskip(SKIP_3) | instid1(VALU_DEP_4)
	v_dual_add_f32 v2, v2, v4 :: v_dual_add_f32 v3, v3, v222
	v_mul_f32_e32 v4, v179, v123
	v_fma_f32 v5, v176, v120, -v5
	v_dual_mul_f32 v226, v180, v125 :: v_dual_mul_f32 v227, v182, v127
	v_dual_add_f32 v2, v2, v6 :: v_dual_add_f32 v3, v3, v223
	v_dual_mul_f32 v6, v181, v125 :: v_dual_fmac_f32 v225, v179, v122
	v_fma_f32 v4, v178, v122, -v4
	s_delay_alu instid0(VALU_DEP_3) | instskip(SKIP_3) | instid1(VALU_DEP_4)
	v_dual_add_f32 v2, v2, v5 :: v_dual_add_f32 v3, v3, v224
	v_dual_mul_f32 v228, v184, v129 :: v_dual_mul_f32 v229, v186, v131
	v_dual_mul_f32 v5, v183, v127 :: v_dual_fmac_f32 v226, v181, v124
	v_fma_f32 v6, v180, v124, -v6
	v_dual_add_f32 v2, v2, v4 :: v_dual_add_f32 v3, v3, v225
	v_dual_mul_f32 v4, v185, v129 :: v_dual_fmac_f32 v227, v183, v126
	s_delay_alu instid0(VALU_DEP_4) | instskip(NEXT) | instid1(VALU_DEP_3)
	v_fma_f32 v5, v182, v126, -v5
	v_dual_fmac_f32 v228, v185, v128 :: v_dual_add_f32 v3, v3, v226
	s_delay_alu instid0(VALU_DEP_4) | instskip(SKIP_3) | instid1(VALU_DEP_4)
	v_add_f32_e32 v2, v2, v6
	v_mul_f32_e32 v6, v187, v131
	v_fma_f32 v4, v184, v128, -v4
	v_dual_mul_f32 v230, v188, v133 :: v_dual_mul_f32 v231, v190, v135
	v_dual_add_f32 v3, v3, v227 :: v_dual_add_f32 v2, v2, v5
	v_fmac_f32_e32 v229, v187, v130
	v_mul_f32_e32 v5, v189, v133
	v_fma_f32 v6, v186, v130, -v6
	s_delay_alu instid0(VALU_DEP_4) | instskip(SKIP_4) | instid1(VALU_DEP_4)
	v_add_f32_e32 v3, v3, v228
	v_add_f32_e32 v2, v2, v4
	v_mul_f32_e32 v4, v191, v135
	v_dual_fmac_f32 v230, v189, v132 :: v_dual_fmac_f32 v231, v191, v134
	v_fma_f32 v5, v188, v132, -v5
	v_dual_add_f32 v3, v3, v229 :: v_dual_add_f32 v2, v2, v6
	v_dual_mul_f32 v232, v192, v137 :: v_dual_mul_f32 v233, v194, v139
	s_delay_alu instid0(VALU_DEP_2) | instskip(SKIP_1) | instid1(VALU_DEP_4)
	v_dual_mul_f32 v6, v193, v137 :: v_dual_add_f32 v3, v3, v230
	v_fma_f32 v4, v190, v134, -v4
	v_dual_add_f32 v2, v2, v5 :: v_dual_mul_f32 v5, v195, v139
	s_delay_alu instid0(VALU_DEP_3) | instskip(NEXT) | instid1(VALU_DEP_4)
	v_dual_fmac_f32 v232, v193, v136 :: v_dual_add_f32 v3, v3, v231
	v_fma_f32 v6, v192, v136, -v6
	s_delay_alu instid0(VALU_DEP_3) | instskip(SKIP_1) | instid1(VALU_DEP_4)
	v_dual_add_f32 v2, v2, v4 :: v_dual_fmac_f32 v233, v195, v138
	v_dual_mul_f32 v234, v196, v141 :: v_dual_mul_f32 v235, v198, v143
	v_dual_mul_f32 v4, v197, v141 :: v_dual_add_f32 v3, v3, v232
	v_fma_f32 v5, v194, v138, -v5
	s_delay_alu instid0(VALU_DEP_4)
	v_add_f32_e32 v2, v2, v6
	v_mul_f32_e32 v6, v199, v143
	v_dual_fmac_f32 v234, v197, v140 :: v_dual_fmac_f32 v235, v199, v142
	v_fma_f32 v4, v196, v140, -v4
	v_add_f32_e32 v3, v3, v233
	v_add_f32_e32 v2, v2, v5
	v_dual_mul_f32 v237, v202, v147 :: v_dual_mul_f32 v238, v204, v149
	v_mul_f32_e32 v5, v201, v145
	v_fma_f32 v6, v198, v142, -v6
	s_delay_alu instid0(VALU_DEP_4) | instskip(SKIP_3) | instid1(VALU_DEP_4)
	v_dual_add_f32 v3, v3, v234 :: v_dual_add_f32 v2, v2, v4
	v_mul_f32_e32 v4, v203, v147
	v_dual_fmac_f32 v236, v201, v144 :: v_dual_fmac_f32 v237, v203, v146
	v_fma_f32 v5, v200, v144, -v5
	v_dual_add_f32 v3, v3, v235 :: v_dual_add_f32 v2, v2, v6
	v_mul_f32_e32 v6, v205, v149
	v_fma_f32 v4, v202, v146, -v4
	v_fmac_f32_e32 v239, v211, v206
	s_delay_alu instid0(VALU_DEP_4) | instskip(SKIP_2) | instid1(VALU_DEP_3)
	v_dual_add_f32 v3, v3, v236 :: v_dual_add_f32 v2, v2, v5
	v_dual_mul_f32 v5, v211, v207 :: v_dual_fmac_f32 v238, v205, v148
	v_fma_f32 v6, v204, v148, -v6
	v_dual_add_f32 v3, v3, v237 :: v_dual_add_f32 v2, v2, v4
	s_delay_alu instid0(VALU_DEP_3) | instskip(NEXT) | instid1(VALU_DEP_2)
	v_fma_f32 v4, v210, v206, -v5
	v_add_f32_e32 v3, v3, v238
	s_delay_alu instid0(VALU_DEP_1) | instskip(SKIP_1) | instid1(VALU_DEP_1)
	v_dual_add_f32 v2, v2, v6 :: v_dual_add_f32 v3, v3, v239
	s_wait_loadcnt 0x0
	v_dual_add_f32 v2, v2, v4 :: v_dual_sub_f32 v3, v209, v3
	s_delay_alu instid0(VALU_DEP_1)
	v_sub_f32_e32 v2, v208, v2
	scratch_store_b64 off, v[2:3], off offset:120
	v_cmpx_lt_u32_e32 14, v0
	s_cbranch_execz .LBB108_255
; %bb.254:
	scratch_load_b64 v[3:4], off, off offset:112
	v_mov_b32_e32 v2, v1
	scratch_store_b64 off, v[1:2], off offset:112
	s_wait_loadcnt 0x0
	ds_store_b64 v23, v[3:4]
.LBB108_255:
	s_wait_alu 0xfffe
	s_or_b32 exec_lo, exec_lo, s0
	s_wait_storecnt_dscnt 0x0
	s_barrier_signal -1
	s_barrier_wait -1
	global_inv scope:SCOPE_SE
	s_clause 0xf
	scratch_load_b128 v[2:5], off, off offset:120
	scratch_load_b128 v[6:9], off, off offset:136
	;; [unrolled: 1-line block ×15, first 2 shown]
	scratch_load_b64 v[214:215], off, off offset:112
	ds_load_2addr_b64 v[154:157], v1 offset0:61 offset1:62
	ds_load_2addr_b64 v[158:161], v1 offset0:63 offset1:64
	;; [unrolled: 1-line block ×15, first 2 shown]
	s_mov_b32 s0, exec_lo
	s_wait_loadcnt_dscnt 0xf0e
	v_dual_mul_f32 v1, v154, v3 :: v_dual_mul_f32 v22, v156, v5
	v_mul_f32_e32 v3, v155, v3
	s_wait_loadcnt_dscnt 0xe0d
	v_dual_mul_f32 v5, v157, v5 :: v_dual_mul_f32 v216, v158, v7
	s_delay_alu instid0(VALU_DEP_3) | instskip(NEXT) | instid1(VALU_DEP_3)
	v_dual_mul_f32 v217, v160, v9 :: v_dual_fmac_f32 v22, v157, v4
	v_fma_f32 v3, v154, v2, -v3
	v_fmac_f32_e32 v1, v155, v2
	v_mul_f32_e32 v2, v159, v7
	v_fma_f32 v4, v156, v4, -v5
	s_delay_alu instid0(VALU_DEP_4)
	v_dual_fmac_f32 v216, v159, v6 :: v_dual_add_f32 v3, 0, v3
	s_wait_loadcnt_dscnt 0xb0a
	v_dual_mul_f32 v222, v170, v19 :: v_dual_mul_f32 v223, v172, v21
	v_fma_f32 v2, v158, v6, -v2
	v_dual_mul_f32 v218, v162, v11 :: v_dual_mul_f32 v219, v164, v13
	v_add_f32_e32 v3, v3, v4
	v_dual_mul_f32 v5, v161, v9 :: v_dual_mul_f32 v220, v166, v15
	v_dual_mul_f32 v221, v168, v17 :: v_dual_mul_f32 v4, v163, v11
	s_delay_alu instid0(VALU_DEP_3) | instskip(NEXT) | instid1(VALU_DEP_3)
	v_add_f32_e32 v2, v3, v2
	v_fma_f32 v5, v160, v8, -v5
	v_dual_mul_f32 v3, v165, v13 :: v_dual_fmac_f32 v222, v171, v18
	s_delay_alu instid0(VALU_DEP_4) | instskip(SKIP_1) | instid1(VALU_DEP_4)
	v_fma_f32 v4, v162, v10, -v4
	v_dual_fmac_f32 v217, v161, v8 :: v_dual_fmac_f32 v218, v163, v10
	v_add_f32_e32 v2, v2, v5
	v_add_f32_e32 v1, 0, v1
	v_fma_f32 v3, v164, v12, -v3
	v_fmac_f32_e32 v220, v167, v14
	s_wait_loadcnt_dscnt 0xa09
	v_dual_mul_f32 v224, v174, v115 :: v_dual_mul_f32 v225, v176, v117
	v_dual_add_f32 v1, v1, v22 :: v_dual_add_f32 v2, v2, v4
	v_mul_f32_e32 v4, v169, v17
	s_wait_loadcnt_dscnt 0x807
	v_dual_mul_f32 v228, v182, v123 :: v_dual_mul_f32 v229, v184, v125
	s_delay_alu instid0(VALU_DEP_3) | instskip(NEXT) | instid1(VALU_DEP_3)
	v_dual_add_f32 v1, v1, v216 :: v_dual_add_f32 v2, v2, v3
	v_fma_f32 v4, v168, v16, -v4
	v_mul_f32_e32 v5, v167, v15
	v_dual_mul_f32 v226, v178, v119 :: v_dual_mul_f32 v227, v180, v121
	s_wait_loadcnt_dscnt 0x504
	v_dual_add_f32 v1, v1, v217 :: v_dual_mul_f32 v234, v194, v135
	v_mul_f32_e32 v235, v196, v137
	v_fma_f32 v5, v166, v14, -v5
	v_fmac_f32_e32 v219, v165, v12
	s_delay_alu instid0(VALU_DEP_4)
	v_add_f32_e32 v1, v1, v218
	v_fmac_f32_e32 v224, v175, v114
	v_dual_mul_f32 v230, v186, v127 :: v_dual_mul_f32 v231, v188, v129
	v_add_f32_e32 v2, v2, v5
	v_dual_fmac_f32 v226, v179, v118 :: v_dual_fmac_f32 v225, v177, v116
	v_dual_mul_f32 v232, v190, v131 :: v_dual_mul_f32 v233, v192, v133
	s_delay_alu instid0(VALU_DEP_3) | instskip(SKIP_2) | instid1(VALU_DEP_4)
	v_add_f32_e32 v2, v2, v4
	v_mul_f32_e32 v4, v175, v115
	v_add_f32_e32 v1, v1, v219
	v_dual_fmac_f32 v227, v181, v120 :: v_dual_fmac_f32 v232, v191, v130
	s_wait_loadcnt_dscnt 0x201
	v_dual_mul_f32 v240, v206, v147 :: v_dual_mul_f32 v241, v208, v149
	v_fma_f32 v4, v174, v114, -v4
	v_mul_f32_e32 v5, v173, v21
	v_dual_add_f32 v1, v1, v220 :: v_dual_fmac_f32 v228, v183, v122
	v_dual_fmac_f32 v229, v185, v124 :: v_dual_mul_f32 v236, v198, v139
	v_mul_f32_e32 v237, v200, v141
	s_delay_alu instid0(VALU_DEP_4) | instskip(SKIP_4) | instid1(VALU_DEP_3)
	v_fma_f32 v5, v172, v20, -v5
	v_mul_f32_e32 v3, v171, v19
	s_wait_loadcnt_dscnt 0x100
	v_dual_mul_f32 v242, v210, v151 :: v_dual_mul_f32 v243, v212, v153
	v_dual_mul_f32 v238, v202, v143 :: v_dual_mul_f32 v239, v204, v145
	v_fma_f32 v3, v170, v18, -v3
	v_fmac_f32_e32 v221, v169, v16
	v_fmac_f32_e32 v235, v197, v136
	v_fmac_f32_e32 v241, v209, v148
	s_delay_alu instid0(VALU_DEP_4) | instskip(SKIP_3) | instid1(VALU_DEP_4)
	v_dual_fmac_f32 v239, v205, v144 :: v_dual_add_f32 v2, v2, v3
	v_mul_f32_e32 v3, v177, v117
	v_dual_fmac_f32 v243, v213, v152 :: v_dual_fmac_f32 v234, v195, v134
	v_fmac_f32_e32 v230, v187, v126
	v_dual_add_f32 v2, v2, v5 :: v_dual_mul_f32 v5, v179, v119
	s_delay_alu instid0(VALU_DEP_4) | instskip(SKIP_2) | instid1(VALU_DEP_4)
	v_fma_f32 v3, v176, v116, -v3
	v_fmac_f32_e32 v240, v207, v146
	v_fmac_f32_e32 v236, v199, v138
	v_dual_add_f32 v2, v2, v4 :: v_dual_add_f32 v1, v1, v221
	v_mul_f32_e32 v4, v181, v121
	v_fma_f32 v5, v178, v118, -v5
	v_fmac_f32_e32 v242, v211, v150
	s_delay_alu instid0(VALU_DEP_4) | instskip(NEXT) | instid1(VALU_DEP_4)
	v_dual_add_f32 v2, v2, v3 :: v_dual_fmac_f32 v223, v173, v20
	v_fma_f32 v4, v180, v120, -v4
	v_fmac_f32_e32 v238, v203, v142
	s_delay_alu instid0(VALU_DEP_3) | instskip(SKIP_1) | instid1(VALU_DEP_2)
	v_add_f32_e32 v2, v2, v5
	v_mul_f32_e32 v5, v185, v125
	v_dual_add_f32 v1, v1, v222 :: v_dual_add_f32 v2, v2, v4
	s_delay_alu instid0(VALU_DEP_2) | instskip(SKIP_1) | instid1(VALU_DEP_3)
	v_fma_f32 v5, v184, v124, -v5
	v_mul_f32_e32 v3, v183, v123
	v_add_f32_e32 v1, v1, v223
	v_mul_f32_e32 v4, v187, v127
	s_delay_alu instid0(VALU_DEP_3) | instskip(NEXT) | instid1(VALU_DEP_3)
	v_fma_f32 v3, v182, v122, -v3
	v_add_f32_e32 v1, v1, v224
	s_delay_alu instid0(VALU_DEP_3) | instskip(NEXT) | instid1(VALU_DEP_3)
	v_fma_f32 v4, v186, v126, -v4
	v_add_f32_e32 v2, v2, v3
	s_delay_alu instid0(VALU_DEP_1) | instskip(NEXT) | instid1(VALU_DEP_4)
	v_add_f32_e32 v2, v2, v5
	v_add_f32_e32 v1, v1, v225
	s_delay_alu instid0(VALU_DEP_2) | instskip(SKIP_1) | instid1(VALU_DEP_2)
	v_dual_mul_f32 v5, v191, v131 :: v_dual_add_f32 v2, v2, v4
	v_mul_f32_e32 v4, v193, v133
	v_fma_f32 v5, v190, v130, -v5
	s_delay_alu instid0(VALU_DEP_2) | instskip(SKIP_1) | instid1(VALU_DEP_1)
	v_fma_f32 v4, v192, v132, -v4
	v_mul_f32_e32 v3, v189, v129
	v_fma_f32 v3, v188, v128, -v3
	s_delay_alu instid0(VALU_DEP_1) | instskip(NEXT) | instid1(VALU_DEP_1)
	v_dual_add_f32 v1, v1, v226 :: v_dual_add_f32 v2, v2, v3
	v_add_f32_e32 v1, v1, v227
	s_delay_alu instid0(VALU_DEP_2) | instskip(SKIP_1) | instid1(VALU_DEP_2)
	v_dual_mul_f32 v3, v195, v135 :: v_dual_add_f32 v2, v2, v5
	v_mul_f32_e32 v5, v197, v137
	v_fma_f32 v3, v194, v134, -v3
	s_delay_alu instid0(VALU_DEP_3) | instskip(SKIP_1) | instid1(VALU_DEP_4)
	v_add_f32_e32 v2, v2, v4
	v_dual_add_f32 v1, v1, v228 :: v_dual_mul_f32 v4, v199, v139
	v_fma_f32 v5, v196, v136, -v5
	s_delay_alu instid0(VALU_DEP_2) | instskip(SKIP_3) | instid1(VALU_DEP_4)
	v_dual_add_f32 v2, v2, v3 :: v_dual_add_f32 v1, v1, v229
	v_fmac_f32_e32 v231, v189, v128
	v_mul_f32_e32 v3, v201, v141
	v_fma_f32 v4, v198, v138, -v4
	v_dual_add_f32 v2, v2, v5 :: v_dual_add_f32 v1, v1, v230
	v_mul_f32_e32 v5, v203, v143
	s_delay_alu instid0(VALU_DEP_4) | instskip(NEXT) | instid1(VALU_DEP_3)
	v_fma_f32 v3, v200, v140, -v3
	v_dual_add_f32 v2, v2, v4 :: v_dual_add_f32 v1, v1, v231
	v_fmac_f32_e32 v233, v193, v132
	v_mul_f32_e32 v4, v205, v145
	v_fma_f32 v5, v202, v142, -v5
	s_delay_alu instid0(VALU_DEP_4) | instskip(SKIP_1) | instid1(VALU_DEP_4)
	v_dual_add_f32 v2, v2, v3 :: v_dual_add_f32 v1, v1, v232
	v_mul_f32_e32 v3, v207, v147
	v_fma_f32 v4, v204, v144, -v4
	s_delay_alu instid0(VALU_DEP_3) | instskip(NEXT) | instid1(VALU_DEP_4)
	v_add_f32_e32 v2, v2, v5
	v_add_f32_e32 v1, v1, v233
	v_mul_f32_e32 v5, v209, v149
	v_fma_f32 v3, v206, v146, -v3
	s_delay_alu instid0(VALU_DEP_3) | instskip(SKIP_1) | instid1(VALU_DEP_4)
	v_dual_add_f32 v2, v2, v4 :: v_dual_add_f32 v1, v1, v234
	v_mul_f32_e32 v4, v211, v151
	v_fma_f32 v5, v208, v148, -v5
	s_delay_alu instid0(VALU_DEP_3) | instskip(NEXT) | instid1(VALU_DEP_4)
	v_add_f32_e32 v2, v2, v3
	v_add_f32_e32 v1, v1, v235
	v_mul_f32_e32 v3, v213, v153
	v_fma_f32 v4, v210, v150, -v4
	s_delay_alu instid0(VALU_DEP_3) | instskip(NEXT) | instid1(VALU_DEP_3)
	v_dual_add_f32 v2, v2, v5 :: v_dual_add_f32 v1, v1, v236
	v_fma_f32 v3, v212, v152, -v3
	s_delay_alu instid0(VALU_DEP_2) | instskip(NEXT) | instid1(VALU_DEP_1)
	v_add_f32_e32 v2, v2, v4
	v_dual_fmac_f32 v237, v201, v140 :: v_dual_add_f32 v2, v2, v3
	s_delay_alu instid0(VALU_DEP_1) | instskip(NEXT) | instid1(VALU_DEP_1)
	v_add_f32_e32 v1, v1, v237
	v_add_f32_e32 v1, v1, v238
	s_delay_alu instid0(VALU_DEP_1) | instskip(NEXT) | instid1(VALU_DEP_1)
	v_add_f32_e32 v1, v1, v239
	v_add_f32_e32 v1, v1, v240
	;; [unrolled: 3-line block ×3, first 2 shown]
	s_delay_alu instid0(VALU_DEP_1) | instskip(SKIP_1) | instid1(VALU_DEP_1)
	v_add_f32_e32 v3, v1, v243
	s_wait_loadcnt 0x0
	v_dual_sub_f32 v1, v214, v2 :: v_dual_sub_f32 v2, v215, v3
	scratch_store_b64 off, v[1:2], off offset:112
	v_cmpx_lt_u32_e32 13, v0
	s_cbranch_execz .LBB108_257
; %bb.256:
	scratch_load_b64 v[1:2], off, off offset:104
	v_mov_b32_e32 v3, 0
	s_delay_alu instid0(VALU_DEP_1)
	v_mov_b32_e32 v4, v3
	scratch_store_b64 off, v[3:4], off offset:104
	s_wait_loadcnt 0x0
	ds_store_b64 v23, v[1:2]
.LBB108_257:
	s_wait_alu 0xfffe
	s_or_b32 exec_lo, exec_lo, s0
	s_wait_storecnt_dscnt 0x0
	s_barrier_signal -1
	s_barrier_wait -1
	global_inv scope:SCOPE_SE
	s_clause 0x10
	scratch_load_b128 v[2:5], off, off offset:112
	scratch_load_b128 v[6:9], off, off offset:128
	scratch_load_b128 v[10:13], off, off offset:144
	scratch_load_b128 v[14:17], off, off offset:160
	scratch_load_b128 v[18:21], off, off offset:176
	scratch_load_b128 v[114:117], off, off offset:192
	scratch_load_b128 v[118:121], off, off offset:208
	scratch_load_b128 v[122:125], off, off offset:224
	scratch_load_b128 v[126:129], off, off offset:240
	scratch_load_b128 v[130:133], off, off offset:256
	scratch_load_b128 v[134:137], off, off offset:272
	scratch_load_b128 v[138:141], off, off offset:288
	scratch_load_b128 v[142:145], off, off offset:304
	scratch_load_b128 v[146:149], off, off offset:320
	scratch_load_b128 v[150:153], off, off offset:336
	scratch_load_b64 v[214:215], off, off offset:352
	scratch_load_b64 v[216:217], off, off offset:104
	v_mov_b32_e32 v1, 0
	ds_load_b128 v[154:157], v1 offset:480
	ds_load_b128 v[158:161], v1 offset:496
	;; [unrolled: 1-line block ×15, first 2 shown]
	ds_load_b64 v[218:219], v1 offset:720
	s_mov_b32 s0, exec_lo
	s_wait_loadcnt_dscnt 0x100f
	v_mul_f32_e32 v22, v154, v3
	s_wait_loadcnt_dscnt 0xf0e
	v_dual_mul_f32 v220, v156, v5 :: v_dual_mul_f32 v221, v158, v7
	v_mul_f32_e32 v5, v157, v5
	s_wait_loadcnt_dscnt 0xe0d
	v_dual_mul_f32 v222, v160, v9 :: v_dual_mul_f32 v223, v162, v11
	s_wait_loadcnt_dscnt 0xd0c
	v_dual_mul_f32 v224, v164, v13 :: v_dual_mul_f32 v225, v166, v15
	;; [unrolled: 2-line block ×3, first 2 shown]
	v_mul_f32_e32 v3, v155, v3
	v_fmac_f32_e32 v22, v155, v2
	v_dual_fmac_f32 v223, v163, v10 :: v_dual_fmac_f32 v224, v165, v12
	s_wait_loadcnt_dscnt 0x100
	v_dual_mul_f32 v246, v208, v149 :: v_dual_mul_f32 v249, v218, v215
	v_fma_f32 v3, v154, v2, -v3
	v_mul_f32_e32 v2, v159, v7
	v_fmac_f32_e32 v220, v157, v4
	v_fma_f32 v4, v156, v4, -v5
	v_dual_add_f32 v5, 0, v22 :: v_dual_fmac_f32 v222, v161, v8
	v_add_f32_e32 v3, 0, v3
	v_fmac_f32_e32 v221, v159, v6
	v_fma_f32 v2, v158, v6, -v2
	v_dual_fmac_f32 v225, v167, v14 :: v_dual_fmac_f32 v226, v169, v16
	s_delay_alu instid0(VALU_DEP_4) | instskip(SKIP_3) | instid1(VALU_DEP_4)
	v_add_f32_e32 v3, v3, v4
	v_mul_f32_e32 v7, v161, v9
	v_add_f32_e32 v4, v5, v220
	v_dual_mul_f32 v228, v172, v21 :: v_dual_mul_f32 v229, v174, v115
	v_add_f32_e32 v2, v3, v2
	s_delay_alu instid0(VALU_DEP_4)
	v_fma_f32 v6, v160, v8, -v7
	v_mul_f32_e32 v5, v163, v11
	v_add_f32_e32 v3, v4, v221
	v_mul_f32_e32 v4, v165, v13
	v_dual_mul_f32 v230, v176, v117 :: v_dual_mul_f32 v231, v178, v119
	v_add_f32_e32 v2, v2, v6
	v_fma_f32 v5, v162, v10, -v5
	v_mul_f32_e32 v6, v167, v15
	v_add_f32_e32 v3, v3, v222
	v_fma_f32 v4, v164, v12, -v4
	v_dual_fmac_f32 v229, v175, v114 :: v_dual_fmac_f32 v230, v177, v116
	s_delay_alu instid0(VALU_DEP_3) | instskip(SKIP_2) | instid1(VALU_DEP_3)
	v_dual_add_f32 v2, v2, v5 :: v_dual_add_f32 v3, v3, v223
	v_mul_f32_e32 v5, v169, v17
	v_fma_f32 v6, v166, v14, -v6
	v_dual_fmac_f32 v227, v171, v18 :: v_dual_add_f32 v2, v2, v4
	s_delay_alu instid0(VALU_DEP_4) | instskip(SKIP_3) | instid1(VALU_DEP_4)
	v_add_f32_e32 v3, v3, v224
	v_mul_f32_e32 v4, v171, v19
	v_fma_f32 v5, v168, v16, -v5
	v_fmac_f32_e32 v228, v173, v20
	v_dual_add_f32 v2, v2, v6 :: v_dual_add_f32 v3, v3, v225
	v_mul_f32_e32 v6, v173, v21
	v_fma_f32 v4, v170, v18, -v4
	v_dual_mul_f32 v232, v180, v121 :: v_dual_mul_f32 v233, v182, v123
	s_delay_alu instid0(VALU_DEP_4) | instskip(SKIP_3) | instid1(VALU_DEP_4)
	v_dual_add_f32 v2, v2, v5 :: v_dual_add_f32 v3, v3, v226
	v_mul_f32_e32 v5, v175, v115
	v_fma_f32 v6, v172, v20, -v6
	v_dual_mul_f32 v234, v184, v125 :: v_dual_mul_f32 v235, v186, v127
	v_dual_add_f32 v2, v2, v4 :: v_dual_add_f32 v3, v3, v227
	v_mul_f32_e32 v4, v177, v117
	v_fma_f32 v5, v174, v114, -v5
	v_fmac_f32_e32 v231, v179, v118
	s_delay_alu instid0(VALU_DEP_4) | instskip(SKIP_3) | instid1(VALU_DEP_4)
	v_dual_add_f32 v2, v2, v6 :: v_dual_add_f32 v3, v3, v228
	v_mul_f32_e32 v6, v179, v119
	v_fma_f32 v4, v176, v116, -v4
	v_fmac_f32_e32 v232, v181, v120
	v_add_f32_e32 v2, v2, v5
	v_add_f32_e32 v3, v3, v229
	v_mul_f32_e32 v5, v181, v121
	v_fma_f32 v6, v178, v118, -v6
	s_delay_alu instid0(VALU_DEP_4) | instskip(NEXT) | instid1(VALU_DEP_4)
	v_dual_fmac_f32 v233, v183, v122 :: v_dual_add_f32 v2, v2, v4
	v_add_f32_e32 v3, v3, v230
	v_mul_f32_e32 v4, v183, v123
	v_fma_f32 v5, v180, v120, -v5
	v_fmac_f32_e32 v234, v185, v124
	s_delay_alu instid0(VALU_DEP_4) | instskip(SKIP_3) | instid1(VALU_DEP_4)
	v_dual_add_f32 v2, v2, v6 :: v_dual_add_f32 v3, v3, v231
	v_mul_f32_e32 v6, v185, v125
	v_fma_f32 v4, v182, v122, -v4
	v_dual_mul_f32 v236, v188, v129 :: v_dual_mul_f32 v237, v190, v131
	v_dual_add_f32 v2, v2, v5 :: v_dual_add_f32 v3, v3, v232
	v_mul_f32_e32 v5, v187, v127
	v_fma_f32 v6, v184, v124, -v6
	s_delay_alu instid0(VALU_DEP_3) | instskip(NEXT) | instid1(VALU_DEP_4)
	v_dual_fmac_f32 v235, v187, v126 :: v_dual_add_f32 v2, v2, v4
	v_add_f32_e32 v3, v3, v233
	v_mul_f32_e32 v4, v189, v129
	v_fma_f32 v5, v186, v126, -v5
	v_fmac_f32_e32 v236, v189, v128
	v_dual_mul_f32 v238, v192, v133 :: v_dual_mul_f32 v239, v194, v135
	v_add_f32_e32 v3, v3, v234
	v_add_f32_e32 v2, v2, v6
	v_mul_f32_e32 v6, v191, v131
	v_fma_f32 v4, v188, v128, -v4
	v_fmac_f32_e32 v237, v191, v130
	s_delay_alu instid0(VALU_DEP_4) | instskip(NEXT) | instid1(VALU_DEP_4)
	v_dual_add_f32 v3, v3, v235 :: v_dual_add_f32 v2, v2, v5
	v_fma_f32 v6, v190, v130, -v6
	v_mul_f32_e32 v5, v193, v133
	v_dual_fmac_f32 v238, v193, v132 :: v_dual_fmac_f32 v239, v195, v134
	s_delay_alu instid0(VALU_DEP_4) | instskip(SKIP_3) | instid1(VALU_DEP_4)
	v_add_f32_e32 v3, v3, v236
	v_add_f32_e32 v2, v2, v4
	v_dual_mul_f32 v240, v196, v137 :: v_dual_mul_f32 v241, v198, v139
	v_mul_f32_e32 v4, v195, v135
	v_add_f32_e32 v3, v3, v237
	v_fma_f32 v5, v192, v132, -v5
	v_add_f32_e32 v2, v2, v6
	v_mul_f32_e32 v6, v197, v137
	v_fma_f32 v4, v194, v134, -v4
	v_dual_add_f32 v3, v3, v238 :: v_dual_fmac_f32 v240, v197, v136
	s_delay_alu instid0(VALU_DEP_4) | instskip(SKIP_1) | instid1(VALU_DEP_3)
	v_dual_add_f32 v2, v2, v5 :: v_dual_mul_f32 v5, v199, v139
	v_dual_mul_f32 v242, v200, v141 :: v_dual_mul_f32 v243, v202, v143
	v_add_f32_e32 v3, v3, v239
	v_fma_f32 v6, v196, v136, -v6
	s_delay_alu instid0(VALU_DEP_4) | instskip(NEXT) | instid1(VALU_DEP_3)
	v_dual_add_f32 v2, v2, v4 :: v_dual_fmac_f32 v241, v199, v138
	v_dual_mul_f32 v4, v201, v141 :: v_dual_add_f32 v3, v3, v240
	v_fma_f32 v5, v198, v138, -v5
	s_delay_alu instid0(VALU_DEP_3) | instskip(SKIP_1) | instid1(VALU_DEP_4)
	v_add_f32_e32 v2, v2, v6
	v_dual_fmac_f32 v242, v201, v140 :: v_dual_fmac_f32 v243, v203, v142
	v_add_f32_e32 v3, v3, v241
	v_dual_mul_f32 v244, v204, v145 :: v_dual_mul_f32 v245, v206, v147
	v_mul_f32_e32 v6, v203, v143
	v_fma_f32 v4, v200, v140, -v4
	s_delay_alu instid0(VALU_DEP_4) | instskip(SKIP_1) | instid1(VALU_DEP_4)
	v_dual_add_f32 v2, v2, v5 :: v_dual_add_f32 v3, v3, v242
	v_mul_f32_e32 v5, v205, v145
	v_fma_f32 v6, v202, v142, -v6
	v_dual_fmac_f32 v244, v205, v144 :: v_dual_fmac_f32 v245, v207, v146
	s_delay_alu instid0(VALU_DEP_4) | instskip(SKIP_3) | instid1(VALU_DEP_4)
	v_dual_add_f32 v2, v2, v4 :: v_dual_add_f32 v3, v3, v243
	v_mul_f32_e32 v4, v207, v147
	v_fma_f32 v5, v204, v144, -v5
	v_dual_mul_f32 v247, v210, v151 :: v_dual_mul_f32 v248, v212, v153
	v_dual_add_f32 v2, v2, v6 :: v_dual_add_f32 v3, v3, v244
	s_delay_alu instid0(VALU_DEP_4) | instskip(SKIP_2) | instid1(VALU_DEP_4)
	v_fma_f32 v4, v206, v146, -v4
	v_fmac_f32_e32 v246, v209, v148
	v_mul_f32_e32 v6, v209, v149
	v_dual_add_f32 v2, v2, v5 :: v_dual_fmac_f32 v247, v211, v150
	v_add_f32_e32 v3, v3, v245
	v_mul_f32_e32 v5, v211, v151
	s_delay_alu instid0(VALU_DEP_4) | instskip(NEXT) | instid1(VALU_DEP_4)
	v_fma_f32 v6, v208, v148, -v6
	v_add_f32_e32 v2, v2, v4
	v_dual_fmac_f32 v248, v213, v152 :: v_dual_fmac_f32 v249, v219, v214
	v_dual_add_f32 v3, v3, v246 :: v_dual_mul_f32 v4, v213, v153
	v_fma_f32 v5, v210, v150, -v5
	s_delay_alu instid0(VALU_DEP_2) | instskip(SKIP_1) | instid1(VALU_DEP_4)
	v_dual_add_f32 v3, v3, v247 :: v_dual_add_f32 v2, v2, v6
	v_mul_f32_e32 v6, v219, v215
	v_fma_f32 v4, v212, v152, -v4
	s_delay_alu instid0(VALU_DEP_3) | instskip(NEXT) | instid1(VALU_DEP_1)
	v_add_f32_e32 v3, v3, v248
	v_add_f32_e32 v3, v3, v249
	;; [unrolled: 1-line block ×3, first 2 shown]
	v_fma_f32 v5, v218, v214, -v6
	s_wait_loadcnt 0x0
	s_delay_alu instid0(VALU_DEP_2) | instskip(NEXT) | instid1(VALU_DEP_1)
	v_dual_sub_f32 v3, v217, v3 :: v_dual_add_f32 v2, v2, v4
	v_add_f32_e32 v2, v2, v5
	s_delay_alu instid0(VALU_DEP_1)
	v_sub_f32_e32 v2, v216, v2
	scratch_store_b64 off, v[2:3], off offset:104
	v_cmpx_lt_u32_e32 12, v0
	s_cbranch_execz .LBB108_259
; %bb.258:
	scratch_load_b64 v[3:4], off, off offset:96
	v_mov_b32_e32 v2, v1
	scratch_store_b64 off, v[1:2], off offset:96
	s_wait_loadcnt 0x0
	ds_store_b64 v23, v[3:4]
.LBB108_259:
	s_wait_alu 0xfffe
	s_or_b32 exec_lo, exec_lo, s0
	s_wait_storecnt_dscnt 0x0
	s_barrier_signal -1
	s_barrier_wait -1
	global_inv scope:SCOPE_SE
	s_clause 0x10
	scratch_load_b128 v[2:5], off, off offset:104
	scratch_load_b128 v[6:9], off, off offset:120
	;; [unrolled: 1-line block ×16, first 2 shown]
	scratch_load_b64 v[222:223], off, off offset:96
	ds_load_2addr_b64 v[158:161], v1 offset0:59 offset1:60
	ds_load_2addr_b64 v[162:165], v1 offset0:61 offset1:62
	;; [unrolled: 1-line block ×16, first 2 shown]
	s_mov_b32 s0, exec_lo
	s_wait_loadcnt_dscnt 0x100f
	v_dual_mul_f32 v1, v158, v3 :: v_dual_mul_f32 v22, v160, v5
	v_mul_f32_e32 v3, v159, v3
	s_wait_loadcnt_dscnt 0xf0e
	v_dual_mul_f32 v5, v161, v5 :: v_dual_mul_f32 v224, v162, v7
	s_delay_alu instid0(VALU_DEP_3) | instskip(NEXT) | instid1(VALU_DEP_3)
	v_dual_mul_f32 v225, v164, v9 :: v_dual_fmac_f32 v22, v161, v4
	v_fma_f32 v3, v158, v2, -v3
	v_fmac_f32_e32 v1, v159, v2
	v_mul_f32_e32 v2, v163, v7
	v_fma_f32 v4, v160, v4, -v5
	s_delay_alu instid0(VALU_DEP_4)
	v_dual_fmac_f32 v224, v163, v6 :: v_dual_add_f32 v3, 0, v3
	s_wait_loadcnt_dscnt 0xc0b
	v_dual_mul_f32 v230, v174, v19 :: v_dual_mul_f32 v231, v176, v21
	v_fma_f32 v2, v162, v6, -v2
	v_dual_mul_f32 v226, v166, v11 :: v_dual_mul_f32 v227, v168, v13
	v_add_f32_e32 v3, v3, v4
	v_dual_mul_f32 v5, v165, v9 :: v_dual_mul_f32 v228, v170, v15
	v_dual_mul_f32 v229, v172, v17 :: v_dual_mul_f32 v4, v167, v11
	s_delay_alu instid0(VALU_DEP_3) | instskip(NEXT) | instid1(VALU_DEP_3)
	v_add_f32_e32 v2, v3, v2
	v_fma_f32 v5, v164, v8, -v5
	v_dual_mul_f32 v3, v169, v13 :: v_dual_fmac_f32 v230, v175, v18
	s_delay_alu instid0(VALU_DEP_4) | instskip(SKIP_1) | instid1(VALU_DEP_4)
	v_fma_f32 v4, v166, v10, -v4
	v_dual_fmac_f32 v225, v165, v8 :: v_dual_fmac_f32 v226, v167, v10
	v_add_f32_e32 v2, v2, v5
	v_add_f32_e32 v1, 0, v1
	v_fma_f32 v3, v168, v12, -v3
	v_fmac_f32_e32 v228, v171, v14
	s_wait_loadcnt_dscnt 0xb0a
	v_dual_mul_f32 v232, v178, v115 :: v_dual_mul_f32 v233, v180, v117
	v_dual_add_f32 v1, v1, v22 :: v_dual_add_f32 v2, v2, v4
	v_mul_f32_e32 v4, v173, v17
	s_wait_loadcnt_dscnt 0x908
	v_dual_mul_f32 v236, v186, v123 :: v_dual_mul_f32 v237, v188, v125
	s_delay_alu instid0(VALU_DEP_3) | instskip(NEXT) | instid1(VALU_DEP_3)
	v_dual_add_f32 v1, v1, v224 :: v_dual_add_f32 v2, v2, v3
	v_fma_f32 v4, v172, v16, -v4
	v_mul_f32_e32 v5, v171, v15
	v_dual_mul_f32 v234, v182, v119 :: v_dual_mul_f32 v235, v184, v121
	s_wait_loadcnt_dscnt 0x605
	v_dual_add_f32 v1, v1, v225 :: v_dual_mul_f32 v242, v198, v135
	v_mul_f32_e32 v243, v200, v137
	v_fma_f32 v5, v170, v14, -v5
	v_fmac_f32_e32 v227, v169, v12
	s_delay_alu instid0(VALU_DEP_4)
	v_add_f32_e32 v1, v1, v226
	v_fmac_f32_e32 v232, v179, v114
	v_dual_mul_f32 v238, v190, v127 :: v_dual_mul_f32 v239, v192, v129
	v_add_f32_e32 v2, v2, v5
	v_dual_fmac_f32 v234, v183, v118 :: v_dual_fmac_f32 v233, v181, v116
	v_dual_mul_f32 v240, v194, v131 :: v_dual_mul_f32 v241, v196, v133
	s_delay_alu instid0(VALU_DEP_3) | instskip(SKIP_2) | instid1(VALU_DEP_4)
	v_add_f32_e32 v2, v2, v4
	v_mul_f32_e32 v4, v179, v115
	v_add_f32_e32 v1, v1, v227
	v_dual_fmac_f32 v235, v185, v120 :: v_dual_fmac_f32 v240, v195, v130
	s_wait_loadcnt_dscnt 0x302
	v_dual_mul_f32 v248, v210, v147 :: v_dual_mul_f32 v249, v212, v149
	v_fma_f32 v4, v178, v114, -v4
	v_mul_f32_e32 v5, v177, v21
	v_dual_add_f32 v1, v1, v228 :: v_dual_fmac_f32 v236, v187, v122
	v_dual_fmac_f32 v237, v189, v124 :: v_dual_mul_f32 v244, v202, v139
	v_mul_f32_e32 v245, v204, v141
	s_delay_alu instid0(VALU_DEP_4) | instskip(SKIP_4) | instid1(VALU_DEP_3)
	v_fma_f32 v5, v176, v20, -v5
	v_mul_f32_e32 v3, v175, v19
	s_wait_loadcnt_dscnt 0x201
	v_dual_mul_f32 v250, v214, v151 :: v_dual_mul_f32 v251, v216, v153
	v_dual_mul_f32 v246, v206, v143 :: v_dual_mul_f32 v247, v208, v145
	v_fma_f32 v3, v174, v18, -v3
	v_fmac_f32_e32 v229, v173, v16
	s_wait_loadcnt_dscnt 0x100
	v_dual_fmac_f32 v243, v201, v136 :: v_dual_mul_f32 v252, v218, v155
	s_delay_alu instid0(VALU_DEP_3) | instskip(SKIP_1) | instid1(VALU_DEP_3)
	v_dual_mul_f32 v253, v220, v157 :: v_dual_add_f32 v2, v2, v3
	v_mul_f32_e32 v3, v181, v117
	v_dual_fmac_f32 v245, v205, v140 :: v_dual_fmac_f32 v252, v219, v154
	s_delay_alu instid0(VALU_DEP_3) | instskip(SKIP_1) | instid1(VALU_DEP_4)
	v_dual_fmac_f32 v249, v213, v148 :: v_dual_add_f32 v2, v2, v5
	v_mul_f32_e32 v5, v183, v119
	v_fma_f32 v3, v180, v116, -v3
	v_dual_fmac_f32 v242, v199, v134 :: v_dual_fmac_f32 v251, v217, v152
	s_delay_alu instid0(VALU_DEP_4) | instskip(SKIP_3) | instid1(VALU_DEP_4)
	v_dual_add_f32 v2, v2, v4 :: v_dual_add_f32 v1, v1, v229
	v_mul_f32_e32 v4, v185, v121
	v_fma_f32 v5, v182, v118, -v5
	v_fmac_f32_e32 v238, v191, v126
	v_dual_add_f32 v2, v2, v3 :: v_dual_fmac_f32 v231, v177, v20
	s_delay_alu instid0(VALU_DEP_4) | instskip(SKIP_1) | instid1(VALU_DEP_3)
	v_fma_f32 v4, v184, v120, -v4
	v_dual_fmac_f32 v253, v221, v156 :: v_dual_fmac_f32 v248, v211, v146
	v_add_f32_e32 v2, v2, v5
	v_mul_f32_e32 v5, v189, v125
	v_add_f32_e32 v1, v1, v230
	v_fmac_f32_e32 v244, v203, v138
	v_fmac_f32_e32 v250, v215, v150
	v_add_f32_e32 v2, v2, v4
	v_fma_f32 v5, v188, v124, -v5
	v_mul_f32_e32 v3, v187, v123
	v_add_f32_e32 v1, v1, v231
	v_mul_f32_e32 v4, v191, v127
	v_fmac_f32_e32 v246, v207, v142
	s_delay_alu instid0(VALU_DEP_4) | instskip(NEXT) | instid1(VALU_DEP_4)
	v_fma_f32 v3, v186, v122, -v3
	v_add_f32_e32 v1, v1, v232
	s_delay_alu instid0(VALU_DEP_4) | instskip(NEXT) | instid1(VALU_DEP_3)
	v_fma_f32 v4, v190, v126, -v4
	v_add_f32_e32 v2, v2, v3
	s_delay_alu instid0(VALU_DEP_1) | instskip(NEXT) | instid1(VALU_DEP_4)
	v_add_f32_e32 v2, v2, v5
	v_add_f32_e32 v1, v1, v233
	s_delay_alu instid0(VALU_DEP_2) | instskip(SKIP_1) | instid1(VALU_DEP_2)
	v_dual_mul_f32 v5, v195, v131 :: v_dual_add_f32 v2, v2, v4
	v_mul_f32_e32 v4, v197, v133
	v_fma_f32 v5, v194, v130, -v5
	s_delay_alu instid0(VALU_DEP_2) | instskip(SKIP_1) | instid1(VALU_DEP_1)
	v_fma_f32 v4, v196, v132, -v4
	v_mul_f32_e32 v3, v193, v129
	v_fma_f32 v3, v192, v128, -v3
	s_delay_alu instid0(VALU_DEP_1) | instskip(NEXT) | instid1(VALU_DEP_1)
	v_dual_add_f32 v1, v1, v234 :: v_dual_add_f32 v2, v2, v3
	v_add_f32_e32 v1, v1, v235
	s_delay_alu instid0(VALU_DEP_2) | instskip(SKIP_1) | instid1(VALU_DEP_2)
	v_dual_mul_f32 v3, v199, v135 :: v_dual_add_f32 v2, v2, v5
	v_mul_f32_e32 v5, v201, v137
	v_fma_f32 v3, v198, v134, -v3
	s_delay_alu instid0(VALU_DEP_3) | instskip(SKIP_1) | instid1(VALU_DEP_4)
	v_add_f32_e32 v2, v2, v4
	v_dual_add_f32 v1, v1, v236 :: v_dual_mul_f32 v4, v203, v139
	v_fma_f32 v5, v200, v136, -v5
	s_delay_alu instid0(VALU_DEP_2) | instskip(SKIP_3) | instid1(VALU_DEP_4)
	v_dual_add_f32 v2, v2, v3 :: v_dual_add_f32 v1, v1, v237
	v_fmac_f32_e32 v239, v193, v128
	v_mul_f32_e32 v3, v205, v141
	v_fma_f32 v4, v202, v138, -v4
	v_dual_add_f32 v2, v2, v5 :: v_dual_add_f32 v1, v1, v238
	v_mul_f32_e32 v5, v207, v143
	s_delay_alu instid0(VALU_DEP_4) | instskip(NEXT) | instid1(VALU_DEP_3)
	v_fma_f32 v3, v204, v140, -v3
	v_dual_add_f32 v2, v2, v4 :: v_dual_add_f32 v1, v1, v239
	v_fmac_f32_e32 v241, v197, v132
	v_mul_f32_e32 v4, v209, v145
	v_fma_f32 v5, v206, v142, -v5
	s_delay_alu instid0(VALU_DEP_4) | instskip(SKIP_1) | instid1(VALU_DEP_4)
	v_dual_add_f32 v2, v2, v3 :: v_dual_add_f32 v1, v1, v240
	v_mul_f32_e32 v3, v211, v147
	v_fma_f32 v4, v208, v144, -v4
	s_delay_alu instid0(VALU_DEP_3) | instskip(NEXT) | instid1(VALU_DEP_4)
	v_add_f32_e32 v2, v2, v5
	v_add_f32_e32 v1, v1, v241
	v_mul_f32_e32 v5, v213, v149
	v_fma_f32 v3, v210, v146, -v3
	s_delay_alu instid0(VALU_DEP_3) | instskip(SKIP_1) | instid1(VALU_DEP_4)
	v_dual_add_f32 v2, v2, v4 :: v_dual_add_f32 v1, v1, v242
	v_mul_f32_e32 v4, v215, v151
	v_fma_f32 v5, v212, v148, -v5
	s_delay_alu instid0(VALU_DEP_3) | instskip(NEXT) | instid1(VALU_DEP_4)
	v_add_f32_e32 v2, v2, v3
	v_add_f32_e32 v1, v1, v243
	v_mul_f32_e32 v3, v217, v153
	v_fma_f32 v4, v214, v150, -v4
	s_delay_alu instid0(VALU_DEP_4) | instskip(NEXT) | instid1(VALU_DEP_3)
	v_dual_add_f32 v2, v2, v5 :: v_dual_mul_f32 v5, v219, v155
	v_fma_f32 v3, v216, v152, -v3
	s_delay_alu instid0(VALU_DEP_2) | instskip(SKIP_3) | instid1(VALU_DEP_4)
	v_add_f32_e32 v2, v2, v4
	v_add_f32_e32 v1, v1, v244
	v_mul_f32_e32 v4, v221, v157
	v_fma_f32 v5, v218, v154, -v5
	v_dual_add_f32 v2, v2, v3 :: v_dual_fmac_f32 v247, v209, v144
	s_delay_alu instid0(VALU_DEP_3) | instskip(NEXT) | instid1(VALU_DEP_2)
	v_fma_f32 v3, v220, v156, -v4
	v_add_f32_e32 v2, v2, v5
	s_delay_alu instid0(VALU_DEP_1) | instskip(NEXT) | instid1(VALU_DEP_1)
	v_dual_add_f32 v1, v1, v245 :: v_dual_add_f32 v2, v2, v3
	v_add_f32_e32 v1, v1, v246
	s_delay_alu instid0(VALU_DEP_1) | instskip(NEXT) | instid1(VALU_DEP_1)
	v_add_f32_e32 v1, v1, v247
	v_add_f32_e32 v1, v1, v248
	s_delay_alu instid0(VALU_DEP_1) | instskip(NEXT) | instid1(VALU_DEP_1)
	v_add_f32_e32 v1, v1, v249
	;; [unrolled: 3-line block ×3, first 2 shown]
	v_add_f32_e32 v1, v1, v252
	s_delay_alu instid0(VALU_DEP_1) | instskip(SKIP_1) | instid1(VALU_DEP_1)
	v_add_f32_e32 v3, v1, v253
	s_wait_loadcnt 0x0
	v_dual_sub_f32 v1, v222, v2 :: v_dual_sub_f32 v2, v223, v3
	scratch_store_b64 off, v[1:2], off offset:96
	v_cmpx_lt_u32_e32 11, v0
	s_cbranch_execz .LBB108_261
; %bb.260:
	scratch_load_b64 v[1:2], off, off offset:88
	v_mov_b32_e32 v3, 0
	s_delay_alu instid0(VALU_DEP_1)
	v_mov_b32_e32 v4, v3
	scratch_store_b64 off, v[3:4], off offset:88
	s_wait_loadcnt 0x0
	ds_store_b64 v23, v[1:2]
.LBB108_261:
	s_wait_alu 0xfffe
	s_or_b32 exec_lo, exec_lo, s0
	s_wait_storecnt_dscnt 0x0
	s_barrier_signal -1
	s_barrier_wait -1
	global_inv scope:SCOPE_SE
	s_clause 0x4
	scratch_load_b128 v[5:8], off, off offset:96
	scratch_load_b128 v[1:4], off, off offset:112
	;; [unrolled: 1-line block ×5, first 2 shown]
	v_mov_b32_e32 v21, 0
	ds_load_b128 v[114:117], v21 offset:464
	ds_load_b128 v[118:121], v21 offset:480
	;; [unrolled: 1-line block ×3, first 2 shown]
	scratch_load_b64 v[126:127], off, off offset:88
	s_mov_b32 s0, exec_lo
	s_wait_loadcnt_dscnt 0x502
	v_mul_f32_e32 v22, v115, v6
	v_dual_mul_f32 v128, v114, v6 :: v_dual_mul_f32 v129, v116, v8
	v_mul_f32_e32 v6, v117, v8
	s_delay_alu instid0(VALU_DEP_3) | instskip(NEXT) | instid1(VALU_DEP_3)
	v_fma_f32 v22, v114, v5, -v22
	v_dual_fmac_f32 v128, v115, v5 :: v_dual_fmac_f32 v129, v117, v7
	s_wait_loadcnt_dscnt 0x401
	v_mul_f32_e32 v115, v118, v2
	v_fma_f32 v114, v116, v7, -v6
	ds_load_b128 v[5:8], v21 offset:512
	s_wait_loadcnt_dscnt 0x301
	v_dual_mul_f32 v116, v120, v4 :: v_dual_mul_f32 v117, v122, v10
	v_dual_mul_f32 v4, v121, v4 :: v_dual_fmac_f32 v115, v119, v1
	v_mul_f32_e32 v10, v123, v10
	s_delay_alu instid0(VALU_DEP_3)
	v_dual_mul_f32 v130, v124, v12 :: v_dual_fmac_f32 v117, v123, v9
	v_mul_f32_e32 v12, v125, v12
	v_mul_f32_e32 v2, v119, v2
	v_fmac_f32_e32 v116, v121, v3
	v_fma_f32 v119, v120, v3, -v4
	v_fma_f32 v120, v122, v9, -v10
	v_fmac_f32_e32 v130, v125, v11
	v_fma_f32 v121, v124, v11, -v12
	ds_load_b128 v[9:12], v21 offset:528
	s_wait_loadcnt_dscnt 0x201
	v_dual_mul_f32 v123, v7, v16 :: v_dual_mul_f32 v122, v5, v14
	v_mul_f32_e32 v14, v6, v14
	v_mul_f32_e32 v16, v8, v16
	s_delay_alu instid0(VALU_DEP_3)
	v_fmac_f32_e32 v123, v8, v15
	v_fma_f32 v118, v118, v1, -v2
	scratch_load_b128 v[1:4], off, off offset:176
	v_fmac_f32_e32 v122, v6, v13
	v_fma_f32 v13, v5, v13, -v14
	v_fma_f32 v14, v7, v15, -v16
	ds_load_b128 v[5:8], v21 offset:544
	s_wait_loadcnt_dscnt 0x201
	v_mul_f32_e32 v15, v9, v18
	v_mul_f32_e32 v16, v10, v18
	;; [unrolled: 1-line block ×3, first 2 shown]
	s_delay_alu instid0(VALU_DEP_3) | instskip(NEXT) | instid1(VALU_DEP_3)
	v_dual_mul_f32 v20, v12, v20 :: v_dual_fmac_f32 v15, v10, v17
	v_fma_f32 v16, v9, v17, -v16
	s_delay_alu instid0(VALU_DEP_3) | instskip(NEXT) | instid1(VALU_DEP_3)
	v_fmac_f32_e32 v18, v12, v19
	v_fma_f32 v17, v11, v19, -v20
	scratch_load_b128 v[9:12], off, off offset:192
	s_wait_loadcnt_dscnt 0x100
	v_mul_f32_e32 v19, v5, v2
	v_mul_f32_e32 v2, v6, v2
	;; [unrolled: 1-line block ×3, first 2 shown]
	s_delay_alu instid0(VALU_DEP_3) | instskip(NEXT) | instid1(VALU_DEP_3)
	v_dual_mul_f32 v4, v8, v4 :: v_dual_fmac_f32 v19, v6, v1
	v_fma_f32 v124, v5, v1, -v2
	s_delay_alu instid0(VALU_DEP_3) | instskip(NEXT) | instid1(VALU_DEP_3)
	v_fmac_f32_e32 v20, v8, v3
	v_fma_f32 v125, v7, v3, -v4
	ds_load_b128 v[1:4], v21 offset:560
	ds_load_b128 v[5:8], v21 offset:576
	s_wait_loadcnt_dscnt 0x1
	v_mul_f32_e32 v131, v1, v10
	v_mul_f32_e32 v10, v2, v10
	s_delay_alu instid0(VALU_DEP_2) | instskip(NEXT) | instid1(VALU_DEP_2)
	v_dual_mul_f32 v132, v3, v12 :: v_dual_fmac_f32 v131, v2, v9
	v_fma_f32 v133, v1, v9, -v10
	v_mul_f32_e32 v1, v4, v12
	s_delay_alu instid0(VALU_DEP_3) | instskip(NEXT) | instid1(VALU_DEP_2)
	v_fmac_f32_e32 v132, v4, v11
	v_fma_f32 v134, v3, v11, -v1
	s_clause 0x1
	scratch_load_b128 v[1:4], off, off offset:208
	scratch_load_b128 v[9:12], off, off offset:224
	s_wait_loadcnt_dscnt 0x100
	v_mul_f32_e32 v135, v5, v2
	v_dual_mul_f32 v2, v6, v2 :: v_dual_mul_f32 v137, v7, v4
	s_delay_alu instid0(VALU_DEP_2) | instskip(NEXT) | instid1(VALU_DEP_2)
	v_fmac_f32_e32 v135, v6, v1
	v_fma_f32 v136, v5, v1, -v2
	v_mul_f32_e32 v1, v8, v4
	s_delay_alu instid0(VALU_DEP_4) | instskip(NEXT) | instid1(VALU_DEP_2)
	v_fmac_f32_e32 v137, v8, v3
	v_fma_f32 v138, v7, v3, -v1
	ds_load_b128 v[1:4], v21 offset:592
	ds_load_b128 v[5:8], v21 offset:608
	s_wait_loadcnt_dscnt 0x1
	v_mul_f32_e32 v139, v1, v10
	v_mul_f32_e32 v141, v3, v12
	s_delay_alu instid0(VALU_DEP_2) | instskip(NEXT) | instid1(VALU_DEP_2)
	v_fmac_f32_e32 v139, v2, v9
	v_dual_mul_f32 v2, v2, v10 :: v_dual_fmac_f32 v141, v4, v11
	s_delay_alu instid0(VALU_DEP_1) | instskip(SKIP_1) | instid1(VALU_DEP_1)
	v_fma_f32 v140, v1, v9, -v2
	v_mul_f32_e32 v1, v4, v12
	v_fma_f32 v142, v3, v11, -v1
	s_clause 0x1
	scratch_load_b128 v[1:4], off, off offset:240
	scratch_load_b128 v[9:12], off, off offset:256
	s_wait_loadcnt_dscnt 0x100
	v_mul_f32_e32 v143, v5, v2
	v_dual_mul_f32 v145, v7, v4 :: v_dual_mul_f32 v2, v6, v2
	s_delay_alu instid0(VALU_DEP_2) | instskip(NEXT) | instid1(VALU_DEP_2)
	v_fmac_f32_e32 v143, v6, v1
	v_fmac_f32_e32 v145, v8, v3
	s_delay_alu instid0(VALU_DEP_3) | instskip(SKIP_1) | instid1(VALU_DEP_1)
	v_fma_f32 v144, v5, v1, -v2
	v_mul_f32_e32 v1, v8, v4
	v_fma_f32 v146, v7, v3, -v1
	ds_load_b128 v[1:4], v21 offset:624
	ds_load_b128 v[5:8], v21 offset:640
	s_wait_loadcnt_dscnt 0x1
	v_mul_f32_e32 v147, v1, v10
	v_mul_f32_e32 v149, v3, v12
	s_delay_alu instid0(VALU_DEP_2) | instskip(NEXT) | instid1(VALU_DEP_2)
	v_fmac_f32_e32 v147, v2, v9
	v_dual_mul_f32 v2, v2, v10 :: v_dual_fmac_f32 v149, v4, v11
	s_delay_alu instid0(VALU_DEP_1) | instskip(SKIP_1) | instid1(VALU_DEP_1)
	v_fma_f32 v148, v1, v9, -v2
	v_mul_f32_e32 v1, v4, v12
	v_fma_f32 v150, v3, v11, -v1
	s_clause 0x1
	scratch_load_b128 v[1:4], off, off offset:272
	scratch_load_b128 v[9:12], off, off offset:288
	s_wait_loadcnt_dscnt 0x100
	v_mul_f32_e32 v151, v5, v2
	v_mul_f32_e32 v2, v6, v2
	s_delay_alu instid0(VALU_DEP_1) | instskip(SKIP_1) | instid1(VALU_DEP_1)
	v_fma_f32 v152, v5, v1, -v2
	v_add_f32_e32 v2, 0, v128
	v_add_f32_e32 v2, v2, v129
	s_delay_alu instid0(VALU_DEP_1) | instskip(NEXT) | instid1(VALU_DEP_1)
	v_add_f32_e32 v2, v2, v115
	v_add_f32_e32 v2, v2, v116
	v_mul_f32_e32 v153, v7, v4
	v_fmac_f32_e32 v151, v6, v1
	s_delay_alu instid0(VALU_DEP_2) | instskip(NEXT) | instid1(VALU_DEP_1)
	v_dual_add_f32 v2, v2, v117 :: v_dual_fmac_f32 v153, v8, v3
	v_dual_add_f32 v2, v2, v130 :: v_dual_mul_f32 v1, v8, v4
	s_delay_alu instid0(VALU_DEP_1) | instskip(NEXT) | instid1(VALU_DEP_2)
	v_add_f32_e32 v2, v2, v122
	v_fma_f32 v154, v7, v3, -v1
	s_delay_alu instid0(VALU_DEP_2) | instskip(NEXT) | instid1(VALU_DEP_1)
	v_dual_add_f32 v1, 0, v22 :: v_dual_add_f32 v2, v2, v123
	v_add_f32_e32 v1, v1, v114
	s_delay_alu instid0(VALU_DEP_1) | instskip(NEXT) | instid1(VALU_DEP_1)
	v_add_f32_e32 v1, v1, v118
	v_add_f32_e32 v1, v1, v119
	scratch_load_b64 v[118:119], off, off offset:352
	v_add_f32_e32 v1, v1, v120
	s_delay_alu instid0(VALU_DEP_1) | instskip(NEXT) | instid1(VALU_DEP_1)
	v_add_f32_e32 v1, v1, v121
	v_add_f32_e32 v1, v1, v13
	s_delay_alu instid0(VALU_DEP_1) | instskip(NEXT) | instid1(VALU_DEP_1)
	v_add_f32_e32 v1, v1, v14
	v_add_f32_e32 v1, v1, v16
	s_delay_alu instid0(VALU_DEP_1) | instskip(SKIP_2) | instid1(VALU_DEP_1)
	v_dual_add_f32 v5, v2, v15 :: v_dual_add_f32 v6, v1, v17
	ds_load_b128 v[1:4], v21 offset:656
	v_dual_add_f32 v5, v5, v18 :: v_dual_add_f32 v6, v6, v124
	v_add_f32_e32 v13, v6, v125
	s_delay_alu instid0(VALU_DEP_1) | instskip(NEXT) | instid1(VALU_DEP_1)
	v_add_f32_e32 v13, v13, v133
	v_add_f32_e32 v13, v13, v134
	s_delay_alu instid0(VALU_DEP_1) | instskip(NEXT) | instid1(VALU_DEP_1)
	v_add_f32_e32 v13, v13, v136
	v_add_f32_e32 v18, v13, v138
	s_delay_alu instid0(VALU_DEP_1) | instskip(NEXT) | instid1(VALU_DEP_1)
	v_dual_add_f32 v5, v5, v19 :: v_dual_add_f32 v18, v18, v140
	v_add_f32_e32 v14, v5, v20
	ds_load_b128 v[5:8], v21 offset:672
	s_wait_loadcnt_dscnt 0x101
	v_mul_f32_e32 v22, v1, v10
	v_mul_f32_e32 v10, v2, v10
	;; [unrolled: 1-line block ×4, first 2 shown]
	v_add_f32_e32 v14, v14, v131
	v_fmac_f32_e32 v22, v2, v9
	v_fma_f32 v123, v1, v9, -v10
	v_fmac_f32_e32 v122, v4, v11
	v_fma_f32 v124, v3, v11, -v12
	s_clause 0x1
	scratch_load_b128 v[1:4], off, off offset:304
	scratch_load_b128 v[9:12], off, off offset:320
	v_add_f32_e32 v14, v14, v132
	v_add_f32_e32 v18, v18, v142
	s_delay_alu instid0(VALU_DEP_2) | instskip(SKIP_2) | instid1(VALU_DEP_1)
	v_add_f32_e32 v17, v14, v135
	scratch_load_b128 v[13:16], off, off offset:336
	v_dual_add_f32 v18, v18, v144 :: v_dual_add_f32 v17, v17, v137
	v_add_f32_e32 v18, v18, v146
	s_delay_alu instid0(VALU_DEP_1) | instskip(NEXT) | instid1(VALU_DEP_1)
	v_add_f32_e32 v120, v18, v148
	v_add_f32_e32 v125, v120, v150
	s_wait_loadcnt_dscnt 0x200
	v_mul_f32_e32 v129, v5, v2
	v_dual_mul_f32 v2, v6, v2 :: v_dual_add_f32 v17, v17, v139
	v_mul_f32_e32 v130, v7, v4
	v_mul_f32_e32 v4, v8, v4
	s_delay_alu instid0(VALU_DEP_3) | instskip(NEXT) | instid1(VALU_DEP_3)
	v_fma_f32 v2, v5, v1, -v2
	v_dual_add_f32 v17, v17, v141 :: v_dual_fmac_f32 v130, v8, v3
	s_delay_alu instid0(VALU_DEP_1) | instskip(NEXT) | instid1(VALU_DEP_1)
	v_add_f32_e32 v17, v17, v143
	v_add_f32_e32 v114, v17, v145
	ds_load_b128 v[17:20], v21 offset:688
	v_add_f32_e32 v121, v114, v147
	ds_load_b128 v[114:117], v21 offset:704
	v_add_f32_e32 v128, v121, v149
	ds_load_b64 v[120:121], v21 offset:720
	v_add_f32_e32 v128, v128, v151
	s_delay_alu instid0(VALU_DEP_1) | instskip(SKIP_2) | instid1(VALU_DEP_2)
	v_dual_add_f32 v128, v128, v153 :: v_dual_add_f32 v125, v125, v152
	s_wait_loadcnt_dscnt 0x102
	v_mul_f32_e32 v5, v20, v12
	v_add_f32_e32 v22, v128, v22
	s_delay_alu instid0(VALU_DEP_3) | instskip(SKIP_3) | instid1(VALU_DEP_3)
	v_dual_add_f32 v125, v125, v154 :: v_dual_mul_f32 v128, v19, v12
	v_fmac_f32_e32 v129, v6, v1
	s_wait_loadcnt_dscnt 0x1
	v_mul_f32_e32 v131, v114, v14
	v_dual_add_f32 v22, v22, v122 :: v_dual_add_f32 v123, v125, v123
	s_wait_dscnt 0x0
	v_dual_mul_f32 v125, v17, v10 :: v_dual_mul_f32 v122, v120, v119
	v_fma_f32 v1, v7, v3, -v4
	v_dual_mul_f32 v3, v18, v10 :: v_dual_fmac_f32 v128, v20, v11
	v_dual_add_f32 v123, v123, v124 :: v_dual_add_f32 v4, v22, v129
	s_delay_alu instid0(VALU_DEP_4) | instskip(NEXT) | instid1(VALU_DEP_3)
	v_dual_mul_f32 v124, v116, v16 :: v_dual_fmac_f32 v125, v18, v9
	v_fma_f32 v3, v17, v9, -v3
	s_delay_alu instid0(VALU_DEP_3) | instskip(SKIP_1) | instid1(VALU_DEP_2)
	v_add_f32_e32 v2, v123, v2
	v_fmac_f32_e32 v122, v121, v118
	v_dual_fmac_f32 v124, v117, v15 :: v_dual_add_f32 v1, v2, v1
	v_add_f32_e32 v2, v4, v130
	v_mul_f32_e32 v4, v115, v14
	v_fma_f32 v5, v19, v11, -v5
	s_delay_alu instid0(VALU_DEP_3) | instskip(SKIP_1) | instid1(VALU_DEP_4)
	v_dual_add_f32 v1, v1, v3 :: v_dual_add_f32 v2, v2, v125
	v_fmac_f32_e32 v131, v115, v13
	v_fma_f32 v4, v114, v13, -v4
	s_delay_alu instid0(VALU_DEP_3) | instskip(NEXT) | instid1(VALU_DEP_1)
	v_add_f32_e32 v2, v2, v128
	v_dual_mul_f32 v3, v117, v16 :: v_dual_add_f32 v2, v2, v131
	v_add_f32_e32 v1, v1, v5
	s_delay_alu instid0(VALU_DEP_2) | instskip(NEXT) | instid1(VALU_DEP_3)
	v_fma_f32 v3, v116, v15, -v3
	v_dual_add_f32 v2, v2, v124 :: v_dual_mul_f32 v5, v121, v119
	s_delay_alu instid0(VALU_DEP_1) | instskip(NEXT) | instid1(VALU_DEP_2)
	v_dual_add_f32 v2, v2, v122 :: v_dual_add_f32 v1, v1, v4
	v_fma_f32 v4, v120, v118, -v5
	s_delay_alu instid0(VALU_DEP_2) | instskip(NEXT) | instid1(VALU_DEP_1)
	v_dual_sub_f32 v2, v127, v2 :: v_dual_add_f32 v1, v1, v3
	v_add_f32_e32 v1, v1, v4
	s_delay_alu instid0(VALU_DEP_1)
	v_sub_f32_e32 v1, v126, v1
	scratch_store_b64 off, v[1:2], off offset:88
	v_cmpx_lt_u32_e32 10, v0
	s_cbranch_execz .LBB108_263
; %bb.262:
	scratch_load_b64 v[1:2], off, off offset:80
	v_mov_b32_e32 v22, v21
	scratch_store_b64 off, v[21:22], off offset:80
	s_wait_loadcnt 0x0
	ds_store_b64 v23, v[1:2]
.LBB108_263:
	s_wait_alu 0xfffe
	s_or_b32 exec_lo, exec_lo, s0
	s_wait_storecnt_dscnt 0x0
	s_barrier_signal -1
	s_barrier_wait -1
	global_inv scope:SCOPE_SE
	s_clause 0x4
	scratch_load_b128 v[5:8], off, off offset:88
	scratch_load_b128 v[1:4], off, off offset:104
	;; [unrolled: 1-line block ×5, first 2 shown]
	ds_load_2addr_b64 v[114:117], v21 offset0:57 offset1:58
	ds_load_2addr_b64 v[118:121], v21 offset0:59 offset1:60
	ds_load_2addr_b64 v[122:125], v21 offset0:61 offset1:62
	scratch_load_b64 v[126:127], off, off offset:80
	s_mov_b32 s0, exec_lo
	s_wait_loadcnt_dscnt 0x502
	v_dual_mul_f32 v22, v115, v6 :: v_dual_mul_f32 v129, v116, v8
	v_mul_f32_e32 v128, v114, v6
	v_mul_f32_e32 v6, v117, v8
	s_wait_loadcnt_dscnt 0x300
	v_mul_f32_e32 v130, v124, v12
	v_fma_f32 v22, v114, v5, -v22
	v_dual_fmac_f32 v129, v117, v7 :: v_dual_fmac_f32 v128, v115, v5
	v_mul_f32_e32 v117, v122, v10
	v_mul_f32_e32 v115, v118, v2
	v_fma_f32 v114, v116, v7, -v6
	ds_load_2addr_b64 v[5:8], v21 offset0:63 offset1:64
	v_mul_f32_e32 v116, v120, v4
	v_dual_mul_f32 v4, v121, v4 :: v_dual_fmac_f32 v117, v123, v9
	v_mul_f32_e32 v10, v123, v10
	v_mul_f32_e32 v12, v125, v12
	;; [unrolled: 1-line block ×3, first 2 shown]
	v_dual_fmac_f32 v115, v119, v1 :: v_dual_fmac_f32 v116, v121, v3
	v_fma_f32 v119, v120, v3, -v4
	v_fma_f32 v120, v122, v9, -v10
	v_fmac_f32_e32 v130, v125, v11
	v_fma_f32 v121, v124, v11, -v12
	ds_load_2addr_b64 v[9:12], v21 offset0:65 offset1:66
	s_wait_loadcnt_dscnt 0x201
	v_dual_mul_f32 v123, v7, v16 :: v_dual_mul_f32 v122, v5, v14
	s_delay_alu instid0(VALU_DEP_1)
	v_dual_mul_f32 v14, v6, v14 :: v_dual_fmac_f32 v123, v8, v15
	v_fma_f32 v118, v118, v1, -v2
	scratch_load_b128 v[1:4], off, off offset:168
	v_mul_f32_e32 v16, v8, v16
	v_fmac_f32_e32 v122, v6, v13
	v_fma_f32 v13, v5, v13, -v14
	s_delay_alu instid0(VALU_DEP_3)
	v_fma_f32 v14, v7, v15, -v16
	s_wait_loadcnt_dscnt 0x200
	v_mul_f32_e32 v15, v9, v18
	v_mul_f32_e32 v16, v10, v18
	;; [unrolled: 1-line block ×4, first 2 shown]
	ds_load_2addr_b64 v[5:8], v21 offset0:67 offset1:68
	v_fmac_f32_e32 v15, v10, v17
	v_fma_f32 v16, v9, v17, -v16
	v_fmac_f32_e32 v18, v12, v19
	v_fma_f32 v17, v11, v19, -v20
	scratch_load_b128 v[9:12], off, off offset:184
	s_wait_loadcnt_dscnt 0x100
	v_mul_f32_e32 v19, v5, v2
	v_mul_f32_e32 v2, v6, v2
	;; [unrolled: 1-line block ×3, first 2 shown]
	s_delay_alu instid0(VALU_DEP_3) | instskip(NEXT) | instid1(VALU_DEP_3)
	v_dual_mul_f32 v4, v8, v4 :: v_dual_fmac_f32 v19, v6, v1
	v_fma_f32 v124, v5, v1, -v2
	s_delay_alu instid0(VALU_DEP_3) | instskip(NEXT) | instid1(VALU_DEP_3)
	v_fmac_f32_e32 v20, v8, v3
	v_fma_f32 v125, v7, v3, -v4
	ds_load_2addr_b64 v[1:4], v21 offset0:69 offset1:70
	ds_load_2addr_b64 v[5:8], v21 offset0:71 offset1:72
	s_wait_loadcnt_dscnt 0x1
	v_mul_f32_e32 v131, v1, v10
	v_mul_f32_e32 v10, v2, v10
	s_delay_alu instid0(VALU_DEP_2) | instskip(NEXT) | instid1(VALU_DEP_2)
	v_dual_mul_f32 v132, v3, v12 :: v_dual_fmac_f32 v131, v2, v9
	v_fma_f32 v133, v1, v9, -v10
	v_mul_f32_e32 v1, v4, v12
	s_delay_alu instid0(VALU_DEP_3) | instskip(NEXT) | instid1(VALU_DEP_2)
	v_fmac_f32_e32 v132, v4, v11
	v_fma_f32 v134, v3, v11, -v1
	s_clause 0x1
	scratch_load_b128 v[1:4], off, off offset:200
	scratch_load_b128 v[9:12], off, off offset:216
	s_wait_loadcnt_dscnt 0x100
	v_mul_f32_e32 v135, v5, v2
	v_dual_mul_f32 v2, v6, v2 :: v_dual_mul_f32 v137, v7, v4
	s_delay_alu instid0(VALU_DEP_2) | instskip(NEXT) | instid1(VALU_DEP_2)
	v_fmac_f32_e32 v135, v6, v1
	v_fma_f32 v136, v5, v1, -v2
	v_mul_f32_e32 v1, v8, v4
	s_delay_alu instid0(VALU_DEP_4) | instskip(NEXT) | instid1(VALU_DEP_2)
	v_fmac_f32_e32 v137, v8, v3
	v_fma_f32 v138, v7, v3, -v1
	ds_load_2addr_b64 v[1:4], v21 offset0:73 offset1:74
	ds_load_2addr_b64 v[5:8], v21 offset0:75 offset1:76
	s_wait_loadcnt_dscnt 0x1
	v_mul_f32_e32 v139, v1, v10
	v_mul_f32_e32 v141, v3, v12
	s_delay_alu instid0(VALU_DEP_2) | instskip(NEXT) | instid1(VALU_DEP_2)
	v_fmac_f32_e32 v139, v2, v9
	v_dual_mul_f32 v2, v2, v10 :: v_dual_fmac_f32 v141, v4, v11
	s_delay_alu instid0(VALU_DEP_1) | instskip(SKIP_1) | instid1(VALU_DEP_1)
	v_fma_f32 v140, v1, v9, -v2
	v_mul_f32_e32 v1, v4, v12
	v_fma_f32 v142, v3, v11, -v1
	s_clause 0x1
	scratch_load_b128 v[1:4], off, off offset:232
	scratch_load_b128 v[9:12], off, off offset:248
	s_wait_loadcnt_dscnt 0x100
	v_mul_f32_e32 v143, v5, v2
	v_dual_mul_f32 v2, v6, v2 :: v_dual_mul_f32 v145, v7, v4
	s_delay_alu instid0(VALU_DEP_2) | instskip(NEXT) | instid1(VALU_DEP_2)
	v_fmac_f32_e32 v143, v6, v1
	v_fma_f32 v144, v5, v1, -v2
	v_mul_f32_e32 v1, v8, v4
	s_delay_alu instid0(VALU_DEP_4) | instskip(NEXT) | instid1(VALU_DEP_2)
	v_fmac_f32_e32 v145, v8, v3
	v_fma_f32 v146, v7, v3, -v1
	ds_load_2addr_b64 v[1:4], v21 offset0:77 offset1:78
	ds_load_2addr_b64 v[5:8], v21 offset0:79 offset1:80
	s_wait_loadcnt_dscnt 0x1
	v_mul_f32_e32 v147, v1, v10
	v_mul_f32_e32 v149, v3, v12
	s_delay_alu instid0(VALU_DEP_2) | instskip(NEXT) | instid1(VALU_DEP_2)
	v_fmac_f32_e32 v147, v2, v9
	v_dual_mul_f32 v2, v2, v10 :: v_dual_fmac_f32 v149, v4, v11
	s_delay_alu instid0(VALU_DEP_1) | instskip(SKIP_1) | instid1(VALU_DEP_1)
	v_fma_f32 v148, v1, v9, -v2
	v_mul_f32_e32 v1, v4, v12
	v_fma_f32 v150, v3, v11, -v1
	s_clause 0x1
	scratch_load_b128 v[1:4], off, off offset:264
	scratch_load_b128 v[9:12], off, off offset:280
	s_wait_loadcnt_dscnt 0x100
	v_mul_f32_e32 v151, v5, v2
	v_mul_f32_e32 v2, v6, v2
	s_delay_alu instid0(VALU_DEP_1) | instskip(SKIP_1) | instid1(VALU_DEP_1)
	v_fma_f32 v152, v5, v1, -v2
	v_add_f32_e32 v2, 0, v128
	v_add_f32_e32 v2, v2, v129
	s_delay_alu instid0(VALU_DEP_1) | instskip(SKIP_1) | instid1(VALU_DEP_2)
	v_add_f32_e32 v2, v2, v115
	v_fmac_f32_e32 v151, v6, v1
	v_add_f32_e32 v2, v2, v116
	s_delay_alu instid0(VALU_DEP_1) | instskip(NEXT) | instid1(VALU_DEP_1)
	v_dual_mul_f32 v153, v7, v4 :: v_dual_add_f32 v2, v2, v117
	v_dual_fmac_f32 v153, v8, v3 :: v_dual_add_f32 v2, v2, v130
	s_delay_alu instid0(VALU_DEP_1) | instskip(NEXT) | instid1(VALU_DEP_1)
	v_dual_mul_f32 v1, v8, v4 :: v_dual_add_f32 v2, v2, v122
	v_fma_f32 v154, v7, v3, -v1
	s_delay_alu instid0(VALU_DEP_2) | instskip(NEXT) | instid1(VALU_DEP_1)
	v_dual_add_f32 v1, 0, v22 :: v_dual_add_f32 v2, v2, v123
	v_dual_add_f32 v1, v1, v114 :: v_dual_add_f32 v2, v2, v15
	s_delay_alu instid0(VALU_DEP_1) | instskip(NEXT) | instid1(VALU_DEP_2)
	v_add_f32_e32 v1, v1, v118
	v_add_f32_e32 v5, v2, v18
	s_delay_alu instid0(VALU_DEP_2) | instskip(NEXT) | instid1(VALU_DEP_1)
	v_add_f32_e32 v1, v1, v119
	v_add_f32_e32 v1, v1, v120
	s_delay_alu instid0(VALU_DEP_1) | instskip(NEXT) | instid1(VALU_DEP_1)
	v_add_f32_e32 v1, v1, v121
	v_add_f32_e32 v1, v1, v13
	;; [unrolled: 1-line block ×3, first 2 shown]
	s_delay_alu instid0(VALU_DEP_1) | instskip(NEXT) | instid1(VALU_DEP_1)
	v_add_f32_e32 v13, v13, v20
	v_add_f32_e32 v13, v13, v131
	s_delay_alu instid0(VALU_DEP_1) | instskip(NEXT) | instid1(VALU_DEP_1)
	v_add_f32_e32 v18, v13, v132
	v_dual_add_f32 v18, v18, v135 :: v_dual_add_f32 v1, v1, v14
	s_delay_alu instid0(VALU_DEP_1) | instskip(NEXT) | instid1(VALU_DEP_1)
	v_dual_add_f32 v18, v18, v137 :: v_dual_add_f32 v1, v1, v16
	v_dual_add_f32 v114, v18, v139 :: v_dual_add_f32 v1, v1, v17
	s_delay_alu instid0(VALU_DEP_1) | instskip(NEXT) | instid1(VALU_DEP_2)
	v_add_f32_e32 v114, v114, v141
	v_add_f32_e32 v6, v1, v124
	ds_load_2addr_b64 v[1:4], v21 offset0:81 offset1:82
	v_add_f32_e32 v114, v114, v143
	v_add_f32_e32 v14, v6, v125
	scratch_load_b128 v[5:8], off, off offset:296
	v_add_f32_e32 v14, v14, v133
	s_delay_alu instid0(VALU_DEP_1)
	v_add_f32_e32 v17, v14, v134
	ds_load_2addr_b64 v[13:16], v21 offset0:83 offset1:84
	s_wait_loadcnt_dscnt 0x101
	v_mul_f32_e32 v22, v1, v10
	v_mul_f32_e32 v10, v2, v10
	;; [unrolled: 1-line block ×4, first 2 shown]
	s_delay_alu instid0(VALU_DEP_4) | instskip(NEXT) | instid1(VALU_DEP_4)
	v_fmac_f32_e32 v22, v2, v9
	v_fma_f32 v119, v1, v9, -v10
	s_delay_alu instid0(VALU_DEP_4) | instskip(NEXT) | instid1(VALU_DEP_4)
	v_fmac_f32_e32 v118, v4, v11
	v_fma_f32 v120, v3, v11, -v12
	s_clause 0x1
	scratch_load_b128 v[1:4], off, off offset:312
	scratch_load_b128 v[9:12], off, off offset:328
	s_wait_loadcnt_dscnt 0x200
	v_mul_f32_e32 v122, v15, v8
	v_add_f32_e32 v17, v17, v136
	v_mul_f32_e32 v121, v13, v6
	v_mul_f32_e32 v6, v14, v6
	;; [unrolled: 1-line block ×3, first 2 shown]
	s_delay_alu instid0(VALU_DEP_4) | instskip(NEXT) | instid1(VALU_DEP_3)
	v_dual_fmac_f32 v122, v16, v7 :: v_dual_add_f32 v17, v17, v138
	v_fma_f32 v123, v13, v5, -v6
	v_add_f32_e32 v13, v114, v145
	s_delay_alu instid0(VALU_DEP_4) | instskip(NEXT) | instid1(VALU_DEP_4)
	v_fma_f32 v124, v15, v7, -v8
	v_add_f32_e32 v17, v17, v140
	s_delay_alu instid0(VALU_DEP_1) | instskip(SKIP_2) | instid1(VALU_DEP_1)
	v_add_f32_e32 v115, v17, v142
	scratch_load_b128 v[17:20], off, off offset:344
	v_add_f32_e32 v115, v115, v144
	v_add_f32_e32 v115, v115, v146
	s_delay_alu instid0(VALU_DEP_1)
	v_dual_add_f32 v114, v115, v148 :: v_dual_fmac_f32 v121, v14, v5
	ds_load_2addr_b64 v[5:8], v21 offset0:85 offset1:86
	v_add_f32_e32 v115, v13, v147
	ds_load_2addr_b64 v[13:16], v21 offset0:87 offset1:88
	v_dual_add_f32 v125, v114, v150 :: v_dual_add_f32 v128, v115, v149
	ds_load_2addr_b64 v[114:117], v21 offset0:89 offset1:90
	v_add_f32_e32 v21, v125, v152
	s_wait_loadcnt_dscnt 0x202
	v_dual_add_f32 v125, v128, v151 :: v_dual_mul_f32 v128, v5, v2
	s_delay_alu instid0(VALU_DEP_1) | instskip(NEXT) | instid1(VALU_DEP_2)
	v_dual_mul_f32 v2, v6, v2 :: v_dual_add_f32 v125, v125, v153
	v_fmac_f32_e32 v128, v6, v1
	s_wait_loadcnt_dscnt 0x101
	v_mul_f32_e32 v6, v14, v10
	s_delay_alu instid0(VALU_DEP_3) | instskip(SKIP_2) | instid1(VALU_DEP_3)
	v_add_f32_e32 v22, v125, v22
	v_mul_f32_e32 v125, v13, v10
	v_fma_f32 v2, v5, v1, -v2
	v_add_f32_e32 v22, v22, v118
	s_delay_alu instid0(VALU_DEP_1) | instskip(SKIP_2) | instid1(VALU_DEP_1)
	v_add_f32_e32 v22, v22, v121
	s_wait_loadcnt_dscnt 0x0
	v_mul_f32_e32 v118, v114, v18
	v_dual_add_f32 v21, v21, v154 :: v_dual_fmac_f32 v118, v115, v17
	s_delay_alu instid0(VALU_DEP_1) | instskip(SKIP_2) | instid1(VALU_DEP_2)
	v_add_f32_e32 v21, v21, v119
	v_mul_f32_e32 v119, v7, v4
	v_mul_f32_e32 v4, v8, v4
	v_fmac_f32_e32 v119, v8, v3
	s_delay_alu instid0(VALU_DEP_2) | instskip(SKIP_3) | instid1(VALU_DEP_3)
	v_fma_f32 v3, v7, v3, -v4
	v_dual_mul_f32 v4, v16, v12 :: v_dual_fmac_f32 v125, v14, v9
	v_add_f32_e32 v21, v21, v120
	v_dual_mul_f32 v120, v116, v20 :: v_dual_add_f32 v5, v22, v122
	v_fma_f32 v4, v15, v11, -v4
	s_delay_alu instid0(VALU_DEP_3) | instskip(NEXT) | instid1(VALU_DEP_3)
	v_add_f32_e32 v21, v21, v123
	v_fmac_f32_e32 v120, v117, v19
	s_delay_alu instid0(VALU_DEP_2) | instskip(NEXT) | instid1(VALU_DEP_1)
	v_add_f32_e32 v1, v21, v124
	v_add_f32_e32 v1, v1, v2
	;; [unrolled: 1-line block ×3, first 2 shown]
	v_mul_f32_e32 v129, v15, v12
	v_fma_f32 v5, v13, v9, -v6
	s_delay_alu instid0(VALU_DEP_3) | instskip(NEXT) | instid1(VALU_DEP_1)
	v_add_f32_e32 v2, v2, v119
	v_dual_fmac_f32 v129, v16, v11 :: v_dual_add_f32 v2, v2, v125
	s_delay_alu instid0(VALU_DEP_1) | instskip(NEXT) | instid1(VALU_DEP_1)
	v_add_f32_e32 v2, v2, v129
	v_add_f32_e32 v2, v2, v118
	s_delay_alu instid0(VALU_DEP_1) | instskip(SKIP_1) | instid1(VALU_DEP_2)
	v_dual_add_f32 v2, v2, v120 :: v_dual_add_f32 v1, v1, v3
	v_mul_f32_e32 v3, v115, v18
	v_dual_sub_f32 v2, v127, v2 :: v_dual_add_f32 v1, v1, v5
	v_mul_f32_e32 v5, v117, v20
	s_delay_alu instid0(VALU_DEP_3) | instskip(NEXT) | instid1(VALU_DEP_3)
	v_fma_f32 v3, v114, v17, -v3
	v_add_f32_e32 v1, v1, v4
	s_delay_alu instid0(VALU_DEP_3) | instskip(NEXT) | instid1(VALU_DEP_2)
	v_fma_f32 v4, v116, v19, -v5
	v_add_f32_e32 v1, v1, v3
	s_delay_alu instid0(VALU_DEP_1) | instskip(NEXT) | instid1(VALU_DEP_1)
	v_add_f32_e32 v1, v1, v4
	v_sub_f32_e32 v1, v126, v1
	scratch_store_b64 off, v[1:2], off offset:80
	v_cmpx_lt_u32_e32 9, v0
	s_cbranch_execz .LBB108_265
; %bb.264:
	scratch_load_b64 v[1:2], off, off offset:72
	v_mov_b32_e32 v3, 0
	s_delay_alu instid0(VALU_DEP_1)
	v_mov_b32_e32 v4, v3
	scratch_store_b64 off, v[3:4], off offset:72
	s_wait_loadcnt 0x0
	ds_store_b64 v23, v[1:2]
.LBB108_265:
	s_wait_alu 0xfffe
	s_or_b32 exec_lo, exec_lo, s0
	s_wait_storecnt_dscnt 0x0
	s_barrier_signal -1
	s_barrier_wait -1
	global_inv scope:SCOPE_SE
	s_clause 0x4
	scratch_load_b128 v[5:8], off, off offset:80
	scratch_load_b128 v[1:4], off, off offset:96
	;; [unrolled: 1-line block ×5, first 2 shown]
	v_mov_b32_e32 v21, 0
	ds_load_b128 v[114:117], v21 offset:448
	ds_load_b128 v[118:121], v21 offset:464
	;; [unrolled: 1-line block ×3, first 2 shown]
	scratch_load_b64 v[126:127], off, off offset:72
	s_mov_b32 s0, exec_lo
	s_wait_loadcnt_dscnt 0x502
	v_mul_f32_e32 v22, v115, v6
	v_dual_mul_f32 v128, v114, v6 :: v_dual_mul_f32 v129, v116, v8
	v_mul_f32_e32 v6, v117, v8
	s_delay_alu instid0(VALU_DEP_3) | instskip(NEXT) | instid1(VALU_DEP_3)
	v_fma_f32 v22, v114, v5, -v22
	v_dual_fmac_f32 v128, v115, v5 :: v_dual_fmac_f32 v129, v117, v7
	s_wait_loadcnt_dscnt 0x401
	v_mul_f32_e32 v115, v118, v2
	v_fma_f32 v114, v116, v7, -v6
	ds_load_b128 v[5:8], v21 offset:496
	s_wait_loadcnt_dscnt 0x301
	v_dual_mul_f32 v116, v120, v4 :: v_dual_mul_f32 v117, v122, v10
	v_dual_mul_f32 v4, v121, v4 :: v_dual_fmac_f32 v115, v119, v1
	v_mul_f32_e32 v10, v123, v10
	s_delay_alu instid0(VALU_DEP_3)
	v_dual_mul_f32 v130, v124, v12 :: v_dual_fmac_f32 v117, v123, v9
	v_mul_f32_e32 v12, v125, v12
	v_mul_f32_e32 v2, v119, v2
	v_fmac_f32_e32 v116, v121, v3
	v_fma_f32 v119, v120, v3, -v4
	v_fma_f32 v120, v122, v9, -v10
	v_fmac_f32_e32 v130, v125, v11
	v_fma_f32 v121, v124, v11, -v12
	ds_load_b128 v[9:12], v21 offset:512
	s_wait_loadcnt_dscnt 0x201
	v_dual_mul_f32 v123, v7, v16 :: v_dual_mul_f32 v122, v5, v14
	v_mul_f32_e32 v14, v6, v14
	v_mul_f32_e32 v16, v8, v16
	s_delay_alu instid0(VALU_DEP_3)
	v_fmac_f32_e32 v123, v8, v15
	v_fma_f32 v118, v118, v1, -v2
	scratch_load_b128 v[1:4], off, off offset:160
	v_fmac_f32_e32 v122, v6, v13
	v_fma_f32 v13, v5, v13, -v14
	v_fma_f32 v14, v7, v15, -v16
	ds_load_b128 v[5:8], v21 offset:528
	s_wait_loadcnt_dscnt 0x201
	v_mul_f32_e32 v15, v9, v18
	v_mul_f32_e32 v16, v10, v18
	v_mul_f32_e32 v18, v11, v20
	s_delay_alu instid0(VALU_DEP_3) | instskip(NEXT) | instid1(VALU_DEP_3)
	v_dual_mul_f32 v20, v12, v20 :: v_dual_fmac_f32 v15, v10, v17
	v_fma_f32 v16, v9, v17, -v16
	s_delay_alu instid0(VALU_DEP_3) | instskip(NEXT) | instid1(VALU_DEP_3)
	v_fmac_f32_e32 v18, v12, v19
	v_fma_f32 v17, v11, v19, -v20
	scratch_load_b128 v[9:12], off, off offset:176
	s_wait_loadcnt_dscnt 0x100
	v_mul_f32_e32 v19, v5, v2
	v_mul_f32_e32 v2, v6, v2
	;; [unrolled: 1-line block ×3, first 2 shown]
	s_delay_alu instid0(VALU_DEP_3) | instskip(NEXT) | instid1(VALU_DEP_3)
	v_dual_mul_f32 v4, v8, v4 :: v_dual_fmac_f32 v19, v6, v1
	v_fma_f32 v124, v5, v1, -v2
	s_delay_alu instid0(VALU_DEP_3) | instskip(NEXT) | instid1(VALU_DEP_3)
	v_fmac_f32_e32 v20, v8, v3
	v_fma_f32 v125, v7, v3, -v4
	ds_load_b128 v[1:4], v21 offset:544
	ds_load_b128 v[5:8], v21 offset:560
	s_wait_loadcnt_dscnt 0x1
	v_mul_f32_e32 v131, v1, v10
	v_mul_f32_e32 v10, v2, v10
	s_delay_alu instid0(VALU_DEP_2) | instskip(NEXT) | instid1(VALU_DEP_2)
	v_dual_mul_f32 v132, v3, v12 :: v_dual_fmac_f32 v131, v2, v9
	v_fma_f32 v133, v1, v9, -v10
	v_mul_f32_e32 v1, v4, v12
	s_delay_alu instid0(VALU_DEP_3) | instskip(NEXT) | instid1(VALU_DEP_2)
	v_fmac_f32_e32 v132, v4, v11
	v_fma_f32 v134, v3, v11, -v1
	s_clause 0x1
	scratch_load_b128 v[1:4], off, off offset:192
	scratch_load_b128 v[9:12], off, off offset:208
	s_wait_loadcnt_dscnt 0x100
	v_mul_f32_e32 v135, v5, v2
	v_dual_mul_f32 v2, v6, v2 :: v_dual_mul_f32 v137, v7, v4
	s_delay_alu instid0(VALU_DEP_2) | instskip(NEXT) | instid1(VALU_DEP_2)
	v_fmac_f32_e32 v135, v6, v1
	v_fma_f32 v136, v5, v1, -v2
	v_mul_f32_e32 v1, v8, v4
	s_delay_alu instid0(VALU_DEP_4) | instskip(NEXT) | instid1(VALU_DEP_2)
	v_fmac_f32_e32 v137, v8, v3
	v_fma_f32 v138, v7, v3, -v1
	ds_load_b128 v[1:4], v21 offset:576
	ds_load_b128 v[5:8], v21 offset:592
	s_wait_loadcnt_dscnt 0x1
	v_mul_f32_e32 v139, v1, v10
	v_mul_f32_e32 v141, v3, v12
	s_delay_alu instid0(VALU_DEP_2) | instskip(NEXT) | instid1(VALU_DEP_2)
	v_fmac_f32_e32 v139, v2, v9
	v_dual_mul_f32 v2, v2, v10 :: v_dual_fmac_f32 v141, v4, v11
	s_delay_alu instid0(VALU_DEP_1) | instskip(SKIP_1) | instid1(VALU_DEP_1)
	v_fma_f32 v140, v1, v9, -v2
	v_mul_f32_e32 v1, v4, v12
	v_fma_f32 v142, v3, v11, -v1
	s_clause 0x1
	scratch_load_b128 v[1:4], off, off offset:224
	scratch_load_b128 v[9:12], off, off offset:240
	s_wait_loadcnt_dscnt 0x100
	v_mul_f32_e32 v143, v5, v2
	v_dual_mul_f32 v145, v7, v4 :: v_dual_mul_f32 v2, v6, v2
	s_delay_alu instid0(VALU_DEP_2) | instskip(NEXT) | instid1(VALU_DEP_2)
	v_fmac_f32_e32 v143, v6, v1
	v_fmac_f32_e32 v145, v8, v3
	s_delay_alu instid0(VALU_DEP_3) | instskip(SKIP_1) | instid1(VALU_DEP_1)
	v_fma_f32 v144, v5, v1, -v2
	v_mul_f32_e32 v1, v8, v4
	v_fma_f32 v146, v7, v3, -v1
	ds_load_b128 v[1:4], v21 offset:608
	ds_load_b128 v[5:8], v21 offset:624
	s_wait_loadcnt_dscnt 0x1
	v_mul_f32_e32 v147, v1, v10
	v_mul_f32_e32 v149, v3, v12
	s_delay_alu instid0(VALU_DEP_2) | instskip(NEXT) | instid1(VALU_DEP_2)
	v_fmac_f32_e32 v147, v2, v9
	v_dual_mul_f32 v2, v2, v10 :: v_dual_fmac_f32 v149, v4, v11
	s_delay_alu instid0(VALU_DEP_1) | instskip(SKIP_1) | instid1(VALU_DEP_1)
	v_fma_f32 v148, v1, v9, -v2
	v_mul_f32_e32 v1, v4, v12
	v_fma_f32 v150, v3, v11, -v1
	s_clause 0x1
	scratch_load_b128 v[1:4], off, off offset:256
	scratch_load_b128 v[9:12], off, off offset:272
	s_wait_loadcnt_dscnt 0x100
	v_mul_f32_e32 v151, v5, v2
	v_mul_f32_e32 v2, v6, v2
	s_delay_alu instid0(VALU_DEP_1) | instskip(SKIP_1) | instid1(VALU_DEP_1)
	v_fma_f32 v152, v5, v1, -v2
	v_add_f32_e32 v2, 0, v128
	v_add_f32_e32 v2, v2, v129
	s_delay_alu instid0(VALU_DEP_1) | instskip(NEXT) | instid1(VALU_DEP_1)
	v_add_f32_e32 v2, v2, v115
	v_add_f32_e32 v2, v2, v116
	v_mul_f32_e32 v153, v7, v4
	v_fmac_f32_e32 v151, v6, v1
	s_delay_alu instid0(VALU_DEP_2) | instskip(NEXT) | instid1(VALU_DEP_1)
	v_dual_add_f32 v2, v2, v117 :: v_dual_fmac_f32 v153, v8, v3
	v_dual_add_f32 v2, v2, v130 :: v_dual_mul_f32 v1, v8, v4
	s_delay_alu instid0(VALU_DEP_1) | instskip(NEXT) | instid1(VALU_DEP_2)
	v_add_f32_e32 v2, v2, v122
	v_fma_f32 v154, v7, v3, -v1
	s_delay_alu instid0(VALU_DEP_2) | instskip(NEXT) | instid1(VALU_DEP_1)
	v_dual_add_f32 v1, 0, v22 :: v_dual_add_f32 v2, v2, v123
	v_dual_add_f32 v1, v1, v114 :: v_dual_add_f32 v2, v2, v15
	s_delay_alu instid0(VALU_DEP_1) | instskip(NEXT) | instid1(VALU_DEP_2)
	v_add_f32_e32 v1, v1, v118
	v_add_f32_e32 v5, v2, v18
	s_delay_alu instid0(VALU_DEP_2) | instskip(SKIP_2) | instid1(VALU_DEP_1)
	v_add_f32_e32 v1, v1, v119
	scratch_load_b64 v[118:119], off, off offset:352
	v_add_f32_e32 v1, v1, v120
	v_add_f32_e32 v1, v1, v121
	s_delay_alu instid0(VALU_DEP_1) | instskip(SKIP_1) | instid1(VALU_DEP_2)
	v_add_f32_e32 v1, v1, v13
	v_add_f32_e32 v13, v5, v19
	;; [unrolled: 1-line block ×3, first 2 shown]
	s_delay_alu instid0(VALU_DEP_2) | instskip(NEXT) | instid1(VALU_DEP_2)
	v_add_f32_e32 v13, v13, v20
	v_add_f32_e32 v1, v1, v16
	s_delay_alu instid0(VALU_DEP_2) | instskip(NEXT) | instid1(VALU_DEP_2)
	v_add_f32_e32 v13, v13, v131
	v_add_f32_e32 v1, v1, v17
	;; [unrolled: 3-line block ×3, first 2 shown]
	scratch_load_b128 v[1:4], off, off offset:288
	v_add_f32_e32 v18, v18, v135
	v_add_f32_e32 v14, v6, v125
	ds_load_b128 v[5:8], v21 offset:640
	v_add_f32_e32 v18, v18, v137
	v_add_f32_e32 v14, v14, v133
	s_delay_alu instid0(VALU_DEP_2) | instskip(NEXT) | instid1(VALU_DEP_2)
	v_add_f32_e32 v114, v18, v139
	v_add_f32_e32 v17, v14, v134
	ds_load_b128 v[13:16], v21 offset:656
	v_add_f32_e32 v114, v114, v141
	s_delay_alu instid0(VALU_DEP_1)
	v_add_f32_e32 v114, v114, v143
	s_wait_loadcnt_dscnt 0x201
	v_mul_f32_e32 v22, v5, v10
	v_mul_f32_e32 v10, v6, v10
	;; [unrolled: 1-line block ×4, first 2 shown]
	v_add_f32_e32 v114, v114, v145
	v_fmac_f32_e32 v22, v6, v9
	v_fma_f32 v123, v5, v9, -v10
	v_fmac_f32_e32 v122, v8, v11
	v_fma_f32 v124, v7, v11, -v12
	s_clause 0x1
	scratch_load_b128 v[5:8], off, off offset:304
	scratch_load_b128 v[9:12], off, off offset:320
	s_wait_loadcnt_dscnt 0x200
	v_mul_f32_e32 v128, v15, v4
	v_mul_f32_e32 v4, v16, v4
	v_add_f32_e32 v17, v17, v136
	v_mul_f32_e32 v125, v13, v2
	v_mul_f32_e32 v2, v14, v2
	v_fmac_f32_e32 v128, v16, v3
	v_fma_f32 v130, v15, v3, -v4
	v_add_f32_e32 v17, v17, v138
	s_delay_alu instid0(VALU_DEP_4) | instskip(SKIP_1) | instid1(VALU_DEP_3)
	v_fma_f32 v129, v13, v1, -v2
	v_add_f32_e32 v13, v114, v147
	v_add_f32_e32 v17, v17, v140
	s_delay_alu instid0(VALU_DEP_2) | instskip(NEXT) | instid1(VALU_DEP_2)
	v_add_f32_e32 v114, v13, v149
	v_add_f32_e32 v115, v17, v142
	scratch_load_b128 v[17:20], off, off offset:336
	v_add_f32_e32 v121, v114, v151
	s_delay_alu instid0(VALU_DEP_1) | instskip(NEXT) | instid1(VALU_DEP_1)
	v_dual_add_f32 v115, v115, v144 :: v_dual_add_f32 v132, v121, v153
	v_add_f32_e32 v115, v115, v146
	s_delay_alu instid0(VALU_DEP_1)
	v_dual_add_f32 v22, v132, v22 :: v_dual_add_f32 v115, v115, v148
	v_fmac_f32_e32 v125, v14, v1
	ds_load_b128 v[1:4], v21 offset:672
	v_add_f32_e32 v22, v22, v122
	v_add_f32_e32 v14, v115, v150
	ds_load_b128 v[114:117], v21 offset:704
	v_add_f32_e32 v22, v22, v125
	v_add_f32_e32 v120, v14, v152
	ds_load_b128 v[13:16], v21 offset:688
	v_dual_add_f32 v22, v22, v128 :: v_dual_add_f32 v131, v120, v154
	ds_load_b64 v[120:121], v21 offset:720
	v_add_f32_e32 v123, v131, v123
	s_wait_loadcnt_dscnt 0x203
	v_mul_f32_e32 v131, v1, v6
	v_mul_f32_e32 v6, v2, v6
	;; [unrolled: 1-line block ×3, first 2 shown]
	v_add_f32_e32 v123, v123, v124
	s_delay_alu instid0(VALU_DEP_4) | instskip(NEXT) | instid1(VALU_DEP_4)
	v_dual_mul_f32 v8, v4, v8 :: v_dual_fmac_f32 v131, v2, v5
	v_fma_f32 v1, v1, v5, -v6
	s_delay_alu instid0(VALU_DEP_4)
	v_fmac_f32_e32 v122, v4, v7
	s_wait_loadcnt_dscnt 0x101
	v_dual_mul_f32 v124, v13, v10 :: v_dual_add_f32 v123, v123, v129
	v_fma_f32 v2, v3, v7, -v8
	v_dual_add_f32 v4, v22, v131 :: v_dual_mul_f32 v125, v15, v12
	s_wait_dscnt 0x0
	s_delay_alu instid0(VALU_DEP_3) | instskip(SKIP_1) | instid1(VALU_DEP_2)
	v_dual_mul_f32 v128, v120, v119 :: v_dual_add_f32 v123, v123, v130
	v_dual_mul_f32 v5, v16, v12 :: v_dual_fmac_f32 v124, v14, v9
	v_dual_fmac_f32 v125, v16, v11 :: v_dual_fmac_f32 v128, v121, v118
	s_delay_alu instid0(VALU_DEP_3) | instskip(NEXT) | instid1(VALU_DEP_3)
	v_add_f32_e32 v1, v123, v1
	v_fma_f32 v5, v15, v11, -v5
	s_delay_alu instid0(VALU_DEP_2) | instskip(SKIP_3) | instid1(VALU_DEP_2)
	v_add_f32_e32 v1, v1, v2
	s_wait_loadcnt 0x0
	v_dual_mul_f32 v129, v114, v18 :: v_dual_mul_f32 v130, v116, v20
	v_mul_f32_e32 v3, v14, v10
	v_dual_fmac_f32 v129, v115, v17 :: v_dual_fmac_f32 v130, v117, v19
	s_delay_alu instid0(VALU_DEP_2) | instskip(SKIP_2) | instid1(VALU_DEP_2)
	v_fma_f32 v3, v13, v9, -v3
	v_add_f32_e32 v2, v4, v122
	v_mul_f32_e32 v4, v115, v18
	v_dual_add_f32 v2, v2, v124 :: v_dual_add_f32 v1, v1, v3
	v_mul_f32_e32 v3, v117, v20
	s_delay_alu instid0(VALU_DEP_3) | instskip(NEXT) | instid1(VALU_DEP_3)
	v_fma_f32 v4, v114, v17, -v4
	v_add_f32_e32 v2, v2, v125
	s_delay_alu instid0(VALU_DEP_3) | instskip(NEXT) | instid1(VALU_DEP_2)
	v_fma_f32 v3, v116, v19, -v3
	v_add_f32_e32 v2, v2, v129
	s_delay_alu instid0(VALU_DEP_1) | instskip(NEXT) | instid1(VALU_DEP_1)
	v_dual_add_f32 v1, v1, v5 :: v_dual_add_f32 v2, v2, v130
	v_dual_mul_f32 v5, v121, v119 :: v_dual_add_f32 v2, v2, v128
	s_delay_alu instid0(VALU_DEP_2) | instskip(NEXT) | instid1(VALU_DEP_2)
	v_add_f32_e32 v1, v1, v4
	v_fma_f32 v4, v120, v118, -v5
	s_delay_alu instid0(VALU_DEP_2) | instskip(NEXT) | instid1(VALU_DEP_1)
	v_dual_sub_f32 v2, v127, v2 :: v_dual_add_f32 v1, v1, v3
	v_add_f32_e32 v1, v1, v4
	s_delay_alu instid0(VALU_DEP_1)
	v_sub_f32_e32 v1, v126, v1
	scratch_store_b64 off, v[1:2], off offset:72
	v_cmpx_lt_u32_e32 8, v0
	s_cbranch_execz .LBB108_267
; %bb.266:
	scratch_load_b64 v[1:2], off, off offset:64
	v_mov_b32_e32 v22, v21
	scratch_store_b64 off, v[21:22], off offset:64
	s_wait_loadcnt 0x0
	ds_store_b64 v23, v[1:2]
.LBB108_267:
	s_wait_alu 0xfffe
	s_or_b32 exec_lo, exec_lo, s0
	s_wait_storecnt_dscnt 0x0
	s_barrier_signal -1
	s_barrier_wait -1
	global_inv scope:SCOPE_SE
	s_clause 0x4
	scratch_load_b128 v[5:8], off, off offset:72
	scratch_load_b128 v[1:4], off, off offset:88
	;; [unrolled: 1-line block ×5, first 2 shown]
	ds_load_2addr_b64 v[114:117], v21 offset0:55 offset1:56
	ds_load_2addr_b64 v[118:121], v21 offset0:57 offset1:58
	;; [unrolled: 1-line block ×3, first 2 shown]
	scratch_load_b64 v[126:127], off, off offset:64
	s_mov_b32 s0, exec_lo
	s_wait_loadcnt_dscnt 0x502
	v_dual_mul_f32 v22, v115, v6 :: v_dual_mul_f32 v129, v116, v8
	v_mul_f32_e32 v128, v114, v6
	v_mul_f32_e32 v6, v117, v8
	s_wait_loadcnt_dscnt 0x300
	v_mul_f32_e32 v130, v124, v12
	v_fma_f32 v22, v114, v5, -v22
	v_dual_fmac_f32 v129, v117, v7 :: v_dual_fmac_f32 v128, v115, v5
	v_mul_f32_e32 v117, v122, v10
	v_mul_f32_e32 v115, v118, v2
	v_fma_f32 v114, v116, v7, -v6
	ds_load_2addr_b64 v[5:8], v21 offset0:61 offset1:62
	v_mul_f32_e32 v116, v120, v4
	v_dual_mul_f32 v4, v121, v4 :: v_dual_fmac_f32 v117, v123, v9
	v_mul_f32_e32 v10, v123, v10
	v_mul_f32_e32 v12, v125, v12
	;; [unrolled: 1-line block ×3, first 2 shown]
	v_dual_fmac_f32 v115, v119, v1 :: v_dual_fmac_f32 v116, v121, v3
	v_fma_f32 v119, v120, v3, -v4
	v_fma_f32 v120, v122, v9, -v10
	v_fmac_f32_e32 v130, v125, v11
	v_fma_f32 v121, v124, v11, -v12
	ds_load_2addr_b64 v[9:12], v21 offset0:63 offset1:64
	s_wait_loadcnt_dscnt 0x201
	v_dual_mul_f32 v123, v7, v16 :: v_dual_mul_f32 v122, v5, v14
	s_delay_alu instid0(VALU_DEP_1)
	v_dual_mul_f32 v14, v6, v14 :: v_dual_fmac_f32 v123, v8, v15
	v_fma_f32 v118, v118, v1, -v2
	scratch_load_b128 v[1:4], off, off offset:152
	v_mul_f32_e32 v16, v8, v16
	v_fmac_f32_e32 v122, v6, v13
	v_fma_f32 v13, v5, v13, -v14
	s_delay_alu instid0(VALU_DEP_3)
	v_fma_f32 v14, v7, v15, -v16
	s_wait_loadcnt_dscnt 0x200
	v_mul_f32_e32 v15, v9, v18
	v_mul_f32_e32 v16, v10, v18
	;; [unrolled: 1-line block ×4, first 2 shown]
	ds_load_2addr_b64 v[5:8], v21 offset0:65 offset1:66
	v_fmac_f32_e32 v15, v10, v17
	v_fma_f32 v16, v9, v17, -v16
	v_fmac_f32_e32 v18, v12, v19
	v_fma_f32 v17, v11, v19, -v20
	scratch_load_b128 v[9:12], off, off offset:168
	s_wait_loadcnt_dscnt 0x100
	v_mul_f32_e32 v19, v5, v2
	v_mul_f32_e32 v2, v6, v2
	v_mul_f32_e32 v20, v7, v4
	s_delay_alu instid0(VALU_DEP_3) | instskip(NEXT) | instid1(VALU_DEP_3)
	v_dual_mul_f32 v4, v8, v4 :: v_dual_fmac_f32 v19, v6, v1
	v_fma_f32 v124, v5, v1, -v2
	s_delay_alu instid0(VALU_DEP_3) | instskip(NEXT) | instid1(VALU_DEP_3)
	v_fmac_f32_e32 v20, v8, v3
	v_fma_f32 v125, v7, v3, -v4
	ds_load_2addr_b64 v[1:4], v21 offset0:67 offset1:68
	ds_load_2addr_b64 v[5:8], v21 offset0:69 offset1:70
	s_wait_loadcnt_dscnt 0x1
	v_mul_f32_e32 v131, v1, v10
	v_mul_f32_e32 v10, v2, v10
	s_delay_alu instid0(VALU_DEP_2) | instskip(NEXT) | instid1(VALU_DEP_2)
	v_dual_mul_f32 v132, v3, v12 :: v_dual_fmac_f32 v131, v2, v9
	v_fma_f32 v133, v1, v9, -v10
	v_mul_f32_e32 v1, v4, v12
	s_delay_alu instid0(VALU_DEP_3) | instskip(NEXT) | instid1(VALU_DEP_2)
	v_fmac_f32_e32 v132, v4, v11
	v_fma_f32 v134, v3, v11, -v1
	s_clause 0x1
	scratch_load_b128 v[1:4], off, off offset:184
	scratch_load_b128 v[9:12], off, off offset:200
	s_wait_loadcnt_dscnt 0x100
	v_mul_f32_e32 v135, v5, v2
	v_dual_mul_f32 v2, v6, v2 :: v_dual_mul_f32 v137, v7, v4
	s_delay_alu instid0(VALU_DEP_2) | instskip(NEXT) | instid1(VALU_DEP_2)
	v_fmac_f32_e32 v135, v6, v1
	v_fma_f32 v136, v5, v1, -v2
	v_mul_f32_e32 v1, v8, v4
	s_delay_alu instid0(VALU_DEP_4) | instskip(NEXT) | instid1(VALU_DEP_2)
	v_fmac_f32_e32 v137, v8, v3
	v_fma_f32 v138, v7, v3, -v1
	ds_load_2addr_b64 v[1:4], v21 offset0:71 offset1:72
	ds_load_2addr_b64 v[5:8], v21 offset0:73 offset1:74
	s_wait_loadcnt_dscnt 0x1
	v_mul_f32_e32 v139, v1, v10
	v_mul_f32_e32 v141, v3, v12
	s_delay_alu instid0(VALU_DEP_2) | instskip(NEXT) | instid1(VALU_DEP_2)
	v_fmac_f32_e32 v139, v2, v9
	v_dual_mul_f32 v2, v2, v10 :: v_dual_fmac_f32 v141, v4, v11
	s_delay_alu instid0(VALU_DEP_1) | instskip(SKIP_1) | instid1(VALU_DEP_1)
	v_fma_f32 v140, v1, v9, -v2
	v_mul_f32_e32 v1, v4, v12
	v_fma_f32 v142, v3, v11, -v1
	s_clause 0x1
	scratch_load_b128 v[1:4], off, off offset:216
	scratch_load_b128 v[9:12], off, off offset:232
	s_wait_loadcnt_dscnt 0x100
	v_mul_f32_e32 v143, v5, v2
	v_dual_mul_f32 v2, v6, v2 :: v_dual_mul_f32 v145, v7, v4
	s_delay_alu instid0(VALU_DEP_2) | instskip(NEXT) | instid1(VALU_DEP_2)
	v_fmac_f32_e32 v143, v6, v1
	v_fma_f32 v144, v5, v1, -v2
	v_mul_f32_e32 v1, v8, v4
	s_delay_alu instid0(VALU_DEP_4) | instskip(NEXT) | instid1(VALU_DEP_2)
	v_fmac_f32_e32 v145, v8, v3
	v_fma_f32 v146, v7, v3, -v1
	ds_load_2addr_b64 v[1:4], v21 offset0:75 offset1:76
	ds_load_2addr_b64 v[5:8], v21 offset0:77 offset1:78
	s_wait_loadcnt_dscnt 0x1
	v_mul_f32_e32 v147, v1, v10
	v_mul_f32_e32 v149, v3, v12
	s_delay_alu instid0(VALU_DEP_2) | instskip(NEXT) | instid1(VALU_DEP_2)
	v_fmac_f32_e32 v147, v2, v9
	v_dual_mul_f32 v2, v2, v10 :: v_dual_fmac_f32 v149, v4, v11
	s_delay_alu instid0(VALU_DEP_1) | instskip(SKIP_1) | instid1(VALU_DEP_1)
	v_fma_f32 v148, v1, v9, -v2
	v_mul_f32_e32 v1, v4, v12
	;; [unrolled: 25-line block ×3, first 2 shown]
	v_fma_f32 v158, v3, v11, -v1
	s_clause 0x1
	scratch_load_b128 v[1:4], off, off offset:280
	scratch_load_b128 v[9:12], off, off offset:296
	s_wait_loadcnt_dscnt 0x100
	v_mul_f32_e32 v159, v5, v2
	v_mul_f32_e32 v2, v6, v2
	s_delay_alu instid0(VALU_DEP_1) | instskip(SKIP_1) | instid1(VALU_DEP_1)
	v_fma_f32 v160, v5, v1, -v2
	v_add_f32_e32 v2, 0, v128
	v_add_f32_e32 v2, v2, v129
	s_delay_alu instid0(VALU_DEP_1) | instskip(NEXT) | instid1(VALU_DEP_1)
	v_add_f32_e32 v2, v2, v115
	v_add_f32_e32 v2, v2, v116
	s_delay_alu instid0(VALU_DEP_1) | instskip(NEXT) | instid1(VALU_DEP_1)
	v_add_f32_e32 v2, v2, v117
	v_add_f32_e32 v2, v2, v130
	s_delay_alu instid0(VALU_DEP_1) | instskip(NEXT) | instid1(VALU_DEP_1)
	v_add_f32_e32 v2, v2, v122
	v_add_f32_e32 v2, v2, v123
	s_delay_alu instid0(VALU_DEP_1) | instskip(SKIP_1) | instid1(VALU_DEP_2)
	v_add_f32_e32 v2, v2, v15
	v_fmac_f32_e32 v159, v6, v1
	v_dual_mul_f32 v161, v7, v4 :: v_dual_add_f32 v2, v2, v18
	s_delay_alu instid0(VALU_DEP_1) | instskip(NEXT) | instid1(VALU_DEP_1)
	v_dual_mul_f32 v1, v8, v4 :: v_dual_add_f32 v2, v2, v19
	v_fma_f32 v162, v7, v3, -v1
	v_add_f32_e32 v1, 0, v22
	s_delay_alu instid0(VALU_DEP_3) | instskip(NEXT) | instid1(VALU_DEP_2)
	v_dual_fmac_f32 v161, v8, v3 :: v_dual_add_f32 v2, v2, v20
	v_add_f32_e32 v1, v1, v114
	s_delay_alu instid0(VALU_DEP_2) | instskip(NEXT) | instid1(VALU_DEP_2)
	v_add_f32_e32 v5, v2, v131
	v_add_f32_e32 v1, v1, v118
	s_delay_alu instid0(VALU_DEP_2) | instskip(NEXT) | instid1(VALU_DEP_2)
	v_add_f32_e32 v5, v5, v132
	;; [unrolled: 3-line block ×3, first 2 shown]
	v_add_f32_e32 v1, v1, v120
	s_delay_alu instid0(VALU_DEP_1) | instskip(NEXT) | instid1(VALU_DEP_1)
	v_add_f32_e32 v1, v1, v121
	v_add_f32_e32 v1, v1, v13
	s_delay_alu instid0(VALU_DEP_1) | instskip(SKIP_1) | instid1(VALU_DEP_1)
	v_add_f32_e32 v1, v1, v14
	v_add_f32_e32 v14, v5, v137
	v_add_f32_e32 v14, v14, v139
	s_delay_alu instid0(VALU_DEP_1) | instskip(NEXT) | instid1(VALU_DEP_1)
	v_dual_add_f32 v14, v14, v141 :: v_dual_add_f32 v1, v1, v16
	v_add_f32_e32 v1, v1, v17
	s_delay_alu instid0(VALU_DEP_1) | instskip(NEXT) | instid1(VALU_DEP_1)
	v_add_f32_e32 v1, v1, v124
	v_add_f32_e32 v1, v1, v125
	s_delay_alu instid0(VALU_DEP_1) | instskip(NEXT) | instid1(VALU_DEP_1)
	v_add_f32_e32 v1, v1, v133
	v_add_f32_e32 v6, v1, v134
	ds_load_2addr_b64 v[1:4], v21 offset0:83 offset1:84
	v_add_f32_e32 v6, v6, v136
	s_delay_alu instid0(VALU_DEP_1)
	v_add_f32_e32 v13, v6, v138
	ds_load_2addr_b64 v[5:8], v21 offset0:85 offset1:86
	s_wait_loadcnt_dscnt 0x1
	v_mul_f32_e32 v22, v1, v10
	v_mul_f32_e32 v118, v3, v12
	;; [unrolled: 1-line block ×4, first 2 shown]
	s_delay_alu instid0(VALU_DEP_4) | instskip(NEXT) | instid1(VALU_DEP_4)
	v_fmac_f32_e32 v22, v2, v9
	v_fmac_f32_e32 v118, v4, v11
	s_delay_alu instid0(VALU_DEP_4) | instskip(NEXT) | instid1(VALU_DEP_4)
	v_fma_f32 v119, v1, v9, -v10
	v_fma_f32 v120, v3, v11, -v12
	s_clause 0x1
	scratch_load_b128 v[1:4], off, off offset:312
	scratch_load_b128 v[9:12], off, off offset:328
	v_add_f32_e32 v13, v13, v140
	v_add_f32_e32 v17, v14, v143
	s_delay_alu instid0(VALU_DEP_1) | instskip(SKIP_3) | instid1(VALU_DEP_2)
	v_add_f32_e32 v17, v17, v145
	s_wait_loadcnt_dscnt 0x100
	v_mul_f32_e32 v123, v7, v4
	v_mul_f32_e32 v4, v8, v4
	v_fmac_f32_e32 v123, v8, v3
	v_add_f32_e32 v13, v13, v142
	s_delay_alu instid0(VALU_DEP_3) | instskip(NEXT) | instid1(VALU_DEP_2)
	v_fma_f32 v3, v7, v3, -v4
	v_add_f32_e32 v13, v13, v144
	s_delay_alu instid0(VALU_DEP_1) | instskip(SKIP_2) | instid1(VALU_DEP_1)
	v_add_f32_e32 v18, v13, v146
	scratch_load_b128 v[13:16], off, off offset:344
	v_dual_add_f32 v17, v17, v147 :: v_dual_add_f32 v18, v18, v148
	v_dual_add_f32 v17, v17, v149 :: v_dual_add_f32 v18, v18, v150
	s_delay_alu instid0(VALU_DEP_1)
	v_dual_add_f32 v115, v17, v151 :: v_dual_add_f32 v114, v18, v152
	ds_load_2addr_b64 v[17:20], v21 offset0:87 offset1:88
	v_dual_add_f32 v122, v115, v153 :: v_dual_add_f32 v121, v114, v154
	ds_load_2addr_b64 v[114:117], v21 offset0:89 offset1:90
	v_add_f32_e32 v21, v121, v156
	v_dual_add_f32 v121, v122, v155 :: v_dual_mul_f32 v122, v5, v2
	v_mul_f32_e32 v2, v6, v2
	s_delay_alu instid0(VALU_DEP_2) | instskip(NEXT) | instid1(VALU_DEP_2)
	v_dual_add_f32 v21, v21, v158 :: v_dual_fmac_f32 v122, v6, v1
	v_fma_f32 v2, v5, v1, -v2
	s_delay_alu instid0(VALU_DEP_2) | instskip(SKIP_3) | instid1(VALU_DEP_3)
	v_add_f32_e32 v21, v21, v160
	s_wait_loadcnt_dscnt 0x101
	v_mul_f32_e32 v124, v17, v10
	v_dual_add_f32 v121, v121, v157 :: v_dual_mul_f32 v6, v18, v10
	v_dual_mul_f32 v4, v20, v12 :: v_dual_add_f32 v21, v21, v162
	s_delay_alu instid0(VALU_DEP_2) | instskip(NEXT) | instid1(VALU_DEP_2)
	v_dual_fmac_f32 v124, v18, v9 :: v_dual_add_f32 v121, v121, v159
	v_fma_f32 v4, v19, v11, -v4
	s_delay_alu instid0(VALU_DEP_3) | instskip(NEXT) | instid1(VALU_DEP_3)
	v_add_f32_e32 v21, v21, v119
	v_add_f32_e32 v121, v121, v161
	s_delay_alu instid0(VALU_DEP_2) | instskip(NEXT) | instid1(VALU_DEP_2)
	v_add_f32_e32 v1, v21, v120
	v_add_f32_e32 v22, v121, v22
	s_delay_alu instid0(VALU_DEP_2) | instskip(NEXT) | instid1(VALU_DEP_2)
	v_add_f32_e32 v1, v1, v2
	v_add_f32_e32 v5, v22, v118
	v_mul_f32_e32 v125, v19, v12
	s_delay_alu instid0(VALU_DEP_3) | instskip(NEXT) | instid1(VALU_DEP_3)
	v_add_f32_e32 v1, v1, v3
	v_add_f32_e32 v2, v5, v122
	v_fma_f32 v5, v17, v9, -v6
	s_delay_alu instid0(VALU_DEP_4) | instskip(NEXT) | instid1(VALU_DEP_2)
	v_fmac_f32_e32 v125, v20, v11
	v_dual_add_f32 v2, v2, v123 :: v_dual_add_f32 v1, v1, v5
	s_delay_alu instid0(VALU_DEP_1) | instskip(NEXT) | instid1(VALU_DEP_1)
	v_add_f32_e32 v2, v2, v124
	v_dual_add_f32 v1, v1, v4 :: v_dual_add_f32 v2, v2, v125
	s_wait_loadcnt_dscnt 0x0
	v_mul_f32_e32 v128, v114, v14
	v_mul_f32_e32 v3, v115, v14
	;; [unrolled: 1-line block ×3, first 2 shown]
	s_delay_alu instid0(VALU_DEP_3) | instskip(NEXT) | instid1(VALU_DEP_3)
	v_dual_mul_f32 v5, v117, v16 :: v_dual_fmac_f32 v128, v115, v13
	v_fma_f32 v3, v114, v13, -v3
	s_delay_alu instid0(VALU_DEP_3) | instskip(NEXT) | instid1(VALU_DEP_3)
	v_fmac_f32_e32 v119, v117, v15
	v_fma_f32 v4, v116, v15, -v5
	s_delay_alu instid0(VALU_DEP_3) | instskip(NEXT) | instid1(VALU_DEP_1)
	v_dual_add_f32 v2, v2, v128 :: v_dual_add_f32 v1, v1, v3
	v_dual_add_f32 v2, v2, v119 :: v_dual_add_f32 v1, v1, v4
	s_delay_alu instid0(VALU_DEP_1)
	v_dual_sub_f32 v2, v127, v2 :: v_dual_sub_f32 v1, v126, v1
	scratch_store_b64 off, v[1:2], off offset:64
	v_cmpx_lt_u32_e32 7, v0
	s_cbranch_execz .LBB108_269
; %bb.268:
	scratch_load_b64 v[1:2], off, off offset:56
	v_mov_b32_e32 v3, 0
	s_delay_alu instid0(VALU_DEP_1)
	v_mov_b32_e32 v4, v3
	scratch_store_b64 off, v[3:4], off offset:56
	s_wait_loadcnt 0x0
	ds_store_b64 v23, v[1:2]
.LBB108_269:
	s_wait_alu 0xfffe
	s_or_b32 exec_lo, exec_lo, s0
	s_wait_storecnt_dscnt 0x0
	s_barrier_signal -1
	s_barrier_wait -1
	global_inv scope:SCOPE_SE
	s_clause 0x4
	scratch_load_b128 v[5:8], off, off offset:64
	scratch_load_b128 v[1:4], off, off offset:80
	;; [unrolled: 1-line block ×5, first 2 shown]
	v_mov_b32_e32 v21, 0
	ds_load_b128 v[114:117], v21 offset:432
	ds_load_b128 v[118:121], v21 offset:448
	;; [unrolled: 1-line block ×3, first 2 shown]
	scratch_load_b64 v[126:127], off, off offset:56
	s_mov_b32 s0, exec_lo
	s_wait_loadcnt_dscnt 0x502
	v_mul_f32_e32 v22, v115, v6
	v_dual_mul_f32 v128, v114, v6 :: v_dual_mul_f32 v129, v116, v8
	v_mul_f32_e32 v6, v117, v8
	s_delay_alu instid0(VALU_DEP_3) | instskip(NEXT) | instid1(VALU_DEP_3)
	v_fma_f32 v22, v114, v5, -v22
	v_dual_fmac_f32 v128, v115, v5 :: v_dual_fmac_f32 v129, v117, v7
	s_wait_loadcnt_dscnt 0x401
	v_mul_f32_e32 v115, v118, v2
	v_fma_f32 v114, v116, v7, -v6
	ds_load_b128 v[5:8], v21 offset:480
	s_wait_loadcnt_dscnt 0x301
	v_dual_mul_f32 v116, v120, v4 :: v_dual_mul_f32 v117, v122, v10
	v_dual_mul_f32 v4, v121, v4 :: v_dual_fmac_f32 v115, v119, v1
	v_mul_f32_e32 v10, v123, v10
	s_delay_alu instid0(VALU_DEP_3)
	v_dual_mul_f32 v130, v124, v12 :: v_dual_fmac_f32 v117, v123, v9
	v_mul_f32_e32 v12, v125, v12
	v_mul_f32_e32 v2, v119, v2
	v_fmac_f32_e32 v116, v121, v3
	v_fma_f32 v119, v120, v3, -v4
	v_fma_f32 v120, v122, v9, -v10
	v_fmac_f32_e32 v130, v125, v11
	v_fma_f32 v121, v124, v11, -v12
	ds_load_b128 v[9:12], v21 offset:496
	s_wait_loadcnt_dscnt 0x201
	v_dual_mul_f32 v123, v7, v16 :: v_dual_mul_f32 v122, v5, v14
	v_mul_f32_e32 v14, v6, v14
	v_mul_f32_e32 v16, v8, v16
	s_delay_alu instid0(VALU_DEP_3)
	v_fmac_f32_e32 v123, v8, v15
	v_fma_f32 v118, v118, v1, -v2
	scratch_load_b128 v[1:4], off, off offset:144
	v_fmac_f32_e32 v122, v6, v13
	v_fma_f32 v13, v5, v13, -v14
	v_fma_f32 v14, v7, v15, -v16
	ds_load_b128 v[5:8], v21 offset:512
	s_wait_loadcnt_dscnt 0x201
	v_mul_f32_e32 v15, v9, v18
	v_mul_f32_e32 v16, v10, v18
	;; [unrolled: 1-line block ×3, first 2 shown]
	s_delay_alu instid0(VALU_DEP_3) | instskip(NEXT) | instid1(VALU_DEP_3)
	v_dual_mul_f32 v20, v12, v20 :: v_dual_fmac_f32 v15, v10, v17
	v_fma_f32 v16, v9, v17, -v16
	s_delay_alu instid0(VALU_DEP_3) | instskip(NEXT) | instid1(VALU_DEP_3)
	v_fmac_f32_e32 v18, v12, v19
	v_fma_f32 v17, v11, v19, -v20
	scratch_load_b128 v[9:12], off, off offset:160
	s_wait_loadcnt_dscnt 0x100
	v_mul_f32_e32 v19, v5, v2
	v_mul_f32_e32 v2, v6, v2
	;; [unrolled: 1-line block ×3, first 2 shown]
	s_delay_alu instid0(VALU_DEP_3) | instskip(NEXT) | instid1(VALU_DEP_3)
	v_dual_mul_f32 v4, v8, v4 :: v_dual_fmac_f32 v19, v6, v1
	v_fma_f32 v124, v5, v1, -v2
	s_delay_alu instid0(VALU_DEP_3) | instskip(NEXT) | instid1(VALU_DEP_3)
	v_fmac_f32_e32 v20, v8, v3
	v_fma_f32 v125, v7, v3, -v4
	ds_load_b128 v[1:4], v21 offset:528
	ds_load_b128 v[5:8], v21 offset:544
	s_wait_loadcnt_dscnt 0x1
	v_mul_f32_e32 v131, v1, v10
	v_mul_f32_e32 v10, v2, v10
	s_delay_alu instid0(VALU_DEP_2) | instskip(NEXT) | instid1(VALU_DEP_2)
	v_dual_mul_f32 v132, v3, v12 :: v_dual_fmac_f32 v131, v2, v9
	v_fma_f32 v133, v1, v9, -v10
	v_mul_f32_e32 v1, v4, v12
	s_delay_alu instid0(VALU_DEP_3) | instskip(NEXT) | instid1(VALU_DEP_2)
	v_fmac_f32_e32 v132, v4, v11
	v_fma_f32 v134, v3, v11, -v1
	s_clause 0x1
	scratch_load_b128 v[1:4], off, off offset:176
	scratch_load_b128 v[9:12], off, off offset:192
	s_wait_loadcnt_dscnt 0x100
	v_mul_f32_e32 v135, v5, v2
	v_dual_mul_f32 v2, v6, v2 :: v_dual_mul_f32 v137, v7, v4
	s_delay_alu instid0(VALU_DEP_2) | instskip(NEXT) | instid1(VALU_DEP_2)
	v_fmac_f32_e32 v135, v6, v1
	v_fma_f32 v136, v5, v1, -v2
	v_mul_f32_e32 v1, v8, v4
	s_delay_alu instid0(VALU_DEP_4) | instskip(NEXT) | instid1(VALU_DEP_2)
	v_fmac_f32_e32 v137, v8, v3
	v_fma_f32 v138, v7, v3, -v1
	ds_load_b128 v[1:4], v21 offset:560
	ds_load_b128 v[5:8], v21 offset:576
	s_wait_loadcnt_dscnt 0x1
	v_mul_f32_e32 v139, v1, v10
	v_mul_f32_e32 v141, v3, v12
	s_delay_alu instid0(VALU_DEP_2) | instskip(NEXT) | instid1(VALU_DEP_2)
	v_fmac_f32_e32 v139, v2, v9
	v_dual_mul_f32 v2, v2, v10 :: v_dual_fmac_f32 v141, v4, v11
	s_delay_alu instid0(VALU_DEP_1) | instskip(SKIP_1) | instid1(VALU_DEP_1)
	v_fma_f32 v140, v1, v9, -v2
	v_mul_f32_e32 v1, v4, v12
	v_fma_f32 v142, v3, v11, -v1
	s_clause 0x1
	scratch_load_b128 v[1:4], off, off offset:208
	scratch_load_b128 v[9:12], off, off offset:224
	s_wait_loadcnt_dscnt 0x100
	v_mul_f32_e32 v143, v5, v2
	v_dual_mul_f32 v145, v7, v4 :: v_dual_mul_f32 v2, v6, v2
	s_delay_alu instid0(VALU_DEP_2) | instskip(NEXT) | instid1(VALU_DEP_2)
	v_fmac_f32_e32 v143, v6, v1
	v_fmac_f32_e32 v145, v8, v3
	s_delay_alu instid0(VALU_DEP_3) | instskip(SKIP_1) | instid1(VALU_DEP_1)
	v_fma_f32 v144, v5, v1, -v2
	v_mul_f32_e32 v1, v8, v4
	v_fma_f32 v146, v7, v3, -v1
	ds_load_b128 v[1:4], v21 offset:592
	ds_load_b128 v[5:8], v21 offset:608
	s_wait_loadcnt_dscnt 0x1
	v_mul_f32_e32 v147, v1, v10
	v_mul_f32_e32 v149, v3, v12
	s_delay_alu instid0(VALU_DEP_2) | instskip(NEXT) | instid1(VALU_DEP_2)
	v_fmac_f32_e32 v147, v2, v9
	v_dual_mul_f32 v2, v2, v10 :: v_dual_fmac_f32 v149, v4, v11
	s_delay_alu instid0(VALU_DEP_1) | instskip(SKIP_1) | instid1(VALU_DEP_1)
	v_fma_f32 v148, v1, v9, -v2
	v_mul_f32_e32 v1, v4, v12
	v_fma_f32 v150, v3, v11, -v1
	s_clause 0x1
	scratch_load_b128 v[1:4], off, off offset:240
	scratch_load_b128 v[9:12], off, off offset:256
	s_wait_loadcnt_dscnt 0x100
	v_mul_f32_e32 v151, v5, v2
	v_dual_mul_f32 v2, v6, v2 :: v_dual_mul_f32 v153, v7, v4
	s_delay_alu instid0(VALU_DEP_2) | instskip(NEXT) | instid1(VALU_DEP_2)
	v_fmac_f32_e32 v151, v6, v1
	v_fma_f32 v152, v5, v1, -v2
	v_mul_f32_e32 v1, v8, v4
	s_delay_alu instid0(VALU_DEP_4) | instskip(NEXT) | instid1(VALU_DEP_2)
	v_fmac_f32_e32 v153, v8, v3
	v_fma_f32 v154, v7, v3, -v1
	ds_load_b128 v[1:4], v21 offset:624
	ds_load_b128 v[5:8], v21 offset:640
	s_wait_loadcnt_dscnt 0x1
	v_mul_f32_e32 v155, v1, v10
	v_mul_f32_e32 v157, v3, v12
	s_delay_alu instid0(VALU_DEP_2) | instskip(NEXT) | instid1(VALU_DEP_2)
	v_fmac_f32_e32 v155, v2, v9
	v_dual_mul_f32 v2, v2, v10 :: v_dual_fmac_f32 v157, v4, v11
	s_delay_alu instid0(VALU_DEP_1) | instskip(SKIP_1) | instid1(VALU_DEP_1)
	v_fma_f32 v156, v1, v9, -v2
	v_mul_f32_e32 v1, v4, v12
	v_fma_f32 v158, v3, v11, -v1
	s_clause 0x1
	scratch_load_b128 v[1:4], off, off offset:272
	scratch_load_b128 v[9:12], off, off offset:288
	s_wait_loadcnt_dscnt 0x100
	v_mul_f32_e32 v159, v5, v2
	v_mul_f32_e32 v2, v6, v2
	s_delay_alu instid0(VALU_DEP_1) | instskip(SKIP_1) | instid1(VALU_DEP_1)
	v_fma_f32 v160, v5, v1, -v2
	v_add_f32_e32 v2, 0, v128
	v_add_f32_e32 v2, v2, v129
	s_delay_alu instid0(VALU_DEP_1) | instskip(NEXT) | instid1(VALU_DEP_1)
	v_add_f32_e32 v2, v2, v115
	v_add_f32_e32 v2, v2, v116
	s_delay_alu instid0(VALU_DEP_1) | instskip(NEXT) | instid1(VALU_DEP_1)
	;; [unrolled: 3-line block ×4, first 2 shown]
	v_dual_add_f32 v2, v2, v15 :: v_dual_mul_f32 v161, v7, v4
	v_add_f32_e32 v2, v2, v18
	s_delay_alu instid0(VALU_DEP_1) | instskip(NEXT) | instid1(VALU_DEP_3)
	v_add_f32_e32 v2, v2, v19
	v_fmac_f32_e32 v161, v8, v3
	v_fmac_f32_e32 v159, v6, v1
	s_delay_alu instid0(VALU_DEP_3) | instskip(NEXT) | instid1(VALU_DEP_1)
	v_add_f32_e32 v2, v2, v20
	v_add_f32_e32 v5, v2, v131
	s_delay_alu instid0(VALU_DEP_1) | instskip(NEXT) | instid1(VALU_DEP_1)
	v_add_f32_e32 v5, v5, v132
	v_add_f32_e32 v5, v5, v135
	v_mul_f32_e32 v1, v8, v4
	s_delay_alu instid0(VALU_DEP_1) | instskip(SKIP_1) | instid1(VALU_DEP_1)
	v_fma_f32 v162, v7, v3, -v1
	v_add_f32_e32 v1, 0, v22
	v_add_f32_e32 v1, v1, v114
	s_delay_alu instid0(VALU_DEP_1) | instskip(NEXT) | instid1(VALU_DEP_1)
	v_add_f32_e32 v1, v1, v118
	v_add_f32_e32 v1, v1, v119
	scratch_load_b64 v[118:119], off, off offset:352
	v_add_f32_e32 v1, v1, v120
	s_delay_alu instid0(VALU_DEP_1) | instskip(NEXT) | instid1(VALU_DEP_1)
	v_add_f32_e32 v1, v1, v121
	v_add_f32_e32 v1, v1, v13
	s_delay_alu instid0(VALU_DEP_1) | instskip(SKIP_1) | instid1(VALU_DEP_1)
	v_add_f32_e32 v1, v1, v14
	v_add_f32_e32 v14, v5, v137
	;; [unrolled: 1-line block ×3, first 2 shown]
	s_delay_alu instid0(VALU_DEP_1) | instskip(NEXT) | instid1(VALU_DEP_1)
	v_dual_add_f32 v14, v14, v141 :: v_dual_add_f32 v1, v1, v16
	v_add_f32_e32 v1, v1, v17
	s_delay_alu instid0(VALU_DEP_2) | instskip(NEXT) | instid1(VALU_DEP_2)
	v_add_f32_e32 v17, v14, v143
	v_add_f32_e32 v1, v1, v124
	s_delay_alu instid0(VALU_DEP_1) | instskip(NEXT) | instid1(VALU_DEP_1)
	v_add_f32_e32 v1, v1, v125
	v_add_f32_e32 v1, v1, v133
	s_delay_alu instid0(VALU_DEP_1) | instskip(SKIP_2) | instid1(VALU_DEP_1)
	v_add_f32_e32 v6, v1, v134
	ds_load_b128 v[1:4], v21 offset:656
	v_add_f32_e32 v6, v6, v136
	v_add_f32_e32 v13, v6, v138
	ds_load_b128 v[5:8], v21 offset:672
	s_wait_loadcnt_dscnt 0x101
	v_mul_f32_e32 v22, v1, v10
	v_mul_f32_e32 v10, v2, v10
	;; [unrolled: 1-line block ×4, first 2 shown]
	s_delay_alu instid0(VALU_DEP_4) | instskip(NEXT) | instid1(VALU_DEP_4)
	v_fmac_f32_e32 v22, v2, v9
	v_fma_f32 v123, v1, v9, -v10
	s_delay_alu instid0(VALU_DEP_4) | instskip(NEXT) | instid1(VALU_DEP_4)
	v_fmac_f32_e32 v122, v4, v11
	v_fma_f32 v124, v3, v11, -v12
	s_clause 0x1
	scratch_load_b128 v[1:4], off, off offset:304
	scratch_load_b128 v[9:12], off, off offset:320
	v_add_f32_e32 v17, v17, v145
	s_delay_alu instid0(VALU_DEP_1) | instskip(SKIP_1) | instid1(VALU_DEP_1)
	v_add_f32_e32 v17, v17, v147
	s_wait_loadcnt_dscnt 0x100
	v_dual_add_f32 v17, v17, v149 :: v_dual_mul_f32 v130, v7, v4
	v_mul_f32_e32 v129, v5, v2
	v_mul_f32_e32 v2, v6, v2
	v_mul_f32_e32 v4, v8, v4
	s_delay_alu instid0(VALU_DEP_3) | instskip(NEXT) | instid1(VALU_DEP_3)
	v_dual_fmac_f32 v130, v8, v3 :: v_dual_fmac_f32 v129, v6, v1
	v_fma_f32 v2, v5, v1, -v2
	v_add_f32_e32 v17, v17, v151
	s_delay_alu instid0(VALU_DEP_4) | instskip(NEXT) | instid1(VALU_DEP_2)
	v_fma_f32 v1, v7, v3, -v4
	v_add_f32_e32 v114, v17, v153
	s_delay_alu instid0(VALU_DEP_1) | instskip(SKIP_2) | instid1(VALU_DEP_1)
	v_add_f32_e32 v121, v114, v155
	ds_load_b128 v[114:117], v21 offset:704
	v_add_f32_e32 v128, v121, v157
	v_add_f32_e32 v128, v128, v159
	s_delay_alu instid0(VALU_DEP_1) | instskip(NEXT) | instid1(VALU_DEP_1)
	v_dual_add_f32 v128, v128, v161 :: v_dual_add_f32 v13, v13, v140
	v_add_f32_e32 v22, v128, v22
	s_delay_alu instid0(VALU_DEP_2) | instskip(NEXT) | instid1(VALU_DEP_1)
	v_add_f32_e32 v13, v13, v142
	v_dual_add_f32 v22, v22, v122 :: v_dual_add_f32 v13, v13, v144
	s_delay_alu instid0(VALU_DEP_1) | instskip(SKIP_2) | instid1(VALU_DEP_1)
	v_add_f32_e32 v18, v13, v146
	scratch_load_b128 v[13:16], off, off offset:336
	v_add_f32_e32 v18, v18, v148
	v_add_f32_e32 v18, v18, v150
	s_delay_alu instid0(VALU_DEP_1) | instskip(NEXT) | instid1(VALU_DEP_1)
	v_add_f32_e32 v18, v18, v152
	v_add_f32_e32 v18, v18, v154
	s_delay_alu instid0(VALU_DEP_1)
	v_add_f32_e32 v120, v18, v156
	ds_load_b128 v[17:20], v21 offset:688
	v_add_f32_e32 v125, v120, v158
	ds_load_b64 v[120:121], v21 offset:720
	s_wait_loadcnt_dscnt 0x101
	v_dual_mul_f32 v128, v19, v12 :: v_dual_mul_f32 v3, v18, v10
	s_wait_dscnt 0x0
	v_mul_f32_e32 v122, v120, v119
	s_delay_alu instid0(VALU_DEP_2) | instskip(NEXT) | instid1(VALU_DEP_3)
	v_fma_f32 v3, v17, v9, -v3
	v_fmac_f32_e32 v128, v20, v11
	s_delay_alu instid0(VALU_DEP_3) | instskip(SKIP_1) | instid1(VALU_DEP_1)
	v_fmac_f32_e32 v122, v121, v118
	v_dual_add_f32 v4, v22, v129 :: v_dual_add_f32 v125, v125, v160
	v_add_f32_e32 v125, v125, v162
	s_delay_alu instid0(VALU_DEP_1) | instskip(SKIP_1) | instid1(VALU_DEP_2)
	v_add_f32_e32 v123, v125, v123
	v_mul_f32_e32 v125, v17, v10
	v_add_f32_e32 v123, v123, v124
	s_delay_alu instid0(VALU_DEP_1) | instskip(NEXT) | instid1(VALU_DEP_1)
	v_dual_fmac_f32 v125, v18, v9 :: v_dual_add_f32 v2, v123, v2
	v_dual_add_f32 v1, v2, v1 :: v_dual_add_f32 v2, v4, v130
	s_delay_alu instid0(VALU_DEP_1) | instskip(NEXT) | instid1(VALU_DEP_1)
	v_add_f32_e32 v2, v2, v125
	v_add_f32_e32 v2, v2, v128
	s_wait_loadcnt 0x0
	v_dual_mul_f32 v124, v116, v16 :: v_dual_mul_f32 v131, v114, v14
	v_mul_f32_e32 v4, v115, v14
	s_delay_alu instid0(VALU_DEP_2) | instskip(NEXT) | instid1(VALU_DEP_2)
	v_dual_fmac_f32 v124, v117, v15 :: v_dual_fmac_f32 v131, v115, v13
	v_fma_f32 v4, v114, v13, -v4
	s_delay_alu instid0(VALU_DEP_2) | instskip(SKIP_2) | instid1(VALU_DEP_3)
	v_add_f32_e32 v2, v2, v131
	v_add_f32_e32 v1, v1, v3
	v_mul_f32_e32 v3, v117, v16
	v_add_f32_e32 v2, v2, v124
	v_mul_f32_e32 v5, v20, v12
	s_delay_alu instid0(VALU_DEP_3) | instskip(NEXT) | instid1(VALU_DEP_3)
	v_fma_f32 v3, v116, v15, -v3
	v_add_f32_e32 v2, v2, v122
	s_delay_alu instid0(VALU_DEP_3) | instskip(NEXT) | instid1(VALU_DEP_1)
	v_fma_f32 v5, v19, v11, -v5
	v_dual_sub_f32 v2, v127, v2 :: v_dual_add_f32 v1, v1, v5
	v_mul_f32_e32 v5, v121, v119
	s_delay_alu instid0(VALU_DEP_2) | instskip(NEXT) | instid1(VALU_DEP_2)
	v_add_f32_e32 v1, v1, v4
	v_fma_f32 v4, v120, v118, -v5
	s_delay_alu instid0(VALU_DEP_2) | instskip(NEXT) | instid1(VALU_DEP_1)
	v_add_f32_e32 v1, v1, v3
	v_add_f32_e32 v1, v1, v4
	s_delay_alu instid0(VALU_DEP_1)
	v_sub_f32_e32 v1, v126, v1
	scratch_store_b64 off, v[1:2], off offset:56
	v_cmpx_lt_u32_e32 6, v0
	s_cbranch_execz .LBB108_271
; %bb.270:
	scratch_load_b64 v[1:2], off, off offset:48
	v_mov_b32_e32 v22, v21
	scratch_store_b64 off, v[21:22], off offset:48
	s_wait_loadcnt 0x0
	ds_store_b64 v23, v[1:2]
.LBB108_271:
	s_wait_alu 0xfffe
	s_or_b32 exec_lo, exec_lo, s0
	s_wait_storecnt_dscnt 0x0
	s_barrier_signal -1
	s_barrier_wait -1
	global_inv scope:SCOPE_SE
	s_clause 0x4
	scratch_load_b128 v[5:8], off, off offset:56
	scratch_load_b128 v[1:4], off, off offset:72
	;; [unrolled: 1-line block ×5, first 2 shown]
	ds_load_2addr_b64 v[114:117], v21 offset0:53 offset1:54
	ds_load_2addr_b64 v[118:121], v21 offset0:55 offset1:56
	;; [unrolled: 1-line block ×3, first 2 shown]
	scratch_load_b64 v[126:127], off, off offset:48
	s_mov_b32 s0, exec_lo
	s_wait_loadcnt_dscnt 0x502
	v_dual_mul_f32 v22, v115, v6 :: v_dual_mul_f32 v129, v116, v8
	v_mul_f32_e32 v128, v114, v6
	v_mul_f32_e32 v6, v117, v8
	s_wait_loadcnt_dscnt 0x300
	v_mul_f32_e32 v130, v124, v12
	v_fma_f32 v22, v114, v5, -v22
	v_dual_fmac_f32 v129, v117, v7 :: v_dual_fmac_f32 v128, v115, v5
	v_mul_f32_e32 v117, v122, v10
	v_mul_f32_e32 v115, v118, v2
	v_fma_f32 v114, v116, v7, -v6
	ds_load_2addr_b64 v[5:8], v21 offset0:59 offset1:60
	v_mul_f32_e32 v116, v120, v4
	v_dual_mul_f32 v4, v121, v4 :: v_dual_fmac_f32 v117, v123, v9
	v_mul_f32_e32 v10, v123, v10
	v_mul_f32_e32 v12, v125, v12
	;; [unrolled: 1-line block ×3, first 2 shown]
	v_dual_fmac_f32 v115, v119, v1 :: v_dual_fmac_f32 v116, v121, v3
	v_fma_f32 v119, v120, v3, -v4
	v_fma_f32 v120, v122, v9, -v10
	v_fmac_f32_e32 v130, v125, v11
	v_fma_f32 v121, v124, v11, -v12
	ds_load_2addr_b64 v[9:12], v21 offset0:61 offset1:62
	s_wait_loadcnt_dscnt 0x201
	v_dual_mul_f32 v123, v7, v16 :: v_dual_mul_f32 v122, v5, v14
	s_delay_alu instid0(VALU_DEP_1)
	v_dual_mul_f32 v14, v6, v14 :: v_dual_fmac_f32 v123, v8, v15
	v_fma_f32 v118, v118, v1, -v2
	scratch_load_b128 v[1:4], off, off offset:136
	v_mul_f32_e32 v16, v8, v16
	v_fmac_f32_e32 v122, v6, v13
	v_fma_f32 v13, v5, v13, -v14
	s_delay_alu instid0(VALU_DEP_3)
	v_fma_f32 v14, v7, v15, -v16
	s_wait_loadcnt_dscnt 0x200
	v_mul_f32_e32 v15, v9, v18
	v_mul_f32_e32 v16, v10, v18
	;; [unrolled: 1-line block ×4, first 2 shown]
	ds_load_2addr_b64 v[5:8], v21 offset0:63 offset1:64
	v_fmac_f32_e32 v15, v10, v17
	v_fma_f32 v16, v9, v17, -v16
	v_fmac_f32_e32 v18, v12, v19
	v_fma_f32 v17, v11, v19, -v20
	scratch_load_b128 v[9:12], off, off offset:152
	s_wait_loadcnt_dscnt 0x100
	v_mul_f32_e32 v19, v5, v2
	v_mul_f32_e32 v2, v6, v2
	v_mul_f32_e32 v20, v7, v4
	s_delay_alu instid0(VALU_DEP_3) | instskip(NEXT) | instid1(VALU_DEP_3)
	v_dual_mul_f32 v4, v8, v4 :: v_dual_fmac_f32 v19, v6, v1
	v_fma_f32 v124, v5, v1, -v2
	s_delay_alu instid0(VALU_DEP_3) | instskip(NEXT) | instid1(VALU_DEP_3)
	v_fmac_f32_e32 v20, v8, v3
	v_fma_f32 v125, v7, v3, -v4
	ds_load_2addr_b64 v[1:4], v21 offset0:65 offset1:66
	ds_load_2addr_b64 v[5:8], v21 offset0:67 offset1:68
	s_wait_loadcnt_dscnt 0x1
	v_mul_f32_e32 v131, v1, v10
	v_mul_f32_e32 v10, v2, v10
	s_delay_alu instid0(VALU_DEP_2) | instskip(NEXT) | instid1(VALU_DEP_2)
	v_dual_mul_f32 v132, v3, v12 :: v_dual_fmac_f32 v131, v2, v9
	v_fma_f32 v133, v1, v9, -v10
	v_mul_f32_e32 v1, v4, v12
	s_delay_alu instid0(VALU_DEP_3) | instskip(NEXT) | instid1(VALU_DEP_2)
	v_fmac_f32_e32 v132, v4, v11
	v_fma_f32 v134, v3, v11, -v1
	s_clause 0x1
	scratch_load_b128 v[1:4], off, off offset:168
	scratch_load_b128 v[9:12], off, off offset:184
	s_wait_loadcnt_dscnt 0x100
	v_mul_f32_e32 v135, v5, v2
	v_dual_mul_f32 v2, v6, v2 :: v_dual_mul_f32 v137, v7, v4
	s_delay_alu instid0(VALU_DEP_2) | instskip(NEXT) | instid1(VALU_DEP_2)
	v_fmac_f32_e32 v135, v6, v1
	v_fma_f32 v136, v5, v1, -v2
	v_mul_f32_e32 v1, v8, v4
	s_delay_alu instid0(VALU_DEP_4) | instskip(NEXT) | instid1(VALU_DEP_2)
	v_fmac_f32_e32 v137, v8, v3
	v_fma_f32 v138, v7, v3, -v1
	ds_load_2addr_b64 v[1:4], v21 offset0:69 offset1:70
	ds_load_2addr_b64 v[5:8], v21 offset0:71 offset1:72
	s_wait_loadcnt_dscnt 0x1
	v_mul_f32_e32 v139, v1, v10
	v_mul_f32_e32 v141, v3, v12
	s_delay_alu instid0(VALU_DEP_2) | instskip(NEXT) | instid1(VALU_DEP_2)
	v_fmac_f32_e32 v139, v2, v9
	v_dual_mul_f32 v2, v2, v10 :: v_dual_fmac_f32 v141, v4, v11
	s_delay_alu instid0(VALU_DEP_1) | instskip(SKIP_1) | instid1(VALU_DEP_1)
	v_fma_f32 v140, v1, v9, -v2
	v_mul_f32_e32 v1, v4, v12
	v_fma_f32 v142, v3, v11, -v1
	s_clause 0x1
	scratch_load_b128 v[1:4], off, off offset:200
	scratch_load_b128 v[9:12], off, off offset:216
	s_wait_loadcnt_dscnt 0x100
	v_mul_f32_e32 v143, v5, v2
	v_dual_mul_f32 v2, v6, v2 :: v_dual_mul_f32 v145, v7, v4
	s_delay_alu instid0(VALU_DEP_2) | instskip(NEXT) | instid1(VALU_DEP_2)
	v_fmac_f32_e32 v143, v6, v1
	v_fma_f32 v144, v5, v1, -v2
	v_mul_f32_e32 v1, v8, v4
	s_delay_alu instid0(VALU_DEP_4) | instskip(NEXT) | instid1(VALU_DEP_2)
	v_fmac_f32_e32 v145, v8, v3
	v_fma_f32 v146, v7, v3, -v1
	ds_load_2addr_b64 v[1:4], v21 offset0:73 offset1:74
	ds_load_2addr_b64 v[5:8], v21 offset0:75 offset1:76
	s_wait_loadcnt_dscnt 0x1
	v_mul_f32_e32 v147, v1, v10
	v_mul_f32_e32 v149, v3, v12
	s_delay_alu instid0(VALU_DEP_2) | instskip(NEXT) | instid1(VALU_DEP_2)
	v_fmac_f32_e32 v147, v2, v9
	v_dual_mul_f32 v2, v2, v10 :: v_dual_fmac_f32 v149, v4, v11
	s_delay_alu instid0(VALU_DEP_1) | instskip(SKIP_1) | instid1(VALU_DEP_1)
	v_fma_f32 v148, v1, v9, -v2
	v_mul_f32_e32 v1, v4, v12
	;; [unrolled: 25-line block ×3, first 2 shown]
	v_fma_f32 v158, v3, v11, -v1
	s_clause 0x1
	scratch_load_b128 v[1:4], off, off offset:264
	scratch_load_b128 v[9:12], off, off offset:280
	s_wait_loadcnt_dscnt 0x100
	v_mul_f32_e32 v159, v5, v2
	v_mul_f32_e32 v2, v6, v2
	s_delay_alu instid0(VALU_DEP_1) | instskip(SKIP_1) | instid1(VALU_DEP_1)
	v_fma_f32 v160, v5, v1, -v2
	v_add_f32_e32 v2, 0, v128
	v_add_f32_e32 v2, v2, v129
	s_delay_alu instid0(VALU_DEP_1) | instskip(NEXT) | instid1(VALU_DEP_1)
	v_add_f32_e32 v2, v2, v115
	v_add_f32_e32 v2, v2, v116
	s_delay_alu instid0(VALU_DEP_1) | instskip(NEXT) | instid1(VALU_DEP_1)
	v_add_f32_e32 v2, v2, v117
	v_add_f32_e32 v2, v2, v130
	s_delay_alu instid0(VALU_DEP_1) | instskip(NEXT) | instid1(VALU_DEP_1)
	v_add_f32_e32 v2, v2, v122
	v_add_f32_e32 v2, v2, v123
	s_delay_alu instid0(VALU_DEP_1) | instskip(SKIP_1) | instid1(VALU_DEP_2)
	v_dual_add_f32 v2, v2, v15 :: v_dual_mul_f32 v161, v7, v4
	v_fmac_f32_e32 v159, v6, v1
	v_dual_add_f32 v2, v2, v18 :: v_dual_mul_f32 v1, v8, v4
	s_delay_alu instid0(VALU_DEP_1) | instskip(NEXT) | instid1(VALU_DEP_4)
	v_add_f32_e32 v2, v2, v19
	v_fmac_f32_e32 v161, v8, v3
	s_delay_alu instid0(VALU_DEP_3) | instskip(NEXT) | instid1(VALU_DEP_3)
	v_fma_f32 v162, v7, v3, -v1
	v_dual_add_f32 v2, v2, v20 :: v_dual_add_f32 v1, 0, v22
	s_delay_alu instid0(VALU_DEP_1) | instskip(NEXT) | instid1(VALU_DEP_1)
	v_dual_add_f32 v2, v2, v131 :: v_dual_add_f32 v1, v1, v114
	v_add_f32_e32 v5, v2, v132
	s_delay_alu instid0(VALU_DEP_2) | instskip(NEXT) | instid1(VALU_DEP_1)
	v_add_f32_e32 v1, v1, v118
	v_add_f32_e32 v1, v1, v119
	s_delay_alu instid0(VALU_DEP_1) | instskip(NEXT) | instid1(VALU_DEP_1)
	v_add_f32_e32 v1, v1, v120
	v_add_f32_e32 v1, v1, v121
	s_delay_alu instid0(VALU_DEP_1) | instskip(SKIP_1) | instid1(VALU_DEP_2)
	v_add_f32_e32 v1, v1, v13
	v_add_f32_e32 v13, v5, v135
	;; [unrolled: 1-line block ×3, first 2 shown]
	s_delay_alu instid0(VALU_DEP_2) | instskip(NEXT) | instid1(VALU_DEP_1)
	v_add_f32_e32 v13, v13, v137
	v_add_f32_e32 v13, v13, v139
	s_delay_alu instid0(VALU_DEP_1) | instskip(NEXT) | instid1(VALU_DEP_1)
	v_add_f32_e32 v18, v13, v141
	v_dual_add_f32 v18, v18, v143 :: v_dual_add_f32 v1, v1, v16
	s_delay_alu instid0(VALU_DEP_1) | instskip(NEXT) | instid1(VALU_DEP_2)
	v_add_f32_e32 v18, v18, v145
	v_add_f32_e32 v1, v1, v17
	s_delay_alu instid0(VALU_DEP_1) | instskip(NEXT) | instid1(VALU_DEP_1)
	v_add_f32_e32 v1, v1, v124
	v_add_f32_e32 v1, v1, v125
	s_delay_alu instid0(VALU_DEP_1) | instskip(NEXT) | instid1(VALU_DEP_1)
	v_add_f32_e32 v1, v1, v133
	v_add_f32_e32 v1, v1, v134
	s_delay_alu instid0(VALU_DEP_1)
	v_add_f32_e32 v6, v1, v136
	ds_load_2addr_b64 v[1:4], v21 offset0:81 offset1:82
	v_add_f32_e32 v114, v18, v147
	v_add_f32_e32 v14, v6, v138
	scratch_load_b128 v[5:8], off, off offset:296
	v_add_f32_e32 v114, v114, v149
	v_add_f32_e32 v14, v14, v140
	s_delay_alu instid0(VALU_DEP_1)
	v_add_f32_e32 v17, v14, v142
	ds_load_2addr_b64 v[13:16], v21 offset0:83 offset1:84
	s_wait_loadcnt_dscnt 0x101
	v_mul_f32_e32 v22, v1, v10
	v_mul_f32_e32 v10, v2, v10
	;; [unrolled: 1-line block ×4, first 2 shown]
	v_add_f32_e32 v114, v114, v151
	v_fmac_f32_e32 v22, v2, v9
	v_fma_f32 v119, v1, v9, -v10
	v_fmac_f32_e32 v118, v4, v11
	v_fma_f32 v120, v3, v11, -v12
	s_clause 0x1
	scratch_load_b128 v[9:12], off, off offset:328
	scratch_load_b128 v[1:4], off, off offset:312
	v_add_f32_e32 v17, v17, v144
	s_wait_loadcnt_dscnt 0x200
	v_mul_f32_e32 v121, v13, v6
	v_mul_f32_e32 v6, v14, v6
	;; [unrolled: 1-line block ×3, first 2 shown]
	s_delay_alu instid0(VALU_DEP_3) | instskip(SKIP_1) | instid1(VALU_DEP_4)
	v_dual_mul_f32 v8, v16, v8 :: v_dual_fmac_f32 v121, v14, v5
	v_add_f32_e32 v17, v17, v146
	v_fma_f32 v123, v13, v5, -v6
	s_delay_alu instid0(VALU_DEP_4) | instskip(NEXT) | instid1(VALU_DEP_4)
	v_fmac_f32_e32 v122, v16, v7
	v_fma_f32 v124, v15, v7, -v8
	ds_load_2addr_b64 v[5:8], v21 offset0:85 offset1:86
	v_add_f32_e32 v17, v17, v148
	s_delay_alu instid0(VALU_DEP_1) | instskip(SKIP_3) | instid1(VALU_DEP_1)
	v_add_f32_e32 v115, v17, v150
	scratch_load_b128 v[17:20], off, off offset:344
	v_add_f32_e32 v13, v114, v153
	v_add_f32_e32 v115, v115, v152
	;; [unrolled: 1-line block ×3, first 2 shown]
	s_delay_alu instid0(VALU_DEP_1)
	v_dual_add_f32 v114, v115, v156 :: v_dual_add_f32 v115, v13, v155
	ds_load_2addr_b64 v[13:16], v21 offset0:87 offset1:88
	v_dual_add_f32 v125, v114, v158 :: v_dual_add_f32 v128, v115, v157
	ds_load_2addr_b64 v[114:117], v21 offset0:89 offset1:90
	v_add_f32_e32 v21, v125, v160
	s_wait_loadcnt_dscnt 0x201
	v_mul_f32_e32 v129, v15, v12
	s_delay_alu instid0(VALU_DEP_1) | instskip(SKIP_2) | instid1(VALU_DEP_1)
	v_fmac_f32_e32 v129, v16, v11
	s_wait_loadcnt 0x1
	v_dual_add_f32 v125, v128, v159 :: v_dual_mul_f32 v128, v5, v2
	v_dual_mul_f32 v2, v6, v2 :: v_dual_add_f32 v125, v125, v161
	s_delay_alu instid0(VALU_DEP_2) | instskip(SKIP_2) | instid1(VALU_DEP_4)
	v_fmac_f32_e32 v128, v6, v1
	v_mul_f32_e32 v6, v14, v10
	v_add_f32_e32 v21, v21, v162
	v_fma_f32 v2, v5, v1, -v2
	v_add_f32_e32 v22, v125, v22
	v_mul_f32_e32 v125, v13, v10
	s_delay_alu instid0(VALU_DEP_2) | instskip(NEXT) | instid1(VALU_DEP_2)
	v_add_f32_e32 v22, v22, v118
	v_fmac_f32_e32 v125, v14, v9
	s_delay_alu instid0(VALU_DEP_2) | instskip(NEXT) | instid1(VALU_DEP_1)
	v_dual_add_f32 v21, v21, v119 :: v_dual_add_f32 v22, v22, v121
	v_add_f32_e32 v21, v21, v120
	s_delay_alu instid0(VALU_DEP_2) | instskip(NEXT) | instid1(VALU_DEP_2)
	v_add_f32_e32 v5, v22, v122
	v_add_f32_e32 v21, v21, v123
	s_delay_alu instid0(VALU_DEP_1) | instskip(NEXT) | instid1(VALU_DEP_1)
	v_add_f32_e32 v1, v21, v124
	v_add_f32_e32 v1, v1, v2
	s_delay_alu instid0(VALU_DEP_4)
	v_add_f32_e32 v2, v5, v128
	v_fma_f32 v5, v13, v9, -v6
	s_wait_loadcnt_dscnt 0x0
	v_mul_f32_e32 v120, v116, v20
	v_mul_f32_e32 v119, v7, v4
	;; [unrolled: 1-line block ×4, first 2 shown]
	s_delay_alu instid0(VALU_DEP_4) | instskip(NEXT) | instid1(VALU_DEP_4)
	v_fmac_f32_e32 v120, v117, v19
	v_fmac_f32_e32 v119, v8, v3
	s_delay_alu instid0(VALU_DEP_4) | instskip(SKIP_2) | instid1(VALU_DEP_4)
	v_fma_f32 v3, v7, v3, -v4
	v_mul_f32_e32 v4, v16, v12
	v_fmac_f32_e32 v118, v115, v17
	v_add_f32_e32 v2, v2, v119
	s_delay_alu instid0(VALU_DEP_4) | instskip(SKIP_2) | instid1(VALU_DEP_4)
	v_add_f32_e32 v1, v1, v3
	v_mul_f32_e32 v3, v115, v18
	v_fma_f32 v4, v15, v11, -v4
	v_add_f32_e32 v2, v2, v125
	s_delay_alu instid0(VALU_DEP_4) | instskip(SKIP_2) | instid1(VALU_DEP_3)
	v_add_f32_e32 v1, v1, v5
	v_mul_f32_e32 v5, v117, v20
	v_fma_f32 v3, v114, v17, -v3
	v_dual_add_f32 v2, v2, v129 :: v_dual_add_f32 v1, v1, v4
	s_delay_alu instid0(VALU_DEP_3) | instskip(NEXT) | instid1(VALU_DEP_2)
	v_fma_f32 v4, v116, v19, -v5
	v_dual_add_f32 v2, v2, v118 :: v_dual_add_f32 v1, v1, v3
	s_delay_alu instid0(VALU_DEP_1) | instskip(NEXT) | instid1(VALU_DEP_1)
	v_add_f32_e32 v2, v2, v120
	v_dual_add_f32 v1, v1, v4 :: v_dual_sub_f32 v2, v127, v2
	s_delay_alu instid0(VALU_DEP_1)
	v_sub_f32_e32 v1, v126, v1
	scratch_store_b64 off, v[1:2], off offset:48
	v_cmpx_lt_u32_e32 5, v0
	s_cbranch_execz .LBB108_273
; %bb.272:
	scratch_load_b64 v[1:2], off, off offset:40
	v_mov_b32_e32 v3, 0
	s_delay_alu instid0(VALU_DEP_1)
	v_mov_b32_e32 v4, v3
	scratch_store_b64 off, v[3:4], off offset:40
	s_wait_loadcnt 0x0
	ds_store_b64 v23, v[1:2]
.LBB108_273:
	s_wait_alu 0xfffe
	s_or_b32 exec_lo, exec_lo, s0
	s_wait_storecnt_dscnt 0x0
	s_barrier_signal -1
	s_barrier_wait -1
	global_inv scope:SCOPE_SE
	s_clause 0x4
	scratch_load_b128 v[5:8], off, off offset:48
	scratch_load_b128 v[1:4], off, off offset:64
	;; [unrolled: 1-line block ×5, first 2 shown]
	v_mov_b32_e32 v21, 0
	ds_load_b128 v[114:117], v21 offset:416
	ds_load_b128 v[118:121], v21 offset:432
	;; [unrolled: 1-line block ×3, first 2 shown]
	scratch_load_b64 v[126:127], off, off offset:40
	s_mov_b32 s0, exec_lo
	s_wait_loadcnt_dscnt 0x502
	v_mul_f32_e32 v22, v115, v6
	v_dual_mul_f32 v128, v114, v6 :: v_dual_mul_f32 v129, v116, v8
	v_mul_f32_e32 v6, v117, v8
	s_delay_alu instid0(VALU_DEP_3) | instskip(NEXT) | instid1(VALU_DEP_3)
	v_fma_f32 v22, v114, v5, -v22
	v_dual_fmac_f32 v128, v115, v5 :: v_dual_fmac_f32 v129, v117, v7
	s_wait_loadcnt_dscnt 0x401
	v_mul_f32_e32 v115, v118, v2
	v_fma_f32 v114, v116, v7, -v6
	ds_load_b128 v[5:8], v21 offset:464
	s_wait_loadcnt_dscnt 0x301
	v_dual_mul_f32 v116, v120, v4 :: v_dual_mul_f32 v117, v122, v10
	v_dual_mul_f32 v4, v121, v4 :: v_dual_fmac_f32 v115, v119, v1
	v_mul_f32_e32 v10, v123, v10
	s_delay_alu instid0(VALU_DEP_3)
	v_dual_mul_f32 v130, v124, v12 :: v_dual_fmac_f32 v117, v123, v9
	v_mul_f32_e32 v12, v125, v12
	v_mul_f32_e32 v2, v119, v2
	v_fmac_f32_e32 v116, v121, v3
	v_fma_f32 v119, v120, v3, -v4
	v_fma_f32 v120, v122, v9, -v10
	v_fmac_f32_e32 v130, v125, v11
	v_fma_f32 v121, v124, v11, -v12
	ds_load_b128 v[9:12], v21 offset:480
	s_wait_loadcnt_dscnt 0x201
	v_dual_mul_f32 v123, v7, v16 :: v_dual_mul_f32 v122, v5, v14
	v_mul_f32_e32 v14, v6, v14
	v_mul_f32_e32 v16, v8, v16
	s_delay_alu instid0(VALU_DEP_3)
	v_fmac_f32_e32 v123, v8, v15
	v_fma_f32 v118, v118, v1, -v2
	scratch_load_b128 v[1:4], off, off offset:128
	v_fmac_f32_e32 v122, v6, v13
	v_fma_f32 v13, v5, v13, -v14
	v_fma_f32 v14, v7, v15, -v16
	ds_load_b128 v[5:8], v21 offset:496
	s_wait_loadcnt_dscnt 0x201
	v_mul_f32_e32 v15, v9, v18
	v_mul_f32_e32 v16, v10, v18
	;; [unrolled: 1-line block ×3, first 2 shown]
	s_delay_alu instid0(VALU_DEP_3) | instskip(NEXT) | instid1(VALU_DEP_3)
	v_dual_mul_f32 v20, v12, v20 :: v_dual_fmac_f32 v15, v10, v17
	v_fma_f32 v16, v9, v17, -v16
	s_delay_alu instid0(VALU_DEP_3) | instskip(NEXT) | instid1(VALU_DEP_3)
	v_fmac_f32_e32 v18, v12, v19
	v_fma_f32 v17, v11, v19, -v20
	scratch_load_b128 v[9:12], off, off offset:144
	s_wait_loadcnt_dscnt 0x100
	v_mul_f32_e32 v19, v5, v2
	v_mul_f32_e32 v2, v6, v2
	;; [unrolled: 1-line block ×3, first 2 shown]
	s_delay_alu instid0(VALU_DEP_3) | instskip(NEXT) | instid1(VALU_DEP_3)
	v_dual_mul_f32 v4, v8, v4 :: v_dual_fmac_f32 v19, v6, v1
	v_fma_f32 v124, v5, v1, -v2
	s_delay_alu instid0(VALU_DEP_3) | instskip(NEXT) | instid1(VALU_DEP_3)
	v_fmac_f32_e32 v20, v8, v3
	v_fma_f32 v125, v7, v3, -v4
	ds_load_b128 v[1:4], v21 offset:512
	ds_load_b128 v[5:8], v21 offset:528
	s_wait_loadcnt_dscnt 0x1
	v_mul_f32_e32 v131, v1, v10
	v_mul_f32_e32 v10, v2, v10
	s_delay_alu instid0(VALU_DEP_2) | instskip(NEXT) | instid1(VALU_DEP_2)
	v_dual_mul_f32 v132, v3, v12 :: v_dual_fmac_f32 v131, v2, v9
	v_fma_f32 v133, v1, v9, -v10
	v_mul_f32_e32 v1, v4, v12
	s_delay_alu instid0(VALU_DEP_3) | instskip(NEXT) | instid1(VALU_DEP_2)
	v_fmac_f32_e32 v132, v4, v11
	v_fma_f32 v134, v3, v11, -v1
	s_clause 0x1
	scratch_load_b128 v[1:4], off, off offset:160
	scratch_load_b128 v[9:12], off, off offset:176
	s_wait_loadcnt_dscnt 0x100
	v_mul_f32_e32 v135, v5, v2
	v_dual_mul_f32 v2, v6, v2 :: v_dual_mul_f32 v137, v7, v4
	s_delay_alu instid0(VALU_DEP_2) | instskip(NEXT) | instid1(VALU_DEP_2)
	v_fmac_f32_e32 v135, v6, v1
	v_fma_f32 v136, v5, v1, -v2
	v_mul_f32_e32 v1, v8, v4
	s_delay_alu instid0(VALU_DEP_4) | instskip(NEXT) | instid1(VALU_DEP_2)
	v_fmac_f32_e32 v137, v8, v3
	v_fma_f32 v138, v7, v3, -v1
	ds_load_b128 v[1:4], v21 offset:544
	ds_load_b128 v[5:8], v21 offset:560
	s_wait_loadcnt_dscnt 0x1
	v_mul_f32_e32 v139, v1, v10
	v_mul_f32_e32 v141, v3, v12
	s_delay_alu instid0(VALU_DEP_2) | instskip(NEXT) | instid1(VALU_DEP_2)
	v_fmac_f32_e32 v139, v2, v9
	v_dual_mul_f32 v2, v2, v10 :: v_dual_fmac_f32 v141, v4, v11
	s_delay_alu instid0(VALU_DEP_1) | instskip(SKIP_1) | instid1(VALU_DEP_1)
	v_fma_f32 v140, v1, v9, -v2
	v_mul_f32_e32 v1, v4, v12
	v_fma_f32 v142, v3, v11, -v1
	s_clause 0x1
	scratch_load_b128 v[1:4], off, off offset:192
	scratch_load_b128 v[9:12], off, off offset:208
	s_wait_loadcnt_dscnt 0x100
	v_mul_f32_e32 v143, v5, v2
	v_dual_mul_f32 v145, v7, v4 :: v_dual_mul_f32 v2, v6, v2
	s_delay_alu instid0(VALU_DEP_2) | instskip(NEXT) | instid1(VALU_DEP_2)
	v_fmac_f32_e32 v143, v6, v1
	v_fmac_f32_e32 v145, v8, v3
	s_delay_alu instid0(VALU_DEP_3) | instskip(SKIP_1) | instid1(VALU_DEP_1)
	v_fma_f32 v144, v5, v1, -v2
	v_mul_f32_e32 v1, v8, v4
	v_fma_f32 v146, v7, v3, -v1
	ds_load_b128 v[1:4], v21 offset:576
	ds_load_b128 v[5:8], v21 offset:592
	s_wait_loadcnt_dscnt 0x1
	v_mul_f32_e32 v147, v1, v10
	v_mul_f32_e32 v149, v3, v12
	s_delay_alu instid0(VALU_DEP_2) | instskip(NEXT) | instid1(VALU_DEP_2)
	v_fmac_f32_e32 v147, v2, v9
	v_dual_mul_f32 v2, v2, v10 :: v_dual_fmac_f32 v149, v4, v11
	s_delay_alu instid0(VALU_DEP_1) | instskip(SKIP_1) | instid1(VALU_DEP_1)
	v_fma_f32 v148, v1, v9, -v2
	v_mul_f32_e32 v1, v4, v12
	v_fma_f32 v150, v3, v11, -v1
	s_clause 0x1
	scratch_load_b128 v[1:4], off, off offset:224
	scratch_load_b128 v[9:12], off, off offset:240
	s_wait_loadcnt_dscnt 0x100
	v_mul_f32_e32 v151, v5, v2
	v_dual_mul_f32 v2, v6, v2 :: v_dual_mul_f32 v153, v7, v4
	s_delay_alu instid0(VALU_DEP_2) | instskip(NEXT) | instid1(VALU_DEP_2)
	v_fmac_f32_e32 v151, v6, v1
	v_fma_f32 v152, v5, v1, -v2
	v_mul_f32_e32 v1, v8, v4
	s_delay_alu instid0(VALU_DEP_4) | instskip(NEXT) | instid1(VALU_DEP_2)
	v_fmac_f32_e32 v153, v8, v3
	v_fma_f32 v154, v7, v3, -v1
	ds_load_b128 v[1:4], v21 offset:608
	ds_load_b128 v[5:8], v21 offset:624
	s_wait_loadcnt_dscnt 0x1
	v_mul_f32_e32 v155, v1, v10
	v_mul_f32_e32 v157, v3, v12
	s_delay_alu instid0(VALU_DEP_2) | instskip(NEXT) | instid1(VALU_DEP_2)
	v_fmac_f32_e32 v155, v2, v9
	v_dual_mul_f32 v2, v2, v10 :: v_dual_fmac_f32 v157, v4, v11
	s_delay_alu instid0(VALU_DEP_1) | instskip(SKIP_1) | instid1(VALU_DEP_1)
	v_fma_f32 v156, v1, v9, -v2
	v_mul_f32_e32 v1, v4, v12
	v_fma_f32 v158, v3, v11, -v1
	s_clause 0x1
	scratch_load_b128 v[1:4], off, off offset:256
	scratch_load_b128 v[9:12], off, off offset:272
	s_wait_loadcnt_dscnt 0x100
	v_mul_f32_e32 v159, v5, v2
	v_mul_f32_e32 v2, v6, v2
	s_delay_alu instid0(VALU_DEP_1) | instskip(SKIP_1) | instid1(VALU_DEP_1)
	v_fma_f32 v160, v5, v1, -v2
	v_add_f32_e32 v2, 0, v128
	v_add_f32_e32 v2, v2, v129
	s_delay_alu instid0(VALU_DEP_1) | instskip(NEXT) | instid1(VALU_DEP_1)
	v_add_f32_e32 v2, v2, v115
	v_add_f32_e32 v2, v2, v116
	s_delay_alu instid0(VALU_DEP_1) | instskip(NEXT) | instid1(VALU_DEP_1)
	;; [unrolled: 3-line block ×4, first 2 shown]
	v_dual_add_f32 v2, v2, v15 :: v_dual_mul_f32 v161, v7, v4
	v_add_f32_e32 v2, v2, v18
	s_delay_alu instid0(VALU_DEP_1) | instskip(SKIP_1) | instid1(VALU_DEP_2)
	v_add_f32_e32 v2, v2, v19
	v_fmac_f32_e32 v159, v6, v1
	v_dual_fmac_f32 v161, v8, v3 :: v_dual_add_f32 v2, v2, v20
	s_delay_alu instid0(VALU_DEP_1) | instskip(NEXT) | instid1(VALU_DEP_1)
	v_dual_mul_f32 v1, v8, v4 :: v_dual_add_f32 v2, v2, v131
	v_fma_f32 v162, v7, v3, -v1
	v_add_f32_e32 v1, 0, v22
	s_delay_alu instid0(VALU_DEP_3) | instskip(NEXT) | instid1(VALU_DEP_2)
	v_add_f32_e32 v5, v2, v132
	v_add_f32_e32 v1, v1, v114
	s_delay_alu instid0(VALU_DEP_1) | instskip(NEXT) | instid1(VALU_DEP_1)
	v_add_f32_e32 v1, v1, v118
	v_add_f32_e32 v1, v1, v119
	scratch_load_b64 v[118:119], off, off offset:352
	v_add_f32_e32 v1, v1, v120
	s_delay_alu instid0(VALU_DEP_1) | instskip(NEXT) | instid1(VALU_DEP_1)
	v_add_f32_e32 v1, v1, v121
	v_add_f32_e32 v1, v1, v13
	;; [unrolled: 1-line block ×3, first 2 shown]
	s_delay_alu instid0(VALU_DEP_1) | instskip(NEXT) | instid1(VALU_DEP_1)
	v_add_f32_e32 v13, v13, v137
	v_add_f32_e32 v13, v13, v139
	s_delay_alu instid0(VALU_DEP_1) | instskip(NEXT) | instid1(VALU_DEP_1)
	v_add_f32_e32 v18, v13, v141
	v_dual_add_f32 v18, v18, v143 :: v_dual_add_f32 v1, v1, v14
	s_delay_alu instid0(VALU_DEP_1) | instskip(NEXT) | instid1(VALU_DEP_1)
	v_dual_add_f32 v18, v18, v145 :: v_dual_add_f32 v1, v1, v16
	v_add_f32_e32 v1, v1, v17
	s_delay_alu instid0(VALU_DEP_1) | instskip(NEXT) | instid1(VALU_DEP_1)
	v_add_f32_e32 v1, v1, v124
	v_add_f32_e32 v1, v1, v125
	s_delay_alu instid0(VALU_DEP_1) | instskip(NEXT) | instid1(VALU_DEP_1)
	v_add_f32_e32 v1, v1, v133
	v_add_f32_e32 v1, v1, v134
	s_delay_alu instid0(VALU_DEP_1)
	v_add_f32_e32 v6, v1, v136
	scratch_load_b128 v[1:4], off, off offset:288
	v_add_f32_e32 v114, v18, v147
	v_add_f32_e32 v14, v6, v138
	ds_load_b128 v[5:8], v21 offset:640
	v_add_f32_e32 v114, v114, v149
	v_add_f32_e32 v14, v14, v140
	s_delay_alu instid0(VALU_DEP_1)
	v_add_f32_e32 v17, v14, v142
	ds_load_b128 v[13:16], v21 offset:656
	s_wait_loadcnt_dscnt 0x201
	v_mul_f32_e32 v22, v5, v10
	v_mul_f32_e32 v10, v6, v10
	;; [unrolled: 1-line block ×4, first 2 shown]
	v_add_f32_e32 v114, v114, v151
	v_fmac_f32_e32 v22, v6, v9
	v_fma_f32 v123, v5, v9, -v10
	v_fmac_f32_e32 v122, v8, v11
	v_fma_f32 v124, v7, v11, -v12
	scratch_load_b128 v[5:8], off, off offset:304
	v_add_f32_e32 v114, v114, v153
	scratch_load_b128 v[9:12], off, off offset:320
	s_wait_loadcnt_dscnt 0x200
	v_mul_f32_e32 v125, v13, v2
	v_mul_f32_e32 v2, v14, v2
	;; [unrolled: 1-line block ×3, first 2 shown]
	s_delay_alu instid0(VALU_DEP_3) | instskip(NEXT) | instid1(VALU_DEP_3)
	v_dual_mul_f32 v4, v16, v4 :: v_dual_fmac_f32 v125, v14, v1
	v_fma_f32 v129, v13, v1, -v2
	v_add_f32_e32 v13, v114, v155
	s_delay_alu instid0(VALU_DEP_4) | instskip(NEXT) | instid1(VALU_DEP_4)
	v_fmac_f32_e32 v128, v16, v3
	v_fma_f32 v130, v15, v3, -v4
	ds_load_b128 v[1:4], v21 offset:672
	v_add_f32_e32 v114, v13, v157
	s_delay_alu instid0(VALU_DEP_1) | instskip(NEXT) | instid1(VALU_DEP_1)
	v_add_f32_e32 v121, v114, v159
	v_add_f32_e32 v132, v121, v161
	s_delay_alu instid0(VALU_DEP_1) | instskip(NEXT) | instid1(VALU_DEP_1)
	v_dual_add_f32 v17, v17, v144 :: v_dual_add_f32 v22, v132, v22
	v_add_f32_e32 v17, v17, v146
	s_delay_alu instid0(VALU_DEP_1) | instskip(NEXT) | instid1(VALU_DEP_1)
	v_dual_add_f32 v22, v22, v122 :: v_dual_add_f32 v17, v17, v148
	v_dual_add_f32 v22, v22, v125 :: v_dual_add_f32 v115, v17, v150
	scratch_load_b128 v[17:20], off, off offset:336
	v_add_f32_e32 v22, v22, v128
	v_add_f32_e32 v115, v115, v152
	s_delay_alu instid0(VALU_DEP_1) | instskip(NEXT) | instid1(VALU_DEP_1)
	v_add_f32_e32 v115, v115, v154
	v_add_f32_e32 v115, v115, v156
	s_delay_alu instid0(VALU_DEP_1)
	v_add_f32_e32 v14, v115, v158
	ds_load_b128 v[114:117], v21 offset:704
	v_add_f32_e32 v120, v14, v160
	ds_load_b128 v[13:16], v21 offset:688
	s_wait_loadcnt_dscnt 0x202
	v_mul_f32_e32 v122, v3, v8
	v_mul_f32_e32 v8, v4, v8
	v_add_f32_e32 v131, v120, v162
	ds_load_b64 v[120:121], v21 offset:720
	v_fmac_f32_e32 v122, v4, v7
	v_add_f32_e32 v123, v131, v123
	v_mul_f32_e32 v131, v1, v6
	v_mul_f32_e32 v6, v2, v6
	s_delay_alu instid0(VALU_DEP_2) | instskip(NEXT) | instid1(VALU_DEP_4)
	v_fmac_f32_e32 v131, v2, v5
	v_add_f32_e32 v123, v123, v124
	s_delay_alu instid0(VALU_DEP_3)
	v_fma_f32 v1, v1, v5, -v6
	v_fma_f32 v2, v3, v7, -v8
	s_wait_loadcnt_dscnt 0x101
	v_mul_f32_e32 v124, v13, v10
	v_add_f32_e32 v4, v22, v131
	v_mul_f32_e32 v3, v14, v10
	s_delay_alu instid0(VALU_DEP_3) | instskip(SKIP_2) | instid1(VALU_DEP_3)
	v_fmac_f32_e32 v124, v14, v9
	s_wait_dscnt 0x0
	v_dual_add_f32 v123, v123, v129 :: v_dual_mul_f32 v128, v120, v119
	v_fma_f32 v3, v13, v9, -v3
	s_delay_alu instid0(VALU_DEP_2) | instskip(NEXT) | instid1(VALU_DEP_1)
	v_add_f32_e32 v123, v123, v130
	v_dual_fmac_f32 v128, v121, v118 :: v_dual_add_f32 v1, v123, v1
	s_delay_alu instid0(VALU_DEP_1) | instskip(SKIP_1) | instid1(VALU_DEP_1)
	v_add_f32_e32 v1, v1, v2
	v_add_f32_e32 v2, v4, v122
	;; [unrolled: 1-line block ×3, first 2 shown]
	s_wait_loadcnt 0x0
	v_mul_f32_e32 v130, v116, v20
	v_mul_f32_e32 v125, v15, v12
	;; [unrolled: 1-line block ×4, first 2 shown]
	s_delay_alu instid0(VALU_DEP_4) | instskip(NEXT) | instid1(VALU_DEP_4)
	v_fmac_f32_e32 v130, v117, v19
	v_fmac_f32_e32 v125, v16, v11
	s_delay_alu instid0(VALU_DEP_4) | instskip(NEXT) | instid1(VALU_DEP_4)
	v_fmac_f32_e32 v129, v115, v17
	v_fma_f32 v4, v114, v17, -v4
	s_delay_alu instid0(VALU_DEP_3) | instskip(NEXT) | instid1(VALU_DEP_1)
	v_dual_add_f32 v2, v2, v125 :: v_dual_mul_f32 v5, v16, v12
	v_add_f32_e32 v2, v2, v129
	s_delay_alu instid0(VALU_DEP_2) | instskip(NEXT) | instid1(VALU_DEP_2)
	v_fma_f32 v5, v15, v11, -v5
	v_add_f32_e32 v2, v2, v130
	s_delay_alu instid0(VALU_DEP_1) | instskip(NEXT) | instid1(VALU_DEP_1)
	v_dual_add_f32 v2, v2, v128 :: v_dual_add_f32 v1, v1, v3
	v_dual_mul_f32 v3, v117, v20 :: v_dual_sub_f32 v2, v127, v2
	s_delay_alu instid0(VALU_DEP_2) | instskip(SKIP_1) | instid1(VALU_DEP_3)
	v_add_f32_e32 v1, v1, v5
	v_mul_f32_e32 v5, v121, v119
	v_fma_f32 v3, v116, v19, -v3
	s_delay_alu instid0(VALU_DEP_3) | instskip(NEXT) | instid1(VALU_DEP_3)
	v_add_f32_e32 v1, v1, v4
	v_fma_f32 v4, v120, v118, -v5
	s_delay_alu instid0(VALU_DEP_2) | instskip(NEXT) | instid1(VALU_DEP_1)
	v_add_f32_e32 v1, v1, v3
	v_add_f32_e32 v1, v1, v4
	s_delay_alu instid0(VALU_DEP_1)
	v_sub_f32_e32 v1, v126, v1
	scratch_store_b64 off, v[1:2], off offset:40
	v_cmpx_lt_u32_e32 4, v0
	s_cbranch_execz .LBB108_275
; %bb.274:
	scratch_load_b64 v[1:2], off, off offset:32
	v_mov_b32_e32 v22, v21
	scratch_store_b64 off, v[21:22], off offset:32
	s_wait_loadcnt 0x0
	ds_store_b64 v23, v[1:2]
.LBB108_275:
	s_wait_alu 0xfffe
	s_or_b32 exec_lo, exec_lo, s0
	s_wait_storecnt_dscnt 0x0
	s_barrier_signal -1
	s_barrier_wait -1
	global_inv scope:SCOPE_SE
	s_clause 0x4
	scratch_load_b128 v[5:8], off, off offset:40
	scratch_load_b128 v[1:4], off, off offset:56
	;; [unrolled: 1-line block ×5, first 2 shown]
	ds_load_2addr_b64 v[114:117], v21 offset0:51 offset1:52
	ds_load_2addr_b64 v[118:121], v21 offset0:53 offset1:54
	;; [unrolled: 1-line block ×3, first 2 shown]
	scratch_load_b64 v[126:127], off, off offset:32
	s_mov_b32 s0, exec_lo
	s_wait_loadcnt_dscnt 0x502
	v_dual_mul_f32 v22, v115, v6 :: v_dual_mul_f32 v129, v116, v8
	v_mul_f32_e32 v128, v114, v6
	v_mul_f32_e32 v6, v117, v8
	s_wait_loadcnt_dscnt 0x300
	v_mul_f32_e32 v130, v124, v12
	v_fma_f32 v22, v114, v5, -v22
	v_dual_fmac_f32 v129, v117, v7 :: v_dual_fmac_f32 v128, v115, v5
	v_mul_f32_e32 v117, v122, v10
	v_mul_f32_e32 v115, v118, v2
	v_fma_f32 v114, v116, v7, -v6
	ds_load_2addr_b64 v[5:8], v21 offset0:57 offset1:58
	v_mul_f32_e32 v116, v120, v4
	v_dual_mul_f32 v4, v121, v4 :: v_dual_fmac_f32 v117, v123, v9
	v_mul_f32_e32 v10, v123, v10
	v_mul_f32_e32 v12, v125, v12
	;; [unrolled: 1-line block ×3, first 2 shown]
	v_dual_fmac_f32 v115, v119, v1 :: v_dual_fmac_f32 v116, v121, v3
	v_fma_f32 v119, v120, v3, -v4
	v_fma_f32 v120, v122, v9, -v10
	v_fmac_f32_e32 v130, v125, v11
	v_fma_f32 v121, v124, v11, -v12
	ds_load_2addr_b64 v[9:12], v21 offset0:59 offset1:60
	s_wait_loadcnt_dscnt 0x201
	v_dual_mul_f32 v123, v7, v16 :: v_dual_mul_f32 v122, v5, v14
	s_delay_alu instid0(VALU_DEP_1)
	v_dual_mul_f32 v14, v6, v14 :: v_dual_fmac_f32 v123, v8, v15
	v_fma_f32 v118, v118, v1, -v2
	scratch_load_b128 v[1:4], off, off offset:120
	v_mul_f32_e32 v16, v8, v16
	v_fmac_f32_e32 v122, v6, v13
	v_fma_f32 v13, v5, v13, -v14
	s_delay_alu instid0(VALU_DEP_3)
	v_fma_f32 v14, v7, v15, -v16
	s_wait_loadcnt_dscnt 0x200
	v_mul_f32_e32 v15, v9, v18
	v_mul_f32_e32 v16, v10, v18
	;; [unrolled: 1-line block ×4, first 2 shown]
	ds_load_2addr_b64 v[5:8], v21 offset0:61 offset1:62
	v_fmac_f32_e32 v15, v10, v17
	v_fma_f32 v16, v9, v17, -v16
	v_fmac_f32_e32 v18, v12, v19
	v_fma_f32 v17, v11, v19, -v20
	scratch_load_b128 v[9:12], off, off offset:136
	s_wait_loadcnt_dscnt 0x100
	v_mul_f32_e32 v19, v5, v2
	v_mul_f32_e32 v2, v6, v2
	v_mul_f32_e32 v20, v7, v4
	s_delay_alu instid0(VALU_DEP_3) | instskip(NEXT) | instid1(VALU_DEP_3)
	v_dual_mul_f32 v4, v8, v4 :: v_dual_fmac_f32 v19, v6, v1
	v_fma_f32 v124, v5, v1, -v2
	s_delay_alu instid0(VALU_DEP_3) | instskip(NEXT) | instid1(VALU_DEP_3)
	v_fmac_f32_e32 v20, v8, v3
	v_fma_f32 v125, v7, v3, -v4
	ds_load_2addr_b64 v[1:4], v21 offset0:63 offset1:64
	ds_load_2addr_b64 v[5:8], v21 offset0:65 offset1:66
	s_wait_loadcnt_dscnt 0x1
	v_mul_f32_e32 v131, v1, v10
	v_mul_f32_e32 v10, v2, v10
	s_delay_alu instid0(VALU_DEP_2) | instskip(NEXT) | instid1(VALU_DEP_2)
	v_dual_mul_f32 v132, v3, v12 :: v_dual_fmac_f32 v131, v2, v9
	v_fma_f32 v133, v1, v9, -v10
	v_mul_f32_e32 v1, v4, v12
	s_delay_alu instid0(VALU_DEP_3) | instskip(NEXT) | instid1(VALU_DEP_2)
	v_fmac_f32_e32 v132, v4, v11
	v_fma_f32 v134, v3, v11, -v1
	s_clause 0x1
	scratch_load_b128 v[1:4], off, off offset:152
	scratch_load_b128 v[9:12], off, off offset:168
	s_wait_loadcnt_dscnt 0x100
	v_mul_f32_e32 v135, v5, v2
	v_dual_mul_f32 v2, v6, v2 :: v_dual_mul_f32 v137, v7, v4
	s_delay_alu instid0(VALU_DEP_2) | instskip(NEXT) | instid1(VALU_DEP_2)
	v_fmac_f32_e32 v135, v6, v1
	v_fma_f32 v136, v5, v1, -v2
	v_mul_f32_e32 v1, v8, v4
	s_delay_alu instid0(VALU_DEP_4) | instskip(NEXT) | instid1(VALU_DEP_2)
	v_fmac_f32_e32 v137, v8, v3
	v_fma_f32 v138, v7, v3, -v1
	ds_load_2addr_b64 v[1:4], v21 offset0:67 offset1:68
	ds_load_2addr_b64 v[5:8], v21 offset0:69 offset1:70
	s_wait_loadcnt_dscnt 0x1
	v_mul_f32_e32 v139, v1, v10
	v_mul_f32_e32 v141, v3, v12
	s_delay_alu instid0(VALU_DEP_2) | instskip(NEXT) | instid1(VALU_DEP_2)
	v_fmac_f32_e32 v139, v2, v9
	v_dual_mul_f32 v2, v2, v10 :: v_dual_fmac_f32 v141, v4, v11
	s_delay_alu instid0(VALU_DEP_1) | instskip(SKIP_1) | instid1(VALU_DEP_1)
	v_fma_f32 v140, v1, v9, -v2
	v_mul_f32_e32 v1, v4, v12
	v_fma_f32 v142, v3, v11, -v1
	s_clause 0x1
	scratch_load_b128 v[1:4], off, off offset:184
	scratch_load_b128 v[9:12], off, off offset:200
	s_wait_loadcnt_dscnt 0x100
	v_mul_f32_e32 v143, v5, v2
	v_dual_mul_f32 v2, v6, v2 :: v_dual_mul_f32 v145, v7, v4
	s_delay_alu instid0(VALU_DEP_2) | instskip(NEXT) | instid1(VALU_DEP_2)
	v_fmac_f32_e32 v143, v6, v1
	v_fma_f32 v144, v5, v1, -v2
	v_mul_f32_e32 v1, v8, v4
	s_delay_alu instid0(VALU_DEP_4) | instskip(NEXT) | instid1(VALU_DEP_2)
	v_fmac_f32_e32 v145, v8, v3
	v_fma_f32 v146, v7, v3, -v1
	ds_load_2addr_b64 v[1:4], v21 offset0:71 offset1:72
	ds_load_2addr_b64 v[5:8], v21 offset0:73 offset1:74
	s_wait_loadcnt_dscnt 0x1
	v_mul_f32_e32 v147, v1, v10
	v_mul_f32_e32 v149, v3, v12
	s_delay_alu instid0(VALU_DEP_2) | instskip(NEXT) | instid1(VALU_DEP_2)
	v_fmac_f32_e32 v147, v2, v9
	v_dual_mul_f32 v2, v2, v10 :: v_dual_fmac_f32 v149, v4, v11
	s_delay_alu instid0(VALU_DEP_1) | instskip(SKIP_1) | instid1(VALU_DEP_1)
	v_fma_f32 v148, v1, v9, -v2
	v_mul_f32_e32 v1, v4, v12
	;; [unrolled: 25-line block ×4, first 2 shown]
	v_fma_f32 v166, v3, v11, -v1
	s_clause 0x1
	scratch_load_b128 v[1:4], off, off offset:280
	scratch_load_b128 v[9:12], off, off offset:296
	s_wait_loadcnt_dscnt 0x100
	v_mul_f32_e32 v167, v5, v2
	v_mul_f32_e32 v2, v6, v2
	s_delay_alu instid0(VALU_DEP_1) | instskip(SKIP_1) | instid1(VALU_DEP_1)
	v_fma_f32 v168, v5, v1, -v2
	v_add_f32_e32 v2, 0, v128
	v_add_f32_e32 v2, v2, v129
	s_delay_alu instid0(VALU_DEP_1) | instskip(NEXT) | instid1(VALU_DEP_1)
	v_add_f32_e32 v2, v2, v115
	v_add_f32_e32 v2, v2, v116
	s_delay_alu instid0(VALU_DEP_1) | instskip(NEXT) | instid1(VALU_DEP_1)
	;; [unrolled: 3-line block ×6, first 2 shown]
	v_add_f32_e32 v2, v2, v131
	v_add_f32_e32 v2, v2, v132
	v_fmac_f32_e32 v167, v6, v1
	s_delay_alu instid0(VALU_DEP_2) | instskip(NEXT) | instid1(VALU_DEP_1)
	v_dual_add_f32 v2, v2, v135 :: v_dual_mul_f32 v169, v7, v4
	v_add_f32_e32 v2, v2, v137
	s_delay_alu instid0(VALU_DEP_1) | instskip(NEXT) | instid1(VALU_DEP_1)
	v_add_f32_e32 v5, v2, v139
	v_add_f32_e32 v5, v5, v141
	s_delay_alu instid0(VALU_DEP_1) | instskip(SKIP_1) | instid1(VALU_DEP_1)
	v_add_f32_e32 v5, v5, v143
	v_mul_f32_e32 v1, v8, v4
	v_fma_f32 v170, v7, v3, -v1
	v_add_f32_e32 v1, 0, v22
	s_delay_alu instid0(VALU_DEP_1) | instskip(NEXT) | instid1(VALU_DEP_1)
	v_add_f32_e32 v1, v1, v114
	v_add_f32_e32 v1, v1, v118
	s_delay_alu instid0(VALU_DEP_1) | instskip(NEXT) | instid1(VALU_DEP_1)
	v_add_f32_e32 v1, v1, v119
	;; [unrolled: 3-line block ×3, first 2 shown]
	v_add_f32_e32 v1, v1, v13
	s_delay_alu instid0(VALU_DEP_1) | instskip(SKIP_1) | instid1(VALU_DEP_2)
	v_add_f32_e32 v1, v1, v14
	v_add_f32_e32 v14, v5, v145
	;; [unrolled: 1-line block ×3, first 2 shown]
	s_delay_alu instid0(VALU_DEP_1) | instskip(NEXT) | instid1(VALU_DEP_1)
	v_add_f32_e32 v1, v1, v17
	v_add_f32_e32 v1, v1, v124
	s_delay_alu instid0(VALU_DEP_1) | instskip(NEXT) | instid1(VALU_DEP_1)
	v_add_f32_e32 v1, v1, v125
	v_add_f32_e32 v1, v1, v133
	;; [unrolled: 3-line block ×4, first 2 shown]
	s_delay_alu instid0(VALU_DEP_1) | instskip(SKIP_3) | instid1(VALU_DEP_2)
	v_dual_add_f32 v6, v1, v142 :: v_dual_fmac_f32 v169, v8, v3
	ds_load_2addr_b64 v[1:4], v21 offset0:83 offset1:84
	v_add_f32_e32 v14, v14, v147
	v_add_f32_e32 v6, v6, v144
	;; [unrolled: 1-line block ×3, first 2 shown]
	s_delay_alu instid0(VALU_DEP_2) | instskip(SKIP_2) | instid1(VALU_DEP_1)
	v_add_f32_e32 v13, v6, v146
	ds_load_2addr_b64 v[5:8], v21 offset0:85 offset1:86
	v_add_f32_e32 v13, v13, v148
	v_add_f32_e32 v13, v13, v150
	s_wait_loadcnt_dscnt 0x1
	v_mul_f32_e32 v22, v1, v10
	v_mul_f32_e32 v118, v3, v12
	;; [unrolled: 1-line block ×4, first 2 shown]
	s_delay_alu instid0(VALU_DEP_4) | instskip(NEXT) | instid1(VALU_DEP_4)
	v_dual_add_f32 v13, v13, v152 :: v_dual_fmac_f32 v22, v2, v9
	v_fmac_f32_e32 v118, v4, v11
	s_delay_alu instid0(VALU_DEP_4) | instskip(NEXT) | instid1(VALU_DEP_4)
	v_fma_f32 v119, v1, v9, -v10
	v_fma_f32 v120, v3, v11, -v12
	s_clause 0x1
	scratch_load_b128 v[1:4], off, off offset:312
	scratch_load_b128 v[9:12], off, off offset:328
	v_dual_add_f32 v17, v14, v151 :: v_dual_add_f32 v18, v13, v154
	scratch_load_b128 v[13:16], off, off offset:344
	v_dual_add_f32 v17, v17, v153 :: v_dual_add_f32 v18, v18, v156
	s_delay_alu instid0(VALU_DEP_1) | instskip(NEXT) | instid1(VALU_DEP_1)
	v_dual_add_f32 v17, v17, v155 :: v_dual_add_f32 v18, v18, v158
	v_dual_add_f32 v17, v17, v157 :: v_dual_add_f32 v114, v18, v160
	s_delay_alu instid0(VALU_DEP_1) | instskip(NEXT) | instid1(VALU_DEP_2)
	v_add_f32_e32 v115, v17, v159
	v_add_f32_e32 v121, v114, v162
	ds_load_2addr_b64 v[17:20], v21 offset0:87 offset1:88
	v_add_f32_e32 v122, v115, v161
	ds_load_2addr_b64 v[114:117], v21 offset0:89 offset1:90
	v_add_f32_e32 v21, v121, v164
	v_add_f32_e32 v121, v122, v163
	s_delay_alu instid0(VALU_DEP_2) | instskip(NEXT) | instid1(VALU_DEP_2)
	v_add_f32_e32 v21, v21, v166
	v_add_f32_e32 v121, v121, v165
	s_delay_alu instid0(VALU_DEP_2) | instskip(NEXT) | instid1(VALU_DEP_2)
	;; [unrolled: 3-line block ×3, first 2 shown]
	v_add_f32_e32 v21, v21, v170
	v_add_f32_e32 v121, v121, v169
	s_delay_alu instid0(VALU_DEP_2) | instskip(SKIP_1) | instid1(VALU_DEP_2)
	v_add_f32_e32 v21, v21, v119
	s_wait_loadcnt_dscnt 0x202
	v_dual_add_f32 v22, v121, v22 :: v_dual_mul_f32 v123, v7, v4
	v_mul_f32_e32 v122, v5, v2
	v_mul_f32_e32 v2, v6, v2
	;; [unrolled: 1-line block ×3, first 2 shown]
	s_wait_loadcnt_dscnt 0x101
	v_dual_mul_f32 v124, v17, v10 :: v_dual_fmac_f32 v123, v8, v3
	v_fmac_f32_e32 v122, v6, v1
	v_fma_f32 v2, v5, v1, -v2
	v_add_f32_e32 v1, v21, v120
	v_add_f32_e32 v5, v22, v118
	v_mul_f32_e32 v6, v18, v10
	v_fma_f32 v3, v7, v3, -v4
	v_mul_f32_e32 v125, v19, v12
	v_add_f32_e32 v1, v1, v2
	v_add_f32_e32 v2, v5, v122
	v_mul_f32_e32 v4, v20, v12
	v_fmac_f32_e32 v124, v18, v9
	v_fma_f32 v5, v17, v9, -v6
	v_add_f32_e32 v1, v1, v3
	v_add_f32_e32 v2, v2, v123
	s_wait_loadcnt_dscnt 0x0
	v_mul_f32_e32 v128, v114, v14
	v_mul_f32_e32 v3, v115, v14
	v_fmac_f32_e32 v125, v20, v11
	v_fma_f32 v4, v19, v11, -v4
	v_dual_add_f32 v1, v1, v5 :: v_dual_add_f32 v2, v2, v124
	v_mul_f32_e32 v119, v116, v16
	v_dual_mul_f32 v5, v117, v16 :: v_dual_fmac_f32 v128, v115, v13
	v_fma_f32 v3, v114, v13, -v3
	s_delay_alu instid0(VALU_DEP_4) | instskip(NEXT) | instid1(VALU_DEP_4)
	v_dual_add_f32 v1, v1, v4 :: v_dual_add_f32 v2, v2, v125
	v_fmac_f32_e32 v119, v117, v15
	s_delay_alu instid0(VALU_DEP_4) | instskip(NEXT) | instid1(VALU_DEP_3)
	v_fma_f32 v4, v116, v15, -v5
	v_dual_add_f32 v1, v1, v3 :: v_dual_add_f32 v2, v2, v128
	s_delay_alu instid0(VALU_DEP_1) | instskip(NEXT) | instid1(VALU_DEP_1)
	v_dual_add_f32 v1, v1, v4 :: v_dual_add_f32 v2, v2, v119
	v_dual_sub_f32 v1, v126, v1 :: v_dual_sub_f32 v2, v127, v2
	scratch_store_b64 off, v[1:2], off offset:32
	v_cmpx_lt_u32_e32 3, v0
	s_cbranch_execz .LBB108_277
; %bb.276:
	scratch_load_b64 v[1:2], off, off offset:24
	v_mov_b32_e32 v3, 0
	s_delay_alu instid0(VALU_DEP_1)
	v_mov_b32_e32 v4, v3
	scratch_store_b64 off, v[3:4], off offset:24
	s_wait_loadcnt 0x0
	ds_store_b64 v23, v[1:2]
.LBB108_277:
	s_wait_alu 0xfffe
	s_or_b32 exec_lo, exec_lo, s0
	s_wait_storecnt_dscnt 0x0
	s_barrier_signal -1
	s_barrier_wait -1
	global_inv scope:SCOPE_SE
	s_clause 0x4
	scratch_load_b128 v[5:8], off, off offset:32
	scratch_load_b128 v[1:4], off, off offset:48
	;; [unrolled: 1-line block ×5, first 2 shown]
	v_mov_b32_e32 v21, 0
	ds_load_b128 v[114:117], v21 offset:400
	ds_load_b128 v[118:121], v21 offset:416
	;; [unrolled: 1-line block ×3, first 2 shown]
	scratch_load_b64 v[126:127], off, off offset:24
	s_mov_b32 s0, exec_lo
	s_wait_loadcnt_dscnt 0x502
	v_mul_f32_e32 v22, v115, v6
	v_dual_mul_f32 v128, v114, v6 :: v_dual_mul_f32 v129, v116, v8
	v_mul_f32_e32 v6, v117, v8
	s_delay_alu instid0(VALU_DEP_3) | instskip(NEXT) | instid1(VALU_DEP_3)
	v_fma_f32 v22, v114, v5, -v22
	v_dual_fmac_f32 v128, v115, v5 :: v_dual_fmac_f32 v129, v117, v7
	s_wait_loadcnt_dscnt 0x401
	v_mul_f32_e32 v115, v118, v2
	v_fma_f32 v114, v116, v7, -v6
	ds_load_b128 v[5:8], v21 offset:448
	s_wait_loadcnt_dscnt 0x301
	v_dual_mul_f32 v116, v120, v4 :: v_dual_mul_f32 v117, v122, v10
	v_dual_mul_f32 v4, v121, v4 :: v_dual_fmac_f32 v115, v119, v1
	v_mul_f32_e32 v10, v123, v10
	s_delay_alu instid0(VALU_DEP_3)
	v_dual_mul_f32 v130, v124, v12 :: v_dual_fmac_f32 v117, v123, v9
	v_mul_f32_e32 v12, v125, v12
	v_mul_f32_e32 v2, v119, v2
	v_fmac_f32_e32 v116, v121, v3
	v_fma_f32 v119, v120, v3, -v4
	v_fma_f32 v120, v122, v9, -v10
	v_fmac_f32_e32 v130, v125, v11
	v_fma_f32 v121, v124, v11, -v12
	ds_load_b128 v[9:12], v21 offset:464
	s_wait_loadcnt_dscnt 0x201
	v_dual_mul_f32 v123, v7, v16 :: v_dual_mul_f32 v122, v5, v14
	v_mul_f32_e32 v14, v6, v14
	v_mul_f32_e32 v16, v8, v16
	s_delay_alu instid0(VALU_DEP_3)
	v_fmac_f32_e32 v123, v8, v15
	v_fma_f32 v118, v118, v1, -v2
	scratch_load_b128 v[1:4], off, off offset:112
	v_fmac_f32_e32 v122, v6, v13
	v_fma_f32 v13, v5, v13, -v14
	v_fma_f32 v14, v7, v15, -v16
	ds_load_b128 v[5:8], v21 offset:480
	s_wait_loadcnt_dscnt 0x201
	v_mul_f32_e32 v15, v9, v18
	v_mul_f32_e32 v16, v10, v18
	;; [unrolled: 1-line block ×3, first 2 shown]
	s_delay_alu instid0(VALU_DEP_3) | instskip(NEXT) | instid1(VALU_DEP_3)
	v_dual_mul_f32 v20, v12, v20 :: v_dual_fmac_f32 v15, v10, v17
	v_fma_f32 v16, v9, v17, -v16
	s_delay_alu instid0(VALU_DEP_3) | instskip(NEXT) | instid1(VALU_DEP_3)
	v_fmac_f32_e32 v18, v12, v19
	v_fma_f32 v17, v11, v19, -v20
	scratch_load_b128 v[9:12], off, off offset:128
	s_wait_loadcnt_dscnt 0x100
	v_mul_f32_e32 v19, v5, v2
	v_mul_f32_e32 v2, v6, v2
	;; [unrolled: 1-line block ×3, first 2 shown]
	s_delay_alu instid0(VALU_DEP_3) | instskip(NEXT) | instid1(VALU_DEP_3)
	v_dual_mul_f32 v4, v8, v4 :: v_dual_fmac_f32 v19, v6, v1
	v_fma_f32 v124, v5, v1, -v2
	s_delay_alu instid0(VALU_DEP_3) | instskip(NEXT) | instid1(VALU_DEP_3)
	v_fmac_f32_e32 v20, v8, v3
	v_fma_f32 v125, v7, v3, -v4
	ds_load_b128 v[1:4], v21 offset:496
	ds_load_b128 v[5:8], v21 offset:512
	s_wait_loadcnt_dscnt 0x1
	v_mul_f32_e32 v131, v1, v10
	v_mul_f32_e32 v10, v2, v10
	s_delay_alu instid0(VALU_DEP_2) | instskip(NEXT) | instid1(VALU_DEP_2)
	v_dual_mul_f32 v132, v3, v12 :: v_dual_fmac_f32 v131, v2, v9
	v_fma_f32 v133, v1, v9, -v10
	v_mul_f32_e32 v1, v4, v12
	s_delay_alu instid0(VALU_DEP_3) | instskip(NEXT) | instid1(VALU_DEP_2)
	v_fmac_f32_e32 v132, v4, v11
	v_fma_f32 v134, v3, v11, -v1
	s_clause 0x1
	scratch_load_b128 v[1:4], off, off offset:144
	scratch_load_b128 v[9:12], off, off offset:160
	s_wait_loadcnt_dscnt 0x100
	v_mul_f32_e32 v135, v5, v2
	v_dual_mul_f32 v2, v6, v2 :: v_dual_mul_f32 v137, v7, v4
	s_delay_alu instid0(VALU_DEP_2) | instskip(NEXT) | instid1(VALU_DEP_2)
	v_fmac_f32_e32 v135, v6, v1
	v_fma_f32 v136, v5, v1, -v2
	v_mul_f32_e32 v1, v8, v4
	s_delay_alu instid0(VALU_DEP_4) | instskip(NEXT) | instid1(VALU_DEP_2)
	v_fmac_f32_e32 v137, v8, v3
	v_fma_f32 v138, v7, v3, -v1
	ds_load_b128 v[1:4], v21 offset:528
	ds_load_b128 v[5:8], v21 offset:544
	s_wait_loadcnt_dscnt 0x1
	v_mul_f32_e32 v139, v1, v10
	v_mul_f32_e32 v141, v3, v12
	s_delay_alu instid0(VALU_DEP_2) | instskip(NEXT) | instid1(VALU_DEP_2)
	v_fmac_f32_e32 v139, v2, v9
	v_dual_mul_f32 v2, v2, v10 :: v_dual_fmac_f32 v141, v4, v11
	s_delay_alu instid0(VALU_DEP_1) | instskip(SKIP_1) | instid1(VALU_DEP_1)
	v_fma_f32 v140, v1, v9, -v2
	v_mul_f32_e32 v1, v4, v12
	v_fma_f32 v142, v3, v11, -v1
	s_clause 0x1
	scratch_load_b128 v[1:4], off, off offset:176
	scratch_load_b128 v[9:12], off, off offset:192
	s_wait_loadcnt_dscnt 0x100
	v_mul_f32_e32 v143, v5, v2
	v_dual_mul_f32 v145, v7, v4 :: v_dual_mul_f32 v2, v6, v2
	s_delay_alu instid0(VALU_DEP_2) | instskip(NEXT) | instid1(VALU_DEP_2)
	v_fmac_f32_e32 v143, v6, v1
	v_fmac_f32_e32 v145, v8, v3
	s_delay_alu instid0(VALU_DEP_3) | instskip(SKIP_1) | instid1(VALU_DEP_1)
	v_fma_f32 v144, v5, v1, -v2
	v_mul_f32_e32 v1, v8, v4
	v_fma_f32 v146, v7, v3, -v1
	ds_load_b128 v[1:4], v21 offset:560
	ds_load_b128 v[5:8], v21 offset:576
	s_wait_loadcnt_dscnt 0x1
	v_mul_f32_e32 v147, v1, v10
	v_mul_f32_e32 v149, v3, v12
	s_delay_alu instid0(VALU_DEP_2) | instskip(NEXT) | instid1(VALU_DEP_2)
	v_fmac_f32_e32 v147, v2, v9
	v_dual_mul_f32 v2, v2, v10 :: v_dual_fmac_f32 v149, v4, v11
	s_delay_alu instid0(VALU_DEP_1) | instskip(SKIP_1) | instid1(VALU_DEP_1)
	v_fma_f32 v148, v1, v9, -v2
	v_mul_f32_e32 v1, v4, v12
	v_fma_f32 v150, v3, v11, -v1
	s_clause 0x1
	scratch_load_b128 v[1:4], off, off offset:208
	scratch_load_b128 v[9:12], off, off offset:224
	s_wait_loadcnt_dscnt 0x100
	v_mul_f32_e32 v151, v5, v2
	v_dual_mul_f32 v2, v6, v2 :: v_dual_mul_f32 v153, v7, v4
	s_delay_alu instid0(VALU_DEP_2) | instskip(NEXT) | instid1(VALU_DEP_2)
	v_fmac_f32_e32 v151, v6, v1
	v_fma_f32 v152, v5, v1, -v2
	v_mul_f32_e32 v1, v8, v4
	s_delay_alu instid0(VALU_DEP_4) | instskip(NEXT) | instid1(VALU_DEP_2)
	v_fmac_f32_e32 v153, v8, v3
	v_fma_f32 v154, v7, v3, -v1
	ds_load_b128 v[1:4], v21 offset:592
	ds_load_b128 v[5:8], v21 offset:608
	s_wait_loadcnt_dscnt 0x1
	v_mul_f32_e32 v155, v1, v10
	v_mul_f32_e32 v157, v3, v12
	s_delay_alu instid0(VALU_DEP_2) | instskip(NEXT) | instid1(VALU_DEP_2)
	v_fmac_f32_e32 v155, v2, v9
	v_dual_mul_f32 v2, v2, v10 :: v_dual_fmac_f32 v157, v4, v11
	s_delay_alu instid0(VALU_DEP_1) | instskip(SKIP_1) | instid1(VALU_DEP_1)
	v_fma_f32 v156, v1, v9, -v2
	v_mul_f32_e32 v1, v4, v12
	v_fma_f32 v158, v3, v11, -v1
	s_clause 0x1
	scratch_load_b128 v[1:4], off, off offset:240
	scratch_load_b128 v[9:12], off, off offset:256
	s_wait_loadcnt_dscnt 0x100
	v_mul_f32_e32 v159, v5, v2
	v_dual_mul_f32 v2, v6, v2 :: v_dual_mul_f32 v161, v7, v4
	s_delay_alu instid0(VALU_DEP_2) | instskip(NEXT) | instid1(VALU_DEP_2)
	v_fmac_f32_e32 v159, v6, v1
	v_fma_f32 v160, v5, v1, -v2
	v_mul_f32_e32 v1, v8, v4
	s_delay_alu instid0(VALU_DEP_4) | instskip(NEXT) | instid1(VALU_DEP_2)
	v_fmac_f32_e32 v161, v8, v3
	v_fma_f32 v162, v7, v3, -v1
	ds_load_b128 v[1:4], v21 offset:624
	ds_load_b128 v[5:8], v21 offset:640
	s_wait_loadcnt_dscnt 0x1
	v_mul_f32_e32 v163, v1, v10
	v_mul_f32_e32 v165, v3, v12
	s_delay_alu instid0(VALU_DEP_2) | instskip(NEXT) | instid1(VALU_DEP_2)
	v_fmac_f32_e32 v163, v2, v9
	v_dual_mul_f32 v2, v2, v10 :: v_dual_fmac_f32 v165, v4, v11
	s_delay_alu instid0(VALU_DEP_1) | instskip(SKIP_1) | instid1(VALU_DEP_1)
	v_fma_f32 v164, v1, v9, -v2
	v_mul_f32_e32 v1, v4, v12
	v_fma_f32 v166, v3, v11, -v1
	s_clause 0x1
	scratch_load_b128 v[1:4], off, off offset:272
	scratch_load_b128 v[9:12], off, off offset:288
	s_wait_loadcnt_dscnt 0x100
	v_mul_f32_e32 v167, v5, v2
	v_mul_f32_e32 v2, v6, v2
	s_delay_alu instid0(VALU_DEP_1) | instskip(SKIP_1) | instid1(VALU_DEP_1)
	v_fma_f32 v168, v5, v1, -v2
	v_add_f32_e32 v2, 0, v128
	v_add_f32_e32 v2, v2, v129
	s_delay_alu instid0(VALU_DEP_1) | instskip(NEXT) | instid1(VALU_DEP_1)
	v_add_f32_e32 v2, v2, v115
	v_add_f32_e32 v2, v2, v116
	s_delay_alu instid0(VALU_DEP_1) | instskip(NEXT) | instid1(VALU_DEP_1)
	;; [unrolled: 3-line block ×7, first 2 shown]
	v_add_f32_e32 v2, v2, v135
	v_add_f32_e32 v2, v2, v137
	v_fmac_f32_e32 v167, v6, v1
	v_mul_f32_e32 v1, v8, v4
	s_delay_alu instid0(VALU_DEP_3) | instskip(NEXT) | instid1(VALU_DEP_2)
	v_add_f32_e32 v5, v2, v139
	v_fma_f32 v170, v7, v3, -v1
	v_add_f32_e32 v1, 0, v22
	s_delay_alu instid0(VALU_DEP_3) | instskip(NEXT) | instid1(VALU_DEP_2)
	v_add_f32_e32 v5, v5, v141
	v_add_f32_e32 v1, v1, v114
	s_delay_alu instid0(VALU_DEP_2) | instskip(SKIP_1) | instid1(VALU_DEP_3)
	v_add_f32_e32 v5, v5, v143
	v_mul_f32_e32 v169, v7, v4
	v_add_f32_e32 v1, v1, v118
	s_delay_alu instid0(VALU_DEP_1) | instskip(SKIP_2) | instid1(VALU_DEP_1)
	v_add_f32_e32 v1, v1, v119
	scratch_load_b64 v[118:119], off, off offset:352
	v_add_f32_e32 v1, v1, v120
	v_add_f32_e32 v1, v1, v121
	s_delay_alu instid0(VALU_DEP_1) | instskip(NEXT) | instid1(VALU_DEP_1)
	v_add_f32_e32 v1, v1, v13
	v_add_f32_e32 v1, v1, v14
	;; [unrolled: 1-line block ×3, first 2 shown]
	s_delay_alu instid0(VALU_DEP_2) | instskip(NEXT) | instid1(VALU_DEP_1)
	v_add_f32_e32 v1, v1, v16
	v_add_f32_e32 v1, v1, v17
	s_delay_alu instid0(VALU_DEP_1) | instskip(NEXT) | instid1(VALU_DEP_1)
	v_add_f32_e32 v1, v1, v124
	v_add_f32_e32 v1, v1, v125
	s_delay_alu instid0(VALU_DEP_1) | instskip(NEXT) | instid1(VALU_DEP_1)
	;; [unrolled: 3-line block ×4, first 2 shown]
	v_add_f32_e32 v1, v1, v140
	v_dual_add_f32 v6, v1, v142 :: v_dual_fmac_f32 v169, v8, v3
	ds_load_b128 v[1:4], v21 offset:656
	v_add_f32_e32 v14, v14, v147
	v_add_f32_e32 v6, v6, v144
	s_delay_alu instid0(VALU_DEP_2) | instskip(NEXT) | instid1(VALU_DEP_2)
	v_add_f32_e32 v14, v14, v149
	v_add_f32_e32 v13, v6, v146
	ds_load_b128 v[5:8], v21 offset:672
	s_wait_loadcnt_dscnt 0x101
	v_mul_f32_e32 v22, v1, v10
	v_mul_f32_e32 v10, v2, v10
	;; [unrolled: 1-line block ×3, first 2 shown]
	v_dual_mul_f32 v12, v4, v12 :: v_dual_add_f32 v17, v14, v151
	s_delay_alu instid0(VALU_DEP_4) | instskip(NEXT) | instid1(VALU_DEP_4)
	v_fmac_f32_e32 v22, v2, v9
	v_fma_f32 v123, v1, v9, -v10
	s_delay_alu instid0(VALU_DEP_4) | instskip(NEXT) | instid1(VALU_DEP_4)
	v_fmac_f32_e32 v122, v4, v11
	v_fma_f32 v124, v3, v11, -v12
	s_clause 0x1
	scratch_load_b128 v[1:4], off, off offset:304
	scratch_load_b128 v[9:12], off, off offset:320
	v_add_f32_e32 v17, v17, v153
	s_delay_alu instid0(VALU_DEP_1) | instskip(NEXT) | instid1(VALU_DEP_1)
	v_add_f32_e32 v17, v17, v155
	v_add_f32_e32 v17, v17, v157
	s_delay_alu instid0(VALU_DEP_1) | instskip(NEXT) | instid1(VALU_DEP_1)
	v_add_f32_e32 v17, v17, v159
	v_add_f32_e32 v114, v17, v161
	s_delay_alu instid0(VALU_DEP_1)
	v_add_f32_e32 v121, v114, v163
	ds_load_b128 v[114:117], v21 offset:704
	v_add_f32_e32 v128, v121, v165
	s_wait_loadcnt_dscnt 0x101
	v_dual_mul_f32 v129, v5, v2 :: v_dual_mul_f32 v130, v7, v4
	v_dual_add_f32 v13, v13, v148 :: v_dual_mul_f32 v2, v6, v2
	s_delay_alu instid0(VALU_DEP_2) | instskip(NEXT) | instid1(VALU_DEP_2)
	v_dual_mul_f32 v4, v8, v4 :: v_dual_fmac_f32 v129, v6, v1
	v_dual_fmac_f32 v130, v8, v3 :: v_dual_add_f32 v13, v13, v150
	s_delay_alu instid0(VALU_DEP_3) | instskip(NEXT) | instid1(VALU_DEP_3)
	v_fma_f32 v2, v5, v1, -v2
	v_fma_f32 v1, v7, v3, -v4
	s_delay_alu instid0(VALU_DEP_3) | instskip(NEXT) | instid1(VALU_DEP_1)
	v_add_f32_e32 v13, v13, v152
	v_add_f32_e32 v18, v13, v154
	scratch_load_b128 v[13:16], off, off offset:336
	v_add_f32_e32 v128, v128, v167
	v_add_f32_e32 v18, v18, v156
	s_delay_alu instid0(VALU_DEP_2) | instskip(NEXT) | instid1(VALU_DEP_2)
	v_add_f32_e32 v128, v128, v169
	v_add_f32_e32 v18, v18, v158
	s_delay_alu instid0(VALU_DEP_2) | instskip(NEXT) | instid1(VALU_DEP_2)
	;; [unrolled: 3-line block ×3, first 2 shown]
	v_add_f32_e32 v22, v22, v122
	v_add_f32_e32 v18, v18, v162
	s_delay_alu instid0(VALU_DEP_1)
	v_add_f32_e32 v120, v18, v164
	ds_load_b128 v[17:20], v21 offset:688
	v_add_f32_e32 v125, v120, v166
	ds_load_b64 v[120:121], v21 offset:720
	s_wait_loadcnt_dscnt 0x101
	v_dual_mul_f32 v3, v18, v10 :: v_dual_mul_f32 v128, v19, v12
	v_mul_f32_e32 v5, v20, v12
	s_delay_alu instid0(VALU_DEP_2) | instskip(NEXT) | instid1(VALU_DEP_3)
	v_fma_f32 v3, v17, v9, -v3
	v_fmac_f32_e32 v128, v20, v11
	s_delay_alu instid0(VALU_DEP_3) | instskip(SKIP_2) | instid1(VALU_DEP_1)
	v_fma_f32 v5, v19, v11, -v5
	s_wait_dscnt 0x0
	v_mul_f32_e32 v122, v120, v119
	v_fmac_f32_e32 v122, v121, v118
	v_add_f32_e32 v4, v22, v129
	s_wait_loadcnt 0x0
	v_mul_f32_e32 v131, v114, v14
	s_delay_alu instid0(VALU_DEP_1) | instskip(SKIP_1) | instid1(VALU_DEP_1)
	v_fmac_f32_e32 v131, v115, v13
	v_add_f32_e32 v125, v125, v168
	v_add_f32_e32 v125, v125, v170
	s_delay_alu instid0(VALU_DEP_1) | instskip(SKIP_1) | instid1(VALU_DEP_2)
	v_add_f32_e32 v123, v125, v123
	v_mul_f32_e32 v125, v17, v10
	v_add_f32_e32 v123, v123, v124
	s_delay_alu instid0(VALU_DEP_2) | instskip(NEXT) | instid1(VALU_DEP_2)
	v_dual_fmac_f32 v125, v18, v9 :: v_dual_mul_f32 v124, v116, v16
	v_add_f32_e32 v2, v123, v2
	s_delay_alu instid0(VALU_DEP_1) | instskip(SKIP_1) | instid1(VALU_DEP_2)
	v_dual_fmac_f32 v124, v117, v15 :: v_dual_add_f32 v1, v2, v1
	v_add_f32_e32 v2, v4, v130
	v_dual_mul_f32 v4, v115, v14 :: v_dual_add_f32 v1, v1, v3
	s_delay_alu instid0(VALU_DEP_2) | instskip(NEXT) | instid1(VALU_DEP_2)
	v_dual_add_f32 v2, v2, v125 :: v_dual_mul_f32 v3, v117, v16
	v_fma_f32 v4, v114, v13, -v4
	s_delay_alu instid0(VALU_DEP_2) | instskip(SKIP_1) | instid1(VALU_DEP_4)
	v_dual_add_f32 v1, v1, v5 :: v_dual_add_f32 v2, v2, v128
	v_mul_f32_e32 v5, v121, v119
	v_fma_f32 v3, v116, v15, -v3
	s_delay_alu instid0(VALU_DEP_3) | instskip(NEXT) | instid1(VALU_DEP_3)
	v_dual_add_f32 v1, v1, v4 :: v_dual_add_f32 v2, v2, v131
	v_fma_f32 v4, v120, v118, -v5
	s_delay_alu instid0(VALU_DEP_2) | instskip(NEXT) | instid1(VALU_DEP_1)
	v_dual_add_f32 v1, v1, v3 :: v_dual_add_f32 v2, v2, v124
	v_dual_add_f32 v1, v1, v4 :: v_dual_add_f32 v2, v2, v122
	s_delay_alu instid0(VALU_DEP_1)
	v_dual_sub_f32 v1, v126, v1 :: v_dual_sub_f32 v2, v127, v2
	scratch_store_b64 off, v[1:2], off offset:24
	v_cmpx_lt_u32_e32 2, v0
	s_cbranch_execz .LBB108_279
; %bb.278:
	scratch_load_b64 v[1:2], off, off offset:16
	v_mov_b32_e32 v22, v21
	scratch_store_b64 off, v[21:22], off offset:16
	s_wait_loadcnt 0x0
	ds_store_b64 v23, v[1:2]
.LBB108_279:
	s_wait_alu 0xfffe
	s_or_b32 exec_lo, exec_lo, s0
	s_wait_storecnt_dscnt 0x0
	s_barrier_signal -1
	s_barrier_wait -1
	global_inv scope:SCOPE_SE
	s_clause 0x4
	scratch_load_b128 v[5:8], off, off offset:24
	scratch_load_b128 v[1:4], off, off offset:40
	;; [unrolled: 1-line block ×5, first 2 shown]
	ds_load_2addr_b64 v[114:117], v21 offset0:49 offset1:50
	ds_load_2addr_b64 v[118:121], v21 offset0:51 offset1:52
	ds_load_2addr_b64 v[122:125], v21 offset0:53 offset1:54
	scratch_load_b64 v[126:127], off, off offset:16
	s_mov_b32 s0, exec_lo
	s_wait_loadcnt_dscnt 0x502
	v_dual_mul_f32 v22, v115, v6 :: v_dual_mul_f32 v129, v116, v8
	v_mul_f32_e32 v128, v114, v6
	v_mul_f32_e32 v6, v117, v8
	s_wait_loadcnt_dscnt 0x300
	v_mul_f32_e32 v130, v124, v12
	v_fma_f32 v22, v114, v5, -v22
	v_dual_fmac_f32 v129, v117, v7 :: v_dual_fmac_f32 v128, v115, v5
	v_mul_f32_e32 v117, v122, v10
	v_mul_f32_e32 v115, v118, v2
	v_fma_f32 v114, v116, v7, -v6
	ds_load_2addr_b64 v[5:8], v21 offset0:55 offset1:56
	v_mul_f32_e32 v116, v120, v4
	v_dual_mul_f32 v4, v121, v4 :: v_dual_fmac_f32 v117, v123, v9
	v_mul_f32_e32 v10, v123, v10
	v_mul_f32_e32 v12, v125, v12
	;; [unrolled: 1-line block ×3, first 2 shown]
	v_dual_fmac_f32 v115, v119, v1 :: v_dual_fmac_f32 v116, v121, v3
	v_fma_f32 v119, v120, v3, -v4
	v_fma_f32 v120, v122, v9, -v10
	v_fmac_f32_e32 v130, v125, v11
	v_fma_f32 v121, v124, v11, -v12
	ds_load_2addr_b64 v[9:12], v21 offset0:57 offset1:58
	s_wait_loadcnt_dscnt 0x201
	v_dual_mul_f32 v123, v7, v16 :: v_dual_mul_f32 v122, v5, v14
	s_delay_alu instid0(VALU_DEP_1)
	v_dual_mul_f32 v14, v6, v14 :: v_dual_fmac_f32 v123, v8, v15
	v_fma_f32 v118, v118, v1, -v2
	scratch_load_b128 v[1:4], off, off offset:104
	v_mul_f32_e32 v16, v8, v16
	v_fmac_f32_e32 v122, v6, v13
	v_fma_f32 v13, v5, v13, -v14
	s_delay_alu instid0(VALU_DEP_3)
	v_fma_f32 v14, v7, v15, -v16
	s_wait_loadcnt_dscnt 0x200
	v_mul_f32_e32 v15, v9, v18
	v_mul_f32_e32 v16, v10, v18
	;; [unrolled: 1-line block ×4, first 2 shown]
	ds_load_2addr_b64 v[5:8], v21 offset0:59 offset1:60
	v_fmac_f32_e32 v15, v10, v17
	v_fma_f32 v16, v9, v17, -v16
	v_fmac_f32_e32 v18, v12, v19
	v_fma_f32 v17, v11, v19, -v20
	scratch_load_b128 v[9:12], off, off offset:120
	s_wait_loadcnt_dscnt 0x100
	v_mul_f32_e32 v19, v5, v2
	v_mul_f32_e32 v2, v6, v2
	;; [unrolled: 1-line block ×3, first 2 shown]
	s_delay_alu instid0(VALU_DEP_3) | instskip(NEXT) | instid1(VALU_DEP_3)
	v_dual_mul_f32 v4, v8, v4 :: v_dual_fmac_f32 v19, v6, v1
	v_fma_f32 v124, v5, v1, -v2
	s_delay_alu instid0(VALU_DEP_3) | instskip(NEXT) | instid1(VALU_DEP_3)
	v_fmac_f32_e32 v20, v8, v3
	v_fma_f32 v125, v7, v3, -v4
	ds_load_2addr_b64 v[1:4], v21 offset0:61 offset1:62
	ds_load_2addr_b64 v[5:8], v21 offset0:63 offset1:64
	s_wait_loadcnt_dscnt 0x1
	v_mul_f32_e32 v131, v1, v10
	v_mul_f32_e32 v10, v2, v10
	s_delay_alu instid0(VALU_DEP_2) | instskip(NEXT) | instid1(VALU_DEP_2)
	v_dual_mul_f32 v132, v3, v12 :: v_dual_fmac_f32 v131, v2, v9
	v_fma_f32 v133, v1, v9, -v10
	v_mul_f32_e32 v1, v4, v12
	s_delay_alu instid0(VALU_DEP_3) | instskip(NEXT) | instid1(VALU_DEP_2)
	v_fmac_f32_e32 v132, v4, v11
	v_fma_f32 v134, v3, v11, -v1
	s_clause 0x1
	scratch_load_b128 v[1:4], off, off offset:136
	scratch_load_b128 v[9:12], off, off offset:152
	s_wait_loadcnt_dscnt 0x100
	v_mul_f32_e32 v135, v5, v2
	v_dual_mul_f32 v2, v6, v2 :: v_dual_mul_f32 v137, v7, v4
	s_delay_alu instid0(VALU_DEP_2) | instskip(NEXT) | instid1(VALU_DEP_2)
	v_fmac_f32_e32 v135, v6, v1
	v_fma_f32 v136, v5, v1, -v2
	v_mul_f32_e32 v1, v8, v4
	s_delay_alu instid0(VALU_DEP_4) | instskip(NEXT) | instid1(VALU_DEP_2)
	v_fmac_f32_e32 v137, v8, v3
	v_fma_f32 v138, v7, v3, -v1
	ds_load_2addr_b64 v[1:4], v21 offset0:65 offset1:66
	ds_load_2addr_b64 v[5:8], v21 offset0:67 offset1:68
	s_wait_loadcnt_dscnt 0x1
	v_mul_f32_e32 v139, v1, v10
	v_mul_f32_e32 v141, v3, v12
	s_delay_alu instid0(VALU_DEP_2) | instskip(NEXT) | instid1(VALU_DEP_2)
	v_fmac_f32_e32 v139, v2, v9
	v_dual_mul_f32 v2, v2, v10 :: v_dual_fmac_f32 v141, v4, v11
	s_delay_alu instid0(VALU_DEP_1) | instskip(SKIP_1) | instid1(VALU_DEP_1)
	v_fma_f32 v140, v1, v9, -v2
	v_mul_f32_e32 v1, v4, v12
	v_fma_f32 v142, v3, v11, -v1
	s_clause 0x1
	scratch_load_b128 v[1:4], off, off offset:168
	scratch_load_b128 v[9:12], off, off offset:184
	s_wait_loadcnt_dscnt 0x100
	v_mul_f32_e32 v143, v5, v2
	v_dual_mul_f32 v2, v6, v2 :: v_dual_mul_f32 v145, v7, v4
	s_delay_alu instid0(VALU_DEP_2) | instskip(NEXT) | instid1(VALU_DEP_2)
	v_fmac_f32_e32 v143, v6, v1
	v_fma_f32 v144, v5, v1, -v2
	v_mul_f32_e32 v1, v8, v4
	s_delay_alu instid0(VALU_DEP_4) | instskip(NEXT) | instid1(VALU_DEP_2)
	v_fmac_f32_e32 v145, v8, v3
	v_fma_f32 v146, v7, v3, -v1
	ds_load_2addr_b64 v[1:4], v21 offset0:69 offset1:70
	ds_load_2addr_b64 v[5:8], v21 offset0:71 offset1:72
	s_wait_loadcnt_dscnt 0x1
	v_mul_f32_e32 v147, v1, v10
	v_mul_f32_e32 v149, v3, v12
	s_delay_alu instid0(VALU_DEP_2) | instskip(NEXT) | instid1(VALU_DEP_2)
	v_fmac_f32_e32 v147, v2, v9
	v_dual_mul_f32 v2, v2, v10 :: v_dual_fmac_f32 v149, v4, v11
	s_delay_alu instid0(VALU_DEP_1) | instskip(SKIP_1) | instid1(VALU_DEP_1)
	v_fma_f32 v148, v1, v9, -v2
	v_mul_f32_e32 v1, v4, v12
	;; [unrolled: 25-line block ×4, first 2 shown]
	v_fma_f32 v166, v3, v11, -v1
	s_clause 0x1
	scratch_load_b128 v[1:4], off, off offset:264
	scratch_load_b128 v[9:12], off, off offset:280
	s_wait_loadcnt_dscnt 0x100
	v_mul_f32_e32 v167, v5, v2
	v_mul_f32_e32 v2, v6, v2
	s_delay_alu instid0(VALU_DEP_1) | instskip(SKIP_1) | instid1(VALU_DEP_1)
	v_fma_f32 v168, v5, v1, -v2
	v_add_f32_e32 v2, 0, v128
	v_add_f32_e32 v2, v2, v129
	s_delay_alu instid0(VALU_DEP_1) | instskip(NEXT) | instid1(VALU_DEP_1)
	v_add_f32_e32 v2, v2, v115
	v_add_f32_e32 v2, v2, v116
	s_delay_alu instid0(VALU_DEP_1) | instskip(NEXT) | instid1(VALU_DEP_1)
	;; [unrolled: 3-line block ×6, first 2 shown]
	v_add_f32_e32 v2, v2, v131
	v_add_f32_e32 v2, v2, v132
	v_fmac_f32_e32 v167, v6, v1
	s_delay_alu instid0(VALU_DEP_2) | instskip(NEXT) | instid1(VALU_DEP_1)
	v_dual_add_f32 v2, v2, v135 :: v_dual_mul_f32 v169, v7, v4
	v_dual_add_f32 v2, v2, v137 :: v_dual_mul_f32 v1, v8, v4
	s_delay_alu instid0(VALU_DEP_1) | instskip(NEXT) | instid1(VALU_DEP_2)
	v_add_f32_e32 v2, v2, v139
	v_fma_f32 v170, v7, v3, -v1
	v_add_f32_e32 v1, 0, v22
	s_delay_alu instid0(VALU_DEP_3) | instskip(NEXT) | instid1(VALU_DEP_2)
	v_add_f32_e32 v5, v2, v141
	v_add_f32_e32 v1, v1, v114
	s_delay_alu instid0(VALU_DEP_1) | instskip(NEXT) | instid1(VALU_DEP_1)
	v_add_f32_e32 v1, v1, v118
	v_add_f32_e32 v1, v1, v119
	s_delay_alu instid0(VALU_DEP_1) | instskip(NEXT) | instid1(VALU_DEP_1)
	v_add_f32_e32 v1, v1, v120
	v_add_f32_e32 v1, v1, v121
	s_delay_alu instid0(VALU_DEP_1) | instskip(SKIP_1) | instid1(VALU_DEP_2)
	v_add_f32_e32 v1, v1, v13
	v_add_f32_e32 v13, v5, v143
	;; [unrolled: 1-line block ×3, first 2 shown]
	s_delay_alu instid0(VALU_DEP_2) | instskip(NEXT) | instid1(VALU_DEP_2)
	v_add_f32_e32 v13, v13, v145
	v_add_f32_e32 v1, v1, v16
	s_delay_alu instid0(VALU_DEP_1) | instskip(NEXT) | instid1(VALU_DEP_1)
	v_add_f32_e32 v1, v1, v17
	v_add_f32_e32 v1, v1, v124
	s_delay_alu instid0(VALU_DEP_1) | instskip(NEXT) | instid1(VALU_DEP_1)
	;; [unrolled: 3-line block ×5, first 2 shown]
	v_add_f32_e32 v1, v1, v142
	v_dual_add_f32 v6, v1, v144 :: v_dual_fmac_f32 v169, v8, v3
	ds_load_2addr_b64 v[1:4], v21 offset0:81 offset1:82
	v_dual_add_f32 v13, v13, v147 :: v_dual_add_f32 v14, v6, v146
	scratch_load_b128 v[5:8], off, off offset:296
	v_add_f32_e32 v18, v13, v149
	v_add_f32_e32 v14, v14, v148
	s_delay_alu instid0(VALU_DEP_1)
	v_add_f32_e32 v17, v14, v150
	ds_load_2addr_b64 v[13:16], v21 offset0:83 offset1:84
	v_add_f32_e32 v17, v17, v152
	s_wait_loadcnt_dscnt 0x101
	v_mul_f32_e32 v22, v1, v10
	v_mul_f32_e32 v10, v2, v10
	;; [unrolled: 1-line block ×4, first 2 shown]
	v_add_f32_e32 v18, v18, v151
	v_fmac_f32_e32 v22, v2, v9
	v_fma_f32 v119, v1, v9, -v10
	v_fmac_f32_e32 v118, v4, v11
	v_fma_f32 v120, v3, v11, -v12
	scratch_load_b128 v[9:12], off, off offset:328
	v_dual_add_f32 v17, v17, v154 :: v_dual_add_f32 v18, v18, v153
	scratch_load_b128 v[1:4], off, off offset:312
	v_dual_add_f32 v17, v17, v156 :: v_dual_add_f32 v114, v18, v155
	s_delay_alu instid0(VALU_DEP_1) | instskip(SKIP_3) | instid1(VALU_DEP_1)
	v_add_f32_e32 v115, v17, v158
	scratch_load_b128 v[17:20], off, off offset:344
	v_add_f32_e32 v114, v114, v157
	s_wait_loadcnt_dscnt 0x300
	v_dual_add_f32 v114, v114, v159 :: v_dual_mul_f32 v121, v13, v6
	v_mul_f32_e32 v6, v14, v6
	v_mul_f32_e32 v122, v15, v8
	s_delay_alu instid0(VALU_DEP_3) | instskip(NEXT) | instid1(VALU_DEP_3)
	v_dual_mul_f32 v8, v16, v8 :: v_dual_fmac_f32 v121, v14, v5
	v_fma_f32 v123, v13, v5, -v6
	s_delay_alu instid0(VALU_DEP_3) | instskip(NEXT) | instid1(VALU_DEP_3)
	v_fmac_f32_e32 v122, v16, v7
	v_fma_f32 v124, v15, v7, -v8
	ds_load_2addr_b64 v[5:8], v21 offset0:85 offset1:86
	v_add_f32_e32 v115, v115, v160
	v_add_f32_e32 v13, v114, v161
	s_delay_alu instid0(VALU_DEP_2) | instskip(NEXT) | instid1(VALU_DEP_1)
	v_add_f32_e32 v115, v115, v162
	v_dual_add_f32 v114, v115, v164 :: v_dual_add_f32 v115, v13, v163
	ds_load_2addr_b64 v[13:16], v21 offset0:87 offset1:88
	v_dual_add_f32 v125, v114, v166 :: v_dual_add_f32 v128, v115, v165
	ds_load_2addr_b64 v[114:117], v21 offset0:89 offset1:90
	v_add_f32_e32 v21, v125, v168
	s_delay_alu instid0(VALU_DEP_1) | instskip(NEXT) | instid1(VALU_DEP_1)
	v_add_f32_e32 v21, v21, v170
	v_add_f32_e32 v21, v21, v119
	s_wait_loadcnt_dscnt 0x102
	v_mul_f32_e32 v119, v7, v4
	v_mul_f32_e32 v4, v8, v4
	s_wait_dscnt 0x1
	v_mul_f32_e32 v129, v15, v12
	v_add_f32_e32 v21, v21, v120
	v_fmac_f32_e32 v119, v8, v3
	s_wait_loadcnt_dscnt 0x0
	v_mul_f32_e32 v120, v116, v20
	v_fma_f32 v3, v7, v3, -v4
	v_dual_mul_f32 v4, v16, v12 :: v_dual_add_f32 v21, v21, v123
	v_fmac_f32_e32 v129, v16, v11
	s_delay_alu instid0(VALU_DEP_4) | instskip(SKIP_3) | instid1(VALU_DEP_3)
	v_fmac_f32_e32 v120, v117, v19
	v_dual_add_f32 v125, v128, v167 :: v_dual_mul_f32 v128, v5, v2
	v_mul_f32_e32 v2, v6, v2
	v_fma_f32 v4, v15, v11, -v4
	v_add_f32_e32 v125, v125, v169
	s_delay_alu instid0(VALU_DEP_4) | instskip(NEXT) | instid1(VALU_DEP_4)
	v_fmac_f32_e32 v128, v6, v1
	v_fma_f32 v2, v5, v1, -v2
	v_dual_add_f32 v1, v21, v124 :: v_dual_mul_f32 v6, v14, v10
	s_delay_alu instid0(VALU_DEP_4) | instskip(SKIP_1) | instid1(VALU_DEP_3)
	v_add_f32_e32 v22, v125, v22
	v_mul_f32_e32 v125, v13, v10
	v_add_f32_e32 v1, v1, v2
	s_delay_alu instid0(VALU_DEP_3) | instskip(NEXT) | instid1(VALU_DEP_3)
	v_add_f32_e32 v22, v22, v118
	v_fmac_f32_e32 v125, v14, v9
	s_delay_alu instid0(VALU_DEP_3) | instskip(NEXT) | instid1(VALU_DEP_3)
	v_dual_mul_f32 v118, v114, v18 :: v_dual_add_f32 v1, v1, v3
	v_dual_mul_f32 v3, v115, v18 :: v_dual_add_f32 v22, v22, v121
	s_delay_alu instid0(VALU_DEP_2) | instskip(NEXT) | instid1(VALU_DEP_2)
	v_fmac_f32_e32 v118, v115, v17
	v_fma_f32 v3, v114, v17, -v3
	s_delay_alu instid0(VALU_DEP_3) | instskip(NEXT) | instid1(VALU_DEP_1)
	v_add_f32_e32 v5, v22, v122
	v_add_f32_e32 v2, v5, v128
	v_fma_f32 v5, v13, v9, -v6
	s_delay_alu instid0(VALU_DEP_1) | instskip(NEXT) | instid1(VALU_DEP_1)
	v_dual_add_f32 v2, v2, v119 :: v_dual_add_f32 v1, v1, v5
	v_dual_mul_f32 v5, v117, v20 :: v_dual_add_f32 v2, v2, v125
	s_delay_alu instid0(VALU_DEP_2) | instskip(NEXT) | instid1(VALU_DEP_2)
	v_add_f32_e32 v1, v1, v4
	v_fma_f32 v4, v116, v19, -v5
	s_delay_alu instid0(VALU_DEP_2) | instskip(NEXT) | instid1(VALU_DEP_1)
	v_dual_add_f32 v2, v2, v129 :: v_dual_add_f32 v1, v1, v3
	v_dual_add_f32 v2, v2, v118 :: v_dual_add_f32 v1, v1, v4
	s_delay_alu instid0(VALU_DEP_1) | instskip(NEXT) | instid1(VALU_DEP_1)
	v_add_f32_e32 v2, v2, v120
	v_dual_sub_f32 v1, v126, v1 :: v_dual_sub_f32 v2, v127, v2
	scratch_store_b64 off, v[1:2], off offset:16
	v_cmpx_lt_u32_e32 1, v0
	s_cbranch_execz .LBB108_281
; %bb.280:
	scratch_load_b64 v[1:2], off, off offset:8
	v_mov_b32_e32 v3, 0
	s_delay_alu instid0(VALU_DEP_1)
	v_mov_b32_e32 v4, v3
	scratch_store_b64 off, v[3:4], off offset:8
	s_wait_loadcnt 0x0
	ds_store_b64 v23, v[1:2]
.LBB108_281:
	s_wait_alu 0xfffe
	s_or_b32 exec_lo, exec_lo, s0
	s_wait_storecnt_dscnt 0x0
	s_barrier_signal -1
	s_barrier_wait -1
	global_inv scope:SCOPE_SE
	s_clause 0x4
	scratch_load_b128 v[5:8], off, off offset:16
	scratch_load_b128 v[1:4], off, off offset:32
	;; [unrolled: 1-line block ×5, first 2 shown]
	v_mov_b32_e32 v114, 0
	ds_load_b128 v[115:118], v114 offset:384
	ds_load_b128 v[119:122], v114 offset:400
	;; [unrolled: 1-line block ×3, first 2 shown]
	scratch_load_b64 v[21:22], off, off offset:8
	s_mov_b32 s0, exec_lo
	s_wait_loadcnt_dscnt 0x502
	v_mul_f32_e32 v127, v116, v6
	v_dual_mul_f32 v128, v115, v6 :: v_dual_mul_f32 v129, v117, v8
	v_mul_f32_e32 v6, v118, v8
	s_delay_alu instid0(VALU_DEP_3) | instskip(NEXT) | instid1(VALU_DEP_3)
	v_fma_f32 v115, v115, v5, -v127
	v_dual_fmac_f32 v128, v116, v5 :: v_dual_fmac_f32 v129, v118, v7
	s_delay_alu instid0(VALU_DEP_3)
	v_fma_f32 v116, v117, v7, -v6
	ds_load_b128 v[5:8], v114 offset:432
	s_wait_loadcnt_dscnt 0x402
	v_dual_mul_f32 v117, v119, v2 :: v_dual_mul_f32 v118, v121, v4
	s_wait_loadcnt_dscnt 0x301
	v_dual_mul_f32 v127, v123, v10 :: v_dual_mul_f32 v4, v122, v4
	v_mul_f32_e32 v10, v124, v10
	v_mul_f32_e32 v130, v125, v12
	;; [unrolled: 1-line block ×4, first 2 shown]
	v_dual_fmac_f32 v117, v120, v1 :: v_dual_fmac_f32 v118, v122, v3
	v_fma_f32 v120, v121, v3, -v4
	v_fmac_f32_e32 v127, v124, v9
	v_fma_f32 v121, v123, v9, -v10
	v_fmac_f32_e32 v130, v126, v11
	v_fma_f32 v122, v125, v11, -v12
	ds_load_b128 v[9:12], v114 offset:448
	s_wait_loadcnt_dscnt 0x201
	v_mul_f32_e32 v123, v5, v14
	v_mul_f32_e32 v14, v6, v14
	;; [unrolled: 1-line block ×3, first 2 shown]
	s_delay_alu instid0(VALU_DEP_3)
	v_dual_mul_f32 v16, v8, v16 :: v_dual_fmac_f32 v123, v6, v13
	v_fma_f32 v119, v119, v1, -v2
	scratch_load_b128 v[1:4], off, off offset:96
	v_fma_f32 v13, v5, v13, -v14
	v_fmac_f32_e32 v124, v8, v15
	v_fma_f32 v14, v7, v15, -v16
	ds_load_b128 v[5:8], v114 offset:464
	s_wait_loadcnt_dscnt 0x201
	v_mul_f32_e32 v15, v9, v18
	v_mul_f32_e32 v16, v10, v18
	;; [unrolled: 1-line block ×3, first 2 shown]
	s_delay_alu instid0(VALU_DEP_3) | instskip(NEXT) | instid1(VALU_DEP_3)
	v_dual_mul_f32 v20, v12, v20 :: v_dual_fmac_f32 v15, v10, v17
	v_fma_f32 v16, v9, v17, -v16
	s_delay_alu instid0(VALU_DEP_3) | instskip(NEXT) | instid1(VALU_DEP_3)
	v_fmac_f32_e32 v18, v12, v19
	v_fma_f32 v17, v11, v19, -v20
	scratch_load_b128 v[9:12], off, off offset:112
	s_wait_loadcnt_dscnt 0x100
	v_mul_f32_e32 v19, v5, v2
	v_mul_f32_e32 v2, v6, v2
	;; [unrolled: 1-line block ×3, first 2 shown]
	s_delay_alu instid0(VALU_DEP_3) | instskip(NEXT) | instid1(VALU_DEP_3)
	v_dual_mul_f32 v4, v8, v4 :: v_dual_fmac_f32 v19, v6, v1
	v_fma_f32 v125, v5, v1, -v2
	s_delay_alu instid0(VALU_DEP_3) | instskip(NEXT) | instid1(VALU_DEP_3)
	v_fmac_f32_e32 v20, v8, v3
	v_fma_f32 v126, v7, v3, -v4
	ds_load_b128 v[1:4], v114 offset:480
	ds_load_b128 v[5:8], v114 offset:496
	s_wait_loadcnt_dscnt 0x1
	v_mul_f32_e32 v131, v1, v10
	v_mul_f32_e32 v10, v2, v10
	s_delay_alu instid0(VALU_DEP_2) | instskip(NEXT) | instid1(VALU_DEP_2)
	v_dual_mul_f32 v132, v3, v12 :: v_dual_fmac_f32 v131, v2, v9
	v_fma_f32 v133, v1, v9, -v10
	v_mul_f32_e32 v1, v4, v12
	s_delay_alu instid0(VALU_DEP_3) | instskip(NEXT) | instid1(VALU_DEP_2)
	v_fmac_f32_e32 v132, v4, v11
	v_fma_f32 v134, v3, v11, -v1
	s_clause 0x1
	scratch_load_b128 v[1:4], off, off offset:128
	scratch_load_b128 v[9:12], off, off offset:144
	s_wait_loadcnt_dscnt 0x100
	v_mul_f32_e32 v135, v5, v2
	v_dual_mul_f32 v2, v6, v2 :: v_dual_mul_f32 v137, v7, v4
	s_delay_alu instid0(VALU_DEP_2) | instskip(NEXT) | instid1(VALU_DEP_2)
	v_fmac_f32_e32 v135, v6, v1
	v_fma_f32 v136, v5, v1, -v2
	v_mul_f32_e32 v1, v8, v4
	s_delay_alu instid0(VALU_DEP_4) | instskip(NEXT) | instid1(VALU_DEP_2)
	v_fmac_f32_e32 v137, v8, v3
	v_fma_f32 v138, v7, v3, -v1
	ds_load_b128 v[1:4], v114 offset:512
	ds_load_b128 v[5:8], v114 offset:528
	s_wait_loadcnt_dscnt 0x1
	v_mul_f32_e32 v139, v1, v10
	v_mul_f32_e32 v141, v3, v12
	s_delay_alu instid0(VALU_DEP_2) | instskip(NEXT) | instid1(VALU_DEP_2)
	v_fmac_f32_e32 v139, v2, v9
	v_dual_mul_f32 v2, v2, v10 :: v_dual_fmac_f32 v141, v4, v11
	s_delay_alu instid0(VALU_DEP_1) | instskip(SKIP_1) | instid1(VALU_DEP_1)
	v_fma_f32 v140, v1, v9, -v2
	v_mul_f32_e32 v1, v4, v12
	v_fma_f32 v142, v3, v11, -v1
	s_clause 0x1
	scratch_load_b128 v[1:4], off, off offset:160
	scratch_load_b128 v[9:12], off, off offset:176
	s_wait_loadcnt_dscnt 0x100
	v_mul_f32_e32 v143, v5, v2
	v_dual_mul_f32 v145, v7, v4 :: v_dual_mul_f32 v2, v6, v2
	s_delay_alu instid0(VALU_DEP_2) | instskip(NEXT) | instid1(VALU_DEP_2)
	v_fmac_f32_e32 v143, v6, v1
	v_fmac_f32_e32 v145, v8, v3
	s_delay_alu instid0(VALU_DEP_3) | instskip(SKIP_1) | instid1(VALU_DEP_1)
	v_fma_f32 v144, v5, v1, -v2
	v_mul_f32_e32 v1, v8, v4
	v_fma_f32 v146, v7, v3, -v1
	ds_load_b128 v[1:4], v114 offset:544
	ds_load_b128 v[5:8], v114 offset:560
	s_wait_loadcnt_dscnt 0x1
	v_mul_f32_e32 v147, v1, v10
	v_mul_f32_e32 v149, v3, v12
	s_delay_alu instid0(VALU_DEP_2) | instskip(NEXT) | instid1(VALU_DEP_2)
	v_fmac_f32_e32 v147, v2, v9
	v_dual_mul_f32 v2, v2, v10 :: v_dual_fmac_f32 v149, v4, v11
	s_delay_alu instid0(VALU_DEP_1) | instskip(SKIP_1) | instid1(VALU_DEP_1)
	v_fma_f32 v148, v1, v9, -v2
	v_mul_f32_e32 v1, v4, v12
	v_fma_f32 v150, v3, v11, -v1
	s_clause 0x1
	scratch_load_b128 v[1:4], off, off offset:192
	scratch_load_b128 v[9:12], off, off offset:208
	s_wait_loadcnt_dscnt 0x100
	v_mul_f32_e32 v151, v5, v2
	v_dual_mul_f32 v2, v6, v2 :: v_dual_mul_f32 v153, v7, v4
	s_delay_alu instid0(VALU_DEP_2) | instskip(NEXT) | instid1(VALU_DEP_2)
	v_fmac_f32_e32 v151, v6, v1
	v_fma_f32 v152, v5, v1, -v2
	v_mul_f32_e32 v1, v8, v4
	s_delay_alu instid0(VALU_DEP_4) | instskip(NEXT) | instid1(VALU_DEP_2)
	v_fmac_f32_e32 v153, v8, v3
	v_fma_f32 v154, v7, v3, -v1
	ds_load_b128 v[1:4], v114 offset:576
	ds_load_b128 v[5:8], v114 offset:592
	s_wait_loadcnt_dscnt 0x1
	v_mul_f32_e32 v155, v1, v10
	v_mul_f32_e32 v157, v3, v12
	s_delay_alu instid0(VALU_DEP_2) | instskip(NEXT) | instid1(VALU_DEP_2)
	v_fmac_f32_e32 v155, v2, v9
	v_dual_mul_f32 v2, v2, v10 :: v_dual_fmac_f32 v157, v4, v11
	s_delay_alu instid0(VALU_DEP_1) | instskip(SKIP_1) | instid1(VALU_DEP_1)
	v_fma_f32 v156, v1, v9, -v2
	v_mul_f32_e32 v1, v4, v12
	v_fma_f32 v158, v3, v11, -v1
	s_clause 0x1
	scratch_load_b128 v[1:4], off, off offset:224
	scratch_load_b128 v[9:12], off, off offset:240
	s_wait_loadcnt_dscnt 0x100
	v_mul_f32_e32 v159, v5, v2
	v_dual_mul_f32 v2, v6, v2 :: v_dual_mul_f32 v161, v7, v4
	s_delay_alu instid0(VALU_DEP_2) | instskip(NEXT) | instid1(VALU_DEP_2)
	v_fmac_f32_e32 v159, v6, v1
	v_fma_f32 v160, v5, v1, -v2
	v_mul_f32_e32 v1, v8, v4
	s_delay_alu instid0(VALU_DEP_4) | instskip(NEXT) | instid1(VALU_DEP_2)
	v_fmac_f32_e32 v161, v8, v3
	v_fma_f32 v162, v7, v3, -v1
	ds_load_b128 v[1:4], v114 offset:608
	ds_load_b128 v[5:8], v114 offset:624
	s_wait_loadcnt_dscnt 0x1
	v_mul_f32_e32 v163, v1, v10
	v_mul_f32_e32 v165, v3, v12
	s_delay_alu instid0(VALU_DEP_2) | instskip(NEXT) | instid1(VALU_DEP_2)
	v_fmac_f32_e32 v163, v2, v9
	v_dual_mul_f32 v2, v2, v10 :: v_dual_fmac_f32 v165, v4, v11
	s_delay_alu instid0(VALU_DEP_1) | instskip(SKIP_1) | instid1(VALU_DEP_1)
	v_fma_f32 v164, v1, v9, -v2
	v_mul_f32_e32 v1, v4, v12
	v_fma_f32 v166, v3, v11, -v1
	s_clause 0x1
	scratch_load_b128 v[1:4], off, off offset:256
	scratch_load_b128 v[9:12], off, off offset:272
	s_wait_loadcnt_dscnt 0x100
	v_mul_f32_e32 v167, v5, v2
	v_mul_f32_e32 v2, v6, v2
	s_delay_alu instid0(VALU_DEP_1) | instskip(SKIP_1) | instid1(VALU_DEP_1)
	v_fma_f32 v168, v5, v1, -v2
	v_add_f32_e32 v2, 0, v128
	v_add_f32_e32 v2, v2, v129
	s_delay_alu instid0(VALU_DEP_1) | instskip(NEXT) | instid1(VALU_DEP_1)
	v_add_f32_e32 v2, v2, v117
	v_add_f32_e32 v2, v2, v118
	s_delay_alu instid0(VALU_DEP_1) | instskip(NEXT) | instid1(VALU_DEP_1)
	;; [unrolled: 3-line block ×7, first 2 shown]
	v_add_f32_e32 v2, v2, v135
	v_add_f32_e32 v2, v2, v137
	v_fmac_f32_e32 v167, v6, v1
	v_mul_f32_e32 v1, v8, v4
	s_delay_alu instid0(VALU_DEP_3) | instskip(NEXT) | instid1(VALU_DEP_2)
	v_dual_mul_f32 v169, v7, v4 :: v_dual_add_f32 v2, v2, v139
	v_fma_f32 v170, v7, v3, -v1
	v_add_f32_e32 v1, 0, v115
	s_delay_alu instid0(VALU_DEP_3) | instskip(NEXT) | instid1(VALU_DEP_2)
	v_add_f32_e32 v5, v2, v141
	v_add_f32_e32 v1, v1, v116
	s_delay_alu instid0(VALU_DEP_1) | instskip(NEXT) | instid1(VALU_DEP_1)
	v_add_f32_e32 v1, v1, v119
	v_add_f32_e32 v1, v1, v120
	scratch_load_b64 v[119:120], off, off offset:352
	v_add_f32_e32 v1, v1, v121
	s_delay_alu instid0(VALU_DEP_1) | instskip(NEXT) | instid1(VALU_DEP_1)
	v_add_f32_e32 v1, v1, v122
	v_add_f32_e32 v1, v1, v13
	;; [unrolled: 1-line block ×3, first 2 shown]
	s_delay_alu instid0(VALU_DEP_2) | instskip(NEXT) | instid1(VALU_DEP_2)
	v_add_f32_e32 v1, v1, v14
	v_add_f32_e32 v13, v13, v145
	s_delay_alu instid0(VALU_DEP_2) | instskip(NEXT) | instid1(VALU_DEP_1)
	v_add_f32_e32 v1, v1, v16
	v_add_f32_e32 v1, v1, v17
	s_delay_alu instid0(VALU_DEP_1) | instskip(NEXT) | instid1(VALU_DEP_1)
	v_add_f32_e32 v1, v1, v125
	v_add_f32_e32 v1, v1, v126
	s_delay_alu instid0(VALU_DEP_1) | instskip(NEXT) | instid1(VALU_DEP_1)
	;; [unrolled: 3-line block ×4, first 2 shown]
	v_add_f32_e32 v1, v1, v140
	v_add_f32_e32 v1, v1, v142
	s_delay_alu instid0(VALU_DEP_1)
	v_dual_add_f32 v6, v1, v144 :: v_dual_fmac_f32 v169, v8, v3
	scratch_load_b128 v[1:4], off, off offset:288
	v_dual_add_f32 v13, v13, v147 :: v_dual_add_f32 v14, v6, v146
	ds_load_b128 v[5:8], v114 offset:640
	v_add_f32_e32 v18, v13, v149
	v_add_f32_e32 v14, v14, v148
	s_delay_alu instid0(VALU_DEP_1) | instskip(SKIP_2) | instid1(VALU_DEP_1)
	v_add_f32_e32 v17, v14, v150
	ds_load_b128 v[13:16], v114 offset:656
	v_add_f32_e32 v17, v17, v152
	v_add_f32_e32 v17, v17, v154
	s_wait_loadcnt_dscnt 0x201
	v_mul_f32_e32 v123, v5, v10
	v_mul_f32_e32 v10, v6, v10
	;; [unrolled: 1-line block ×4, first 2 shown]
	v_add_f32_e32 v18, v18, v151
	v_fmac_f32_e32 v123, v6, v9
	v_fma_f32 v125, v5, v9, -v10
	v_fmac_f32_e32 v124, v8, v11
	v_fma_f32 v126, v7, v11, -v12
	s_clause 0x1
	scratch_load_b128 v[5:8], off, off offset:304
	scratch_load_b128 v[9:12], off, off offset:320
	v_dual_add_f32 v18, v18, v153 :: v_dual_add_f32 v17, v17, v156
	s_delay_alu instid0(VALU_DEP_1) | instskip(SKIP_2) | instid1(VALU_DEP_1)
	v_dual_add_f32 v115, v18, v155 :: v_dual_add_f32 v116, v17, v158
	scratch_load_b128 v[17:20], off, off offset:336
	v_dual_add_f32 v115, v115, v157 :: v_dual_add_f32 v116, v116, v160
	v_dual_add_f32 v115, v115, v159 :: v_dual_add_f32 v116, v116, v162
	s_delay_alu instid0(VALU_DEP_1) | instskip(SKIP_4) | instid1(VALU_DEP_3)
	v_dual_add_f32 v115, v115, v161 :: v_dual_add_f32 v116, v116, v164
	s_wait_loadcnt_dscnt 0x300
	v_mul_f32_e32 v127, v13, v2
	v_mul_f32_e32 v2, v14, v2
	;; [unrolled: 1-line block ×3, first 2 shown]
	v_dual_mul_f32 v4, v16, v4 :: v_dual_fmac_f32 v127, v14, v1
	s_delay_alu instid0(VALU_DEP_3) | instskip(SKIP_1) | instid1(VALU_DEP_4)
	v_fma_f32 v129, v13, v1, -v2
	v_dual_add_f32 v13, v115, v163 :: v_dual_add_f32 v14, v116, v166
	v_fmac_f32_e32 v128, v16, v3
	s_delay_alu instid0(VALU_DEP_4)
	v_fma_f32 v130, v15, v3, -v4
	ds_load_b128 v[1:4], v114 offset:672
	v_add_f32_e32 v115, v13, v165
	v_add_f32_e32 v121, v14, v168
	ds_load_b128 v[13:16], v114 offset:688
	v_dual_add_f32 v122, v115, v167 :: v_dual_add_f32 v131, v121, v170
	ds_load_b128 v[115:118], v114 offset:704
	v_add_f32_e32 v132, v122, v169
	v_add_f32_e32 v125, v131, v125
	ds_load_b64 v[121:122], v114 offset:720
	v_add_f32_e32 v123, v132, v123
	v_add_f32_e32 v125, v125, v126
	s_delay_alu instid0(VALU_DEP_2) | instskip(SKIP_2) | instid1(VALU_DEP_3)
	v_add_f32_e32 v123, v123, v124
	s_wait_loadcnt_dscnt 0x203
	v_mul_f32_e32 v131, v1, v6
	v_dual_mul_f32 v6, v2, v6 :: v_dual_add_f32 v125, v125, v129
	v_mul_f32_e32 v124, v3, v8
	v_dual_add_f32 v123, v123, v127 :: v_dual_mul_f32 v8, v4, v8
	s_delay_alu instid0(VALU_DEP_3) | instskip(NEXT) | instid1(VALU_DEP_4)
	v_fma_f32 v1, v1, v5, -v6
	v_add_f32_e32 v125, v125, v130
	v_fmac_f32_e32 v131, v2, v5
	s_wait_loadcnt_dscnt 0x102
	v_dual_add_f32 v123, v123, v128 :: v_dual_mul_f32 v126, v13, v10
	v_fmac_f32_e32 v124, v4, v7
	v_fma_f32 v2, v3, v7, -v8
	v_mul_f32_e32 v3, v14, v10
	s_delay_alu instid0(VALU_DEP_4) | instskip(SKIP_2) | instid1(VALU_DEP_4)
	v_dual_add_f32 v1, v125, v1 :: v_dual_add_f32 v4, v123, v131
	v_mul_f32_e32 v127, v15, v12
	v_dual_mul_f32 v5, v16, v12 :: v_dual_fmac_f32 v126, v14, v9
	v_fma_f32 v3, v13, v9, -v3
	s_delay_alu instid0(VALU_DEP_4)
	v_dual_add_f32 v1, v1, v2 :: v_dual_add_f32 v2, v4, v124
	s_wait_loadcnt_dscnt 0x1
	v_mul_f32_e32 v129, v115, v18
	v_mul_f32_e32 v4, v116, v18
	v_fmac_f32_e32 v127, v16, v11
	v_fma_f32 v5, v15, v11, -v5
	v_dual_add_f32 v1, v1, v3 :: v_dual_add_f32 v2, v2, v126
	v_mul_f32_e32 v130, v117, v20
	v_mul_f32_e32 v3, v118, v20
	v_fmac_f32_e32 v129, v116, v17
	v_fma_f32 v4, v115, v17, -v4
	v_dual_add_f32 v1, v1, v5 :: v_dual_add_f32 v2, v2, v127
	s_wait_dscnt 0x0
	v_mul_f32_e32 v128, v121, v120
	v_mul_f32_e32 v5, v122, v120
	v_fmac_f32_e32 v130, v118, v19
	v_fma_f32 v3, v117, v19, -v3
	v_dual_add_f32 v1, v1, v4 :: v_dual_add_f32 v2, v2, v129
	v_fmac_f32_e32 v128, v122, v119
	v_fma_f32 v4, v121, v119, -v5
	s_delay_alu instid0(VALU_DEP_3) | instskip(NEXT) | instid1(VALU_DEP_1)
	v_dual_add_f32 v1, v1, v3 :: v_dual_add_f32 v2, v2, v130
	v_add_f32_e32 v1, v1, v4
	s_delay_alu instid0(VALU_DEP_1) | instskip(NEXT) | instid1(VALU_DEP_1)
	v_dual_add_f32 v2, v2, v128 :: v_dual_sub_f32 v1, v21, v1
	v_sub_f32_e32 v2, v22, v2
	scratch_store_b64 off, v[1:2], off offset:8
	v_cmpx_ne_u32_e32 0, v0
	s_cbranch_execz .LBB108_283
; %bb.282:
	scratch_load_b64 v[0:1], off, off
	v_mov_b32_e32 v115, v114
	scratch_store_b64 off, v[114:115], off
	s_wait_loadcnt 0x0
	ds_store_b64 v23, v[0:1]
.LBB108_283:
	s_wait_alu 0xfffe
	s_or_b32 exec_lo, exec_lo, s0
	s_wait_storecnt_dscnt 0x0
	s_barrier_signal -1
	s_barrier_wait -1
	global_inv scope:SCOPE_SE
	s_clause 0x6
	scratch_load_b128 v[0:3], off, off offset:8
	scratch_load_b128 v[4:7], off, off offset:24
	;; [unrolled: 1-line block ×7, first 2 shown]
	ds_load_2addr_b64 v[119:122], v114 offset0:47 offset1:48
	ds_load_2addr_b64 v[123:126], v114 offset0:49 offset1:50
	scratch_load_b64 v[127:128], off, off
	s_and_b32 vcc_lo, exec_lo, s12
	s_wait_loadcnt_dscnt 0x701
	v_mul_f32_e32 v129, v120, v1
	v_dual_mul_f32 v130, v119, v1 :: v_dual_mul_f32 v131, v121, v3
	s_delay_alu instid0(VALU_DEP_1) | instskip(NEXT) | instid1(VALU_DEP_2)
	v_dual_mul_f32 v1, v122, v3 :: v_dual_fmac_f32 v130, v120, v0
	v_fmac_f32_e32 v131, v122, v2
	s_delay_alu instid0(VALU_DEP_2)
	v_fma_f32 v120, v121, v2, -v1
	s_wait_loadcnt_dscnt 0x600
	v_mul_f32_e32 v122, v125, v7
	v_fma_f32 v119, v119, v0, -v129
	ds_load_2addr_b64 v[0:3], v114 offset0:51 offset1:52
	v_mul_f32_e32 v121, v123, v5
	v_mul_f32_e32 v5, v124, v5
	;; [unrolled: 1-line block ×3, first 2 shown]
	s_delay_alu instid0(VALU_DEP_3) | instskip(NEXT) | instid1(VALU_DEP_3)
	v_dual_fmac_f32 v122, v126, v6 :: v_dual_fmac_f32 v121, v124, v4
	v_fma_f32 v123, v123, v4, -v5
	s_delay_alu instid0(VALU_DEP_3)
	v_fma_f32 v124, v125, v6, -v7
	ds_load_2addr_b64 v[4:7], v114 offset0:53 offset1:54
	s_wait_loadcnt_dscnt 0x501
	v_mul_f32_e32 v125, v0, v9
	v_dual_mul_f32 v9, v1, v9 :: v_dual_mul_f32 v126, v2, v11
	v_mul_f32_e32 v11, v3, v11
	s_delay_alu instid0(VALU_DEP_3) | instskip(NEXT) | instid1(VALU_DEP_3)
	v_fmac_f32_e32 v125, v1, v8
	v_fma_f32 v129, v0, v8, -v9
	s_delay_alu instid0(VALU_DEP_4) | instskip(NEXT) | instid1(VALU_DEP_4)
	v_fmac_f32_e32 v126, v3, v10
	v_fma_f32 v132, v2, v10, -v11
	ds_load_2addr_b64 v[0:3], v114 offset0:55 offset1:56
	s_wait_loadcnt_dscnt 0x401
	v_mul_f32_e32 v133, v4, v13
	v_dual_mul_f32 v8, v5, v13 :: v_dual_mul_f32 v13, v6, v15
	v_mul_f32_e32 v9, v7, v15
	s_delay_alu instid0(VALU_DEP_3) | instskip(NEXT) | instid1(VALU_DEP_3)
	v_fmac_f32_e32 v133, v5, v12
	v_fma_f32 v12, v4, v12, -v8
	s_delay_alu instid0(VALU_DEP_4) | instskip(NEXT) | instid1(VALU_DEP_4)
	v_fmac_f32_e32 v13, v7, v14
	;; [unrolled: 11-line block ×4, first 2 shown]
	v_fma_f32 v22, v6, v22, -v9
	ds_load_2addr_b64 v[4:7], v114 offset0:61 offset1:62
	s_wait_loadcnt_dscnt 0x101
	v_mul_f32_e32 v23, v0, v116
	v_mul_f32_e32 v8, v1, v116
	;; [unrolled: 1-line block ×4, first 2 shown]
	s_delay_alu instid0(VALU_DEP_4) | instskip(NEXT) | instid1(VALU_DEP_4)
	v_fmac_f32_e32 v23, v1, v115
	v_fma_f32 v115, v0, v115, -v8
	s_delay_alu instid0(VALU_DEP_4) | instskip(NEXT) | instid1(VALU_DEP_4)
	v_fmac_f32_e32 v116, v3, v117
	v_fma_f32 v117, v2, v117, -v9
	s_clause 0x1
	scratch_load_b128 v[0:3], off, off offset:120
	scratch_load_b128 v[8:11], off, off offset:136
	s_wait_loadcnt_dscnt 0x100
	v_mul_f32_e32 v118, v4, v1
	v_mul_f32_e32 v1, v5, v1
	s_delay_alu instid0(VALU_DEP_2) | instskip(NEXT) | instid1(VALU_DEP_2)
	v_dual_mul_f32 v135, v6, v3 :: v_dual_fmac_f32 v118, v5, v0
	v_fma_f32 v134, v4, v0, -v1
	v_mul_f32_e32 v0, v7, v3
	s_delay_alu instid0(VALU_DEP_3) | instskip(NEXT) | instid1(VALU_DEP_2)
	v_fmac_f32_e32 v135, v7, v2
	v_fma_f32 v136, v6, v2, -v0
	ds_load_2addr_b64 v[0:3], v114 offset0:63 offset1:64
	ds_load_2addr_b64 v[4:7], v114 offset0:65 offset1:66
	s_wait_loadcnt_dscnt 0x1
	v_mul_f32_e32 v137, v0, v9
	v_mul_f32_e32 v139, v2, v11
	s_delay_alu instid0(VALU_DEP_2) | instskip(SKIP_1) | instid1(VALU_DEP_3)
	v_fmac_f32_e32 v137, v1, v8
	v_mul_f32_e32 v1, v1, v9
	v_fmac_f32_e32 v139, v3, v10
	s_delay_alu instid0(VALU_DEP_2) | instskip(SKIP_1) | instid1(VALU_DEP_1)
	v_fma_f32 v138, v0, v8, -v1
	v_mul_f32_e32 v0, v3, v11
	v_fma_f32 v140, v2, v10, -v0
	s_clause 0x1
	scratch_load_b128 v[0:3], off, off offset:152
	scratch_load_b128 v[8:11], off, off offset:168
	s_wait_loadcnt_dscnt 0x100
	v_mul_f32_e32 v141, v4, v1
	v_mul_f32_e32 v1, v5, v1
	;; [unrolled: 1-line block ×3, first 2 shown]
	s_delay_alu instid0(VALU_DEP_3) | instskip(NEXT) | instid1(VALU_DEP_3)
	v_fmac_f32_e32 v141, v5, v0
	v_fma_f32 v142, v4, v0, -v1
	v_mul_f32_e32 v0, v7, v3
	s_delay_alu instid0(VALU_DEP_1)
	v_fma_f32 v144, v6, v2, -v0
	v_fmac_f32_e32 v143, v7, v2
	ds_load_2addr_b64 v[0:3], v114 offset0:67 offset1:68
	ds_load_2addr_b64 v[4:7], v114 offset0:69 offset1:70
	s_wait_loadcnt_dscnt 0x1
	v_mul_f32_e32 v145, v0, v9
	s_delay_alu instid0(VALU_DEP_1) | instskip(SKIP_2) | instid1(VALU_DEP_2)
	v_fmac_f32_e32 v145, v1, v8
	v_mul_f32_e32 v1, v1, v9
	v_mul_f32_e32 v147, v2, v11
	v_fma_f32 v146, v0, v8, -v1
	v_mul_f32_e32 v0, v3, v11
	s_delay_alu instid0(VALU_DEP_3) | instskip(NEXT) | instid1(VALU_DEP_2)
	v_fmac_f32_e32 v147, v3, v10
	v_fma_f32 v148, v2, v10, -v0
	s_clause 0x1
	scratch_load_b128 v[0:3], off, off offset:184
	scratch_load_b128 v[8:11], off, off offset:200
	s_wait_loadcnt_dscnt 0x100
	v_mul_f32_e32 v151, v6, v3
	v_mul_f32_e32 v149, v4, v1
	s_delay_alu instid0(VALU_DEP_2) | instskip(SKIP_1) | instid1(VALU_DEP_3)
	v_fmac_f32_e32 v151, v7, v2
	v_mul_f32_e32 v1, v5, v1
	v_fmac_f32_e32 v149, v5, v0
	s_delay_alu instid0(VALU_DEP_2) | instskip(SKIP_1) | instid1(VALU_DEP_1)
	v_fma_f32 v150, v4, v0, -v1
	v_mul_f32_e32 v0, v7, v3
	v_fma_f32 v152, v6, v2, -v0
	ds_load_2addr_b64 v[0:3], v114 offset0:71 offset1:72
	ds_load_2addr_b64 v[4:7], v114 offset0:73 offset1:74
	s_wait_loadcnt_dscnt 0x1
	v_mul_f32_e32 v153, v0, v9
	v_mul_f32_e32 v155, v2, v11
	s_delay_alu instid0(VALU_DEP_2) | instskip(SKIP_1) | instid1(VALU_DEP_3)
	v_fmac_f32_e32 v153, v1, v8
	v_mul_f32_e32 v1, v1, v9
	v_fmac_f32_e32 v155, v3, v10
	s_delay_alu instid0(VALU_DEP_2) | instskip(SKIP_1) | instid1(VALU_DEP_1)
	v_fma_f32 v154, v0, v8, -v1
	v_mul_f32_e32 v0, v3, v11
	v_fma_f32 v156, v2, v10, -v0
	s_clause 0x1
	scratch_load_b128 v[0:3], off, off offset:216
	scratch_load_b128 v[8:11], off, off offset:232
	s_wait_loadcnt_dscnt 0x100
	v_mul_f32_e32 v157, v4, v1
	v_mul_f32_e32 v1, v5, v1
	;; [unrolled: 1-line block ×3, first 2 shown]
	s_delay_alu instid0(VALU_DEP_3) | instskip(NEXT) | instid1(VALU_DEP_3)
	v_fmac_f32_e32 v157, v5, v0
	v_fma_f32 v158, v4, v0, -v1
	v_mul_f32_e32 v0, v7, v3
	s_delay_alu instid0(VALU_DEP_4) | instskip(NEXT) | instid1(VALU_DEP_2)
	v_fmac_f32_e32 v159, v7, v2
	v_fma_f32 v160, v6, v2, -v0
	ds_load_2addr_b64 v[0:3], v114 offset0:75 offset1:76
	ds_load_2addr_b64 v[4:7], v114 offset0:77 offset1:78
	s_wait_loadcnt_dscnt 0x1
	v_mul_f32_e32 v161, v0, v9
	v_mul_f32_e32 v163, v2, v11
	s_delay_alu instid0(VALU_DEP_2) | instskip(SKIP_1) | instid1(VALU_DEP_3)
	v_fmac_f32_e32 v161, v1, v8
	v_mul_f32_e32 v1, v1, v9
	v_fmac_f32_e32 v163, v3, v10
	s_delay_alu instid0(VALU_DEP_2) | instskip(SKIP_1) | instid1(VALU_DEP_1)
	v_fma_f32 v162, v0, v8, -v1
	v_mul_f32_e32 v0, v3, v11
	v_fma_f32 v164, v2, v10, -v0
	s_clause 0x1
	scratch_load_b128 v[0:3], off, off offset:248
	scratch_load_b128 v[8:11], off, off offset:264
	s_wait_loadcnt_dscnt 0x100
	v_mul_f32_e32 v165, v4, v1
	v_mul_f32_e32 v1, v5, v1
	s_delay_alu instid0(VALU_DEP_2) | instskip(NEXT) | instid1(VALU_DEP_2)
	v_fmac_f32_e32 v165, v5, v0
	v_fma_f32 v166, v4, v0, -v1
	v_dual_mul_f32 v0, v7, v3 :: v_dual_add_f32 v1, 0, v130
	s_delay_alu instid0(VALU_DEP_1) | instskip(SKIP_1) | instid1(VALU_DEP_1)
	v_fma_f32 v168, v6, v2, -v0
	v_add_f32_e32 v0, 0, v119
	v_dual_add_f32 v1, v1, v131 :: v_dual_add_f32 v0, v0, v120
	s_delay_alu instid0(VALU_DEP_1) | instskip(NEXT) | instid1(VALU_DEP_1)
	v_dual_add_f32 v1, v1, v121 :: v_dual_add_f32 v0, v0, v123
	v_dual_add_f32 v1, v1, v122 :: v_dual_add_f32 v0, v0, v124
	s_delay_alu instid0(VALU_DEP_1) | instskip(NEXT) | instid1(VALU_DEP_1)
	v_add_f32_e32 v1, v1, v125
	v_dual_add_f32 v0, v0, v129 :: v_dual_add_f32 v1, v1, v126
	s_delay_alu instid0(VALU_DEP_1) | instskip(NEXT) | instid1(VALU_DEP_1)
	v_dual_add_f32 v0, v0, v132 :: v_dual_add_f32 v1, v1, v133
	v_dual_add_f32 v0, v0, v12 :: v_dual_add_f32 v1, v1, v13
	s_delay_alu instid0(VALU_DEP_1) | instskip(NEXT) | instid1(VALU_DEP_1)
	v_dual_add_f32 v0, v0, v14 :: v_dual_add_f32 v1, v1, v15
	;; [unrolled: 3-line block ×7, first 2 shown]
	v_add_f32_e32 v12, v4, v142
	s_delay_alu instid0(VALU_DEP_1) | instskip(NEXT) | instid1(VALU_DEP_1)
	v_dual_add_f32 v12, v12, v144 :: v_dual_add_f32 v13, v13, v143
	v_add_f32_e32 v12, v12, v146
	s_delay_alu instid0(VALU_DEP_1) | instskip(NEXT) | instid1(VALU_DEP_1)
	v_dual_add_f32 v16, v13, v145 :: v_dual_add_f32 v17, v12, v148
	v_add_f32_e32 v16, v16, v147
	ds_load_2addr_b64 v[12:15], v114 offset0:81 offset1:82
	v_dual_add_f32 v17, v17, v150 :: v_dual_add_f32 v16, v16, v149
	s_delay_alu instid0(VALU_DEP_1) | instskip(NEXT) | instid1(VALU_DEP_1)
	v_dual_add_f32 v17, v17, v152 :: v_dual_add_f32 v16, v16, v151
	v_dual_add_f32 v17, v17, v154 :: v_dual_add_f32 v16, v16, v153
	s_delay_alu instid0(VALU_DEP_1)
	v_dual_add_f32 v20, v17, v156 :: v_dual_add_f32 v21, v16, v155
	scratch_load_b128 v[16:19], off, off offset:328
	v_dual_add_f32 v115, v20, v158 :: v_dual_add_f32 v116, v21, v157
	scratch_load_b128 v[20:23], off, off offset:344
	v_mul_f32_e32 v167, v6, v3
	v_dual_add_f32 v115, v115, v160 :: v_dual_add_f32 v116, v116, v159
	s_delay_alu instid0(VALU_DEP_2)
	v_fmac_f32_e32 v167, v7, v2
	scratch_load_b128 v[4:7], off, off offset:280
	ds_load_2addr_b64 v[0:3], v114 offset0:79 offset1:80
	v_dual_add_f32 v115, v115, v162 :: v_dual_add_f32 v116, v116, v161
	s_wait_loadcnt_dscnt 0x300
	v_mul_f32_e32 v123, v0, v9
	v_dual_mul_f32 v9, v1, v9 :: v_dual_mul_f32 v124, v2, v11
	v_mul_f32_e32 v11, v3, v11
	s_delay_alu instid0(VALU_DEP_3) | instskip(NEXT) | instid1(VALU_DEP_3)
	v_fmac_f32_e32 v123, v1, v8
	v_fma_f32 v119, v0, v8, -v9
	s_delay_alu instid0(VALU_DEP_4) | instskip(NEXT) | instid1(VALU_DEP_4)
	v_fmac_f32_e32 v124, v3, v10
	v_fma_f32 v125, v2, v10, -v11
	s_clause 0x1
	scratch_load_b128 v[0:3], off, off offset:296
	scratch_load_b128 v[8:11], off, off offset:312
	s_wait_loadcnt 0x2
	v_mul_f32_e32 v126, v12, v5
	v_mul_f32_e32 v5, v13, v5
	;; [unrolled: 1-line block ×3, first 2 shown]
	s_delay_alu instid0(VALU_DEP_3) | instskip(NEXT) | instid1(VALU_DEP_3)
	v_dual_mul_f32 v7, v15, v7 :: v_dual_fmac_f32 v126, v13, v4
	v_fma_f32 v130, v12, v4, -v5
	v_dual_add_f32 v12, v115, v164 :: v_dual_add_f32 v115, v116, v163
	s_delay_alu instid0(VALU_DEP_4) | instskip(NEXT) | instid1(VALU_DEP_4)
	v_fmac_f32_e32 v129, v15, v6
	v_fma_f32 v131, v14, v6, -v7
	ds_load_2addr_b64 v[4:7], v114 offset0:83 offset1:84
	v_dual_add_f32 v116, v12, v166 :: v_dual_add_f32 v115, v115, v165
	ds_load_2addr_b64 v[12:15], v114 offset0:85 offset1:86
	v_add_f32_e32 v120, v116, v168
	v_add_f32_e32 v132, v115, v167
	ds_load_2addr_b64 v[115:118], v114 offset0:87 offset1:88
	v_add_f32_e32 v133, v120, v119
	ds_load_2addr_b64 v[119:122], v114 offset0:89 offset1:90
	v_dual_add_f32 v114, v132, v123 :: v_dual_add_f32 v125, v133, v125
	s_wait_loadcnt_dscnt 0x103
	s_delay_alu instid0(VALU_DEP_1) | instskip(SKIP_1) | instid1(VALU_DEP_3)
	v_dual_add_f32 v114, v114, v124 :: v_dual_mul_f32 v123, v4, v1
	v_mul_f32_e32 v1, v5, v1
	v_add_f32_e32 v124, v125, v130
	s_delay_alu instid0(VALU_DEP_3)
	v_add_f32_e32 v114, v114, v126
	v_mul_f32_e32 v132, v6, v3
	v_mul_f32_e32 v3, v7, v3
	v_fmac_f32_e32 v123, v5, v0
	v_fma_f32 v0, v4, v0, -v1
	v_dual_add_f32 v4, v124, v131 :: v_dual_add_f32 v5, v114, v129
	s_wait_loadcnt_dscnt 0x2
	v_dual_mul_f32 v125, v12, v9 :: v_dual_fmac_f32 v132, v7, v2
	v_fma_f32 v1, v6, v2, -v3
	s_delay_alu instid0(VALU_DEP_3)
	v_dual_mul_f32 v7, v13, v9 :: v_dual_add_f32 v0, v4, v0
	v_add_f32_e32 v4, v5, v123
	v_mul_f32_e32 v126, v14, v11
	v_mul_f32_e32 v5, v15, v11
	v_fmac_f32_e32 v125, v13, v8
	v_fma_f32 v7, v12, v8, -v7
	v_add_f32_e32 v0, v0, v1
	s_wait_dscnt 0x1
	v_dual_add_f32 v1, v4, v132 :: v_dual_mul_f32 v2, v115, v17
	v_mul_f32_e32 v4, v116, v17
	v_fmac_f32_e32 v126, v15, v10
	v_fma_f32 v5, v14, v10, -v5
	s_delay_alu instid0(VALU_DEP_4) | instskip(SKIP_3) | instid1(VALU_DEP_4)
	v_dual_add_f32 v0, v0, v7 :: v_dual_add_f32 v1, v1, v125
	v_mul_f32_e32 v3, v117, v19
	v_dual_mul_f32 v7, v118, v19 :: v_dual_fmac_f32 v2, v116, v16
	v_fma_f32 v4, v115, v16, -v4
	v_dual_add_f32 v0, v0, v5 :: v_dual_add_f32 v1, v1, v126
	s_wait_dscnt 0x0
	v_mul_f32_e32 v6, v119, v21
	v_mul_f32_e32 v5, v120, v21
	v_fmac_f32_e32 v3, v118, v18
	v_fma_f32 v7, v117, v18, -v7
	v_dual_add_f32 v0, v0, v4 :: v_dual_add_f32 v1, v1, v2
	v_mul_f32_e32 v9, v121, v23
	v_mul_f32_e32 v2, v122, v23
	v_fmac_f32_e32 v6, v120, v20
	v_fma_f32 v4, v119, v20, -v5
	v_add_f32_e32 v0, v0, v7
	v_add_f32_e32 v1, v1, v3
	v_fmac_f32_e32 v9, v122, v22
	v_fma_f32 v2, v121, v22, -v2
	s_delay_alu instid0(VALU_DEP_3) | instskip(NEXT) | instid1(VALU_DEP_1)
	v_dual_add_f32 v0, v0, v4 :: v_dual_add_f32 v1, v1, v6
	v_dual_add_f32 v0, v0, v2 :: v_dual_add_f32 v1, v1, v9
	s_delay_alu instid0(VALU_DEP_1)
	v_dual_sub_f32 v0, v127, v0 :: v_dual_sub_f32 v1, v128, v1
	scratch_store_b64 off, v[0:1], off
	s_wait_alu 0xfffe
	s_cbranch_vccz .LBB108_372
; %bb.284:
	v_mov_b32_e32 v0, 0
	global_load_b32 v1, v0, s[2:3] offset:172
	s_wait_loadcnt 0x0
	v_cmp_ne_u32_e32 vcc_lo, 44, v1
	s_cbranch_vccz .LBB108_286
; %bb.285:
	v_lshlrev_b32_e32 v1, 3, v1
	s_delay_alu instid0(VALU_DEP_1)
	v_mov_b32_e32 v5, v1
	scratch_load_b64 v[1:2], v5, off offset:-8
	scratch_load_b64 v[3:4], off, off offset:344
	s_wait_loadcnt 0x1
	scratch_store_b64 off, v[1:2], off offset:344
	s_wait_loadcnt 0x0
	scratch_store_b64 v5, v[3:4], off offset:-8
.LBB108_286:
	global_load_b32 v0, v0, s[2:3] offset:168
	s_wait_loadcnt 0x0
	v_cmp_eq_u32_e32 vcc_lo, 43, v0
	s_cbranch_vccnz .LBB108_288
; %bb.287:
	v_lshlrev_b32_e32 v0, 3, v0
	s_delay_alu instid0(VALU_DEP_1)
	v_mov_b32_e32 v4, v0
	scratch_load_b64 v[0:1], v4, off offset:-8
	scratch_load_b64 v[2:3], off, off offset:336
	s_wait_loadcnt 0x1
	scratch_store_b64 off, v[0:1], off offset:336
	s_wait_loadcnt 0x0
	scratch_store_b64 v4, v[2:3], off offset:-8
.LBB108_288:
	v_mov_b32_e32 v0, 0
	global_load_b32 v1, v0, s[2:3] offset:164
	s_wait_loadcnt 0x0
	v_cmp_eq_u32_e32 vcc_lo, 42, v1
	s_cbranch_vccnz .LBB108_290
; %bb.289:
	v_lshlrev_b32_e32 v1, 3, v1
	s_delay_alu instid0(VALU_DEP_1)
	v_mov_b32_e32 v5, v1
	scratch_load_b64 v[1:2], v5, off offset:-8
	scratch_load_b64 v[3:4], off, off offset:328
	s_wait_loadcnt 0x1
	scratch_store_b64 off, v[1:2], off offset:328
	s_wait_loadcnt 0x0
	scratch_store_b64 v5, v[3:4], off offset:-8
.LBB108_290:
	global_load_b32 v0, v0, s[2:3] offset:160
	s_wait_loadcnt 0x0
	v_cmp_eq_u32_e32 vcc_lo, 41, v0
	s_cbranch_vccnz .LBB108_292
; %bb.291:
	v_lshlrev_b32_e32 v0, 3, v0
	s_delay_alu instid0(VALU_DEP_1)
	v_mov_b32_e32 v4, v0
	scratch_load_b64 v[0:1], v4, off offset:-8
	scratch_load_b64 v[2:3], off, off offset:320
	s_wait_loadcnt 0x1
	scratch_store_b64 off, v[0:1], off offset:320
	s_wait_loadcnt 0x0
	scratch_store_b64 v4, v[2:3], off offset:-8
.LBB108_292:
	v_mov_b32_e32 v0, 0
	global_load_b32 v1, v0, s[2:3] offset:156
	s_wait_loadcnt 0x0
	v_cmp_eq_u32_e32 vcc_lo, 40, v1
	s_cbranch_vccnz .LBB108_294
; %bb.293:
	v_lshlrev_b32_e32 v1, 3, v1
	s_delay_alu instid0(VALU_DEP_1)
	v_mov_b32_e32 v5, v1
	scratch_load_b64 v[1:2], v5, off offset:-8
	scratch_load_b64 v[3:4], off, off offset:312
	s_wait_loadcnt 0x1
	scratch_store_b64 off, v[1:2], off offset:312
	s_wait_loadcnt 0x0
	scratch_store_b64 v5, v[3:4], off offset:-8
.LBB108_294:
	;; [unrolled: 31-line block ×21, first 2 shown]
	global_load_b32 v0, v0, s[2:3]
	s_wait_loadcnt 0x0
	v_cmp_eq_u32_e32 vcc_lo, 1, v0
	s_cbranch_vccnz .LBB108_372
; %bb.371:
	v_lshlrev_b32_e32 v0, 3, v0
	s_delay_alu instid0(VALU_DEP_1)
	v_mov_b32_e32 v4, v0
	scratch_load_b64 v[0:1], v4, off offset:-8
	scratch_load_b64 v[2:3], off, off
	s_wait_loadcnt 0x1
	scratch_store_b64 off, v[0:1], off
	s_wait_loadcnt 0x0
	scratch_store_b64 v4, v[2:3], off offset:-8
.LBB108_372:
	scratch_load_b64 v[0:1], off, off
	s_wait_loadcnt 0x0
	flat_store_b64 v[24:25], v[0:1]
	scratch_load_b64 v[0:1], off, off offset:8
	s_wait_loadcnt 0x0
	flat_store_b64 v[26:27], v[0:1]
	scratch_load_b64 v[0:1], off, off offset:16
	;; [unrolled: 3-line block ×44, first 2 shown]
	s_wait_loadcnt 0x0
	flat_store_b64 v[112:113], v[0:1]
	s_nop 0
	s_sendmsg sendmsg(MSG_DEALLOC_VGPRS)
	s_endpgm
	.section	.rodata,"a",@progbits
	.p2align	6, 0x0
	.amdhsa_kernel _ZN9rocsolver6v33100L18getri_kernel_smallILi45E19rocblas_complex_numIfEPKPS3_EEvT1_iilPiilS8_bb
		.amdhsa_group_segment_fixed_size 728
		.amdhsa_private_segment_fixed_size 368
		.amdhsa_kernarg_size 60
		.amdhsa_user_sgpr_count 2
		.amdhsa_user_sgpr_dispatch_ptr 0
		.amdhsa_user_sgpr_queue_ptr 0
		.amdhsa_user_sgpr_kernarg_segment_ptr 1
		.amdhsa_user_sgpr_dispatch_id 0
		.amdhsa_user_sgpr_private_segment_size 0
		.amdhsa_wavefront_size32 1
		.amdhsa_uses_dynamic_stack 0
		.amdhsa_enable_private_segment 1
		.amdhsa_system_sgpr_workgroup_id_x 1
		.amdhsa_system_sgpr_workgroup_id_y 0
		.amdhsa_system_sgpr_workgroup_id_z 0
		.amdhsa_system_sgpr_workgroup_info 0
		.amdhsa_system_vgpr_workitem_id 0
		.amdhsa_next_free_vgpr 254
		.amdhsa_next_free_sgpr 19
		.amdhsa_reserve_vcc 1
		.amdhsa_float_round_mode_32 0
		.amdhsa_float_round_mode_16_64 0
		.amdhsa_float_denorm_mode_32 3
		.amdhsa_float_denorm_mode_16_64 3
		.amdhsa_fp16_overflow 0
		.amdhsa_workgroup_processor_mode 1
		.amdhsa_memory_ordered 1
		.amdhsa_forward_progress 1
		.amdhsa_inst_pref_size 255
		.amdhsa_round_robin_scheduling 0
		.amdhsa_exception_fp_ieee_invalid_op 0
		.amdhsa_exception_fp_denorm_src 0
		.amdhsa_exception_fp_ieee_div_zero 0
		.amdhsa_exception_fp_ieee_overflow 0
		.amdhsa_exception_fp_ieee_underflow 0
		.amdhsa_exception_fp_ieee_inexact 0
		.amdhsa_exception_int_div_zero 0
	.end_amdhsa_kernel
	.section	.text._ZN9rocsolver6v33100L18getri_kernel_smallILi45E19rocblas_complex_numIfEPKPS3_EEvT1_iilPiilS8_bb,"axG",@progbits,_ZN9rocsolver6v33100L18getri_kernel_smallILi45E19rocblas_complex_numIfEPKPS3_EEvT1_iilPiilS8_bb,comdat
.Lfunc_end108:
	.size	_ZN9rocsolver6v33100L18getri_kernel_smallILi45E19rocblas_complex_numIfEPKPS3_EEvT1_iilPiilS8_bb, .Lfunc_end108-_ZN9rocsolver6v33100L18getri_kernel_smallILi45E19rocblas_complex_numIfEPKPS3_EEvT1_iilPiilS8_bb
                                        ; -- End function
	.set _ZN9rocsolver6v33100L18getri_kernel_smallILi45E19rocblas_complex_numIfEPKPS3_EEvT1_iilPiilS8_bb.num_vgpr, 254
	.set _ZN9rocsolver6v33100L18getri_kernel_smallILi45E19rocblas_complex_numIfEPKPS3_EEvT1_iilPiilS8_bb.num_agpr, 0
	.set _ZN9rocsolver6v33100L18getri_kernel_smallILi45E19rocblas_complex_numIfEPKPS3_EEvT1_iilPiilS8_bb.numbered_sgpr, 19
	.set _ZN9rocsolver6v33100L18getri_kernel_smallILi45E19rocblas_complex_numIfEPKPS3_EEvT1_iilPiilS8_bb.num_named_barrier, 0
	.set _ZN9rocsolver6v33100L18getri_kernel_smallILi45E19rocblas_complex_numIfEPKPS3_EEvT1_iilPiilS8_bb.private_seg_size, 368
	.set _ZN9rocsolver6v33100L18getri_kernel_smallILi45E19rocblas_complex_numIfEPKPS3_EEvT1_iilPiilS8_bb.uses_vcc, 1
	.set _ZN9rocsolver6v33100L18getri_kernel_smallILi45E19rocblas_complex_numIfEPKPS3_EEvT1_iilPiilS8_bb.uses_flat_scratch, 1
	.set _ZN9rocsolver6v33100L18getri_kernel_smallILi45E19rocblas_complex_numIfEPKPS3_EEvT1_iilPiilS8_bb.has_dyn_sized_stack, 0
	.set _ZN9rocsolver6v33100L18getri_kernel_smallILi45E19rocblas_complex_numIfEPKPS3_EEvT1_iilPiilS8_bb.has_recursion, 0
	.set _ZN9rocsolver6v33100L18getri_kernel_smallILi45E19rocblas_complex_numIfEPKPS3_EEvT1_iilPiilS8_bb.has_indirect_call, 0
	.section	.AMDGPU.csdata,"",@progbits
; Kernel info:
; codeLenInByte = 71800
; TotalNumSgprs: 21
; NumVgprs: 254
; ScratchSize: 368
; MemoryBound: 0
; FloatMode: 240
; IeeeMode: 1
; LDSByteSize: 728 bytes/workgroup (compile time only)
; SGPRBlocks: 0
; VGPRBlocks: 31
; NumSGPRsForWavesPerEU: 21
; NumVGPRsForWavesPerEU: 254
; Occupancy: 5
; WaveLimiterHint : 1
; COMPUTE_PGM_RSRC2:SCRATCH_EN: 1
; COMPUTE_PGM_RSRC2:USER_SGPR: 2
; COMPUTE_PGM_RSRC2:TRAP_HANDLER: 0
; COMPUTE_PGM_RSRC2:TGID_X_EN: 1
; COMPUTE_PGM_RSRC2:TGID_Y_EN: 0
; COMPUTE_PGM_RSRC2:TGID_Z_EN: 0
; COMPUTE_PGM_RSRC2:TIDIG_COMP_CNT: 0
	.section	.text._ZN9rocsolver6v33100L18getri_kernel_smallILi46E19rocblas_complex_numIfEPKPS3_EEvT1_iilPiilS8_bb,"axG",@progbits,_ZN9rocsolver6v33100L18getri_kernel_smallILi46E19rocblas_complex_numIfEPKPS3_EEvT1_iilPiilS8_bb,comdat
	.globl	_ZN9rocsolver6v33100L18getri_kernel_smallILi46E19rocblas_complex_numIfEPKPS3_EEvT1_iilPiilS8_bb ; -- Begin function _ZN9rocsolver6v33100L18getri_kernel_smallILi46E19rocblas_complex_numIfEPKPS3_EEvT1_iilPiilS8_bb
	.p2align	8
	.type	_ZN9rocsolver6v33100L18getri_kernel_smallILi46E19rocblas_complex_numIfEPKPS3_EEvT1_iilPiilS8_bb,@function
_ZN9rocsolver6v33100L18getri_kernel_smallILi46E19rocblas_complex_numIfEPKPS3_EEvT1_iilPiilS8_bb: ; @_ZN9rocsolver6v33100L18getri_kernel_smallILi46E19rocblas_complex_numIfEPKPS3_EEvT1_iilPiilS8_bb
; %bb.0:
	s_mov_b32 s2, exec_lo
	v_cmpx_gt_u32_e32 46, v0
	s_cbranch_execz .LBB109_198
; %bb.1:
	s_clause 0x1
	s_load_b32 s13, s[0:1], 0x38
	s_load_b64 s[2:3], s[0:1], 0x0
	s_mov_b32 s8, ttmp9
	s_load_b128 s[4:7], s[0:1], 0x28
	s_wait_kmcnt 0x0
	s_bitcmp1_b32 s13, 8
	s_cselect_b32 s12, -1, 0
	s_ashr_i32 s9, ttmp9, 31
	s_delay_alu instid0(SALU_CYCLE_1) | instskip(NEXT) | instid1(SALU_CYCLE_1)
	s_lshl_b64 s[10:11], s[8:9], 3
	s_add_nc_u64 s[2:3], s[2:3], s[10:11]
	s_load_b64 s[10:11], s[2:3], 0x0
	s_bfe_u32 s2, s13, 0x10008
	s_delay_alu instid0(SALU_CYCLE_1)
	s_cmp_eq_u32 s2, 0
                                        ; implicit-def: $sgpr2_sgpr3
	s_cbranch_scc1 .LBB109_3
; %bb.2:
	s_load_b96 s[16:18], s[0:1], 0x18
	s_mul_u64 s[2:3], s[4:5], s[8:9]
	s_delay_alu instid0(SALU_CYCLE_1)
	s_lshl_b64 s[2:3], s[2:3], 2
	s_wait_kmcnt 0x0
	s_ashr_i32 s5, s18, 31
	s_mov_b32 s4, s18
	s_add_nc_u64 s[2:3], s[16:17], s[2:3]
	s_lshl_b64 s[4:5], s[4:5], 2
	s_delay_alu instid0(SALU_CYCLE_1)
	s_add_nc_u64 s[2:3], s[2:3], s[4:5]
.LBB109_3:
	s_clause 0x1
	s_load_b64 s[4:5], s[0:1], 0x8
	s_load_b32 s13, s[0:1], 0x38
	v_lshlrev_b32_e32 v7, 3, v0
	s_wait_kmcnt 0x0
	s_ashr_i32 s1, s4, 31
	s_mov_b32 s0, s4
	v_add3_u32 v3, s5, s5, v0
	s_lshl_b64 s[0:1], s[0:1], 3
	s_delay_alu instid0(SALU_CYCLE_1)
	s_add_nc_u64 s[0:1], s[10:11], s[0:1]
	s_ashr_i32 s11, s5, 31
	v_add_co_u32 v28, s4, s0, v7
	s_wait_alu 0xf1ff
	v_add_co_ci_u32_e64 v29, null, s1, 0, s4
	s_mov_b32 s10, s5
	v_ashrrev_i32_e32 v4, 31, v3
	s_lshl_b64 s[10:11], s[10:11], 3
	flat_load_b64 v[1:2], v[28:29]
	v_add_co_u32 v30, vcc_lo, v28, s10
	s_delay_alu instid0(VALU_DEP_1) | instskip(SKIP_3) | instid1(VALU_DEP_2)
	v_add_co_ci_u32_e64 v31, null, s11, v29, vcc_lo
	v_lshlrev_b64_e32 v[4:5], 3, v[3:4]
	v_add_nc_u32_e32 v3, s5, v3
	s_bitcmp0_b32 s13, 0
	v_add_co_u32 v32, vcc_lo, s0, v4
	s_wait_alu 0xfffd
	s_delay_alu instid0(VALU_DEP_3) | instskip(SKIP_1) | instid1(VALU_DEP_1)
	v_add_co_ci_u32_e64 v33, null, s1, v5, vcc_lo
	v_ashrrev_i32_e32 v4, 31, v3
	v_lshlrev_b64_e32 v[4:5], 3, v[3:4]
	v_add_nc_u32_e32 v3, s5, v3
	s_delay_alu instid0(VALU_DEP_2) | instskip(SKIP_1) | instid1(VALU_DEP_3)
	v_add_co_u32 v34, vcc_lo, s0, v4
	s_wait_alu 0xfffd
	v_add_co_ci_u32_e64 v35, null, s1, v5, vcc_lo
	s_delay_alu instid0(VALU_DEP_3) | instskip(NEXT) | instid1(VALU_DEP_1)
	v_ashrrev_i32_e32 v4, 31, v3
	v_lshlrev_b64_e32 v[4:5], 3, v[3:4]
	v_add_nc_u32_e32 v3, s5, v3
	s_delay_alu instid0(VALU_DEP_2) | instskip(SKIP_1) | instid1(VALU_DEP_3)
	v_add_co_u32 v36, vcc_lo, s0, v4
	s_wait_alu 0xfffd
	v_add_co_ci_u32_e64 v37, null, s1, v5, vcc_lo
	s_delay_alu instid0(VALU_DEP_3) | instskip(NEXT) | instid1(VALU_DEP_1)
	;; [unrolled: 8-line block ×20, first 2 shown]
	v_ashrrev_i32_e32 v4, 31, v3
	v_lshlrev_b64_e32 v[4:5], 3, v[3:4]
	s_wait_loadcnt_dscnt 0x0
	scratch_store_b64 off, v[1:2], off
	flat_load_b64 v[1:2], v[30:31]
	v_add_nc_u32_e32 v3, s5, v3
	v_add_co_u32 v74, vcc_lo, s0, v4
	s_wait_alu 0xfffd
	v_add_co_ci_u32_e64 v75, null, s1, v5, vcc_lo
	s_delay_alu instid0(VALU_DEP_3) | instskip(NEXT) | instid1(VALU_DEP_1)
	v_ashrrev_i32_e32 v4, 31, v3
	v_lshlrev_b64_e32 v[4:5], 3, v[3:4]
	v_add_nc_u32_e32 v3, s5, v3
	s_delay_alu instid0(VALU_DEP_2) | instskip(SKIP_1) | instid1(VALU_DEP_3)
	v_add_co_u32 v76, vcc_lo, s0, v4
	s_wait_alu 0xfffd
	v_add_co_ci_u32_e64 v77, null, s1, v5, vcc_lo
	s_delay_alu instid0(VALU_DEP_3) | instskip(NEXT) | instid1(VALU_DEP_1)
	v_ashrrev_i32_e32 v4, 31, v3
	v_lshlrev_b64_e32 v[4:5], 3, v[3:4]
	v_add_nc_u32_e32 v3, s5, v3
	s_delay_alu instid0(VALU_DEP_2) | instskip(SKIP_1) | instid1(VALU_DEP_3)
	v_add_co_u32 v78, vcc_lo, s0, v4
	s_wait_alu 0xfffd
	v_add_co_ci_u32_e64 v79, null, s1, v5, vcc_lo
	s_delay_alu instid0(VALU_DEP_3) | instskip(NEXT) | instid1(VALU_DEP_1)
	v_ashrrev_i32_e32 v4, 31, v3
	v_lshlrev_b64_e32 v[4:5], 3, v[3:4]
	v_add_nc_u32_e32 v3, s5, v3
	s_delay_alu instid0(VALU_DEP_2) | instskip(SKIP_1) | instid1(VALU_DEP_3)
	v_add_co_u32 v80, vcc_lo, s0, v4
	s_wait_alu 0xfffd
	v_add_co_ci_u32_e64 v81, null, s1, v5, vcc_lo
	s_delay_alu instid0(VALU_DEP_3) | instskip(NEXT) | instid1(VALU_DEP_1)
	v_ashrrev_i32_e32 v4, 31, v3
	v_lshlrev_b64_e32 v[4:5], 3, v[3:4]
	v_add_nc_u32_e32 v3, s5, v3
	s_delay_alu instid0(VALU_DEP_2) | instskip(SKIP_1) | instid1(VALU_DEP_3)
	v_add_co_u32 v82, vcc_lo, s0, v4
	s_wait_alu 0xfffd
	v_add_co_ci_u32_e64 v83, null, s1, v5, vcc_lo
	s_delay_alu instid0(VALU_DEP_3) | instskip(NEXT) | instid1(VALU_DEP_1)
	v_ashrrev_i32_e32 v4, 31, v3
	v_lshlrev_b64_e32 v[4:5], 3, v[3:4]
	v_add_nc_u32_e32 v3, s5, v3
	s_delay_alu instid0(VALU_DEP_2) | instskip(SKIP_1) | instid1(VALU_DEP_3)
	v_add_co_u32 v84, vcc_lo, s0, v4
	s_wait_alu 0xfffd
	v_add_co_ci_u32_e64 v85, null, s1, v5, vcc_lo
	s_delay_alu instid0(VALU_DEP_3) | instskip(NEXT) | instid1(VALU_DEP_1)
	v_ashrrev_i32_e32 v4, 31, v3
	v_lshlrev_b64_e32 v[4:5], 3, v[3:4]
	v_add_nc_u32_e32 v3, s5, v3
	s_delay_alu instid0(VALU_DEP_2) | instskip(SKIP_1) | instid1(VALU_DEP_3)
	v_add_co_u32 v86, vcc_lo, s0, v4
	s_wait_alu 0xfffd
	v_add_co_ci_u32_e64 v87, null, s1, v5, vcc_lo
	s_delay_alu instid0(VALU_DEP_3) | instskip(NEXT) | instid1(VALU_DEP_1)
	v_ashrrev_i32_e32 v4, 31, v3
	v_lshlrev_b64_e32 v[4:5], 3, v[3:4]
	v_add_nc_u32_e32 v3, s5, v3
	s_delay_alu instid0(VALU_DEP_2) | instskip(SKIP_1) | instid1(VALU_DEP_3)
	v_add_co_u32 v88, vcc_lo, s0, v4
	s_wait_alu 0xfffd
	v_add_co_ci_u32_e64 v89, null, s1, v5, vcc_lo
	s_delay_alu instid0(VALU_DEP_3) | instskip(NEXT) | instid1(VALU_DEP_1)
	v_ashrrev_i32_e32 v4, 31, v3
	v_lshlrev_b64_e32 v[4:5], 3, v[3:4]
	v_add_nc_u32_e32 v3, s5, v3
	s_delay_alu instid0(VALU_DEP_2) | instskip(SKIP_1) | instid1(VALU_DEP_3)
	v_add_co_u32 v90, vcc_lo, s0, v4
	s_wait_alu 0xfffd
	v_add_co_ci_u32_e64 v91, null, s1, v5, vcc_lo
	s_delay_alu instid0(VALU_DEP_3) | instskip(NEXT) | instid1(VALU_DEP_1)
	v_ashrrev_i32_e32 v4, 31, v3
	v_lshlrev_b64_e32 v[4:5], 3, v[3:4]
	v_add_nc_u32_e32 v3, s5, v3
	s_delay_alu instid0(VALU_DEP_2) | instskip(SKIP_1) | instid1(VALU_DEP_3)
	v_add_co_u32 v92, vcc_lo, s0, v4
	s_wait_alu 0xfffd
	v_add_co_ci_u32_e64 v93, null, s1, v5, vcc_lo
	s_delay_alu instid0(VALU_DEP_3) | instskip(NEXT) | instid1(VALU_DEP_1)
	v_ashrrev_i32_e32 v4, 31, v3
	v_lshlrev_b64_e32 v[4:5], 3, v[3:4]
	v_add_nc_u32_e32 v3, s5, v3
	s_delay_alu instid0(VALU_DEP_2) | instskip(SKIP_1) | instid1(VALU_DEP_3)
	v_add_co_u32 v94, vcc_lo, s0, v4
	s_wait_alu 0xfffd
	v_add_co_ci_u32_e64 v95, null, s1, v5, vcc_lo
	s_delay_alu instid0(VALU_DEP_3) | instskip(NEXT) | instid1(VALU_DEP_1)
	v_ashrrev_i32_e32 v4, 31, v3
	v_lshlrev_b64_e32 v[4:5], 3, v[3:4]
	v_add_nc_u32_e32 v3, s5, v3
	s_delay_alu instid0(VALU_DEP_2) | instskip(SKIP_1) | instid1(VALU_DEP_3)
	v_add_co_u32 v96, vcc_lo, s0, v4
	s_wait_alu 0xfffd
	v_add_co_ci_u32_e64 v97, null, s1, v5, vcc_lo
	s_delay_alu instid0(VALU_DEP_3) | instskip(NEXT) | instid1(VALU_DEP_1)
	v_ashrrev_i32_e32 v4, 31, v3
	v_lshlrev_b64_e32 v[4:5], 3, v[3:4]
	v_add_nc_u32_e32 v3, s5, v3
	s_delay_alu instid0(VALU_DEP_2) | instskip(SKIP_1) | instid1(VALU_DEP_3)
	v_add_co_u32 v98, vcc_lo, s0, v4
	s_wait_alu 0xfffd
	v_add_co_ci_u32_e64 v99, null, s1, v5, vcc_lo
	s_delay_alu instid0(VALU_DEP_3) | instskip(NEXT) | instid1(VALU_DEP_1)
	v_ashrrev_i32_e32 v4, 31, v3
	v_lshlrev_b64_e32 v[4:5], 3, v[3:4]
	v_add_nc_u32_e32 v3, s5, v3
	s_delay_alu instid0(VALU_DEP_2) | instskip(SKIP_1) | instid1(VALU_DEP_3)
	v_add_co_u32 v100, vcc_lo, s0, v4
	s_wait_alu 0xfffd
	v_add_co_ci_u32_e64 v101, null, s1, v5, vcc_lo
	s_delay_alu instid0(VALU_DEP_3) | instskip(NEXT) | instid1(VALU_DEP_1)
	v_ashrrev_i32_e32 v4, 31, v3
	v_lshlrev_b64_e32 v[4:5], 3, v[3:4]
	v_add_nc_u32_e32 v3, s5, v3
	s_delay_alu instid0(VALU_DEP_2) | instskip(SKIP_1) | instid1(VALU_DEP_3)
	v_add_co_u32 v102, vcc_lo, s0, v4
	s_wait_alu 0xfffd
	v_add_co_ci_u32_e64 v103, null, s1, v5, vcc_lo
	s_delay_alu instid0(VALU_DEP_3) | instskip(NEXT) | instid1(VALU_DEP_1)
	v_ashrrev_i32_e32 v4, 31, v3
	v_lshlrev_b64_e32 v[4:5], 3, v[3:4]
	v_add_nc_u32_e32 v3, s5, v3
	s_delay_alu instid0(VALU_DEP_2) | instskip(SKIP_1) | instid1(VALU_DEP_3)
	v_add_co_u32 v104, vcc_lo, s0, v4
	s_wait_alu 0xfffd
	v_add_co_ci_u32_e64 v105, null, s1, v5, vcc_lo
	s_delay_alu instid0(VALU_DEP_3) | instskip(NEXT) | instid1(VALU_DEP_1)
	v_ashrrev_i32_e32 v4, 31, v3
	v_lshlrev_b64_e32 v[4:5], 3, v[3:4]
	v_add_nc_u32_e32 v3, s5, v3
	s_delay_alu instid0(VALU_DEP_2) | instskip(SKIP_1) | instid1(VALU_DEP_3)
	v_add_co_u32 v106, vcc_lo, s0, v4
	s_wait_alu 0xfffd
	v_add_co_ci_u32_e64 v107, null, s1, v5, vcc_lo
	s_delay_alu instid0(VALU_DEP_3) | instskip(NEXT) | instid1(VALU_DEP_1)
	v_ashrrev_i32_e32 v4, 31, v3
	v_lshlrev_b64_e32 v[4:5], 3, v[3:4]
	v_add_nc_u32_e32 v3, s5, v3
	s_delay_alu instid0(VALU_DEP_2) | instskip(SKIP_1) | instid1(VALU_DEP_3)
	v_add_co_u32 v108, vcc_lo, s0, v4
	s_wait_alu 0xfffd
	v_add_co_ci_u32_e64 v109, null, s1, v5, vcc_lo
	s_delay_alu instid0(VALU_DEP_3) | instskip(NEXT) | instid1(VALU_DEP_1)
	v_ashrrev_i32_e32 v4, 31, v3
	v_lshlrev_b64_e32 v[4:5], 3, v[3:4]
	v_add_nc_u32_e32 v3, s5, v3
	s_delay_alu instid0(VALU_DEP_2) | instskip(SKIP_1) | instid1(VALU_DEP_3)
	v_add_co_u32 v110, vcc_lo, s0, v4
	s_wait_alu 0xfffd
	v_add_co_ci_u32_e64 v111, null, s1, v5, vcc_lo
	s_delay_alu instid0(VALU_DEP_3) | instskip(NEXT) | instid1(VALU_DEP_1)
	v_ashrrev_i32_e32 v4, 31, v3
	v_lshlrev_b64_e32 v[4:5], 3, v[3:4]
	v_add_nc_u32_e32 v3, s5, v3
	s_delay_alu instid0(VALU_DEP_2) | instskip(SKIP_1) | instid1(VALU_DEP_3)
	v_add_co_u32 v112, vcc_lo, s0, v4
	s_wait_alu 0xfffd
	v_add_co_ci_u32_e64 v113, null, s1, v5, vcc_lo
	s_delay_alu instid0(VALU_DEP_3) | instskip(NEXT) | instid1(VALU_DEP_1)
	v_ashrrev_i32_e32 v4, 31, v3
	v_lshlrev_b64_e32 v[4:5], 3, v[3:4]
	v_add_nc_u32_e32 v3, s5, v3
	s_delay_alu instid0(VALU_DEP_2) | instskip(SKIP_1) | instid1(VALU_DEP_3)
	v_add_co_u32 v114, vcc_lo, s0, v4
	s_wait_alu 0xfffd
	v_add_co_ci_u32_e64 v115, null, s1, v5, vcc_lo
	s_delay_alu instid0(VALU_DEP_3) | instskip(NEXT) | instid1(VALU_DEP_1)
	v_ashrrev_i32_e32 v4, 31, v3
	v_lshlrev_b64_e32 v[4:5], 3, v[3:4]
	v_add_nc_u32_e32 v3, s5, v3
	s_delay_alu instid0(VALU_DEP_2)
	v_add_co_u32 v116, vcc_lo, s0, v4
	s_wait_loadcnt_dscnt 0x0
	scratch_store_b64 off, v[1:2], off offset:8
	flat_load_b64 v[1:2], v[32:33]
	s_wait_alu 0xfffd
	v_add_co_ci_u32_e64 v117, null, s1, v5, vcc_lo
	v_ashrrev_i32_e32 v4, 31, v3
	s_delay_alu instid0(VALU_DEP_1) | instskip(NEXT) | instid1(VALU_DEP_1)
	v_lshlrev_b64_e32 v[3:4], 3, v[3:4]
	v_add_co_u32 v118, vcc_lo, s0, v3
	s_wait_alu 0xfffd
	s_delay_alu instid0(VALU_DEP_2)
	v_add_co_ci_u32_e64 v119, null, s1, v4, vcc_lo
	s_mov_b32 s1, -1
	s_wait_loadcnt_dscnt 0x0
	scratch_store_b64 off, v[1:2], off offset:16
	flat_load_b64 v[1:2], v[34:35]
	s_wait_loadcnt_dscnt 0x0
	scratch_store_b64 off, v[1:2], off offset:24
	flat_load_b64 v[1:2], v[36:37]
	;; [unrolled: 3-line block ×43, first 2 shown]
	s_wait_loadcnt_dscnt 0x0
	scratch_store_b64 off, v[1:2], off offset:360
	s_cbranch_scc1 .LBB109_196
; %bb.4:
	v_cmp_eq_u32_e64 s0, 0, v0
	s_and_saveexec_b32 s1, s0
; %bb.5:
	v_mov_b32_e32 v1, 0
	ds_store_b32 v1, v1 offset:736
; %bb.6:
	s_wait_alu 0xfffe
	s_or_b32 exec_lo, exec_lo, s1
	s_wait_storecnt_dscnt 0x0
	s_barrier_signal -1
	s_barrier_wait -1
	global_inv scope:SCOPE_SE
	scratch_load_b64 v[1:2], v7, off
	s_wait_loadcnt 0x0
	v_cmp_eq_f32_e32 vcc_lo, 0, v1
	v_cmp_eq_f32_e64 s1, 0, v2
	s_and_b32 s1, vcc_lo, s1
	s_wait_alu 0xfffe
	s_and_saveexec_b32 s4, s1
	s_cbranch_execz .LBB109_10
; %bb.7:
	v_mov_b32_e32 v1, 0
	s_mov_b32 s5, 0
	ds_load_b32 v2, v1 offset:736
	s_wait_dscnt 0x0
	v_readfirstlane_b32 s1, v2
	v_add_nc_u32_e32 v2, 1, v0
	s_cmp_eq_u32 s1, 0
	s_delay_alu instid0(VALU_DEP_1)
	v_cmp_gt_i32_e32 vcc_lo, s1, v2
	s_cselect_b32 s10, -1, 0
	s_wait_alu 0xfffe
	s_or_b32 s10, s10, vcc_lo
	s_wait_alu 0xfffe
	s_and_b32 exec_lo, exec_lo, s10
	s_cbranch_execz .LBB109_10
; %bb.8:
	v_mov_b32_e32 v3, s1
.LBB109_9:                              ; =>This Inner Loop Header: Depth=1
	ds_cmpstore_rtn_b32 v3, v1, v2, v3 offset:736
	s_wait_dscnt 0x0
	v_cmp_ne_u32_e32 vcc_lo, 0, v3
	v_cmp_le_i32_e64 s1, v3, v2
	s_and_b32 s1, vcc_lo, s1
	s_wait_alu 0xfffe
	s_and_b32 s1, exec_lo, s1
	s_wait_alu 0xfffe
	s_or_b32 s5, s1, s5
	s_wait_alu 0xfffe
	s_and_not1_b32 exec_lo, exec_lo, s5
	s_cbranch_execnz .LBB109_9
.LBB109_10:
	s_wait_alu 0xfffe
	s_or_b32 exec_lo, exec_lo, s4
	v_mov_b32_e32 v1, 0
	s_barrier_signal -1
	s_barrier_wait -1
	global_inv scope:SCOPE_SE
	ds_load_b32 v2, v1 offset:736
	s_and_saveexec_b32 s1, s0
	s_cbranch_execz .LBB109_12
; %bb.11:
	s_lshl_b64 s[4:5], s[8:9], 2
	s_wait_alu 0xfffe
	s_add_nc_u64 s[4:5], s[6:7], s[4:5]
	s_wait_dscnt 0x0
	global_store_b32 v1, v2, s[4:5]
.LBB109_12:
	s_wait_alu 0xfffe
	s_or_b32 exec_lo, exec_lo, s1
	s_wait_dscnt 0x0
	v_cmp_ne_u32_e32 vcc_lo, 0, v2
	s_mov_b32 s1, 0
	s_cbranch_vccnz .LBB109_196
; %bb.13:
	v_mov_b32_e32 v8, v7
                                        ; implicit-def: $vgpr3
                                        ; implicit-def: $vgpr5
	scratch_load_b64 v[1:2], v8, off
	s_wait_loadcnt 0x0
	v_cmp_ngt_f32_e64 s1, |v1|, |v2|
	s_wait_alu 0xfffe
	s_and_saveexec_b32 s4, s1
	s_wait_alu 0xfffe
	s_xor_b32 s1, exec_lo, s4
	s_cbranch_execz .LBB109_15
; %bb.14:
	v_div_scale_f32 v3, null, v2, v2, v1
	v_div_scale_f32 v6, vcc_lo, v1, v2, v1
	s_delay_alu instid0(VALU_DEP_2) | instskip(NEXT) | instid1(TRANS32_DEP_1)
	v_rcp_f32_e32 v4, v3
	v_fma_f32 v5, -v3, v4, 1.0
	s_delay_alu instid0(VALU_DEP_1) | instskip(NEXT) | instid1(VALU_DEP_1)
	v_fmac_f32_e32 v4, v5, v4
	v_mul_f32_e32 v5, v6, v4
	s_delay_alu instid0(VALU_DEP_1) | instskip(NEXT) | instid1(VALU_DEP_1)
	v_fma_f32 v9, -v3, v5, v6
	v_fmac_f32_e32 v5, v9, v4
	s_delay_alu instid0(VALU_DEP_1) | instskip(SKIP_1) | instid1(VALU_DEP_1)
	v_fma_f32 v3, -v3, v5, v6
	s_wait_alu 0xfffd
	v_div_fmas_f32 v3, v3, v4, v5
	s_delay_alu instid0(VALU_DEP_1) | instskip(NEXT) | instid1(VALU_DEP_1)
	v_div_fixup_f32 v3, v3, v2, v1
	v_fmac_f32_e32 v2, v1, v3
	s_delay_alu instid0(VALU_DEP_1) | instskip(NEXT) | instid1(VALU_DEP_1)
	v_div_scale_f32 v1, null, v2, v2, 1.0
	v_rcp_f32_e32 v4, v1
	s_delay_alu instid0(TRANS32_DEP_1) | instskip(NEXT) | instid1(VALU_DEP_1)
	v_fma_f32 v5, -v1, v4, 1.0
	v_fmac_f32_e32 v4, v5, v4
	v_div_scale_f32 v5, vcc_lo, 1.0, v2, 1.0
	s_delay_alu instid0(VALU_DEP_1) | instskip(NEXT) | instid1(VALU_DEP_1)
	v_mul_f32_e32 v6, v5, v4
	v_fma_f32 v9, -v1, v6, v5
	s_delay_alu instid0(VALU_DEP_1) | instskip(NEXT) | instid1(VALU_DEP_1)
	v_fmac_f32_e32 v6, v9, v4
	v_fma_f32 v1, -v1, v6, v5
	s_wait_alu 0xfffd
	s_delay_alu instid0(VALU_DEP_1) | instskip(NEXT) | instid1(VALU_DEP_1)
	v_div_fmas_f32 v1, v1, v4, v6
	v_div_fixup_f32 v1, v1, v2, 1.0
	s_delay_alu instid0(VALU_DEP_1) | instskip(SKIP_1) | instid1(VALU_DEP_2)
	v_mul_f32_e32 v3, v3, v1
	v_xor_b32_e32 v4, 0x80000000, v1
                                        ; implicit-def: $vgpr1_vgpr2
	v_xor_b32_e32 v5, 0x80000000, v3
.LBB109_15:
	s_wait_alu 0xfffe
	s_and_not1_saveexec_b32 s1, s1
	s_cbranch_execz .LBB109_17
; %bb.16:
	v_div_scale_f32 v3, null, v1, v1, v2
	v_div_scale_f32 v6, vcc_lo, v2, v1, v2
	s_delay_alu instid0(VALU_DEP_2) | instskip(NEXT) | instid1(TRANS32_DEP_1)
	v_rcp_f32_e32 v4, v3
	v_fma_f32 v5, -v3, v4, 1.0
	s_delay_alu instid0(VALU_DEP_1) | instskip(NEXT) | instid1(VALU_DEP_1)
	v_fmac_f32_e32 v4, v5, v4
	v_mul_f32_e32 v5, v6, v4
	s_delay_alu instid0(VALU_DEP_1) | instskip(NEXT) | instid1(VALU_DEP_1)
	v_fma_f32 v9, -v3, v5, v6
	v_fmac_f32_e32 v5, v9, v4
	s_delay_alu instid0(VALU_DEP_1) | instskip(SKIP_1) | instid1(VALU_DEP_1)
	v_fma_f32 v3, -v3, v5, v6
	s_wait_alu 0xfffd
	v_div_fmas_f32 v3, v3, v4, v5
	s_delay_alu instid0(VALU_DEP_1) | instskip(NEXT) | instid1(VALU_DEP_1)
	v_div_fixup_f32 v4, v3, v1, v2
	v_fmac_f32_e32 v1, v2, v4
	s_delay_alu instid0(VALU_DEP_1) | instskip(SKIP_1) | instid1(VALU_DEP_2)
	v_div_scale_f32 v2, null, v1, v1, 1.0
	v_div_scale_f32 v6, vcc_lo, 1.0, v1, 1.0
	v_rcp_f32_e32 v3, v2
	s_delay_alu instid0(TRANS32_DEP_1) | instskip(NEXT) | instid1(VALU_DEP_1)
	v_fma_f32 v5, -v2, v3, 1.0
	v_fmac_f32_e32 v3, v5, v3
	s_delay_alu instid0(VALU_DEP_1) | instskip(NEXT) | instid1(VALU_DEP_1)
	v_mul_f32_e32 v5, v6, v3
	v_fma_f32 v9, -v2, v5, v6
	s_delay_alu instid0(VALU_DEP_1) | instskip(NEXT) | instid1(VALU_DEP_1)
	v_fmac_f32_e32 v5, v9, v3
	v_fma_f32 v2, -v2, v5, v6
	s_wait_alu 0xfffd
	s_delay_alu instid0(VALU_DEP_1) | instskip(NEXT) | instid1(VALU_DEP_1)
	v_div_fmas_f32 v2, v2, v3, v5
	v_div_fixup_f32 v3, v2, v1, 1.0
	s_delay_alu instid0(VALU_DEP_1)
	v_xor_b32_e32 v5, 0x80000000, v3
	v_mul_f32_e64 v4, v4, -v3
.LBB109_17:
	s_wait_alu 0xfffe
	s_or_b32 exec_lo, exec_lo, s1
	scratch_store_b64 v8, v[3:4], off
	scratch_load_b64 v[2:3], off, off offset:8
	v_xor_b32_e32 v6, 0x80000000, v4
	v_add_nc_u32_e32 v1, 0x170, v7
	s_wait_loadcnt 0x0
	ds_store_2addr_b64 v7, v[5:6], v[2:3] offset1:46
	s_wait_storecnt_dscnt 0x0
	s_barrier_signal -1
	s_barrier_wait -1
	global_inv scope:SCOPE_SE
	s_and_saveexec_b32 s1, s0
	s_cbranch_execz .LBB109_19
; %bb.18:
	scratch_load_b64 v[2:3], v8, off
	ds_load_b64 v[4:5], v1
	v_mov_b32_e32 v6, 0
	ds_load_b64 v[9:10], v6 offset:8
	s_wait_loadcnt_dscnt 0x1
	v_mul_f32_e32 v6, v4, v3
	v_mul_f32_e32 v3, v5, v3
	s_delay_alu instid0(VALU_DEP_2) | instskip(NEXT) | instid1(VALU_DEP_2)
	v_fmac_f32_e32 v6, v5, v2
	v_fma_f32 v2, v4, v2, -v3
	s_delay_alu instid0(VALU_DEP_2) | instskip(NEXT) | instid1(VALU_DEP_2)
	v_add_f32_e32 v4, 0, v6
	v_add_f32_e32 v2, 0, v2
	s_wait_dscnt 0x0
	s_delay_alu instid0(VALU_DEP_2) | instskip(NEXT) | instid1(VALU_DEP_2)
	v_mul_f32_e32 v5, v4, v10
	v_mul_f32_e32 v3, v2, v10
	s_delay_alu instid0(VALU_DEP_2) | instskip(NEXT) | instid1(VALU_DEP_2)
	v_fma_f32 v2, v2, v9, -v5
	v_fmac_f32_e32 v3, v4, v9
	scratch_store_b64 off, v[2:3], off offset:8
.LBB109_19:
	s_wait_alu 0xfffe
	s_or_b32 exec_lo, exec_lo, s1
	s_wait_loadcnt 0x0
	s_wait_storecnt 0x0
	s_barrier_signal -1
	s_barrier_wait -1
	global_inv scope:SCOPE_SE
	scratch_load_b64 v[2:3], off, off offset:16
	s_mov_b32 s1, exec_lo
	s_wait_loadcnt 0x0
	ds_store_b64 v1, v[2:3]
	s_wait_dscnt 0x0
	s_barrier_signal -1
	s_barrier_wait -1
	global_inv scope:SCOPE_SE
	v_cmpx_gt_u32_e32 2, v0
	s_cbranch_execz .LBB109_23
; %bb.20:
	scratch_load_b64 v[2:3], v8, off
	ds_load_b64 v[4:5], v1
	s_wait_loadcnt_dscnt 0x0
	v_mul_f32_e32 v6, v5, v3
	v_mul_f32_e32 v9, v4, v3
	s_delay_alu instid0(VALU_DEP_2) | instskip(NEXT) | instid1(VALU_DEP_2)
	v_fma_f32 v3, v4, v2, -v6
	v_fmac_f32_e32 v9, v5, v2
	s_delay_alu instid0(VALU_DEP_1)
	v_dual_add_f32 v3, 0, v3 :: v_dual_add_f32 v2, 0, v9
	s_and_saveexec_b32 s4, s0
	s_cbranch_execz .LBB109_22
; %bb.21:
	scratch_load_b64 v[4:5], off, off offset:8
	v_mov_b32_e32 v6, 0
	ds_load_b64 v[9:10], v6 offset:376
	s_wait_loadcnt_dscnt 0x0
	v_mul_f32_e32 v6, v9, v5
	v_mul_f32_e32 v5, v10, v5
	s_delay_alu instid0(VALU_DEP_2) | instskip(NEXT) | instid1(VALU_DEP_2)
	v_fmac_f32_e32 v6, v10, v4
	v_fma_f32 v4, v9, v4, -v5
	s_delay_alu instid0(VALU_DEP_1)
	v_dual_add_f32 v2, v2, v6 :: v_dual_add_f32 v3, v3, v4
.LBB109_22:
	s_wait_alu 0xfffe
	s_or_b32 exec_lo, exec_lo, s4
	v_mov_b32_e32 v4, 0
	ds_load_b64 v[4:5], v4 offset:16
	s_wait_dscnt 0x0
	v_mul_f32_e32 v9, v2, v5
	v_mul_f32_e32 v6, v3, v5
	s_delay_alu instid0(VALU_DEP_2) | instskip(NEXT) | instid1(VALU_DEP_2)
	v_fma_f32 v5, v3, v4, -v9
	v_fmac_f32_e32 v6, v2, v4
	scratch_store_b64 off, v[5:6], off offset:16
.LBB109_23:
	s_wait_alu 0xfffe
	s_or_b32 exec_lo, exec_lo, s1
	s_wait_loadcnt 0x0
	s_wait_storecnt 0x0
	s_barrier_signal -1
	s_barrier_wait -1
	global_inv scope:SCOPE_SE
	scratch_load_b64 v[3:4], off, off offset:24
	v_add_nc_u32_e32 v2, -1, v0
	s_mov_b32 s0, exec_lo
	s_wait_loadcnt 0x0
	ds_store_b64 v1, v[3:4]
	s_wait_dscnt 0x0
	s_barrier_signal -1
	s_barrier_wait -1
	global_inv scope:SCOPE_SE
	v_cmpx_gt_u32_e32 3, v0
	s_cbranch_execz .LBB109_27
; %bb.24:
	v_dual_mov_b32 v3, 0 :: v_dual_add_nc_u32 v4, -1, v0
	v_dual_mov_b32 v6, v7 :: v_dual_add_nc_u32 v5, 0x170, v7
	v_mov_b32_e32 v9, 0
	s_mov_b32 s1, 0
.LBB109_25:                             ; =>This Inner Loop Header: Depth=1
	scratch_load_b64 v[10:11], v6, off
	ds_load_b64 v[12:13], v5
	v_add_nc_u32_e32 v4, 1, v4
	v_add_nc_u32_e32 v5, 8, v5
	s_delay_alu instid0(VALU_DEP_2)
	v_cmp_lt_u32_e32 vcc_lo, 1, v4
	s_wait_alu 0xfffe
	s_or_b32 s1, vcc_lo, s1
	s_wait_loadcnt_dscnt 0x0
	v_mul_f32_e32 v14, v13, v11
	v_mul_f32_e32 v11, v12, v11
	s_delay_alu instid0(VALU_DEP_2) | instskip(NEXT) | instid1(VALU_DEP_2)
	v_fma_f32 v12, v12, v10, -v14
	v_fmac_f32_e32 v11, v13, v10
	s_delay_alu instid0(VALU_DEP_2) | instskip(NEXT) | instid1(VALU_DEP_2)
	v_dual_add_f32 v9, v9, v12 :: v_dual_add_nc_u32 v6, 8, v6
	v_add_f32_e32 v3, v3, v11
	s_wait_alu 0xfffe
	s_and_not1_b32 exec_lo, exec_lo, s1
	s_cbranch_execnz .LBB109_25
; %bb.26:
	s_or_b32 exec_lo, exec_lo, s1
	v_mov_b32_e32 v4, 0
	ds_load_b64 v[4:5], v4 offset:24
	s_wait_dscnt 0x0
	v_mul_f32_e32 v10, v3, v5
	v_mul_f32_e32 v6, v9, v5
	s_delay_alu instid0(VALU_DEP_2) | instskip(NEXT) | instid1(VALU_DEP_2)
	v_fma_f32 v5, v9, v4, -v10
	v_fmac_f32_e32 v6, v3, v4
	scratch_store_b64 off, v[5:6], off offset:24
.LBB109_27:
	s_wait_alu 0xfffe
	s_or_b32 exec_lo, exec_lo, s0
	s_wait_loadcnt 0x0
	s_wait_storecnt 0x0
	s_barrier_signal -1
	s_barrier_wait -1
	global_inv scope:SCOPE_SE
	scratch_load_b64 v[3:4], off, off offset:32
	s_mov_b32 s0, exec_lo
	s_wait_loadcnt 0x0
	ds_store_b64 v1, v[3:4]
	s_wait_dscnt 0x0
	s_barrier_signal -1
	s_barrier_wait -1
	global_inv scope:SCOPE_SE
	v_cmpx_gt_u32_e32 4, v0
	s_cbranch_execz .LBB109_31
; %bb.28:
	v_dual_mov_b32 v3, 0 :: v_dual_add_nc_u32 v4, -1, v0
	v_dual_mov_b32 v6, v7 :: v_dual_add_nc_u32 v5, 0x170, v7
	v_mov_b32_e32 v9, 0
	s_mov_b32 s1, 0
.LBB109_29:                             ; =>This Inner Loop Header: Depth=1
	scratch_load_b64 v[10:11], v6, off
	ds_load_b64 v[12:13], v5
	v_add_nc_u32_e32 v4, 1, v4
	v_add_nc_u32_e32 v5, 8, v5
	s_delay_alu instid0(VALU_DEP_2)
	v_cmp_lt_u32_e32 vcc_lo, 2, v4
	s_wait_alu 0xfffe
	s_or_b32 s1, vcc_lo, s1
	s_wait_loadcnt_dscnt 0x0
	v_mul_f32_e32 v14, v13, v11
	v_mul_f32_e32 v11, v12, v11
	s_delay_alu instid0(VALU_DEP_2) | instskip(NEXT) | instid1(VALU_DEP_2)
	v_fma_f32 v12, v12, v10, -v14
	v_fmac_f32_e32 v11, v13, v10
	s_delay_alu instid0(VALU_DEP_2) | instskip(NEXT) | instid1(VALU_DEP_2)
	v_dual_add_f32 v9, v9, v12 :: v_dual_add_nc_u32 v6, 8, v6
	v_add_f32_e32 v3, v3, v11
	s_wait_alu 0xfffe
	s_and_not1_b32 exec_lo, exec_lo, s1
	s_cbranch_execnz .LBB109_29
; %bb.30:
	s_or_b32 exec_lo, exec_lo, s1
	v_mov_b32_e32 v4, 0
	ds_load_b64 v[4:5], v4 offset:32
	s_wait_dscnt 0x0
	v_mul_f32_e32 v10, v3, v5
	v_mul_f32_e32 v6, v9, v5
	s_delay_alu instid0(VALU_DEP_2) | instskip(NEXT) | instid1(VALU_DEP_2)
	v_fma_f32 v5, v9, v4, -v10
	v_fmac_f32_e32 v6, v3, v4
	scratch_store_b64 off, v[5:6], off offset:32
.LBB109_31:
	s_wait_alu 0xfffe
	s_or_b32 exec_lo, exec_lo, s0
	s_wait_loadcnt 0x0
	s_wait_storecnt 0x0
	s_barrier_signal -1
	s_barrier_wait -1
	global_inv scope:SCOPE_SE
	scratch_load_b64 v[3:4], off, off offset:40
	;; [unrolled: 55-line block ×19, first 2 shown]
	s_mov_b32 s0, exec_lo
	s_wait_loadcnt 0x0
	ds_store_b64 v1, v[3:4]
	s_wait_dscnt 0x0
	s_barrier_signal -1
	s_barrier_wait -1
	global_inv scope:SCOPE_SE
	v_cmpx_gt_u32_e32 22, v0
	s_cbranch_execz .LBB109_103
; %bb.100:
	v_dual_mov_b32 v3, 0 :: v_dual_add_nc_u32 v4, -1, v0
	v_dual_mov_b32 v6, v7 :: v_dual_add_nc_u32 v5, 0x170, v7
	v_mov_b32_e32 v9, 0
	s_mov_b32 s1, 0
.LBB109_101:                            ; =>This Inner Loop Header: Depth=1
	scratch_load_b64 v[10:11], v6, off
	ds_load_b64 v[12:13], v5
	v_add_nc_u32_e32 v4, 1, v4
	v_add_nc_u32_e32 v5, 8, v5
	s_delay_alu instid0(VALU_DEP_2)
	v_cmp_lt_u32_e32 vcc_lo, 20, v4
	s_wait_alu 0xfffe
	s_or_b32 s1, vcc_lo, s1
	s_wait_loadcnt_dscnt 0x0
	v_mul_f32_e32 v14, v13, v11
	v_mul_f32_e32 v11, v12, v11
	s_delay_alu instid0(VALU_DEP_2) | instskip(NEXT) | instid1(VALU_DEP_2)
	v_fma_f32 v12, v12, v10, -v14
	v_fmac_f32_e32 v11, v13, v10
	s_delay_alu instid0(VALU_DEP_2) | instskip(NEXT) | instid1(VALU_DEP_2)
	v_dual_add_f32 v9, v9, v12 :: v_dual_add_nc_u32 v6, 8, v6
	v_add_f32_e32 v3, v3, v11
	s_wait_alu 0xfffe
	s_and_not1_b32 exec_lo, exec_lo, s1
	s_cbranch_execnz .LBB109_101
; %bb.102:
	s_or_b32 exec_lo, exec_lo, s1
	v_mov_b32_e32 v4, 0
	ds_load_b64 v[4:5], v4 offset:176
	s_wait_dscnt 0x0
	v_mul_f32_e32 v10, v3, v5
	v_mul_f32_e32 v6, v9, v5
	s_delay_alu instid0(VALU_DEP_2) | instskip(NEXT) | instid1(VALU_DEP_2)
	v_fma_f32 v5, v9, v4, -v10
	v_fmac_f32_e32 v6, v3, v4
	scratch_store_b64 off, v[5:6], off offset:176
.LBB109_103:
	s_wait_alu 0xfffe
	s_or_b32 exec_lo, exec_lo, s0
	s_wait_loadcnt 0x0
	s_wait_storecnt 0x0
	s_barrier_signal -1
	s_barrier_wait -1
	global_inv scope:SCOPE_SE
	scratch_load_b64 v[3:4], off, off offset:184
	s_mov_b32 s0, exec_lo
	s_wait_loadcnt 0x0
	ds_store_b64 v1, v[3:4]
	s_wait_dscnt 0x0
	s_barrier_signal -1
	s_barrier_wait -1
	global_inv scope:SCOPE_SE
	v_cmpx_gt_u32_e32 23, v0
	s_cbranch_execz .LBB109_107
; %bb.104:
	v_dual_mov_b32 v3, 0 :: v_dual_add_nc_u32 v4, -1, v0
	v_dual_mov_b32 v6, v7 :: v_dual_add_nc_u32 v5, 0x170, v7
	v_mov_b32_e32 v9, 0
	s_mov_b32 s1, 0
.LBB109_105:                            ; =>This Inner Loop Header: Depth=1
	scratch_load_b64 v[10:11], v6, off
	ds_load_b64 v[12:13], v5
	v_add_nc_u32_e32 v4, 1, v4
	v_add_nc_u32_e32 v5, 8, v5
	s_delay_alu instid0(VALU_DEP_2)
	v_cmp_lt_u32_e32 vcc_lo, 21, v4
	s_wait_alu 0xfffe
	s_or_b32 s1, vcc_lo, s1
	s_wait_loadcnt_dscnt 0x0
	v_mul_f32_e32 v14, v13, v11
	v_mul_f32_e32 v11, v12, v11
	s_delay_alu instid0(VALU_DEP_2) | instskip(NEXT) | instid1(VALU_DEP_2)
	v_fma_f32 v12, v12, v10, -v14
	v_fmac_f32_e32 v11, v13, v10
	s_delay_alu instid0(VALU_DEP_2) | instskip(NEXT) | instid1(VALU_DEP_2)
	v_dual_add_f32 v9, v9, v12 :: v_dual_add_nc_u32 v6, 8, v6
	v_add_f32_e32 v3, v3, v11
	s_wait_alu 0xfffe
	s_and_not1_b32 exec_lo, exec_lo, s1
	s_cbranch_execnz .LBB109_105
; %bb.106:
	s_or_b32 exec_lo, exec_lo, s1
	v_mov_b32_e32 v4, 0
	ds_load_b64 v[4:5], v4 offset:184
	s_wait_dscnt 0x0
	v_mul_f32_e32 v10, v3, v5
	v_mul_f32_e32 v6, v9, v5
	s_delay_alu instid0(VALU_DEP_2) | instskip(NEXT) | instid1(VALU_DEP_2)
	v_fma_f32 v5, v9, v4, -v10
	v_fmac_f32_e32 v6, v3, v4
	scratch_store_b64 off, v[5:6], off offset:184
.LBB109_107:
	s_wait_alu 0xfffe
	s_or_b32 exec_lo, exec_lo, s0
	s_wait_loadcnt 0x0
	s_wait_storecnt 0x0
	s_barrier_signal -1
	s_barrier_wait -1
	global_inv scope:SCOPE_SE
	scratch_load_b64 v[3:4], off, off offset:192
	;; [unrolled: 55-line block ×22, first 2 shown]
	s_mov_b32 s0, exec_lo
	s_wait_loadcnt 0x0
	ds_store_b64 v1, v[3:4]
	s_wait_dscnt 0x0
	s_barrier_signal -1
	s_barrier_wait -1
	global_inv scope:SCOPE_SE
	v_cmpx_gt_u32_e32 44, v0
	s_cbranch_execz .LBB109_191
; %bb.188:
	v_dual_mov_b32 v3, 0 :: v_dual_add_nc_u32 v4, -1, v0
	v_dual_mov_b32 v6, v7 :: v_dual_add_nc_u32 v5, 0x170, v7
	v_mov_b32_e32 v7, 0
	s_mov_b32 s1, 0
.LBB109_189:                            ; =>This Inner Loop Header: Depth=1
	scratch_load_b64 v[9:10], v6, off
	ds_load_b64 v[11:12], v5
	v_add_nc_u32_e32 v6, 8, v6
	v_add_nc_u32_e32 v4, 1, v4
	;; [unrolled: 1-line block ×3, first 2 shown]
	s_delay_alu instid0(VALU_DEP_2)
	v_cmp_lt_u32_e32 vcc_lo, 42, v4
	s_wait_alu 0xfffe
	s_or_b32 s1, vcc_lo, s1
	s_wait_loadcnt_dscnt 0x0
	v_mul_f32_e32 v13, v12, v10
	v_mul_f32_e32 v10, v11, v10
	s_delay_alu instid0(VALU_DEP_2) | instskip(NEXT) | instid1(VALU_DEP_1)
	v_fma_f32 v11, v11, v9, -v13
	v_dual_fmac_f32 v10, v12, v9 :: v_dual_add_f32 v7, v7, v11
	s_delay_alu instid0(VALU_DEP_1)
	v_add_f32_e32 v3, v3, v10
	s_wait_alu 0xfffe
	s_and_not1_b32 exec_lo, exec_lo, s1
	s_cbranch_execnz .LBB109_189
; %bb.190:
	s_or_b32 exec_lo, exec_lo, s1
	v_mov_b32_e32 v4, 0
	ds_load_b64 v[4:5], v4 offset:352
	s_wait_dscnt 0x0
	v_mul_f32_e32 v9, v3, v5
	v_mul_f32_e32 v6, v7, v5
	s_delay_alu instid0(VALU_DEP_2) | instskip(NEXT) | instid1(VALU_DEP_2)
	v_fma_f32 v5, v7, v4, -v9
	v_fmac_f32_e32 v6, v3, v4
	scratch_store_b64 off, v[5:6], off offset:352
.LBB109_191:
	s_wait_alu 0xfffe
	s_or_b32 exec_lo, exec_lo, s0
	s_wait_loadcnt 0x0
	s_wait_storecnt 0x0
	s_barrier_signal -1
	s_barrier_wait -1
	global_inv scope:SCOPE_SE
	scratch_load_b64 v[3:4], off, off offset:360
	s_mov_b32 s0, exec_lo
	s_wait_loadcnt 0x0
	ds_store_b64 v1, v[3:4]
	s_wait_dscnt 0x0
	s_barrier_signal -1
	s_barrier_wait -1
	global_inv scope:SCOPE_SE
	v_cmpx_ne_u32_e32 45, v0
	s_cbranch_execz .LBB109_195
; %bb.192:
	v_dual_mov_b32 v3, 0 :: v_dual_mov_b32 v4, 0
	s_mov_b32 s1, 0
.LBB109_193:                            ; =>This Inner Loop Header: Depth=1
	scratch_load_b64 v[5:6], v8, off
	ds_load_b64 v[9:10], v1
	v_add_nc_u32_e32 v2, 1, v2
	v_add_nc_u32_e32 v1, 8, v1
	;; [unrolled: 1-line block ×3, first 2 shown]
	s_delay_alu instid0(VALU_DEP_3)
	v_cmp_lt_u32_e32 vcc_lo, 43, v2
	s_wait_alu 0xfffe
	s_or_b32 s1, vcc_lo, s1
	s_wait_loadcnt_dscnt 0x0
	v_mul_f32_e32 v7, v10, v6
	v_mul_f32_e32 v6, v9, v6
	s_delay_alu instid0(VALU_DEP_2) | instskip(NEXT) | instid1(VALU_DEP_2)
	v_fma_f32 v7, v9, v5, -v7
	v_fmac_f32_e32 v6, v10, v5
	s_delay_alu instid0(VALU_DEP_1)
	v_dual_add_f32 v4, v4, v7 :: v_dual_add_f32 v3, v3, v6
	s_wait_alu 0xfffe
	s_and_not1_b32 exec_lo, exec_lo, s1
	s_cbranch_execnz .LBB109_193
; %bb.194:
	s_or_b32 exec_lo, exec_lo, s1
	v_mov_b32_e32 v1, 0
	ds_load_b64 v[1:2], v1 offset:360
	s_wait_dscnt 0x0
	v_mul_f32_e32 v6, v3, v2
	v_mul_f32_e32 v5, v4, v2
	s_delay_alu instid0(VALU_DEP_2) | instskip(NEXT) | instid1(VALU_DEP_2)
	v_fma_f32 v4, v4, v1, -v6
	v_fmac_f32_e32 v5, v3, v1
	scratch_store_b64 off, v[4:5], off offset:360
.LBB109_195:
	s_wait_alu 0xfffe
	s_or_b32 exec_lo, exec_lo, s0
	s_mov_b32 s1, -1
	s_wait_loadcnt 0x0
	s_wait_storecnt 0x0
	s_barrier_signal -1
	s_barrier_wait -1
	global_inv scope:SCOPE_SE
.LBB109_196:
	s_wait_alu 0xfffe
	s_and_b32 vcc_lo, exec_lo, s1
	s_wait_alu 0xfffe
	s_cbranch_vccz .LBB109_198
; %bb.197:
	v_mov_b32_e32 v1, 0
	s_lshl_b64 s[0:1], s[8:9], 2
	s_wait_alu 0xfffe
	s_add_nc_u64 s[0:1], s[6:7], s[0:1]
	global_load_b32 v1, v1, s[0:1]
	s_wait_loadcnt 0x0
	v_cmp_ne_u32_e32 vcc_lo, 0, v1
	s_cbranch_vccz .LBB109_199
.LBB109_198:
	s_nop 0
	s_sendmsg sendmsg(MSG_DEALLOC_VGPRS)
	s_endpgm
.LBB109_199:
	v_lshl_add_u32 v23, v0, 3, 0x170
	s_mov_b32 s0, exec_lo
	v_cmpx_eq_u32_e32 45, v0
	s_cbranch_execz .LBB109_201
; %bb.200:
	scratch_load_b64 v[1:2], off, off offset:352
	v_mov_b32_e32 v3, 0
	s_delay_alu instid0(VALU_DEP_1)
	v_mov_b32_e32 v4, v3
	scratch_store_b64 off, v[3:4], off offset:352
	s_wait_loadcnt 0x0
	ds_store_b64 v23, v[1:2]
.LBB109_201:
	s_wait_alu 0xfffe
	s_or_b32 exec_lo, exec_lo, s0
	s_wait_storecnt_dscnt 0x0
	s_barrier_signal -1
	s_barrier_wait -1
	global_inv scope:SCOPE_SE
	s_clause 0x1
	scratch_load_b64 v[2:3], off, off offset:360
	scratch_load_b64 v[4:5], off, off offset:352
	v_mov_b32_e32 v1, 0
	s_mov_b32 s0, exec_lo
	ds_load_b64 v[6:7], v1 offset:728
	s_wait_loadcnt_dscnt 0x100
	v_mul_f32_e32 v8, v7, v3
	v_mul_f32_e32 v3, v6, v3
	s_delay_alu instid0(VALU_DEP_2) | instskip(NEXT) | instid1(VALU_DEP_2)
	v_fma_f32 v6, v6, v2, -v8
	v_fmac_f32_e32 v3, v7, v2
	s_delay_alu instid0(VALU_DEP_1) | instskip(SKIP_1) | instid1(VALU_DEP_1)
	v_dual_add_f32 v2, 0, v6 :: v_dual_add_f32 v3, 0, v3
	s_wait_loadcnt 0x0
	v_dual_sub_f32 v2, v4, v2 :: v_dual_sub_f32 v3, v5, v3
	scratch_store_b64 off, v[2:3], off offset:352
	v_cmpx_lt_u32_e32 43, v0
	s_cbranch_execz .LBB109_203
; %bb.202:
	scratch_load_b64 v[3:4], off, off offset:344
	v_mov_b32_e32 v2, v1
	scratch_store_b64 off, v[1:2], off offset:344
	s_wait_loadcnt 0x0
	ds_store_b64 v23, v[3:4]
.LBB109_203:
	s_wait_alu 0xfffe
	s_or_b32 exec_lo, exec_lo, s0
	s_wait_storecnt_dscnt 0x0
	s_barrier_signal -1
	s_barrier_wait -1
	global_inv scope:SCOPE_SE
	s_clause 0x1
	scratch_load_b128 v[2:5], off, off offset:352
	scratch_load_b64 v[10:11], off, off offset:344
	ds_load_b128 v[6:9], v1 offset:720
	s_mov_b32 s0, exec_lo
	s_wait_loadcnt_dscnt 0x100
	v_dual_mul_f32 v1, v7, v3 :: v_dual_mul_f32 v12, v8, v5
	v_mul_f32_e32 v3, v6, v3
	s_delay_alu instid0(VALU_DEP_2) | instskip(NEXT) | instid1(VALU_DEP_2)
	v_fma_f32 v1, v6, v2, -v1
	v_dual_fmac_f32 v12, v9, v4 :: v_dual_fmac_f32 v3, v7, v2
	s_delay_alu instid0(VALU_DEP_2) | instskip(NEXT) | instid1(VALU_DEP_2)
	v_add_f32_e32 v1, 0, v1
	v_add_f32_e32 v3, 0, v3
	v_mul_f32_e32 v5, v9, v5
	s_delay_alu instid0(VALU_DEP_1) | instskip(NEXT) | instid1(VALU_DEP_1)
	v_fma_f32 v2, v8, v4, -v5
	v_dual_add_f32 v1, v1, v2 :: v_dual_add_f32 v2, v3, v12
	s_wait_loadcnt 0x0
	s_delay_alu instid0(VALU_DEP_1)
	v_dual_sub_f32 v1, v10, v1 :: v_dual_sub_f32 v2, v11, v2
	scratch_store_b64 off, v[1:2], off offset:344
	v_cmpx_lt_u32_e32 42, v0
	s_cbranch_execz .LBB109_205
; %bb.204:
	scratch_load_b64 v[1:2], off, off offset:336
	v_mov_b32_e32 v3, 0
	s_delay_alu instid0(VALU_DEP_1)
	v_mov_b32_e32 v4, v3
	scratch_store_b64 off, v[3:4], off offset:336
	s_wait_loadcnt 0x0
	ds_store_b64 v23, v[1:2]
.LBB109_205:
	s_wait_alu 0xfffe
	s_or_b32 exec_lo, exec_lo, s0
	s_wait_storecnt_dscnt 0x0
	s_barrier_signal -1
	s_barrier_wait -1
	global_inv scope:SCOPE_SE
	s_clause 0x2
	scratch_load_b128 v[2:5], off, off offset:344
	scratch_load_b64 v[10:11], off, off offset:360
	scratch_load_b64 v[12:13], off, off offset:336
	v_mov_b32_e32 v1, 0
	ds_load_2addr_b64 v[6:9], v1 offset0:89 offset1:90
	ds_load_b64 v[14:15], v1 offset:728
	s_mov_b32 s0, exec_lo
	s_wait_loadcnt_dscnt 0x201
	v_dual_mul_f32 v16, v7, v3 :: v_dual_mul_f32 v17, v8, v5
	s_wait_loadcnt_dscnt 0x100
	v_mul_f32_e32 v18, v14, v11
	v_mul_f32_e32 v3, v6, v3
	;; [unrolled: 1-line block ×3, first 2 shown]
	v_fma_f32 v6, v6, v2, -v16
	s_delay_alu instid0(VALU_DEP_4) | instskip(NEXT) | instid1(VALU_DEP_4)
	v_fmac_f32_e32 v18, v15, v10
	v_fmac_f32_e32 v3, v7, v2
	v_mul_f32_e32 v2, v15, v11
	s_delay_alu instid0(VALU_DEP_1) | instskip(SKIP_3) | instid1(VALU_DEP_1)
	v_fma_f32 v2, v14, v10, -v2
	v_fmac_f32_e32 v17, v9, v4
	v_fma_f32 v4, v8, v4, -v5
	v_add_f32_e32 v5, 0, v6
	v_add_f32_e32 v4, v5, v4
	s_delay_alu instid0(VALU_DEP_1) | instskip(SKIP_1) | instid1(VALU_DEP_1)
	v_dual_add_f32 v2, v4, v2 :: v_dual_add_f32 v3, 0, v3
	s_wait_loadcnt 0x0
	v_dual_sub_f32 v2, v12, v2 :: v_dual_add_f32 v3, v3, v17
	s_delay_alu instid0(VALU_DEP_1) | instskip(NEXT) | instid1(VALU_DEP_1)
	v_add_f32_e32 v3, v3, v18
	v_sub_f32_e32 v3, v13, v3
	scratch_store_b64 off, v[2:3], off offset:336
	v_cmpx_lt_u32_e32 41, v0
	s_cbranch_execz .LBB109_207
; %bb.206:
	scratch_load_b64 v[3:4], off, off offset:328
	v_mov_b32_e32 v2, v1
	scratch_store_b64 off, v[1:2], off offset:328
	s_wait_loadcnt 0x0
	ds_store_b64 v23, v[3:4]
.LBB109_207:
	s_wait_alu 0xfffe
	s_or_b32 exec_lo, exec_lo, s0
	s_wait_storecnt_dscnt 0x0
	s_barrier_signal -1
	s_barrier_wait -1
	global_inv scope:SCOPE_SE
	s_clause 0x2
	scratch_load_b128 v[2:5], off, off offset:336
	scratch_load_b128 v[6:9], off, off offset:352
	scratch_load_b64 v[18:19], off, off offset:328
	ds_load_b128 v[10:13], v1 offset:704
	ds_load_b128 v[14:17], v1 offset:720
	s_mov_b32 s0, exec_lo
	s_wait_loadcnt_dscnt 0x201
	v_dual_mul_f32 v1, v10, v3 :: v_dual_mul_f32 v20, v12, v5
	s_wait_loadcnt_dscnt 0x100
	v_dual_mul_f32 v3, v11, v3 :: v_dual_mul_f32 v22, v16, v9
	v_mul_f32_e32 v5, v13, v5
	s_delay_alu instid0(VALU_DEP_3) | instskip(NEXT) | instid1(VALU_DEP_3)
	v_dual_mul_f32 v21, v14, v7 :: v_dual_fmac_f32 v20, v13, v4
	v_fma_f32 v3, v10, v2, -v3
	s_delay_alu instid0(VALU_DEP_4) | instskip(SKIP_2) | instid1(VALU_DEP_4)
	v_dual_fmac_f32 v1, v11, v2 :: v_dual_fmac_f32 v22, v17, v8
	v_mul_f32_e32 v2, v15, v7
	v_fma_f32 v4, v12, v4, -v5
	v_add_f32_e32 v3, 0, v3
	v_fmac_f32_e32 v21, v15, v6
	s_delay_alu instid0(VALU_DEP_4) | instskip(NEXT) | instid1(VALU_DEP_3)
	v_fma_f32 v2, v14, v6, -v2
	v_add_f32_e32 v3, v3, v4
	s_delay_alu instid0(VALU_DEP_1) | instskip(NEXT) | instid1(VALU_DEP_1)
	v_dual_add_f32 v1, 0, v1 :: v_dual_add_f32 v2, v3, v2
	v_add_f32_e32 v1, v1, v20
	s_delay_alu instid0(VALU_DEP_1) | instskip(NEXT) | instid1(VALU_DEP_1)
	v_add_f32_e32 v1, v1, v21
	v_add_f32_e32 v3, v1, v22
	v_mul_f32_e32 v5, v17, v9
	s_delay_alu instid0(VALU_DEP_1) | instskip(NEXT) | instid1(VALU_DEP_1)
	v_fma_f32 v4, v16, v8, -v5
	v_add_f32_e32 v2, v2, v4
	s_wait_loadcnt 0x0
	s_delay_alu instid0(VALU_DEP_1)
	v_dual_sub_f32 v1, v18, v2 :: v_dual_sub_f32 v2, v19, v3
	scratch_store_b64 off, v[1:2], off offset:328
	v_cmpx_lt_u32_e32 40, v0
	s_cbranch_execz .LBB109_209
; %bb.208:
	scratch_load_b64 v[1:2], off, off offset:320
	v_mov_b32_e32 v3, 0
	s_delay_alu instid0(VALU_DEP_1)
	v_mov_b32_e32 v4, v3
	scratch_store_b64 off, v[3:4], off offset:320
	s_wait_loadcnt 0x0
	ds_store_b64 v23, v[1:2]
.LBB109_209:
	s_wait_alu 0xfffe
	s_or_b32 exec_lo, exec_lo, s0
	s_wait_storecnt_dscnt 0x0
	s_barrier_signal -1
	s_barrier_wait -1
	global_inv scope:SCOPE_SE
	s_clause 0x3
	scratch_load_b128 v[2:5], off, off offset:328
	scratch_load_b128 v[6:9], off, off offset:344
	scratch_load_b64 v[18:19], off, off offset:360
	scratch_load_b64 v[20:21], off, off offset:320
	v_mov_b32_e32 v1, 0
	ds_load_2addr_b64 v[10:13], v1 offset0:87 offset1:88
	ds_load_2addr_b64 v[14:17], v1 offset0:89 offset1:90
	ds_load_b64 v[24:25], v1 offset:728
	s_mov_b32 s0, exec_lo
	s_wait_loadcnt_dscnt 0x302
	v_mul_f32_e32 v22, v10, v3
	v_dual_mul_f32 v26, v12, v5 :: v_dual_mul_f32 v3, v11, v3
	s_wait_loadcnt_dscnt 0x100
	v_mul_f32_e32 v121, v24, v19
	s_delay_alu instid0(VALU_DEP_3)
	v_dual_mul_f32 v5, v13, v5 :: v_dual_fmac_f32 v22, v11, v2
	v_dual_mul_f32 v27, v14, v7 :: v_dual_mul_f32 v120, v16, v9
	v_fma_f32 v3, v10, v2, -v3
	v_mul_f32_e32 v2, v15, v7
	v_fmac_f32_e32 v26, v13, v4
	v_fma_f32 v4, v12, v4, -v5
	v_dual_add_f32 v5, 0, v22 :: v_dual_fmac_f32 v120, v17, v8
	v_add_f32_e32 v3, 0, v3
	v_fma_f32 v2, v14, v6, -v2
	v_fmac_f32_e32 v27, v15, v6
	v_fmac_f32_e32 v121, v25, v18
	s_delay_alu instid0(VALU_DEP_4) | instskip(NEXT) | instid1(VALU_DEP_1)
	v_dual_add_f32 v3, v3, v4 :: v_dual_add_f32 v4, v5, v26
	v_dual_mul_f32 v7, v17, v9 :: v_dual_add_f32 v2, v3, v2
	s_delay_alu instid0(VALU_DEP_2) | instskip(NEXT) | instid1(VALU_DEP_2)
	v_add_f32_e32 v3, v4, v27
	v_fma_f32 v6, v16, v8, -v7
	s_delay_alu instid0(VALU_DEP_1) | instskip(NEXT) | instid1(VALU_DEP_1)
	v_dual_mul_f32 v5, v25, v19 :: v_dual_add_f32 v2, v2, v6
	v_fma_f32 v4, v24, v18, -v5
	s_delay_alu instid0(VALU_DEP_1) | instskip(SKIP_1) | instid1(VALU_DEP_1)
	v_add_f32_e32 v2, v2, v4
	s_wait_loadcnt 0x0
	v_dual_add_f32 v3, v3, v120 :: v_dual_sub_f32 v2, v20, v2
	s_delay_alu instid0(VALU_DEP_1) | instskip(NEXT) | instid1(VALU_DEP_1)
	v_add_f32_e32 v3, v3, v121
	v_sub_f32_e32 v3, v21, v3
	scratch_store_b64 off, v[2:3], off offset:320
	v_cmpx_lt_u32_e32 39, v0
	s_cbranch_execz .LBB109_211
; %bb.210:
	scratch_load_b64 v[3:4], off, off offset:312
	v_mov_b32_e32 v2, v1
	scratch_store_b64 off, v[1:2], off offset:312
	s_wait_loadcnt 0x0
	ds_store_b64 v23, v[3:4]
.LBB109_211:
	s_wait_alu 0xfffe
	s_or_b32 exec_lo, exec_lo, s0
	s_wait_storecnt_dscnt 0x0
	s_barrier_signal -1
	s_barrier_wait -1
	global_inv scope:SCOPE_SE
	s_clause 0x3
	scratch_load_b128 v[2:5], off, off offset:320
	scratch_load_b128 v[6:9], off, off offset:336
	;; [unrolled: 1-line block ×3, first 2 shown]
	scratch_load_b64 v[120:121], off, off offset:312
	ds_load_b128 v[14:17], v1 offset:688
	ds_load_b128 v[18:21], v1 offset:704
	;; [unrolled: 1-line block ×3, first 2 shown]
	s_mov_b32 s0, exec_lo
	s_wait_loadcnt_dscnt 0x302
	v_dual_mul_f32 v1, v14, v3 :: v_dual_mul_f32 v22, v16, v5
	v_mul_f32_e32 v3, v15, v3
	s_wait_loadcnt_dscnt 0x201
	v_dual_mul_f32 v5, v17, v5 :: v_dual_mul_f32 v122, v18, v7
	s_delay_alu instid0(VALU_DEP_3) | instskip(NEXT) | instid1(VALU_DEP_3)
	v_dual_mul_f32 v123, v20, v9 :: v_dual_fmac_f32 v22, v17, v4
	v_fma_f32 v3, v14, v2, -v3
	v_fmac_f32_e32 v1, v15, v2
	v_mul_f32_e32 v2, v19, v7
	v_fma_f32 v4, v16, v4, -v5
	s_wait_loadcnt_dscnt 0x100
	v_dual_mul_f32 v124, v24, v11 :: v_dual_mul_f32 v125, v26, v13
	v_dual_add_f32 v3, 0, v3 :: v_dual_fmac_f32 v122, v19, v6
	v_fma_f32 v2, v18, v6, -v2
	s_delay_alu instid0(VALU_DEP_3) | instskip(NEXT) | instid1(VALU_DEP_3)
	v_dual_fmac_f32 v124, v25, v10 :: v_dual_fmac_f32 v125, v27, v12
	v_dual_add_f32 v3, v3, v4 :: v_dual_mul_f32 v4, v25, v11
	s_delay_alu instid0(VALU_DEP_1) | instskip(NEXT) | instid1(VALU_DEP_2)
	v_dual_add_f32 v1, 0, v1 :: v_dual_add_f32 v2, v3, v2
	v_fma_f32 v4, v24, v10, -v4
	v_mul_f32_e32 v5, v21, v9
	v_mul_f32_e32 v3, v27, v13
	s_delay_alu instid0(VALU_DEP_2) | instskip(SKIP_1) | instid1(VALU_DEP_3)
	v_fma_f32 v5, v20, v8, -v5
	v_add_f32_e32 v1, v1, v22
	v_fma_f32 v3, v26, v12, -v3
	s_delay_alu instid0(VALU_DEP_2) | instskip(NEXT) | instid1(VALU_DEP_1)
	v_dual_add_f32 v2, v2, v5 :: v_dual_add_f32 v1, v1, v122
	v_add_f32_e32 v2, v2, v4
	s_delay_alu instid0(VALU_DEP_1) | instskip(NEXT) | instid1(VALU_DEP_1)
	v_dual_fmac_f32 v123, v21, v8 :: v_dual_add_f32 v2, v2, v3
	v_add_f32_e32 v1, v1, v123
	s_delay_alu instid0(VALU_DEP_1) | instskip(NEXT) | instid1(VALU_DEP_1)
	v_add_f32_e32 v1, v1, v124
	v_add_f32_e32 v3, v1, v125
	s_wait_loadcnt 0x0
	s_delay_alu instid0(VALU_DEP_1)
	v_dual_sub_f32 v1, v120, v2 :: v_dual_sub_f32 v2, v121, v3
	scratch_store_b64 off, v[1:2], off offset:312
	v_cmpx_lt_u32_e32 38, v0
	s_cbranch_execz .LBB109_213
; %bb.212:
	scratch_load_b64 v[1:2], off, off offset:304
	v_mov_b32_e32 v3, 0
	s_delay_alu instid0(VALU_DEP_1)
	v_mov_b32_e32 v4, v3
	scratch_store_b64 off, v[3:4], off offset:304
	s_wait_loadcnt 0x0
	ds_store_b64 v23, v[1:2]
.LBB109_213:
	s_wait_alu 0xfffe
	s_or_b32 exec_lo, exec_lo, s0
	s_wait_storecnt_dscnt 0x0
	s_barrier_signal -1
	s_barrier_wait -1
	global_inv scope:SCOPE_SE
	s_clause 0x4
	scratch_load_b128 v[2:5], off, off offset:312
	scratch_load_b128 v[6:9], off, off offset:328
	;; [unrolled: 1-line block ×3, first 2 shown]
	scratch_load_b64 v[120:121], off, off offset:360
	scratch_load_b64 v[122:123], off, off offset:304
	v_mov_b32_e32 v1, 0
	ds_load_2addr_b64 v[14:17], v1 offset0:85 offset1:86
	ds_load_2addr_b64 v[18:21], v1 offset0:87 offset1:88
	ds_load_2addr_b64 v[24:27], v1 offset0:89 offset1:90
	ds_load_b64 v[124:125], v1 offset:728
	s_mov_b32 s0, exec_lo
	s_wait_loadcnt_dscnt 0x403
	v_mul_f32_e32 v22, v14, v3
	s_wait_loadcnt_dscnt 0x302
	v_dual_mul_f32 v128, v20, v9 :: v_dual_mul_f32 v3, v15, v3
	v_dual_mul_f32 v126, v16, v5 :: v_dual_mul_f32 v127, v18, v7
	s_wait_loadcnt_dscnt 0x100
	v_dual_mul_f32 v131, v124, v121 :: v_dual_fmac_f32 v22, v15, v2
	v_mul_f32_e32 v5, v17, v5
	v_fma_f32 v3, v14, v2, -v3
	v_mul_f32_e32 v2, v19, v7
	v_fmac_f32_e32 v126, v17, v4
	v_fmac_f32_e32 v128, v21, v8
	v_fma_f32 v4, v16, v4, -v5
	v_add_f32_e32 v3, 0, v3
	v_add_f32_e32 v5, 0, v22
	v_fma_f32 v2, v18, v6, -v2
	v_fmac_f32_e32 v127, v19, v6
	v_dual_mul_f32 v129, v24, v11 :: v_dual_mul_f32 v130, v26, v13
	s_delay_alu instid0(VALU_DEP_4) | instskip(SKIP_1) | instid1(VALU_DEP_3)
	v_dual_add_f32 v3, v3, v4 :: v_dual_add_f32 v4, v5, v126
	v_mul_f32_e32 v7, v21, v9
	v_dual_mul_f32 v5, v25, v11 :: v_dual_fmac_f32 v130, v27, v12
	s_delay_alu instid0(VALU_DEP_3) | instskip(NEXT) | instid1(VALU_DEP_3)
	v_add_f32_e32 v2, v3, v2
	v_fma_f32 v6, v20, v8, -v7
	s_delay_alu instid0(VALU_DEP_1) | instskip(SKIP_3) | instid1(VALU_DEP_3)
	v_add_f32_e32 v2, v2, v6
	v_dual_mul_f32 v6, v125, v121 :: v_dual_add_f32 v3, v4, v127
	v_mul_f32_e32 v4, v27, v13
	v_fma_f32 v5, v24, v10, -v5
	v_add_f32_e32 v3, v3, v128
	s_delay_alu instid0(VALU_DEP_2) | instskip(NEXT) | instid1(VALU_DEP_4)
	v_dual_fmac_f32 v129, v25, v10 :: v_dual_add_f32 v2, v2, v5
	v_fma_f32 v4, v26, v12, -v4
	v_fma_f32 v5, v124, v120, -v6
	s_delay_alu instid0(VALU_DEP_2) | instskip(SKIP_1) | instid1(VALU_DEP_2)
	v_dual_add_f32 v3, v3, v129 :: v_dual_add_f32 v2, v2, v4
	v_fmac_f32_e32 v131, v125, v120
	v_dual_add_f32 v3, v3, v130 :: v_dual_add_f32 v2, v2, v5
	s_wait_loadcnt 0x0
	s_delay_alu instid0(VALU_DEP_1) | instskip(NEXT) | instid1(VALU_DEP_1)
	v_dual_add_f32 v3, v3, v131 :: v_dual_sub_f32 v2, v122, v2
	v_sub_f32_e32 v3, v123, v3
	scratch_store_b64 off, v[2:3], off offset:304
	v_cmpx_lt_u32_e32 37, v0
	s_cbranch_execz .LBB109_215
; %bb.214:
	scratch_load_b64 v[3:4], off, off offset:296
	v_mov_b32_e32 v2, v1
	scratch_store_b64 off, v[1:2], off offset:296
	s_wait_loadcnt 0x0
	ds_store_b64 v23, v[3:4]
.LBB109_215:
	s_wait_alu 0xfffe
	s_or_b32 exec_lo, exec_lo, s0
	s_wait_storecnt_dscnt 0x0
	s_barrier_signal -1
	s_barrier_wait -1
	global_inv scope:SCOPE_SE
	s_clause 0x4
	scratch_load_b128 v[2:5], off, off offset:304
	scratch_load_b128 v[6:9], off, off offset:320
	;; [unrolled: 1-line block ×4, first 2 shown]
	scratch_load_b64 v[128:129], off, off offset:296
	ds_load_b128 v[18:21], v1 offset:672
	ds_load_b128 v[24:27], v1 offset:688
	;; [unrolled: 1-line block ×4, first 2 shown]
	s_mov_b32 s0, exec_lo
	s_wait_loadcnt_dscnt 0x403
	v_dual_mul_f32 v1, v18, v3 :: v_dual_mul_f32 v22, v20, v5
	v_mul_f32_e32 v3, v19, v3
	s_wait_loadcnt_dscnt 0x302
	v_dual_mul_f32 v130, v24, v7 :: v_dual_mul_f32 v131, v26, v9
	s_delay_alu instid0(VALU_DEP_3) | instskip(NEXT) | instid1(VALU_DEP_3)
	v_dual_fmac_f32 v1, v19, v2 :: v_dual_fmac_f32 v22, v21, v4
	v_fma_f32 v3, v18, v2, -v3
	v_mul_f32_e32 v2, v25, v7
	s_wait_loadcnt_dscnt 0x201
	v_dual_mul_f32 v132, v120, v11 :: v_dual_mul_f32 v133, v122, v13
	s_delay_alu instid0(VALU_DEP_3) | instskip(NEXT) | instid1(VALU_DEP_3)
	v_dual_fmac_f32 v130, v25, v6 :: v_dual_add_f32 v3, 0, v3
	v_fma_f32 v2, v24, v6, -v2
	v_mul_f32_e32 v5, v21, v5
	s_delay_alu instid0(VALU_DEP_4) | instskip(SKIP_2) | instid1(VALU_DEP_3)
	v_dual_fmac_f32 v132, v121, v10 :: v_dual_add_f32 v1, 0, v1
	s_wait_loadcnt_dscnt 0x100
	v_dual_mul_f32 v134, v124, v15 :: v_dual_mul_f32 v135, v126, v17
	v_fma_f32 v4, v20, v4, -v5
	v_mul_f32_e32 v5, v27, v9
	s_delay_alu instid0(VALU_DEP_3) | instskip(NEXT) | instid1(VALU_DEP_4)
	v_dual_fmac_f32 v131, v27, v8 :: v_dual_fmac_f32 v134, v125, v14
	v_fmac_f32_e32 v135, v127, v16
	s_delay_alu instid0(VALU_DEP_3) | instskip(SKIP_1) | instid1(VALU_DEP_1)
	v_fma_f32 v5, v26, v8, -v5
	v_dual_add_f32 v3, v3, v4 :: v_dual_mul_f32 v4, v121, v11
	v_add_f32_e32 v2, v3, v2
	v_mul_f32_e32 v3, v123, v13
	s_delay_alu instid0(VALU_DEP_3) | instskip(NEXT) | instid1(VALU_DEP_3)
	v_fma_f32 v4, v120, v10, -v4
	v_dual_add_f32 v2, v2, v5 :: v_dual_add_f32 v1, v1, v22
	v_mul_f32_e32 v5, v125, v15
	s_delay_alu instid0(VALU_DEP_4) | instskip(NEXT) | instid1(VALU_DEP_3)
	v_fma_f32 v3, v122, v12, -v3
	v_dual_add_f32 v2, v2, v4 :: v_dual_add_f32 v1, v1, v130
	v_mul_f32_e32 v4, v127, v17
	v_fmac_f32_e32 v133, v123, v12
	v_fma_f32 v5, v124, v14, -v5
	s_delay_alu instid0(VALU_DEP_4) | instskip(SKIP_2) | instid1(VALU_DEP_2)
	v_add_f32_e32 v2, v2, v3
	v_add_f32_e32 v1, v1, v131
	v_fma_f32 v3, v126, v16, -v4
	v_dual_add_f32 v2, v2, v5 :: v_dual_add_f32 v1, v1, v132
	s_delay_alu instid0(VALU_DEP_1) | instskip(NEXT) | instid1(VALU_DEP_1)
	v_dual_add_f32 v2, v2, v3 :: v_dual_add_f32 v1, v1, v133
	v_add_f32_e32 v1, v1, v134
	s_delay_alu instid0(VALU_DEP_1) | instskip(SKIP_1) | instid1(VALU_DEP_1)
	v_add_f32_e32 v3, v1, v135
	s_wait_loadcnt 0x0
	v_dual_sub_f32 v1, v128, v2 :: v_dual_sub_f32 v2, v129, v3
	scratch_store_b64 off, v[1:2], off offset:296
	v_cmpx_lt_u32_e32 36, v0
	s_cbranch_execz .LBB109_217
; %bb.216:
	scratch_load_b64 v[1:2], off, off offset:288
	v_mov_b32_e32 v3, 0
	s_delay_alu instid0(VALU_DEP_1)
	v_mov_b32_e32 v4, v3
	scratch_store_b64 off, v[3:4], off offset:288
	s_wait_loadcnt 0x0
	ds_store_b64 v23, v[1:2]
.LBB109_217:
	s_wait_alu 0xfffe
	s_or_b32 exec_lo, exec_lo, s0
	s_wait_storecnt_dscnt 0x0
	s_barrier_signal -1
	s_barrier_wait -1
	global_inv scope:SCOPE_SE
	s_clause 0x5
	scratch_load_b128 v[2:5], off, off offset:296
	scratch_load_b128 v[6:9], off, off offset:312
	;; [unrolled: 1-line block ×4, first 2 shown]
	scratch_load_b64 v[128:129], off, off offset:360
	scratch_load_b64 v[130:131], off, off offset:288
	v_mov_b32_e32 v1, 0
	ds_load_2addr_b64 v[18:21], v1 offset0:83 offset1:84
	ds_load_2addr_b64 v[24:27], v1 offset0:85 offset1:86
	;; [unrolled: 1-line block ×4, first 2 shown]
	ds_load_b64 v[132:133], v1 offset:728
	s_mov_b32 s0, exec_lo
	s_wait_loadcnt_dscnt 0x504
	v_mul_f32_e32 v22, v18, v3
	v_dual_mul_f32 v134, v20, v5 :: v_dual_mul_f32 v3, v19, v3
	s_wait_loadcnt_dscnt 0x403
	v_dual_mul_f32 v135, v24, v7 :: v_dual_mul_f32 v136, v26, v9
	v_mul_f32_e32 v5, v21, v5
	s_wait_loadcnt_dscnt 0x100
	v_dual_mul_f32 v141, v132, v129 :: v_dual_fmac_f32 v22, v19, v2
	v_fma_f32 v3, v18, v2, -v3
	v_mul_f32_e32 v2, v25, v7
	v_fmac_f32_e32 v134, v21, v4
	v_fmac_f32_e32 v136, v27, v8
	v_fma_f32 v4, v20, v4, -v5
	v_add_f32_e32 v3, 0, v3
	v_add_f32_e32 v5, 0, v22
	v_mul_f32_e32 v7, v27, v9
	v_fma_f32 v2, v24, v6, -v2
	v_fmac_f32_e32 v135, v25, v6
	s_delay_alu instid0(VALU_DEP_4) | instskip(SKIP_3) | instid1(VALU_DEP_4)
	v_dual_add_f32 v3, v3, v4 :: v_dual_add_f32 v4, v5, v134
	v_mul_f32_e32 v5, v121, v11
	v_fma_f32 v6, v26, v8, -v7
	v_dual_mul_f32 v137, v120, v11 :: v_dual_mul_f32 v138, v122, v13
	v_dual_add_f32 v2, v3, v2 :: v_dual_add_f32 v3, v4, v135
	v_mul_f32_e32 v4, v123, v13
	v_fma_f32 v5, v120, v10, -v5
	s_delay_alu instid0(VALU_DEP_4) | instskip(NEXT) | instid1(VALU_DEP_4)
	v_fmac_f32_e32 v138, v123, v12
	v_add_f32_e32 v2, v2, v6
	v_fmac_f32_e32 v137, v121, v10
	v_dual_add_f32 v3, v3, v136 :: v_dual_mul_f32 v6, v125, v15
	v_fma_f32 v4, v122, v12, -v4
	s_delay_alu instid0(VALU_DEP_4) | instskip(SKIP_1) | instid1(VALU_DEP_4)
	v_dual_add_f32 v2, v2, v5 :: v_dual_mul_f32 v139, v124, v15
	v_mul_f32_e32 v140, v126, v17
	v_add_f32_e32 v3, v3, v137
	v_fma_f32 v6, v124, v14, -v6
	s_delay_alu instid0(VALU_DEP_4) | instskip(NEXT) | instid1(VALU_DEP_4)
	v_dual_add_f32 v2, v2, v4 :: v_dual_mul_f32 v5, v127, v17
	v_dual_fmac_f32 v139, v125, v14 :: v_dual_fmac_f32 v140, v127, v16
	s_delay_alu instid0(VALU_DEP_4) | instskip(NEXT) | instid1(VALU_DEP_3)
	v_dual_add_f32 v3, v3, v138 :: v_dual_mul_f32 v4, v133, v129
	v_add_f32_e32 v2, v2, v6
	s_delay_alu instid0(VALU_DEP_4) | instskip(NEXT) | instid1(VALU_DEP_3)
	v_fma_f32 v5, v126, v16, -v5
	v_add_f32_e32 v3, v3, v139
	s_delay_alu instid0(VALU_DEP_4) | instskip(NEXT) | instid1(VALU_DEP_2)
	v_fma_f32 v4, v132, v128, -v4
	v_dual_add_f32 v2, v2, v5 :: v_dual_add_f32 v3, v3, v140
	s_delay_alu instid0(VALU_DEP_1) | instskip(SKIP_1) | instid1(VALU_DEP_1)
	v_add_f32_e32 v2, v2, v4
	s_wait_loadcnt 0x0
	v_dual_fmac_f32 v141, v133, v128 :: v_dual_sub_f32 v2, v130, v2
	s_delay_alu instid0(VALU_DEP_1) | instskip(NEXT) | instid1(VALU_DEP_1)
	v_add_f32_e32 v3, v3, v141
	v_sub_f32_e32 v3, v131, v3
	scratch_store_b64 off, v[2:3], off offset:288
	v_cmpx_lt_u32_e32 35, v0
	s_cbranch_execz .LBB109_219
; %bb.218:
	scratch_load_b64 v[3:4], off, off offset:280
	v_mov_b32_e32 v2, v1
	scratch_store_b64 off, v[1:2], off offset:280
	s_wait_loadcnt 0x0
	ds_store_b64 v23, v[3:4]
.LBB109_219:
	s_wait_alu 0xfffe
	s_or_b32 exec_lo, exec_lo, s0
	s_wait_storecnt_dscnt 0x0
	s_barrier_signal -1
	s_barrier_wait -1
	global_inv scope:SCOPE_SE
	s_clause 0x5
	scratch_load_b128 v[2:5], off, off offset:288
	scratch_load_b128 v[6:9], off, off offset:304
	;; [unrolled: 1-line block ×5, first 2 shown]
	scratch_load_b64 v[136:137], off, off offset:280
	ds_load_b128 v[24:27], v1 offset:656
	ds_load_b128 v[120:123], v1 offset:672
	;; [unrolled: 1-line block ×5, first 2 shown]
	s_mov_b32 s0, exec_lo
	s_wait_loadcnt_dscnt 0x504
	v_dual_mul_f32 v1, v24, v3 :: v_dual_mul_f32 v22, v26, v5
	v_mul_f32_e32 v3, v25, v3
	s_wait_loadcnt_dscnt 0x403
	v_dual_mul_f32 v5, v27, v5 :: v_dual_mul_f32 v138, v120, v7
	s_delay_alu instid0(VALU_DEP_3) | instskip(NEXT) | instid1(VALU_DEP_3)
	v_dual_mul_f32 v139, v122, v9 :: v_dual_fmac_f32 v22, v27, v4
	v_fma_f32 v3, v24, v2, -v3
	v_fmac_f32_e32 v1, v25, v2
	v_mul_f32_e32 v2, v121, v7
	v_fma_f32 v4, v26, v4, -v5
	s_wait_loadcnt_dscnt 0x302
	v_dual_mul_f32 v140, v124, v11 :: v_dual_mul_f32 v141, v126, v13
	v_dual_add_f32 v3, 0, v3 :: v_dual_fmac_f32 v138, v121, v6
	s_wait_loadcnt_dscnt 0x201
	v_dual_mul_f32 v142, v128, v15 :: v_dual_mul_f32 v143, v130, v17
	s_delay_alu instid0(VALU_DEP_3) | instskip(SKIP_1) | instid1(VALU_DEP_3)
	v_dual_mul_f32 v5, v123, v9 :: v_dual_fmac_f32 v140, v125, v10
	v_fma_f32 v2, v120, v6, -v2
	v_dual_add_f32 v3, v3, v4 :: v_dual_fmac_f32 v142, v129, v14
	s_delay_alu instid0(VALU_DEP_3)
	v_fma_f32 v5, v122, v8, -v5
	v_mul_f32_e32 v4, v125, v11
	s_wait_loadcnt_dscnt 0x100
	v_dual_mul_f32 v144, v132, v19 :: v_dual_mul_f32 v145, v134, v21
	v_add_f32_e32 v2, v3, v2
	v_mul_f32_e32 v3, v127, v13
	v_fma_f32 v4, v124, v10, -v4
	s_delay_alu instid0(VALU_DEP_4) | instskip(NEXT) | instid1(VALU_DEP_4)
	v_dual_fmac_f32 v144, v133, v18 :: v_dual_fmac_f32 v143, v131, v16
	v_add_f32_e32 v2, v2, v5
	v_add_f32_e32 v1, 0, v1
	v_fma_f32 v3, v126, v12, -v3
	v_fmac_f32_e32 v145, v135, v20
	s_delay_alu instid0(VALU_DEP_3) | instskip(SKIP_1) | instid1(VALU_DEP_2)
	v_dual_add_f32 v2, v2, v4 :: v_dual_add_f32 v1, v1, v22
	v_mul_f32_e32 v4, v131, v17
	v_dual_fmac_f32 v139, v123, v8 :: v_dual_add_f32 v2, v2, v3
	s_delay_alu instid0(VALU_DEP_3) | instskip(NEXT) | instid1(VALU_DEP_3)
	v_add_f32_e32 v1, v1, v138
	v_fma_f32 v4, v130, v16, -v4
	v_mul_f32_e32 v5, v129, v15
	v_mul_f32_e32 v3, v133, v19
	s_delay_alu instid0(VALU_DEP_4) | instskip(NEXT) | instid1(VALU_DEP_3)
	v_add_f32_e32 v1, v1, v139
	v_fma_f32 v5, v128, v14, -v5
	v_fmac_f32_e32 v141, v127, v12
	s_delay_alu instid0(VALU_DEP_4) | instskip(NEXT) | instid1(VALU_DEP_3)
	v_fma_f32 v3, v132, v18, -v3
	v_add_f32_e32 v2, v2, v5
	s_delay_alu instid0(VALU_DEP_1) | instskip(SKIP_1) | instid1(VALU_DEP_2)
	v_dual_mul_f32 v5, v135, v21 :: v_dual_add_f32 v2, v2, v4
	v_add_f32_e32 v1, v1, v140
	v_fma_f32 v4, v134, v20, -v5
	s_delay_alu instid0(VALU_DEP_2) | instskip(NEXT) | instid1(VALU_DEP_1)
	v_dual_add_f32 v2, v2, v3 :: v_dual_add_f32 v1, v1, v141
	v_dual_add_f32 v2, v2, v4 :: v_dual_add_f32 v1, v1, v142
	s_delay_alu instid0(VALU_DEP_1) | instskip(NEXT) | instid1(VALU_DEP_1)
	v_add_f32_e32 v1, v1, v143
	v_add_f32_e32 v1, v1, v144
	s_delay_alu instid0(VALU_DEP_1) | instskip(SKIP_1) | instid1(VALU_DEP_1)
	v_add_f32_e32 v3, v1, v145
	s_wait_loadcnt 0x0
	v_dual_sub_f32 v1, v136, v2 :: v_dual_sub_f32 v2, v137, v3
	scratch_store_b64 off, v[1:2], off offset:280
	v_cmpx_lt_u32_e32 34, v0
	s_cbranch_execz .LBB109_221
; %bb.220:
	scratch_load_b64 v[1:2], off, off offset:272
	v_mov_b32_e32 v3, 0
	s_delay_alu instid0(VALU_DEP_1)
	v_mov_b32_e32 v4, v3
	scratch_store_b64 off, v[3:4], off offset:272
	s_wait_loadcnt 0x0
	ds_store_b64 v23, v[1:2]
.LBB109_221:
	s_wait_alu 0xfffe
	s_or_b32 exec_lo, exec_lo, s0
	s_wait_storecnt_dscnt 0x0
	s_barrier_signal -1
	s_barrier_wait -1
	global_inv scope:SCOPE_SE
	s_clause 0x6
	scratch_load_b128 v[2:5], off, off offset:280
	scratch_load_b128 v[6:9], off, off offset:296
	;; [unrolled: 1-line block ×5, first 2 shown]
	scratch_load_b64 v[136:137], off, off offset:360
	scratch_load_b64 v[138:139], off, off offset:272
	v_mov_b32_e32 v1, 0
	ds_load_2addr_b64 v[24:27], v1 offset0:81 offset1:82
	ds_load_2addr_b64 v[120:123], v1 offset0:83 offset1:84
	;; [unrolled: 1-line block ×5, first 2 shown]
	ds_load_b64 v[140:141], v1 offset:728
	s_mov_b32 s0, exec_lo
	s_wait_loadcnt_dscnt 0x605
	v_mul_f32_e32 v22, v24, v3
	v_dual_mul_f32 v3, v25, v3 :: v_dual_mul_f32 v142, v26, v5
	s_wait_loadcnt_dscnt 0x302
	v_dual_mul_f32 v143, v120, v7 :: v_dual_mul_f32 v148, v130, v17
	v_mul_f32_e32 v5, v27, v5
	s_delay_alu instid0(VALU_DEP_3)
	v_fma_f32 v3, v24, v2, -v3
	v_dual_mul_f32 v144, v122, v9 :: v_dual_mul_f32 v145, v124, v11
	s_wait_loadcnt_dscnt 0x100
	v_dual_mul_f32 v151, v140, v137 :: v_dual_fmac_f32 v22, v25, v2
	v_mul_f32_e32 v2, v121, v7
	v_dual_fmac_f32 v142, v27, v4 :: v_dual_add_f32 v3, 0, v3
	v_fma_f32 v4, v26, v4, -v5
	s_delay_alu instid0(VALU_DEP_4) | instskip(SKIP_2) | instid1(VALU_DEP_4)
	v_dual_add_f32 v5, 0, v22 :: v_dual_fmac_f32 v144, v123, v8
	v_mul_f32_e32 v7, v123, v9
	v_fma_f32 v2, v120, v6, -v2
	v_add_f32_e32 v3, v3, v4
	v_fmac_f32_e32 v143, v121, v6
	v_add_f32_e32 v4, v5, v142
	v_mul_f32_e32 v5, v125, v11
	v_fma_f32 v6, v122, v8, -v7
	v_add_f32_e32 v2, v3, v2
	v_dual_mul_f32 v146, v126, v13 :: v_dual_mul_f32 v147, v128, v15
	v_dual_add_f32 v3, v4, v143 :: v_dual_mul_f32 v4, v127, v13
	v_fma_f32 v5, v124, v10, -v5
	s_delay_alu instid0(VALU_DEP_4)
	v_add_f32_e32 v2, v2, v6
	v_fmac_f32_e32 v145, v125, v10
	v_mul_f32_e32 v6, v129, v15
	v_fmac_f32_e32 v146, v127, v12
	v_add_f32_e32 v3, v3, v144
	v_fma_f32 v4, v126, v12, -v4
	v_add_f32_e32 v2, v2, v5
	v_mul_f32_e32 v5, v131, v17
	v_fma_f32 v6, v128, v14, -v6
	v_add_f32_e32 v3, v3, v145
	v_dual_fmac_f32 v147, v129, v14 :: v_dual_fmac_f32 v148, v131, v16
	v_add_f32_e32 v2, v2, v4
	v_mul_f32_e32 v4, v133, v19
	v_fma_f32 v5, v130, v16, -v5
	v_dual_mul_f32 v149, v132, v19 :: v_dual_mul_f32 v150, v134, v21
	s_delay_alu instid0(VALU_DEP_4) | instskip(SKIP_1) | instid1(VALU_DEP_3)
	v_add_f32_e32 v2, v2, v6
	v_add_f32_e32 v3, v3, v146
	v_dual_mul_f32 v6, v135, v21 :: v_dual_fmac_f32 v149, v133, v18
	v_fma_f32 v4, v132, v18, -v4
	s_delay_alu instid0(VALU_DEP_3) | instskip(SKIP_1) | instid1(VALU_DEP_4)
	v_dual_add_f32 v2, v2, v5 :: v_dual_add_f32 v3, v3, v147
	v_dual_mul_f32 v5, v141, v137 :: v_dual_fmac_f32 v150, v135, v20
	v_fma_f32 v6, v134, v20, -v6
	s_delay_alu instid0(VALU_DEP_3) | instskip(NEXT) | instid1(VALU_DEP_4)
	v_add_f32_e32 v2, v2, v4
	v_add_f32_e32 v3, v3, v148
	s_delay_alu instid0(VALU_DEP_4) | instskip(NEXT) | instid1(VALU_DEP_2)
	v_fma_f32 v4, v140, v136, -v5
	v_dual_add_f32 v2, v2, v6 :: v_dual_add_f32 v3, v3, v149
	s_delay_alu instid0(VALU_DEP_1) | instskip(SKIP_1) | instid1(VALU_DEP_1)
	v_dual_add_f32 v2, v2, v4 :: v_dual_add_f32 v3, v3, v150
	s_wait_loadcnt 0x0
	v_dual_fmac_f32 v151, v141, v136 :: v_dual_sub_f32 v2, v138, v2
	s_delay_alu instid0(VALU_DEP_1) | instskip(NEXT) | instid1(VALU_DEP_1)
	v_add_f32_e32 v3, v3, v151
	v_sub_f32_e32 v3, v139, v3
	scratch_store_b64 off, v[2:3], off offset:272
	v_cmpx_lt_u32_e32 33, v0
	s_cbranch_execz .LBB109_223
; %bb.222:
	scratch_load_b64 v[3:4], off, off offset:264
	v_mov_b32_e32 v2, v1
	scratch_store_b64 off, v[1:2], off offset:264
	s_wait_loadcnt 0x0
	ds_store_b64 v23, v[3:4]
.LBB109_223:
	s_wait_alu 0xfffe
	s_or_b32 exec_lo, exec_lo, s0
	s_wait_storecnt_dscnt 0x0
	s_barrier_signal -1
	s_barrier_wait -1
	global_inv scope:SCOPE_SE
	s_clause 0x6
	scratch_load_b128 v[2:5], off, off offset:272
	scratch_load_b128 v[6:9], off, off offset:288
	;; [unrolled: 1-line block ×6, first 2 shown]
	scratch_load_b64 v[144:145], off, off offset:264
	ds_load_b128 v[120:123], v1 offset:640
	ds_load_b128 v[124:127], v1 offset:656
	;; [unrolled: 1-line block ×6, first 2 shown]
	s_mov_b32 s0, exec_lo
	s_wait_loadcnt_dscnt 0x605
	v_dual_mul_f32 v1, v120, v3 :: v_dual_mul_f32 v22, v122, v5
	v_mul_f32_e32 v3, v121, v3
	s_wait_loadcnt_dscnt 0x504
	v_dual_mul_f32 v5, v123, v5 :: v_dual_mul_f32 v146, v124, v7
	v_mul_f32_e32 v147, v126, v9
	s_wait_loadcnt_dscnt 0x100
	v_mul_f32_e32 v154, v140, v25
	v_fma_f32 v3, v120, v2, -v3
	v_dual_mul_f32 v155, v142, v27 :: v_dual_fmac_f32 v22, v123, v4
	v_fmac_f32_e32 v1, v121, v2
	v_mul_f32_e32 v2, v125, v7
	v_fma_f32 v4, v122, v4, -v5
	v_dual_add_f32 v3, 0, v3 :: v_dual_fmac_f32 v146, v125, v6
	v_dual_mul_f32 v148, v128, v11 :: v_dual_mul_f32 v149, v130, v13
	v_dual_mul_f32 v150, v132, v15 :: v_dual_mul_f32 v151, v134, v17
	s_delay_alu instid0(VALU_DEP_2) | instskip(SKIP_1) | instid1(VALU_DEP_3)
	v_dual_mul_f32 v5, v127, v9 :: v_dual_fmac_f32 v148, v129, v10
	v_fma_f32 v2, v124, v6, -v2
	v_dual_add_f32 v3, v3, v4 :: v_dual_fmac_f32 v150, v133, v14
	s_delay_alu instid0(VALU_DEP_3) | instskip(SKIP_2) | instid1(VALU_DEP_4)
	v_fma_f32 v5, v126, v8, -v5
	v_mul_f32_e32 v4, v129, v11
	v_dual_mul_f32 v152, v136, v19 :: v_dual_mul_f32 v153, v138, v21
	v_add_f32_e32 v2, v3, v2
	v_mul_f32_e32 v3, v131, v13
	s_delay_alu instid0(VALU_DEP_4) | instskip(NEXT) | instid1(VALU_DEP_4)
	v_fma_f32 v4, v128, v10, -v4
	v_dual_fmac_f32 v152, v137, v18 :: v_dual_fmac_f32 v151, v135, v16
	s_delay_alu instid0(VALU_DEP_4) | instskip(SKIP_3) | instid1(VALU_DEP_4)
	v_add_f32_e32 v2, v2, v5
	v_add_f32_e32 v1, 0, v1
	v_fma_f32 v3, v130, v12, -v3
	v_fmac_f32_e32 v153, v139, v20
	v_dual_fmac_f32 v155, v143, v26 :: v_dual_add_f32 v2, v2, v4
	s_delay_alu instid0(VALU_DEP_4) | instskip(SKIP_2) | instid1(VALU_DEP_3)
	v_dual_add_f32 v1, v1, v22 :: v_dual_mul_f32 v4, v135, v17
	v_fmac_f32_e32 v147, v127, v8
	v_fmac_f32_e32 v154, v141, v24
	v_dual_add_f32 v2, v2, v3 :: v_dual_add_f32 v1, v1, v146
	s_delay_alu instid0(VALU_DEP_4) | instskip(SKIP_1) | instid1(VALU_DEP_3)
	v_fma_f32 v4, v134, v16, -v4
	v_mul_f32_e32 v5, v133, v15
	v_add_f32_e32 v1, v1, v147
	s_delay_alu instid0(VALU_DEP_2) | instskip(NEXT) | instid1(VALU_DEP_1)
	v_fma_f32 v5, v132, v14, -v5
	v_dual_fmac_f32 v149, v131, v12 :: v_dual_add_f32 v2, v2, v5
	s_delay_alu instid0(VALU_DEP_1) | instskip(NEXT) | instid1(VALU_DEP_1)
	v_dual_mul_f32 v5, v139, v21 :: v_dual_add_f32 v2, v2, v4
	v_fma_f32 v5, v138, v20, -v5
	v_mul_f32_e32 v3, v137, v19
	v_mul_f32_e32 v4, v141, v25
	s_delay_alu instid0(VALU_DEP_2) | instskip(SKIP_1) | instid1(VALU_DEP_3)
	v_fma_f32 v3, v136, v18, -v3
	v_add_f32_e32 v1, v1, v148
	v_fma_f32 v4, v140, v24, -v4
	s_delay_alu instid0(VALU_DEP_3) | instskip(NEXT) | instid1(VALU_DEP_1)
	v_add_f32_e32 v2, v2, v3
	v_dual_mul_f32 v3, v143, v27 :: v_dual_add_f32 v2, v2, v5
	s_delay_alu instid0(VALU_DEP_4) | instskip(NEXT) | instid1(VALU_DEP_2)
	v_add_f32_e32 v1, v1, v149
	v_fma_f32 v3, v142, v26, -v3
	s_delay_alu instid0(VALU_DEP_2) | instskip(NEXT) | instid1(VALU_DEP_1)
	v_dual_add_f32 v2, v2, v4 :: v_dual_add_f32 v1, v1, v150
	v_add_f32_e32 v2, v2, v3
	s_delay_alu instid0(VALU_DEP_2) | instskip(NEXT) | instid1(VALU_DEP_1)
	v_add_f32_e32 v1, v1, v151
	v_add_f32_e32 v1, v1, v152
	s_delay_alu instid0(VALU_DEP_1) | instskip(NEXT) | instid1(VALU_DEP_1)
	v_add_f32_e32 v1, v1, v153
	v_add_f32_e32 v1, v1, v154
	s_delay_alu instid0(VALU_DEP_1) | instskip(SKIP_1) | instid1(VALU_DEP_1)
	v_add_f32_e32 v3, v1, v155
	s_wait_loadcnt 0x0
	v_dual_sub_f32 v1, v144, v2 :: v_dual_sub_f32 v2, v145, v3
	scratch_store_b64 off, v[1:2], off offset:264
	v_cmpx_lt_u32_e32 32, v0
	s_cbranch_execz .LBB109_225
; %bb.224:
	scratch_load_b64 v[1:2], off, off offset:256
	v_mov_b32_e32 v3, 0
	s_delay_alu instid0(VALU_DEP_1)
	v_mov_b32_e32 v4, v3
	scratch_store_b64 off, v[3:4], off offset:256
	s_wait_loadcnt 0x0
	ds_store_b64 v23, v[1:2]
.LBB109_225:
	s_wait_alu 0xfffe
	s_or_b32 exec_lo, exec_lo, s0
	s_wait_storecnt_dscnt 0x0
	s_barrier_signal -1
	s_barrier_wait -1
	global_inv scope:SCOPE_SE
	s_clause 0x7
	scratch_load_b128 v[2:5], off, off offset:264
	scratch_load_b128 v[6:9], off, off offset:280
	;; [unrolled: 1-line block ×6, first 2 shown]
	scratch_load_b64 v[144:145], off, off offset:360
	scratch_load_b64 v[146:147], off, off offset:256
	v_mov_b32_e32 v1, 0
	ds_load_2addr_b64 v[120:123], v1 offset0:79 offset1:80
	ds_load_2addr_b64 v[124:127], v1 offset0:81 offset1:82
	;; [unrolled: 1-line block ×6, first 2 shown]
	ds_load_b64 v[148:149], v1 offset:728
	s_mov_b32 s0, exec_lo
	s_wait_loadcnt_dscnt 0x706
	v_mul_f32_e32 v22, v120, v3
	v_dual_mul_f32 v3, v121, v3 :: v_dual_mul_f32 v150, v122, v5
	s_wait_loadcnt_dscnt 0x302
	v_dual_mul_f32 v151, v124, v7 :: v_dual_mul_f32 v158, v138, v21
	v_mul_f32_e32 v5, v123, v5
	s_delay_alu instid0(VALU_DEP_3)
	v_fma_f32 v3, v120, v2, -v3
	v_dual_mul_f32 v152, v126, v9 :: v_dual_mul_f32 v153, v128, v11
	s_wait_loadcnt_dscnt 0x100
	v_dual_mul_f32 v161, v148, v145 :: v_dual_fmac_f32 v22, v121, v2
	v_mul_f32_e32 v2, v125, v7
	v_dual_fmac_f32 v150, v123, v4 :: v_dual_add_f32 v3, 0, v3
	v_fma_f32 v4, v122, v4, -v5
	s_delay_alu instid0(VALU_DEP_4) | instskip(SKIP_2) | instid1(VALU_DEP_4)
	v_dual_add_f32 v5, 0, v22 :: v_dual_fmac_f32 v152, v127, v8
	v_mul_f32_e32 v7, v127, v9
	v_fma_f32 v2, v124, v6, -v2
	v_add_f32_e32 v3, v3, v4
	v_fmac_f32_e32 v151, v125, v6
	v_add_f32_e32 v4, v5, v150
	v_mul_f32_e32 v5, v129, v11
	v_fma_f32 v6, v126, v8, -v7
	v_add_f32_e32 v2, v3, v2
	v_dual_mul_f32 v154, v130, v13 :: v_dual_mul_f32 v155, v132, v15
	v_dual_add_f32 v3, v4, v151 :: v_dual_mul_f32 v4, v131, v13
	v_fma_f32 v5, v128, v10, -v5
	s_delay_alu instid0(VALU_DEP_4)
	v_add_f32_e32 v2, v2, v6
	v_fmac_f32_e32 v153, v129, v10
	v_mul_f32_e32 v6, v133, v15
	v_fmac_f32_e32 v154, v131, v12
	v_add_f32_e32 v3, v3, v152
	v_fma_f32 v4, v130, v12, -v4
	v_add_f32_e32 v2, v2, v5
	v_dual_mul_f32 v156, v134, v17 :: v_dual_mul_f32 v157, v136, v19
	s_delay_alu instid0(VALU_DEP_4)
	v_add_f32_e32 v3, v3, v153
	v_mul_f32_e32 v5, v135, v17
	v_fma_f32 v6, v132, v14, -v6
	v_dual_add_f32 v2, v2, v4 :: v_dual_fmac_f32 v155, v133, v14
	v_fmac_f32_e32 v156, v135, v16
	v_mul_f32_e32 v4, v137, v19
	v_fma_f32 v5, v134, v16, -v5
	s_delay_alu instid0(VALU_DEP_4) | instskip(SKIP_3) | instid1(VALU_DEP_3)
	v_add_f32_e32 v2, v2, v6
	v_add_f32_e32 v3, v3, v154
	v_dual_mul_f32 v6, v139, v21 :: v_dual_fmac_f32 v157, v137, v18
	v_fma_f32 v4, v136, v18, -v4
	v_dual_add_f32 v2, v2, v5 :: v_dual_add_f32 v3, v3, v155
	s_delay_alu instid0(VALU_DEP_3) | instskip(SKIP_1) | instid1(VALU_DEP_3)
	v_fma_f32 v6, v138, v20, -v6
	v_dual_mul_f32 v159, v140, v25 :: v_dual_mul_f32 v160, v142, v27
	v_add_f32_e32 v2, v2, v4
	s_delay_alu instid0(VALU_DEP_4) | instskip(SKIP_1) | instid1(VALU_DEP_4)
	v_add_f32_e32 v3, v3, v156
	v_dual_mul_f32 v5, v141, v25 :: v_dual_fmac_f32 v158, v139, v20
	v_dual_mul_f32 v4, v143, v27 :: v_dual_fmac_f32 v159, v141, v24
	s_delay_alu instid0(VALU_DEP_3) | instskip(NEXT) | instid1(VALU_DEP_3)
	v_dual_add_f32 v2, v2, v6 :: v_dual_add_f32 v3, v3, v157
	v_fma_f32 v5, v140, v24, -v5
	v_mul_f32_e32 v6, v149, v145
	v_dual_fmac_f32 v160, v143, v26 :: v_dual_fmac_f32 v161, v149, v144
	s_delay_alu instid0(VALU_DEP_4) | instskip(SKIP_3) | instid1(VALU_DEP_4)
	v_add_f32_e32 v3, v3, v158
	v_fma_f32 v4, v142, v26, -v4
	v_add_f32_e32 v2, v2, v5
	v_fma_f32 v5, v148, v144, -v6
	v_add_f32_e32 v3, v3, v159
	s_delay_alu instid0(VALU_DEP_1) | instskip(NEXT) | instid1(VALU_DEP_1)
	v_add_f32_e32 v3, v3, v160
	v_dual_add_f32 v2, v2, v4 :: v_dual_add_f32 v3, v3, v161
	s_wait_loadcnt 0x0
	s_delay_alu instid0(VALU_DEP_1) | instskip(NEXT) | instid1(VALU_DEP_1)
	v_dual_add_f32 v2, v2, v5 :: v_dual_sub_f32 v3, v147, v3
	v_sub_f32_e32 v2, v146, v2
	scratch_store_b64 off, v[2:3], off offset:256
	v_cmpx_lt_u32_e32 31, v0
	s_cbranch_execz .LBB109_227
; %bb.226:
	scratch_load_b64 v[3:4], off, off offset:248
	v_mov_b32_e32 v2, v1
	scratch_store_b64 off, v[1:2], off offset:248
	s_wait_loadcnt 0x0
	ds_store_b64 v23, v[3:4]
.LBB109_227:
	s_wait_alu 0xfffe
	s_or_b32 exec_lo, exec_lo, s0
	s_wait_storecnt_dscnt 0x0
	s_barrier_signal -1
	s_barrier_wait -1
	global_inv scope:SCOPE_SE
	s_clause 0x7
	scratch_load_b128 v[2:5], off, off offset:256
	scratch_load_b128 v[6:9], off, off offset:272
	;; [unrolled: 1-line block ×7, first 2 shown]
	scratch_load_b64 v[152:153], off, off offset:248
	ds_load_b128 v[124:127], v1 offset:624
	ds_load_b128 v[128:131], v1 offset:640
	ds_load_b128 v[132:135], v1 offset:656
	ds_load_b128 v[136:139], v1 offset:672
	ds_load_b128 v[140:143], v1 offset:688
	ds_load_b128 v[144:147], v1 offset:704
	ds_load_b128 v[148:151], v1 offset:720
	s_mov_b32 s0, exec_lo
	s_wait_loadcnt_dscnt 0x706
	v_dual_mul_f32 v1, v124, v3 :: v_dual_mul_f32 v22, v126, v5
	v_mul_f32_e32 v3, v125, v3
	s_wait_loadcnt_dscnt 0x605
	v_dual_mul_f32 v5, v127, v5 :: v_dual_mul_f32 v154, v128, v7
	v_mul_f32_e32 v155, v130, v9
	s_wait_loadcnt_dscnt 0x201
	v_mul_f32_e32 v162, v144, v25
	v_fma_f32 v3, v124, v2, -v3
	s_wait_loadcnt_dscnt 0x100
	v_dual_mul_f32 v165, v150, v123 :: v_dual_fmac_f32 v22, v127, v4
	v_fmac_f32_e32 v1, v125, v2
	v_mul_f32_e32 v2, v129, v7
	v_fma_f32 v4, v126, v4, -v5
	v_dual_add_f32 v3, 0, v3 :: v_dual_fmac_f32 v154, v129, v6
	v_dual_mul_f32 v156, v132, v11 :: v_dual_mul_f32 v157, v134, v13
	v_dual_mul_f32 v158, v136, v15 :: v_dual_mul_f32 v159, v138, v17
	s_delay_alu instid0(VALU_DEP_2) | instskip(SKIP_1) | instid1(VALU_DEP_3)
	v_dual_mul_f32 v5, v131, v9 :: v_dual_fmac_f32 v156, v133, v10
	v_fma_f32 v2, v128, v6, -v2
	v_dual_add_f32 v3, v3, v4 :: v_dual_fmac_f32 v158, v137, v14
	s_delay_alu instid0(VALU_DEP_3) | instskip(SKIP_1) | instid1(VALU_DEP_3)
	v_fma_f32 v5, v130, v8, -v5
	v_dual_mul_f32 v160, v140, v19 :: v_dual_mul_f32 v161, v142, v21
	v_add_f32_e32 v2, v3, v2
	v_dual_mul_f32 v4, v133, v11 :: v_dual_mul_f32 v3, v135, v13
	s_delay_alu instid0(VALU_DEP_3) | instskip(NEXT) | instid1(VALU_DEP_3)
	v_dual_fmac_f32 v160, v141, v18 :: v_dual_fmac_f32 v159, v139, v16
	v_add_f32_e32 v2, v2, v5
	v_add_f32_e32 v1, 0, v1
	s_delay_alu instid0(VALU_DEP_4) | instskip(SKIP_2) | instid1(VALU_DEP_3)
	v_fma_f32 v4, v132, v10, -v4
	v_fma_f32 v3, v134, v12, -v3
	v_dual_mul_f32 v163, v146, v27 :: v_dual_mul_f32 v164, v148, v121
	v_dual_add_f32 v1, v1, v22 :: v_dual_add_f32 v2, v2, v4
	v_mul_f32_e32 v4, v139, v17
	v_fmac_f32_e32 v155, v131, v8
	s_delay_alu instid0(VALU_DEP_4) | instskip(NEXT) | instid1(VALU_DEP_4)
	v_fmac_f32_e32 v163, v147, v26
	v_dual_add_f32 v1, v1, v154 :: v_dual_add_f32 v2, v2, v3
	s_delay_alu instid0(VALU_DEP_4) | instskip(SKIP_2) | instid1(VALU_DEP_4)
	v_fma_f32 v4, v138, v16, -v4
	v_mul_f32_e32 v5, v137, v15
	v_fmac_f32_e32 v165, v151, v122
	v_add_f32_e32 v1, v1, v155
	v_fmac_f32_e32 v162, v145, v24
	v_fmac_f32_e32 v164, v149, v120
	v_fma_f32 v5, v136, v14, -v5
	s_delay_alu instid0(VALU_DEP_1) | instskip(NEXT) | instid1(VALU_DEP_1)
	v_dual_fmac_f32 v157, v135, v12 :: v_dual_add_f32 v2, v2, v5
	v_dual_mul_f32 v5, v143, v21 :: v_dual_add_f32 v2, v2, v4
	s_delay_alu instid0(VALU_DEP_1) | instskip(SKIP_2) | instid1(VALU_DEP_2)
	v_fma_f32 v5, v142, v20, -v5
	v_mul_f32_e32 v3, v141, v19
	v_mul_f32_e32 v4, v145, v25
	v_fma_f32 v3, v140, v18, -v3
	v_add_f32_e32 v1, v1, v156
	s_delay_alu instid0(VALU_DEP_3) | instskip(NEXT) | instid1(VALU_DEP_3)
	v_fma_f32 v4, v144, v24, -v4
	v_add_f32_e32 v2, v2, v3
	s_delay_alu instid0(VALU_DEP_1) | instskip(NEXT) | instid1(VALU_DEP_4)
	v_dual_mul_f32 v3, v147, v27 :: v_dual_add_f32 v2, v2, v5
	v_add_f32_e32 v1, v1, v157
	v_mul_f32_e32 v5, v149, v121
	s_delay_alu instid0(VALU_DEP_3) | instskip(NEXT) | instid1(VALU_DEP_3)
	v_fma_f32 v3, v146, v26, -v3
	v_dual_add_f32 v2, v2, v4 :: v_dual_add_f32 v1, v1, v158
	v_mul_f32_e32 v4, v151, v123
	v_fmac_f32_e32 v161, v143, v20
	v_fma_f32 v5, v148, v120, -v5
	s_delay_alu instid0(VALU_DEP_4) | instskip(SKIP_2) | instid1(VALU_DEP_2)
	v_add_f32_e32 v2, v2, v3
	v_add_f32_e32 v1, v1, v159
	v_fma_f32 v3, v150, v122, -v4
	v_dual_add_f32 v2, v2, v5 :: v_dual_add_f32 v1, v1, v160
	s_delay_alu instid0(VALU_DEP_1) | instskip(NEXT) | instid1(VALU_DEP_1)
	v_dual_add_f32 v2, v2, v3 :: v_dual_add_f32 v1, v1, v161
	v_add_f32_e32 v1, v1, v162
	s_delay_alu instid0(VALU_DEP_1) | instskip(NEXT) | instid1(VALU_DEP_1)
	v_add_f32_e32 v1, v1, v163
	v_add_f32_e32 v1, v1, v164
	s_delay_alu instid0(VALU_DEP_1) | instskip(SKIP_1) | instid1(VALU_DEP_1)
	v_add_f32_e32 v3, v1, v165
	s_wait_loadcnt 0x0
	v_dual_sub_f32 v1, v152, v2 :: v_dual_sub_f32 v2, v153, v3
	scratch_store_b64 off, v[1:2], off offset:248
	v_cmpx_lt_u32_e32 30, v0
	s_cbranch_execz .LBB109_229
; %bb.228:
	scratch_load_b64 v[1:2], off, off offset:240
	v_mov_b32_e32 v3, 0
	s_delay_alu instid0(VALU_DEP_1)
	v_mov_b32_e32 v4, v3
	scratch_store_b64 off, v[3:4], off offset:240
	s_wait_loadcnt 0x0
	ds_store_b64 v23, v[1:2]
.LBB109_229:
	s_wait_alu 0xfffe
	s_or_b32 exec_lo, exec_lo, s0
	s_wait_storecnt_dscnt 0x0
	s_barrier_signal -1
	s_barrier_wait -1
	global_inv scope:SCOPE_SE
	s_clause 0x8
	scratch_load_b128 v[2:5], off, off offset:248
	scratch_load_b128 v[6:9], off, off offset:264
	;; [unrolled: 1-line block ×7, first 2 shown]
	scratch_load_b64 v[152:153], off, off offset:360
	scratch_load_b64 v[154:155], off, off offset:240
	v_mov_b32_e32 v1, 0
	ds_load_2addr_b64 v[124:127], v1 offset0:77 offset1:78
	ds_load_2addr_b64 v[128:131], v1 offset0:79 offset1:80
	;; [unrolled: 1-line block ×7, first 2 shown]
	ds_load_b64 v[156:157], v1 offset:728
	s_mov_b32 s0, exec_lo
	s_wait_loadcnt_dscnt 0x807
	v_mul_f32_e32 v22, v124, v3
	v_dual_mul_f32 v3, v125, v3 :: v_dual_mul_f32 v158, v126, v5
	s_wait_loadcnt_dscnt 0x403
	v_dual_mul_f32 v159, v128, v7 :: v_dual_mul_f32 v166, v142, v21
	v_mul_f32_e32 v5, v127, v5
	s_delay_alu instid0(VALU_DEP_3)
	v_fma_f32 v3, v124, v2, -v3
	v_dual_mul_f32 v160, v130, v9 :: v_dual_mul_f32 v161, v132, v11
	s_wait_loadcnt_dscnt 0x100
	v_dual_mul_f32 v171, v156, v153 :: v_dual_fmac_f32 v22, v125, v2
	v_mul_f32_e32 v2, v129, v7
	v_dual_fmac_f32 v158, v127, v4 :: v_dual_add_f32 v3, 0, v3
	v_fma_f32 v4, v126, v4, -v5
	s_delay_alu instid0(VALU_DEP_4) | instskip(SKIP_2) | instid1(VALU_DEP_4)
	v_dual_add_f32 v5, 0, v22 :: v_dual_fmac_f32 v160, v131, v8
	v_mul_f32_e32 v7, v131, v9
	v_fma_f32 v2, v128, v6, -v2
	v_add_f32_e32 v3, v3, v4
	v_fmac_f32_e32 v159, v129, v6
	v_add_f32_e32 v4, v5, v158
	v_mul_f32_e32 v5, v133, v11
	v_fma_f32 v6, v130, v8, -v7
	v_add_f32_e32 v2, v3, v2
	v_dual_mul_f32 v162, v134, v13 :: v_dual_mul_f32 v163, v136, v15
	v_dual_add_f32 v3, v4, v159 :: v_dual_mul_f32 v4, v135, v13
	v_fma_f32 v5, v132, v10, -v5
	s_delay_alu instid0(VALU_DEP_4)
	v_add_f32_e32 v2, v2, v6
	v_fmac_f32_e32 v161, v133, v10
	v_mul_f32_e32 v6, v137, v15
	v_fmac_f32_e32 v162, v135, v12
	v_add_f32_e32 v3, v3, v160
	v_fma_f32 v4, v134, v12, -v4
	v_add_f32_e32 v2, v2, v5
	v_dual_mul_f32 v164, v138, v17 :: v_dual_mul_f32 v165, v140, v19
	s_delay_alu instid0(VALU_DEP_4)
	v_add_f32_e32 v3, v3, v161
	v_mul_f32_e32 v5, v139, v17
	v_fma_f32 v6, v136, v14, -v6
	v_dual_add_f32 v2, v2, v4 :: v_dual_fmac_f32 v163, v137, v14
	v_fmac_f32_e32 v164, v139, v16
	v_mul_f32_e32 v4, v141, v19
	v_fma_f32 v5, v138, v16, -v5
	s_delay_alu instid0(VALU_DEP_4) | instskip(SKIP_3) | instid1(VALU_DEP_3)
	v_add_f32_e32 v2, v2, v6
	v_add_f32_e32 v3, v3, v162
	v_dual_mul_f32 v6, v143, v21 :: v_dual_fmac_f32 v165, v141, v18
	v_fma_f32 v4, v140, v18, -v4
	v_dual_add_f32 v2, v2, v5 :: v_dual_add_f32 v3, v3, v163
	s_delay_alu instid0(VALU_DEP_3) | instskip(SKIP_1) | instid1(VALU_DEP_3)
	v_fma_f32 v6, v142, v20, -v6
	v_dual_mul_f32 v167, v144, v25 :: v_dual_mul_f32 v168, v146, v27
	v_add_f32_e32 v2, v2, v4
	s_delay_alu instid0(VALU_DEP_4) | instskip(SKIP_1) | instid1(VALU_DEP_4)
	v_add_f32_e32 v3, v3, v164
	v_dual_mul_f32 v5, v145, v25 :: v_dual_fmac_f32 v166, v143, v20
	v_dual_mul_f32 v4, v147, v27 :: v_dual_fmac_f32 v167, v145, v24
	s_delay_alu instid0(VALU_DEP_3) | instskip(NEXT) | instid1(VALU_DEP_3)
	v_dual_add_f32 v2, v2, v6 :: v_dual_add_f32 v3, v3, v165
	v_fma_f32 v5, v144, v24, -v5
	v_dual_mul_f32 v169, v148, v121 :: v_dual_mul_f32 v170, v150, v123
	s_delay_alu instid0(VALU_DEP_3) | instskip(NEXT) | instid1(VALU_DEP_2)
	v_dual_mul_f32 v6, v149, v121 :: v_dual_add_f32 v3, v3, v166
	v_dual_fmac_f32 v168, v147, v26 :: v_dual_fmac_f32 v169, v149, v120
	v_fma_f32 v4, v146, v26, -v4
	s_delay_alu instid0(VALU_DEP_3) | instskip(SKIP_3) | instid1(VALU_DEP_4)
	v_dual_add_f32 v2, v2, v5 :: v_dual_add_f32 v3, v3, v167
	v_mul_f32_e32 v5, v151, v123
	v_fma_f32 v6, v148, v120, -v6
	v_dual_fmac_f32 v170, v151, v122 :: v_dual_fmac_f32 v171, v157, v152
	v_add_f32_e32 v2, v2, v4
	v_dual_add_f32 v3, v3, v168 :: v_dual_mul_f32 v4, v157, v153
	v_fma_f32 v5, v150, v122, -v5
	s_delay_alu instid0(VALU_DEP_2) | instskip(NEXT) | instid1(VALU_DEP_3)
	v_dual_add_f32 v2, v2, v6 :: v_dual_add_f32 v3, v3, v169
	v_fma_f32 v4, v156, v152, -v4
	s_delay_alu instid0(VALU_DEP_2) | instskip(NEXT) | instid1(VALU_DEP_1)
	v_dual_add_f32 v2, v2, v5 :: v_dual_add_f32 v3, v3, v170
	v_dual_add_f32 v2, v2, v4 :: v_dual_add_f32 v3, v3, v171
	s_wait_loadcnt 0x0
	s_delay_alu instid0(VALU_DEP_1)
	v_dual_sub_f32 v2, v154, v2 :: v_dual_sub_f32 v3, v155, v3
	scratch_store_b64 off, v[2:3], off offset:240
	v_cmpx_lt_u32_e32 29, v0
	s_cbranch_execz .LBB109_231
; %bb.230:
	scratch_load_b64 v[3:4], off, off offset:232
	v_mov_b32_e32 v2, v1
	scratch_store_b64 off, v[1:2], off offset:232
	s_wait_loadcnt 0x0
	ds_store_b64 v23, v[3:4]
.LBB109_231:
	s_wait_alu 0xfffe
	s_or_b32 exec_lo, exec_lo, s0
	s_wait_storecnt_dscnt 0x0
	s_barrier_signal -1
	s_barrier_wait -1
	global_inv scope:SCOPE_SE
	s_clause 0x8
	scratch_load_b128 v[2:5], off, off offset:240
	scratch_load_b128 v[6:9], off, off offset:256
	;; [unrolled: 1-line block ×8, first 2 shown]
	scratch_load_b64 v[160:161], off, off offset:232
	ds_load_b128 v[128:131], v1 offset:608
	ds_load_b128 v[132:135], v1 offset:624
	;; [unrolled: 1-line block ×8, first 2 shown]
	s_mov_b32 s0, exec_lo
	s_wait_loadcnt_dscnt 0x807
	v_dual_mul_f32 v1, v128, v3 :: v_dual_mul_f32 v22, v130, v5
	v_mul_f32_e32 v3, v129, v3
	s_wait_loadcnt_dscnt 0x706
	v_dual_mul_f32 v5, v131, v5 :: v_dual_mul_f32 v162, v132, v7
	v_mul_f32_e32 v163, v134, v9
	s_wait_loadcnt_dscnt 0x201
	v_mul_f32_e32 v172, v152, v121
	v_fma_f32 v3, v128, v2, -v3
	s_wait_loadcnt_dscnt 0x100
	v_dual_mul_f32 v175, v158, v127 :: v_dual_fmac_f32 v22, v131, v4
	v_fmac_f32_e32 v1, v129, v2
	v_mul_f32_e32 v2, v133, v7
	v_fma_f32 v4, v130, v4, -v5
	v_dual_add_f32 v3, 0, v3 :: v_dual_fmac_f32 v162, v133, v6
	v_dual_mul_f32 v164, v136, v11 :: v_dual_mul_f32 v165, v138, v13
	v_dual_mul_f32 v166, v140, v15 :: v_dual_mul_f32 v167, v142, v17
	s_delay_alu instid0(VALU_DEP_2) | instskip(SKIP_1) | instid1(VALU_DEP_3)
	v_dual_mul_f32 v5, v135, v9 :: v_dual_fmac_f32 v164, v137, v10
	v_fma_f32 v2, v132, v6, -v2
	v_dual_add_f32 v3, v3, v4 :: v_dual_fmac_f32 v166, v141, v14
	s_delay_alu instid0(VALU_DEP_3) | instskip(SKIP_1) | instid1(VALU_DEP_3)
	v_fma_f32 v5, v134, v8, -v5
	v_dual_mul_f32 v168, v144, v19 :: v_dual_mul_f32 v169, v146, v21
	v_add_f32_e32 v2, v3, v2
	v_dual_mul_f32 v4, v137, v11 :: v_dual_mul_f32 v3, v139, v13
	s_delay_alu instid0(VALU_DEP_3) | instskip(SKIP_1) | instid1(VALU_DEP_4)
	v_fmac_f32_e32 v168, v145, v18
	v_dual_mul_f32 v170, v148, v25 :: v_dual_mul_f32 v171, v150, v27
	v_add_f32_e32 v2, v2, v5
	v_add_f32_e32 v1, 0, v1
	v_fma_f32 v4, v136, v10, -v4
	v_fma_f32 v3, v138, v12, -v3
	v_fmac_f32_e32 v167, v143, v16
	v_dual_mul_f32 v173, v154, v123 :: v_dual_mul_f32 v174, v156, v125
	s_delay_alu instid0(VALU_DEP_4) | instskip(SKIP_2) | instid1(VALU_DEP_4)
	v_dual_add_f32 v1, v1, v22 :: v_dual_add_f32 v2, v2, v4
	v_mul_f32_e32 v4, v143, v17
	v_fmac_f32_e32 v163, v135, v8
	v_dual_fmac_f32 v171, v151, v26 :: v_dual_fmac_f32 v174, v157, v124
	s_delay_alu instid0(VALU_DEP_4) | instskip(NEXT) | instid1(VALU_DEP_4)
	v_add_f32_e32 v1, v1, v162
	v_fma_f32 v4, v142, v16, -v4
	v_mul_f32_e32 v5, v141, v15
	v_dual_add_f32 v2, v2, v3 :: v_dual_fmac_f32 v173, v155, v122
	s_delay_alu instid0(VALU_DEP_4) | instskip(SKIP_1) | instid1(VALU_DEP_4)
	v_add_f32_e32 v1, v1, v163
	v_fmac_f32_e32 v170, v149, v24
	v_fma_f32 v5, v140, v14, -v5
	v_fmac_f32_e32 v165, v139, v12
	v_dual_fmac_f32 v175, v159, v126 :: v_dual_fmac_f32 v172, v153, v120
	s_delay_alu instid0(VALU_DEP_3) | instskip(NEXT) | instid1(VALU_DEP_1)
	v_add_f32_e32 v2, v2, v5
	v_dual_mul_f32 v5, v147, v21 :: v_dual_add_f32 v2, v2, v4
	s_delay_alu instid0(VALU_DEP_1) | instskip(SKIP_2) | instid1(VALU_DEP_2)
	v_fma_f32 v5, v146, v20, -v5
	v_mul_f32_e32 v3, v145, v19
	v_mul_f32_e32 v4, v149, v25
	v_fma_f32 v3, v144, v18, -v3
	v_add_f32_e32 v1, v1, v164
	s_delay_alu instid0(VALU_DEP_3) | instskip(NEXT) | instid1(VALU_DEP_3)
	v_fma_f32 v4, v148, v24, -v4
	v_add_f32_e32 v2, v2, v3
	s_delay_alu instid0(VALU_DEP_1) | instskip(NEXT) | instid1(VALU_DEP_4)
	v_dual_mul_f32 v3, v151, v27 :: v_dual_add_f32 v2, v2, v5
	v_add_f32_e32 v1, v1, v165
	s_delay_alu instid0(VALU_DEP_2) | instskip(NEXT) | instid1(VALU_DEP_2)
	v_fma_f32 v3, v150, v26, -v3
	v_dual_add_f32 v2, v2, v4 :: v_dual_add_f32 v1, v1, v166
	v_mul_f32_e32 v4, v155, v123
	s_delay_alu instid0(VALU_DEP_2) | instskip(SKIP_1) | instid1(VALU_DEP_3)
	v_dual_fmac_f32 v169, v147, v20 :: v_dual_add_f32 v2, v2, v3
	v_mul_f32_e32 v3, v157, v125
	v_fma_f32 v4, v154, v122, -v4
	v_mul_f32_e32 v5, v153, v121
	s_delay_alu instid0(VALU_DEP_3) | instskip(NEXT) | instid1(VALU_DEP_2)
	v_fma_f32 v3, v156, v124, -v3
	v_fma_f32 v5, v152, v120, -v5
	s_delay_alu instid0(VALU_DEP_1) | instskip(NEXT) | instid1(VALU_DEP_1)
	v_dual_add_f32 v1, v1, v167 :: v_dual_add_f32 v2, v2, v5
	v_dual_mul_f32 v5, v159, v127 :: v_dual_add_f32 v2, v2, v4
	s_delay_alu instid0(VALU_DEP_2) | instskip(NEXT) | instid1(VALU_DEP_2)
	v_add_f32_e32 v1, v1, v168
	v_fma_f32 v4, v158, v126, -v5
	s_delay_alu instid0(VALU_DEP_2) | instskip(NEXT) | instid1(VALU_DEP_1)
	v_dual_add_f32 v2, v2, v3 :: v_dual_add_f32 v1, v1, v169
	v_dual_add_f32 v2, v2, v4 :: v_dual_add_f32 v1, v1, v170
	s_delay_alu instid0(VALU_DEP_1) | instskip(NEXT) | instid1(VALU_DEP_1)
	v_add_f32_e32 v1, v1, v171
	v_add_f32_e32 v1, v1, v172
	s_delay_alu instid0(VALU_DEP_1) | instskip(NEXT) | instid1(VALU_DEP_1)
	v_add_f32_e32 v1, v1, v173
	v_add_f32_e32 v1, v1, v174
	s_delay_alu instid0(VALU_DEP_1) | instskip(SKIP_1) | instid1(VALU_DEP_1)
	v_add_f32_e32 v3, v1, v175
	s_wait_loadcnt 0x0
	v_dual_sub_f32 v1, v160, v2 :: v_dual_sub_f32 v2, v161, v3
	scratch_store_b64 off, v[1:2], off offset:232
	v_cmpx_lt_u32_e32 28, v0
	s_cbranch_execz .LBB109_233
; %bb.232:
	scratch_load_b64 v[1:2], off, off offset:224
	v_mov_b32_e32 v3, 0
	s_delay_alu instid0(VALU_DEP_1)
	v_mov_b32_e32 v4, v3
	scratch_store_b64 off, v[3:4], off offset:224
	s_wait_loadcnt 0x0
	ds_store_b64 v23, v[1:2]
.LBB109_233:
	s_wait_alu 0xfffe
	s_or_b32 exec_lo, exec_lo, s0
	s_wait_storecnt_dscnt 0x0
	s_barrier_signal -1
	s_barrier_wait -1
	global_inv scope:SCOPE_SE
	s_clause 0x9
	scratch_load_b128 v[2:5], off, off offset:232
	scratch_load_b128 v[6:9], off, off offset:248
	;; [unrolled: 1-line block ×8, first 2 shown]
	scratch_load_b64 v[160:161], off, off offset:360
	scratch_load_b64 v[162:163], off, off offset:224
	v_mov_b32_e32 v1, 0
	ds_load_2addr_b64 v[128:131], v1 offset0:75 offset1:76
	ds_load_2addr_b64 v[132:135], v1 offset0:77 offset1:78
	;; [unrolled: 1-line block ×8, first 2 shown]
	ds_load_b64 v[164:165], v1 offset:728
	s_mov_b32 s0, exec_lo
	s_wait_loadcnt_dscnt 0x908
	v_mul_f32_e32 v22, v128, v3
	v_dual_mul_f32 v3, v129, v3 :: v_dual_mul_f32 v166, v130, v5
	s_wait_loadcnt_dscnt 0x504
	v_dual_mul_f32 v167, v132, v7 :: v_dual_mul_f32 v174, v146, v21
	v_mul_f32_e32 v5, v131, v5
	s_delay_alu instid0(VALU_DEP_3)
	v_fma_f32 v3, v128, v2, -v3
	v_dual_mul_f32 v168, v134, v9 :: v_dual_mul_f32 v169, v136, v11
	s_wait_loadcnt_dscnt 0x100
	v_dual_mul_f32 v181, v164, v161 :: v_dual_fmac_f32 v22, v129, v2
	v_mul_f32_e32 v2, v133, v7
	v_dual_fmac_f32 v166, v131, v4 :: v_dual_add_f32 v3, 0, v3
	v_fma_f32 v4, v130, v4, -v5
	s_delay_alu instid0(VALU_DEP_4) | instskip(SKIP_2) | instid1(VALU_DEP_4)
	v_dual_add_f32 v5, 0, v22 :: v_dual_fmac_f32 v168, v135, v8
	v_mul_f32_e32 v7, v135, v9
	v_fma_f32 v2, v132, v6, -v2
	v_add_f32_e32 v3, v3, v4
	v_fmac_f32_e32 v167, v133, v6
	v_add_f32_e32 v4, v5, v166
	v_mul_f32_e32 v5, v137, v11
	v_fma_f32 v6, v134, v8, -v7
	v_add_f32_e32 v2, v3, v2
	v_dual_mul_f32 v170, v138, v13 :: v_dual_mul_f32 v171, v140, v15
	v_dual_add_f32 v3, v4, v167 :: v_dual_mul_f32 v4, v139, v13
	v_fma_f32 v5, v136, v10, -v5
	s_delay_alu instid0(VALU_DEP_4)
	v_add_f32_e32 v2, v2, v6
	v_fmac_f32_e32 v169, v137, v10
	v_mul_f32_e32 v6, v141, v15
	v_fmac_f32_e32 v170, v139, v12
	v_add_f32_e32 v3, v3, v168
	v_fma_f32 v4, v138, v12, -v4
	v_add_f32_e32 v2, v2, v5
	v_dual_mul_f32 v172, v142, v17 :: v_dual_mul_f32 v173, v144, v19
	s_delay_alu instid0(VALU_DEP_4)
	v_add_f32_e32 v3, v3, v169
	v_mul_f32_e32 v5, v143, v17
	v_fma_f32 v6, v140, v14, -v6
	v_dual_add_f32 v2, v2, v4 :: v_dual_fmac_f32 v171, v141, v14
	v_fmac_f32_e32 v172, v143, v16
	v_mul_f32_e32 v4, v145, v19
	v_fma_f32 v5, v142, v16, -v5
	s_delay_alu instid0(VALU_DEP_4) | instskip(SKIP_3) | instid1(VALU_DEP_3)
	v_add_f32_e32 v2, v2, v6
	v_add_f32_e32 v3, v3, v170
	v_dual_mul_f32 v6, v147, v21 :: v_dual_fmac_f32 v173, v145, v18
	v_fma_f32 v4, v144, v18, -v4
	v_dual_add_f32 v2, v2, v5 :: v_dual_add_f32 v3, v3, v171
	s_delay_alu instid0(VALU_DEP_3) | instskip(SKIP_1) | instid1(VALU_DEP_3)
	v_fma_f32 v6, v146, v20, -v6
	v_dual_mul_f32 v175, v148, v25 :: v_dual_mul_f32 v176, v150, v27
	v_add_f32_e32 v2, v2, v4
	s_delay_alu instid0(VALU_DEP_4) | instskip(SKIP_1) | instid1(VALU_DEP_4)
	v_add_f32_e32 v3, v3, v172
	v_dual_mul_f32 v5, v149, v25 :: v_dual_fmac_f32 v174, v147, v20
	v_dual_mul_f32 v4, v151, v27 :: v_dual_fmac_f32 v175, v149, v24
	s_delay_alu instid0(VALU_DEP_3) | instskip(NEXT) | instid1(VALU_DEP_3)
	v_dual_add_f32 v2, v2, v6 :: v_dual_add_f32 v3, v3, v173
	v_fma_f32 v5, v148, v24, -v5
	v_dual_mul_f32 v177, v152, v121 :: v_dual_mul_f32 v178, v154, v123
	s_delay_alu instid0(VALU_DEP_3) | instskip(NEXT) | instid1(VALU_DEP_2)
	v_dual_mul_f32 v6, v153, v121 :: v_dual_add_f32 v3, v3, v174
	v_dual_fmac_f32 v176, v151, v26 :: v_dual_fmac_f32 v177, v153, v120
	v_fma_f32 v4, v150, v26, -v4
	s_delay_alu instid0(VALU_DEP_3) | instskip(SKIP_3) | instid1(VALU_DEP_4)
	v_dual_add_f32 v2, v2, v5 :: v_dual_add_f32 v3, v3, v175
	v_mul_f32_e32 v5, v155, v123
	v_fma_f32 v6, v152, v120, -v6
	v_dual_mul_f32 v179, v156, v125 :: v_dual_mul_f32 v180, v158, v127
	v_add_f32_e32 v2, v2, v4
	v_dual_add_f32 v3, v3, v176 :: v_dual_mul_f32 v4, v157, v125
	s_delay_alu instid0(VALU_DEP_3) | instskip(SKIP_1) | instid1(VALU_DEP_3)
	v_dual_fmac_f32 v178, v155, v122 :: v_dual_fmac_f32 v179, v157, v124
	v_fma_f32 v5, v154, v122, -v5
	v_dual_add_f32 v2, v2, v6 :: v_dual_add_f32 v3, v3, v177
	v_mul_f32_e32 v6, v159, v127
	v_fma_f32 v4, v156, v124, -v4
	v_dual_fmac_f32 v180, v159, v126 :: v_dual_fmac_f32 v181, v165, v160
	s_delay_alu instid0(VALU_DEP_4) | instskip(SKIP_2) | instid1(VALU_DEP_3)
	v_dual_add_f32 v2, v2, v5 :: v_dual_add_f32 v3, v3, v178
	v_mul_f32_e32 v5, v165, v161
	v_fma_f32 v6, v158, v126, -v6
	v_dual_add_f32 v2, v2, v4 :: v_dual_add_f32 v3, v3, v179
	s_delay_alu instid0(VALU_DEP_3) | instskip(NEXT) | instid1(VALU_DEP_2)
	v_fma_f32 v4, v164, v160, -v5
	v_dual_add_f32 v2, v2, v6 :: v_dual_add_f32 v3, v3, v180
	s_delay_alu instid0(VALU_DEP_1) | instskip(SKIP_1) | instid1(VALU_DEP_1)
	v_dual_add_f32 v2, v2, v4 :: v_dual_add_f32 v3, v3, v181
	s_wait_loadcnt 0x0
	v_dual_sub_f32 v2, v162, v2 :: v_dual_sub_f32 v3, v163, v3
	scratch_store_b64 off, v[2:3], off offset:224
	v_cmpx_lt_u32_e32 27, v0
	s_cbranch_execz .LBB109_235
; %bb.234:
	scratch_load_b64 v[3:4], off, off offset:216
	v_mov_b32_e32 v2, v1
	scratch_store_b64 off, v[1:2], off offset:216
	s_wait_loadcnt 0x0
	ds_store_b64 v23, v[3:4]
.LBB109_235:
	s_wait_alu 0xfffe
	s_or_b32 exec_lo, exec_lo, s0
	s_wait_storecnt_dscnt 0x0
	s_barrier_signal -1
	s_barrier_wait -1
	global_inv scope:SCOPE_SE
	s_clause 0x9
	scratch_load_b128 v[2:5], off, off offset:224
	scratch_load_b128 v[6:9], off, off offset:240
	;; [unrolled: 1-line block ×9, first 2 shown]
	scratch_load_b64 v[168:169], off, off offset:216
	ds_load_b128 v[132:135], v1 offset:592
	ds_load_b128 v[136:139], v1 offset:608
	;; [unrolled: 1-line block ×9, first 2 shown]
	s_mov_b32 s0, exec_lo
	s_wait_loadcnt_dscnt 0x908
	v_dual_mul_f32 v1, v132, v3 :: v_dual_mul_f32 v22, v134, v5
	v_mul_f32_e32 v5, v135, v5
	v_mul_f32_e32 v3, v133, v3
	s_wait_loadcnt_dscnt 0x807
	v_dual_mul_f32 v170, v136, v7 :: v_dual_mul_f32 v171, v138, v9
	s_wait_loadcnt_dscnt 0x201
	v_dual_fmac_f32 v1, v133, v2 :: v_dual_mul_f32 v182, v160, v125
	v_fma_f32 v3, v132, v2, -v3
	s_wait_loadcnt_dscnt 0x100
	v_dual_mul_f32 v185, v166, v131 :: v_dual_fmac_f32 v22, v135, v4
	v_mul_f32_e32 v2, v137, v7
	v_fma_f32 v4, v134, v4, -v5
	v_dual_add_f32 v3, 0, v3 :: v_dual_fmac_f32 v170, v137, v6
	v_dual_mul_f32 v172, v140, v11 :: v_dual_mul_f32 v173, v142, v13
	v_dual_mul_f32 v174, v144, v15 :: v_dual_mul_f32 v175, v146, v17
	s_delay_alu instid0(VALU_DEP_2) | instskip(SKIP_1) | instid1(VALU_DEP_3)
	v_dual_mul_f32 v5, v139, v9 :: v_dual_fmac_f32 v172, v141, v10
	v_fma_f32 v2, v136, v6, -v2
	v_dual_add_f32 v3, v3, v4 :: v_dual_fmac_f32 v174, v145, v14
	s_delay_alu instid0(VALU_DEP_3) | instskip(SKIP_1) | instid1(VALU_DEP_3)
	v_fma_f32 v5, v138, v8, -v5
	v_dual_mul_f32 v176, v148, v19 :: v_dual_mul_f32 v177, v150, v21
	v_add_f32_e32 v2, v3, v2
	v_dual_mul_f32 v4, v141, v11 :: v_dual_mul_f32 v3, v143, v13
	s_delay_alu instid0(VALU_DEP_3) | instskip(SKIP_1) | instid1(VALU_DEP_4)
	v_fmac_f32_e32 v176, v149, v18
	v_dual_mul_f32 v178, v152, v25 :: v_dual_mul_f32 v179, v154, v27
	v_add_f32_e32 v2, v2, v5
	v_add_f32_e32 v1, 0, v1
	v_fma_f32 v4, v140, v10, -v4
	v_fma_f32 v3, v142, v12, -v3
	v_dual_fmac_f32 v175, v147, v16 :: v_dual_mul_f32 v180, v156, v121
	v_mul_f32_e32 v181, v158, v123
	s_delay_alu instid0(VALU_DEP_4) | instskip(SKIP_3) | instid1(VALU_DEP_4)
	v_dual_add_f32 v1, v1, v22 :: v_dual_add_f32 v2, v2, v4
	v_mul_f32_e32 v4, v147, v17
	v_fmac_f32_e32 v171, v139, v8
	v_dual_mul_f32 v183, v162, v127 :: v_dual_mul_f32 v184, v164, v129
	v_add_f32_e32 v1, v1, v170
	s_delay_alu instid0(VALU_DEP_4) | instskip(SKIP_2) | instid1(VALU_DEP_4)
	v_fma_f32 v4, v146, v16, -v4
	v_mul_f32_e32 v5, v145, v15
	v_dual_add_f32 v2, v2, v3 :: v_dual_fmac_f32 v181, v159, v122
	v_add_f32_e32 v1, v1, v171
	v_dual_fmac_f32 v179, v155, v26 :: v_dual_fmac_f32 v182, v161, v124
	s_delay_alu instid0(VALU_DEP_4) | instskip(SKIP_3) | instid1(VALU_DEP_4)
	v_fma_f32 v5, v144, v14, -v5
	v_fmac_f32_e32 v173, v143, v12
	v_dual_fmac_f32 v178, v153, v24 :: v_dual_fmac_f32 v185, v167, v130
	v_fmac_f32_e32 v180, v157, v120
	v_add_f32_e32 v2, v2, v5
	v_dual_mul_f32 v5, v151, v21 :: v_dual_fmac_f32 v184, v165, v128
	s_delay_alu instid0(VALU_DEP_2) | instskip(NEXT) | instid1(VALU_DEP_2)
	v_add_f32_e32 v2, v2, v4
	v_fma_f32 v5, v150, v20, -v5
	v_mul_f32_e32 v3, v149, v19
	v_mul_f32_e32 v4, v153, v25
	s_delay_alu instid0(VALU_DEP_2) | instskip(SKIP_1) | instid1(VALU_DEP_3)
	v_fma_f32 v3, v148, v18, -v3
	v_add_f32_e32 v1, v1, v172
	v_fma_f32 v4, v152, v24, -v4
	s_delay_alu instid0(VALU_DEP_3) | instskip(NEXT) | instid1(VALU_DEP_1)
	v_add_f32_e32 v2, v2, v3
	v_dual_mul_f32 v3, v155, v27 :: v_dual_add_f32 v2, v2, v5
	s_delay_alu instid0(VALU_DEP_4) | instskip(NEXT) | instid1(VALU_DEP_2)
	v_add_f32_e32 v1, v1, v173
	v_fma_f32 v3, v154, v26, -v3
	s_delay_alu instid0(VALU_DEP_2) | instskip(SKIP_1) | instid1(VALU_DEP_2)
	v_dual_add_f32 v2, v2, v4 :: v_dual_add_f32 v1, v1, v174
	v_mul_f32_e32 v4, v159, v123
	v_dual_fmac_f32 v177, v151, v20 :: v_dual_add_f32 v2, v2, v3
	v_mul_f32_e32 v3, v161, v125
	s_delay_alu instid0(VALU_DEP_3) | instskip(SKIP_1) | instid1(VALU_DEP_3)
	v_fma_f32 v4, v158, v122, -v4
	v_mul_f32_e32 v5, v157, v121
	v_fma_f32 v3, v160, v124, -v3
	s_delay_alu instid0(VALU_DEP_2) | instskip(NEXT) | instid1(VALU_DEP_1)
	v_fma_f32 v5, v156, v120, -v5
	v_dual_add_f32 v1, v1, v175 :: v_dual_add_f32 v2, v2, v5
	s_delay_alu instid0(VALU_DEP_1) | instskip(NEXT) | instid1(VALU_DEP_2)
	v_dual_mul_f32 v5, v163, v127 :: v_dual_add_f32 v2, v2, v4
	v_add_f32_e32 v1, v1, v176
	v_mul_f32_e32 v4, v165, v129
	s_delay_alu instid0(VALU_DEP_3) | instskip(NEXT) | instid1(VALU_DEP_4)
	v_fma_f32 v5, v162, v126, -v5
	v_dual_add_f32 v2, v2, v3 :: v_dual_fmac_f32 v183, v163, v126
	v_mul_f32_e32 v3, v167, v131
	s_delay_alu instid0(VALU_DEP_4) | instskip(NEXT) | instid1(VALU_DEP_3)
	v_fma_f32 v4, v164, v128, -v4
	v_add_f32_e32 v2, v2, v5
	v_add_f32_e32 v1, v1, v177
	s_delay_alu instid0(VALU_DEP_4) | instskip(NEXT) | instid1(VALU_DEP_2)
	v_fma_f32 v3, v166, v130, -v3
	v_dual_add_f32 v2, v2, v4 :: v_dual_add_f32 v1, v1, v178
	s_delay_alu instid0(VALU_DEP_1) | instskip(NEXT) | instid1(VALU_DEP_2)
	v_add_f32_e32 v2, v2, v3
	v_add_f32_e32 v1, v1, v179
	s_delay_alu instid0(VALU_DEP_1) | instskip(NEXT) | instid1(VALU_DEP_1)
	v_add_f32_e32 v1, v1, v180
	v_add_f32_e32 v1, v1, v181
	s_delay_alu instid0(VALU_DEP_1) | instskip(NEXT) | instid1(VALU_DEP_1)
	;; [unrolled: 3-line block ×3, first 2 shown]
	v_add_f32_e32 v1, v1, v184
	v_add_f32_e32 v3, v1, v185
	s_wait_loadcnt 0x0
	s_delay_alu instid0(VALU_DEP_1)
	v_dual_sub_f32 v1, v168, v2 :: v_dual_sub_f32 v2, v169, v3
	scratch_store_b64 off, v[1:2], off offset:216
	v_cmpx_lt_u32_e32 26, v0
	s_cbranch_execz .LBB109_237
; %bb.236:
	scratch_load_b64 v[1:2], off, off offset:208
	v_mov_b32_e32 v3, 0
	s_delay_alu instid0(VALU_DEP_1)
	v_mov_b32_e32 v4, v3
	scratch_store_b64 off, v[3:4], off offset:208
	s_wait_loadcnt 0x0
	ds_store_b64 v23, v[1:2]
.LBB109_237:
	s_wait_alu 0xfffe
	s_or_b32 exec_lo, exec_lo, s0
	s_wait_storecnt_dscnt 0x0
	s_barrier_signal -1
	s_barrier_wait -1
	global_inv scope:SCOPE_SE
	s_clause 0xa
	scratch_load_b128 v[2:5], off, off offset:216
	scratch_load_b128 v[6:9], off, off offset:232
	;; [unrolled: 1-line block ×9, first 2 shown]
	scratch_load_b64 v[168:169], off, off offset:360
	scratch_load_b64 v[170:171], off, off offset:208
	v_mov_b32_e32 v1, 0
	ds_load_2addr_b64 v[132:135], v1 offset0:73 offset1:74
	ds_load_2addr_b64 v[136:139], v1 offset0:75 offset1:76
	;; [unrolled: 1-line block ×9, first 2 shown]
	ds_load_b64 v[172:173], v1 offset:728
	s_mov_b32 s0, exec_lo
	s_wait_loadcnt_dscnt 0xa09
	v_mul_f32_e32 v22, v132, v3
	v_dual_mul_f32 v3, v133, v3 :: v_dual_mul_f32 v174, v134, v5
	s_wait_loadcnt_dscnt 0x605
	v_dual_mul_f32 v175, v136, v7 :: v_dual_mul_f32 v182, v150, v21
	v_mul_f32_e32 v5, v135, v5
	s_delay_alu instid0(VALU_DEP_3)
	v_fma_f32 v3, v132, v2, -v3
	v_dual_mul_f32 v176, v138, v9 :: v_dual_mul_f32 v177, v140, v11
	s_wait_loadcnt_dscnt 0x100
	v_dual_mul_f32 v191, v172, v169 :: v_dual_fmac_f32 v22, v133, v2
	v_mul_f32_e32 v2, v137, v7
	v_dual_fmac_f32 v174, v135, v4 :: v_dual_add_f32 v3, 0, v3
	v_fma_f32 v4, v134, v4, -v5
	s_delay_alu instid0(VALU_DEP_4) | instskip(SKIP_2) | instid1(VALU_DEP_4)
	v_dual_add_f32 v5, 0, v22 :: v_dual_fmac_f32 v176, v139, v8
	v_mul_f32_e32 v7, v139, v9
	v_fma_f32 v2, v136, v6, -v2
	v_add_f32_e32 v3, v3, v4
	v_fmac_f32_e32 v175, v137, v6
	v_add_f32_e32 v4, v5, v174
	v_mul_f32_e32 v5, v141, v11
	v_fma_f32 v6, v138, v8, -v7
	v_add_f32_e32 v2, v3, v2
	v_dual_mul_f32 v178, v142, v13 :: v_dual_mul_f32 v179, v144, v15
	v_dual_add_f32 v3, v4, v175 :: v_dual_mul_f32 v4, v143, v13
	v_fma_f32 v5, v140, v10, -v5
	s_delay_alu instid0(VALU_DEP_4)
	v_add_f32_e32 v2, v2, v6
	v_fmac_f32_e32 v177, v141, v10
	v_mul_f32_e32 v6, v145, v15
	v_fmac_f32_e32 v178, v143, v12
	v_add_f32_e32 v3, v3, v176
	v_fma_f32 v4, v142, v12, -v4
	v_add_f32_e32 v2, v2, v5
	v_dual_mul_f32 v180, v146, v17 :: v_dual_mul_f32 v181, v148, v19
	s_delay_alu instid0(VALU_DEP_4)
	v_add_f32_e32 v3, v3, v177
	v_mul_f32_e32 v5, v147, v17
	v_fma_f32 v6, v144, v14, -v6
	v_dual_add_f32 v2, v2, v4 :: v_dual_fmac_f32 v179, v145, v14
	v_fmac_f32_e32 v180, v147, v16
	v_mul_f32_e32 v4, v149, v19
	v_fma_f32 v5, v146, v16, -v5
	s_delay_alu instid0(VALU_DEP_4) | instskip(SKIP_3) | instid1(VALU_DEP_3)
	v_add_f32_e32 v2, v2, v6
	v_add_f32_e32 v3, v3, v178
	v_dual_mul_f32 v6, v151, v21 :: v_dual_fmac_f32 v181, v149, v18
	v_fma_f32 v4, v148, v18, -v4
	v_dual_add_f32 v2, v2, v5 :: v_dual_add_f32 v3, v3, v179
	s_delay_alu instid0(VALU_DEP_3) | instskip(SKIP_1) | instid1(VALU_DEP_3)
	v_fma_f32 v6, v150, v20, -v6
	v_dual_mul_f32 v183, v152, v25 :: v_dual_mul_f32 v184, v154, v27
	v_add_f32_e32 v2, v2, v4
	s_delay_alu instid0(VALU_DEP_4) | instskip(SKIP_1) | instid1(VALU_DEP_4)
	v_add_f32_e32 v3, v3, v180
	v_dual_mul_f32 v5, v153, v25 :: v_dual_fmac_f32 v182, v151, v20
	v_dual_mul_f32 v4, v155, v27 :: v_dual_fmac_f32 v183, v153, v24
	s_delay_alu instid0(VALU_DEP_3) | instskip(NEXT) | instid1(VALU_DEP_3)
	v_dual_add_f32 v2, v2, v6 :: v_dual_add_f32 v3, v3, v181
	v_fma_f32 v5, v152, v24, -v5
	v_dual_mul_f32 v185, v156, v121 :: v_dual_mul_f32 v186, v158, v123
	s_delay_alu instid0(VALU_DEP_3) | instskip(NEXT) | instid1(VALU_DEP_2)
	v_dual_mul_f32 v6, v157, v121 :: v_dual_add_f32 v3, v3, v182
	v_dual_fmac_f32 v184, v155, v26 :: v_dual_fmac_f32 v185, v157, v120
	v_fma_f32 v4, v154, v26, -v4
	s_delay_alu instid0(VALU_DEP_3) | instskip(SKIP_3) | instid1(VALU_DEP_4)
	v_dual_add_f32 v2, v2, v5 :: v_dual_add_f32 v3, v3, v183
	v_mul_f32_e32 v5, v159, v123
	v_fma_f32 v6, v156, v120, -v6
	v_dual_mul_f32 v187, v160, v125 :: v_dual_mul_f32 v188, v162, v127
	v_add_f32_e32 v2, v2, v4
	v_dual_add_f32 v3, v3, v184 :: v_dual_mul_f32 v4, v161, v125
	s_delay_alu instid0(VALU_DEP_3) | instskip(SKIP_1) | instid1(VALU_DEP_3)
	v_dual_fmac_f32 v186, v159, v122 :: v_dual_fmac_f32 v187, v161, v124
	v_fma_f32 v5, v158, v122, -v5
	v_dual_add_f32 v2, v2, v6 :: v_dual_add_f32 v3, v3, v185
	v_mul_f32_e32 v6, v163, v127
	v_fma_f32 v4, v160, v124, -v4
	v_dual_mul_f32 v189, v164, v129 :: v_dual_mul_f32 v190, v166, v131
	s_delay_alu instid0(VALU_DEP_4) | instskip(SKIP_1) | instid1(VALU_DEP_3)
	v_dual_add_f32 v2, v2, v5 :: v_dual_add_f32 v3, v3, v186
	v_dual_mul_f32 v5, v165, v129 :: v_dual_fmac_f32 v188, v163, v126
	v_fmac_f32_e32 v189, v165, v128
	v_fma_f32 v6, v162, v126, -v6
	s_delay_alu instid0(VALU_DEP_4) | instskip(SKIP_2) | instid1(VALU_DEP_3)
	v_dual_add_f32 v2, v2, v4 :: v_dual_add_f32 v3, v3, v187
	v_dual_mul_f32 v4, v167, v131 :: v_dual_fmac_f32 v191, v173, v168
	v_fma_f32 v5, v164, v128, -v5
	v_dual_add_f32 v2, v2, v6 :: v_dual_add_f32 v3, v3, v188
	v_fmac_f32_e32 v190, v167, v130
	s_delay_alu instid0(VALU_DEP_4) | instskip(NEXT) | instid1(VALU_DEP_3)
	v_fma_f32 v4, v166, v130, -v4
	v_add_f32_e32 v3, v3, v189
	s_delay_alu instid0(VALU_DEP_1) | instskip(SKIP_1) | instid1(VALU_DEP_2)
	v_dual_mul_f32 v6, v173, v169 :: v_dual_add_f32 v3, v3, v190
	v_add_f32_e32 v2, v2, v5
	v_fma_f32 v5, v172, v168, -v6
	s_delay_alu instid0(VALU_DEP_2) | instskip(SKIP_1) | instid1(VALU_DEP_1)
	v_dual_add_f32 v3, v3, v191 :: v_dual_add_f32 v2, v2, v4
	s_wait_loadcnt 0x0
	v_dual_sub_f32 v3, v171, v3 :: v_dual_add_f32 v2, v2, v5
	s_delay_alu instid0(VALU_DEP_1)
	v_sub_f32_e32 v2, v170, v2
	scratch_store_b64 off, v[2:3], off offset:208
	v_cmpx_lt_u32_e32 25, v0
	s_cbranch_execz .LBB109_239
; %bb.238:
	scratch_load_b64 v[3:4], off, off offset:200
	v_mov_b32_e32 v2, v1
	scratch_store_b64 off, v[1:2], off offset:200
	s_wait_loadcnt 0x0
	ds_store_b64 v23, v[3:4]
.LBB109_239:
	s_wait_alu 0xfffe
	s_or_b32 exec_lo, exec_lo, s0
	s_wait_storecnt_dscnt 0x0
	s_barrier_signal -1
	s_barrier_wait -1
	global_inv scope:SCOPE_SE
	s_clause 0xa
	scratch_load_b128 v[2:5], off, off offset:208
	scratch_load_b128 v[6:9], off, off offset:224
	;; [unrolled: 1-line block ×10, first 2 shown]
	scratch_load_b64 v[176:177], off, off offset:200
	ds_load_b128 v[136:139], v1 offset:576
	ds_load_b128 v[140:143], v1 offset:592
	;; [unrolled: 1-line block ×10, first 2 shown]
	s_mov_b32 s0, exec_lo
	s_wait_loadcnt_dscnt 0xa09
	v_dual_mul_f32 v1, v136, v3 :: v_dual_mul_f32 v22, v138, v5
	s_wait_loadcnt_dscnt 0x908
	v_dual_mul_f32 v5, v139, v5 :: v_dual_mul_f32 v178, v140, v7
	v_mul_f32_e32 v179, v142, v9
	v_mul_f32_e32 v3, v137, v3
	v_dual_fmac_f32 v1, v137, v2 :: v_dual_fmac_f32 v22, v139, v4
	s_wait_loadcnt_dscnt 0x100
	v_dual_mul_f32 v192, v168, v129 :: v_dual_mul_f32 v195, v174, v135
	s_delay_alu instid0(VALU_DEP_3) | instskip(SKIP_3) | instid1(VALU_DEP_4)
	v_fma_f32 v3, v136, v2, -v3
	v_mul_f32_e32 v2, v141, v7
	v_fma_f32 v4, v138, v4, -v5
	v_dual_mul_f32 v180, v144, v11 :: v_dual_mul_f32 v181, v146, v13
	v_dual_add_f32 v3, 0, v3 :: v_dual_fmac_f32 v178, v141, v6
	v_dual_mul_f32 v182, v148, v15 :: v_dual_mul_f32 v183, v150, v17
	s_delay_alu instid0(VALU_DEP_3) | instskip(SKIP_1) | instid1(VALU_DEP_3)
	v_dual_mul_f32 v5, v143, v9 :: v_dual_fmac_f32 v180, v145, v10
	v_fma_f32 v2, v140, v6, -v2
	v_dual_add_f32 v3, v3, v4 :: v_dual_fmac_f32 v182, v149, v14
	s_delay_alu instid0(VALU_DEP_3) | instskip(SKIP_1) | instid1(VALU_DEP_3)
	v_fma_f32 v5, v142, v8, -v5
	v_dual_mul_f32 v184, v152, v19 :: v_dual_mul_f32 v185, v154, v21
	v_add_f32_e32 v2, v3, v2
	v_dual_mul_f32 v3, v147, v13 :: v_dual_mul_f32 v4, v145, v11
	s_delay_alu instid0(VALU_DEP_3) | instskip(SKIP_1) | instid1(VALU_DEP_4)
	v_fmac_f32_e32 v184, v153, v18
	v_dual_mul_f32 v186, v156, v25 :: v_dual_mul_f32 v187, v158, v27
	v_add_f32_e32 v2, v2, v5
	v_add_f32_e32 v1, 0, v1
	v_fma_f32 v4, v144, v10, -v4
	v_fma_f32 v3, v146, v12, -v3
	v_dual_fmac_f32 v183, v151, v16 :: v_dual_mul_f32 v188, v160, v121
	v_mul_f32_e32 v189, v162, v123
	s_delay_alu instid0(VALU_DEP_4) | instskip(SKIP_3) | instid1(VALU_DEP_4)
	v_dual_add_f32 v1, v1, v22 :: v_dual_add_f32 v2, v2, v4
	v_mul_f32_e32 v4, v151, v17
	v_dual_fmac_f32 v179, v143, v8 :: v_dual_mul_f32 v190, v164, v125
	v_mul_f32_e32 v191, v166, v127
	v_add_f32_e32 v1, v1, v178
	s_delay_alu instid0(VALU_DEP_4) | instskip(SKIP_2) | instid1(VALU_DEP_4)
	v_fma_f32 v4, v150, v16, -v4
	v_mul_f32_e32 v5, v149, v15
	v_dual_add_f32 v2, v2, v3 :: v_dual_fmac_f32 v189, v163, v122
	v_add_f32_e32 v1, v1, v179
	v_dual_mul_f32 v193, v170, v131 :: v_dual_mul_f32 v194, v172, v133
	s_delay_alu instid0(VALU_DEP_4) | instskip(SKIP_3) | instid1(VALU_DEP_4)
	v_fma_f32 v5, v148, v14, -v5
	v_fmac_f32_e32 v181, v147, v12
	v_dual_fmac_f32 v186, v157, v24 :: v_dual_fmac_f32 v187, v159, v26
	v_fmac_f32_e32 v190, v165, v124
	v_add_f32_e32 v2, v2, v5
	v_mul_f32_e32 v5, v155, v21
	v_fmac_f32_e32 v193, v171, v130
	v_dual_fmac_f32 v195, v175, v134 :: v_dual_fmac_f32 v188, v161, v120
	s_delay_alu instid0(VALU_DEP_4) | instskip(NEXT) | instid1(VALU_DEP_4)
	v_add_f32_e32 v2, v2, v4
	v_fma_f32 v5, v154, v20, -v5
	v_mul_f32_e32 v3, v153, v19
	v_mul_f32_e32 v4, v157, v25
	v_fmac_f32_e32 v192, v169, v128
	v_fmac_f32_e32 v194, v173, v132
	s_delay_alu instid0(VALU_DEP_4) | instskip(SKIP_2) | instid1(VALU_DEP_3)
	v_fma_f32 v3, v152, v18, -v3
	v_add_f32_e32 v1, v1, v180
	v_fma_f32 v4, v156, v24, -v4
	v_add_f32_e32 v2, v2, v3
	s_delay_alu instid0(VALU_DEP_1) | instskip(NEXT) | instid1(VALU_DEP_4)
	v_dual_mul_f32 v3, v159, v27 :: v_dual_add_f32 v2, v2, v5
	v_add_f32_e32 v1, v1, v181
	s_delay_alu instid0(VALU_DEP_2) | instskip(NEXT) | instid1(VALU_DEP_2)
	v_fma_f32 v3, v158, v26, -v3
	v_dual_add_f32 v2, v2, v4 :: v_dual_add_f32 v1, v1, v182
	v_mul_f32_e32 v4, v163, v123
	s_delay_alu instid0(VALU_DEP_2) | instskip(SKIP_1) | instid1(VALU_DEP_3)
	v_dual_fmac_f32 v185, v155, v20 :: v_dual_add_f32 v2, v2, v3
	v_mul_f32_e32 v3, v165, v125
	v_fma_f32 v4, v162, v122, -v4
	v_mul_f32_e32 v5, v161, v121
	s_delay_alu instid0(VALU_DEP_3) | instskip(NEXT) | instid1(VALU_DEP_2)
	v_fma_f32 v3, v164, v124, -v3
	v_fma_f32 v5, v160, v120, -v5
	s_delay_alu instid0(VALU_DEP_1) | instskip(NEXT) | instid1(VALU_DEP_1)
	v_dual_add_f32 v1, v1, v183 :: v_dual_add_f32 v2, v2, v5
	v_dual_mul_f32 v5, v167, v127 :: v_dual_add_f32 v2, v2, v4
	s_delay_alu instid0(VALU_DEP_2) | instskip(SKIP_1) | instid1(VALU_DEP_3)
	v_add_f32_e32 v1, v1, v184
	v_mul_f32_e32 v4, v169, v129
	v_fma_f32 v5, v166, v126, -v5
	s_delay_alu instid0(VALU_DEP_4) | instskip(SKIP_1) | instid1(VALU_DEP_4)
	v_dual_add_f32 v2, v2, v3 :: v_dual_fmac_f32 v191, v167, v126
	v_mul_f32_e32 v3, v171, v131
	v_fma_f32 v4, v168, v128, -v4
	s_delay_alu instid0(VALU_DEP_3) | instskip(SKIP_1) | instid1(VALU_DEP_4)
	v_add_f32_e32 v2, v2, v5
	v_add_f32_e32 v1, v1, v185
	v_fma_f32 v3, v170, v130, -v3
	s_delay_alu instid0(VALU_DEP_2) | instskip(SKIP_1) | instid1(VALU_DEP_2)
	v_dual_add_f32 v2, v2, v4 :: v_dual_add_f32 v1, v1, v186
	v_dual_mul_f32 v4, v175, v135 :: v_dual_mul_f32 v5, v173, v133
	v_add_f32_e32 v2, v2, v3
	s_delay_alu instid0(VALU_DEP_2) | instskip(NEXT) | instid1(VALU_DEP_3)
	v_fma_f32 v3, v174, v134, -v4
	v_fma_f32 v5, v172, v132, -v5
	s_delay_alu instid0(VALU_DEP_1) | instskip(NEXT) | instid1(VALU_DEP_1)
	v_dual_add_f32 v1, v1, v187 :: v_dual_add_f32 v2, v2, v5
	v_dual_add_f32 v1, v1, v188 :: v_dual_add_f32 v2, v2, v3
	s_delay_alu instid0(VALU_DEP_1) | instskip(NEXT) | instid1(VALU_DEP_1)
	v_add_f32_e32 v1, v1, v189
	v_add_f32_e32 v1, v1, v190
	s_delay_alu instid0(VALU_DEP_1) | instskip(NEXT) | instid1(VALU_DEP_1)
	v_add_f32_e32 v1, v1, v191
	v_add_f32_e32 v1, v1, v192
	;; [unrolled: 3-line block ×3, first 2 shown]
	s_delay_alu instid0(VALU_DEP_1) | instskip(SKIP_1) | instid1(VALU_DEP_1)
	v_add_f32_e32 v3, v1, v195
	s_wait_loadcnt 0x0
	v_dual_sub_f32 v1, v176, v2 :: v_dual_sub_f32 v2, v177, v3
	scratch_store_b64 off, v[1:2], off offset:200
	v_cmpx_lt_u32_e32 24, v0
	s_cbranch_execz .LBB109_241
; %bb.240:
	scratch_load_b64 v[1:2], off, off offset:192
	v_mov_b32_e32 v3, 0
	s_delay_alu instid0(VALU_DEP_1)
	v_mov_b32_e32 v4, v3
	scratch_store_b64 off, v[3:4], off offset:192
	s_wait_loadcnt 0x0
	ds_store_b64 v23, v[1:2]
.LBB109_241:
	s_wait_alu 0xfffe
	s_or_b32 exec_lo, exec_lo, s0
	s_wait_storecnt_dscnt 0x0
	s_barrier_signal -1
	s_barrier_wait -1
	global_inv scope:SCOPE_SE
	s_clause 0xb
	scratch_load_b128 v[2:5], off, off offset:200
	scratch_load_b128 v[6:9], off, off offset:216
	;; [unrolled: 1-line block ×10, first 2 shown]
	scratch_load_b64 v[176:177], off, off offset:360
	scratch_load_b64 v[178:179], off, off offset:192
	v_mov_b32_e32 v1, 0
	ds_load_2addr_b64 v[136:139], v1 offset0:71 offset1:72
	ds_load_2addr_b64 v[140:143], v1 offset0:73 offset1:74
	ds_load_2addr_b64 v[144:147], v1 offset0:75 offset1:76
	ds_load_2addr_b64 v[148:151], v1 offset0:77 offset1:78
	ds_load_2addr_b64 v[152:155], v1 offset0:79 offset1:80
	ds_load_2addr_b64 v[156:159], v1 offset0:81 offset1:82
	ds_load_2addr_b64 v[160:163], v1 offset0:83 offset1:84
	ds_load_2addr_b64 v[164:167], v1 offset0:85 offset1:86
	ds_load_2addr_b64 v[168:171], v1 offset0:87 offset1:88
	ds_load_2addr_b64 v[172:175], v1 offset0:89 offset1:90
	ds_load_b64 v[180:181], v1 offset:728
	s_mov_b32 s0, exec_lo
	s_wait_loadcnt_dscnt 0xb0a
	v_mul_f32_e32 v22, v136, v3
	v_dual_mul_f32 v3, v137, v3 :: v_dual_mul_f32 v182, v138, v5
	s_wait_loadcnt_dscnt 0x706
	v_dual_mul_f32 v183, v140, v7 :: v_dual_mul_f32 v190, v154, v21
	v_mul_f32_e32 v5, v139, v5
	s_delay_alu instid0(VALU_DEP_3)
	v_fma_f32 v3, v136, v2, -v3
	v_dual_mul_f32 v184, v142, v9 :: v_dual_mul_f32 v185, v144, v11
	s_wait_loadcnt_dscnt 0x100
	v_dual_fmac_f32 v22, v137, v2 :: v_dual_mul_f32 v201, v180, v177
	v_mul_f32_e32 v2, v141, v7
	v_dual_fmac_f32 v182, v139, v4 :: v_dual_add_f32 v3, 0, v3
	v_fma_f32 v4, v138, v4, -v5
	s_delay_alu instid0(VALU_DEP_4) | instskip(SKIP_2) | instid1(VALU_DEP_4)
	v_dual_add_f32 v5, 0, v22 :: v_dual_fmac_f32 v184, v143, v8
	v_mul_f32_e32 v7, v143, v9
	v_fma_f32 v2, v140, v6, -v2
	v_add_f32_e32 v3, v3, v4
	v_fmac_f32_e32 v183, v141, v6
	v_add_f32_e32 v4, v5, v182
	v_mul_f32_e32 v5, v145, v11
	v_fma_f32 v6, v142, v8, -v7
	v_add_f32_e32 v2, v3, v2
	v_dual_mul_f32 v186, v146, v13 :: v_dual_mul_f32 v187, v148, v15
	v_dual_add_f32 v3, v4, v183 :: v_dual_mul_f32 v4, v147, v13
	v_fma_f32 v5, v144, v10, -v5
	s_delay_alu instid0(VALU_DEP_4)
	v_add_f32_e32 v2, v2, v6
	v_fmac_f32_e32 v185, v145, v10
	v_mul_f32_e32 v6, v149, v15
	v_fmac_f32_e32 v186, v147, v12
	v_add_f32_e32 v3, v3, v184
	v_fma_f32 v4, v146, v12, -v4
	v_add_f32_e32 v2, v2, v5
	v_dual_mul_f32 v188, v150, v17 :: v_dual_mul_f32 v189, v152, v19
	s_delay_alu instid0(VALU_DEP_4)
	v_add_f32_e32 v3, v3, v185
	v_mul_f32_e32 v5, v151, v17
	v_fma_f32 v6, v148, v14, -v6
	v_dual_add_f32 v2, v2, v4 :: v_dual_fmac_f32 v187, v149, v14
	v_fmac_f32_e32 v188, v151, v16
	v_mul_f32_e32 v4, v153, v19
	v_fma_f32 v5, v150, v16, -v5
	s_delay_alu instid0(VALU_DEP_4) | instskip(SKIP_3) | instid1(VALU_DEP_3)
	v_add_f32_e32 v2, v2, v6
	v_add_f32_e32 v3, v3, v186
	v_dual_mul_f32 v6, v155, v21 :: v_dual_fmac_f32 v189, v153, v18
	v_fma_f32 v4, v152, v18, -v4
	v_dual_add_f32 v2, v2, v5 :: v_dual_add_f32 v3, v3, v187
	s_delay_alu instid0(VALU_DEP_3) | instskip(SKIP_1) | instid1(VALU_DEP_3)
	v_fma_f32 v6, v154, v20, -v6
	v_dual_mul_f32 v191, v156, v25 :: v_dual_mul_f32 v192, v158, v27
	v_add_f32_e32 v2, v2, v4
	s_delay_alu instid0(VALU_DEP_4) | instskip(SKIP_1) | instid1(VALU_DEP_4)
	v_add_f32_e32 v3, v3, v188
	v_dual_mul_f32 v5, v157, v25 :: v_dual_fmac_f32 v190, v155, v20
	v_dual_mul_f32 v4, v159, v27 :: v_dual_fmac_f32 v191, v157, v24
	s_delay_alu instid0(VALU_DEP_3) | instskip(NEXT) | instid1(VALU_DEP_3)
	v_dual_add_f32 v2, v2, v6 :: v_dual_add_f32 v3, v3, v189
	v_fma_f32 v5, v156, v24, -v5
	v_dual_mul_f32 v193, v160, v121 :: v_dual_mul_f32 v194, v162, v123
	s_delay_alu instid0(VALU_DEP_3) | instskip(NEXT) | instid1(VALU_DEP_2)
	v_dual_mul_f32 v6, v161, v121 :: v_dual_add_f32 v3, v3, v190
	v_dual_fmac_f32 v192, v159, v26 :: v_dual_fmac_f32 v193, v161, v120
	v_fma_f32 v4, v158, v26, -v4
	s_delay_alu instid0(VALU_DEP_3) | instskip(SKIP_3) | instid1(VALU_DEP_4)
	v_dual_add_f32 v2, v2, v5 :: v_dual_add_f32 v3, v3, v191
	v_mul_f32_e32 v5, v163, v123
	v_fma_f32 v6, v160, v120, -v6
	v_dual_mul_f32 v195, v164, v125 :: v_dual_mul_f32 v196, v166, v127
	v_add_f32_e32 v2, v2, v4
	v_dual_add_f32 v3, v3, v192 :: v_dual_mul_f32 v4, v165, v125
	s_delay_alu instid0(VALU_DEP_3) | instskip(SKIP_1) | instid1(VALU_DEP_3)
	v_dual_fmac_f32 v194, v163, v122 :: v_dual_fmac_f32 v195, v165, v124
	v_fma_f32 v5, v162, v122, -v5
	v_dual_add_f32 v2, v2, v6 :: v_dual_add_f32 v3, v3, v193
	v_mul_f32_e32 v6, v167, v127
	v_fma_f32 v4, v164, v124, -v4
	v_dual_mul_f32 v197, v168, v129 :: v_dual_mul_f32 v198, v170, v131
	s_delay_alu instid0(VALU_DEP_4) | instskip(SKIP_1) | instid1(VALU_DEP_3)
	v_dual_add_f32 v2, v2, v5 :: v_dual_add_f32 v3, v3, v194
	v_dual_mul_f32 v5, v169, v129 :: v_dual_fmac_f32 v196, v167, v126
	v_fmac_f32_e32 v197, v169, v128
	v_fma_f32 v6, v166, v126, -v6
	s_delay_alu instid0(VALU_DEP_4) | instskip(SKIP_2) | instid1(VALU_DEP_3)
	v_dual_add_f32 v2, v2, v4 :: v_dual_add_f32 v3, v3, v195
	v_dual_mul_f32 v199, v172, v133 :: v_dual_mul_f32 v200, v174, v135
	v_mul_f32_e32 v4, v171, v131
	v_dual_add_f32 v2, v2, v6 :: v_dual_add_f32 v3, v3, v196
	v_fma_f32 v5, v168, v128, -v5
	v_dual_fmac_f32 v198, v171, v130 :: v_dual_fmac_f32 v201, v181, v176
	v_fmac_f32_e32 v199, v173, v132
	v_fma_f32 v4, v170, v130, -v4
	v_add_f32_e32 v3, v3, v197
	v_mul_f32_e32 v6, v173, v133
	v_dual_add_f32 v2, v2, v5 :: v_dual_mul_f32 v5, v175, v135
	v_fmac_f32_e32 v200, v175, v134
	s_delay_alu instid0(VALU_DEP_4) | instskip(NEXT) | instid1(VALU_DEP_4)
	v_add_f32_e32 v3, v3, v198
	v_fma_f32 v6, v172, v132, -v6
	s_delay_alu instid0(VALU_DEP_4) | instskip(SKIP_2) | instid1(VALU_DEP_3)
	v_add_f32_e32 v2, v2, v4
	v_mul_f32_e32 v4, v181, v177
	v_fma_f32 v5, v174, v134, -v5
	v_dual_add_f32 v3, v3, v199 :: v_dual_add_f32 v2, v2, v6
	s_delay_alu instid0(VALU_DEP_3) | instskip(NEXT) | instid1(VALU_DEP_2)
	v_fma_f32 v4, v180, v176, -v4
	v_add_f32_e32 v3, v3, v200
	s_delay_alu instid0(VALU_DEP_1) | instskip(SKIP_1) | instid1(VALU_DEP_1)
	v_add_f32_e32 v3, v3, v201
	s_wait_loadcnt 0x0
	v_dual_add_f32 v2, v2, v5 :: v_dual_sub_f32 v3, v179, v3
	s_delay_alu instid0(VALU_DEP_1) | instskip(NEXT) | instid1(VALU_DEP_1)
	v_add_f32_e32 v2, v2, v4
	v_sub_f32_e32 v2, v178, v2
	scratch_store_b64 off, v[2:3], off offset:192
	v_cmpx_lt_u32_e32 23, v0
	s_cbranch_execz .LBB109_243
; %bb.242:
	scratch_load_b64 v[3:4], off, off offset:184
	v_mov_b32_e32 v2, v1
	scratch_store_b64 off, v[1:2], off offset:184
	s_wait_loadcnt 0x0
	ds_store_b64 v23, v[3:4]
.LBB109_243:
	s_wait_alu 0xfffe
	s_or_b32 exec_lo, exec_lo, s0
	s_wait_storecnt_dscnt 0x0
	s_barrier_signal -1
	s_barrier_wait -1
	global_inv scope:SCOPE_SE
	s_clause 0xb
	scratch_load_b128 v[2:5], off, off offset:192
	scratch_load_b128 v[6:9], off, off offset:208
	;; [unrolled: 1-line block ×11, first 2 shown]
	scratch_load_b64 v[184:185], off, off offset:184
	ds_load_b128 v[140:143], v1 offset:560
	ds_load_b128 v[144:147], v1 offset:576
	;; [unrolled: 1-line block ×11, first 2 shown]
	s_mov_b32 s0, exec_lo
	s_wait_loadcnt_dscnt 0xb0a
	v_dual_mul_f32 v1, v140, v3 :: v_dual_mul_f32 v22, v142, v5
	s_wait_loadcnt_dscnt 0xa09
	v_dual_mul_f32 v5, v143, v5 :: v_dual_mul_f32 v186, v144, v7
	v_mul_f32_e32 v187, v146, v9
	v_mul_f32_e32 v3, v141, v3
	v_dual_fmac_f32 v1, v141, v2 :: v_dual_fmac_f32 v22, v143, v4
	s_wait_loadcnt_dscnt 0x908
	v_dual_mul_f32 v188, v148, v11 :: v_dual_mul_f32 v189, v150, v13
	s_wait_loadcnt_dscnt 0x201
	v_mul_f32_e32 v202, v176, v133
	v_fma_f32 v3, v140, v2, -v3
	s_wait_loadcnt_dscnt 0x100
	v_mul_f32_e32 v205, v182, v139
	v_mul_f32_e32 v2, v145, v7
	v_fma_f32 v4, v142, v4, -v5
	v_dual_mul_f32 v190, v152, v15 :: v_dual_mul_f32 v191, v154, v17
	v_dual_add_f32 v3, 0, v3 :: v_dual_fmac_f32 v186, v145, v6
	v_dual_mul_f32 v5, v147, v9 :: v_dual_fmac_f32 v188, v149, v10
	v_fma_f32 v2, v144, v6, -v2
	s_delay_alu instid0(VALU_DEP_3) | instskip(NEXT) | instid1(VALU_DEP_3)
	v_dual_add_f32 v3, v3, v4 :: v_dual_fmac_f32 v190, v153, v14
	v_fma_f32 v5, v146, v8, -v5
	v_dual_mul_f32 v192, v156, v19 :: v_dual_mul_f32 v193, v158, v21
	s_delay_alu instid0(VALU_DEP_3) | instskip(SKIP_3) | instid1(VALU_DEP_4)
	v_add_f32_e32 v2, v3, v2
	v_mul_f32_e32 v3, v151, v13
	v_dual_mul_f32 v194, v160, v25 :: v_dual_mul_f32 v195, v162, v27
	v_mul_f32_e32 v4, v149, v11
	v_add_f32_e32 v2, v2, v5
	v_dual_add_f32 v1, 0, v1 :: v_dual_fmac_f32 v192, v157, v18
	v_fma_f32 v3, v150, v12, -v3
	s_delay_alu instid0(VALU_DEP_4) | instskip(SKIP_1) | instid1(VALU_DEP_4)
	v_fma_f32 v4, v148, v10, -v4
	v_fmac_f32_e32 v191, v155, v16
	v_dual_add_f32 v1, v1, v22 :: v_dual_mul_f32 v196, v164, v121
	v_mul_f32_e32 v197, v166, v123
	s_delay_alu instid0(VALU_DEP_4) | instskip(NEXT) | instid1(VALU_DEP_3)
	v_add_f32_e32 v2, v2, v4
	v_dual_mul_f32 v4, v155, v17 :: v_dual_add_f32 v1, v1, v186
	v_dual_fmac_f32 v187, v147, v8 :: v_dual_mul_f32 v200, v172, v129
	v_mul_f32_e32 v201, v174, v131
	s_delay_alu instid0(VALU_DEP_3) | instskip(SKIP_4) | instid1(VALU_DEP_4)
	v_fma_f32 v4, v154, v16, -v4
	v_mul_f32_e32 v5, v153, v15
	v_add_f32_e32 v2, v2, v3
	v_dual_add_f32 v1, v1, v187 :: v_dual_mul_f32 v198, v168, v125
	v_mul_f32_e32 v199, v170, v127
	v_fma_f32 v5, v152, v14, -v5
	v_fmac_f32_e32 v189, v151, v12
	v_dual_fmac_f32 v194, v161, v24 :: v_dual_fmac_f32 v197, v167, v122
	v_dual_fmac_f32 v195, v163, v26 :: v_dual_fmac_f32 v198, v169, v124
	s_delay_alu instid0(VALU_DEP_4) | instskip(SKIP_2) | instid1(VALU_DEP_3)
	v_add_f32_e32 v2, v2, v5
	v_mul_f32_e32 v5, v159, v21
	v_dual_mul_f32 v203, v178, v135 :: v_dual_mul_f32 v204, v180, v137
	v_dual_fmac_f32 v201, v175, v130 :: v_dual_add_f32 v2, v2, v4
	s_delay_alu instid0(VALU_DEP_3) | instskip(SKIP_4) | instid1(VALU_DEP_4)
	v_fma_f32 v5, v158, v20, -v5
	v_mul_f32_e32 v3, v157, v19
	v_mul_f32_e32 v4, v161, v25
	v_dual_fmac_f32 v204, v181, v136 :: v_dual_fmac_f32 v203, v179, v134
	v_fmac_f32_e32 v196, v165, v120
	v_fma_f32 v3, v156, v18, -v3
	v_add_f32_e32 v1, v1, v188
	v_fma_f32 v4, v160, v24, -v4
	v_dual_fmac_f32 v205, v183, v138 :: v_dual_fmac_f32 v200, v173, v128
	s_delay_alu instid0(VALU_DEP_4) | instskip(SKIP_1) | instid1(VALU_DEP_2)
	v_add_f32_e32 v2, v2, v3
	v_dual_mul_f32 v3, v163, v27 :: v_dual_fmac_f32 v202, v177, v132
	v_add_f32_e32 v2, v2, v5
	v_add_f32_e32 v1, v1, v189
	s_delay_alu instid0(VALU_DEP_3) | instskip(NEXT) | instid1(VALU_DEP_2)
	v_fma_f32 v3, v162, v26, -v3
	v_dual_add_f32 v2, v2, v4 :: v_dual_add_f32 v1, v1, v190
	v_mul_f32_e32 v4, v167, v123
	s_delay_alu instid0(VALU_DEP_2) | instskip(SKIP_1) | instid1(VALU_DEP_3)
	v_dual_fmac_f32 v193, v159, v20 :: v_dual_add_f32 v2, v2, v3
	v_mul_f32_e32 v3, v169, v125
	v_fma_f32 v4, v166, v122, -v4
	v_mul_f32_e32 v5, v165, v121
	s_delay_alu instid0(VALU_DEP_3) | instskip(NEXT) | instid1(VALU_DEP_2)
	v_fma_f32 v3, v168, v124, -v3
	v_fma_f32 v5, v164, v120, -v5
	s_delay_alu instid0(VALU_DEP_1) | instskip(NEXT) | instid1(VALU_DEP_1)
	v_dual_add_f32 v1, v1, v191 :: v_dual_add_f32 v2, v2, v5
	v_dual_mul_f32 v5, v171, v127 :: v_dual_add_f32 v2, v2, v4
	s_delay_alu instid0(VALU_DEP_2) | instskip(SKIP_1) | instid1(VALU_DEP_3)
	v_add_f32_e32 v1, v1, v192
	v_mul_f32_e32 v4, v173, v129
	v_fma_f32 v5, v170, v126, -v5
	s_delay_alu instid0(VALU_DEP_4) | instskip(SKIP_1) | instid1(VALU_DEP_4)
	v_dual_add_f32 v2, v2, v3 :: v_dual_fmac_f32 v199, v171, v126
	v_mul_f32_e32 v3, v175, v131
	v_fma_f32 v4, v172, v128, -v4
	s_delay_alu instid0(VALU_DEP_3) | instskip(SKIP_1) | instid1(VALU_DEP_4)
	v_add_f32_e32 v2, v2, v5
	v_add_f32_e32 v1, v1, v193
	v_fma_f32 v3, v174, v130, -v3
	s_delay_alu instid0(VALU_DEP_3) | instskip(NEXT) | instid1(VALU_DEP_3)
	v_dual_add_f32 v2, v2, v4 :: v_dual_mul_f32 v5, v177, v133
	v_dual_add_f32 v1, v1, v194 :: v_dual_mul_f32 v4, v179, v135
	s_delay_alu instid0(VALU_DEP_2) | instskip(NEXT) | instid1(VALU_DEP_3)
	v_add_f32_e32 v2, v2, v3
	v_fma_f32 v5, v176, v132, -v5
	s_delay_alu instid0(VALU_DEP_3) | instskip(SKIP_2) | instid1(VALU_DEP_4)
	v_add_f32_e32 v1, v1, v195
	v_mul_f32_e32 v3, v181, v137
	v_fma_f32 v4, v178, v134, -v4
	v_dual_add_f32 v2, v2, v5 :: v_dual_mul_f32 v5, v183, v139
	s_delay_alu instid0(VALU_DEP_3) | instskip(NEXT) | instid1(VALU_DEP_2)
	v_fma_f32 v3, v180, v136, -v3
	v_add_f32_e32 v2, v2, v4
	v_add_f32_e32 v1, v1, v196
	s_delay_alu instid0(VALU_DEP_4) | instskip(NEXT) | instid1(VALU_DEP_2)
	v_fma_f32 v4, v182, v138, -v5
	v_dual_add_f32 v2, v2, v3 :: v_dual_add_f32 v1, v1, v197
	s_delay_alu instid0(VALU_DEP_1) | instskip(NEXT) | instid1(VALU_DEP_1)
	v_dual_add_f32 v2, v2, v4 :: v_dual_add_f32 v1, v1, v198
	v_add_f32_e32 v1, v1, v199
	s_delay_alu instid0(VALU_DEP_1) | instskip(NEXT) | instid1(VALU_DEP_1)
	v_add_f32_e32 v1, v1, v200
	v_add_f32_e32 v1, v1, v201
	s_delay_alu instid0(VALU_DEP_1) | instskip(NEXT) | instid1(VALU_DEP_1)
	v_add_f32_e32 v1, v1, v202
	;; [unrolled: 3-line block ×3, first 2 shown]
	v_add_f32_e32 v3, v1, v205
	s_wait_loadcnt 0x0
	s_delay_alu instid0(VALU_DEP_1)
	v_dual_sub_f32 v1, v184, v2 :: v_dual_sub_f32 v2, v185, v3
	scratch_store_b64 off, v[1:2], off offset:184
	v_cmpx_lt_u32_e32 22, v0
	s_cbranch_execz .LBB109_245
; %bb.244:
	scratch_load_b64 v[1:2], off, off offset:176
	v_mov_b32_e32 v3, 0
	s_delay_alu instid0(VALU_DEP_1)
	v_mov_b32_e32 v4, v3
	scratch_store_b64 off, v[3:4], off offset:176
	s_wait_loadcnt 0x0
	ds_store_b64 v23, v[1:2]
.LBB109_245:
	s_wait_alu 0xfffe
	s_or_b32 exec_lo, exec_lo, s0
	s_wait_storecnt_dscnt 0x0
	s_barrier_signal -1
	s_barrier_wait -1
	global_inv scope:SCOPE_SE
	s_clause 0xc
	scratch_load_b128 v[2:5], off, off offset:184
	scratch_load_b128 v[6:9], off, off offset:200
	scratch_load_b128 v[10:13], off, off offset:216
	scratch_load_b128 v[14:17], off, off offset:232
	scratch_load_b128 v[18:21], off, off offset:248
	scratch_load_b128 v[24:27], off, off offset:264
	scratch_load_b128 v[120:123], off, off offset:280
	scratch_load_b128 v[124:127], off, off offset:296
	scratch_load_b128 v[128:131], off, off offset:312
	scratch_load_b128 v[132:135], off, off offset:328
	scratch_load_b128 v[136:139], off, off offset:344
	scratch_load_b64 v[184:185], off, off offset:360
	scratch_load_b64 v[186:187], off, off offset:176
	v_mov_b32_e32 v1, 0
	ds_load_2addr_b64 v[140:143], v1 offset0:69 offset1:70
	ds_load_2addr_b64 v[144:147], v1 offset0:71 offset1:72
	;; [unrolled: 1-line block ×11, first 2 shown]
	ds_load_b64 v[188:189], v1 offset:728
	s_mov_b32 s0, exec_lo
	s_wait_loadcnt_dscnt 0xc0b
	v_mul_f32_e32 v22, v140, v3
	v_dual_mul_f32 v3, v141, v3 :: v_dual_mul_f32 v190, v142, v5
	s_wait_loadcnt_dscnt 0x807
	v_dual_mul_f32 v191, v144, v7 :: v_dual_mul_f32 v198, v158, v21
	v_mul_f32_e32 v5, v143, v5
	s_delay_alu instid0(VALU_DEP_3)
	v_fma_f32 v3, v140, v2, -v3
	v_dual_mul_f32 v192, v146, v9 :: v_dual_mul_f32 v193, v148, v11
	v_fmac_f32_e32 v22, v141, v2
	s_wait_loadcnt_dscnt 0x100
	v_dual_mul_f32 v2, v145, v7 :: v_dual_mul_f32 v211, v188, v185
	v_dual_fmac_f32 v190, v143, v4 :: v_dual_add_f32 v3, 0, v3
	v_fma_f32 v4, v142, v4, -v5
	v_dual_add_f32 v5, 0, v22 :: v_dual_fmac_f32 v192, v147, v8
	v_mul_f32_e32 v7, v147, v9
	v_fma_f32 v2, v144, v6, -v2
	s_delay_alu instid0(VALU_DEP_4)
	v_add_f32_e32 v3, v3, v4
	v_fmac_f32_e32 v191, v145, v6
	v_add_f32_e32 v4, v5, v190
	v_mul_f32_e32 v5, v149, v11
	v_fma_f32 v6, v146, v8, -v7
	v_add_f32_e32 v2, v3, v2
	v_dual_mul_f32 v194, v150, v13 :: v_dual_mul_f32 v195, v152, v15
	v_dual_add_f32 v3, v4, v191 :: v_dual_mul_f32 v4, v151, v13
	v_fma_f32 v5, v148, v10, -v5
	s_delay_alu instid0(VALU_DEP_4)
	v_add_f32_e32 v2, v2, v6
	v_fmac_f32_e32 v193, v149, v10
	v_mul_f32_e32 v6, v153, v15
	v_fmac_f32_e32 v194, v151, v12
	v_add_f32_e32 v3, v3, v192
	v_fma_f32 v4, v150, v12, -v4
	v_add_f32_e32 v2, v2, v5
	v_dual_mul_f32 v196, v154, v17 :: v_dual_mul_f32 v197, v156, v19
	s_delay_alu instid0(VALU_DEP_4)
	v_add_f32_e32 v3, v3, v193
	v_mul_f32_e32 v5, v155, v17
	v_fma_f32 v6, v152, v14, -v6
	v_dual_add_f32 v2, v2, v4 :: v_dual_fmac_f32 v195, v153, v14
	v_fmac_f32_e32 v196, v155, v16
	v_mul_f32_e32 v4, v157, v19
	v_fma_f32 v5, v154, v16, -v5
	s_delay_alu instid0(VALU_DEP_4) | instskip(SKIP_3) | instid1(VALU_DEP_3)
	v_add_f32_e32 v2, v2, v6
	v_add_f32_e32 v3, v3, v194
	v_dual_mul_f32 v6, v159, v21 :: v_dual_fmac_f32 v197, v157, v18
	v_fma_f32 v4, v156, v18, -v4
	v_dual_add_f32 v2, v2, v5 :: v_dual_add_f32 v3, v3, v195
	s_delay_alu instid0(VALU_DEP_3) | instskip(SKIP_1) | instid1(VALU_DEP_3)
	v_fma_f32 v6, v158, v20, -v6
	v_dual_mul_f32 v199, v160, v25 :: v_dual_mul_f32 v200, v162, v27
	v_add_f32_e32 v2, v2, v4
	s_delay_alu instid0(VALU_DEP_4) | instskip(SKIP_1) | instid1(VALU_DEP_4)
	v_add_f32_e32 v3, v3, v196
	v_dual_mul_f32 v5, v161, v25 :: v_dual_fmac_f32 v198, v159, v20
	v_dual_mul_f32 v4, v163, v27 :: v_dual_fmac_f32 v199, v161, v24
	s_delay_alu instid0(VALU_DEP_3) | instskip(NEXT) | instid1(VALU_DEP_3)
	v_dual_add_f32 v2, v2, v6 :: v_dual_add_f32 v3, v3, v197
	v_fma_f32 v5, v160, v24, -v5
	v_dual_mul_f32 v201, v164, v121 :: v_dual_mul_f32 v202, v166, v123
	s_delay_alu instid0(VALU_DEP_3) | instskip(NEXT) | instid1(VALU_DEP_2)
	v_dual_mul_f32 v6, v165, v121 :: v_dual_add_f32 v3, v3, v198
	v_dual_fmac_f32 v200, v163, v26 :: v_dual_fmac_f32 v201, v165, v120
	v_fma_f32 v4, v162, v26, -v4
	s_delay_alu instid0(VALU_DEP_3) | instskip(SKIP_3) | instid1(VALU_DEP_4)
	v_dual_add_f32 v2, v2, v5 :: v_dual_add_f32 v3, v3, v199
	v_mul_f32_e32 v5, v167, v123
	v_fma_f32 v6, v164, v120, -v6
	v_dual_mul_f32 v203, v168, v125 :: v_dual_mul_f32 v204, v170, v127
	v_add_f32_e32 v2, v2, v4
	v_dual_add_f32 v3, v3, v200 :: v_dual_mul_f32 v4, v169, v125
	s_delay_alu instid0(VALU_DEP_3) | instskip(SKIP_1) | instid1(VALU_DEP_3)
	v_dual_fmac_f32 v202, v167, v122 :: v_dual_fmac_f32 v203, v169, v124
	v_fma_f32 v5, v166, v122, -v5
	v_dual_add_f32 v2, v2, v6 :: v_dual_add_f32 v3, v3, v201
	v_mul_f32_e32 v6, v171, v127
	v_fma_f32 v4, v168, v124, -v4
	v_dual_mul_f32 v205, v172, v129 :: v_dual_mul_f32 v206, v174, v131
	s_delay_alu instid0(VALU_DEP_4) | instskip(SKIP_1) | instid1(VALU_DEP_3)
	v_dual_add_f32 v2, v2, v5 :: v_dual_add_f32 v3, v3, v202
	v_dual_mul_f32 v5, v173, v129 :: v_dual_fmac_f32 v204, v171, v126
	v_fmac_f32_e32 v205, v173, v128
	v_fma_f32 v6, v170, v126, -v6
	s_delay_alu instid0(VALU_DEP_4) | instskip(SKIP_2) | instid1(VALU_DEP_2)
	v_dual_add_f32 v2, v2, v4 :: v_dual_add_f32 v3, v3, v203
	v_dual_mul_f32 v207, v176, v133 :: v_dual_mul_f32 v208, v178, v135
	v_dual_mul_f32 v209, v180, v137 :: v_dual_mul_f32 v210, v182, v139
	v_dual_mul_f32 v4, v175, v131 :: v_dual_fmac_f32 v207, v177, v132
	v_fma_f32 v5, v172, v128, -v5
	v_dual_add_f32 v2, v2, v6 :: v_dual_add_f32 v3, v3, v204
	v_mul_f32_e32 v6, v177, v133
	v_dual_fmac_f32 v206, v175, v130 :: v_dual_fmac_f32 v209, v181, v136
	v_fma_f32 v4, v174, v130, -v4
	s_delay_alu instid0(VALU_DEP_4) | instskip(SKIP_3) | instid1(VALU_DEP_3)
	v_add_f32_e32 v3, v3, v205
	v_dual_add_f32 v2, v2, v5 :: v_dual_mul_f32 v5, v179, v135
	v_fma_f32 v6, v176, v132, -v6
	v_fmac_f32_e32 v208, v179, v134
	v_dual_add_f32 v3, v3, v206 :: v_dual_add_f32 v2, v2, v4
	v_mul_f32_e32 v4, v181, v137
	v_fma_f32 v5, v178, v134, -v5
	v_fmac_f32_e32 v210, v183, v138
	s_delay_alu instid0(VALU_DEP_4) | instskip(SKIP_2) | instid1(VALU_DEP_3)
	v_dual_add_f32 v3, v3, v207 :: v_dual_add_f32 v2, v2, v6
	v_dual_mul_f32 v6, v183, v139 :: v_dual_fmac_f32 v211, v189, v184
	v_fma_f32 v4, v180, v136, -v4
	v_add_f32_e32 v2, v2, v5
	v_mul_f32_e32 v5, v189, v185
	v_add_f32_e32 v3, v3, v208
	v_fma_f32 v6, v182, v138, -v6
	s_delay_alu instid0(VALU_DEP_2) | instskip(NEXT) | instid1(VALU_DEP_1)
	v_add_f32_e32 v3, v3, v209
	v_dual_add_f32 v3, v3, v210 :: v_dual_add_f32 v2, v2, v4
	v_fma_f32 v4, v188, v184, -v5
	s_delay_alu instid0(VALU_DEP_2) | instskip(SKIP_1) | instid1(VALU_DEP_1)
	v_dual_add_f32 v3, v3, v211 :: v_dual_add_f32 v2, v2, v6
	s_wait_loadcnt 0x0
	v_dual_sub_f32 v3, v187, v3 :: v_dual_add_f32 v2, v2, v4
	s_delay_alu instid0(VALU_DEP_1)
	v_sub_f32_e32 v2, v186, v2
	scratch_store_b64 off, v[2:3], off offset:176
	v_cmpx_lt_u32_e32 21, v0
	s_cbranch_execz .LBB109_247
; %bb.246:
	scratch_load_b64 v[3:4], off, off offset:168
	v_mov_b32_e32 v2, v1
	scratch_store_b64 off, v[1:2], off offset:168
	s_wait_loadcnt 0x0
	ds_store_b64 v23, v[3:4]
.LBB109_247:
	s_wait_alu 0xfffe
	s_or_b32 exec_lo, exec_lo, s0
	s_wait_storecnt_dscnt 0x0
	s_barrier_signal -1
	s_barrier_wait -1
	global_inv scope:SCOPE_SE
	s_clause 0xc
	scratch_load_b128 v[2:5], off, off offset:176
	scratch_load_b128 v[6:9], off, off offset:192
	;; [unrolled: 1-line block ×12, first 2 shown]
	scratch_load_b64 v[192:193], off, off offset:168
	ds_load_b128 v[144:147], v1 offset:544
	ds_load_b128 v[148:151], v1 offset:560
	;; [unrolled: 1-line block ×12, first 2 shown]
	s_mov_b32 s0, exec_lo
	s_wait_loadcnt_dscnt 0xc0b
	v_dual_mul_f32 v1, v144, v3 :: v_dual_mul_f32 v22, v146, v5
	s_wait_loadcnt_dscnt 0xb0a
	v_dual_mul_f32 v5, v147, v5 :: v_dual_mul_f32 v194, v148, v7
	v_mul_f32_e32 v195, v150, v9
	s_delay_alu instid0(VALU_DEP_3)
	v_fmac_f32_e32 v1, v145, v2
	v_dual_mul_f32 v3, v145, v3 :: v_dual_fmac_f32 v22, v147, v4
	s_wait_loadcnt_dscnt 0xa09
	v_dual_mul_f32 v196, v152, v11 :: v_dual_mul_f32 v197, v154, v13
	s_wait_loadcnt_dscnt 0x201
	v_mul_f32_e32 v212, v184, v137
	v_fma_f32 v3, v144, v2, -v3
	s_wait_loadcnt_dscnt 0x100
	v_mul_f32_e32 v215, v190, v143
	v_mul_f32_e32 v2, v149, v7
	v_fma_f32 v4, v146, v4, -v5
	v_dual_mul_f32 v198, v156, v15 :: v_dual_mul_f32 v199, v158, v17
	v_dual_add_f32 v3, 0, v3 :: v_dual_fmac_f32 v194, v149, v6
	v_dual_mul_f32 v5, v151, v9 :: v_dual_fmac_f32 v196, v153, v10
	v_fma_f32 v2, v148, v6, -v2
	s_delay_alu instid0(VALU_DEP_3) | instskip(NEXT) | instid1(VALU_DEP_3)
	v_dual_add_f32 v3, v3, v4 :: v_dual_fmac_f32 v198, v157, v14
	v_fma_f32 v5, v150, v8, -v5
	v_dual_mul_f32 v200, v160, v19 :: v_dual_mul_f32 v201, v162, v21
	s_delay_alu instid0(VALU_DEP_3) | instskip(SKIP_3) | instid1(VALU_DEP_4)
	v_add_f32_e32 v2, v3, v2
	v_mul_f32_e32 v3, v155, v13
	v_dual_mul_f32 v202, v164, v25 :: v_dual_mul_f32 v203, v166, v27
	v_mul_f32_e32 v4, v153, v11
	v_add_f32_e32 v2, v2, v5
	v_dual_add_f32 v1, 0, v1 :: v_dual_fmac_f32 v200, v161, v18
	v_fma_f32 v3, v154, v12, -v3
	s_delay_alu instid0(VALU_DEP_4) | instskip(SKIP_1) | instid1(VALU_DEP_4)
	v_fma_f32 v4, v152, v10, -v4
	v_fmac_f32_e32 v199, v159, v16
	v_dual_add_f32 v1, v1, v22 :: v_dual_mul_f32 v204, v168, v121
	v_mul_f32_e32 v205, v170, v123
	s_delay_alu instid0(VALU_DEP_4) | instskip(NEXT) | instid1(VALU_DEP_3)
	v_add_f32_e32 v2, v2, v4
	v_dual_mul_f32 v4, v159, v17 :: v_dual_add_f32 v1, v1, v194
	v_dual_fmac_f32 v195, v151, v8 :: v_dual_mul_f32 v208, v176, v129
	v_mul_f32_e32 v209, v178, v131
	s_delay_alu instid0(VALU_DEP_3) | instskip(SKIP_4) | instid1(VALU_DEP_4)
	v_fma_f32 v4, v158, v16, -v4
	v_mul_f32_e32 v5, v157, v15
	v_add_f32_e32 v2, v2, v3
	v_dual_add_f32 v1, v1, v195 :: v_dual_mul_f32 v206, v172, v125
	v_mul_f32_e32 v207, v174, v127
	v_fma_f32 v5, v156, v14, -v5
	v_fmac_f32_e32 v197, v155, v12
	v_dual_fmac_f32 v205, v171, v122 :: v_dual_fmac_f32 v202, v165, v24
	v_dual_mul_f32 v210, v180, v133 :: v_dual_mul_f32 v211, v182, v135
	s_delay_alu instid0(VALU_DEP_4) | instskip(SKIP_3) | instid1(VALU_DEP_3)
	v_add_f32_e32 v2, v2, v5
	v_mul_f32_e32 v5, v163, v21
	v_dual_fmac_f32 v203, v167, v26 :: v_dual_fmac_f32 v206, v173, v124
	v_dual_mul_f32 v213, v186, v139 :: v_dual_mul_f32 v214, v188, v141
	v_fma_f32 v5, v162, v20, -v5
	v_dual_mul_f32 v3, v161, v19 :: v_dual_add_f32 v2, v2, v4
	v_dual_mul_f32 v4, v165, v25 :: v_dual_fmac_f32 v211, v183, v134
	v_dual_fmac_f32 v209, v179, v130 :: v_dual_fmac_f32 v212, v185, v136
	s_delay_alu instid0(VALU_DEP_3) | instskip(SKIP_1) | instid1(VALU_DEP_4)
	v_fma_f32 v3, v160, v18, -v3
	v_add_f32_e32 v1, v1, v196
	v_fma_f32 v4, v164, v24, -v4
	v_dual_fmac_f32 v204, v169, v120 :: v_dual_fmac_f32 v215, v191, v142
	s_delay_alu instid0(VALU_DEP_4) | instskip(SKIP_3) | instid1(VALU_DEP_4)
	v_add_f32_e32 v2, v2, v3
	v_dual_mul_f32 v3, v167, v27 :: v_dual_fmac_f32 v208, v177, v128
	v_fmac_f32_e32 v210, v181, v132
	v_fmac_f32_e32 v214, v189, v140
	v_add_f32_e32 v2, v2, v5
	v_add_f32_e32 v1, v1, v197
	v_fma_f32 v3, v166, v26, -v3
	s_delay_alu instid0(VALU_DEP_2) | instskip(SKIP_1) | instid1(VALU_DEP_2)
	v_dual_add_f32 v2, v2, v4 :: v_dual_add_f32 v1, v1, v198
	v_mul_f32_e32 v4, v171, v123
	v_dual_fmac_f32 v201, v163, v20 :: v_dual_add_f32 v2, v2, v3
	v_mul_f32_e32 v3, v173, v125
	s_delay_alu instid0(VALU_DEP_3) | instskip(SKIP_1) | instid1(VALU_DEP_3)
	v_fma_f32 v4, v170, v122, -v4
	v_mul_f32_e32 v5, v169, v121
	v_fma_f32 v3, v172, v124, -v3
	s_delay_alu instid0(VALU_DEP_2) | instskip(NEXT) | instid1(VALU_DEP_1)
	v_fma_f32 v5, v168, v120, -v5
	v_dual_add_f32 v1, v1, v199 :: v_dual_add_f32 v2, v2, v5
	s_delay_alu instid0(VALU_DEP_1) | instskip(NEXT) | instid1(VALU_DEP_2)
	v_dual_mul_f32 v5, v175, v127 :: v_dual_add_f32 v2, v2, v4
	v_add_f32_e32 v1, v1, v200
	v_mul_f32_e32 v4, v177, v129
	s_delay_alu instid0(VALU_DEP_3) | instskip(NEXT) | instid1(VALU_DEP_4)
	v_fma_f32 v5, v174, v126, -v5
	v_dual_add_f32 v2, v2, v3 :: v_dual_fmac_f32 v207, v175, v126
	v_mul_f32_e32 v3, v179, v131
	s_delay_alu instid0(VALU_DEP_4) | instskip(NEXT) | instid1(VALU_DEP_3)
	v_fma_f32 v4, v176, v128, -v4
	v_add_f32_e32 v2, v2, v5
	v_add_f32_e32 v1, v1, v201
	s_delay_alu instid0(VALU_DEP_4) | instskip(NEXT) | instid1(VALU_DEP_3)
	v_fma_f32 v3, v178, v130, -v3
	v_dual_add_f32 v2, v2, v4 :: v_dual_mul_f32 v5, v181, v133
	s_delay_alu instid0(VALU_DEP_3) | instskip(NEXT) | instid1(VALU_DEP_2)
	v_dual_add_f32 v1, v1, v202 :: v_dual_mul_f32 v4, v183, v135
	v_add_f32_e32 v2, v2, v3
	s_delay_alu instid0(VALU_DEP_3) | instskip(NEXT) | instid1(VALU_DEP_3)
	v_fma_f32 v5, v180, v132, -v5
	v_add_f32_e32 v1, v1, v203
	v_mul_f32_e32 v3, v185, v137
	v_fma_f32 v4, v182, v134, -v4
	s_delay_alu instid0(VALU_DEP_4) | instskip(NEXT) | instid1(VALU_DEP_3)
	v_dual_add_f32 v2, v2, v5 :: v_dual_mul_f32 v5, v187, v139
	v_fma_f32 v3, v184, v136, -v3
	s_delay_alu instid0(VALU_DEP_2) | instskip(SKIP_3) | instid1(VALU_DEP_4)
	v_add_f32_e32 v2, v2, v4
	v_add_f32_e32 v1, v1, v204
	v_mul_f32_e32 v4, v189, v141
	v_fma_f32 v5, v186, v138, -v5
	v_dual_add_f32 v2, v2, v3 :: v_dual_fmac_f32 v213, v187, v138
	v_mul_f32_e32 v3, v191, v143
	s_delay_alu instid0(VALU_DEP_4) | instskip(NEXT) | instid1(VALU_DEP_3)
	v_fma_f32 v4, v188, v140, -v4
	v_add_f32_e32 v2, v2, v5
	v_add_f32_e32 v1, v1, v205
	s_delay_alu instid0(VALU_DEP_4) | instskip(NEXT) | instid1(VALU_DEP_2)
	v_fma_f32 v3, v190, v142, -v3
	v_dual_add_f32 v2, v2, v4 :: v_dual_add_f32 v1, v1, v206
	s_delay_alu instid0(VALU_DEP_1) | instskip(NEXT) | instid1(VALU_DEP_2)
	v_add_f32_e32 v2, v2, v3
	v_add_f32_e32 v1, v1, v207
	s_delay_alu instid0(VALU_DEP_1) | instskip(NEXT) | instid1(VALU_DEP_1)
	v_add_f32_e32 v1, v1, v208
	v_add_f32_e32 v1, v1, v209
	s_delay_alu instid0(VALU_DEP_1) | instskip(NEXT) | instid1(VALU_DEP_1)
	;; [unrolled: 3-line block ×4, first 2 shown]
	v_add_f32_e32 v1, v1, v214
	v_add_f32_e32 v3, v1, v215
	s_wait_loadcnt 0x0
	s_delay_alu instid0(VALU_DEP_1)
	v_dual_sub_f32 v1, v192, v2 :: v_dual_sub_f32 v2, v193, v3
	scratch_store_b64 off, v[1:2], off offset:168
	v_cmpx_lt_u32_e32 20, v0
	s_cbranch_execz .LBB109_249
; %bb.248:
	scratch_load_b64 v[1:2], off, off offset:160
	v_mov_b32_e32 v3, 0
	s_delay_alu instid0(VALU_DEP_1)
	v_mov_b32_e32 v4, v3
	scratch_store_b64 off, v[3:4], off offset:160
	s_wait_loadcnt 0x0
	ds_store_b64 v23, v[1:2]
.LBB109_249:
	s_wait_alu 0xfffe
	s_or_b32 exec_lo, exec_lo, s0
	s_wait_storecnt_dscnt 0x0
	s_barrier_signal -1
	s_barrier_wait -1
	global_inv scope:SCOPE_SE
	s_clause 0xd
	scratch_load_b128 v[2:5], off, off offset:168
	scratch_load_b128 v[6:9], off, off offset:184
	;; [unrolled: 1-line block ×12, first 2 shown]
	scratch_load_b64 v[192:193], off, off offset:360
	scratch_load_b64 v[194:195], off, off offset:160
	v_mov_b32_e32 v1, 0
	ds_load_2addr_b64 v[144:147], v1 offset0:67 offset1:68
	ds_load_2addr_b64 v[148:151], v1 offset0:69 offset1:70
	;; [unrolled: 1-line block ×12, first 2 shown]
	ds_load_b64 v[196:197], v1 offset:728
	s_mov_b32 s0, exec_lo
	s_wait_loadcnt_dscnt 0xd0c
	v_mul_f32_e32 v22, v144, v3
	v_dual_mul_f32 v3, v145, v3 :: v_dual_mul_f32 v198, v146, v5
	s_wait_loadcnt_dscnt 0x908
	v_dual_mul_f32 v199, v148, v7 :: v_dual_mul_f32 v206, v162, v21
	v_mul_f32_e32 v5, v147, v5
	s_delay_alu instid0(VALU_DEP_3) | instskip(SKIP_3) | instid1(VALU_DEP_4)
	v_fma_f32 v3, v144, v2, -v3
	v_dual_mul_f32 v200, v150, v9 :: v_dual_mul_f32 v201, v152, v11
	v_fmac_f32_e32 v22, v145, v2
	v_mul_f32_e32 v2, v149, v7
	v_dual_fmac_f32 v198, v147, v4 :: v_dual_add_f32 v3, 0, v3
	s_wait_loadcnt_dscnt 0x100
	v_mul_f32_e32 v221, v196, v193
	v_fma_f32 v4, v146, v4, -v5
	v_dual_add_f32 v5, 0, v22 :: v_dual_fmac_f32 v200, v151, v8
	v_mul_f32_e32 v7, v151, v9
	v_fma_f32 v2, v148, v6, -v2
	s_delay_alu instid0(VALU_DEP_4)
	v_add_f32_e32 v3, v3, v4
	v_fmac_f32_e32 v199, v149, v6
	v_add_f32_e32 v4, v5, v198
	v_mul_f32_e32 v5, v153, v11
	v_fma_f32 v6, v150, v8, -v7
	v_add_f32_e32 v2, v3, v2
	v_dual_mul_f32 v202, v154, v13 :: v_dual_mul_f32 v203, v156, v15
	v_dual_add_f32 v3, v4, v199 :: v_dual_mul_f32 v4, v155, v13
	v_fma_f32 v5, v152, v10, -v5
	s_delay_alu instid0(VALU_DEP_4)
	v_add_f32_e32 v2, v2, v6
	v_fmac_f32_e32 v201, v153, v10
	v_mul_f32_e32 v6, v157, v15
	v_fmac_f32_e32 v202, v155, v12
	v_add_f32_e32 v3, v3, v200
	v_fma_f32 v4, v154, v12, -v4
	v_add_f32_e32 v2, v2, v5
	v_dual_mul_f32 v204, v158, v17 :: v_dual_mul_f32 v205, v160, v19
	s_delay_alu instid0(VALU_DEP_4)
	v_add_f32_e32 v3, v3, v201
	v_mul_f32_e32 v5, v159, v17
	v_fma_f32 v6, v156, v14, -v6
	v_dual_add_f32 v2, v2, v4 :: v_dual_fmac_f32 v203, v157, v14
	v_fmac_f32_e32 v204, v159, v16
	v_mul_f32_e32 v4, v161, v19
	v_fma_f32 v5, v158, v16, -v5
	s_delay_alu instid0(VALU_DEP_4) | instskip(SKIP_3) | instid1(VALU_DEP_3)
	v_add_f32_e32 v2, v2, v6
	v_add_f32_e32 v3, v3, v202
	v_dual_mul_f32 v6, v163, v21 :: v_dual_fmac_f32 v205, v161, v18
	v_fma_f32 v4, v160, v18, -v4
	v_dual_add_f32 v2, v2, v5 :: v_dual_add_f32 v3, v3, v203
	s_delay_alu instid0(VALU_DEP_3) | instskip(SKIP_1) | instid1(VALU_DEP_3)
	v_fma_f32 v6, v162, v20, -v6
	v_dual_mul_f32 v207, v164, v25 :: v_dual_mul_f32 v208, v166, v27
	v_add_f32_e32 v2, v2, v4
	s_delay_alu instid0(VALU_DEP_4) | instskip(SKIP_1) | instid1(VALU_DEP_4)
	v_add_f32_e32 v3, v3, v204
	v_dual_mul_f32 v5, v165, v25 :: v_dual_fmac_f32 v206, v163, v20
	v_dual_mul_f32 v4, v167, v27 :: v_dual_fmac_f32 v207, v165, v24
	s_delay_alu instid0(VALU_DEP_3) | instskip(NEXT) | instid1(VALU_DEP_3)
	v_dual_add_f32 v2, v2, v6 :: v_dual_add_f32 v3, v3, v205
	v_fma_f32 v5, v164, v24, -v5
	v_dual_mul_f32 v209, v168, v121 :: v_dual_mul_f32 v210, v170, v123
	s_delay_alu instid0(VALU_DEP_3) | instskip(NEXT) | instid1(VALU_DEP_2)
	v_dual_mul_f32 v6, v169, v121 :: v_dual_add_f32 v3, v3, v206
	v_dual_fmac_f32 v208, v167, v26 :: v_dual_fmac_f32 v209, v169, v120
	v_fma_f32 v4, v166, v26, -v4
	s_delay_alu instid0(VALU_DEP_3) | instskip(SKIP_3) | instid1(VALU_DEP_4)
	v_dual_add_f32 v2, v2, v5 :: v_dual_add_f32 v3, v3, v207
	v_mul_f32_e32 v5, v171, v123
	v_fma_f32 v6, v168, v120, -v6
	v_dual_mul_f32 v211, v172, v125 :: v_dual_mul_f32 v212, v174, v127
	v_add_f32_e32 v2, v2, v4
	v_dual_add_f32 v3, v3, v208 :: v_dual_mul_f32 v4, v173, v125
	s_delay_alu instid0(VALU_DEP_3) | instskip(SKIP_1) | instid1(VALU_DEP_3)
	v_dual_fmac_f32 v210, v171, v122 :: v_dual_fmac_f32 v211, v173, v124
	v_fma_f32 v5, v170, v122, -v5
	v_dual_add_f32 v2, v2, v6 :: v_dual_add_f32 v3, v3, v209
	v_mul_f32_e32 v6, v175, v127
	v_fma_f32 v4, v172, v124, -v4
	v_dual_mul_f32 v213, v176, v129 :: v_dual_mul_f32 v214, v178, v131
	s_delay_alu instid0(VALU_DEP_4) | instskip(SKIP_1) | instid1(VALU_DEP_3)
	v_dual_add_f32 v2, v2, v5 :: v_dual_add_f32 v3, v3, v210
	v_dual_mul_f32 v5, v177, v129 :: v_dual_fmac_f32 v212, v175, v126
	v_fmac_f32_e32 v213, v177, v128
	v_fma_f32 v6, v174, v126, -v6
	s_delay_alu instid0(VALU_DEP_4) | instskip(SKIP_2) | instid1(VALU_DEP_2)
	v_dual_add_f32 v2, v2, v4 :: v_dual_add_f32 v3, v3, v211
	v_dual_mul_f32 v215, v180, v133 :: v_dual_mul_f32 v216, v182, v135
	v_dual_mul_f32 v217, v184, v137 :: v_dual_mul_f32 v218, v186, v139
	v_dual_mul_f32 v4, v179, v131 :: v_dual_fmac_f32 v215, v181, v132
	v_fma_f32 v5, v176, v128, -v5
	v_dual_add_f32 v2, v2, v6 :: v_dual_add_f32 v3, v3, v212
	v_mul_f32_e32 v6, v181, v133
	v_dual_fmac_f32 v214, v179, v130 :: v_dual_fmac_f32 v217, v185, v136
	v_fma_f32 v4, v178, v130, -v4
	s_delay_alu instid0(VALU_DEP_4) | instskip(SKIP_3) | instid1(VALU_DEP_3)
	v_add_f32_e32 v3, v3, v213
	v_dual_add_f32 v2, v2, v5 :: v_dual_mul_f32 v5, v183, v135
	v_fma_f32 v6, v180, v132, -v6
	v_fmac_f32_e32 v216, v183, v134
	v_dual_add_f32 v3, v3, v214 :: v_dual_add_f32 v2, v2, v4
	v_mul_f32_e32 v4, v185, v137
	v_fma_f32 v5, v182, v134, -v5
	v_dual_mul_f32 v219, v188, v141 :: v_dual_mul_f32 v220, v190, v143
	s_delay_alu instid0(VALU_DEP_4) | instskip(NEXT) | instid1(VALU_DEP_2)
	v_dual_add_f32 v3, v3, v215 :: v_dual_add_f32 v2, v2, v6
	v_dual_mul_f32 v6, v187, v139 :: v_dual_fmac_f32 v219, v189, v140
	v_dual_fmac_f32 v218, v187, v138 :: v_dual_fmac_f32 v221, v197, v192
	s_delay_alu instid0(VALU_DEP_3)
	v_add_f32_e32 v2, v2, v5
	v_mul_f32_e32 v5, v189, v141
	v_add_f32_e32 v3, v3, v216
	v_fma_f32 v6, v186, v138, -v6
	v_fma_f32 v4, v184, v136, -v4
	v_fmac_f32_e32 v220, v191, v142
	v_fma_f32 v5, v188, v140, -v5
	v_add_f32_e32 v3, v3, v217
	s_delay_alu instid0(VALU_DEP_1) | instskip(SKIP_1) | instid1(VALU_DEP_2)
	v_dual_add_f32 v3, v3, v218 :: v_dual_add_f32 v2, v2, v4
	v_mul_f32_e32 v4, v191, v143
	v_dual_add_f32 v3, v3, v219 :: v_dual_add_f32 v2, v2, v6
	v_mul_f32_e32 v6, v197, v193
	s_delay_alu instid0(VALU_DEP_3) | instskip(NEXT) | instid1(VALU_DEP_3)
	v_fma_f32 v4, v190, v142, -v4
	v_add_f32_e32 v3, v3, v220
	s_delay_alu instid0(VALU_DEP_1) | instskip(SKIP_3) | instid1(VALU_DEP_2)
	v_add_f32_e32 v3, v3, v221
	v_add_f32_e32 v2, v2, v5
	v_fma_f32 v5, v196, v192, -v6
	s_wait_loadcnt 0x0
	v_dual_sub_f32 v3, v195, v3 :: v_dual_add_f32 v2, v2, v4
	s_delay_alu instid0(VALU_DEP_1) | instskip(NEXT) | instid1(VALU_DEP_1)
	v_add_f32_e32 v2, v2, v5
	v_sub_f32_e32 v2, v194, v2
	scratch_store_b64 off, v[2:3], off offset:160
	v_cmpx_lt_u32_e32 19, v0
	s_cbranch_execz .LBB109_251
; %bb.250:
	scratch_load_b64 v[3:4], off, off offset:152
	v_mov_b32_e32 v2, v1
	scratch_store_b64 off, v[1:2], off offset:152
	s_wait_loadcnt 0x0
	ds_store_b64 v23, v[3:4]
.LBB109_251:
	s_wait_alu 0xfffe
	s_or_b32 exec_lo, exec_lo, s0
	s_wait_storecnt_dscnt 0x0
	s_barrier_signal -1
	s_barrier_wait -1
	global_inv scope:SCOPE_SE
	s_clause 0xd
	scratch_load_b128 v[2:5], off, off offset:160
	scratch_load_b128 v[6:9], off, off offset:176
	;; [unrolled: 1-line block ×13, first 2 shown]
	scratch_load_b64 v[200:201], off, off offset:152
	ds_load_b128 v[148:151], v1 offset:528
	ds_load_b128 v[152:155], v1 offset:544
	;; [unrolled: 1-line block ×13, first 2 shown]
	s_mov_b32 s0, exec_lo
	s_wait_loadcnt_dscnt 0xd0c
	v_dual_mul_f32 v1, v148, v3 :: v_dual_mul_f32 v22, v150, v5
	s_wait_loadcnt_dscnt 0xc0b
	v_dual_mul_f32 v5, v151, v5 :: v_dual_mul_f32 v202, v152, v7
	v_mul_f32_e32 v203, v154, v9
	s_wait_loadcnt_dscnt 0xb0a
	v_dual_fmac_f32 v1, v149, v2 :: v_dual_mul_f32 v204, v156, v11
	v_mul_f32_e32 v205, v158, v13
	v_dual_mul_f32 v3, v149, v3 :: v_dual_fmac_f32 v22, v151, v4
	s_wait_loadcnt_dscnt 0xa09
	v_dual_mul_f32 v206, v160, v15 :: v_dual_mul_f32 v207, v162, v17
	s_wait_loadcnt_dscnt 0x201
	v_mul_f32_e32 v222, v192, v141
	v_fma_f32 v3, v148, v2, -v3
	s_wait_loadcnt_dscnt 0x100
	v_mul_f32_e32 v225, v198, v147
	v_mul_f32_e32 v2, v153, v7
	v_fma_f32 v4, v150, v4, -v5
	v_dual_mul_f32 v5, v155, v9 :: v_dual_fmac_f32 v204, v157, v10
	v_dual_add_f32 v3, 0, v3 :: v_dual_fmac_f32 v202, v153, v6
	s_delay_alu instid0(VALU_DEP_4) | instskip(NEXT) | instid1(VALU_DEP_3)
	v_fma_f32 v2, v152, v6, -v2
	v_fma_f32 v5, v154, v8, -v5
	s_delay_alu instid0(VALU_DEP_3) | instskip(SKIP_2) | instid1(VALU_DEP_3)
	v_dual_fmac_f32 v206, v161, v14 :: v_dual_add_f32 v3, v3, v4
	v_dual_mul_f32 v208, v164, v19 :: v_dual_mul_f32 v209, v166, v21
	v_dual_mul_f32 v210, v168, v25 :: v_dual_mul_f32 v211, v170, v27
	v_add_f32_e32 v2, v3, v2
	s_delay_alu instid0(VALU_DEP_3) | instskip(SKIP_1) | instid1(VALU_DEP_3)
	v_dual_mul_f32 v3, v159, v13 :: v_dual_fmac_f32 v208, v165, v18
	v_dual_mul_f32 v4, v157, v11 :: v_dual_fmac_f32 v207, v163, v16
	v_add_f32_e32 v2, v2, v5
	v_add_f32_e32 v1, 0, v1
	s_delay_alu instid0(VALU_DEP_4) | instskip(NEXT) | instid1(VALU_DEP_4)
	v_fma_f32 v3, v158, v12, -v3
	v_fma_f32 v4, v156, v10, -v4
	v_dual_mul_f32 v212, v172, v121 :: v_dual_mul_f32 v213, v174, v123
	s_delay_alu instid0(VALU_DEP_4) | instskip(SKIP_1) | instid1(VALU_DEP_4)
	v_dual_add_f32 v1, v1, v22 :: v_dual_mul_f32 v216, v180, v129
	v_mul_f32_e32 v217, v182, v131
	v_add_f32_e32 v2, v2, v4
	s_delay_alu instid0(VALU_DEP_3) | instskip(SKIP_2) | instid1(VALU_DEP_3)
	v_dual_mul_f32 v4, v163, v17 :: v_dual_add_f32 v1, v1, v202
	v_dual_fmac_f32 v203, v155, v8 :: v_dual_mul_f32 v214, v176, v125
	v_mul_f32_e32 v215, v178, v127
	v_fma_f32 v4, v162, v16, -v4
	v_mul_f32_e32 v5, v161, v15
	v_add_f32_e32 v2, v2, v3
	v_add_f32_e32 v1, v1, v203
	v_dual_fmac_f32 v213, v175, v122 :: v_dual_mul_f32 v218, v184, v133
	v_mul_f32_e32 v219, v186, v135
	v_fma_f32 v5, v160, v14, -v5
	v_fmac_f32_e32 v205, v159, v12
	v_dual_fmac_f32 v210, v169, v24 :: v_dual_fmac_f32 v211, v171, v26
	v_fmac_f32_e32 v214, v177, v124
	s_delay_alu instid0(VALU_DEP_4) | instskip(SKIP_2) | instid1(VALU_DEP_3)
	v_add_f32_e32 v2, v2, v5
	v_mul_f32_e32 v5, v167, v21
	v_dual_mul_f32 v220, v188, v137 :: v_dual_mul_f32 v221, v190, v139
	v_dual_fmac_f32 v219, v187, v134 :: v_dual_add_f32 v2, v2, v4
	s_delay_alu instid0(VALU_DEP_3) | instskip(SKIP_4) | instid1(VALU_DEP_4)
	v_fma_f32 v5, v166, v20, -v5
	v_mul_f32_e32 v3, v165, v19
	v_dual_mul_f32 v4, v169, v25 :: v_dual_mul_f32 v223, v194, v143
	v_mul_f32_e32 v224, v196, v145
	v_fmac_f32_e32 v212, v173, v120
	v_fma_f32 v3, v164, v18, -v3
	v_add_f32_e32 v1, v1, v204
	v_fma_f32 v4, v168, v24, -v4
	v_dual_fmac_f32 v217, v183, v130 :: v_dual_fmac_f32 v220, v189, v136
	s_delay_alu instid0(VALU_DEP_4) | instskip(SKIP_3) | instid1(VALU_DEP_4)
	v_add_f32_e32 v2, v2, v3
	v_mul_f32_e32 v3, v171, v27
	v_fmac_f32_e32 v223, v195, v142
	v_dual_fmac_f32 v225, v199, v146 :: v_dual_fmac_f32 v216, v181, v128
	v_add_f32_e32 v2, v2, v5
	v_add_f32_e32 v1, v1, v205
	v_fma_f32 v3, v170, v26, -v3
	v_fmac_f32_e32 v218, v185, v132
	v_fmac_f32_e32 v222, v193, v140
	s_delay_alu instid0(VALU_DEP_4) | instskip(SKIP_3) | instid1(VALU_DEP_4)
	v_dual_add_f32 v2, v2, v4 :: v_dual_add_f32 v1, v1, v206
	v_mul_f32_e32 v4, v175, v123
	v_fmac_f32_e32 v209, v167, v20
	v_fmac_f32_e32 v224, v197, v144
	v_dual_add_f32 v2, v2, v3 :: v_dual_mul_f32 v3, v177, v125
	s_delay_alu instid0(VALU_DEP_4) | instskip(SKIP_1) | instid1(VALU_DEP_3)
	v_fma_f32 v4, v174, v122, -v4
	v_mul_f32_e32 v5, v173, v121
	v_fma_f32 v3, v176, v124, -v3
	s_delay_alu instid0(VALU_DEP_2) | instskip(NEXT) | instid1(VALU_DEP_1)
	v_fma_f32 v5, v172, v120, -v5
	v_dual_add_f32 v1, v1, v207 :: v_dual_add_f32 v2, v2, v5
	s_delay_alu instid0(VALU_DEP_1) | instskip(NEXT) | instid1(VALU_DEP_2)
	v_dual_mul_f32 v5, v179, v127 :: v_dual_add_f32 v2, v2, v4
	v_add_f32_e32 v1, v1, v208
	v_mul_f32_e32 v4, v181, v129
	s_delay_alu instid0(VALU_DEP_3) | instskip(NEXT) | instid1(VALU_DEP_4)
	v_fma_f32 v5, v178, v126, -v5
	v_dual_add_f32 v2, v2, v3 :: v_dual_fmac_f32 v215, v179, v126
	v_mul_f32_e32 v3, v183, v131
	s_delay_alu instid0(VALU_DEP_4) | instskip(NEXT) | instid1(VALU_DEP_3)
	v_fma_f32 v4, v180, v128, -v4
	v_add_f32_e32 v2, v2, v5
	v_add_f32_e32 v1, v1, v209
	s_delay_alu instid0(VALU_DEP_4) | instskip(NEXT) | instid1(VALU_DEP_3)
	v_fma_f32 v3, v182, v130, -v3
	v_dual_add_f32 v2, v2, v4 :: v_dual_mul_f32 v5, v185, v133
	s_delay_alu instid0(VALU_DEP_3) | instskip(NEXT) | instid1(VALU_DEP_2)
	v_dual_add_f32 v1, v1, v210 :: v_dual_mul_f32 v4, v187, v135
	v_add_f32_e32 v2, v2, v3
	s_delay_alu instid0(VALU_DEP_3) | instskip(NEXT) | instid1(VALU_DEP_3)
	v_fma_f32 v5, v184, v132, -v5
	v_add_f32_e32 v1, v1, v211
	v_mul_f32_e32 v3, v189, v137
	v_fma_f32 v4, v186, v134, -v4
	s_delay_alu instid0(VALU_DEP_4) | instskip(NEXT) | instid1(VALU_DEP_3)
	v_dual_add_f32 v2, v2, v5 :: v_dual_mul_f32 v5, v191, v139
	v_fma_f32 v3, v188, v136, -v3
	s_delay_alu instid0(VALU_DEP_2) | instskip(SKIP_3) | instid1(VALU_DEP_4)
	v_add_f32_e32 v2, v2, v4
	v_add_f32_e32 v1, v1, v212
	v_mul_f32_e32 v4, v193, v141
	v_fma_f32 v5, v190, v138, -v5
	v_dual_add_f32 v2, v2, v3 :: v_dual_fmac_f32 v221, v191, v138
	v_mul_f32_e32 v3, v195, v143
	s_delay_alu instid0(VALU_DEP_4) | instskip(NEXT) | instid1(VALU_DEP_3)
	v_fma_f32 v4, v192, v140, -v4
	v_add_f32_e32 v2, v2, v5
	v_add_f32_e32 v1, v1, v213
	s_delay_alu instid0(VALU_DEP_4) | instskip(NEXT) | instid1(VALU_DEP_2)
	v_fma_f32 v3, v194, v142, -v3
	v_dual_add_f32 v2, v2, v4 :: v_dual_add_f32 v1, v1, v214
	v_dual_mul_f32 v4, v199, v147 :: v_dual_mul_f32 v5, v197, v145
	s_delay_alu instid0(VALU_DEP_2) | instskip(NEXT) | instid1(VALU_DEP_2)
	v_add_f32_e32 v2, v2, v3
	v_fma_f32 v3, v198, v146, -v4
	s_delay_alu instid0(VALU_DEP_3) | instskip(NEXT) | instid1(VALU_DEP_1)
	v_fma_f32 v5, v196, v144, -v5
	v_dual_add_f32 v1, v1, v215 :: v_dual_add_f32 v2, v2, v5
	s_delay_alu instid0(VALU_DEP_1) | instskip(NEXT) | instid1(VALU_DEP_1)
	v_dual_add_f32 v1, v1, v216 :: v_dual_add_f32 v2, v2, v3
	v_add_f32_e32 v1, v1, v217
	s_delay_alu instid0(VALU_DEP_1) | instskip(NEXT) | instid1(VALU_DEP_1)
	v_add_f32_e32 v1, v1, v218
	v_add_f32_e32 v1, v1, v219
	s_delay_alu instid0(VALU_DEP_1) | instskip(NEXT) | instid1(VALU_DEP_1)
	v_add_f32_e32 v1, v1, v220
	;; [unrolled: 3-line block ×4, first 2 shown]
	v_add_f32_e32 v3, v1, v225
	s_wait_loadcnt 0x0
	s_delay_alu instid0(VALU_DEP_1)
	v_dual_sub_f32 v1, v200, v2 :: v_dual_sub_f32 v2, v201, v3
	scratch_store_b64 off, v[1:2], off offset:152
	v_cmpx_lt_u32_e32 18, v0
	s_cbranch_execz .LBB109_253
; %bb.252:
	scratch_load_b64 v[1:2], off, off offset:144
	v_mov_b32_e32 v3, 0
	s_delay_alu instid0(VALU_DEP_1)
	v_mov_b32_e32 v4, v3
	scratch_store_b64 off, v[3:4], off offset:144
	s_wait_loadcnt 0x0
	ds_store_b64 v23, v[1:2]
.LBB109_253:
	s_wait_alu 0xfffe
	s_or_b32 exec_lo, exec_lo, s0
	s_wait_storecnt_dscnt 0x0
	s_barrier_signal -1
	s_barrier_wait -1
	global_inv scope:SCOPE_SE
	s_clause 0xe
	scratch_load_b128 v[2:5], off, off offset:152
	scratch_load_b128 v[6:9], off, off offset:168
	;; [unrolled: 1-line block ×13, first 2 shown]
	scratch_load_b64 v[200:201], off, off offset:360
	scratch_load_b64 v[202:203], off, off offset:144
	v_mov_b32_e32 v1, 0
	ds_load_2addr_b64 v[148:151], v1 offset0:65 offset1:66
	ds_load_2addr_b64 v[152:155], v1 offset0:67 offset1:68
	;; [unrolled: 1-line block ×13, first 2 shown]
	ds_load_b64 v[204:205], v1 offset:728
	s_mov_b32 s0, exec_lo
	s_wait_loadcnt_dscnt 0xe0d
	v_mul_f32_e32 v22, v148, v3
	v_dual_mul_f32 v3, v149, v3 :: v_dual_mul_f32 v206, v150, v5
	s_wait_loadcnt_dscnt 0xa09
	v_dual_mul_f32 v207, v152, v7 :: v_dual_mul_f32 v214, v166, v21
	v_mul_f32_e32 v5, v151, v5
	s_delay_alu instid0(VALU_DEP_3) | instskip(SKIP_3) | instid1(VALU_DEP_4)
	v_fma_f32 v3, v148, v2, -v3
	v_dual_mul_f32 v208, v154, v9 :: v_dual_mul_f32 v209, v156, v11
	v_fmac_f32_e32 v22, v149, v2
	v_mul_f32_e32 v2, v153, v7
	v_dual_fmac_f32 v206, v151, v4 :: v_dual_add_f32 v3, 0, v3
	s_wait_loadcnt_dscnt 0x100
	v_mul_f32_e32 v231, v204, v201
	v_fma_f32 v4, v150, v4, -v5
	v_dual_add_f32 v5, 0, v22 :: v_dual_fmac_f32 v208, v155, v8
	v_mul_f32_e32 v7, v155, v9
	v_fma_f32 v2, v152, v6, -v2
	s_delay_alu instid0(VALU_DEP_4)
	v_add_f32_e32 v3, v3, v4
	v_fmac_f32_e32 v207, v153, v6
	v_add_f32_e32 v4, v5, v206
	v_mul_f32_e32 v5, v157, v11
	v_fma_f32 v6, v154, v8, -v7
	v_add_f32_e32 v2, v3, v2
	v_dual_mul_f32 v210, v158, v13 :: v_dual_mul_f32 v211, v160, v15
	v_dual_add_f32 v3, v4, v207 :: v_dual_mul_f32 v4, v159, v13
	v_fma_f32 v5, v156, v10, -v5
	s_delay_alu instid0(VALU_DEP_4)
	v_add_f32_e32 v2, v2, v6
	v_fmac_f32_e32 v209, v157, v10
	v_mul_f32_e32 v6, v161, v15
	v_fmac_f32_e32 v210, v159, v12
	v_add_f32_e32 v3, v3, v208
	v_fma_f32 v4, v158, v12, -v4
	v_add_f32_e32 v2, v2, v5
	v_dual_mul_f32 v212, v162, v17 :: v_dual_mul_f32 v213, v164, v19
	s_delay_alu instid0(VALU_DEP_4)
	v_add_f32_e32 v3, v3, v209
	v_mul_f32_e32 v5, v163, v17
	v_fma_f32 v6, v160, v14, -v6
	v_dual_add_f32 v2, v2, v4 :: v_dual_fmac_f32 v211, v161, v14
	v_fmac_f32_e32 v212, v163, v16
	v_mul_f32_e32 v4, v165, v19
	v_fma_f32 v5, v162, v16, -v5
	s_delay_alu instid0(VALU_DEP_4) | instskip(SKIP_3) | instid1(VALU_DEP_3)
	v_add_f32_e32 v2, v2, v6
	v_add_f32_e32 v3, v3, v210
	v_dual_mul_f32 v6, v167, v21 :: v_dual_fmac_f32 v213, v165, v18
	v_fma_f32 v4, v164, v18, -v4
	v_dual_add_f32 v2, v2, v5 :: v_dual_add_f32 v3, v3, v211
	s_delay_alu instid0(VALU_DEP_3) | instskip(SKIP_1) | instid1(VALU_DEP_3)
	v_fma_f32 v6, v166, v20, -v6
	v_dual_mul_f32 v215, v168, v25 :: v_dual_mul_f32 v216, v170, v27
	v_add_f32_e32 v2, v2, v4
	s_delay_alu instid0(VALU_DEP_4) | instskip(SKIP_1) | instid1(VALU_DEP_4)
	v_add_f32_e32 v3, v3, v212
	v_dual_mul_f32 v5, v169, v25 :: v_dual_fmac_f32 v214, v167, v20
	v_dual_mul_f32 v4, v171, v27 :: v_dual_fmac_f32 v215, v169, v24
	s_delay_alu instid0(VALU_DEP_3) | instskip(NEXT) | instid1(VALU_DEP_3)
	v_dual_add_f32 v2, v2, v6 :: v_dual_add_f32 v3, v3, v213
	v_fma_f32 v5, v168, v24, -v5
	v_dual_mul_f32 v217, v172, v121 :: v_dual_mul_f32 v218, v174, v123
	s_delay_alu instid0(VALU_DEP_3) | instskip(NEXT) | instid1(VALU_DEP_2)
	v_dual_mul_f32 v6, v173, v121 :: v_dual_add_f32 v3, v3, v214
	v_dual_fmac_f32 v216, v171, v26 :: v_dual_fmac_f32 v217, v173, v120
	v_fma_f32 v4, v170, v26, -v4
	s_delay_alu instid0(VALU_DEP_3) | instskip(SKIP_3) | instid1(VALU_DEP_4)
	v_dual_add_f32 v2, v2, v5 :: v_dual_add_f32 v3, v3, v215
	v_mul_f32_e32 v5, v175, v123
	v_fma_f32 v6, v172, v120, -v6
	v_dual_mul_f32 v219, v176, v125 :: v_dual_mul_f32 v220, v178, v127
	v_add_f32_e32 v2, v2, v4
	v_dual_add_f32 v3, v3, v216 :: v_dual_mul_f32 v4, v177, v125
	s_delay_alu instid0(VALU_DEP_3) | instskip(SKIP_1) | instid1(VALU_DEP_3)
	v_dual_fmac_f32 v218, v175, v122 :: v_dual_fmac_f32 v219, v177, v124
	v_fma_f32 v5, v174, v122, -v5
	v_dual_add_f32 v2, v2, v6 :: v_dual_add_f32 v3, v3, v217
	v_mul_f32_e32 v6, v179, v127
	v_fma_f32 v4, v176, v124, -v4
	v_dual_mul_f32 v221, v180, v129 :: v_dual_mul_f32 v222, v182, v131
	s_delay_alu instid0(VALU_DEP_4) | instskip(SKIP_1) | instid1(VALU_DEP_3)
	v_dual_add_f32 v2, v2, v5 :: v_dual_add_f32 v3, v3, v218
	v_dual_mul_f32 v5, v181, v129 :: v_dual_fmac_f32 v220, v179, v126
	v_fmac_f32_e32 v221, v181, v128
	v_fma_f32 v6, v178, v126, -v6
	s_delay_alu instid0(VALU_DEP_4) | instskip(SKIP_2) | instid1(VALU_DEP_2)
	v_dual_add_f32 v2, v2, v4 :: v_dual_add_f32 v3, v3, v219
	v_dual_mul_f32 v223, v184, v133 :: v_dual_mul_f32 v224, v186, v135
	v_dual_mul_f32 v225, v188, v137 :: v_dual_mul_f32 v226, v190, v139
	v_dual_mul_f32 v4, v183, v131 :: v_dual_fmac_f32 v223, v185, v132
	v_fma_f32 v5, v180, v128, -v5
	v_dual_add_f32 v2, v2, v6 :: v_dual_add_f32 v3, v3, v220
	v_mul_f32_e32 v6, v185, v133
	v_dual_fmac_f32 v222, v183, v130 :: v_dual_fmac_f32 v225, v189, v136
	v_fma_f32 v4, v182, v130, -v4
	s_delay_alu instid0(VALU_DEP_4) | instskip(SKIP_3) | instid1(VALU_DEP_3)
	v_add_f32_e32 v3, v3, v221
	v_dual_add_f32 v2, v2, v5 :: v_dual_mul_f32 v5, v187, v135
	v_fma_f32 v6, v184, v132, -v6
	v_dual_mul_f32 v229, v196, v145 :: v_dual_mul_f32 v230, v198, v147
	v_dual_add_f32 v3, v3, v222 :: v_dual_add_f32 v2, v2, v4
	v_mul_f32_e32 v4, v189, v137
	v_fmac_f32_e32 v224, v187, v134
	v_fma_f32 v5, v186, v134, -v5
	s_delay_alu instid0(VALU_DEP_4) | instskip(SKIP_3) | instid1(VALU_DEP_4)
	v_dual_add_f32 v3, v3, v223 :: v_dual_add_f32 v2, v2, v6
	v_dual_mul_f32 v227, v192, v141 :: v_dual_mul_f32 v228, v194, v143
	v_mul_f32_e32 v6, v191, v139
	v_dual_fmac_f32 v226, v191, v138 :: v_dual_fmac_f32 v229, v197, v144
	v_add_f32_e32 v2, v2, v5
	v_mul_f32_e32 v5, v193, v141
	v_add_f32_e32 v3, v3, v224
	v_fma_f32 v4, v188, v136, -v4
	v_fmac_f32_e32 v227, v193, v140
	v_fma_f32 v6, v190, v138, -v6
	v_fma_f32 v5, v192, v140, -v5
	v_add_f32_e32 v3, v3, v225
	v_dual_fmac_f32 v228, v195, v142 :: v_dual_fmac_f32 v231, v205, v200
	v_fmac_f32_e32 v230, v199, v146
	s_delay_alu instid0(VALU_DEP_3) | instskip(SKIP_1) | instid1(VALU_DEP_2)
	v_dual_add_f32 v3, v3, v226 :: v_dual_add_f32 v2, v2, v4
	v_mul_f32_e32 v4, v195, v143
	v_dual_add_f32 v3, v3, v227 :: v_dual_add_f32 v2, v2, v6
	v_mul_f32_e32 v6, v197, v145
	s_delay_alu instid0(VALU_DEP_3) | instskip(NEXT) | instid1(VALU_DEP_3)
	v_fma_f32 v4, v194, v142, -v4
	v_dual_add_f32 v3, v3, v228 :: v_dual_add_f32 v2, v2, v5
	v_mul_f32_e32 v5, v199, v147
	s_delay_alu instid0(VALU_DEP_4) | instskip(NEXT) | instid1(VALU_DEP_3)
	v_fma_f32 v6, v196, v144, -v6
	v_dual_add_f32 v3, v3, v229 :: v_dual_add_f32 v2, v2, v4
	v_mul_f32_e32 v4, v205, v201
	s_delay_alu instid0(VALU_DEP_4) | instskip(NEXT) | instid1(VALU_DEP_3)
	v_fma_f32 v5, v198, v146, -v5
	v_add_f32_e32 v3, v3, v230
	s_delay_alu instid0(VALU_DEP_4) | instskip(NEXT) | instid1(VALU_DEP_4)
	v_add_f32_e32 v2, v2, v6
	v_fma_f32 v4, v204, v200, -v4
	s_delay_alu instid0(VALU_DEP_2) | instskip(SKIP_1) | instid1(VALU_DEP_1)
	v_dual_add_f32 v3, v3, v231 :: v_dual_add_f32 v2, v2, v5
	s_wait_loadcnt 0x0
	v_dual_sub_f32 v3, v203, v3 :: v_dual_add_f32 v2, v2, v4
	s_delay_alu instid0(VALU_DEP_1)
	v_sub_f32_e32 v2, v202, v2
	scratch_store_b64 off, v[2:3], off offset:144
	v_cmpx_lt_u32_e32 17, v0
	s_cbranch_execz .LBB109_255
; %bb.254:
	scratch_load_b64 v[3:4], off, off offset:136
	v_mov_b32_e32 v2, v1
	scratch_store_b64 off, v[1:2], off offset:136
	s_wait_loadcnt 0x0
	ds_store_b64 v23, v[3:4]
.LBB109_255:
	s_wait_alu 0xfffe
	s_or_b32 exec_lo, exec_lo, s0
	s_wait_storecnt_dscnt 0x0
	s_barrier_signal -1
	s_barrier_wait -1
	global_inv scope:SCOPE_SE
	s_clause 0xe
	scratch_load_b128 v[2:5], off, off offset:144
	scratch_load_b128 v[6:9], off, off offset:160
	;; [unrolled: 1-line block ×14, first 2 shown]
	scratch_load_b64 v[208:209], off, off offset:136
	ds_load_b128 v[152:155], v1 offset:512
	ds_load_b128 v[156:159], v1 offset:528
	;; [unrolled: 1-line block ×14, first 2 shown]
	s_mov_b32 s0, exec_lo
	s_wait_loadcnt_dscnt 0xe0d
	v_dual_mul_f32 v1, v152, v3 :: v_dual_mul_f32 v22, v154, v5
	s_wait_loadcnt_dscnt 0xd0c
	v_dual_mul_f32 v5, v155, v5 :: v_dual_mul_f32 v210, v156, v7
	v_mul_f32_e32 v211, v158, v9
	s_wait_loadcnt_dscnt 0xc0b
	v_dual_fmac_f32 v1, v153, v2 :: v_dual_mul_f32 v212, v160, v11
	v_mul_f32_e32 v213, v162, v13
	v_dual_mul_f32 v3, v153, v3 :: v_dual_fmac_f32 v22, v155, v4
	s_wait_loadcnt_dscnt 0xb0a
	v_dual_mul_f32 v214, v164, v15 :: v_dual_mul_f32 v215, v166, v17
	s_wait_loadcnt_dscnt 0x201
	v_mul_f32_e32 v232, v200, v145
	v_fma_f32 v3, v152, v2, -v3
	s_wait_loadcnt_dscnt 0x100
	v_mul_f32_e32 v235, v206, v151
	v_mul_f32_e32 v2, v157, v7
	v_fma_f32 v4, v154, v4, -v5
	v_dual_mul_f32 v5, v159, v9 :: v_dual_fmac_f32 v212, v161, v10
	v_dual_add_f32 v3, 0, v3 :: v_dual_fmac_f32 v210, v157, v6
	s_delay_alu instid0(VALU_DEP_4) | instskip(NEXT) | instid1(VALU_DEP_3)
	v_fma_f32 v2, v156, v6, -v2
	v_fma_f32 v5, v158, v8, -v5
	s_delay_alu instid0(VALU_DEP_3) | instskip(SKIP_2) | instid1(VALU_DEP_3)
	v_dual_fmac_f32 v214, v165, v14 :: v_dual_add_f32 v3, v3, v4
	v_dual_mul_f32 v216, v168, v19 :: v_dual_mul_f32 v217, v170, v21
	v_dual_mul_f32 v218, v172, v25 :: v_dual_mul_f32 v219, v174, v27
	v_add_f32_e32 v2, v3, v2
	s_delay_alu instid0(VALU_DEP_3) | instskip(SKIP_1) | instid1(VALU_DEP_3)
	v_dual_mul_f32 v3, v163, v13 :: v_dual_fmac_f32 v216, v169, v18
	v_dual_fmac_f32 v215, v167, v16 :: v_dual_mul_f32 v4, v161, v11
	v_add_f32_e32 v2, v2, v5
	v_add_f32_e32 v1, 0, v1
	s_delay_alu instid0(VALU_DEP_4) | instskip(SKIP_2) | instid1(VALU_DEP_4)
	v_fma_f32 v3, v162, v12, -v3
	v_dual_mul_f32 v220, v176, v121 :: v_dual_mul_f32 v221, v178, v123
	v_fma_f32 v4, v160, v10, -v4
	v_dual_add_f32 v1, v1, v22 :: v_dual_mul_f32 v224, v184, v129
	v_dual_mul_f32 v225, v186, v131 :: v_dual_mul_f32 v222, v180, v125
	v_mul_f32_e32 v223, v182, v127
	s_delay_alu instid0(VALU_DEP_3) | instskip(SKIP_2) | instid1(VALU_DEP_3)
	v_dual_add_f32 v2, v2, v4 :: v_dual_add_f32 v1, v1, v210
	v_mul_f32_e32 v4, v167, v17
	v_fmac_f32_e32 v211, v159, v8
	v_dual_fmac_f32 v221, v179, v122 :: v_dual_add_f32 v2, v2, v3
	v_dual_mul_f32 v226, v188, v133 :: v_dual_mul_f32 v227, v190, v135
	s_delay_alu instid0(VALU_DEP_4) | instskip(SKIP_4) | instid1(VALU_DEP_4)
	v_fma_f32 v4, v166, v16, -v4
	v_mul_f32_e32 v5, v165, v15
	v_add_f32_e32 v1, v1, v211
	v_dual_fmac_f32 v219, v175, v26 :: v_dual_fmac_f32 v222, v181, v124
	v_fmac_f32_e32 v218, v173, v24
	v_fma_f32 v5, v164, v14, -v5
	v_dual_fmac_f32 v213, v163, v12 :: v_dual_mul_f32 v230, v196, v141
	v_dual_mul_f32 v231, v198, v143 :: v_dual_mul_f32 v228, v192, v137
	v_mul_f32_e32 v229, v194, v139
	s_delay_alu instid0(VALU_DEP_4) | instskip(SKIP_3) | instid1(VALU_DEP_4)
	v_add_f32_e32 v2, v2, v5
	v_mul_f32_e32 v5, v171, v21
	v_fmac_f32_e32 v227, v191, v134
	v_dual_fmac_f32 v225, v187, v130 :: v_dual_fmac_f32 v228, v193, v136
	v_add_f32_e32 v2, v2, v4
	s_delay_alu instid0(VALU_DEP_4) | instskip(SKIP_4) | instid1(VALU_DEP_4)
	v_fma_f32 v5, v170, v20, -v5
	v_mul_f32_e32 v3, v169, v19
	v_mul_f32_e32 v4, v173, v25
	v_dual_fmac_f32 v220, v177, v120 :: v_dual_mul_f32 v233, v202, v147
	v_mul_f32_e32 v234, v204, v149
	v_fma_f32 v3, v168, v18, -v3
	v_add_f32_e32 v1, v1, v212
	v_fma_f32 v4, v172, v24, -v4
	s_delay_alu instid0(VALU_DEP_4) | instskip(NEXT) | instid1(VALU_DEP_4)
	v_dual_fmac_f32 v231, v199, v142 :: v_dual_fmac_f32 v234, v205, v148
	v_add_f32_e32 v2, v2, v3
	v_mul_f32_e32 v3, v175, v27
	v_fmac_f32_e32 v233, v203, v146
	v_dual_fmac_f32 v235, v207, v150 :: v_dual_fmac_f32 v224, v185, v128
	s_delay_alu instid0(VALU_DEP_4) | instskip(SKIP_4) | instid1(VALU_DEP_4)
	v_add_f32_e32 v2, v2, v5
	v_add_f32_e32 v1, v1, v213
	v_fma_f32 v3, v174, v26, -v3
	v_fmac_f32_e32 v226, v189, v132
	v_fmac_f32_e32 v230, v197, v140
	v_dual_add_f32 v2, v2, v4 :: v_dual_add_f32 v1, v1, v214
	v_mul_f32_e32 v4, v179, v123
	v_fmac_f32_e32 v217, v171, v20
	v_fmac_f32_e32 v232, v201, v144
	s_delay_alu instid0(VALU_DEP_4) | instskip(NEXT) | instid1(VALU_DEP_4)
	v_dual_add_f32 v2, v2, v3 :: v_dual_mul_f32 v3, v181, v125
	v_fma_f32 v4, v178, v122, -v4
	v_mul_f32_e32 v5, v177, v121
	s_delay_alu instid0(VALU_DEP_3) | instskip(NEXT) | instid1(VALU_DEP_2)
	v_fma_f32 v3, v180, v124, -v3
	v_fma_f32 v5, v176, v120, -v5
	s_delay_alu instid0(VALU_DEP_1) | instskip(NEXT) | instid1(VALU_DEP_1)
	v_dual_add_f32 v1, v1, v215 :: v_dual_add_f32 v2, v2, v5
	v_dual_mul_f32 v5, v183, v127 :: v_dual_add_f32 v2, v2, v4
	s_delay_alu instid0(VALU_DEP_2) | instskip(SKIP_1) | instid1(VALU_DEP_3)
	v_add_f32_e32 v1, v1, v216
	v_mul_f32_e32 v4, v185, v129
	v_fma_f32 v5, v182, v126, -v5
	s_delay_alu instid0(VALU_DEP_4) | instskip(SKIP_1) | instid1(VALU_DEP_4)
	v_dual_add_f32 v2, v2, v3 :: v_dual_fmac_f32 v223, v183, v126
	v_mul_f32_e32 v3, v187, v131
	v_fma_f32 v4, v184, v128, -v4
	s_delay_alu instid0(VALU_DEP_3) | instskip(SKIP_1) | instid1(VALU_DEP_4)
	v_add_f32_e32 v2, v2, v5
	v_add_f32_e32 v1, v1, v217
	v_fma_f32 v3, v186, v130, -v3
	s_delay_alu instid0(VALU_DEP_3) | instskip(NEXT) | instid1(VALU_DEP_3)
	v_dual_add_f32 v2, v2, v4 :: v_dual_mul_f32 v5, v189, v133
	v_dual_add_f32 v1, v1, v218 :: v_dual_mul_f32 v4, v191, v135
	s_delay_alu instid0(VALU_DEP_2) | instskip(NEXT) | instid1(VALU_DEP_3)
	v_add_f32_e32 v2, v2, v3
	v_fma_f32 v5, v188, v132, -v5
	s_delay_alu instid0(VALU_DEP_3) | instskip(SKIP_2) | instid1(VALU_DEP_4)
	v_add_f32_e32 v1, v1, v219
	v_mul_f32_e32 v3, v193, v137
	v_fma_f32 v4, v190, v134, -v4
	v_dual_add_f32 v2, v2, v5 :: v_dual_mul_f32 v5, v195, v139
	s_delay_alu instid0(VALU_DEP_3) | instskip(NEXT) | instid1(VALU_DEP_2)
	v_fma_f32 v3, v192, v136, -v3
	v_add_f32_e32 v2, v2, v4
	v_add_f32_e32 v1, v1, v220
	v_mul_f32_e32 v4, v197, v141
	v_fma_f32 v5, v194, v138, -v5
	s_delay_alu instid0(VALU_DEP_4) | instskip(SKIP_1) | instid1(VALU_DEP_4)
	v_dual_add_f32 v2, v2, v3 :: v_dual_fmac_f32 v229, v195, v138
	v_mul_f32_e32 v3, v199, v143
	v_fma_f32 v4, v196, v140, -v4
	s_delay_alu instid0(VALU_DEP_3) | instskip(SKIP_1) | instid1(VALU_DEP_4)
	v_add_f32_e32 v2, v2, v5
	v_add_f32_e32 v1, v1, v221
	v_fma_f32 v3, v198, v142, -v3
	s_delay_alu instid0(VALU_DEP_3) | instskip(NEXT) | instid1(VALU_DEP_3)
	v_dual_add_f32 v2, v2, v4 :: v_dual_mul_f32 v5, v201, v145
	v_dual_add_f32 v1, v1, v222 :: v_dual_mul_f32 v4, v203, v147
	s_delay_alu instid0(VALU_DEP_2) | instskip(NEXT) | instid1(VALU_DEP_3)
	v_add_f32_e32 v2, v2, v3
	v_fma_f32 v5, v200, v144, -v5
	s_delay_alu instid0(VALU_DEP_3) | instskip(SKIP_2) | instid1(VALU_DEP_4)
	v_add_f32_e32 v1, v1, v223
	v_mul_f32_e32 v3, v205, v149
	v_fma_f32 v4, v202, v146, -v4
	v_dual_add_f32 v2, v2, v5 :: v_dual_mul_f32 v5, v207, v151
	s_delay_alu instid0(VALU_DEP_3) | instskip(NEXT) | instid1(VALU_DEP_2)
	v_fma_f32 v3, v204, v148, -v3
	v_add_f32_e32 v2, v2, v4
	v_add_f32_e32 v1, v1, v224
	s_delay_alu instid0(VALU_DEP_4) | instskip(NEXT) | instid1(VALU_DEP_2)
	v_fma_f32 v4, v206, v150, -v5
	v_dual_add_f32 v2, v2, v3 :: v_dual_add_f32 v1, v1, v225
	s_delay_alu instid0(VALU_DEP_1) | instskip(NEXT) | instid1(VALU_DEP_1)
	v_dual_add_f32 v2, v2, v4 :: v_dual_add_f32 v1, v1, v226
	v_add_f32_e32 v1, v1, v227
	s_delay_alu instid0(VALU_DEP_1) | instskip(NEXT) | instid1(VALU_DEP_1)
	v_add_f32_e32 v1, v1, v228
	v_add_f32_e32 v1, v1, v229
	s_delay_alu instid0(VALU_DEP_1) | instskip(NEXT) | instid1(VALU_DEP_1)
	v_add_f32_e32 v1, v1, v230
	;; [unrolled: 3-line block ×4, first 2 shown]
	v_add_f32_e32 v3, v1, v235
	s_wait_loadcnt 0x0
	s_delay_alu instid0(VALU_DEP_1)
	v_dual_sub_f32 v1, v208, v2 :: v_dual_sub_f32 v2, v209, v3
	scratch_store_b64 off, v[1:2], off offset:136
	v_cmpx_lt_u32_e32 16, v0
	s_cbranch_execz .LBB109_257
; %bb.256:
	scratch_load_b64 v[1:2], off, off offset:128
	v_mov_b32_e32 v3, 0
	s_delay_alu instid0(VALU_DEP_1)
	v_mov_b32_e32 v4, v3
	scratch_store_b64 off, v[3:4], off offset:128
	s_wait_loadcnt 0x0
	ds_store_b64 v23, v[1:2]
.LBB109_257:
	s_wait_alu 0xfffe
	s_or_b32 exec_lo, exec_lo, s0
	s_wait_storecnt_dscnt 0x0
	s_barrier_signal -1
	s_barrier_wait -1
	global_inv scope:SCOPE_SE
	s_clause 0xf
	scratch_load_b128 v[2:5], off, off offset:136
	scratch_load_b128 v[6:9], off, off offset:152
	;; [unrolled: 1-line block ×14, first 2 shown]
	scratch_load_b64 v[208:209], off, off offset:360
	scratch_load_b64 v[210:211], off, off offset:128
	v_mov_b32_e32 v1, 0
	ds_load_2addr_b64 v[152:155], v1 offset0:63 offset1:64
	ds_load_2addr_b64 v[156:159], v1 offset0:65 offset1:66
	;; [unrolled: 1-line block ×14, first 2 shown]
	ds_load_b64 v[212:213], v1 offset:728
	s_mov_b32 s0, exec_lo
	s_wait_loadcnt_dscnt 0xf0e
	v_mul_f32_e32 v22, v152, v3
	v_dual_mul_f32 v3, v153, v3 :: v_dual_mul_f32 v214, v154, v5
	s_wait_loadcnt_dscnt 0xb0a
	v_dual_mul_f32 v215, v156, v7 :: v_dual_mul_f32 v222, v170, v21
	v_mul_f32_e32 v5, v155, v5
	s_delay_alu instid0(VALU_DEP_3)
	v_fma_f32 v3, v152, v2, -v3
	v_dual_mul_f32 v216, v158, v9 :: v_dual_mul_f32 v217, v160, v11
	v_fmac_f32_e32 v214, v155, v4
	v_fmac_f32_e32 v22, v153, v2
	v_mul_f32_e32 v2, v157, v7
	v_fma_f32 v4, v154, v4, -v5
	v_add_f32_e32 v3, 0, v3
	s_wait_loadcnt_dscnt 0x100
	v_mul_f32_e32 v241, v212, v209
	v_dual_add_f32 v5, 0, v22 :: v_dual_fmac_f32 v216, v159, v8
	v_mul_f32_e32 v7, v159, v9
	v_fma_f32 v2, v156, v6, -v2
	v_add_f32_e32 v3, v3, v4
	v_fmac_f32_e32 v215, v157, v6
	v_add_f32_e32 v4, v5, v214
	v_mul_f32_e32 v5, v161, v11
	v_fma_f32 v6, v158, v8, -v7
	v_add_f32_e32 v2, v3, v2
	v_dual_mul_f32 v218, v162, v13 :: v_dual_mul_f32 v219, v164, v15
	v_dual_add_f32 v3, v4, v215 :: v_dual_mul_f32 v4, v163, v13
	v_fma_f32 v5, v160, v10, -v5
	s_delay_alu instid0(VALU_DEP_4)
	v_add_f32_e32 v2, v2, v6
	v_fmac_f32_e32 v217, v161, v10
	v_mul_f32_e32 v6, v165, v15
	v_fmac_f32_e32 v218, v163, v12
	v_add_f32_e32 v3, v3, v216
	v_fma_f32 v4, v162, v12, -v4
	v_add_f32_e32 v2, v2, v5
	v_dual_mul_f32 v220, v166, v17 :: v_dual_mul_f32 v221, v168, v19
	s_delay_alu instid0(VALU_DEP_4)
	v_add_f32_e32 v3, v3, v217
	v_mul_f32_e32 v5, v167, v17
	v_fma_f32 v6, v164, v14, -v6
	v_dual_add_f32 v2, v2, v4 :: v_dual_fmac_f32 v219, v165, v14
	v_fmac_f32_e32 v220, v167, v16
	v_mul_f32_e32 v4, v169, v19
	v_fma_f32 v5, v166, v16, -v5
	s_delay_alu instid0(VALU_DEP_4) | instskip(SKIP_3) | instid1(VALU_DEP_3)
	v_add_f32_e32 v2, v2, v6
	v_add_f32_e32 v3, v3, v218
	v_dual_mul_f32 v6, v171, v21 :: v_dual_fmac_f32 v221, v169, v18
	v_fma_f32 v4, v168, v18, -v4
	v_dual_add_f32 v2, v2, v5 :: v_dual_add_f32 v3, v3, v219
	s_delay_alu instid0(VALU_DEP_3) | instskip(SKIP_1) | instid1(VALU_DEP_3)
	v_fma_f32 v6, v170, v20, -v6
	v_dual_mul_f32 v223, v172, v25 :: v_dual_mul_f32 v224, v174, v27
	v_add_f32_e32 v2, v2, v4
	s_delay_alu instid0(VALU_DEP_4) | instskip(SKIP_1) | instid1(VALU_DEP_4)
	v_add_f32_e32 v3, v3, v220
	v_dual_mul_f32 v5, v173, v25 :: v_dual_fmac_f32 v222, v171, v20
	v_dual_mul_f32 v4, v175, v27 :: v_dual_fmac_f32 v223, v173, v24
	s_delay_alu instid0(VALU_DEP_3) | instskip(NEXT) | instid1(VALU_DEP_3)
	v_dual_add_f32 v2, v2, v6 :: v_dual_add_f32 v3, v3, v221
	v_fma_f32 v5, v172, v24, -v5
	v_dual_mul_f32 v225, v176, v121 :: v_dual_mul_f32 v226, v178, v123
	s_delay_alu instid0(VALU_DEP_3) | instskip(NEXT) | instid1(VALU_DEP_2)
	v_dual_mul_f32 v6, v177, v121 :: v_dual_add_f32 v3, v3, v222
	v_dual_fmac_f32 v224, v175, v26 :: v_dual_fmac_f32 v225, v177, v120
	v_fma_f32 v4, v174, v26, -v4
	s_delay_alu instid0(VALU_DEP_3) | instskip(SKIP_3) | instid1(VALU_DEP_4)
	v_dual_add_f32 v2, v2, v5 :: v_dual_add_f32 v3, v3, v223
	v_mul_f32_e32 v5, v179, v123
	v_fma_f32 v6, v176, v120, -v6
	v_dual_mul_f32 v227, v180, v125 :: v_dual_mul_f32 v228, v182, v127
	v_add_f32_e32 v2, v2, v4
	v_dual_add_f32 v3, v3, v224 :: v_dual_mul_f32 v4, v181, v125
	s_delay_alu instid0(VALU_DEP_3) | instskip(SKIP_1) | instid1(VALU_DEP_3)
	v_dual_fmac_f32 v226, v179, v122 :: v_dual_fmac_f32 v227, v181, v124
	v_fma_f32 v5, v178, v122, -v5
	v_dual_add_f32 v2, v2, v6 :: v_dual_add_f32 v3, v3, v225
	v_mul_f32_e32 v6, v183, v127
	v_fma_f32 v4, v180, v124, -v4
	v_dual_mul_f32 v229, v184, v129 :: v_dual_mul_f32 v230, v186, v131
	s_delay_alu instid0(VALU_DEP_4) | instskip(SKIP_1) | instid1(VALU_DEP_3)
	v_dual_add_f32 v2, v2, v5 :: v_dual_add_f32 v3, v3, v226
	v_dual_mul_f32 v5, v185, v129 :: v_dual_fmac_f32 v228, v183, v126
	v_fmac_f32_e32 v229, v185, v128
	v_fma_f32 v6, v182, v126, -v6
	s_delay_alu instid0(VALU_DEP_4) | instskip(SKIP_2) | instid1(VALU_DEP_2)
	v_dual_add_f32 v2, v2, v4 :: v_dual_add_f32 v3, v3, v227
	v_dual_mul_f32 v231, v188, v133 :: v_dual_mul_f32 v232, v190, v135
	v_dual_mul_f32 v233, v192, v137 :: v_dual_mul_f32 v234, v194, v139
	v_dual_mul_f32 v4, v187, v131 :: v_dual_fmac_f32 v231, v189, v132
	v_fma_f32 v5, v184, v128, -v5
	v_dual_add_f32 v2, v2, v6 :: v_dual_add_f32 v3, v3, v228
	v_mul_f32_e32 v6, v189, v133
	v_dual_fmac_f32 v230, v187, v130 :: v_dual_fmac_f32 v233, v193, v136
	v_fma_f32 v4, v186, v130, -v4
	s_delay_alu instid0(VALU_DEP_4) | instskip(SKIP_3) | instid1(VALU_DEP_3)
	v_add_f32_e32 v3, v3, v229
	v_dual_add_f32 v2, v2, v5 :: v_dual_mul_f32 v5, v191, v135
	v_fma_f32 v6, v188, v132, -v6
	v_dual_mul_f32 v237, v200, v145 :: v_dual_mul_f32 v238, v202, v147
	v_dual_add_f32 v3, v3, v230 :: v_dual_add_f32 v2, v2, v4
	v_mul_f32_e32 v4, v193, v137
	v_fmac_f32_e32 v232, v191, v134
	v_fma_f32 v5, v190, v134, -v5
	s_delay_alu instid0(VALU_DEP_4) | instskip(SKIP_3) | instid1(VALU_DEP_4)
	v_dual_add_f32 v3, v3, v231 :: v_dual_add_f32 v2, v2, v6
	v_dual_mul_f32 v235, v196, v141 :: v_dual_mul_f32 v236, v198, v143
	v_mul_f32_e32 v6, v195, v139
	v_dual_fmac_f32 v234, v195, v138 :: v_dual_fmac_f32 v237, v201, v144
	v_add_f32_e32 v2, v2, v5
	v_mul_f32_e32 v5, v197, v141
	v_add_f32_e32 v3, v3, v232
	v_fma_f32 v4, v192, v136, -v4
	v_fmac_f32_e32 v235, v197, v140
	v_fma_f32 v6, v194, v138, -v6
	v_dual_mul_f32 v239, v204, v149 :: v_dual_mul_f32 v240, v206, v151
	v_add_f32_e32 v3, v3, v233
	v_fma_f32 v5, v196, v140, -v5
	s_delay_alu instid0(VALU_DEP_3) | instskip(NEXT) | instid1(VALU_DEP_4)
	v_dual_fmac_f32 v236, v199, v142 :: v_dual_fmac_f32 v239, v205, v148
	v_fmac_f32_e32 v240, v207, v150
	s_delay_alu instid0(VALU_DEP_4) | instskip(SKIP_2) | instid1(VALU_DEP_3)
	v_dual_add_f32 v3, v3, v234 :: v_dual_add_f32 v2, v2, v4
	v_mul_f32_e32 v4, v199, v143
	v_dual_fmac_f32 v238, v203, v146 :: v_dual_fmac_f32 v241, v213, v208
	v_dual_add_f32 v3, v3, v235 :: v_dual_add_f32 v2, v2, v6
	v_mul_f32_e32 v6, v201, v145
	s_delay_alu instid0(VALU_DEP_4) | instskip(NEXT) | instid1(VALU_DEP_3)
	v_fma_f32 v4, v198, v142, -v4
	v_dual_add_f32 v2, v2, v5 :: v_dual_mul_f32 v5, v203, v147
	s_delay_alu instid0(VALU_DEP_3) | instskip(NEXT) | instid1(VALU_DEP_2)
	v_fma_f32 v6, v200, v144, -v6
	v_add_f32_e32 v2, v2, v4
	s_delay_alu instid0(VALU_DEP_3) | instskip(NEXT) | instid1(VALU_DEP_2)
	v_fma_f32 v5, v202, v146, -v5
	v_add_f32_e32 v2, v2, v6
	v_mul_f32_e32 v6, v207, v151
	s_delay_alu instid0(VALU_DEP_2) | instskip(SKIP_2) | instid1(VALU_DEP_4)
	v_add_f32_e32 v2, v2, v5
	v_mul_f32_e32 v5, v213, v209
	v_add_f32_e32 v3, v3, v236
	v_fma_f32 v6, v206, v150, -v6
	s_delay_alu instid0(VALU_DEP_2) | instskip(NEXT) | instid1(VALU_DEP_1)
	v_add_f32_e32 v3, v3, v237
	v_dual_mul_f32 v4, v205, v149 :: v_dual_add_f32 v3, v3, v238
	s_delay_alu instid0(VALU_DEP_1) | instskip(NEXT) | instid1(VALU_DEP_2)
	v_fma_f32 v4, v204, v148, -v4
	v_add_f32_e32 v3, v3, v239
	s_delay_alu instid0(VALU_DEP_1) | instskip(NEXT) | instid1(VALU_DEP_3)
	v_add_f32_e32 v3, v3, v240
	v_add_f32_e32 v2, v2, v4
	v_fma_f32 v4, v212, v208, -v5
	s_delay_alu instid0(VALU_DEP_2) | instskip(SKIP_1) | instid1(VALU_DEP_1)
	v_dual_add_f32 v3, v3, v241 :: v_dual_add_f32 v2, v2, v6
	s_wait_loadcnt 0x0
	v_dual_sub_f32 v3, v211, v3 :: v_dual_add_f32 v2, v2, v4
	s_delay_alu instid0(VALU_DEP_1)
	v_sub_f32_e32 v2, v210, v2
	scratch_store_b64 off, v[2:3], off offset:128
	v_cmpx_lt_u32_e32 15, v0
	s_cbranch_execz .LBB109_259
; %bb.258:
	scratch_load_b64 v[3:4], off, off offset:120
	v_mov_b32_e32 v2, v1
	scratch_store_b64 off, v[1:2], off offset:120
	s_wait_loadcnt 0x0
	ds_store_b64 v23, v[3:4]
.LBB109_259:
	s_wait_alu 0xfffe
	s_or_b32 exec_lo, exec_lo, s0
	s_wait_storecnt_dscnt 0x0
	s_barrier_signal -1
	s_barrier_wait -1
	global_inv scope:SCOPE_SE
	s_clause 0xf
	scratch_load_b128 v[2:5], off, off offset:128
	scratch_load_b128 v[6:9], off, off offset:144
	;; [unrolled: 1-line block ×15, first 2 shown]
	scratch_load_b64 v[216:217], off, off offset:120
	ds_load_b128 v[156:159], v1 offset:496
	ds_load_b128 v[160:163], v1 offset:512
	;; [unrolled: 1-line block ×15, first 2 shown]
	s_mov_b32 s0, exec_lo
	s_wait_loadcnt_dscnt 0xf0e
	v_dual_mul_f32 v1, v156, v3 :: v_dual_mul_f32 v22, v158, v5
	s_wait_loadcnt_dscnt 0xe0d
	v_dual_mul_f32 v5, v159, v5 :: v_dual_mul_f32 v218, v160, v7
	v_mul_f32_e32 v219, v162, v9
	s_wait_loadcnt_dscnt 0xd0c
	v_dual_fmac_f32 v1, v157, v2 :: v_dual_mul_f32 v220, v164, v11
	s_wait_loadcnt_dscnt 0xc0b
	v_dual_mul_f32 v221, v166, v13 :: v_dual_mul_f32 v222, v168, v15
	v_mul_f32_e32 v223, v170, v17
	v_dual_mul_f32 v3, v157, v3 :: v_dual_fmac_f32 v22, v159, v4
	s_wait_loadcnt_dscnt 0xb0a
	v_dual_mul_f32 v224, v172, v19 :: v_dual_mul_f32 v225, v174, v21
	s_wait_loadcnt_dscnt 0x201
	v_mul_f32_e32 v242, v208, v149
	v_fma_f32 v3, v156, v2, -v3
	s_wait_loadcnt_dscnt 0x100
	v_mul_f32_e32 v245, v214, v155
	v_mul_f32_e32 v2, v161, v7
	v_fma_f32 v4, v158, v4, -v5
	v_dual_mul_f32 v5, v163, v9 :: v_dual_fmac_f32 v220, v165, v10
	v_dual_add_f32 v3, 0, v3 :: v_dual_fmac_f32 v218, v161, v6
	s_delay_alu instid0(VALU_DEP_4) | instskip(NEXT) | instid1(VALU_DEP_3)
	v_fma_f32 v2, v160, v6, -v2
	v_fma_f32 v5, v162, v8, -v5
	s_delay_alu instid0(VALU_DEP_3) | instskip(SKIP_2) | instid1(VALU_DEP_3)
	v_dual_fmac_f32 v222, v169, v14 :: v_dual_add_f32 v3, v3, v4
	v_dual_mul_f32 v226, v176, v25 :: v_dual_mul_f32 v227, v178, v27
	v_dual_fmac_f32 v224, v173, v18 :: v_dual_fmac_f32 v223, v171, v16
	v_add_f32_e32 v2, v3, v2
	v_mul_f32_e32 v3, v167, v13
	v_dual_mul_f32 v228, v180, v121 :: v_dual_mul_f32 v229, v182, v123
	v_mul_f32_e32 v4, v165, v11
	s_delay_alu instid0(VALU_DEP_4) | instskip(SKIP_4) | instid1(VALU_DEP_4)
	v_add_f32_e32 v2, v2, v5
	v_add_f32_e32 v1, 0, v1
	v_fma_f32 v3, v166, v12, -v3
	v_dual_mul_f32 v232, v188, v129 :: v_dual_mul_f32 v233, v190, v131
	v_fma_f32 v4, v164, v10, -v4
	v_dual_add_f32 v1, v1, v22 :: v_dual_mul_f32 v230, v184, v125
	v_mul_f32_e32 v231, v186, v127
	s_delay_alu instid0(VALU_DEP_3) | instskip(NEXT) | instid1(VALU_DEP_3)
	v_dual_fmac_f32 v229, v183, v122 :: v_dual_add_f32 v2, v2, v4
	v_dual_add_f32 v1, v1, v218 :: v_dual_mul_f32 v4, v171, v17
	v_dual_fmac_f32 v219, v163, v8 :: v_dual_mul_f32 v234, v192, v133
	v_mul_f32_e32 v235, v194, v135
	s_delay_alu instid0(VALU_DEP_4) | instskip(NEXT) | instid1(VALU_DEP_4)
	v_add_f32_e32 v2, v2, v3
	v_fma_f32 v4, v170, v16, -v4
	v_mul_f32_e32 v5, v169, v15
	v_add_f32_e32 v1, v1, v219
	v_dual_fmac_f32 v227, v179, v26 :: v_dual_fmac_f32 v230, v185, v124
	v_dual_mul_f32 v238, v200, v141 :: v_dual_mul_f32 v239, v202, v143
	s_delay_alu instid0(VALU_DEP_4) | instskip(SKIP_3) | instid1(VALU_DEP_4)
	v_fma_f32 v5, v168, v14, -v5
	v_fmac_f32_e32 v221, v167, v12
	v_fmac_f32_e32 v226, v177, v24
	v_dual_mul_f32 v236, v196, v137 :: v_dual_mul_f32 v237, v198, v139
	v_add_f32_e32 v2, v2, v5
	v_mul_f32_e32 v5, v175, v21
	v_dual_fmac_f32 v235, v195, v134 :: v_dual_mul_f32 v240, v204, v145
	v_mul_f32_e32 v241, v206, v147
	s_delay_alu instid0(VALU_DEP_4) | instskip(NEXT) | instid1(VALU_DEP_4)
	v_add_f32_e32 v2, v2, v4
	v_fma_f32 v5, v174, v20, -v5
	v_mul_f32_e32 v3, v173, v19
	v_mul_f32_e32 v4, v177, v25
	v_dual_fmac_f32 v228, v181, v120 :: v_dual_mul_f32 v243, v210, v151
	v_mul_f32_e32 v244, v212, v153
	s_delay_alu instid0(VALU_DEP_4) | instskip(SKIP_3) | instid1(VALU_DEP_4)
	v_fma_f32 v3, v172, v18, -v3
	v_add_f32_e32 v1, v1, v220
	v_fma_f32 v4, v176, v24, -v4
	v_dual_fmac_f32 v233, v191, v130 :: v_dual_fmac_f32 v236, v197, v136
	v_add_f32_e32 v2, v2, v3
	v_mul_f32_e32 v3, v179, v27
	v_fmac_f32_e32 v241, v207, v146
	v_dual_fmac_f32 v239, v203, v142 :: v_dual_fmac_f32 v242, v209, v148
	s_delay_alu instid0(VALU_DEP_4) | instskip(SKIP_3) | instid1(VALU_DEP_3)
	v_add_f32_e32 v2, v2, v5
	v_add_f32_e32 v1, v1, v221
	v_fma_f32 v3, v178, v26, -v3
	v_dual_fmac_f32 v245, v215, v154 :: v_dual_fmac_f32 v232, v189, v128
	v_dual_add_f32 v2, v2, v4 :: v_dual_add_f32 v1, v1, v222
	v_mul_f32_e32 v4, v183, v123
	v_fmac_f32_e32 v225, v175, v20
	v_fmac_f32_e32 v234, v193, v132
	s_delay_alu instid0(VALU_DEP_4) | instskip(NEXT) | instid1(VALU_DEP_4)
	v_dual_add_f32 v2, v2, v3 :: v_dual_mul_f32 v3, v185, v125
	v_fma_f32 v4, v182, v122, -v4
	v_mul_f32_e32 v5, v181, v121
	v_fmac_f32_e32 v238, v201, v140
	v_fmac_f32_e32 v240, v205, v144
	v_fma_f32 v3, v184, v124, -v3
	v_fmac_f32_e32 v244, v213, v152
	v_fma_f32 v5, v180, v120, -v5
	s_delay_alu instid0(VALU_DEP_1) | instskip(NEXT) | instid1(VALU_DEP_1)
	v_dual_add_f32 v1, v1, v223 :: v_dual_add_f32 v2, v2, v5
	v_dual_mul_f32 v5, v187, v127 :: v_dual_add_f32 v2, v2, v4
	s_delay_alu instid0(VALU_DEP_2) | instskip(SKIP_1) | instid1(VALU_DEP_3)
	v_add_f32_e32 v1, v1, v224
	v_mul_f32_e32 v4, v189, v129
	v_fma_f32 v5, v186, v126, -v5
	s_delay_alu instid0(VALU_DEP_4) | instskip(SKIP_1) | instid1(VALU_DEP_4)
	v_dual_add_f32 v2, v2, v3 :: v_dual_fmac_f32 v231, v187, v126
	v_mul_f32_e32 v3, v191, v131
	v_fma_f32 v4, v188, v128, -v4
	s_delay_alu instid0(VALU_DEP_3) | instskip(SKIP_1) | instid1(VALU_DEP_4)
	v_add_f32_e32 v2, v2, v5
	v_add_f32_e32 v1, v1, v225
	v_fma_f32 v3, v190, v130, -v3
	s_delay_alu instid0(VALU_DEP_3) | instskip(NEXT) | instid1(VALU_DEP_3)
	v_dual_add_f32 v2, v2, v4 :: v_dual_mul_f32 v5, v193, v133
	v_dual_add_f32 v1, v1, v226 :: v_dual_mul_f32 v4, v195, v135
	s_delay_alu instid0(VALU_DEP_2) | instskip(NEXT) | instid1(VALU_DEP_3)
	v_add_f32_e32 v2, v2, v3
	v_fma_f32 v5, v192, v132, -v5
	s_delay_alu instid0(VALU_DEP_3) | instskip(SKIP_2) | instid1(VALU_DEP_4)
	v_add_f32_e32 v1, v1, v227
	v_mul_f32_e32 v3, v197, v137
	v_fma_f32 v4, v194, v134, -v4
	v_dual_add_f32 v2, v2, v5 :: v_dual_mul_f32 v5, v199, v139
	s_delay_alu instid0(VALU_DEP_3) | instskip(NEXT) | instid1(VALU_DEP_2)
	v_fma_f32 v3, v196, v136, -v3
	v_add_f32_e32 v2, v2, v4
	v_add_f32_e32 v1, v1, v228
	v_mul_f32_e32 v4, v201, v141
	v_fma_f32 v5, v198, v138, -v5
	s_delay_alu instid0(VALU_DEP_4) | instskip(SKIP_1) | instid1(VALU_DEP_4)
	v_dual_add_f32 v2, v2, v3 :: v_dual_fmac_f32 v237, v199, v138
	v_mul_f32_e32 v3, v203, v143
	v_fma_f32 v4, v200, v140, -v4
	s_delay_alu instid0(VALU_DEP_3) | instskip(SKIP_1) | instid1(VALU_DEP_4)
	v_add_f32_e32 v2, v2, v5
	v_add_f32_e32 v1, v1, v229
	v_fma_f32 v3, v202, v142, -v3
	s_delay_alu instid0(VALU_DEP_3) | instskip(NEXT) | instid1(VALU_DEP_3)
	v_dual_add_f32 v2, v2, v4 :: v_dual_mul_f32 v5, v205, v145
	v_dual_add_f32 v1, v1, v230 :: v_dual_mul_f32 v4, v207, v147
	s_delay_alu instid0(VALU_DEP_2) | instskip(NEXT) | instid1(VALU_DEP_3)
	v_add_f32_e32 v2, v2, v3
	v_fma_f32 v5, v204, v144, -v5
	s_delay_alu instid0(VALU_DEP_3) | instskip(SKIP_2) | instid1(VALU_DEP_4)
	v_add_f32_e32 v1, v1, v231
	v_mul_f32_e32 v3, v209, v149
	v_fma_f32 v4, v206, v146, -v4
	v_dual_add_f32 v2, v2, v5 :: v_dual_mul_f32 v5, v211, v151
	s_delay_alu instid0(VALU_DEP_3) | instskip(NEXT) | instid1(VALU_DEP_2)
	v_fma_f32 v3, v208, v148, -v3
	v_add_f32_e32 v2, v2, v4
	v_add_f32_e32 v1, v1, v232
	v_mul_f32_e32 v4, v213, v153
	v_fma_f32 v5, v210, v150, -v5
	s_delay_alu instid0(VALU_DEP_4) | instskip(SKIP_1) | instid1(VALU_DEP_4)
	v_dual_add_f32 v2, v2, v3 :: v_dual_fmac_f32 v243, v211, v150
	v_mul_f32_e32 v3, v215, v155
	v_fma_f32 v4, v212, v152, -v4
	s_delay_alu instid0(VALU_DEP_3) | instskip(SKIP_1) | instid1(VALU_DEP_4)
	v_add_f32_e32 v2, v2, v5
	v_add_f32_e32 v1, v1, v233
	v_fma_f32 v3, v214, v154, -v3
	s_delay_alu instid0(VALU_DEP_2) | instskip(NEXT) | instid1(VALU_DEP_1)
	v_dual_add_f32 v2, v2, v4 :: v_dual_add_f32 v1, v1, v234
	v_add_f32_e32 v2, v2, v3
	s_delay_alu instid0(VALU_DEP_2) | instskip(NEXT) | instid1(VALU_DEP_1)
	v_add_f32_e32 v1, v1, v235
	v_add_f32_e32 v1, v1, v236
	s_delay_alu instid0(VALU_DEP_1) | instskip(NEXT) | instid1(VALU_DEP_1)
	v_add_f32_e32 v1, v1, v237
	v_add_f32_e32 v1, v1, v238
	s_delay_alu instid0(VALU_DEP_1) | instskip(NEXT) | instid1(VALU_DEP_1)
	;; [unrolled: 3-line block ×4, first 2 shown]
	v_add_f32_e32 v1, v1, v243
	v_add_f32_e32 v1, v1, v244
	s_delay_alu instid0(VALU_DEP_1) | instskip(SKIP_1) | instid1(VALU_DEP_1)
	v_add_f32_e32 v3, v1, v245
	s_wait_loadcnt 0x0
	v_dual_sub_f32 v1, v216, v2 :: v_dual_sub_f32 v2, v217, v3
	scratch_store_b64 off, v[1:2], off offset:120
	v_cmpx_lt_u32_e32 14, v0
	s_cbranch_execz .LBB109_261
; %bb.260:
	scratch_load_b64 v[1:2], off, off offset:112
	v_mov_b32_e32 v3, 0
	s_delay_alu instid0(VALU_DEP_1)
	v_mov_b32_e32 v4, v3
	scratch_store_b64 off, v[3:4], off offset:112
	s_wait_loadcnt 0x0
	ds_store_b64 v23, v[1:2]
.LBB109_261:
	s_wait_alu 0xfffe
	s_or_b32 exec_lo, exec_lo, s0
	s_wait_storecnt_dscnt 0x0
	s_barrier_signal -1
	s_barrier_wait -1
	global_inv scope:SCOPE_SE
	s_clause 0x10
	scratch_load_b128 v[1:4], off, off offset:120
	scratch_load_b128 v[5:8], off, off offset:136
	;; [unrolled: 1-line block ×15, first 2 shown]
	scratch_load_b64 v[216:217], off, off offset:360
	scratch_load_b64 v[218:219], off, off offset:112
	v_mov_b32_e32 v21, 0
	ds_load_2addr_b64 v[156:159], v21 offset0:61 offset1:62
	ds_load_2addr_b64 v[160:163], v21 offset0:63 offset1:64
	;; [unrolled: 1-line block ×15, first 2 shown]
	ds_load_b64 v[220:221], v21 offset:728
	s_mov_b32 s0, exec_lo
	s_wait_loadcnt_dscnt 0x100f
	v_mul_f32_e32 v22, v156, v2
	v_mul_f32_e32 v2, v157, v2
	s_wait_loadcnt_dscnt 0xf0e
	v_dual_mul_f32 v222, v158, v4 :: v_dual_mul_f32 v223, v160, v6
	v_mul_f32_e32 v4, v159, v4
	s_wait_loadcnt_dscnt 0xe0d
	v_dual_mul_f32 v224, v162, v8 :: v_dual_mul_f32 v225, v164, v10
	s_delay_alu instid0(VALU_DEP_3)
	v_fmac_f32_e32 v222, v159, v3
	v_fmac_f32_e32 v22, v157, v1
	;; [unrolled: 1-line block ×3, first 2 shown]
	v_fma_f32 v3, v158, v3, -v4
	v_dual_fmac_f32 v225, v165, v9 :: v_dual_mul_f32 v226, v166, v12
	s_wait_loadcnt_dscnt 0x201
	v_dual_mul_f32 v227, v168, v14 :: v_dual_mul_f32 v250, v214, v155
	s_wait_loadcnt_dscnt 0x100
	v_mul_f32_e32 v251, v220, v217
	v_fma_f32 v2, v156, v1, -v2
	v_mul_f32_e32 v1, v161, v6
	v_add_f32_e32 v4, 0, v22
	v_fmac_f32_e32 v226, v167, v11
	v_dual_mul_f32 v228, v170, v16 :: v_dual_mul_f32 v229, v172, v18
	v_add_f32_e32 v2, 0, v2
	v_fma_f32 v1, v160, v5, -v1
	v_dual_mul_f32 v230, v174, v20 :: v_dual_mul_f32 v231, v176, v25
	s_delay_alu instid0(VALU_DEP_4) | instskip(NEXT) | instid1(VALU_DEP_4)
	v_fmac_f32_e32 v228, v171, v15
	v_add_f32_e32 v2, v2, v3
	v_dual_mul_f32 v232, v178, v27 :: v_dual_mul_f32 v233, v180, v121
	s_delay_alu instid0(VALU_DEP_4) | instskip(SKIP_1) | instid1(VALU_DEP_4)
	v_fmac_f32_e32 v231, v177, v24
	v_fmac_f32_e32 v227, v169, v13
	v_dual_add_f32 v1, v2, v1 :: v_dual_mul_f32 v6, v163, v8
	v_add_f32_e32 v3, v4, v222
	v_mul_f32_e32 v4, v165, v10
	v_fmac_f32_e32 v230, v175, v19
	v_dual_fmac_f32 v232, v179, v26 :: v_dual_fmac_f32 v233, v181, v120
	v_fma_f32 v5, v162, v7, -v6
	v_add_f32_e32 v2, v3, v223
	v_mul_f32_e32 v3, v167, v12
	v_fma_f32 v4, v164, v9, -v4
	v_dual_mul_f32 v234, v182, v123 :: v_dual_mul_f32 v235, v184, v125
	v_dual_add_f32 v1, v1, v5 :: v_dual_fmac_f32 v224, v163, v7
	v_mul_f32_e32 v5, v169, v14
	v_fma_f32 v3, v166, v11, -v3
	s_delay_alu instid0(VALU_DEP_4) | instskip(NEXT) | instid1(VALU_DEP_4)
	v_dual_fmac_f32 v234, v183, v122 :: v_dual_fmac_f32 v235, v185, v124
	v_add_f32_e32 v1, v1, v4
	v_add_f32_e32 v2, v2, v224
	v_fma_f32 v5, v168, v13, -v5
	v_dual_mul_f32 v236, v186, v127 :: v_dual_mul_f32 v237, v188, v129
	s_delay_alu instid0(VALU_DEP_4) | instskip(SKIP_1) | instid1(VALU_DEP_3)
	v_dual_add_f32 v1, v1, v3 :: v_dual_mul_f32 v4, v171, v16
	v_mul_f32_e32 v3, v173, v18
	v_dual_fmac_f32 v229, v173, v17 :: v_dual_fmac_f32 v236, v187, v126
	s_delay_alu instid0(VALU_DEP_4) | instskip(NEXT) | instid1(VALU_DEP_4)
	v_fmac_f32_e32 v237, v189, v128
	v_add_f32_e32 v1, v1, v5
	v_fma_f32 v4, v170, v15, -v4
	v_dual_add_f32 v2, v2, v225 :: v_dual_mul_f32 v5, v175, v20
	v_fma_f32 v3, v172, v17, -v3
	v_dual_mul_f32 v238, v190, v131 :: v_dual_mul_f32 v239, v192, v133
	s_delay_alu instid0(VALU_DEP_3) | instskip(NEXT) | instid1(VALU_DEP_4)
	v_dual_add_f32 v1, v1, v4 :: v_dual_add_f32 v2, v2, v226
	v_fma_f32 v5, v174, v19, -v5
	v_mul_f32_e32 v4, v177, v25
	v_dual_mul_f32 v240, v194, v135 :: v_dual_mul_f32 v241, v196, v137
	s_delay_alu instid0(VALU_DEP_4) | instskip(SKIP_4) | instid1(VALU_DEP_4)
	v_add_f32_e32 v1, v1, v3
	v_add_f32_e32 v2, v2, v227
	v_mul_f32_e32 v3, v179, v27
	v_fma_f32 v4, v176, v24, -v4
	v_dual_mul_f32 v242, v198, v139 :: v_dual_mul_f32 v243, v200, v141
	v_dual_add_f32 v1, v1, v5 :: v_dual_add_f32 v2, v2, v228
	v_mul_f32_e32 v5, v181, v121
	v_fma_f32 v3, v178, v26, -v3
	v_dual_mul_f32 v244, v202, v143 :: v_dual_mul_f32 v245, v204, v145
	s_delay_alu instid0(VALU_DEP_4) | instskip(NEXT) | instid1(VALU_DEP_4)
	v_dual_add_f32 v2, v2, v229 :: v_dual_add_f32 v1, v1, v4
	v_fma_f32 v5, v180, v120, -v5
	v_dual_mul_f32 v246, v206, v147 :: v_dual_mul_f32 v247, v208, v149
	s_delay_alu instid0(VALU_DEP_3) | instskip(SKIP_1) | instid1(VALU_DEP_3)
	v_dual_add_f32 v2, v2, v230 :: v_dual_fmac_f32 v245, v205, v144
	v_dual_mul_f32 v248, v210, v151 :: v_dual_mul_f32 v249, v212, v153
	v_fmac_f32_e32 v246, v207, v146
	s_delay_alu instid0(VALU_DEP_3) | instskip(SKIP_3) | instid1(VALU_DEP_4)
	v_add_f32_e32 v2, v2, v231
	v_add_f32_e32 v1, v1, v3
	v_mul_f32_e32 v3, v185, v125
	v_dual_fmac_f32 v247, v209, v148 :: v_dual_fmac_f32 v250, v215, v154
	v_add_f32_e32 v2, v2, v232
	s_delay_alu instid0(VALU_DEP_4) | instskip(SKIP_3) | instid1(VALU_DEP_4)
	v_dual_mul_f32 v4, v183, v123 :: v_dual_add_f32 v1, v1, v5
	v_mul_f32_e32 v5, v187, v127
	v_fma_f32 v3, v184, v124, -v3
	v_fmac_f32_e32 v249, v213, v152
	v_fma_f32 v4, v182, v122, -v4
	v_add_f32_e32 v2, v2, v233
	v_fma_f32 v5, v186, v126, -v5
	v_fmac_f32_e32 v239, v193, v132
	v_fmac_f32_e32 v241, v197, v136
	s_delay_alu instid0(VALU_DEP_4) | instskip(SKIP_2) | instid1(VALU_DEP_3)
	v_dual_add_f32 v1, v1, v4 :: v_dual_add_f32 v2, v2, v234
	v_mul_f32_e32 v4, v189, v129
	v_fmac_f32_e32 v242, v199, v138
	v_dual_fmac_f32 v244, v203, v142 :: v_dual_add_f32 v1, v1, v3
	s_delay_alu instid0(VALU_DEP_4) | instskip(SKIP_2) | instid1(VALU_DEP_4)
	v_add_f32_e32 v2, v2, v235
	v_mul_f32_e32 v3, v191, v131
	v_fma_f32 v4, v188, v128, -v4
	v_dual_fmac_f32 v248, v211, v150 :: v_dual_add_f32 v1, v1, v5
	s_delay_alu instid0(VALU_DEP_4) | instskip(SKIP_2) | instid1(VALU_DEP_3)
	v_dual_add_f32 v2, v2, v236 :: v_dual_mul_f32 v5, v193, v133
	v_fmac_f32_e32 v238, v191, v130
	v_fma_f32 v3, v190, v130, -v3
	v_dual_add_f32 v1, v1, v4 :: v_dual_add_f32 v2, v2, v237
	v_mul_f32_e32 v4, v195, v135
	v_fma_f32 v5, v192, v132, -v5
	v_fmac_f32_e32 v251, v221, v216
	s_delay_alu instid0(VALU_DEP_4) | instskip(SKIP_2) | instid1(VALU_DEP_3)
	v_dual_add_f32 v1, v1, v3 :: v_dual_add_f32 v2, v2, v238
	v_dual_mul_f32 v3, v197, v137 :: v_dual_fmac_f32 v240, v195, v134
	v_fma_f32 v4, v194, v134, -v4
	v_dual_add_f32 v1, v1, v5 :: v_dual_add_f32 v2, v2, v239
	v_mul_f32_e32 v5, v199, v139
	s_delay_alu instid0(VALU_DEP_4) | instskip(NEXT) | instid1(VALU_DEP_3)
	v_fma_f32 v3, v196, v136, -v3
	v_add_f32_e32 v1, v1, v4
	s_delay_alu instid0(VALU_DEP_4) | instskip(SKIP_2) | instid1(VALU_DEP_3)
	v_add_f32_e32 v2, v2, v240
	v_mul_f32_e32 v4, v201, v141
	v_fma_f32 v5, v198, v138, -v5
	v_dual_add_f32 v1, v1, v3 :: v_dual_add_f32 v2, v2, v241
	v_mul_f32_e32 v3, v203, v143
	v_fmac_f32_e32 v243, v201, v140
	v_fma_f32 v4, v200, v140, -v4
	s_delay_alu instid0(VALU_DEP_4) | instskip(SKIP_2) | instid1(VALU_DEP_3)
	v_dual_add_f32 v1, v1, v5 :: v_dual_add_f32 v2, v2, v242
	v_mul_f32_e32 v5, v205, v145
	v_fma_f32 v3, v202, v142, -v3
	v_dual_add_f32 v1, v1, v4 :: v_dual_mul_f32 v4, v207, v147
	s_delay_alu instid0(VALU_DEP_4) | instskip(NEXT) | instid1(VALU_DEP_4)
	v_add_f32_e32 v2, v2, v243
	v_fma_f32 v5, v204, v144, -v5
	s_delay_alu instid0(VALU_DEP_3) | instskip(NEXT) | instid1(VALU_DEP_4)
	v_add_f32_e32 v1, v1, v3
	v_fma_f32 v4, v206, v146, -v4
	s_delay_alu instid0(VALU_DEP_2) | instskip(NEXT) | instid1(VALU_DEP_1)
	v_dual_add_f32 v2, v2, v244 :: v_dual_add_f32 v1, v1, v5
	v_dual_mul_f32 v5, v211, v151 :: v_dual_add_f32 v2, v2, v245
	v_mul_f32_e32 v3, v209, v149
	s_delay_alu instid0(VALU_DEP_2) | instskip(NEXT) | instid1(VALU_DEP_3)
	v_fma_f32 v5, v210, v150, -v5
	v_add_f32_e32 v2, v2, v246
	s_delay_alu instid0(VALU_DEP_3) | instskip(SKIP_2) | instid1(VALU_DEP_4)
	v_fma_f32 v3, v208, v148, -v3
	v_add_f32_e32 v1, v1, v4
	v_mul_f32_e32 v4, v213, v153
	v_add_f32_e32 v2, v2, v247
	s_delay_alu instid0(VALU_DEP_3) | instskip(SKIP_1) | instid1(VALU_DEP_4)
	v_add_f32_e32 v1, v1, v3
	v_mul_f32_e32 v3, v215, v155
	v_fma_f32 v4, v212, v152, -v4
	s_delay_alu instid0(VALU_DEP_4) | instskip(NEXT) | instid1(VALU_DEP_3)
	v_add_f32_e32 v2, v2, v248
	v_fma_f32 v3, v214, v154, -v3
	s_delay_alu instid0(VALU_DEP_2) | instskip(NEXT) | instid1(VALU_DEP_1)
	v_add_f32_e32 v2, v2, v249
	v_dual_add_f32 v2, v2, v250 :: v_dual_add_f32 v1, v1, v5
	s_delay_alu instid0(VALU_DEP_1) | instskip(SKIP_1) | instid1(VALU_DEP_1)
	v_dual_add_f32 v2, v2, v251 :: v_dual_mul_f32 v5, v221, v217
	s_wait_loadcnt 0x0
	v_dual_add_f32 v1, v1, v4 :: v_dual_sub_f32 v2, v219, v2
	s_delay_alu instid0(VALU_DEP_2) | instskip(NEXT) | instid1(VALU_DEP_2)
	v_fma_f32 v4, v220, v216, -v5
	v_add_f32_e32 v1, v1, v3
	s_delay_alu instid0(VALU_DEP_1) | instskip(NEXT) | instid1(VALU_DEP_1)
	v_add_f32_e32 v1, v1, v4
	v_sub_f32_e32 v1, v218, v1
	scratch_store_b64 off, v[1:2], off offset:112
	v_cmpx_lt_u32_e32 13, v0
	s_cbranch_execz .LBB109_263
; %bb.262:
	scratch_load_b64 v[1:2], off, off offset:104
	v_mov_b32_e32 v22, v21
	scratch_store_b64 off, v[21:22], off offset:104
	s_wait_loadcnt 0x0
	ds_store_b64 v23, v[1:2]
.LBB109_263:
	s_wait_alu 0xfffe
	s_or_b32 exec_lo, exec_lo, s0
	s_wait_storecnt_dscnt 0x0
	s_barrier_signal -1
	s_barrier_wait -1
	global_inv scope:SCOPE_SE
	s_clause 0x4
	scratch_load_b128 v[5:8], off, off offset:112
	scratch_load_b128 v[1:4], off, off offset:128
	;; [unrolled: 1-line block ×5, first 2 shown]
	ds_load_b128 v[24:27], v21 offset:480
	ds_load_b128 v[120:123], v21 offset:496
	;; [unrolled: 1-line block ×3, first 2 shown]
	scratch_load_b64 v[128:129], off, off offset:104
	s_mov_b32 s0, exec_lo
	s_wait_loadcnt_dscnt 0x502
	v_dual_mul_f32 v22, v25, v6 :: v_dual_mul_f32 v131, v26, v8
	v_mul_f32_e32 v130, v24, v6
	v_mul_f32_e32 v6, v27, v8
	s_wait_loadcnt_dscnt 0x300
	v_mul_f32_e32 v132, v126, v12
	v_fma_f32 v22, v24, v5, -v22
	v_dual_fmac_f32 v131, v27, v7 :: v_dual_fmac_f32 v130, v25, v5
	v_mul_f32_e32 v27, v124, v10
	v_mul_f32_e32 v25, v120, v2
	v_fma_f32 v24, v26, v7, -v6
	ds_load_b128 v[5:8], v21 offset:528
	v_mul_f32_e32 v26, v122, v4
	v_dual_mul_f32 v4, v123, v4 :: v_dual_fmac_f32 v27, v125, v9
	v_mul_f32_e32 v10, v125, v10
	v_mul_f32_e32 v12, v127, v12
	;; [unrolled: 1-line block ×3, first 2 shown]
	v_dual_fmac_f32 v25, v121, v1 :: v_dual_fmac_f32 v26, v123, v3
	v_fma_f32 v121, v122, v3, -v4
	v_fma_f32 v122, v124, v9, -v10
	v_fmac_f32_e32 v132, v127, v11
	v_fma_f32 v123, v126, v11, -v12
	ds_load_b128 v[9:12], v21 offset:544
	s_wait_loadcnt_dscnt 0x201
	v_mul_f32_e32 v125, v7, v16
	v_fma_f32 v120, v120, v1, -v2
	scratch_load_b128 v[1:4], off, off offset:192
	v_mul_f32_e32 v124, v5, v14
	v_mul_f32_e32 v14, v6, v14
	;; [unrolled: 1-line block ×3, first 2 shown]
	s_delay_alu instid0(VALU_DEP_3) | instskip(NEXT) | instid1(VALU_DEP_3)
	v_dual_fmac_f32 v125, v8, v15 :: v_dual_fmac_f32 v124, v6, v13
	v_fma_f32 v13, v5, v13, -v14
	s_delay_alu instid0(VALU_DEP_3)
	v_fma_f32 v14, v7, v15, -v16
	ds_load_b128 v[5:8], v21 offset:560
	s_wait_loadcnt_dscnt 0x201
	v_mul_f32_e32 v15, v9, v18
	v_mul_f32_e32 v16, v10, v18
	;; [unrolled: 1-line block ×3, first 2 shown]
	s_delay_alu instid0(VALU_DEP_3) | instskip(NEXT) | instid1(VALU_DEP_3)
	v_dual_mul_f32 v20, v12, v20 :: v_dual_fmac_f32 v15, v10, v17
	v_fma_f32 v16, v9, v17, -v16
	s_delay_alu instid0(VALU_DEP_3) | instskip(NEXT) | instid1(VALU_DEP_3)
	v_fmac_f32_e32 v18, v12, v19
	v_fma_f32 v17, v11, v19, -v20
	scratch_load_b128 v[9:12], off, off offset:208
	s_wait_loadcnt_dscnt 0x100
	v_mul_f32_e32 v19, v5, v2
	v_mul_f32_e32 v2, v6, v2
	;; [unrolled: 1-line block ×3, first 2 shown]
	s_delay_alu instid0(VALU_DEP_3) | instskip(NEXT) | instid1(VALU_DEP_3)
	v_dual_mul_f32 v4, v8, v4 :: v_dual_fmac_f32 v19, v6, v1
	v_fma_f32 v126, v5, v1, -v2
	s_delay_alu instid0(VALU_DEP_3) | instskip(NEXT) | instid1(VALU_DEP_3)
	v_fmac_f32_e32 v20, v8, v3
	v_fma_f32 v127, v7, v3, -v4
	ds_load_b128 v[1:4], v21 offset:576
	ds_load_b128 v[5:8], v21 offset:592
	s_wait_loadcnt_dscnt 0x1
	v_mul_f32_e32 v133, v1, v10
	v_mul_f32_e32 v10, v2, v10
	s_delay_alu instid0(VALU_DEP_2) | instskip(NEXT) | instid1(VALU_DEP_2)
	v_dual_mul_f32 v134, v3, v12 :: v_dual_fmac_f32 v133, v2, v9
	v_fma_f32 v135, v1, v9, -v10
	v_mul_f32_e32 v1, v4, v12
	s_delay_alu instid0(VALU_DEP_3) | instskip(NEXT) | instid1(VALU_DEP_2)
	v_fmac_f32_e32 v134, v4, v11
	v_fma_f32 v136, v3, v11, -v1
	s_clause 0x1
	scratch_load_b128 v[1:4], off, off offset:224
	scratch_load_b128 v[9:12], off, off offset:240
	s_wait_loadcnt_dscnt 0x100
	v_mul_f32_e32 v137, v5, v2
	v_dual_mul_f32 v2, v6, v2 :: v_dual_mul_f32 v139, v7, v4
	s_delay_alu instid0(VALU_DEP_2) | instskip(NEXT) | instid1(VALU_DEP_2)
	v_fmac_f32_e32 v137, v6, v1
	v_fma_f32 v138, v5, v1, -v2
	v_mul_f32_e32 v1, v8, v4
	s_delay_alu instid0(VALU_DEP_4) | instskip(NEXT) | instid1(VALU_DEP_2)
	v_fmac_f32_e32 v139, v8, v3
	v_fma_f32 v140, v7, v3, -v1
	ds_load_b128 v[1:4], v21 offset:608
	ds_load_b128 v[5:8], v21 offset:624
	s_wait_loadcnt_dscnt 0x1
	v_mul_f32_e32 v141, v1, v10
	v_mul_f32_e32 v143, v3, v12
	s_delay_alu instid0(VALU_DEP_2) | instskip(NEXT) | instid1(VALU_DEP_2)
	v_fmac_f32_e32 v141, v2, v9
	v_dual_mul_f32 v2, v2, v10 :: v_dual_fmac_f32 v143, v4, v11
	s_delay_alu instid0(VALU_DEP_1) | instskip(SKIP_1) | instid1(VALU_DEP_1)
	v_fma_f32 v142, v1, v9, -v2
	v_mul_f32_e32 v1, v4, v12
	v_fma_f32 v144, v3, v11, -v1
	s_clause 0x1
	scratch_load_b128 v[1:4], off, off offset:256
	scratch_load_b128 v[9:12], off, off offset:272
	s_wait_loadcnt_dscnt 0x100
	v_mul_f32_e32 v145, v5, v2
	v_dual_mul_f32 v2, v6, v2 :: v_dual_mul_f32 v147, v7, v4
	s_delay_alu instid0(VALU_DEP_2) | instskip(NEXT) | instid1(VALU_DEP_2)
	v_fmac_f32_e32 v145, v6, v1
	v_fma_f32 v146, v5, v1, -v2
	v_mul_f32_e32 v1, v8, v4
	s_delay_alu instid0(VALU_DEP_4) | instskip(NEXT) | instid1(VALU_DEP_2)
	v_fmac_f32_e32 v147, v8, v3
	v_fma_f32 v148, v7, v3, -v1
	ds_load_b128 v[1:4], v21 offset:640
	ds_load_b128 v[5:8], v21 offset:656
	s_wait_loadcnt_dscnt 0x1
	v_mul_f32_e32 v149, v1, v10
	v_mul_f32_e32 v151, v3, v12
	s_delay_alu instid0(VALU_DEP_2) | instskip(NEXT) | instid1(VALU_DEP_2)
	v_fmac_f32_e32 v149, v2, v9
	v_dual_mul_f32 v2, v2, v10 :: v_dual_fmac_f32 v151, v4, v11
	s_delay_alu instid0(VALU_DEP_1) | instskip(SKIP_1) | instid1(VALU_DEP_1)
	v_fma_f32 v150, v1, v9, -v2
	v_mul_f32_e32 v1, v4, v12
	v_fma_f32 v152, v3, v11, -v1
	s_clause 0x1
	scratch_load_b128 v[1:4], off, off offset:288
	scratch_load_b128 v[9:12], off, off offset:304
	s_wait_loadcnt_dscnt 0x100
	v_mul_f32_e32 v153, v5, v2
	v_mul_f32_e32 v2, v6, v2
	s_delay_alu instid0(VALU_DEP_1) | instskip(SKIP_1) | instid1(VALU_DEP_1)
	v_fma_f32 v154, v5, v1, -v2
	v_add_f32_e32 v2, 0, v130
	v_add_f32_e32 v2, v2, v131
	s_delay_alu instid0(VALU_DEP_1) | instskip(NEXT) | instid1(VALU_DEP_1)
	v_dual_add_f32 v2, v2, v25 :: v_dual_mul_f32 v155, v7, v4
	v_add_f32_e32 v2, v2, v26
	s_delay_alu instid0(VALU_DEP_1) | instskip(NEXT) | instid1(VALU_DEP_1)
	v_add_f32_e32 v2, v2, v27
	v_dual_fmac_f32 v155, v8, v3 :: v_dual_add_f32 v2, v2, v132
	s_delay_alu instid0(VALU_DEP_1) | instskip(NEXT) | instid1(VALU_DEP_1)
	v_add_f32_e32 v2, v2, v124
	v_add_f32_e32 v2, v2, v125
	s_delay_alu instid0(VALU_DEP_1) | instskip(NEXT) | instid1(VALU_DEP_1)
	v_add_f32_e32 v5, v2, v15
	v_add_f32_e32 v5, v5, v18
	s_delay_alu instid0(VALU_DEP_1) | instskip(SKIP_2) | instid1(VALU_DEP_1)
	v_add_f32_e32 v5, v5, v19
	v_fmac_f32_e32 v153, v6, v1
	v_mul_f32_e32 v1, v8, v4
	v_fma_f32 v156, v7, v3, -v1
	v_add_f32_e32 v1, 0, v22
	s_delay_alu instid0(VALU_DEP_1) | instskip(NEXT) | instid1(VALU_DEP_1)
	v_add_f32_e32 v1, v1, v24
	v_add_f32_e32 v1, v1, v120
	s_delay_alu instid0(VALU_DEP_1) | instskip(NEXT) | instid1(VALU_DEP_1)
	v_add_f32_e32 v1, v1, v121
	;; [unrolled: 3-line block ×4, first 2 shown]
	v_add_f32_e32 v1, v1, v16
	s_delay_alu instid0(VALU_DEP_1) | instskip(SKIP_2) | instid1(VALU_DEP_1)
	v_add_f32_e32 v6, v1, v17
	ds_load_b128 v[1:4], v21 offset:672
	v_add_f32_e32 v6, v6, v126
	v_add_f32_e32 v13, v6, v127
	s_delay_alu instid0(VALU_DEP_1) | instskip(NEXT) | instid1(VALU_DEP_1)
	v_add_f32_e32 v13, v13, v135
	v_add_f32_e32 v13, v13, v136
	s_delay_alu instid0(VALU_DEP_1) | instskip(NEXT) | instid1(VALU_DEP_1)
	v_add_f32_e32 v13, v13, v138
	v_add_f32_e32 v18, v13, v140
	s_delay_alu instid0(VALU_DEP_1)
	v_add_f32_e32 v18, v18, v142
	v_add_f32_e32 v14, v5, v20
	ds_load_b128 v[5:8], v21 offset:688
	s_wait_loadcnt_dscnt 0x1
	v_mul_f32_e32 v22, v1, v10
	v_mul_f32_e32 v120, v3, v12
	;; [unrolled: 1-line block ×4, first 2 shown]
	v_add_f32_e32 v14, v14, v133
	v_fmac_f32_e32 v22, v2, v9
	v_fmac_f32_e32 v120, v4, v11
	v_fma_f32 v121, v1, v9, -v10
	v_fma_f32 v122, v3, v11, -v12
	s_clause 0x1
	scratch_load_b128 v[1:4], off, off offset:320
	scratch_load_b128 v[9:12], off, off offset:336
	v_add_f32_e32 v14, v14, v134
	v_add_f32_e32 v18, v18, v144
	s_delay_alu instid0(VALU_DEP_2) | instskip(SKIP_2) | instid1(VALU_DEP_1)
	v_add_f32_e32 v17, v14, v137
	scratch_load_b128 v[13:16], off, off offset:352
	v_dual_add_f32 v24, v18, v146 :: v_dual_add_f32 v17, v17, v139
	v_add_f32_e32 v123, v24, v148
	s_delay_alu instid0(VALU_DEP_2) | instskip(NEXT) | instid1(VALU_DEP_1)
	v_add_f32_e32 v17, v17, v141
	v_add_f32_e32 v17, v17, v143
	s_delay_alu instid0(VALU_DEP_1)
	v_add_f32_e32 v25, v17, v145
	ds_load_b128 v[17:20], v21 offset:704
	v_add_f32_e32 v124, v25, v147
	ds_load_b128 v[24:27], v21 offset:720
	v_add_f32_e32 v21, v123, v150
	s_wait_loadcnt_dscnt 0x202
	v_dual_add_f32 v123, v124, v149 :: v_dual_mul_f32 v124, v5, v2
	s_wait_loadcnt_dscnt 0x101
	v_mul_f32_e32 v126, v17, v10
	v_dual_add_f32 v21, v21, v152 :: v_dual_mul_f32 v2, v6, v2
	s_delay_alu instid0(VALU_DEP_3) | instskip(NEXT) | instid1(VALU_DEP_2)
	v_dual_fmac_f32 v124, v6, v1 :: v_dual_add_f32 v123, v123, v151
	v_dual_fmac_f32 v126, v18, v9 :: v_dual_add_f32 v21, v21, v154
	s_wait_loadcnt_dscnt 0x0
	v_dual_mul_f32 v130, v24, v14 :: v_dual_mul_f32 v125, v7, v4
	s_delay_alu instid0(VALU_DEP_3) | instskip(SKIP_1) | instid1(VALU_DEP_3)
	v_dual_add_f32 v123, v123, v153 :: v_dual_mul_f32 v4, v8, v4
	v_fma_f32 v2, v5, v1, -v2
	v_dual_fmac_f32 v130, v25, v13 :: v_dual_fmac_f32 v125, v8, v3
	s_delay_alu instid0(VALU_DEP_3) | instskip(NEXT) | instid1(VALU_DEP_4)
	v_add_f32_e32 v123, v123, v155
	v_fma_f32 v3, v7, v3, -v4
	v_mul_f32_e32 v4, v20, v12
	v_dual_add_f32 v21, v21, v156 :: v_dual_mul_f32 v6, v18, v10
	s_delay_alu instid0(VALU_DEP_4) | instskip(NEXT) | instid1(VALU_DEP_3)
	v_add_f32_e32 v22, v123, v22
	v_fma_f32 v4, v19, v11, -v4
	s_delay_alu instid0(VALU_DEP_3) | instskip(SKIP_1) | instid1(VALU_DEP_4)
	v_add_f32_e32 v21, v21, v121
	v_mul_f32_e32 v121, v26, v16
	v_add_f32_e32 v5, v22, v120
	s_delay_alu instid0(VALU_DEP_2) | instskip(NEXT) | instid1(VALU_DEP_4)
	v_fmac_f32_e32 v121, v27, v15
	v_add_f32_e32 v1, v21, v122
	s_delay_alu instid0(VALU_DEP_1) | instskip(NEXT) | instid1(VALU_DEP_4)
	v_add_f32_e32 v1, v1, v2
	v_add_f32_e32 v2, v5, v124
	v_mul_f32_e32 v127, v19, v12
	v_fma_f32 v5, v17, v9, -v6
	s_delay_alu instid0(VALU_DEP_3) | instskip(SKIP_1) | instid1(VALU_DEP_4)
	v_dual_add_f32 v1, v1, v3 :: v_dual_add_f32 v2, v2, v125
	v_mul_f32_e32 v3, v25, v14
	v_fmac_f32_e32 v127, v20, v11
	s_delay_alu instid0(VALU_DEP_3) | instskip(SKIP_1) | instid1(VALU_DEP_4)
	v_dual_add_f32 v1, v1, v5 :: v_dual_add_f32 v2, v2, v126
	v_mul_f32_e32 v5, v27, v16
	v_fma_f32 v3, v24, v13, -v3
	s_delay_alu instid0(VALU_DEP_3) | instskip(NEXT) | instid1(VALU_DEP_3)
	v_dual_add_f32 v1, v1, v4 :: v_dual_add_f32 v2, v2, v127
	v_fma_f32 v4, v26, v15, -v5
	s_delay_alu instid0(VALU_DEP_2) | instskip(NEXT) | instid1(VALU_DEP_1)
	v_dual_add_f32 v1, v1, v3 :: v_dual_add_f32 v2, v2, v130
	v_dual_add_f32 v1, v1, v4 :: v_dual_add_f32 v2, v2, v121
	s_delay_alu instid0(VALU_DEP_1)
	v_dual_sub_f32 v1, v128, v1 :: v_dual_sub_f32 v2, v129, v2
	scratch_store_b64 off, v[1:2], off offset:104
	v_cmpx_lt_u32_e32 12, v0
	s_cbranch_execz .LBB109_265
; %bb.264:
	scratch_load_b64 v[1:2], off, off offset:96
	v_mov_b32_e32 v3, 0
	s_delay_alu instid0(VALU_DEP_1)
	v_mov_b32_e32 v4, v3
	scratch_store_b64 off, v[3:4], off offset:96
	s_wait_loadcnt 0x0
	ds_store_b64 v23, v[1:2]
.LBB109_265:
	s_wait_alu 0xfffe
	s_or_b32 exec_lo, exec_lo, s0
	s_wait_storecnt_dscnt 0x0
	s_barrier_signal -1
	s_barrier_wait -1
	global_inv scope:SCOPE_SE
	s_clause 0x4
	scratch_load_b128 v[5:8], off, off offset:104
	scratch_load_b128 v[1:4], off, off offset:120
	;; [unrolled: 1-line block ×5, first 2 shown]
	v_mov_b32_e32 v21, 0
	ds_load_2addr_b64 v[24:27], v21 offset0:59 offset1:60
	ds_load_2addr_b64 v[120:123], v21 offset0:61 offset1:62
	;; [unrolled: 1-line block ×3, first 2 shown]
	scratch_load_b64 v[128:129], off, off offset:96
	s_mov_b32 s0, exec_lo
	s_wait_loadcnt_dscnt 0x502
	v_mul_f32_e32 v22, v25, v6
	v_dual_mul_f32 v130, v24, v6 :: v_dual_mul_f32 v131, v26, v8
	v_mul_f32_e32 v6, v27, v8
	s_delay_alu instid0(VALU_DEP_3) | instskip(NEXT) | instid1(VALU_DEP_3)
	v_fma_f32 v22, v24, v5, -v22
	v_dual_fmac_f32 v130, v25, v5 :: v_dual_fmac_f32 v131, v27, v7
	s_wait_loadcnt_dscnt 0x401
	v_mul_f32_e32 v25, v120, v2
	v_fma_f32 v24, v26, v7, -v6
	ds_load_2addr_b64 v[5:8], v21 offset0:65 offset1:66
	s_wait_loadcnt_dscnt 0x301
	v_dual_mul_f32 v26, v122, v4 :: v_dual_mul_f32 v27, v124, v10
	v_dual_mul_f32 v4, v123, v4 :: v_dual_fmac_f32 v25, v121, v1
	v_mul_f32_e32 v10, v125, v10
	s_delay_alu instid0(VALU_DEP_3)
	v_dual_mul_f32 v132, v126, v12 :: v_dual_fmac_f32 v27, v125, v9
	v_mul_f32_e32 v12, v127, v12
	v_mul_f32_e32 v2, v121, v2
	v_fmac_f32_e32 v26, v123, v3
	v_fma_f32 v121, v122, v3, -v4
	v_fma_f32 v122, v124, v9, -v10
	v_fmac_f32_e32 v132, v127, v11
	v_fma_f32 v123, v126, v11, -v12
	ds_load_2addr_b64 v[9:12], v21 offset0:67 offset1:68
	s_wait_loadcnt_dscnt 0x201
	v_mul_f32_e32 v125, v7, v16
	v_fma_f32 v120, v120, v1, -v2
	scratch_load_b128 v[1:4], off, off offset:184
	v_mul_f32_e32 v124, v5, v14
	v_mul_f32_e32 v14, v6, v14
	;; [unrolled: 1-line block ×3, first 2 shown]
	s_delay_alu instid0(VALU_DEP_3) | instskip(NEXT) | instid1(VALU_DEP_3)
	v_dual_fmac_f32 v125, v8, v15 :: v_dual_fmac_f32 v124, v6, v13
	v_fma_f32 v13, v5, v13, -v14
	s_delay_alu instid0(VALU_DEP_3)
	v_fma_f32 v14, v7, v15, -v16
	ds_load_2addr_b64 v[5:8], v21 offset0:69 offset1:70
	s_wait_loadcnt_dscnt 0x201
	v_mul_f32_e32 v15, v9, v18
	v_mul_f32_e32 v16, v10, v18
	;; [unrolled: 1-line block ×3, first 2 shown]
	s_delay_alu instid0(VALU_DEP_3) | instskip(NEXT) | instid1(VALU_DEP_3)
	v_dual_mul_f32 v20, v12, v20 :: v_dual_fmac_f32 v15, v10, v17
	v_fma_f32 v16, v9, v17, -v16
	s_delay_alu instid0(VALU_DEP_3) | instskip(NEXT) | instid1(VALU_DEP_3)
	v_fmac_f32_e32 v18, v12, v19
	v_fma_f32 v17, v11, v19, -v20
	scratch_load_b128 v[9:12], off, off offset:200
	s_wait_loadcnt_dscnt 0x100
	v_mul_f32_e32 v19, v5, v2
	v_mul_f32_e32 v2, v6, v2
	;; [unrolled: 1-line block ×3, first 2 shown]
	s_delay_alu instid0(VALU_DEP_3) | instskip(NEXT) | instid1(VALU_DEP_3)
	v_dual_mul_f32 v4, v8, v4 :: v_dual_fmac_f32 v19, v6, v1
	v_fma_f32 v126, v5, v1, -v2
	s_delay_alu instid0(VALU_DEP_3) | instskip(NEXT) | instid1(VALU_DEP_3)
	v_fmac_f32_e32 v20, v8, v3
	v_fma_f32 v127, v7, v3, -v4
	ds_load_2addr_b64 v[1:4], v21 offset0:71 offset1:72
	ds_load_2addr_b64 v[5:8], v21 offset0:73 offset1:74
	s_wait_loadcnt_dscnt 0x1
	v_mul_f32_e32 v133, v1, v10
	v_mul_f32_e32 v10, v2, v10
	s_delay_alu instid0(VALU_DEP_2) | instskip(NEXT) | instid1(VALU_DEP_2)
	v_dual_mul_f32 v134, v3, v12 :: v_dual_fmac_f32 v133, v2, v9
	v_fma_f32 v135, v1, v9, -v10
	v_mul_f32_e32 v1, v4, v12
	s_delay_alu instid0(VALU_DEP_3) | instskip(NEXT) | instid1(VALU_DEP_2)
	v_fmac_f32_e32 v134, v4, v11
	v_fma_f32 v136, v3, v11, -v1
	s_clause 0x1
	scratch_load_b128 v[1:4], off, off offset:216
	scratch_load_b128 v[9:12], off, off offset:232
	s_wait_loadcnt_dscnt 0x100
	v_mul_f32_e32 v137, v5, v2
	v_dual_mul_f32 v2, v6, v2 :: v_dual_mul_f32 v139, v7, v4
	s_delay_alu instid0(VALU_DEP_2) | instskip(NEXT) | instid1(VALU_DEP_2)
	v_fmac_f32_e32 v137, v6, v1
	v_fma_f32 v138, v5, v1, -v2
	v_mul_f32_e32 v1, v8, v4
	s_delay_alu instid0(VALU_DEP_4) | instskip(NEXT) | instid1(VALU_DEP_2)
	v_fmac_f32_e32 v139, v8, v3
	v_fma_f32 v140, v7, v3, -v1
	ds_load_2addr_b64 v[1:4], v21 offset0:75 offset1:76
	ds_load_2addr_b64 v[5:8], v21 offset0:77 offset1:78
	s_wait_loadcnt_dscnt 0x1
	v_mul_f32_e32 v141, v1, v10
	v_mul_f32_e32 v143, v3, v12
	s_delay_alu instid0(VALU_DEP_2) | instskip(NEXT) | instid1(VALU_DEP_2)
	v_fmac_f32_e32 v141, v2, v9
	v_dual_mul_f32 v2, v2, v10 :: v_dual_fmac_f32 v143, v4, v11
	s_delay_alu instid0(VALU_DEP_1) | instskip(SKIP_1) | instid1(VALU_DEP_1)
	v_fma_f32 v142, v1, v9, -v2
	v_mul_f32_e32 v1, v4, v12
	v_fma_f32 v144, v3, v11, -v1
	s_clause 0x1
	scratch_load_b128 v[1:4], off, off offset:248
	scratch_load_b128 v[9:12], off, off offset:264
	s_wait_loadcnt_dscnt 0x100
	v_mul_f32_e32 v145, v5, v2
	v_dual_mul_f32 v147, v7, v4 :: v_dual_mul_f32 v2, v6, v2
	s_delay_alu instid0(VALU_DEP_2) | instskip(NEXT) | instid1(VALU_DEP_2)
	v_fmac_f32_e32 v145, v6, v1
	v_fmac_f32_e32 v147, v8, v3
	s_delay_alu instid0(VALU_DEP_3) | instskip(SKIP_1) | instid1(VALU_DEP_1)
	v_fma_f32 v146, v5, v1, -v2
	v_mul_f32_e32 v1, v8, v4
	v_fma_f32 v148, v7, v3, -v1
	ds_load_2addr_b64 v[1:4], v21 offset0:79 offset1:80
	ds_load_2addr_b64 v[5:8], v21 offset0:81 offset1:82
	s_wait_loadcnt_dscnt 0x1
	v_mul_f32_e32 v149, v1, v10
	v_mul_f32_e32 v151, v3, v12
	s_delay_alu instid0(VALU_DEP_2) | instskip(NEXT) | instid1(VALU_DEP_2)
	v_fmac_f32_e32 v149, v2, v9
	v_dual_mul_f32 v2, v2, v10 :: v_dual_fmac_f32 v151, v4, v11
	s_delay_alu instid0(VALU_DEP_1) | instskip(SKIP_1) | instid1(VALU_DEP_1)
	v_fma_f32 v150, v1, v9, -v2
	v_mul_f32_e32 v1, v4, v12
	v_fma_f32 v152, v3, v11, -v1
	s_clause 0x1
	scratch_load_b128 v[1:4], off, off offset:280
	scratch_load_b128 v[9:12], off, off offset:296
	s_wait_loadcnt_dscnt 0x100
	v_mul_f32_e32 v153, v5, v2
	v_mul_f32_e32 v2, v6, v2
	s_delay_alu instid0(VALU_DEP_1) | instskip(SKIP_1) | instid1(VALU_DEP_1)
	v_fma_f32 v154, v5, v1, -v2
	v_add_f32_e32 v2, 0, v130
	v_add_f32_e32 v2, v2, v131
	s_delay_alu instid0(VALU_DEP_1) | instskip(NEXT) | instid1(VALU_DEP_1)
	v_add_f32_e32 v2, v2, v25
	v_add_f32_e32 v2, v2, v26
	s_delay_alu instid0(VALU_DEP_1) | instskip(NEXT) | instid1(VALU_DEP_1)
	;; [unrolled: 3-line block ×3, first 2 shown]
	v_add_f32_e32 v2, v2, v124
	v_dual_mul_f32 v155, v7, v4 :: v_dual_add_f32 v2, v2, v125
	s_delay_alu instid0(VALU_DEP_1) | instskip(NEXT) | instid1(VALU_DEP_1)
	v_add_f32_e32 v5, v2, v15
	v_add_f32_e32 v5, v5, v18
	s_delay_alu instid0(VALU_DEP_1) | instskip(SKIP_2) | instid1(VALU_DEP_1)
	v_add_f32_e32 v5, v5, v19
	v_fmac_f32_e32 v153, v6, v1
	v_mul_f32_e32 v1, v8, v4
	v_fma_f32 v156, v7, v3, -v1
	v_add_f32_e32 v1, 0, v22
	s_delay_alu instid0(VALU_DEP_1) | instskip(NEXT) | instid1(VALU_DEP_1)
	v_add_f32_e32 v1, v1, v24
	v_add_f32_e32 v1, v1, v120
	s_delay_alu instid0(VALU_DEP_1) | instskip(SKIP_2) | instid1(VALU_DEP_1)
	v_add_f32_e32 v1, v1, v121
	scratch_load_b64 v[120:121], off, off offset:360
	v_add_f32_e32 v1, v1, v122
	v_add_f32_e32 v1, v1, v123
	s_delay_alu instid0(VALU_DEP_1) | instskip(NEXT) | instid1(VALU_DEP_1)
	v_add_f32_e32 v1, v1, v13
	v_add_f32_e32 v1, v1, v14
	s_delay_alu instid0(VALU_DEP_1) | instskip(NEXT) | instid1(VALU_DEP_1)
	v_add_f32_e32 v1, v1, v16
	v_dual_fmac_f32 v155, v8, v3 :: v_dual_add_f32 v6, v1, v17
	ds_load_2addr_b64 v[1:4], v21 offset0:83 offset1:84
	v_add_f32_e32 v6, v6, v126
	s_delay_alu instid0(VALU_DEP_1) | instskip(NEXT) | instid1(VALU_DEP_1)
	v_add_f32_e32 v13, v6, v127
	v_add_f32_e32 v13, v13, v135
	s_delay_alu instid0(VALU_DEP_1) | instskip(NEXT) | instid1(VALU_DEP_1)
	v_add_f32_e32 v13, v13, v136
	;; [unrolled: 3-line block ×3, first 2 shown]
	v_add_f32_e32 v18, v18, v142
	v_add_f32_e32 v14, v5, v20
	ds_load_2addr_b64 v[5:8], v21 offset0:85 offset1:86
	s_wait_loadcnt_dscnt 0x101
	v_mul_f32_e32 v22, v1, v10
	v_mul_f32_e32 v10, v2, v10
	;; [unrolled: 1-line block ×4, first 2 shown]
	v_add_f32_e32 v14, v14, v133
	v_fmac_f32_e32 v22, v2, v9
	v_fma_f32 v125, v1, v9, -v10
	v_fmac_f32_e32 v124, v4, v11
	v_fma_f32 v126, v3, v11, -v12
	s_clause 0x1
	scratch_load_b128 v[1:4], off, off offset:312
	scratch_load_b128 v[9:12], off, off offset:328
	v_add_f32_e32 v14, v14, v134
	v_add_f32_e32 v18, v18, v144
	s_delay_alu instid0(VALU_DEP_2) | instskip(SKIP_2) | instid1(VALU_DEP_1)
	v_add_f32_e32 v17, v14, v137
	scratch_load_b128 v[13:16], off, off offset:344
	v_dual_add_f32 v18, v18, v146 :: v_dual_add_f32 v17, v17, v139
	v_dual_add_f32 v18, v18, v148 :: v_dual_add_f32 v17, v17, v141
	s_delay_alu instid0(VALU_DEP_1) | instskip(NEXT) | instid1(VALU_DEP_1)
	v_add_f32_e32 v122, v18, v150
	v_add_f32_e32 v127, v122, v152
	s_wait_loadcnt_dscnt 0x200
	v_mul_f32_e32 v131, v5, v2
	v_dual_mul_f32 v2, v6, v2 :: v_dual_add_f32 v17, v17, v143
	v_mul_f32_e32 v132, v7, v4
	v_mul_f32_e32 v4, v8, v4
	s_delay_alu instid0(VALU_DEP_3) | instskip(NEXT) | instid1(VALU_DEP_3)
	v_fma_f32 v2, v5, v1, -v2
	v_dual_add_f32 v17, v17, v145 :: v_dual_fmac_f32 v132, v8, v3
	s_delay_alu instid0(VALU_DEP_1)
	v_add_f32_e32 v24, v17, v147
	ds_load_2addr_b64 v[17:20], v21 offset0:87 offset1:88
	v_add_f32_e32 v123, v24, v149
	ds_load_2addr_b64 v[24:27], v21 offset0:89 offset1:90
	v_add_f32_e32 v127, v127, v154
	v_add_f32_e32 v130, v123, v151
	ds_load_b64 v[122:123], v21 offset:728
	v_add_f32_e32 v130, v130, v153
	s_delay_alu instid0(VALU_DEP_1) | instskip(SKIP_1) | instid1(VALU_DEP_1)
	v_dual_add_f32 v130, v130, v155 :: v_dual_add_f32 v127, v127, v156
	s_wait_loadcnt_dscnt 0x102
	v_dual_mul_f32 v5, v20, v12 :: v_dual_add_f32 v22, v130, v22
	s_delay_alu instid0(VALU_DEP_2) | instskip(SKIP_1) | instid1(VALU_DEP_2)
	v_add_f32_e32 v125, v127, v125
	v_dual_mul_f32 v130, v19, v12 :: v_dual_mul_f32 v127, v17, v10
	v_dual_add_f32 v22, v22, v124 :: v_dual_add_f32 v125, v125, v126
	v_fmac_f32_e32 v131, v6, v1
	v_fma_f32 v1, v7, v3, -v4
	s_wait_loadcnt_dscnt 0x1
	v_mul_f32_e32 v126, v26, v16
	s_wait_dscnt 0x0
	v_mul_f32_e32 v124, v122, v121
	v_add_f32_e32 v2, v125, v2
	v_dual_mul_f32 v133, v24, v14 :: v_dual_add_f32 v4, v22, v131
	v_mul_f32_e32 v3, v18, v10
	v_dual_fmac_f32 v127, v18, v9 :: v_dual_fmac_f32 v130, v20, v11
	s_delay_alu instid0(VALU_DEP_4) | instskip(NEXT) | instid1(VALU_DEP_4)
	v_dual_add_f32 v1, v2, v1 :: v_dual_fmac_f32 v126, v27, v15
	v_add_f32_e32 v2, v4, v132
	s_delay_alu instid0(VALU_DEP_4)
	v_fma_f32 v3, v17, v9, -v3
	v_mul_f32_e32 v4, v25, v14
	v_fma_f32 v5, v19, v11, -v5
	v_dual_fmac_f32 v133, v25, v13 :: v_dual_fmac_f32 v124, v123, v120
	v_add_f32_e32 v2, v2, v127
	v_add_f32_e32 v1, v1, v3
	v_mul_f32_e32 v3, v27, v16
	v_fma_f32 v4, v24, v13, -v4
	s_delay_alu instid0(VALU_DEP_4) | instskip(NEXT) | instid1(VALU_DEP_3)
	v_add_f32_e32 v2, v2, v130
	v_fma_f32 v3, v26, v15, -v3
	s_delay_alu instid0(VALU_DEP_2) | instskip(NEXT) | instid1(VALU_DEP_1)
	v_add_f32_e32 v2, v2, v133
	v_dual_add_f32 v1, v1, v5 :: v_dual_add_f32 v2, v2, v126
	v_mul_f32_e32 v5, v123, v121
	s_delay_alu instid0(VALU_DEP_2) | instskip(NEXT) | instid1(VALU_DEP_3)
	v_add_f32_e32 v1, v1, v4
	v_add_f32_e32 v2, v2, v124
	s_delay_alu instid0(VALU_DEP_3) | instskip(NEXT) | instid1(VALU_DEP_3)
	v_fma_f32 v4, v122, v120, -v5
	v_add_f32_e32 v1, v1, v3
	s_delay_alu instid0(VALU_DEP_3) | instskip(NEXT) | instid1(VALU_DEP_2)
	v_sub_f32_e32 v2, v129, v2
	v_add_f32_e32 v1, v1, v4
	s_delay_alu instid0(VALU_DEP_1)
	v_sub_f32_e32 v1, v128, v1
	scratch_store_b64 off, v[1:2], off offset:96
	v_cmpx_lt_u32_e32 11, v0
	s_cbranch_execz .LBB109_267
; %bb.266:
	scratch_load_b64 v[1:2], off, off offset:88
	v_mov_b32_e32 v22, v21
	scratch_store_b64 off, v[21:22], off offset:88
	s_wait_loadcnt 0x0
	ds_store_b64 v23, v[1:2]
.LBB109_267:
	s_wait_alu 0xfffe
	s_or_b32 exec_lo, exec_lo, s0
	s_wait_storecnt_dscnt 0x0
	s_barrier_signal -1
	s_barrier_wait -1
	global_inv scope:SCOPE_SE
	s_clause 0x4
	scratch_load_b128 v[5:8], off, off offset:96
	scratch_load_b128 v[1:4], off, off offset:112
	;; [unrolled: 1-line block ×5, first 2 shown]
	ds_load_b128 v[24:27], v21 offset:464
	ds_load_b128 v[120:123], v21 offset:480
	;; [unrolled: 1-line block ×3, first 2 shown]
	scratch_load_b64 v[128:129], off, off offset:88
	s_mov_b32 s0, exec_lo
	s_wait_loadcnt_dscnt 0x502
	v_dual_mul_f32 v22, v25, v6 :: v_dual_mul_f32 v131, v26, v8
	v_mul_f32_e32 v130, v24, v6
	v_mul_f32_e32 v6, v27, v8
	s_wait_loadcnt_dscnt 0x300
	v_mul_f32_e32 v132, v126, v12
	v_fma_f32 v22, v24, v5, -v22
	v_dual_fmac_f32 v131, v27, v7 :: v_dual_fmac_f32 v130, v25, v5
	v_mul_f32_e32 v27, v124, v10
	v_mul_f32_e32 v25, v120, v2
	v_fma_f32 v24, v26, v7, -v6
	ds_load_b128 v[5:8], v21 offset:512
	v_mul_f32_e32 v26, v122, v4
	v_dual_mul_f32 v4, v123, v4 :: v_dual_fmac_f32 v27, v125, v9
	v_mul_f32_e32 v10, v125, v10
	v_mul_f32_e32 v12, v127, v12
	;; [unrolled: 1-line block ×3, first 2 shown]
	v_dual_fmac_f32 v25, v121, v1 :: v_dual_fmac_f32 v26, v123, v3
	v_fma_f32 v121, v122, v3, -v4
	v_fma_f32 v122, v124, v9, -v10
	v_fmac_f32_e32 v132, v127, v11
	v_fma_f32 v123, v126, v11, -v12
	ds_load_b128 v[9:12], v21 offset:528
	s_wait_loadcnt_dscnt 0x201
	v_mul_f32_e32 v125, v7, v16
	v_fma_f32 v120, v120, v1, -v2
	scratch_load_b128 v[1:4], off, off offset:176
	v_mul_f32_e32 v124, v5, v14
	v_mul_f32_e32 v14, v6, v14
	;; [unrolled: 1-line block ×3, first 2 shown]
	s_delay_alu instid0(VALU_DEP_3) | instskip(NEXT) | instid1(VALU_DEP_3)
	v_dual_fmac_f32 v125, v8, v15 :: v_dual_fmac_f32 v124, v6, v13
	v_fma_f32 v13, v5, v13, -v14
	s_delay_alu instid0(VALU_DEP_3)
	v_fma_f32 v14, v7, v15, -v16
	ds_load_b128 v[5:8], v21 offset:544
	s_wait_loadcnt_dscnt 0x201
	v_mul_f32_e32 v15, v9, v18
	v_mul_f32_e32 v16, v10, v18
	;; [unrolled: 1-line block ×3, first 2 shown]
	s_delay_alu instid0(VALU_DEP_3) | instskip(NEXT) | instid1(VALU_DEP_3)
	v_dual_mul_f32 v20, v12, v20 :: v_dual_fmac_f32 v15, v10, v17
	v_fma_f32 v16, v9, v17, -v16
	s_delay_alu instid0(VALU_DEP_3) | instskip(NEXT) | instid1(VALU_DEP_3)
	v_fmac_f32_e32 v18, v12, v19
	v_fma_f32 v17, v11, v19, -v20
	scratch_load_b128 v[9:12], off, off offset:192
	s_wait_loadcnt_dscnt 0x100
	v_mul_f32_e32 v19, v5, v2
	v_mul_f32_e32 v2, v6, v2
	;; [unrolled: 1-line block ×3, first 2 shown]
	s_delay_alu instid0(VALU_DEP_3) | instskip(NEXT) | instid1(VALU_DEP_3)
	v_dual_mul_f32 v4, v8, v4 :: v_dual_fmac_f32 v19, v6, v1
	v_fma_f32 v126, v5, v1, -v2
	s_delay_alu instid0(VALU_DEP_3) | instskip(NEXT) | instid1(VALU_DEP_3)
	v_fmac_f32_e32 v20, v8, v3
	v_fma_f32 v127, v7, v3, -v4
	ds_load_b128 v[1:4], v21 offset:560
	ds_load_b128 v[5:8], v21 offset:576
	s_wait_loadcnt_dscnt 0x1
	v_mul_f32_e32 v133, v1, v10
	v_mul_f32_e32 v10, v2, v10
	s_delay_alu instid0(VALU_DEP_2) | instskip(NEXT) | instid1(VALU_DEP_2)
	v_dual_mul_f32 v134, v3, v12 :: v_dual_fmac_f32 v133, v2, v9
	v_fma_f32 v135, v1, v9, -v10
	v_mul_f32_e32 v1, v4, v12
	s_delay_alu instid0(VALU_DEP_3) | instskip(NEXT) | instid1(VALU_DEP_2)
	v_fmac_f32_e32 v134, v4, v11
	v_fma_f32 v136, v3, v11, -v1
	s_clause 0x1
	scratch_load_b128 v[1:4], off, off offset:208
	scratch_load_b128 v[9:12], off, off offset:224
	s_wait_loadcnt_dscnt 0x100
	v_mul_f32_e32 v137, v5, v2
	v_dual_mul_f32 v2, v6, v2 :: v_dual_mul_f32 v139, v7, v4
	s_delay_alu instid0(VALU_DEP_2) | instskip(NEXT) | instid1(VALU_DEP_2)
	v_fmac_f32_e32 v137, v6, v1
	v_fma_f32 v138, v5, v1, -v2
	v_mul_f32_e32 v1, v8, v4
	s_delay_alu instid0(VALU_DEP_4) | instskip(NEXT) | instid1(VALU_DEP_2)
	v_fmac_f32_e32 v139, v8, v3
	v_fma_f32 v140, v7, v3, -v1
	ds_load_b128 v[1:4], v21 offset:592
	ds_load_b128 v[5:8], v21 offset:608
	s_wait_loadcnt_dscnt 0x1
	v_mul_f32_e32 v141, v1, v10
	v_mul_f32_e32 v143, v3, v12
	s_delay_alu instid0(VALU_DEP_2) | instskip(NEXT) | instid1(VALU_DEP_2)
	v_fmac_f32_e32 v141, v2, v9
	v_dual_mul_f32 v2, v2, v10 :: v_dual_fmac_f32 v143, v4, v11
	s_delay_alu instid0(VALU_DEP_1) | instskip(SKIP_1) | instid1(VALU_DEP_1)
	v_fma_f32 v142, v1, v9, -v2
	v_mul_f32_e32 v1, v4, v12
	v_fma_f32 v144, v3, v11, -v1
	s_clause 0x1
	scratch_load_b128 v[1:4], off, off offset:240
	scratch_load_b128 v[9:12], off, off offset:256
	s_wait_loadcnt_dscnt 0x100
	v_mul_f32_e32 v145, v5, v2
	v_dual_mul_f32 v2, v6, v2 :: v_dual_mul_f32 v147, v7, v4
	s_delay_alu instid0(VALU_DEP_2) | instskip(NEXT) | instid1(VALU_DEP_2)
	v_fmac_f32_e32 v145, v6, v1
	v_fma_f32 v146, v5, v1, -v2
	v_mul_f32_e32 v1, v8, v4
	s_delay_alu instid0(VALU_DEP_4) | instskip(NEXT) | instid1(VALU_DEP_2)
	v_fmac_f32_e32 v147, v8, v3
	v_fma_f32 v148, v7, v3, -v1
	ds_load_b128 v[1:4], v21 offset:624
	ds_load_b128 v[5:8], v21 offset:640
	s_wait_loadcnt_dscnt 0x1
	v_mul_f32_e32 v149, v1, v10
	v_mul_f32_e32 v151, v3, v12
	s_delay_alu instid0(VALU_DEP_2) | instskip(NEXT) | instid1(VALU_DEP_2)
	v_fmac_f32_e32 v149, v2, v9
	v_dual_mul_f32 v2, v2, v10 :: v_dual_fmac_f32 v151, v4, v11
	s_delay_alu instid0(VALU_DEP_1) | instskip(SKIP_1) | instid1(VALU_DEP_1)
	v_fma_f32 v150, v1, v9, -v2
	v_mul_f32_e32 v1, v4, v12
	v_fma_f32 v152, v3, v11, -v1
	s_clause 0x1
	scratch_load_b128 v[1:4], off, off offset:272
	scratch_load_b128 v[9:12], off, off offset:288
	s_wait_loadcnt_dscnt 0x100
	v_mul_f32_e32 v153, v5, v2
	v_mul_f32_e32 v2, v6, v2
	s_delay_alu instid0(VALU_DEP_1) | instskip(SKIP_1) | instid1(VALU_DEP_1)
	v_fma_f32 v154, v5, v1, -v2
	v_add_f32_e32 v2, 0, v130
	v_add_f32_e32 v2, v2, v131
	s_delay_alu instid0(VALU_DEP_1) | instskip(NEXT) | instid1(VALU_DEP_1)
	v_dual_add_f32 v2, v2, v25 :: v_dual_mul_f32 v155, v7, v4
	v_add_f32_e32 v2, v2, v26
	s_delay_alu instid0(VALU_DEP_1) | instskip(NEXT) | instid1(VALU_DEP_3)
	v_add_f32_e32 v2, v2, v27
	v_fmac_f32_e32 v155, v8, v3
	v_fmac_f32_e32 v153, v6, v1
	s_delay_alu instid0(VALU_DEP_3) | instskip(NEXT) | instid1(VALU_DEP_1)
	v_add_f32_e32 v2, v2, v132
	v_add_f32_e32 v2, v2, v124
	s_delay_alu instid0(VALU_DEP_1) | instskip(NEXT) | instid1(VALU_DEP_1)
	v_dual_mul_f32 v1, v8, v4 :: v_dual_add_f32 v2, v2, v125
	v_fma_f32 v156, v7, v3, -v1
	s_delay_alu instid0(VALU_DEP_2) | instskip(NEXT) | instid1(VALU_DEP_1)
	v_dual_add_f32 v1, 0, v22 :: v_dual_add_f32 v2, v2, v15
	v_add_f32_e32 v1, v1, v24
	s_delay_alu instid0(VALU_DEP_2) | instskip(NEXT) | instid1(VALU_DEP_2)
	v_add_f32_e32 v5, v2, v18
	v_add_f32_e32 v1, v1, v120
	s_delay_alu instid0(VALU_DEP_1) | instskip(NEXT) | instid1(VALU_DEP_1)
	v_add_f32_e32 v1, v1, v121
	v_add_f32_e32 v1, v1, v122
	s_delay_alu instid0(VALU_DEP_1) | instskip(NEXT) | instid1(VALU_DEP_1)
	v_add_f32_e32 v1, v1, v123
	v_add_f32_e32 v1, v1, v13
	;; [unrolled: 1-line block ×3, first 2 shown]
	s_delay_alu instid0(VALU_DEP_2) | instskip(NEXT) | instid1(VALU_DEP_2)
	v_add_f32_e32 v1, v1, v14
	v_add_f32_e32 v13, v13, v20
	s_delay_alu instid0(VALU_DEP_2) | instskip(NEXT) | instid1(VALU_DEP_1)
	v_add_f32_e32 v1, v1, v16
	v_add_f32_e32 v1, v1, v17
	s_delay_alu instid0(VALU_DEP_1) | instskip(SKIP_4) | instid1(VALU_DEP_1)
	v_add_f32_e32 v6, v1, v126
	ds_load_b128 v[1:4], v21 offset:656
	v_add_f32_e32 v14, v6, v127
	scratch_load_b128 v[5:8], off, off offset:304
	v_dual_add_f32 v13, v13, v133 :: v_dual_add_f32 v14, v14, v135
	v_dual_add_f32 v18, v13, v134 :: v_dual_add_f32 v17, v14, v136
	ds_load_b128 v[13:16], v21 offset:672
	v_add_f32_e32 v18, v18, v137
	s_wait_loadcnt_dscnt 0x101
	v_mul_f32_e32 v22, v1, v10
	s_delay_alu instid0(VALU_DEP_2)
	v_add_f32_e32 v18, v18, v139
	v_mul_f32_e32 v10, v2, v10
	v_mul_f32_e32 v120, v3, v12
	;; [unrolled: 1-line block ×3, first 2 shown]
	v_fmac_f32_e32 v22, v2, v9
	v_add_f32_e32 v24, v18, v141
	v_fma_f32 v121, v1, v9, -v10
	v_fmac_f32_e32 v120, v4, v11
	v_fma_f32 v122, v3, v11, -v12
	scratch_load_b128 v[1:4], off, off offset:320
	v_dual_add_f32 v24, v24, v143 :: v_dual_add_f32 v17, v17, v138
	scratch_load_b128 v[9:12], off, off offset:336
	s_wait_loadcnt_dscnt 0x200
	v_dual_add_f32 v24, v24, v145 :: v_dual_mul_f32 v123, v13, v6
	v_mul_f32_e32 v124, v15, v8
	v_add_f32_e32 v17, v17, v140
	v_mul_f32_e32 v8, v16, v8
	v_mul_f32_e32 v6, v14, v6
	s_delay_alu instid0(VALU_DEP_4) | instskip(NEXT) | instid1(VALU_DEP_4)
	v_dual_fmac_f32 v123, v14, v5 :: v_dual_fmac_f32 v124, v16, v7
	v_add_f32_e32 v17, v17, v142
	s_delay_alu instid0(VALU_DEP_4) | instskip(NEXT) | instid1(VALU_DEP_4)
	v_fma_f32 v126, v15, v7, -v8
	v_fma_f32 v125, v13, v5, -v6
	ds_load_b128 v[5:8], v21 offset:688
	v_add_f32_e32 v25, v17, v144
	scratch_load_b128 v[17:20], off, off offset:352
	v_add_f32_e32 v25, v25, v146
	s_delay_alu instid0(VALU_DEP_1) | instskip(NEXT) | instid1(VALU_DEP_1)
	v_add_f32_e32 v25, v25, v148
	v_dual_add_f32 v13, v24, v147 :: v_dual_add_f32 v24, v25, v150
	s_delay_alu instid0(VALU_DEP_1)
	v_add_f32_e32 v25, v13, v149
	ds_load_b128 v[13:16], v21 offset:704
	v_dual_add_f32 v127, v24, v152 :: v_dual_add_f32 v130, v25, v151
	ds_load_b128 v[24:27], v21 offset:720
	v_add_f32_e32 v21, v127, v154
	s_wait_loadcnt_dscnt 0x202
	v_dual_add_f32 v127, v130, v153 :: v_dual_mul_f32 v130, v5, v2
	s_delay_alu instid0(VALU_DEP_1) | instskip(NEXT) | instid1(VALU_DEP_2)
	v_dual_mul_f32 v2, v6, v2 :: v_dual_add_f32 v127, v127, v155
	v_fmac_f32_e32 v130, v6, v1
	s_delay_alu instid0(VALU_DEP_2) | instskip(NEXT) | instid1(VALU_DEP_3)
	v_fma_f32 v2, v5, v1, -v2
	v_add_f32_e32 v22, v127, v22
	s_wait_loadcnt_dscnt 0x101
	v_mul_f32_e32 v127, v13, v10
	v_mul_f32_e32 v6, v14, v10
	s_delay_alu instid0(VALU_DEP_3) | instskip(NEXT) | instid1(VALU_DEP_1)
	v_add_f32_e32 v22, v22, v120
	v_dual_add_f32 v21, v21, v156 :: v_dual_add_f32 v22, v22, v123
	s_delay_alu instid0(VALU_DEP_1) | instskip(SKIP_4) | instid1(VALU_DEP_1)
	v_add_f32_e32 v21, v21, v121
	v_mul_f32_e32 v121, v7, v4
	v_mul_f32_e32 v4, v8, v4
	s_wait_loadcnt_dscnt 0x0
	v_dual_mul_f32 v120, v24, v18 :: v_dual_add_f32 v5, v22, v124
	v_dual_fmac_f32 v120, v25, v17 :: v_dual_fmac_f32 v121, v8, v3
	v_add_f32_e32 v21, v21, v122
	v_fma_f32 v3, v7, v3, -v4
	v_dual_mul_f32 v4, v16, v12 :: v_dual_fmac_f32 v127, v14, v9
	v_mul_f32_e32 v131, v15, v12
	s_delay_alu instid0(VALU_DEP_4) | instskip(NEXT) | instid1(VALU_DEP_3)
	v_dual_add_f32 v21, v21, v125 :: v_dual_mul_f32 v122, v26, v20
	v_fma_f32 v4, v15, v11, -v4
	s_delay_alu instid0(VALU_DEP_2) | instskip(NEXT) | instid1(VALU_DEP_1)
	v_dual_add_f32 v1, v21, v126 :: v_dual_fmac_f32 v122, v27, v19
	v_add_f32_e32 v1, v1, v2
	v_dual_add_f32 v2, v5, v130 :: v_dual_fmac_f32 v131, v16, v11
	v_fma_f32 v5, v13, v9, -v6
	s_delay_alu instid0(VALU_DEP_2) | instskip(NEXT) | instid1(VALU_DEP_1)
	v_add_f32_e32 v2, v2, v121
	v_add_f32_e32 v2, v2, v127
	s_delay_alu instid0(VALU_DEP_1) | instskip(NEXT) | instid1(VALU_DEP_1)
	v_add_f32_e32 v2, v2, v131
	v_dual_add_f32 v2, v2, v120 :: v_dual_add_f32 v1, v1, v3
	v_mul_f32_e32 v3, v25, v18
	s_delay_alu instid0(VALU_DEP_2) | instskip(SKIP_1) | instid1(VALU_DEP_3)
	v_dual_add_f32 v2, v2, v122 :: v_dual_add_f32 v1, v1, v5
	v_mul_f32_e32 v5, v27, v20
	v_fma_f32 v3, v24, v17, -v3
	s_delay_alu instid0(VALU_DEP_3) | instskip(NEXT) | instid1(VALU_DEP_4)
	v_sub_f32_e32 v2, v129, v2
	v_add_f32_e32 v1, v1, v4
	s_delay_alu instid0(VALU_DEP_4) | instskip(NEXT) | instid1(VALU_DEP_2)
	v_fma_f32 v4, v26, v19, -v5
	v_add_f32_e32 v1, v1, v3
	s_delay_alu instid0(VALU_DEP_1) | instskip(NEXT) | instid1(VALU_DEP_1)
	v_add_f32_e32 v1, v1, v4
	v_sub_f32_e32 v1, v128, v1
	scratch_store_b64 off, v[1:2], off offset:88
	v_cmpx_lt_u32_e32 10, v0
	s_cbranch_execz .LBB109_269
; %bb.268:
	scratch_load_b64 v[1:2], off, off offset:80
	v_mov_b32_e32 v3, 0
	s_delay_alu instid0(VALU_DEP_1)
	v_mov_b32_e32 v4, v3
	scratch_store_b64 off, v[3:4], off offset:80
	s_wait_loadcnt 0x0
	ds_store_b64 v23, v[1:2]
.LBB109_269:
	s_wait_alu 0xfffe
	s_or_b32 exec_lo, exec_lo, s0
	s_wait_storecnt_dscnt 0x0
	s_barrier_signal -1
	s_barrier_wait -1
	global_inv scope:SCOPE_SE
	s_clause 0x4
	scratch_load_b128 v[5:8], off, off offset:88
	scratch_load_b128 v[1:4], off, off offset:104
	;; [unrolled: 1-line block ×5, first 2 shown]
	v_mov_b32_e32 v21, 0
	ds_load_2addr_b64 v[24:27], v21 offset0:57 offset1:58
	ds_load_2addr_b64 v[120:123], v21 offset0:59 offset1:60
	;; [unrolled: 1-line block ×3, first 2 shown]
	scratch_load_b64 v[128:129], off, off offset:80
	s_mov_b32 s0, exec_lo
	s_wait_loadcnt_dscnt 0x502
	v_mul_f32_e32 v22, v25, v6
	v_dual_mul_f32 v130, v24, v6 :: v_dual_mul_f32 v131, v26, v8
	v_mul_f32_e32 v6, v27, v8
	s_delay_alu instid0(VALU_DEP_3) | instskip(NEXT) | instid1(VALU_DEP_3)
	v_fma_f32 v22, v24, v5, -v22
	v_dual_fmac_f32 v130, v25, v5 :: v_dual_fmac_f32 v131, v27, v7
	s_wait_loadcnt_dscnt 0x401
	v_mul_f32_e32 v25, v120, v2
	v_fma_f32 v24, v26, v7, -v6
	ds_load_2addr_b64 v[5:8], v21 offset0:63 offset1:64
	s_wait_loadcnt_dscnt 0x301
	v_dual_mul_f32 v26, v122, v4 :: v_dual_mul_f32 v27, v124, v10
	v_dual_mul_f32 v4, v123, v4 :: v_dual_fmac_f32 v25, v121, v1
	v_mul_f32_e32 v10, v125, v10
	s_delay_alu instid0(VALU_DEP_3)
	v_dual_mul_f32 v132, v126, v12 :: v_dual_fmac_f32 v27, v125, v9
	v_mul_f32_e32 v12, v127, v12
	v_mul_f32_e32 v2, v121, v2
	v_fmac_f32_e32 v26, v123, v3
	v_fma_f32 v121, v122, v3, -v4
	v_fma_f32 v122, v124, v9, -v10
	v_fmac_f32_e32 v132, v127, v11
	v_fma_f32 v123, v126, v11, -v12
	ds_load_2addr_b64 v[9:12], v21 offset0:65 offset1:66
	s_wait_loadcnt_dscnt 0x201
	v_mul_f32_e32 v125, v7, v16
	v_fma_f32 v120, v120, v1, -v2
	scratch_load_b128 v[1:4], off, off offset:168
	v_mul_f32_e32 v124, v5, v14
	v_mul_f32_e32 v14, v6, v14
	;; [unrolled: 1-line block ×3, first 2 shown]
	s_delay_alu instid0(VALU_DEP_3) | instskip(NEXT) | instid1(VALU_DEP_3)
	v_dual_fmac_f32 v125, v8, v15 :: v_dual_fmac_f32 v124, v6, v13
	v_fma_f32 v13, v5, v13, -v14
	s_delay_alu instid0(VALU_DEP_3)
	v_fma_f32 v14, v7, v15, -v16
	ds_load_2addr_b64 v[5:8], v21 offset0:67 offset1:68
	s_wait_loadcnt_dscnt 0x201
	v_mul_f32_e32 v15, v9, v18
	v_mul_f32_e32 v16, v10, v18
	;; [unrolled: 1-line block ×3, first 2 shown]
	s_delay_alu instid0(VALU_DEP_3) | instskip(NEXT) | instid1(VALU_DEP_3)
	v_dual_mul_f32 v20, v12, v20 :: v_dual_fmac_f32 v15, v10, v17
	v_fma_f32 v16, v9, v17, -v16
	s_delay_alu instid0(VALU_DEP_3) | instskip(NEXT) | instid1(VALU_DEP_3)
	v_fmac_f32_e32 v18, v12, v19
	v_fma_f32 v17, v11, v19, -v20
	scratch_load_b128 v[9:12], off, off offset:184
	s_wait_loadcnt_dscnt 0x100
	v_mul_f32_e32 v19, v5, v2
	v_mul_f32_e32 v2, v6, v2
	v_mul_f32_e32 v20, v7, v4
	s_delay_alu instid0(VALU_DEP_3) | instskip(NEXT) | instid1(VALU_DEP_3)
	v_dual_mul_f32 v4, v8, v4 :: v_dual_fmac_f32 v19, v6, v1
	v_fma_f32 v126, v5, v1, -v2
	s_delay_alu instid0(VALU_DEP_3) | instskip(NEXT) | instid1(VALU_DEP_3)
	v_fmac_f32_e32 v20, v8, v3
	v_fma_f32 v127, v7, v3, -v4
	ds_load_2addr_b64 v[1:4], v21 offset0:69 offset1:70
	ds_load_2addr_b64 v[5:8], v21 offset0:71 offset1:72
	s_wait_loadcnt_dscnt 0x1
	v_mul_f32_e32 v133, v1, v10
	v_mul_f32_e32 v10, v2, v10
	s_delay_alu instid0(VALU_DEP_2) | instskip(NEXT) | instid1(VALU_DEP_2)
	v_dual_mul_f32 v134, v3, v12 :: v_dual_fmac_f32 v133, v2, v9
	v_fma_f32 v135, v1, v9, -v10
	v_mul_f32_e32 v1, v4, v12
	s_delay_alu instid0(VALU_DEP_3) | instskip(NEXT) | instid1(VALU_DEP_2)
	v_fmac_f32_e32 v134, v4, v11
	v_fma_f32 v136, v3, v11, -v1
	s_clause 0x1
	scratch_load_b128 v[1:4], off, off offset:200
	scratch_load_b128 v[9:12], off, off offset:216
	s_wait_loadcnt_dscnt 0x100
	v_mul_f32_e32 v137, v5, v2
	v_dual_mul_f32 v2, v6, v2 :: v_dual_mul_f32 v139, v7, v4
	s_delay_alu instid0(VALU_DEP_2) | instskip(NEXT) | instid1(VALU_DEP_2)
	v_fmac_f32_e32 v137, v6, v1
	v_fma_f32 v138, v5, v1, -v2
	v_mul_f32_e32 v1, v8, v4
	s_delay_alu instid0(VALU_DEP_4) | instskip(NEXT) | instid1(VALU_DEP_2)
	v_fmac_f32_e32 v139, v8, v3
	v_fma_f32 v140, v7, v3, -v1
	ds_load_2addr_b64 v[1:4], v21 offset0:73 offset1:74
	ds_load_2addr_b64 v[5:8], v21 offset0:75 offset1:76
	s_wait_loadcnt_dscnt 0x1
	v_mul_f32_e32 v141, v1, v10
	v_mul_f32_e32 v143, v3, v12
	s_delay_alu instid0(VALU_DEP_2) | instskip(NEXT) | instid1(VALU_DEP_2)
	v_fmac_f32_e32 v141, v2, v9
	v_dual_mul_f32 v2, v2, v10 :: v_dual_fmac_f32 v143, v4, v11
	s_delay_alu instid0(VALU_DEP_1) | instskip(SKIP_1) | instid1(VALU_DEP_1)
	v_fma_f32 v142, v1, v9, -v2
	v_mul_f32_e32 v1, v4, v12
	v_fma_f32 v144, v3, v11, -v1
	s_clause 0x1
	scratch_load_b128 v[1:4], off, off offset:232
	scratch_load_b128 v[9:12], off, off offset:248
	s_wait_loadcnt_dscnt 0x100
	v_mul_f32_e32 v145, v5, v2
	v_dual_mul_f32 v147, v7, v4 :: v_dual_mul_f32 v2, v6, v2
	s_delay_alu instid0(VALU_DEP_2) | instskip(NEXT) | instid1(VALU_DEP_2)
	v_fmac_f32_e32 v145, v6, v1
	v_fmac_f32_e32 v147, v8, v3
	s_delay_alu instid0(VALU_DEP_3) | instskip(SKIP_1) | instid1(VALU_DEP_1)
	v_fma_f32 v146, v5, v1, -v2
	v_mul_f32_e32 v1, v8, v4
	v_fma_f32 v148, v7, v3, -v1
	ds_load_2addr_b64 v[1:4], v21 offset0:77 offset1:78
	ds_load_2addr_b64 v[5:8], v21 offset0:79 offset1:80
	s_wait_loadcnt_dscnt 0x1
	v_mul_f32_e32 v149, v1, v10
	v_mul_f32_e32 v151, v3, v12
	s_delay_alu instid0(VALU_DEP_2) | instskip(NEXT) | instid1(VALU_DEP_2)
	v_fmac_f32_e32 v149, v2, v9
	v_dual_mul_f32 v2, v2, v10 :: v_dual_fmac_f32 v151, v4, v11
	s_delay_alu instid0(VALU_DEP_1) | instskip(SKIP_1) | instid1(VALU_DEP_1)
	v_fma_f32 v150, v1, v9, -v2
	v_mul_f32_e32 v1, v4, v12
	v_fma_f32 v152, v3, v11, -v1
	s_clause 0x1
	scratch_load_b128 v[1:4], off, off offset:264
	scratch_load_b128 v[9:12], off, off offset:280
	s_wait_loadcnt_dscnt 0x100
	v_mul_f32_e32 v153, v5, v2
	v_mul_f32_e32 v2, v6, v2
	s_delay_alu instid0(VALU_DEP_1) | instskip(SKIP_1) | instid1(VALU_DEP_1)
	v_fma_f32 v154, v5, v1, -v2
	v_add_f32_e32 v2, 0, v130
	v_add_f32_e32 v2, v2, v131
	s_delay_alu instid0(VALU_DEP_1) | instskip(NEXT) | instid1(VALU_DEP_1)
	v_add_f32_e32 v2, v2, v25
	v_add_f32_e32 v2, v2, v26
	s_delay_alu instid0(VALU_DEP_1) | instskip(SKIP_1) | instid1(VALU_DEP_2)
	v_add_f32_e32 v2, v2, v27
	v_fmac_f32_e32 v153, v6, v1
	v_add_f32_e32 v2, v2, v132
	s_delay_alu instid0(VALU_DEP_1) | instskip(NEXT) | instid1(VALU_DEP_1)
	v_add_f32_e32 v2, v2, v124
	v_dual_mul_f32 v155, v7, v4 :: v_dual_add_f32 v2, v2, v125
	s_delay_alu instid0(VALU_DEP_1) | instskip(NEXT) | instid1(VALU_DEP_1)
	v_dual_mul_f32 v1, v8, v4 :: v_dual_add_f32 v2, v2, v15
	v_fma_f32 v156, v7, v3, -v1
	v_add_f32_e32 v1, 0, v22
	s_delay_alu instid0(VALU_DEP_3) | instskip(NEXT) | instid1(VALU_DEP_2)
	v_add_f32_e32 v5, v2, v18
	v_add_f32_e32 v1, v1, v24
	s_delay_alu instid0(VALU_DEP_1) | instskip(NEXT) | instid1(VALU_DEP_1)
	v_add_f32_e32 v1, v1, v120
	v_add_f32_e32 v1, v1, v121
	scratch_load_b64 v[120:121], off, off offset:360
	v_add_f32_e32 v1, v1, v122
	s_delay_alu instid0(VALU_DEP_1) | instskip(NEXT) | instid1(VALU_DEP_1)
	v_add_f32_e32 v1, v1, v123
	v_add_f32_e32 v1, v1, v13
	;; [unrolled: 1-line block ×3, first 2 shown]
	s_delay_alu instid0(VALU_DEP_2) | instskip(NEXT) | instid1(VALU_DEP_2)
	v_add_f32_e32 v1, v1, v14
	v_add_f32_e32 v13, v13, v20
	s_delay_alu instid0(VALU_DEP_2) | instskip(NEXT) | instid1(VALU_DEP_2)
	v_add_f32_e32 v1, v1, v16
	v_add_f32_e32 v13, v13, v133
	v_fmac_f32_e32 v155, v8, v3
	s_delay_alu instid0(VALU_DEP_3) | instskip(NEXT) | instid1(VALU_DEP_3)
	v_add_f32_e32 v1, v1, v17
	v_add_f32_e32 v18, v13, v134
	s_delay_alu instid0(VALU_DEP_2)
	v_add_f32_e32 v6, v1, v126
	scratch_load_b128 v[1:4], off, off offset:296
	v_add_f32_e32 v18, v18, v137
	v_add_f32_e32 v14, v6, v127
	ds_load_2addr_b64 v[5:8], v21 offset0:81 offset1:82
	v_add_f32_e32 v18, v18, v139
	v_add_f32_e32 v14, v14, v135
	s_delay_alu instid0(VALU_DEP_2) | instskip(NEXT) | instid1(VALU_DEP_2)
	v_add_f32_e32 v24, v18, v141
	v_add_f32_e32 v17, v14, v136
	ds_load_2addr_b64 v[13:16], v21 offset0:83 offset1:84
	v_add_f32_e32 v24, v24, v143
	s_delay_alu instid0(VALU_DEP_1)
	v_add_f32_e32 v24, v24, v145
	s_wait_loadcnt_dscnt 0x201
	v_mul_f32_e32 v22, v5, v10
	v_mul_f32_e32 v10, v6, v10
	;; [unrolled: 1-line block ×3, first 2 shown]
	v_dual_mul_f32 v12, v8, v12 :: v_dual_add_f32 v17, v17, v138
	s_delay_alu instid0(VALU_DEP_4) | instskip(NEXT) | instid1(VALU_DEP_4)
	v_fmac_f32_e32 v22, v6, v9
	v_fma_f32 v125, v5, v9, -v10
	s_delay_alu instid0(VALU_DEP_4) | instskip(NEXT) | instid1(VALU_DEP_4)
	v_fmac_f32_e32 v124, v8, v11
	v_fma_f32 v126, v7, v11, -v12
	s_clause 0x1
	scratch_load_b128 v[5:8], off, off offset:312
	scratch_load_b128 v[9:12], off, off offset:328
	v_dual_add_f32 v17, v17, v140 :: v_dual_add_f32 v24, v24, v147
	s_wait_loadcnt_dscnt 0x200
	s_delay_alu instid0(VALU_DEP_1) | instskip(NEXT) | instid1(VALU_DEP_1)
	v_dual_add_f32 v17, v17, v142 :: v_dual_mul_f32 v130, v15, v4
	v_add_f32_e32 v25, v17, v144
	scratch_load_b128 v[17:20], off, off offset:344
	v_mul_f32_e32 v127, v13, v2
	v_mul_f32_e32 v2, v14, v2
	v_dual_fmac_f32 v130, v16, v3 :: v_dual_add_f32 v25, v25, v146
	v_mul_f32_e32 v4, v16, v4
	s_delay_alu instid0(VALU_DEP_3) | instskip(SKIP_1) | instid1(VALU_DEP_4)
	v_fma_f32 v131, v13, v1, -v2
	v_add_f32_e32 v13, v24, v149
	v_add_f32_e32 v25, v25, v148
	s_delay_alu instid0(VALU_DEP_4) | instskip(NEXT) | instid1(VALU_DEP_3)
	v_fma_f32 v132, v15, v3, -v4
	v_add_f32_e32 v24, v13, v151
	s_delay_alu instid0(VALU_DEP_1) | instskip(NEXT) | instid1(VALU_DEP_1)
	v_add_f32_e32 v123, v24, v153
	v_add_f32_e32 v134, v123, v155
	s_delay_alu instid0(VALU_DEP_1) | instskip(NEXT) | instid1(VALU_DEP_1)
	v_add_f32_e32 v22, v134, v22
	v_dual_add_f32 v25, v25, v150 :: v_dual_add_f32 v22, v22, v124
	s_delay_alu instid0(VALU_DEP_1)
	v_dual_fmac_f32 v127, v14, v1 :: v_dual_add_f32 v14, v25, v152
	ds_load_2addr_b64 v[1:4], v21 offset0:85 offset1:86
	ds_load_2addr_b64 v[24:27], v21 offset0:89 offset1:90
	v_add_f32_e32 v22, v22, v127
	v_add_f32_e32 v122, v14, v154
	ds_load_2addr_b64 v[13:16], v21 offset0:87 offset1:88
	v_add_f32_e32 v22, v22, v130
	v_add_f32_e32 v133, v122, v156
	ds_load_b64 v[122:123], v21 offset:728
	s_wait_loadcnt_dscnt 0x203
	v_dual_add_f32 v125, v133, v125 :: v_dual_mul_f32 v124, v3, v8
	s_delay_alu instid0(VALU_DEP_1)
	v_add_f32_e32 v125, v125, v126
	v_dual_mul_f32 v133, v1, v6 :: v_dual_mul_f32 v8, v4, v8
	v_mul_f32_e32 v6, v2, v6
	s_wait_loadcnt_dscnt 0x101
	v_dual_mul_f32 v126, v13, v10 :: v_dual_mul_f32 v127, v15, v12
	v_add_f32_e32 v125, v125, v131
	v_dual_fmac_f32 v133, v2, v5 :: v_dual_fmac_f32 v124, v4, v7
	v_fma_f32 v1, v1, v5, -v6
	v_fma_f32 v2, v3, v7, -v8
	s_delay_alu instid0(VALU_DEP_3) | instskip(SKIP_2) | instid1(VALU_DEP_3)
	v_dual_add_f32 v125, v125, v132 :: v_dual_add_f32 v4, v22, v133
	v_dual_mul_f32 v5, v16, v12 :: v_dual_fmac_f32 v126, v14, v9
	v_mul_f32_e32 v3, v14, v10
	v_add_f32_e32 v1, v125, v1
	s_wait_dscnt 0x0
	v_dual_fmac_f32 v127, v16, v11 :: v_dual_mul_f32 v130, v122, v121
	v_fma_f32 v5, v15, v11, -v5
	s_delay_alu instid0(VALU_DEP_3) | instskip(SKIP_1) | instid1(VALU_DEP_4)
	v_dual_add_f32 v1, v1, v2 :: v_dual_add_f32 v2, v4, v124
	v_fma_f32 v3, v13, v9, -v3
	v_fmac_f32_e32 v130, v123, v120
	s_delay_alu instid0(VALU_DEP_2) | instskip(SKIP_1) | instid1(VALU_DEP_1)
	v_dual_add_f32 v2, v2, v126 :: v_dual_add_f32 v1, v1, v3
	s_wait_loadcnt 0x0
	v_dual_add_f32 v2, v2, v127 :: v_dual_mul_f32 v3, v27, v20
	v_mul_f32_e32 v131, v24, v18
	v_mul_f32_e32 v4, v25, v18
	;; [unrolled: 1-line block ×3, first 2 shown]
	s_delay_alu instid0(VALU_DEP_4) | instskip(NEXT) | instid1(VALU_DEP_4)
	v_fma_f32 v3, v26, v19, -v3
	v_fmac_f32_e32 v131, v25, v17
	s_delay_alu instid0(VALU_DEP_4) | instskip(NEXT) | instid1(VALU_DEP_4)
	v_fma_f32 v4, v24, v17, -v4
	v_dual_fmac_f32 v132, v27, v19 :: v_dual_add_f32 v1, v1, v5
	s_delay_alu instid0(VALU_DEP_3) | instskip(NEXT) | instid1(VALU_DEP_1)
	v_dual_add_f32 v2, v2, v131 :: v_dual_mul_f32 v5, v123, v121
	v_add_f32_e32 v2, v2, v132
	s_delay_alu instid0(VALU_DEP_3) | instskip(NEXT) | instid1(VALU_DEP_3)
	v_add_f32_e32 v1, v1, v4
	v_fma_f32 v4, v122, v120, -v5
	s_delay_alu instid0(VALU_DEP_2) | instskip(NEXT) | instid1(VALU_DEP_1)
	v_dual_add_f32 v2, v2, v130 :: v_dual_add_f32 v1, v1, v3
	v_sub_f32_e32 v2, v129, v2
	s_delay_alu instid0(VALU_DEP_2) | instskip(NEXT) | instid1(VALU_DEP_1)
	v_add_f32_e32 v1, v1, v4
	v_sub_f32_e32 v1, v128, v1
	scratch_store_b64 off, v[1:2], off offset:80
	v_cmpx_lt_u32_e32 9, v0
	s_cbranch_execz .LBB109_271
; %bb.270:
	scratch_load_b64 v[1:2], off, off offset:72
	v_mov_b32_e32 v22, v21
	scratch_store_b64 off, v[21:22], off offset:72
	s_wait_loadcnt 0x0
	ds_store_b64 v23, v[1:2]
.LBB109_271:
	s_wait_alu 0xfffe
	s_or_b32 exec_lo, exec_lo, s0
	s_wait_storecnt_dscnt 0x0
	s_barrier_signal -1
	s_barrier_wait -1
	global_inv scope:SCOPE_SE
	s_clause 0x4
	scratch_load_b128 v[5:8], off, off offset:80
	scratch_load_b128 v[1:4], off, off offset:96
	;; [unrolled: 1-line block ×5, first 2 shown]
	ds_load_b128 v[24:27], v21 offset:448
	ds_load_b128 v[120:123], v21 offset:464
	;; [unrolled: 1-line block ×3, first 2 shown]
	scratch_load_b64 v[128:129], off, off offset:72
	s_mov_b32 s0, exec_lo
	s_wait_loadcnt_dscnt 0x502
	v_dual_mul_f32 v22, v25, v6 :: v_dual_mul_f32 v131, v26, v8
	v_mul_f32_e32 v130, v24, v6
	v_mul_f32_e32 v6, v27, v8
	s_wait_loadcnt_dscnt 0x300
	v_mul_f32_e32 v132, v126, v12
	v_fma_f32 v22, v24, v5, -v22
	v_dual_fmac_f32 v131, v27, v7 :: v_dual_fmac_f32 v130, v25, v5
	v_mul_f32_e32 v27, v124, v10
	v_mul_f32_e32 v25, v120, v2
	v_fma_f32 v24, v26, v7, -v6
	ds_load_b128 v[5:8], v21 offset:496
	v_mul_f32_e32 v26, v122, v4
	v_dual_mul_f32 v4, v123, v4 :: v_dual_fmac_f32 v27, v125, v9
	v_mul_f32_e32 v10, v125, v10
	v_mul_f32_e32 v12, v127, v12
	;; [unrolled: 1-line block ×3, first 2 shown]
	v_dual_fmac_f32 v25, v121, v1 :: v_dual_fmac_f32 v26, v123, v3
	v_fma_f32 v121, v122, v3, -v4
	v_fma_f32 v122, v124, v9, -v10
	v_fmac_f32_e32 v132, v127, v11
	v_fma_f32 v123, v126, v11, -v12
	ds_load_b128 v[9:12], v21 offset:512
	s_wait_loadcnt_dscnt 0x201
	v_mul_f32_e32 v125, v7, v16
	v_fma_f32 v120, v120, v1, -v2
	scratch_load_b128 v[1:4], off, off offset:160
	v_mul_f32_e32 v124, v5, v14
	v_mul_f32_e32 v14, v6, v14
	;; [unrolled: 1-line block ×3, first 2 shown]
	s_delay_alu instid0(VALU_DEP_3) | instskip(NEXT) | instid1(VALU_DEP_3)
	v_dual_fmac_f32 v125, v8, v15 :: v_dual_fmac_f32 v124, v6, v13
	v_fma_f32 v13, v5, v13, -v14
	s_delay_alu instid0(VALU_DEP_3)
	v_fma_f32 v14, v7, v15, -v16
	ds_load_b128 v[5:8], v21 offset:528
	s_wait_loadcnt_dscnt 0x201
	v_mul_f32_e32 v15, v9, v18
	v_mul_f32_e32 v16, v10, v18
	;; [unrolled: 1-line block ×3, first 2 shown]
	s_delay_alu instid0(VALU_DEP_3) | instskip(NEXT) | instid1(VALU_DEP_3)
	v_dual_mul_f32 v20, v12, v20 :: v_dual_fmac_f32 v15, v10, v17
	v_fma_f32 v16, v9, v17, -v16
	s_delay_alu instid0(VALU_DEP_3) | instskip(NEXT) | instid1(VALU_DEP_3)
	v_fmac_f32_e32 v18, v12, v19
	v_fma_f32 v17, v11, v19, -v20
	scratch_load_b128 v[9:12], off, off offset:176
	s_wait_loadcnt_dscnt 0x100
	v_mul_f32_e32 v19, v5, v2
	v_mul_f32_e32 v2, v6, v2
	;; [unrolled: 1-line block ×3, first 2 shown]
	s_delay_alu instid0(VALU_DEP_3) | instskip(NEXT) | instid1(VALU_DEP_3)
	v_dual_mul_f32 v4, v8, v4 :: v_dual_fmac_f32 v19, v6, v1
	v_fma_f32 v126, v5, v1, -v2
	s_delay_alu instid0(VALU_DEP_3) | instskip(NEXT) | instid1(VALU_DEP_3)
	v_fmac_f32_e32 v20, v8, v3
	v_fma_f32 v127, v7, v3, -v4
	ds_load_b128 v[1:4], v21 offset:544
	ds_load_b128 v[5:8], v21 offset:560
	s_wait_loadcnt_dscnt 0x1
	v_mul_f32_e32 v133, v1, v10
	v_mul_f32_e32 v10, v2, v10
	s_delay_alu instid0(VALU_DEP_2) | instskip(NEXT) | instid1(VALU_DEP_2)
	v_dual_mul_f32 v134, v3, v12 :: v_dual_fmac_f32 v133, v2, v9
	v_fma_f32 v135, v1, v9, -v10
	v_mul_f32_e32 v1, v4, v12
	s_delay_alu instid0(VALU_DEP_3) | instskip(NEXT) | instid1(VALU_DEP_2)
	v_fmac_f32_e32 v134, v4, v11
	v_fma_f32 v136, v3, v11, -v1
	s_clause 0x1
	scratch_load_b128 v[1:4], off, off offset:192
	scratch_load_b128 v[9:12], off, off offset:208
	s_wait_loadcnt_dscnt 0x100
	v_mul_f32_e32 v137, v5, v2
	v_dual_mul_f32 v2, v6, v2 :: v_dual_mul_f32 v139, v7, v4
	s_delay_alu instid0(VALU_DEP_2) | instskip(NEXT) | instid1(VALU_DEP_2)
	v_fmac_f32_e32 v137, v6, v1
	v_fma_f32 v138, v5, v1, -v2
	v_mul_f32_e32 v1, v8, v4
	s_delay_alu instid0(VALU_DEP_4) | instskip(NEXT) | instid1(VALU_DEP_2)
	v_fmac_f32_e32 v139, v8, v3
	v_fma_f32 v140, v7, v3, -v1
	ds_load_b128 v[1:4], v21 offset:576
	ds_load_b128 v[5:8], v21 offset:592
	s_wait_loadcnt_dscnt 0x1
	v_mul_f32_e32 v141, v1, v10
	v_mul_f32_e32 v143, v3, v12
	s_delay_alu instid0(VALU_DEP_2) | instskip(NEXT) | instid1(VALU_DEP_2)
	v_fmac_f32_e32 v141, v2, v9
	v_dual_mul_f32 v2, v2, v10 :: v_dual_fmac_f32 v143, v4, v11
	s_delay_alu instid0(VALU_DEP_1) | instskip(SKIP_1) | instid1(VALU_DEP_1)
	v_fma_f32 v142, v1, v9, -v2
	v_mul_f32_e32 v1, v4, v12
	v_fma_f32 v144, v3, v11, -v1
	s_clause 0x1
	scratch_load_b128 v[1:4], off, off offset:224
	scratch_load_b128 v[9:12], off, off offset:240
	s_wait_loadcnt_dscnt 0x100
	v_mul_f32_e32 v145, v5, v2
	v_dual_mul_f32 v2, v6, v2 :: v_dual_mul_f32 v147, v7, v4
	s_delay_alu instid0(VALU_DEP_2) | instskip(NEXT) | instid1(VALU_DEP_2)
	v_fmac_f32_e32 v145, v6, v1
	v_fma_f32 v146, v5, v1, -v2
	v_mul_f32_e32 v1, v8, v4
	s_delay_alu instid0(VALU_DEP_4) | instskip(NEXT) | instid1(VALU_DEP_2)
	v_fmac_f32_e32 v147, v8, v3
	v_fma_f32 v148, v7, v3, -v1
	ds_load_b128 v[1:4], v21 offset:608
	ds_load_b128 v[5:8], v21 offset:624
	s_wait_loadcnt_dscnt 0x1
	v_mul_f32_e32 v149, v1, v10
	v_mul_f32_e32 v151, v3, v12
	s_delay_alu instid0(VALU_DEP_2) | instskip(NEXT) | instid1(VALU_DEP_2)
	v_fmac_f32_e32 v149, v2, v9
	v_dual_mul_f32 v2, v2, v10 :: v_dual_fmac_f32 v151, v4, v11
	s_delay_alu instid0(VALU_DEP_1) | instskip(SKIP_1) | instid1(VALU_DEP_1)
	v_fma_f32 v150, v1, v9, -v2
	v_mul_f32_e32 v1, v4, v12
	;; [unrolled: 25-line block ×3, first 2 shown]
	v_fma_f32 v160, v3, v11, -v1
	s_clause 0x1
	scratch_load_b128 v[1:4], off, off offset:288
	scratch_load_b128 v[9:12], off, off offset:304
	s_wait_loadcnt_dscnt 0x100
	v_mul_f32_e32 v161, v5, v2
	v_mul_f32_e32 v2, v6, v2
	s_delay_alu instid0(VALU_DEP_1) | instskip(SKIP_1) | instid1(VALU_DEP_1)
	v_fma_f32 v162, v5, v1, -v2
	v_add_f32_e32 v2, 0, v130
	v_add_f32_e32 v2, v2, v131
	s_delay_alu instid0(VALU_DEP_1) | instskip(NEXT) | instid1(VALU_DEP_1)
	v_add_f32_e32 v2, v2, v25
	v_add_f32_e32 v2, v2, v26
	s_delay_alu instid0(VALU_DEP_1) | instskip(NEXT) | instid1(VALU_DEP_1)
	;; [unrolled: 3-line block ×4, first 2 shown]
	v_dual_add_f32 v2, v2, v15 :: v_dual_mul_f32 v163, v7, v4
	v_add_f32_e32 v2, v2, v18
	s_delay_alu instid0(VALU_DEP_1) | instskip(SKIP_2) | instid1(VALU_DEP_3)
	v_add_f32_e32 v2, v2, v19
	v_fmac_f32_e32 v161, v6, v1
	v_mul_f32_e32 v1, v8, v4
	v_dual_fmac_f32 v163, v8, v3 :: v_dual_add_f32 v2, v2, v20
	s_delay_alu instid0(VALU_DEP_2) | instskip(SKIP_1) | instid1(VALU_DEP_3)
	v_fma_f32 v164, v7, v3, -v1
	v_add_f32_e32 v1, 0, v22
	v_add_f32_e32 v5, v2, v133
	s_delay_alu instid0(VALU_DEP_2) | instskip(NEXT) | instid1(VALU_DEP_2)
	v_add_f32_e32 v1, v1, v24
	v_add_f32_e32 v5, v5, v134
	s_delay_alu instid0(VALU_DEP_2) | instskip(NEXT) | instid1(VALU_DEP_2)
	v_add_f32_e32 v1, v1, v120
	v_add_f32_e32 v5, v5, v137
	s_delay_alu instid0(VALU_DEP_2) | instskip(NEXT) | instid1(VALU_DEP_1)
	v_add_f32_e32 v1, v1, v121
	v_add_f32_e32 v1, v1, v122
	s_delay_alu instid0(VALU_DEP_1) | instskip(NEXT) | instid1(VALU_DEP_1)
	v_add_f32_e32 v1, v1, v123
	v_add_f32_e32 v1, v1, v13
	s_delay_alu instid0(VALU_DEP_1) | instskip(SKIP_1) | instid1(VALU_DEP_1)
	v_add_f32_e32 v1, v1, v14
	v_add_f32_e32 v14, v5, v139
	;; [unrolled: 1-line block ×3, first 2 shown]
	s_delay_alu instid0(VALU_DEP_1) | instskip(NEXT) | instid1(VALU_DEP_1)
	v_dual_add_f32 v14, v14, v143 :: v_dual_add_f32 v1, v1, v16
	v_add_f32_e32 v1, v1, v17
	s_delay_alu instid0(VALU_DEP_2) | instskip(NEXT) | instid1(VALU_DEP_2)
	v_add_f32_e32 v17, v14, v145
	v_add_f32_e32 v1, v1, v126
	s_delay_alu instid0(VALU_DEP_2) | instskip(NEXT) | instid1(VALU_DEP_2)
	v_add_f32_e32 v17, v17, v147
	;; [unrolled: 3-line block ×4, first 2 shown]
	v_add_f32_e32 v6, v1, v136
	ds_load_b128 v[1:4], v21 offset:672
	v_dual_add_f32 v25, v17, v153 :: v_dual_add_f32 v6, v6, v138
	s_delay_alu instid0(VALU_DEP_1)
	v_dual_add_f32 v124, v25, v155 :: v_dual_add_f32 v13, v6, v140
	ds_load_b128 v[5:8], v21 offset:688
	s_wait_loadcnt_dscnt 0x1
	v_mul_f32_e32 v22, v1, v10
	v_mul_f32_e32 v120, v3, v12
	;; [unrolled: 1-line block ×4, first 2 shown]
	s_delay_alu instid0(VALU_DEP_4) | instskip(NEXT) | instid1(VALU_DEP_4)
	v_fmac_f32_e32 v22, v2, v9
	v_fmac_f32_e32 v120, v4, v11
	s_delay_alu instid0(VALU_DEP_4) | instskip(NEXT) | instid1(VALU_DEP_4)
	v_fma_f32 v121, v1, v9, -v10
	v_fma_f32 v122, v3, v11, -v12
	s_clause 0x1
	scratch_load_b128 v[1:4], off, off offset:320
	scratch_load_b128 v[9:12], off, off offset:336
	v_add_f32_e32 v13, v13, v142
	s_delay_alu instid0(VALU_DEP_1) | instskip(NEXT) | instid1(VALU_DEP_1)
	v_add_f32_e32 v13, v13, v144
	v_add_f32_e32 v13, v13, v146
	s_delay_alu instid0(VALU_DEP_1) | instskip(SKIP_2) | instid1(VALU_DEP_1)
	v_add_f32_e32 v18, v13, v148
	scratch_load_b128 v[13:16], off, off offset:352
	v_add_f32_e32 v18, v18, v150
	v_add_f32_e32 v18, v18, v152
	s_delay_alu instid0(VALU_DEP_1)
	v_add_f32_e32 v24, v18, v154
	ds_load_b128 v[17:20], v21 offset:704
	v_add_f32_e32 v123, v24, v156
	ds_load_b128 v[24:27], v21 offset:720
	s_wait_loadcnt_dscnt 0x101
	v_dual_mul_f32 v125, v7, v4 :: v_dual_mul_f32 v126, v17, v10
	v_add_f32_e32 v21, v123, v158
	v_dual_add_f32 v123, v124, v157 :: v_dual_mul_f32 v124, v5, v2
	v_mul_f32_e32 v2, v6, v2
	v_mul_f32_e32 v4, v8, v4
	s_delay_alu instid0(VALU_DEP_4) | instskip(NEXT) | instid1(VALU_DEP_4)
	v_add_f32_e32 v21, v21, v160
	v_dual_fmac_f32 v125, v8, v3 :: v_dual_fmac_f32 v124, v6, v1
	s_delay_alu instid0(VALU_DEP_4) | instskip(SKIP_1) | instid1(VALU_DEP_4)
	v_fma_f32 v2, v5, v1, -v2
	v_mul_f32_e32 v6, v18, v10
	v_add_f32_e32 v21, v21, v162
	v_fma_f32 v3, v7, v3, -v4
	v_mul_f32_e32 v127, v19, v12
	v_mul_f32_e32 v4, v20, v12
	s_delay_alu instid0(VALU_DEP_4)
	v_dual_fmac_f32 v126, v18, v9 :: v_dual_add_f32 v21, v21, v164
	s_wait_loadcnt_dscnt 0x0
	v_dual_mul_f32 v130, v24, v14 :: v_dual_add_f32 v123, v123, v159
	v_fmac_f32_e32 v127, v20, v11
	v_fma_f32 v4, v19, v11, -v4
	v_add_f32_e32 v21, v21, v121
	s_delay_alu instid0(VALU_DEP_4) | instskip(SKIP_2) | instid1(VALU_DEP_4)
	v_fmac_f32_e32 v130, v25, v13
	v_add_f32_e32 v123, v123, v161
	v_mul_f32_e32 v121, v26, v16
	v_add_f32_e32 v1, v21, v122
	s_delay_alu instid0(VALU_DEP_3) | instskip(NEXT) | instid1(VALU_DEP_3)
	v_add_f32_e32 v123, v123, v163
	v_fmac_f32_e32 v121, v27, v15
	s_delay_alu instid0(VALU_DEP_3) | instskip(NEXT) | instid1(VALU_DEP_1)
	v_add_f32_e32 v1, v1, v2
	v_dual_add_f32 v22, v123, v22 :: v_dual_add_f32 v1, v1, v3
	v_mul_f32_e32 v3, v25, v14
	s_delay_alu instid0(VALU_DEP_2) | instskip(NEXT) | instid1(VALU_DEP_2)
	v_add_f32_e32 v5, v22, v120
	v_fma_f32 v3, v24, v13, -v3
	s_delay_alu instid0(VALU_DEP_2) | instskip(SKIP_1) | instid1(VALU_DEP_2)
	v_add_f32_e32 v2, v5, v124
	v_fma_f32 v5, v17, v9, -v6
	v_add_f32_e32 v2, v2, v125
	s_delay_alu instid0(VALU_DEP_2) | instskip(NEXT) | instid1(VALU_DEP_2)
	v_add_f32_e32 v1, v1, v5
	v_dual_mul_f32 v5, v27, v16 :: v_dual_add_f32 v2, v2, v126
	s_delay_alu instid0(VALU_DEP_2) | instskip(NEXT) | instid1(VALU_DEP_2)
	v_add_f32_e32 v1, v1, v4
	v_fma_f32 v4, v26, v15, -v5
	s_delay_alu instid0(VALU_DEP_3) | instskip(NEXT) | instid1(VALU_DEP_1)
	v_add_f32_e32 v2, v2, v127
	v_dual_add_f32 v1, v1, v3 :: v_dual_add_f32 v2, v2, v130
	s_delay_alu instid0(VALU_DEP_1) | instskip(NEXT) | instid1(VALU_DEP_1)
	v_dual_add_f32 v1, v1, v4 :: v_dual_add_f32 v2, v2, v121
	v_dual_sub_f32 v1, v128, v1 :: v_dual_sub_f32 v2, v129, v2
	scratch_store_b64 off, v[1:2], off offset:72
	v_cmpx_lt_u32_e32 8, v0
	s_cbranch_execz .LBB109_273
; %bb.272:
	scratch_load_b64 v[1:2], off, off offset:64
	v_mov_b32_e32 v3, 0
	s_delay_alu instid0(VALU_DEP_1)
	v_mov_b32_e32 v4, v3
	scratch_store_b64 off, v[3:4], off offset:64
	s_wait_loadcnt 0x0
	ds_store_b64 v23, v[1:2]
.LBB109_273:
	s_wait_alu 0xfffe
	s_or_b32 exec_lo, exec_lo, s0
	s_wait_storecnt_dscnt 0x0
	s_barrier_signal -1
	s_barrier_wait -1
	global_inv scope:SCOPE_SE
	s_clause 0x4
	scratch_load_b128 v[5:8], off, off offset:72
	scratch_load_b128 v[1:4], off, off offset:88
	;; [unrolled: 1-line block ×5, first 2 shown]
	v_mov_b32_e32 v21, 0
	ds_load_2addr_b64 v[24:27], v21 offset0:55 offset1:56
	ds_load_2addr_b64 v[120:123], v21 offset0:57 offset1:58
	;; [unrolled: 1-line block ×3, first 2 shown]
	scratch_load_b64 v[128:129], off, off offset:64
	s_mov_b32 s0, exec_lo
	s_wait_loadcnt_dscnt 0x502
	v_mul_f32_e32 v22, v25, v6
	v_dual_mul_f32 v130, v24, v6 :: v_dual_mul_f32 v131, v26, v8
	v_mul_f32_e32 v6, v27, v8
	s_delay_alu instid0(VALU_DEP_3) | instskip(NEXT) | instid1(VALU_DEP_3)
	v_fma_f32 v22, v24, v5, -v22
	v_dual_fmac_f32 v130, v25, v5 :: v_dual_fmac_f32 v131, v27, v7
	s_wait_loadcnt_dscnt 0x401
	v_mul_f32_e32 v25, v120, v2
	v_fma_f32 v24, v26, v7, -v6
	ds_load_2addr_b64 v[5:8], v21 offset0:61 offset1:62
	s_wait_loadcnt_dscnt 0x301
	v_dual_mul_f32 v26, v122, v4 :: v_dual_mul_f32 v27, v124, v10
	v_dual_mul_f32 v4, v123, v4 :: v_dual_fmac_f32 v25, v121, v1
	v_mul_f32_e32 v10, v125, v10
	s_delay_alu instid0(VALU_DEP_3)
	v_dual_mul_f32 v132, v126, v12 :: v_dual_fmac_f32 v27, v125, v9
	v_mul_f32_e32 v12, v127, v12
	v_mul_f32_e32 v2, v121, v2
	v_fmac_f32_e32 v26, v123, v3
	v_fma_f32 v121, v122, v3, -v4
	v_fma_f32 v122, v124, v9, -v10
	v_fmac_f32_e32 v132, v127, v11
	v_fma_f32 v123, v126, v11, -v12
	ds_load_2addr_b64 v[9:12], v21 offset0:63 offset1:64
	s_wait_loadcnt_dscnt 0x201
	v_mul_f32_e32 v125, v7, v16
	v_fma_f32 v120, v120, v1, -v2
	scratch_load_b128 v[1:4], off, off offset:152
	v_mul_f32_e32 v124, v5, v14
	v_mul_f32_e32 v14, v6, v14
	;; [unrolled: 1-line block ×3, first 2 shown]
	s_delay_alu instid0(VALU_DEP_3) | instskip(NEXT) | instid1(VALU_DEP_3)
	v_dual_fmac_f32 v125, v8, v15 :: v_dual_fmac_f32 v124, v6, v13
	v_fma_f32 v13, v5, v13, -v14
	s_delay_alu instid0(VALU_DEP_3)
	v_fma_f32 v14, v7, v15, -v16
	ds_load_2addr_b64 v[5:8], v21 offset0:65 offset1:66
	s_wait_loadcnt_dscnt 0x201
	v_mul_f32_e32 v15, v9, v18
	v_mul_f32_e32 v16, v10, v18
	;; [unrolled: 1-line block ×3, first 2 shown]
	s_delay_alu instid0(VALU_DEP_3) | instskip(NEXT) | instid1(VALU_DEP_3)
	v_dual_mul_f32 v20, v12, v20 :: v_dual_fmac_f32 v15, v10, v17
	v_fma_f32 v16, v9, v17, -v16
	s_delay_alu instid0(VALU_DEP_3) | instskip(NEXT) | instid1(VALU_DEP_3)
	v_fmac_f32_e32 v18, v12, v19
	v_fma_f32 v17, v11, v19, -v20
	scratch_load_b128 v[9:12], off, off offset:168
	s_wait_loadcnt_dscnt 0x100
	v_mul_f32_e32 v19, v5, v2
	v_mul_f32_e32 v2, v6, v2
	;; [unrolled: 1-line block ×3, first 2 shown]
	s_delay_alu instid0(VALU_DEP_3) | instskip(NEXT) | instid1(VALU_DEP_3)
	v_dual_mul_f32 v4, v8, v4 :: v_dual_fmac_f32 v19, v6, v1
	v_fma_f32 v126, v5, v1, -v2
	s_delay_alu instid0(VALU_DEP_3) | instskip(NEXT) | instid1(VALU_DEP_3)
	v_fmac_f32_e32 v20, v8, v3
	v_fma_f32 v127, v7, v3, -v4
	ds_load_2addr_b64 v[1:4], v21 offset0:67 offset1:68
	ds_load_2addr_b64 v[5:8], v21 offset0:69 offset1:70
	s_wait_loadcnt_dscnt 0x1
	v_mul_f32_e32 v133, v1, v10
	v_mul_f32_e32 v10, v2, v10
	s_delay_alu instid0(VALU_DEP_2) | instskip(NEXT) | instid1(VALU_DEP_2)
	v_dual_mul_f32 v134, v3, v12 :: v_dual_fmac_f32 v133, v2, v9
	v_fma_f32 v135, v1, v9, -v10
	v_mul_f32_e32 v1, v4, v12
	s_delay_alu instid0(VALU_DEP_3) | instskip(NEXT) | instid1(VALU_DEP_2)
	v_fmac_f32_e32 v134, v4, v11
	v_fma_f32 v136, v3, v11, -v1
	s_clause 0x1
	scratch_load_b128 v[1:4], off, off offset:184
	scratch_load_b128 v[9:12], off, off offset:200
	s_wait_loadcnt_dscnt 0x100
	v_mul_f32_e32 v137, v5, v2
	v_dual_mul_f32 v2, v6, v2 :: v_dual_mul_f32 v139, v7, v4
	s_delay_alu instid0(VALU_DEP_2) | instskip(NEXT) | instid1(VALU_DEP_2)
	v_fmac_f32_e32 v137, v6, v1
	v_fma_f32 v138, v5, v1, -v2
	v_mul_f32_e32 v1, v8, v4
	s_delay_alu instid0(VALU_DEP_4) | instskip(NEXT) | instid1(VALU_DEP_2)
	v_fmac_f32_e32 v139, v8, v3
	v_fma_f32 v140, v7, v3, -v1
	ds_load_2addr_b64 v[1:4], v21 offset0:71 offset1:72
	ds_load_2addr_b64 v[5:8], v21 offset0:73 offset1:74
	s_wait_loadcnt_dscnt 0x1
	v_mul_f32_e32 v141, v1, v10
	v_mul_f32_e32 v143, v3, v12
	s_delay_alu instid0(VALU_DEP_2) | instskip(NEXT) | instid1(VALU_DEP_2)
	v_fmac_f32_e32 v141, v2, v9
	v_dual_mul_f32 v2, v2, v10 :: v_dual_fmac_f32 v143, v4, v11
	s_delay_alu instid0(VALU_DEP_1) | instskip(SKIP_1) | instid1(VALU_DEP_1)
	v_fma_f32 v142, v1, v9, -v2
	v_mul_f32_e32 v1, v4, v12
	v_fma_f32 v144, v3, v11, -v1
	s_clause 0x1
	scratch_load_b128 v[1:4], off, off offset:216
	scratch_load_b128 v[9:12], off, off offset:232
	s_wait_loadcnt_dscnt 0x100
	v_mul_f32_e32 v145, v5, v2
	v_dual_mul_f32 v147, v7, v4 :: v_dual_mul_f32 v2, v6, v2
	s_delay_alu instid0(VALU_DEP_2) | instskip(NEXT) | instid1(VALU_DEP_2)
	v_fmac_f32_e32 v145, v6, v1
	v_fmac_f32_e32 v147, v8, v3
	s_delay_alu instid0(VALU_DEP_3) | instskip(SKIP_1) | instid1(VALU_DEP_1)
	v_fma_f32 v146, v5, v1, -v2
	v_mul_f32_e32 v1, v8, v4
	v_fma_f32 v148, v7, v3, -v1
	ds_load_2addr_b64 v[1:4], v21 offset0:75 offset1:76
	ds_load_2addr_b64 v[5:8], v21 offset0:77 offset1:78
	s_wait_loadcnt_dscnt 0x1
	v_mul_f32_e32 v149, v1, v10
	v_mul_f32_e32 v151, v3, v12
	s_delay_alu instid0(VALU_DEP_2) | instskip(NEXT) | instid1(VALU_DEP_2)
	v_fmac_f32_e32 v149, v2, v9
	v_dual_mul_f32 v2, v2, v10 :: v_dual_fmac_f32 v151, v4, v11
	s_delay_alu instid0(VALU_DEP_1) | instskip(SKIP_1) | instid1(VALU_DEP_1)
	v_fma_f32 v150, v1, v9, -v2
	v_mul_f32_e32 v1, v4, v12
	v_fma_f32 v152, v3, v11, -v1
	s_clause 0x1
	scratch_load_b128 v[1:4], off, off offset:248
	scratch_load_b128 v[9:12], off, off offset:264
	s_wait_loadcnt_dscnt 0x100
	v_mul_f32_e32 v153, v5, v2
	v_dual_mul_f32 v2, v6, v2 :: v_dual_mul_f32 v155, v7, v4
	s_delay_alu instid0(VALU_DEP_2) | instskip(NEXT) | instid1(VALU_DEP_2)
	v_fmac_f32_e32 v153, v6, v1
	v_fma_f32 v154, v5, v1, -v2
	v_mul_f32_e32 v1, v8, v4
	s_delay_alu instid0(VALU_DEP_4) | instskip(NEXT) | instid1(VALU_DEP_2)
	v_fmac_f32_e32 v155, v8, v3
	v_fma_f32 v156, v7, v3, -v1
	ds_load_2addr_b64 v[1:4], v21 offset0:79 offset1:80
	ds_load_2addr_b64 v[5:8], v21 offset0:81 offset1:82
	s_wait_loadcnt_dscnt 0x1
	v_mul_f32_e32 v157, v1, v10
	v_mul_f32_e32 v159, v3, v12
	s_delay_alu instid0(VALU_DEP_2) | instskip(NEXT) | instid1(VALU_DEP_2)
	v_fmac_f32_e32 v157, v2, v9
	v_dual_mul_f32 v2, v2, v10 :: v_dual_fmac_f32 v159, v4, v11
	s_delay_alu instid0(VALU_DEP_1) | instskip(SKIP_1) | instid1(VALU_DEP_1)
	v_fma_f32 v158, v1, v9, -v2
	v_mul_f32_e32 v1, v4, v12
	v_fma_f32 v160, v3, v11, -v1
	s_clause 0x1
	scratch_load_b128 v[1:4], off, off offset:280
	scratch_load_b128 v[9:12], off, off offset:296
	s_wait_loadcnt_dscnt 0x100
	v_mul_f32_e32 v161, v5, v2
	v_mul_f32_e32 v2, v6, v2
	s_delay_alu instid0(VALU_DEP_1) | instskip(SKIP_1) | instid1(VALU_DEP_1)
	v_fma_f32 v162, v5, v1, -v2
	v_add_f32_e32 v2, 0, v130
	v_add_f32_e32 v2, v2, v131
	s_delay_alu instid0(VALU_DEP_1) | instskip(NEXT) | instid1(VALU_DEP_1)
	v_add_f32_e32 v2, v2, v25
	v_add_f32_e32 v2, v2, v26
	s_delay_alu instid0(VALU_DEP_1) | instskip(NEXT) | instid1(VALU_DEP_1)
	;; [unrolled: 3-line block ×4, first 2 shown]
	v_add_f32_e32 v2, v2, v15
	v_add_f32_e32 v2, v2, v18
	s_delay_alu instid0(VALU_DEP_1) | instskip(SKIP_2) | instid1(VALU_DEP_3)
	v_add_f32_e32 v2, v2, v19
	v_fmac_f32_e32 v161, v6, v1
	v_mul_f32_e32 v1, v8, v4
	v_add_f32_e32 v2, v2, v20
	s_delay_alu instid0(VALU_DEP_2) | instskip(SKIP_1) | instid1(VALU_DEP_1)
	v_fma_f32 v164, v7, v3, -v1
	v_add_f32_e32 v1, 0, v22
	v_add_f32_e32 v1, v1, v24
	s_delay_alu instid0(VALU_DEP_1) | instskip(NEXT) | instid1(VALU_DEP_1)
	v_add_f32_e32 v1, v1, v120
	v_add_f32_e32 v1, v1, v121
	scratch_load_b64 v[120:121], off, off offset:360
	v_add_f32_e32 v1, v1, v122
	s_delay_alu instid0(VALU_DEP_1) | instskip(NEXT) | instid1(VALU_DEP_1)
	v_add_f32_e32 v1, v1, v123
	v_add_f32_e32 v1, v1, v13
	s_delay_alu instid0(VALU_DEP_1) | instskip(NEXT) | instid1(VALU_DEP_1)
	v_add_f32_e32 v1, v1, v14
	;; [unrolled: 3-line block ×5, first 2 shown]
	v_dual_mul_f32 v163, v7, v4 :: v_dual_add_f32 v6, v6, v138
	s_delay_alu instid0(VALU_DEP_1) | instskip(NEXT) | instid1(VALU_DEP_2)
	v_fmac_f32_e32 v163, v8, v3
	v_add_f32_e32 v13, v6, v140
	s_delay_alu instid0(VALU_DEP_1) | instskip(NEXT) | instid1(VALU_DEP_1)
	v_add_f32_e32 v13, v13, v142
	v_add_f32_e32 v13, v13, v144
	s_delay_alu instid0(VALU_DEP_1) | instskip(SKIP_4) | instid1(VALU_DEP_1)
	v_add_f32_e32 v13, v13, v146
	v_add_f32_e32 v5, v2, v133
	ds_load_2addr_b64 v[1:4], v21 offset0:83 offset1:84
	v_add_f32_e32 v18, v13, v148
	v_add_f32_e32 v5, v5, v134
	v_dual_add_f32 v18, v18, v150 :: v_dual_add_f32 v5, v5, v137
	s_delay_alu instid0(VALU_DEP_1) | instskip(NEXT) | instid1(VALU_DEP_2)
	v_add_f32_e32 v18, v18, v152
	v_add_f32_e32 v14, v5, v139
	ds_load_2addr_b64 v[5:8], v21 offset0:85 offset1:86
	v_add_f32_e32 v18, v18, v154
	v_add_f32_e32 v14, v14, v141
	s_wait_loadcnt_dscnt 0x101
	v_mul_f32_e32 v22, v1, v10
	v_mul_f32_e32 v10, v2, v10
	;; [unrolled: 1-line block ×4, first 2 shown]
	v_add_f32_e32 v14, v14, v143
	v_fmac_f32_e32 v22, v2, v9
	v_fma_f32 v125, v1, v9, -v10
	v_fmac_f32_e32 v124, v4, v11
	v_fma_f32 v126, v3, v11, -v12
	s_clause 0x1
	scratch_load_b128 v[1:4], off, off offset:312
	scratch_load_b128 v[9:12], off, off offset:328
	v_add_f32_e32 v17, v14, v145
	scratch_load_b128 v[13:16], off, off offset:344
	v_dual_add_f32 v18, v18, v156 :: v_dual_add_f32 v17, v17, v147
	s_delay_alu instid0(VALU_DEP_1) | instskip(NEXT) | instid1(VALU_DEP_1)
	v_dual_add_f32 v122, v18, v158 :: v_dual_add_f32 v17, v17, v149
	v_add_f32_e32 v127, v122, v160
	s_wait_loadcnt_dscnt 0x200
	s_delay_alu instid0(VALU_DEP_2) | instskip(NEXT) | instid1(VALU_DEP_1)
	v_dual_add_f32 v17, v17, v151 :: v_dual_mul_f32 v132, v7, v4
	v_dual_add_f32 v17, v17, v153 :: v_dual_mul_f32 v4, v8, v4
	s_delay_alu instid0(VALU_DEP_2) | instskip(NEXT) | instid1(VALU_DEP_2)
	v_dual_fmac_f32 v132, v8, v3 :: v_dual_mul_f32 v131, v5, v2
	v_add_f32_e32 v24, v17, v155
	ds_load_2addr_b64 v[17:20], v21 offset0:87 offset1:88
	v_mul_f32_e32 v2, v6, v2
	v_fmac_f32_e32 v131, v6, v1
	v_add_f32_e32 v127, v127, v162
	s_delay_alu instid0(VALU_DEP_3) | instskip(SKIP_1) | instid1(VALU_DEP_3)
	v_fma_f32 v2, v5, v1, -v2
	v_fma_f32 v1, v7, v3, -v4
	v_add_f32_e32 v127, v127, v164
	s_delay_alu instid0(VALU_DEP_1) | instskip(NEXT) | instid1(VALU_DEP_1)
	v_add_f32_e32 v125, v127, v125
	v_add_f32_e32 v125, v125, v126
	;; [unrolled: 1-line block ×3, first 2 shown]
	ds_load_2addr_b64 v[24:27], v21 offset0:89 offset1:90
	s_wait_loadcnt_dscnt 0x101
	v_mul_f32_e32 v3, v18, v10
	v_add_f32_e32 v2, v125, v2
	v_add_f32_e32 v130, v123, v159
	ds_load_b64 v[122:123], v21 offset:728
	v_fma_f32 v3, v17, v9, -v3
	v_add_f32_e32 v1, v2, v1
	v_add_f32_e32 v130, v130, v161
	s_delay_alu instid0(VALU_DEP_1) | instskip(NEXT) | instid1(VALU_DEP_1)
	v_add_f32_e32 v130, v130, v163
	v_add_f32_e32 v22, v130, v22
	s_wait_loadcnt_dscnt 0x1
	v_dual_mul_f32 v126, v26, v16 :: v_dual_mul_f32 v127, v17, v10
	v_mul_f32_e32 v130, v19, v12
	s_delay_alu instid0(VALU_DEP_3) | instskip(NEXT) | instid1(VALU_DEP_3)
	v_add_f32_e32 v22, v22, v124
	v_dual_fmac_f32 v126, v27, v15 :: v_dual_fmac_f32 v127, v18, v9
	s_wait_dscnt 0x0
	v_dual_mul_f32 v124, v122, v121 :: v_dual_mul_f32 v133, v24, v14
	s_delay_alu instid0(VALU_DEP_3) | instskip(SKIP_1) | instid1(VALU_DEP_3)
	v_add_f32_e32 v4, v22, v131
	v_fmac_f32_e32 v130, v20, v11
	v_dual_fmac_f32 v124, v123, v120 :: v_dual_fmac_f32 v133, v25, v13
	s_delay_alu instid0(VALU_DEP_3) | instskip(SKIP_1) | instid1(VALU_DEP_2)
	v_add_f32_e32 v2, v4, v132
	v_mul_f32_e32 v4, v25, v14
	v_dual_add_f32 v2, v2, v127 :: v_dual_mul_f32 v5, v20, v12
	s_delay_alu instid0(VALU_DEP_2) | instskip(NEXT) | instid1(VALU_DEP_2)
	v_fma_f32 v4, v24, v13, -v4
	v_add_f32_e32 v2, v2, v130
	s_delay_alu instid0(VALU_DEP_3) | instskip(NEXT) | instid1(VALU_DEP_2)
	v_fma_f32 v5, v19, v11, -v5
	v_dual_add_f32 v2, v2, v133 :: v_dual_add_f32 v1, v1, v3
	s_delay_alu instid0(VALU_DEP_1) | instskip(NEXT) | instid1(VALU_DEP_2)
	v_dual_mul_f32 v3, v27, v16 :: v_dual_add_f32 v2, v2, v126
	v_add_f32_e32 v1, v1, v5
	v_mul_f32_e32 v5, v123, v121
	s_delay_alu instid0(VALU_DEP_3) | instskip(NEXT) | instid1(VALU_DEP_4)
	v_fma_f32 v3, v26, v15, -v3
	v_add_f32_e32 v2, v2, v124
	s_delay_alu instid0(VALU_DEP_4) | instskip(NEXT) | instid1(VALU_DEP_4)
	v_add_f32_e32 v1, v1, v4
	v_fma_f32 v4, v122, v120, -v5
	s_delay_alu instid0(VALU_DEP_3) | instskip(NEXT) | instid1(VALU_DEP_3)
	v_sub_f32_e32 v2, v129, v2
	v_add_f32_e32 v1, v1, v3
	s_delay_alu instid0(VALU_DEP_1) | instskip(NEXT) | instid1(VALU_DEP_1)
	v_add_f32_e32 v1, v1, v4
	v_sub_f32_e32 v1, v128, v1
	scratch_store_b64 off, v[1:2], off offset:64
	v_cmpx_lt_u32_e32 7, v0
	s_cbranch_execz .LBB109_275
; %bb.274:
	scratch_load_b64 v[1:2], off, off offset:56
	v_mov_b32_e32 v22, v21
	scratch_store_b64 off, v[21:22], off offset:56
	s_wait_loadcnt 0x0
	ds_store_b64 v23, v[1:2]
.LBB109_275:
	s_wait_alu 0xfffe
	s_or_b32 exec_lo, exec_lo, s0
	s_wait_storecnt_dscnt 0x0
	s_barrier_signal -1
	s_barrier_wait -1
	global_inv scope:SCOPE_SE
	s_clause 0x4
	scratch_load_b128 v[5:8], off, off offset:64
	scratch_load_b128 v[1:4], off, off offset:80
	;; [unrolled: 1-line block ×5, first 2 shown]
	ds_load_b128 v[24:27], v21 offset:432
	ds_load_b128 v[120:123], v21 offset:448
	;; [unrolled: 1-line block ×3, first 2 shown]
	scratch_load_b64 v[128:129], off, off offset:56
	s_mov_b32 s0, exec_lo
	s_wait_loadcnt_dscnt 0x502
	v_dual_mul_f32 v22, v25, v6 :: v_dual_mul_f32 v131, v26, v8
	v_mul_f32_e32 v130, v24, v6
	v_mul_f32_e32 v6, v27, v8
	s_wait_loadcnt_dscnt 0x300
	v_mul_f32_e32 v132, v126, v12
	v_fma_f32 v22, v24, v5, -v22
	v_dual_fmac_f32 v131, v27, v7 :: v_dual_fmac_f32 v130, v25, v5
	v_mul_f32_e32 v27, v124, v10
	v_mul_f32_e32 v25, v120, v2
	v_fma_f32 v24, v26, v7, -v6
	ds_load_b128 v[5:8], v21 offset:480
	v_mul_f32_e32 v26, v122, v4
	v_dual_mul_f32 v4, v123, v4 :: v_dual_fmac_f32 v27, v125, v9
	v_mul_f32_e32 v10, v125, v10
	v_mul_f32_e32 v12, v127, v12
	;; [unrolled: 1-line block ×3, first 2 shown]
	v_dual_fmac_f32 v25, v121, v1 :: v_dual_fmac_f32 v26, v123, v3
	v_fma_f32 v121, v122, v3, -v4
	v_fma_f32 v122, v124, v9, -v10
	v_fmac_f32_e32 v132, v127, v11
	v_fma_f32 v123, v126, v11, -v12
	ds_load_b128 v[9:12], v21 offset:496
	s_wait_loadcnt_dscnt 0x201
	v_mul_f32_e32 v125, v7, v16
	v_fma_f32 v120, v120, v1, -v2
	scratch_load_b128 v[1:4], off, off offset:144
	v_mul_f32_e32 v124, v5, v14
	v_mul_f32_e32 v14, v6, v14
	;; [unrolled: 1-line block ×3, first 2 shown]
	s_delay_alu instid0(VALU_DEP_3) | instskip(NEXT) | instid1(VALU_DEP_3)
	v_dual_fmac_f32 v125, v8, v15 :: v_dual_fmac_f32 v124, v6, v13
	v_fma_f32 v13, v5, v13, -v14
	s_delay_alu instid0(VALU_DEP_3)
	v_fma_f32 v14, v7, v15, -v16
	ds_load_b128 v[5:8], v21 offset:512
	s_wait_loadcnt_dscnt 0x201
	v_mul_f32_e32 v15, v9, v18
	v_mul_f32_e32 v16, v10, v18
	;; [unrolled: 1-line block ×3, first 2 shown]
	s_delay_alu instid0(VALU_DEP_3) | instskip(NEXT) | instid1(VALU_DEP_3)
	v_dual_mul_f32 v20, v12, v20 :: v_dual_fmac_f32 v15, v10, v17
	v_fma_f32 v16, v9, v17, -v16
	s_delay_alu instid0(VALU_DEP_3) | instskip(NEXT) | instid1(VALU_DEP_3)
	v_fmac_f32_e32 v18, v12, v19
	v_fma_f32 v17, v11, v19, -v20
	scratch_load_b128 v[9:12], off, off offset:160
	s_wait_loadcnt_dscnt 0x100
	v_mul_f32_e32 v19, v5, v2
	v_mul_f32_e32 v2, v6, v2
	;; [unrolled: 1-line block ×3, first 2 shown]
	s_delay_alu instid0(VALU_DEP_3) | instskip(NEXT) | instid1(VALU_DEP_3)
	v_dual_mul_f32 v4, v8, v4 :: v_dual_fmac_f32 v19, v6, v1
	v_fma_f32 v126, v5, v1, -v2
	s_delay_alu instid0(VALU_DEP_3) | instskip(NEXT) | instid1(VALU_DEP_3)
	v_fmac_f32_e32 v20, v8, v3
	v_fma_f32 v127, v7, v3, -v4
	ds_load_b128 v[1:4], v21 offset:528
	ds_load_b128 v[5:8], v21 offset:544
	s_wait_loadcnt_dscnt 0x1
	v_mul_f32_e32 v133, v1, v10
	v_mul_f32_e32 v10, v2, v10
	s_delay_alu instid0(VALU_DEP_2) | instskip(NEXT) | instid1(VALU_DEP_2)
	v_dual_mul_f32 v134, v3, v12 :: v_dual_fmac_f32 v133, v2, v9
	v_fma_f32 v135, v1, v9, -v10
	v_mul_f32_e32 v1, v4, v12
	s_delay_alu instid0(VALU_DEP_3) | instskip(NEXT) | instid1(VALU_DEP_2)
	v_fmac_f32_e32 v134, v4, v11
	v_fma_f32 v136, v3, v11, -v1
	s_clause 0x1
	scratch_load_b128 v[1:4], off, off offset:176
	scratch_load_b128 v[9:12], off, off offset:192
	s_wait_loadcnt_dscnt 0x100
	v_mul_f32_e32 v137, v5, v2
	v_dual_mul_f32 v2, v6, v2 :: v_dual_mul_f32 v139, v7, v4
	s_delay_alu instid0(VALU_DEP_2) | instskip(NEXT) | instid1(VALU_DEP_2)
	v_fmac_f32_e32 v137, v6, v1
	v_fma_f32 v138, v5, v1, -v2
	v_mul_f32_e32 v1, v8, v4
	s_delay_alu instid0(VALU_DEP_4) | instskip(NEXT) | instid1(VALU_DEP_2)
	v_fmac_f32_e32 v139, v8, v3
	v_fma_f32 v140, v7, v3, -v1
	ds_load_b128 v[1:4], v21 offset:560
	ds_load_b128 v[5:8], v21 offset:576
	s_wait_loadcnt_dscnt 0x1
	v_mul_f32_e32 v141, v1, v10
	v_mul_f32_e32 v143, v3, v12
	s_delay_alu instid0(VALU_DEP_2) | instskip(NEXT) | instid1(VALU_DEP_2)
	v_fmac_f32_e32 v141, v2, v9
	v_dual_mul_f32 v2, v2, v10 :: v_dual_fmac_f32 v143, v4, v11
	s_delay_alu instid0(VALU_DEP_1) | instskip(SKIP_1) | instid1(VALU_DEP_1)
	v_fma_f32 v142, v1, v9, -v2
	v_mul_f32_e32 v1, v4, v12
	v_fma_f32 v144, v3, v11, -v1
	s_clause 0x1
	scratch_load_b128 v[1:4], off, off offset:208
	scratch_load_b128 v[9:12], off, off offset:224
	s_wait_loadcnt_dscnt 0x100
	v_mul_f32_e32 v145, v5, v2
	v_dual_mul_f32 v2, v6, v2 :: v_dual_mul_f32 v147, v7, v4
	s_delay_alu instid0(VALU_DEP_2) | instskip(NEXT) | instid1(VALU_DEP_2)
	v_fmac_f32_e32 v145, v6, v1
	v_fma_f32 v146, v5, v1, -v2
	v_mul_f32_e32 v1, v8, v4
	s_delay_alu instid0(VALU_DEP_4) | instskip(NEXT) | instid1(VALU_DEP_2)
	v_fmac_f32_e32 v147, v8, v3
	v_fma_f32 v148, v7, v3, -v1
	ds_load_b128 v[1:4], v21 offset:592
	ds_load_b128 v[5:8], v21 offset:608
	s_wait_loadcnt_dscnt 0x1
	v_mul_f32_e32 v149, v1, v10
	v_mul_f32_e32 v151, v3, v12
	s_delay_alu instid0(VALU_DEP_2) | instskip(NEXT) | instid1(VALU_DEP_2)
	v_fmac_f32_e32 v149, v2, v9
	v_dual_mul_f32 v2, v2, v10 :: v_dual_fmac_f32 v151, v4, v11
	s_delay_alu instid0(VALU_DEP_1) | instskip(SKIP_1) | instid1(VALU_DEP_1)
	v_fma_f32 v150, v1, v9, -v2
	v_mul_f32_e32 v1, v4, v12
	;; [unrolled: 25-line block ×3, first 2 shown]
	v_fma_f32 v160, v3, v11, -v1
	s_clause 0x1
	scratch_load_b128 v[1:4], off, off offset:272
	scratch_load_b128 v[9:12], off, off offset:288
	s_wait_loadcnt_dscnt 0x100
	v_mul_f32_e32 v161, v5, v2
	v_mul_f32_e32 v2, v6, v2
	s_delay_alu instid0(VALU_DEP_1) | instskip(SKIP_1) | instid1(VALU_DEP_1)
	v_fma_f32 v162, v5, v1, -v2
	v_add_f32_e32 v2, 0, v130
	v_add_f32_e32 v2, v2, v131
	s_delay_alu instid0(VALU_DEP_1) | instskip(NEXT) | instid1(VALU_DEP_1)
	v_add_f32_e32 v2, v2, v25
	v_add_f32_e32 v2, v2, v26
	s_delay_alu instid0(VALU_DEP_1) | instskip(NEXT) | instid1(VALU_DEP_1)
	;; [unrolled: 3-line block ×4, first 2 shown]
	v_dual_add_f32 v2, v2, v15 :: v_dual_mul_f32 v163, v7, v4
	v_add_f32_e32 v2, v2, v18
	s_delay_alu instid0(VALU_DEP_1) | instskip(SKIP_1) | instid1(VALU_DEP_2)
	v_add_f32_e32 v2, v2, v19
	v_fmac_f32_e32 v161, v6, v1
	v_dual_fmac_f32 v163, v8, v3 :: v_dual_add_f32 v2, v2, v20
	s_delay_alu instid0(VALU_DEP_1) | instskip(NEXT) | instid1(VALU_DEP_1)
	v_dual_mul_f32 v1, v8, v4 :: v_dual_add_f32 v2, v2, v133
	v_fma_f32 v164, v7, v3, -v1
	v_add_f32_e32 v1, 0, v22
	s_delay_alu instid0(VALU_DEP_3) | instskip(NEXT) | instid1(VALU_DEP_2)
	v_add_f32_e32 v5, v2, v134
	v_add_f32_e32 v1, v1, v24
	s_delay_alu instid0(VALU_DEP_1) | instskip(NEXT) | instid1(VALU_DEP_1)
	v_add_f32_e32 v1, v1, v120
	v_add_f32_e32 v1, v1, v121
	s_delay_alu instid0(VALU_DEP_1) | instskip(NEXT) | instid1(VALU_DEP_1)
	v_add_f32_e32 v1, v1, v122
	v_add_f32_e32 v1, v1, v123
	s_delay_alu instid0(VALU_DEP_1) | instskip(SKIP_1) | instid1(VALU_DEP_2)
	v_add_f32_e32 v1, v1, v13
	v_add_f32_e32 v13, v5, v137
	;; [unrolled: 1-line block ×3, first 2 shown]
	s_delay_alu instid0(VALU_DEP_2) | instskip(NEXT) | instid1(VALU_DEP_1)
	v_add_f32_e32 v13, v13, v139
	v_add_f32_e32 v13, v13, v141
	s_delay_alu instid0(VALU_DEP_1) | instskip(NEXT) | instid1(VALU_DEP_1)
	v_add_f32_e32 v18, v13, v143
	v_dual_add_f32 v18, v18, v145 :: v_dual_add_f32 v1, v1, v16
	s_delay_alu instid0(VALU_DEP_1) | instskip(NEXT) | instid1(VALU_DEP_1)
	v_add_f32_e32 v18, v18, v147
	v_add_f32_e32 v24, v18, v149
	s_delay_alu instid0(VALU_DEP_1) | instskip(NEXT) | instid1(VALU_DEP_1)
	v_dual_add_f32 v1, v1, v17 :: v_dual_add_f32 v24, v24, v151
	v_add_f32_e32 v1, v1, v126
	s_delay_alu instid0(VALU_DEP_1) | instskip(NEXT) | instid1(VALU_DEP_1)
	v_add_f32_e32 v1, v1, v127
	v_add_f32_e32 v1, v1, v135
	s_delay_alu instid0(VALU_DEP_1) | instskip(NEXT) | instid1(VALU_DEP_1)
	v_add_f32_e32 v1, v1, v136
	v_add_f32_e32 v6, v1, v138
	ds_load_b128 v[1:4], v21 offset:656
	v_add_f32_e32 v24, v24, v153
	v_add_f32_e32 v14, v6, v140
	scratch_load_b128 v[5:8], off, off offset:304
	v_add_f32_e32 v14, v14, v142
	s_delay_alu instid0(VALU_DEP_1)
	v_add_f32_e32 v17, v14, v144
	ds_load_b128 v[13:16], v21 offset:672
	s_wait_loadcnt_dscnt 0x101
	v_mul_f32_e32 v22, v1, v10
	v_mul_f32_e32 v10, v2, v10
	;; [unrolled: 1-line block ×4, first 2 shown]
	s_delay_alu instid0(VALU_DEP_4) | instskip(NEXT) | instid1(VALU_DEP_4)
	v_fmac_f32_e32 v22, v2, v9
	v_fma_f32 v121, v1, v9, -v10
	s_delay_alu instid0(VALU_DEP_4) | instskip(NEXT) | instid1(VALU_DEP_4)
	v_fmac_f32_e32 v120, v4, v11
	v_fma_f32 v122, v3, v11, -v12
	s_clause 0x1
	scratch_load_b128 v[1:4], off, off offset:320
	scratch_load_b128 v[9:12], off, off offset:336
	s_wait_loadcnt_dscnt 0x200
	v_mul_f32_e32 v123, v13, v6
	v_mul_f32_e32 v6, v14, v6
	;; [unrolled: 1-line block ×3, first 2 shown]
	s_delay_alu instid0(VALU_DEP_3) | instskip(NEXT) | instid1(VALU_DEP_3)
	v_dual_mul_f32 v8, v16, v8 :: v_dual_fmac_f32 v123, v14, v5
	v_fma_f32 v125, v13, v5, -v6
	s_delay_alu instid0(VALU_DEP_3) | instskip(NEXT) | instid1(VALU_DEP_3)
	v_fmac_f32_e32 v124, v16, v7
	v_fma_f32 v126, v15, v7, -v8
	ds_load_b128 v[5:8], v21 offset:688
	v_add_f32_e32 v17, v17, v146
	v_add_f32_e32 v13, v24, v155
	s_delay_alu instid0(VALU_DEP_2) | instskip(NEXT) | instid1(VALU_DEP_1)
	v_add_f32_e32 v17, v17, v148
	v_add_f32_e32 v17, v17, v150
	s_delay_alu instid0(VALU_DEP_1) | instskip(SKIP_2) | instid1(VALU_DEP_1)
	v_add_f32_e32 v25, v17, v152
	scratch_load_b128 v[17:20], off, off offset:352
	v_add_f32_e32 v25, v25, v154
	v_add_f32_e32 v25, v25, v156
	s_delay_alu instid0(VALU_DEP_1)
	v_add_f32_e32 v24, v25, v158
	v_add_f32_e32 v25, v13, v157
	ds_load_b128 v[13:16], v21 offset:704
	v_dual_add_f32 v127, v24, v160 :: v_dual_add_f32 v130, v25, v159
	ds_load_b128 v[24:27], v21 offset:720
	v_add_f32_e32 v21, v127, v162
	s_delay_alu instid0(VALU_DEP_1) | instskip(SKIP_2) | instid1(VALU_DEP_1)
	v_add_f32_e32 v21, v21, v164
	s_wait_loadcnt_dscnt 0x101
	v_mul_f32_e32 v131, v15, v12
	v_fmac_f32_e32 v131, v16, v11
	s_delay_alu instid0(VALU_DEP_3) | instskip(NEXT) | instid1(VALU_DEP_1)
	v_add_f32_e32 v21, v21, v121
	v_add_f32_e32 v21, v21, v122
	s_wait_loadcnt_dscnt 0x0
	s_delay_alu instid0(VALU_DEP_1) | instskip(SKIP_2) | instid1(VALU_DEP_3)
	v_dual_add_f32 v21, v21, v125 :: v_dual_mul_f32 v122, v26, v20
	v_dual_add_f32 v127, v130, v161 :: v_dual_mul_f32 v130, v5, v2
	v_mul_f32_e32 v2, v6, v2
	v_fmac_f32_e32 v122, v27, v19
	s_delay_alu instid0(VALU_DEP_3)
	v_add_f32_e32 v127, v127, v163
	v_mul_f32_e32 v121, v7, v4
	v_mul_f32_e32 v4, v8, v4
	v_fma_f32 v2, v5, v1, -v2
	v_fmac_f32_e32 v130, v6, v1
	v_add_f32_e32 v22, v127, v22
	v_add_f32_e32 v1, v21, v126
	v_dual_mul_f32 v6, v14, v10 :: v_dual_fmac_f32 v121, v8, v3
	v_fma_f32 v3, v7, v3, -v4
	s_delay_alu instid0(VALU_DEP_4) | instskip(SKIP_2) | instid1(VALU_DEP_3)
	v_add_f32_e32 v22, v22, v120
	v_mul_f32_e32 v120, v24, v18
	v_dual_add_f32 v1, v1, v2 :: v_dual_mul_f32 v4, v16, v12
	v_add_f32_e32 v22, v22, v123
	s_delay_alu instid0(VALU_DEP_3) | instskip(SKIP_1) | instid1(VALU_DEP_4)
	v_fmac_f32_e32 v120, v25, v17
	v_mul_f32_e32 v127, v13, v10
	v_add_f32_e32 v1, v1, v3
	v_mul_f32_e32 v3, v25, v18
	v_add_f32_e32 v5, v22, v124
	v_fma_f32 v4, v15, v11, -v4
	v_fmac_f32_e32 v127, v14, v9
	s_delay_alu instid0(VALU_DEP_4) | instskip(NEXT) | instid1(VALU_DEP_4)
	v_fma_f32 v3, v24, v17, -v3
	v_add_f32_e32 v2, v5, v130
	v_fma_f32 v5, v13, v9, -v6
	s_delay_alu instid0(VALU_DEP_2) | instskip(NEXT) | instid1(VALU_DEP_2)
	v_add_f32_e32 v2, v2, v121
	v_add_f32_e32 v1, v1, v5
	s_delay_alu instid0(VALU_DEP_2) | instskip(NEXT) | instid1(VALU_DEP_2)
	v_dual_mul_f32 v5, v27, v20 :: v_dual_add_f32 v2, v2, v127
	v_add_f32_e32 v1, v1, v4
	s_delay_alu instid0(VALU_DEP_2) | instskip(NEXT) | instid1(VALU_DEP_3)
	v_fma_f32 v4, v26, v19, -v5
	v_add_f32_e32 v2, v2, v131
	s_delay_alu instid0(VALU_DEP_1) | instskip(NEXT) | instid1(VALU_DEP_1)
	v_dual_add_f32 v1, v1, v3 :: v_dual_add_f32 v2, v2, v120
	v_dual_add_f32 v1, v1, v4 :: v_dual_add_f32 v2, v2, v122
	s_delay_alu instid0(VALU_DEP_1)
	v_dual_sub_f32 v1, v128, v1 :: v_dual_sub_f32 v2, v129, v2
	scratch_store_b64 off, v[1:2], off offset:56
	v_cmpx_lt_u32_e32 6, v0
	s_cbranch_execz .LBB109_277
; %bb.276:
	scratch_load_b64 v[1:2], off, off offset:48
	v_mov_b32_e32 v3, 0
	s_delay_alu instid0(VALU_DEP_1)
	v_mov_b32_e32 v4, v3
	scratch_store_b64 off, v[3:4], off offset:48
	s_wait_loadcnt 0x0
	ds_store_b64 v23, v[1:2]
.LBB109_277:
	s_wait_alu 0xfffe
	s_or_b32 exec_lo, exec_lo, s0
	s_wait_storecnt_dscnt 0x0
	s_barrier_signal -1
	s_barrier_wait -1
	global_inv scope:SCOPE_SE
	s_clause 0x4
	scratch_load_b128 v[5:8], off, off offset:56
	scratch_load_b128 v[1:4], off, off offset:72
	;; [unrolled: 1-line block ×5, first 2 shown]
	v_mov_b32_e32 v21, 0
	ds_load_2addr_b64 v[24:27], v21 offset0:53 offset1:54
	ds_load_2addr_b64 v[120:123], v21 offset0:55 offset1:56
	;; [unrolled: 1-line block ×3, first 2 shown]
	scratch_load_b64 v[128:129], off, off offset:48
	s_mov_b32 s0, exec_lo
	s_wait_loadcnt_dscnt 0x502
	v_mul_f32_e32 v22, v25, v6
	v_dual_mul_f32 v130, v24, v6 :: v_dual_mul_f32 v131, v26, v8
	v_mul_f32_e32 v6, v27, v8
	s_delay_alu instid0(VALU_DEP_3) | instskip(NEXT) | instid1(VALU_DEP_3)
	v_fma_f32 v22, v24, v5, -v22
	v_dual_fmac_f32 v130, v25, v5 :: v_dual_fmac_f32 v131, v27, v7
	s_wait_loadcnt_dscnt 0x401
	v_mul_f32_e32 v25, v120, v2
	v_fma_f32 v24, v26, v7, -v6
	ds_load_2addr_b64 v[5:8], v21 offset0:59 offset1:60
	s_wait_loadcnt_dscnt 0x301
	v_dual_mul_f32 v26, v122, v4 :: v_dual_mul_f32 v27, v124, v10
	v_dual_mul_f32 v4, v123, v4 :: v_dual_fmac_f32 v25, v121, v1
	v_mul_f32_e32 v10, v125, v10
	s_delay_alu instid0(VALU_DEP_3)
	v_dual_mul_f32 v132, v126, v12 :: v_dual_fmac_f32 v27, v125, v9
	v_mul_f32_e32 v12, v127, v12
	v_mul_f32_e32 v2, v121, v2
	v_fmac_f32_e32 v26, v123, v3
	v_fma_f32 v121, v122, v3, -v4
	v_fma_f32 v122, v124, v9, -v10
	v_fmac_f32_e32 v132, v127, v11
	v_fma_f32 v123, v126, v11, -v12
	ds_load_2addr_b64 v[9:12], v21 offset0:61 offset1:62
	s_wait_loadcnt_dscnt 0x201
	v_mul_f32_e32 v125, v7, v16
	v_fma_f32 v120, v120, v1, -v2
	scratch_load_b128 v[1:4], off, off offset:136
	v_mul_f32_e32 v124, v5, v14
	v_mul_f32_e32 v14, v6, v14
	;; [unrolled: 1-line block ×3, first 2 shown]
	s_delay_alu instid0(VALU_DEP_3) | instskip(NEXT) | instid1(VALU_DEP_3)
	v_dual_fmac_f32 v125, v8, v15 :: v_dual_fmac_f32 v124, v6, v13
	v_fma_f32 v13, v5, v13, -v14
	s_delay_alu instid0(VALU_DEP_3)
	v_fma_f32 v14, v7, v15, -v16
	ds_load_2addr_b64 v[5:8], v21 offset0:63 offset1:64
	s_wait_loadcnt_dscnt 0x201
	v_mul_f32_e32 v15, v9, v18
	v_mul_f32_e32 v16, v10, v18
	;; [unrolled: 1-line block ×3, first 2 shown]
	s_delay_alu instid0(VALU_DEP_3) | instskip(NEXT) | instid1(VALU_DEP_3)
	v_dual_mul_f32 v20, v12, v20 :: v_dual_fmac_f32 v15, v10, v17
	v_fma_f32 v16, v9, v17, -v16
	s_delay_alu instid0(VALU_DEP_3) | instskip(NEXT) | instid1(VALU_DEP_3)
	v_fmac_f32_e32 v18, v12, v19
	v_fma_f32 v17, v11, v19, -v20
	scratch_load_b128 v[9:12], off, off offset:152
	s_wait_loadcnt_dscnt 0x100
	v_mul_f32_e32 v19, v5, v2
	v_mul_f32_e32 v2, v6, v2
	;; [unrolled: 1-line block ×3, first 2 shown]
	s_delay_alu instid0(VALU_DEP_3) | instskip(NEXT) | instid1(VALU_DEP_3)
	v_dual_mul_f32 v4, v8, v4 :: v_dual_fmac_f32 v19, v6, v1
	v_fma_f32 v126, v5, v1, -v2
	s_delay_alu instid0(VALU_DEP_3) | instskip(NEXT) | instid1(VALU_DEP_3)
	v_fmac_f32_e32 v20, v8, v3
	v_fma_f32 v127, v7, v3, -v4
	ds_load_2addr_b64 v[1:4], v21 offset0:65 offset1:66
	ds_load_2addr_b64 v[5:8], v21 offset0:67 offset1:68
	s_wait_loadcnt_dscnt 0x1
	v_mul_f32_e32 v133, v1, v10
	v_mul_f32_e32 v10, v2, v10
	s_delay_alu instid0(VALU_DEP_2) | instskip(NEXT) | instid1(VALU_DEP_2)
	v_dual_mul_f32 v134, v3, v12 :: v_dual_fmac_f32 v133, v2, v9
	v_fma_f32 v135, v1, v9, -v10
	v_mul_f32_e32 v1, v4, v12
	s_delay_alu instid0(VALU_DEP_3) | instskip(NEXT) | instid1(VALU_DEP_2)
	v_fmac_f32_e32 v134, v4, v11
	v_fma_f32 v136, v3, v11, -v1
	s_clause 0x1
	scratch_load_b128 v[1:4], off, off offset:168
	scratch_load_b128 v[9:12], off, off offset:184
	s_wait_loadcnt_dscnt 0x100
	v_mul_f32_e32 v137, v5, v2
	v_dual_mul_f32 v2, v6, v2 :: v_dual_mul_f32 v139, v7, v4
	s_delay_alu instid0(VALU_DEP_2) | instskip(NEXT) | instid1(VALU_DEP_2)
	v_fmac_f32_e32 v137, v6, v1
	v_fma_f32 v138, v5, v1, -v2
	v_mul_f32_e32 v1, v8, v4
	s_delay_alu instid0(VALU_DEP_4) | instskip(NEXT) | instid1(VALU_DEP_2)
	v_fmac_f32_e32 v139, v8, v3
	v_fma_f32 v140, v7, v3, -v1
	ds_load_2addr_b64 v[1:4], v21 offset0:69 offset1:70
	ds_load_2addr_b64 v[5:8], v21 offset0:71 offset1:72
	s_wait_loadcnt_dscnt 0x1
	v_mul_f32_e32 v141, v1, v10
	v_mul_f32_e32 v143, v3, v12
	s_delay_alu instid0(VALU_DEP_2) | instskip(NEXT) | instid1(VALU_DEP_2)
	v_fmac_f32_e32 v141, v2, v9
	v_dual_mul_f32 v2, v2, v10 :: v_dual_fmac_f32 v143, v4, v11
	s_delay_alu instid0(VALU_DEP_1) | instskip(SKIP_1) | instid1(VALU_DEP_1)
	v_fma_f32 v142, v1, v9, -v2
	v_mul_f32_e32 v1, v4, v12
	v_fma_f32 v144, v3, v11, -v1
	s_clause 0x1
	scratch_load_b128 v[1:4], off, off offset:200
	scratch_load_b128 v[9:12], off, off offset:216
	s_wait_loadcnt_dscnt 0x100
	v_mul_f32_e32 v145, v5, v2
	v_dual_mul_f32 v147, v7, v4 :: v_dual_mul_f32 v2, v6, v2
	s_delay_alu instid0(VALU_DEP_2) | instskip(NEXT) | instid1(VALU_DEP_2)
	v_fmac_f32_e32 v145, v6, v1
	v_fmac_f32_e32 v147, v8, v3
	s_delay_alu instid0(VALU_DEP_3) | instskip(SKIP_1) | instid1(VALU_DEP_1)
	v_fma_f32 v146, v5, v1, -v2
	v_mul_f32_e32 v1, v8, v4
	v_fma_f32 v148, v7, v3, -v1
	ds_load_2addr_b64 v[1:4], v21 offset0:73 offset1:74
	ds_load_2addr_b64 v[5:8], v21 offset0:75 offset1:76
	s_wait_loadcnt_dscnt 0x1
	v_mul_f32_e32 v149, v1, v10
	v_mul_f32_e32 v151, v3, v12
	s_delay_alu instid0(VALU_DEP_2) | instskip(NEXT) | instid1(VALU_DEP_2)
	v_fmac_f32_e32 v149, v2, v9
	v_dual_mul_f32 v2, v2, v10 :: v_dual_fmac_f32 v151, v4, v11
	s_delay_alu instid0(VALU_DEP_1) | instskip(SKIP_1) | instid1(VALU_DEP_1)
	v_fma_f32 v150, v1, v9, -v2
	v_mul_f32_e32 v1, v4, v12
	v_fma_f32 v152, v3, v11, -v1
	s_clause 0x1
	scratch_load_b128 v[1:4], off, off offset:232
	scratch_load_b128 v[9:12], off, off offset:248
	s_wait_loadcnt_dscnt 0x100
	v_mul_f32_e32 v153, v5, v2
	v_dual_mul_f32 v2, v6, v2 :: v_dual_mul_f32 v155, v7, v4
	s_delay_alu instid0(VALU_DEP_2) | instskip(NEXT) | instid1(VALU_DEP_2)
	v_fmac_f32_e32 v153, v6, v1
	v_fma_f32 v154, v5, v1, -v2
	v_mul_f32_e32 v1, v8, v4
	s_delay_alu instid0(VALU_DEP_4) | instskip(NEXT) | instid1(VALU_DEP_2)
	v_fmac_f32_e32 v155, v8, v3
	v_fma_f32 v156, v7, v3, -v1
	ds_load_2addr_b64 v[1:4], v21 offset0:77 offset1:78
	ds_load_2addr_b64 v[5:8], v21 offset0:79 offset1:80
	s_wait_loadcnt_dscnt 0x1
	v_mul_f32_e32 v157, v1, v10
	v_mul_f32_e32 v159, v3, v12
	s_delay_alu instid0(VALU_DEP_2) | instskip(NEXT) | instid1(VALU_DEP_2)
	v_fmac_f32_e32 v157, v2, v9
	v_dual_mul_f32 v2, v2, v10 :: v_dual_fmac_f32 v159, v4, v11
	s_delay_alu instid0(VALU_DEP_1) | instskip(SKIP_1) | instid1(VALU_DEP_1)
	v_fma_f32 v158, v1, v9, -v2
	v_mul_f32_e32 v1, v4, v12
	v_fma_f32 v160, v3, v11, -v1
	s_clause 0x1
	scratch_load_b128 v[1:4], off, off offset:264
	scratch_load_b128 v[9:12], off, off offset:280
	s_wait_loadcnt_dscnt 0x100
	v_mul_f32_e32 v161, v5, v2
	v_mul_f32_e32 v2, v6, v2
	s_delay_alu instid0(VALU_DEP_1) | instskip(SKIP_1) | instid1(VALU_DEP_1)
	v_fma_f32 v162, v5, v1, -v2
	v_add_f32_e32 v2, 0, v130
	v_add_f32_e32 v2, v2, v131
	s_delay_alu instid0(VALU_DEP_1) | instskip(NEXT) | instid1(VALU_DEP_1)
	v_add_f32_e32 v2, v2, v25
	v_add_f32_e32 v2, v2, v26
	s_delay_alu instid0(VALU_DEP_1) | instskip(NEXT) | instid1(VALU_DEP_1)
	;; [unrolled: 3-line block ×4, first 2 shown]
	v_add_f32_e32 v2, v2, v15
	v_add_f32_e32 v2, v2, v18
	s_delay_alu instid0(VALU_DEP_1) | instskip(SKIP_2) | instid1(VALU_DEP_3)
	v_add_f32_e32 v2, v2, v19
	v_fmac_f32_e32 v161, v6, v1
	v_mul_f32_e32 v1, v8, v4
	v_add_f32_e32 v2, v2, v20
	v_mul_f32_e32 v163, v7, v4
	s_delay_alu instid0(VALU_DEP_3) | instskip(NEXT) | instid1(VALU_DEP_3)
	v_fma_f32 v164, v7, v3, -v1
	v_dual_add_f32 v1, 0, v22 :: v_dual_add_f32 v2, v2, v133
	s_delay_alu instid0(VALU_DEP_1) | instskip(NEXT) | instid1(VALU_DEP_2)
	v_add_f32_e32 v1, v1, v24
	v_add_f32_e32 v5, v2, v134
	s_delay_alu instid0(VALU_DEP_2) | instskip(NEXT) | instid1(VALU_DEP_1)
	v_add_f32_e32 v1, v1, v120
	v_add_f32_e32 v1, v1, v121
	scratch_load_b64 v[120:121], off, off offset:360
	v_add_f32_e32 v1, v1, v122
	s_delay_alu instid0(VALU_DEP_1) | instskip(NEXT) | instid1(VALU_DEP_1)
	v_add_f32_e32 v1, v1, v123
	v_add_f32_e32 v1, v1, v13
	;; [unrolled: 1-line block ×3, first 2 shown]
	s_delay_alu instid0(VALU_DEP_1) | instskip(NEXT) | instid1(VALU_DEP_1)
	v_add_f32_e32 v13, v13, v139
	v_add_f32_e32 v13, v13, v141
	s_delay_alu instid0(VALU_DEP_1) | instskip(NEXT) | instid1(VALU_DEP_1)
	v_add_f32_e32 v18, v13, v143
	v_dual_add_f32 v18, v18, v145 :: v_dual_add_f32 v1, v1, v14
	s_delay_alu instid0(VALU_DEP_1) | instskip(NEXT) | instid1(VALU_DEP_1)
	v_dual_add_f32 v18, v18, v147 :: v_dual_add_f32 v1, v1, v16
	v_add_f32_e32 v24, v18, v149
	s_delay_alu instid0(VALU_DEP_1) | instskip(NEXT) | instid1(VALU_DEP_1)
	v_dual_add_f32 v1, v1, v17 :: v_dual_add_f32 v24, v24, v151
	v_add_f32_e32 v1, v1, v126
	s_delay_alu instid0(VALU_DEP_1) | instskip(NEXT) | instid1(VALU_DEP_1)
	v_add_f32_e32 v1, v1, v127
	v_add_f32_e32 v1, v1, v135
	s_delay_alu instid0(VALU_DEP_1) | instskip(NEXT) | instid1(VALU_DEP_1)
	v_add_f32_e32 v1, v1, v136
	v_dual_add_f32 v6, v1, v138 :: v_dual_fmac_f32 v163, v8, v3
	scratch_load_b128 v[1:4], off, off offset:296
	v_add_f32_e32 v24, v24, v153
	v_add_f32_e32 v14, v6, v140
	ds_load_2addr_b64 v[5:8], v21 offset0:81 offset1:82
	v_add_f32_e32 v24, v24, v155
	v_add_f32_e32 v14, v14, v142
	s_delay_alu instid0(VALU_DEP_1)
	v_add_f32_e32 v17, v14, v144
	ds_load_2addr_b64 v[13:16], v21 offset0:83 offset1:84
	s_wait_loadcnt_dscnt 0x201
	v_mul_f32_e32 v22, v5, v10
	v_mul_f32_e32 v10, v6, v10
	;; [unrolled: 1-line block ×4, first 2 shown]
	s_delay_alu instid0(VALU_DEP_4) | instskip(NEXT) | instid1(VALU_DEP_4)
	v_fmac_f32_e32 v22, v6, v9
	v_fma_f32 v125, v5, v9, -v10
	s_delay_alu instid0(VALU_DEP_4) | instskip(NEXT) | instid1(VALU_DEP_4)
	v_fmac_f32_e32 v124, v8, v11
	v_fma_f32 v126, v7, v11, -v12
	s_clause 0x1
	scratch_load_b128 v[5:8], off, off offset:312
	scratch_load_b128 v[9:12], off, off offset:328
	s_wait_loadcnt_dscnt 0x200
	v_mul_f32_e32 v127, v13, v2
	v_mul_f32_e32 v2, v14, v2
	;; [unrolled: 1-line block ×3, first 2 shown]
	s_delay_alu instid0(VALU_DEP_3) | instskip(NEXT) | instid1(VALU_DEP_3)
	v_dual_mul_f32 v4, v16, v4 :: v_dual_fmac_f32 v127, v14, v1
	v_fma_f32 v131, v13, v1, -v2
	v_add_f32_e32 v13, v24, v157
	s_delay_alu instid0(VALU_DEP_4) | instskip(NEXT) | instid1(VALU_DEP_4)
	v_fmac_f32_e32 v130, v16, v3
	v_fma_f32 v132, v15, v3, -v4
	ds_load_2addr_b64 v[1:4], v21 offset0:85 offset1:86
	v_add_f32_e32 v24, v13, v159
	s_delay_alu instid0(VALU_DEP_1) | instskip(NEXT) | instid1(VALU_DEP_1)
	v_add_f32_e32 v123, v24, v161
	v_add_f32_e32 v134, v123, v163
	s_delay_alu instid0(VALU_DEP_1) | instskip(NEXT) | instid1(VALU_DEP_1)
	v_add_f32_e32 v22, v134, v22
	v_dual_add_f32 v17, v17, v146 :: v_dual_add_f32 v22, v22, v124
	s_delay_alu instid0(VALU_DEP_1) | instskip(NEXT) | instid1(VALU_DEP_1)
	v_dual_add_f32 v17, v17, v148 :: v_dual_add_f32 v22, v22, v127
	v_add_f32_e32 v17, v17, v150
	s_delay_alu instid0(VALU_DEP_1) | instskip(SKIP_2) | instid1(VALU_DEP_1)
	v_dual_add_f32 v22, v22, v130 :: v_dual_add_f32 v25, v17, v152
	scratch_load_b128 v[17:20], off, off offset:344
	v_add_f32_e32 v25, v25, v154
	v_add_f32_e32 v25, v25, v156
	s_delay_alu instid0(VALU_DEP_1) | instskip(NEXT) | instid1(VALU_DEP_1)
	v_add_f32_e32 v25, v25, v158
	v_add_f32_e32 v14, v25, v160
	ds_load_2addr_b64 v[24:27], v21 offset0:89 offset1:90
	v_add_f32_e32 v122, v14, v162
	ds_load_2addr_b64 v[13:16], v21 offset0:87 offset1:88
	s_wait_loadcnt_dscnt 0x202
	v_mul_f32_e32 v124, v3, v8
	v_mul_f32_e32 v8, v4, v8
	v_add_f32_e32 v133, v122, v164
	ds_load_b64 v[122:123], v21 offset:728
	v_dual_fmac_f32 v124, v4, v7 :: v_dual_add_f32 v125, v133, v125
	s_delay_alu instid0(VALU_DEP_1)
	v_add_f32_e32 v125, v125, v126
	s_wait_loadcnt_dscnt 0x101
	v_mul_f32_e32 v126, v13, v10
	v_mul_f32_e32 v133, v1, v6
	v_dual_mul_f32 v6, v2, v6 :: v_dual_mul_f32 v127, v15, v12
	s_wait_dscnt 0x0
	v_mul_f32_e32 v130, v122, v121
	v_fmac_f32_e32 v126, v14, v9
	v_fmac_f32_e32 v133, v2, v5
	v_fma_f32 v1, v1, v5, -v6
	v_fma_f32 v2, v3, v7, -v8
	v_dual_fmac_f32 v130, v123, v120 :: v_dual_mul_f32 v3, v14, v10
	s_delay_alu instid0(VALU_DEP_4) | instskip(NEXT) | instid1(VALU_DEP_2)
	v_dual_add_f32 v4, v22, v133 :: v_dual_add_f32 v125, v125, v131
	v_fma_f32 v3, v13, v9, -v3
	s_delay_alu instid0(VALU_DEP_2) | instskip(SKIP_2) | instid1(VALU_DEP_1)
	v_add_f32_e32 v125, v125, v132
	s_wait_loadcnt 0x0
	v_mul_f32_e32 v132, v26, v20
	v_dual_fmac_f32 v132, v27, v19 :: v_dual_add_f32 v1, v125, v1
	s_delay_alu instid0(VALU_DEP_1) | instskip(SKIP_1) | instid1(VALU_DEP_2)
	v_dual_add_f32 v1, v1, v2 :: v_dual_add_f32 v2, v4, v124
	v_dual_mul_f32 v4, v25, v18 :: v_dual_fmac_f32 v127, v16, v11
	v_add_f32_e32 v2, v2, v126
	v_mul_f32_e32 v131, v24, v18
	s_delay_alu instid0(VALU_DEP_3) | instskip(NEXT) | instid1(VALU_DEP_2)
	v_fma_f32 v4, v24, v17, -v4
	v_dual_add_f32 v2, v2, v127 :: v_dual_fmac_f32 v131, v25, v17
	s_delay_alu instid0(VALU_DEP_1) | instskip(NEXT) | instid1(VALU_DEP_1)
	v_add_f32_e32 v2, v2, v131
	v_add_f32_e32 v2, v2, v132
	v_mul_f32_e32 v5, v16, v12
	v_add_f32_e32 v1, v1, v3
	s_delay_alu instid0(VALU_DEP_3) | instskip(NEXT) | instid1(VALU_DEP_3)
	v_dual_mul_f32 v3, v27, v20 :: v_dual_add_f32 v2, v2, v130
	v_fma_f32 v5, v15, v11, -v5
	s_delay_alu instid0(VALU_DEP_2) | instskip(NEXT) | instid1(VALU_DEP_3)
	v_fma_f32 v3, v26, v19, -v3
	v_sub_f32_e32 v2, v129, v2
	s_delay_alu instid0(VALU_DEP_3) | instskip(SKIP_1) | instid1(VALU_DEP_2)
	v_add_f32_e32 v1, v1, v5
	v_mul_f32_e32 v5, v123, v121
	v_add_f32_e32 v1, v1, v4
	s_delay_alu instid0(VALU_DEP_2) | instskip(NEXT) | instid1(VALU_DEP_2)
	v_fma_f32 v4, v122, v120, -v5
	v_add_f32_e32 v1, v1, v3
	s_delay_alu instid0(VALU_DEP_1) | instskip(NEXT) | instid1(VALU_DEP_1)
	v_add_f32_e32 v1, v1, v4
	v_sub_f32_e32 v1, v128, v1
	scratch_store_b64 off, v[1:2], off offset:48
	v_cmpx_lt_u32_e32 5, v0
	s_cbranch_execz .LBB109_279
; %bb.278:
	scratch_load_b64 v[1:2], off, off offset:40
	v_mov_b32_e32 v22, v21
	scratch_store_b64 off, v[21:22], off offset:40
	s_wait_loadcnt 0x0
	ds_store_b64 v23, v[1:2]
.LBB109_279:
	s_wait_alu 0xfffe
	s_or_b32 exec_lo, exec_lo, s0
	s_wait_storecnt_dscnt 0x0
	s_barrier_signal -1
	s_barrier_wait -1
	global_inv scope:SCOPE_SE
	s_clause 0x4
	scratch_load_b128 v[5:8], off, off offset:48
	scratch_load_b128 v[1:4], off, off offset:64
	;; [unrolled: 1-line block ×5, first 2 shown]
	ds_load_b128 v[24:27], v21 offset:416
	ds_load_b128 v[120:123], v21 offset:432
	;; [unrolled: 1-line block ×3, first 2 shown]
	scratch_load_b64 v[128:129], off, off offset:40
	s_mov_b32 s0, exec_lo
	s_wait_loadcnt_dscnt 0x502
	v_dual_mul_f32 v22, v25, v6 :: v_dual_mul_f32 v131, v26, v8
	v_mul_f32_e32 v130, v24, v6
	v_mul_f32_e32 v6, v27, v8
	s_wait_loadcnt_dscnt 0x300
	v_mul_f32_e32 v132, v126, v12
	v_fma_f32 v22, v24, v5, -v22
	v_dual_fmac_f32 v131, v27, v7 :: v_dual_fmac_f32 v130, v25, v5
	v_mul_f32_e32 v27, v124, v10
	v_mul_f32_e32 v25, v120, v2
	v_fma_f32 v24, v26, v7, -v6
	ds_load_b128 v[5:8], v21 offset:464
	v_mul_f32_e32 v26, v122, v4
	v_dual_mul_f32 v4, v123, v4 :: v_dual_fmac_f32 v27, v125, v9
	v_mul_f32_e32 v10, v125, v10
	v_mul_f32_e32 v12, v127, v12
	;; [unrolled: 1-line block ×3, first 2 shown]
	v_dual_fmac_f32 v25, v121, v1 :: v_dual_fmac_f32 v26, v123, v3
	v_fma_f32 v121, v122, v3, -v4
	v_fma_f32 v122, v124, v9, -v10
	v_fmac_f32_e32 v132, v127, v11
	v_fma_f32 v123, v126, v11, -v12
	ds_load_b128 v[9:12], v21 offset:480
	s_wait_loadcnt_dscnt 0x201
	v_mul_f32_e32 v125, v7, v16
	v_fma_f32 v120, v120, v1, -v2
	scratch_load_b128 v[1:4], off, off offset:128
	v_mul_f32_e32 v124, v5, v14
	v_mul_f32_e32 v14, v6, v14
	v_mul_f32_e32 v16, v8, v16
	s_delay_alu instid0(VALU_DEP_3) | instskip(NEXT) | instid1(VALU_DEP_3)
	v_dual_fmac_f32 v125, v8, v15 :: v_dual_fmac_f32 v124, v6, v13
	v_fma_f32 v13, v5, v13, -v14
	s_delay_alu instid0(VALU_DEP_3)
	v_fma_f32 v14, v7, v15, -v16
	ds_load_b128 v[5:8], v21 offset:496
	s_wait_loadcnt_dscnt 0x201
	v_mul_f32_e32 v15, v9, v18
	v_mul_f32_e32 v16, v10, v18
	;; [unrolled: 1-line block ×3, first 2 shown]
	s_delay_alu instid0(VALU_DEP_3) | instskip(NEXT) | instid1(VALU_DEP_3)
	v_dual_mul_f32 v20, v12, v20 :: v_dual_fmac_f32 v15, v10, v17
	v_fma_f32 v16, v9, v17, -v16
	s_delay_alu instid0(VALU_DEP_3) | instskip(NEXT) | instid1(VALU_DEP_3)
	v_fmac_f32_e32 v18, v12, v19
	v_fma_f32 v17, v11, v19, -v20
	scratch_load_b128 v[9:12], off, off offset:144
	s_wait_loadcnt_dscnt 0x100
	v_mul_f32_e32 v19, v5, v2
	v_mul_f32_e32 v2, v6, v2
	;; [unrolled: 1-line block ×3, first 2 shown]
	s_delay_alu instid0(VALU_DEP_3) | instskip(NEXT) | instid1(VALU_DEP_3)
	v_dual_mul_f32 v4, v8, v4 :: v_dual_fmac_f32 v19, v6, v1
	v_fma_f32 v126, v5, v1, -v2
	s_delay_alu instid0(VALU_DEP_3) | instskip(NEXT) | instid1(VALU_DEP_3)
	v_fmac_f32_e32 v20, v8, v3
	v_fma_f32 v127, v7, v3, -v4
	ds_load_b128 v[1:4], v21 offset:512
	ds_load_b128 v[5:8], v21 offset:528
	s_wait_loadcnt_dscnt 0x1
	v_mul_f32_e32 v133, v1, v10
	v_mul_f32_e32 v10, v2, v10
	s_delay_alu instid0(VALU_DEP_2) | instskip(NEXT) | instid1(VALU_DEP_2)
	v_dual_mul_f32 v134, v3, v12 :: v_dual_fmac_f32 v133, v2, v9
	v_fma_f32 v135, v1, v9, -v10
	v_mul_f32_e32 v1, v4, v12
	s_delay_alu instid0(VALU_DEP_3) | instskip(NEXT) | instid1(VALU_DEP_2)
	v_fmac_f32_e32 v134, v4, v11
	v_fma_f32 v136, v3, v11, -v1
	s_clause 0x1
	scratch_load_b128 v[1:4], off, off offset:160
	scratch_load_b128 v[9:12], off, off offset:176
	s_wait_loadcnt_dscnt 0x100
	v_mul_f32_e32 v137, v5, v2
	v_dual_mul_f32 v2, v6, v2 :: v_dual_mul_f32 v139, v7, v4
	s_delay_alu instid0(VALU_DEP_2) | instskip(NEXT) | instid1(VALU_DEP_2)
	v_fmac_f32_e32 v137, v6, v1
	v_fma_f32 v138, v5, v1, -v2
	v_mul_f32_e32 v1, v8, v4
	s_delay_alu instid0(VALU_DEP_4) | instskip(NEXT) | instid1(VALU_DEP_2)
	v_fmac_f32_e32 v139, v8, v3
	v_fma_f32 v140, v7, v3, -v1
	ds_load_b128 v[1:4], v21 offset:544
	ds_load_b128 v[5:8], v21 offset:560
	s_wait_loadcnt_dscnt 0x1
	v_mul_f32_e32 v141, v1, v10
	v_mul_f32_e32 v143, v3, v12
	s_delay_alu instid0(VALU_DEP_2) | instskip(NEXT) | instid1(VALU_DEP_2)
	v_fmac_f32_e32 v141, v2, v9
	v_dual_mul_f32 v2, v2, v10 :: v_dual_fmac_f32 v143, v4, v11
	s_delay_alu instid0(VALU_DEP_1) | instskip(SKIP_1) | instid1(VALU_DEP_1)
	v_fma_f32 v142, v1, v9, -v2
	v_mul_f32_e32 v1, v4, v12
	v_fma_f32 v144, v3, v11, -v1
	s_clause 0x1
	scratch_load_b128 v[1:4], off, off offset:192
	scratch_load_b128 v[9:12], off, off offset:208
	s_wait_loadcnt_dscnt 0x100
	v_mul_f32_e32 v145, v5, v2
	v_dual_mul_f32 v2, v6, v2 :: v_dual_mul_f32 v147, v7, v4
	s_delay_alu instid0(VALU_DEP_2) | instskip(NEXT) | instid1(VALU_DEP_2)
	v_fmac_f32_e32 v145, v6, v1
	v_fma_f32 v146, v5, v1, -v2
	v_mul_f32_e32 v1, v8, v4
	s_delay_alu instid0(VALU_DEP_4) | instskip(NEXT) | instid1(VALU_DEP_2)
	v_fmac_f32_e32 v147, v8, v3
	v_fma_f32 v148, v7, v3, -v1
	ds_load_b128 v[1:4], v21 offset:576
	ds_load_b128 v[5:8], v21 offset:592
	s_wait_loadcnt_dscnt 0x1
	v_mul_f32_e32 v149, v1, v10
	v_mul_f32_e32 v151, v3, v12
	s_delay_alu instid0(VALU_DEP_2) | instskip(NEXT) | instid1(VALU_DEP_2)
	v_fmac_f32_e32 v149, v2, v9
	v_dual_mul_f32 v2, v2, v10 :: v_dual_fmac_f32 v151, v4, v11
	s_delay_alu instid0(VALU_DEP_1) | instskip(SKIP_1) | instid1(VALU_DEP_1)
	v_fma_f32 v150, v1, v9, -v2
	v_mul_f32_e32 v1, v4, v12
	;; [unrolled: 25-line block ×4, first 2 shown]
	v_fma_f32 v168, v3, v11, -v1
	s_clause 0x1
	scratch_load_b128 v[1:4], off, off offset:288
	scratch_load_b128 v[9:12], off, off offset:304
	s_wait_loadcnt_dscnt 0x100
	v_mul_f32_e32 v169, v5, v2
	v_mul_f32_e32 v2, v6, v2
	s_delay_alu instid0(VALU_DEP_1) | instskip(SKIP_1) | instid1(VALU_DEP_1)
	v_fma_f32 v170, v5, v1, -v2
	v_add_f32_e32 v2, 0, v130
	v_add_f32_e32 v2, v2, v131
	s_delay_alu instid0(VALU_DEP_1) | instskip(NEXT) | instid1(VALU_DEP_1)
	v_add_f32_e32 v2, v2, v25
	v_add_f32_e32 v2, v2, v26
	s_delay_alu instid0(VALU_DEP_1) | instskip(NEXT) | instid1(VALU_DEP_1)
	;; [unrolled: 3-line block ×7, first 2 shown]
	v_add_f32_e32 v2, v2, v137
	v_add_f32_e32 v2, v2, v139
	v_fmac_f32_e32 v169, v6, v1
	v_mul_f32_e32 v1, v8, v4
	s_delay_alu instid0(VALU_DEP_1) | instskip(SKIP_1) | instid1(VALU_DEP_1)
	v_fma_f32 v172, v7, v3, -v1
	v_add_f32_e32 v1, 0, v22
	v_add_f32_e32 v1, v1, v24
	s_delay_alu instid0(VALU_DEP_1) | instskip(NEXT) | instid1(VALU_DEP_1)
	v_add_f32_e32 v1, v1, v120
	v_add_f32_e32 v1, v1, v121
	s_delay_alu instid0(VALU_DEP_1) | instskip(NEXT) | instid1(VALU_DEP_1)
	;; [unrolled: 3-line block ×9, first 2 shown]
	v_dual_mul_f32 v171, v7, v4 :: v_dual_add_f32 v6, v6, v146
	v_add_f32_e32 v13, v6, v148
	s_delay_alu instid0(VALU_DEP_1) | instskip(NEXT) | instid1(VALU_DEP_1)
	v_add_f32_e32 v13, v13, v150
	v_add_f32_e32 v13, v13, v152
	s_delay_alu instid0(VALU_DEP_1) | instskip(NEXT) | instid1(VALU_DEP_1)
	v_add_f32_e32 v13, v13, v154
	v_dual_add_f32 v5, v2, v141 :: v_dual_add_f32 v18, v13, v156
	s_delay_alu instid0(VALU_DEP_1) | instskip(NEXT) | instid1(VALU_DEP_1)
	v_dual_add_f32 v5, v5, v143 :: v_dual_add_f32 v18, v18, v158
	v_dual_add_f32 v5, v5, v145 :: v_dual_add_f32 v18, v18, v160
	s_delay_alu instid0(VALU_DEP_1)
	v_add_f32_e32 v14, v5, v147
	v_fmac_f32_e32 v171, v8, v3
	ds_load_b128 v[1:4], v21 offset:672
	ds_load_b128 v[5:8], v21 offset:688
	v_add_f32_e32 v24, v18, v162
	v_add_f32_e32 v14, v14, v149
	s_delay_alu instid0(VALU_DEP_1)
	v_add_f32_e32 v14, v14, v151
	s_wait_loadcnt_dscnt 0x1
	v_mul_f32_e32 v22, v1, v10
	v_mul_f32_e32 v120, v3, v12
	;; [unrolled: 1-line block ×4, first 2 shown]
	s_delay_alu instid0(VALU_DEP_4) | instskip(NEXT) | instid1(VALU_DEP_4)
	v_fmac_f32_e32 v22, v2, v9
	v_fmac_f32_e32 v120, v4, v11
	s_delay_alu instid0(VALU_DEP_4) | instskip(NEXT) | instid1(VALU_DEP_4)
	v_fma_f32 v121, v1, v9, -v10
	v_fma_f32 v122, v3, v11, -v12
	s_clause 0x1
	scratch_load_b128 v[1:4], off, off offset:320
	scratch_load_b128 v[9:12], off, off offset:336
	v_add_f32_e32 v17, v14, v153
	scratch_load_b128 v[13:16], off, off offset:352
	v_add_f32_e32 v17, v17, v155
	s_delay_alu instid0(VALU_DEP_1) | instskip(NEXT) | instid1(VALU_DEP_1)
	v_add_f32_e32 v17, v17, v157
	v_add_f32_e32 v17, v17, v159
	s_delay_alu instid0(VALU_DEP_1)
	v_add_f32_e32 v25, v17, v161
	ds_load_b128 v[17:20], v21 offset:704
	v_dual_add_f32 v123, v24, v164 :: v_dual_add_f32 v124, v25, v163
	ds_load_b128 v[24:27], v21 offset:720
	s_wait_loadcnt_dscnt 0x101
	v_dual_mul_f32 v125, v7, v4 :: v_dual_mul_f32 v126, v17, v10
	v_add_f32_e32 v21, v123, v166
	v_add_f32_e32 v123, v124, v165
	s_wait_loadcnt_dscnt 0x0
	v_mul_f32_e32 v130, v24, v14
	v_mul_f32_e32 v124, v5, v2
	v_dual_mul_f32 v2, v6, v2 :: v_dual_add_f32 v21, v21, v168
	s_delay_alu instid0(VALU_DEP_3) | instskip(SKIP_1) | instid1(VALU_DEP_3)
	v_dual_add_f32 v123, v123, v167 :: v_dual_fmac_f32 v130, v25, v13
	v_mul_f32_e32 v4, v8, v4
	v_fma_f32 v2, v5, v1, -v2
	s_delay_alu instid0(VALU_DEP_4) | instskip(NEXT) | instid1(VALU_DEP_4)
	v_add_f32_e32 v21, v21, v170
	v_add_f32_e32 v123, v123, v169
	v_fmac_f32_e32 v124, v6, v1
	v_dual_mul_f32 v6, v18, v10 :: v_dual_fmac_f32 v125, v8, v3
	s_delay_alu instid0(VALU_DEP_4) | instskip(NEXT) | instid1(VALU_DEP_4)
	v_add_f32_e32 v21, v21, v172
	v_add_f32_e32 v123, v123, v171
	v_fma_f32 v3, v7, v3, -v4
	v_mul_f32_e32 v127, v19, v12
	s_delay_alu instid0(VALU_DEP_4) | instskip(NEXT) | instid1(VALU_DEP_4)
	v_dual_mul_f32 v4, v20, v12 :: v_dual_add_f32 v21, v21, v121
	v_add_f32_e32 v22, v123, v22
	s_delay_alu instid0(VALU_DEP_3) | instskip(NEXT) | instid1(VALU_DEP_3)
	v_dual_fmac_f32 v126, v18, v9 :: v_dual_fmac_f32 v127, v20, v11
	v_fma_f32 v4, v19, v11, -v4
	s_delay_alu instid0(VALU_DEP_4) | instskip(NEXT) | instid1(VALU_DEP_4)
	v_add_f32_e32 v1, v21, v122
	v_add_f32_e32 v5, v22, v120
	v_mul_f32_e32 v121, v26, v16
	s_delay_alu instid0(VALU_DEP_3) | instskip(NEXT) | instid1(VALU_DEP_3)
	v_add_f32_e32 v1, v1, v2
	v_add_f32_e32 v2, v5, v124
	v_fma_f32 v5, v17, v9, -v6
	s_delay_alu instid0(VALU_DEP_4) | instskip(NEXT) | instid1(VALU_DEP_3)
	v_fmac_f32_e32 v121, v27, v15
	v_dual_add_f32 v1, v1, v3 :: v_dual_add_f32 v2, v2, v125
	v_mul_f32_e32 v3, v25, v14
	s_delay_alu instid0(VALU_DEP_2) | instskip(SKIP_1) | instid1(VALU_DEP_3)
	v_dual_add_f32 v1, v1, v5 :: v_dual_add_f32 v2, v2, v126
	v_mul_f32_e32 v5, v27, v16
	v_fma_f32 v3, v24, v13, -v3
	s_delay_alu instid0(VALU_DEP_3) | instskip(NEXT) | instid1(VALU_DEP_3)
	v_dual_add_f32 v1, v1, v4 :: v_dual_add_f32 v2, v2, v127
	v_fma_f32 v4, v26, v15, -v5
	s_delay_alu instid0(VALU_DEP_2) | instskip(NEXT) | instid1(VALU_DEP_1)
	v_dual_add_f32 v1, v1, v3 :: v_dual_add_f32 v2, v2, v130
	v_dual_add_f32 v1, v1, v4 :: v_dual_add_f32 v2, v2, v121
	s_delay_alu instid0(VALU_DEP_1)
	v_dual_sub_f32 v1, v128, v1 :: v_dual_sub_f32 v2, v129, v2
	scratch_store_b64 off, v[1:2], off offset:40
	v_cmpx_lt_u32_e32 4, v0
	s_cbranch_execz .LBB109_281
; %bb.280:
	scratch_load_b64 v[1:2], off, off offset:32
	v_mov_b32_e32 v3, 0
	s_delay_alu instid0(VALU_DEP_1)
	v_mov_b32_e32 v4, v3
	scratch_store_b64 off, v[3:4], off offset:32
	s_wait_loadcnt 0x0
	ds_store_b64 v23, v[1:2]
.LBB109_281:
	s_wait_alu 0xfffe
	s_or_b32 exec_lo, exec_lo, s0
	s_wait_storecnt_dscnt 0x0
	s_barrier_signal -1
	s_barrier_wait -1
	global_inv scope:SCOPE_SE
	s_clause 0x4
	scratch_load_b128 v[5:8], off, off offset:40
	scratch_load_b128 v[1:4], off, off offset:56
	;; [unrolled: 1-line block ×5, first 2 shown]
	v_mov_b32_e32 v21, 0
	ds_load_2addr_b64 v[24:27], v21 offset0:51 offset1:52
	ds_load_2addr_b64 v[120:123], v21 offset0:53 offset1:54
	;; [unrolled: 1-line block ×3, first 2 shown]
	scratch_load_b64 v[128:129], off, off offset:32
	s_mov_b32 s0, exec_lo
	s_wait_loadcnt_dscnt 0x502
	v_mul_f32_e32 v22, v25, v6
	v_dual_mul_f32 v130, v24, v6 :: v_dual_mul_f32 v131, v26, v8
	v_mul_f32_e32 v6, v27, v8
	s_delay_alu instid0(VALU_DEP_3) | instskip(NEXT) | instid1(VALU_DEP_3)
	v_fma_f32 v22, v24, v5, -v22
	v_dual_fmac_f32 v130, v25, v5 :: v_dual_fmac_f32 v131, v27, v7
	s_wait_loadcnt_dscnt 0x401
	v_mul_f32_e32 v25, v120, v2
	v_fma_f32 v24, v26, v7, -v6
	ds_load_2addr_b64 v[5:8], v21 offset0:57 offset1:58
	s_wait_loadcnt_dscnt 0x301
	v_dual_mul_f32 v26, v122, v4 :: v_dual_mul_f32 v27, v124, v10
	v_dual_mul_f32 v4, v123, v4 :: v_dual_fmac_f32 v25, v121, v1
	v_mul_f32_e32 v10, v125, v10
	s_delay_alu instid0(VALU_DEP_3)
	v_dual_mul_f32 v132, v126, v12 :: v_dual_fmac_f32 v27, v125, v9
	v_mul_f32_e32 v12, v127, v12
	v_mul_f32_e32 v2, v121, v2
	v_fmac_f32_e32 v26, v123, v3
	v_fma_f32 v121, v122, v3, -v4
	v_fma_f32 v122, v124, v9, -v10
	v_fmac_f32_e32 v132, v127, v11
	v_fma_f32 v123, v126, v11, -v12
	ds_load_2addr_b64 v[9:12], v21 offset0:59 offset1:60
	s_wait_loadcnt_dscnt 0x201
	v_mul_f32_e32 v125, v7, v16
	v_fma_f32 v120, v120, v1, -v2
	scratch_load_b128 v[1:4], off, off offset:120
	v_mul_f32_e32 v124, v5, v14
	v_mul_f32_e32 v14, v6, v14
	v_mul_f32_e32 v16, v8, v16
	s_delay_alu instid0(VALU_DEP_3) | instskip(NEXT) | instid1(VALU_DEP_3)
	v_dual_fmac_f32 v125, v8, v15 :: v_dual_fmac_f32 v124, v6, v13
	v_fma_f32 v13, v5, v13, -v14
	s_delay_alu instid0(VALU_DEP_3)
	v_fma_f32 v14, v7, v15, -v16
	ds_load_2addr_b64 v[5:8], v21 offset0:61 offset1:62
	s_wait_loadcnt_dscnt 0x201
	v_mul_f32_e32 v15, v9, v18
	v_mul_f32_e32 v16, v10, v18
	;; [unrolled: 1-line block ×3, first 2 shown]
	s_delay_alu instid0(VALU_DEP_3) | instskip(NEXT) | instid1(VALU_DEP_3)
	v_dual_mul_f32 v20, v12, v20 :: v_dual_fmac_f32 v15, v10, v17
	v_fma_f32 v16, v9, v17, -v16
	s_delay_alu instid0(VALU_DEP_3) | instskip(NEXT) | instid1(VALU_DEP_3)
	v_fmac_f32_e32 v18, v12, v19
	v_fma_f32 v17, v11, v19, -v20
	scratch_load_b128 v[9:12], off, off offset:136
	s_wait_loadcnt_dscnt 0x100
	v_mul_f32_e32 v19, v5, v2
	v_mul_f32_e32 v2, v6, v2
	;; [unrolled: 1-line block ×3, first 2 shown]
	s_delay_alu instid0(VALU_DEP_3) | instskip(NEXT) | instid1(VALU_DEP_3)
	v_dual_mul_f32 v4, v8, v4 :: v_dual_fmac_f32 v19, v6, v1
	v_fma_f32 v126, v5, v1, -v2
	s_delay_alu instid0(VALU_DEP_3) | instskip(NEXT) | instid1(VALU_DEP_3)
	v_fmac_f32_e32 v20, v8, v3
	v_fma_f32 v127, v7, v3, -v4
	ds_load_2addr_b64 v[1:4], v21 offset0:63 offset1:64
	ds_load_2addr_b64 v[5:8], v21 offset0:65 offset1:66
	s_wait_loadcnt_dscnt 0x1
	v_mul_f32_e32 v133, v1, v10
	v_mul_f32_e32 v10, v2, v10
	s_delay_alu instid0(VALU_DEP_2) | instskip(NEXT) | instid1(VALU_DEP_2)
	v_dual_mul_f32 v134, v3, v12 :: v_dual_fmac_f32 v133, v2, v9
	v_fma_f32 v135, v1, v9, -v10
	v_mul_f32_e32 v1, v4, v12
	s_delay_alu instid0(VALU_DEP_3) | instskip(NEXT) | instid1(VALU_DEP_2)
	v_fmac_f32_e32 v134, v4, v11
	v_fma_f32 v136, v3, v11, -v1
	s_clause 0x1
	scratch_load_b128 v[1:4], off, off offset:152
	scratch_load_b128 v[9:12], off, off offset:168
	s_wait_loadcnt_dscnt 0x100
	v_mul_f32_e32 v137, v5, v2
	v_dual_mul_f32 v2, v6, v2 :: v_dual_mul_f32 v139, v7, v4
	s_delay_alu instid0(VALU_DEP_2) | instskip(NEXT) | instid1(VALU_DEP_2)
	v_fmac_f32_e32 v137, v6, v1
	v_fma_f32 v138, v5, v1, -v2
	v_mul_f32_e32 v1, v8, v4
	s_delay_alu instid0(VALU_DEP_4) | instskip(NEXT) | instid1(VALU_DEP_2)
	v_fmac_f32_e32 v139, v8, v3
	v_fma_f32 v140, v7, v3, -v1
	ds_load_2addr_b64 v[1:4], v21 offset0:67 offset1:68
	ds_load_2addr_b64 v[5:8], v21 offset0:69 offset1:70
	s_wait_loadcnt_dscnt 0x1
	v_mul_f32_e32 v141, v1, v10
	v_mul_f32_e32 v143, v3, v12
	s_delay_alu instid0(VALU_DEP_2) | instskip(NEXT) | instid1(VALU_DEP_2)
	v_fmac_f32_e32 v141, v2, v9
	v_dual_mul_f32 v2, v2, v10 :: v_dual_fmac_f32 v143, v4, v11
	s_delay_alu instid0(VALU_DEP_1) | instskip(SKIP_1) | instid1(VALU_DEP_1)
	v_fma_f32 v142, v1, v9, -v2
	v_mul_f32_e32 v1, v4, v12
	v_fma_f32 v144, v3, v11, -v1
	s_clause 0x1
	scratch_load_b128 v[1:4], off, off offset:184
	scratch_load_b128 v[9:12], off, off offset:200
	s_wait_loadcnt_dscnt 0x100
	v_mul_f32_e32 v145, v5, v2
	v_dual_mul_f32 v147, v7, v4 :: v_dual_mul_f32 v2, v6, v2
	s_delay_alu instid0(VALU_DEP_2) | instskip(NEXT) | instid1(VALU_DEP_2)
	v_fmac_f32_e32 v145, v6, v1
	v_fmac_f32_e32 v147, v8, v3
	s_delay_alu instid0(VALU_DEP_3) | instskip(SKIP_1) | instid1(VALU_DEP_1)
	v_fma_f32 v146, v5, v1, -v2
	v_mul_f32_e32 v1, v8, v4
	v_fma_f32 v148, v7, v3, -v1
	ds_load_2addr_b64 v[1:4], v21 offset0:71 offset1:72
	ds_load_2addr_b64 v[5:8], v21 offset0:73 offset1:74
	s_wait_loadcnt_dscnt 0x1
	v_mul_f32_e32 v149, v1, v10
	v_mul_f32_e32 v151, v3, v12
	s_delay_alu instid0(VALU_DEP_2) | instskip(NEXT) | instid1(VALU_DEP_2)
	v_fmac_f32_e32 v149, v2, v9
	v_dual_mul_f32 v2, v2, v10 :: v_dual_fmac_f32 v151, v4, v11
	s_delay_alu instid0(VALU_DEP_1) | instskip(SKIP_1) | instid1(VALU_DEP_1)
	v_fma_f32 v150, v1, v9, -v2
	v_mul_f32_e32 v1, v4, v12
	v_fma_f32 v152, v3, v11, -v1
	s_clause 0x1
	scratch_load_b128 v[1:4], off, off offset:216
	scratch_load_b128 v[9:12], off, off offset:232
	s_wait_loadcnt_dscnt 0x100
	v_mul_f32_e32 v153, v5, v2
	v_dual_mul_f32 v2, v6, v2 :: v_dual_mul_f32 v155, v7, v4
	s_delay_alu instid0(VALU_DEP_2) | instskip(NEXT) | instid1(VALU_DEP_2)
	v_fmac_f32_e32 v153, v6, v1
	v_fma_f32 v154, v5, v1, -v2
	v_mul_f32_e32 v1, v8, v4
	s_delay_alu instid0(VALU_DEP_4) | instskip(NEXT) | instid1(VALU_DEP_2)
	v_fmac_f32_e32 v155, v8, v3
	v_fma_f32 v156, v7, v3, -v1
	ds_load_2addr_b64 v[1:4], v21 offset0:75 offset1:76
	ds_load_2addr_b64 v[5:8], v21 offset0:77 offset1:78
	s_wait_loadcnt_dscnt 0x1
	v_mul_f32_e32 v157, v1, v10
	v_mul_f32_e32 v159, v3, v12
	s_delay_alu instid0(VALU_DEP_2) | instskip(NEXT) | instid1(VALU_DEP_2)
	v_fmac_f32_e32 v157, v2, v9
	v_dual_mul_f32 v2, v2, v10 :: v_dual_fmac_f32 v159, v4, v11
	s_delay_alu instid0(VALU_DEP_1) | instskip(SKIP_1) | instid1(VALU_DEP_1)
	v_fma_f32 v158, v1, v9, -v2
	v_mul_f32_e32 v1, v4, v12
	v_fma_f32 v160, v3, v11, -v1
	s_clause 0x1
	scratch_load_b128 v[1:4], off, off offset:248
	scratch_load_b128 v[9:12], off, off offset:264
	s_wait_loadcnt_dscnt 0x100
	v_mul_f32_e32 v161, v5, v2
	v_dual_mul_f32 v2, v6, v2 :: v_dual_mul_f32 v163, v7, v4
	s_delay_alu instid0(VALU_DEP_2) | instskip(NEXT) | instid1(VALU_DEP_2)
	v_fmac_f32_e32 v161, v6, v1
	v_fma_f32 v162, v5, v1, -v2
	v_mul_f32_e32 v1, v8, v4
	s_delay_alu instid0(VALU_DEP_4) | instskip(NEXT) | instid1(VALU_DEP_2)
	v_fmac_f32_e32 v163, v8, v3
	v_fma_f32 v164, v7, v3, -v1
	ds_load_2addr_b64 v[1:4], v21 offset0:79 offset1:80
	ds_load_2addr_b64 v[5:8], v21 offset0:81 offset1:82
	s_wait_loadcnt_dscnt 0x1
	v_mul_f32_e32 v165, v1, v10
	v_mul_f32_e32 v167, v3, v12
	s_delay_alu instid0(VALU_DEP_2) | instskip(NEXT) | instid1(VALU_DEP_2)
	v_fmac_f32_e32 v165, v2, v9
	v_dual_mul_f32 v2, v2, v10 :: v_dual_fmac_f32 v167, v4, v11
	s_delay_alu instid0(VALU_DEP_1) | instskip(SKIP_1) | instid1(VALU_DEP_1)
	v_fma_f32 v166, v1, v9, -v2
	v_mul_f32_e32 v1, v4, v12
	v_fma_f32 v168, v3, v11, -v1
	s_clause 0x1
	scratch_load_b128 v[1:4], off, off offset:280
	scratch_load_b128 v[9:12], off, off offset:296
	s_wait_loadcnt_dscnt 0x100
	v_mul_f32_e32 v169, v5, v2
	v_mul_f32_e32 v2, v6, v2
	s_delay_alu instid0(VALU_DEP_2) | instskip(NEXT) | instid1(VALU_DEP_2)
	v_fmac_f32_e32 v169, v6, v1
	v_fma_f32 v170, v5, v1, -v2
	v_dual_add_f32 v2, 0, v130 :: v_dual_mul_f32 v1, v8, v4
	s_delay_alu instid0(VALU_DEP_1) | instskip(NEXT) | instid1(VALU_DEP_2)
	v_add_f32_e32 v2, v2, v131
	v_fma_f32 v172, v7, v3, -v1
	s_delay_alu instid0(VALU_DEP_2) | instskip(NEXT) | instid1(VALU_DEP_1)
	v_dual_add_f32 v1, 0, v22 :: v_dual_add_f32 v2, v2, v25
	v_dual_add_f32 v1, v1, v24 :: v_dual_add_f32 v2, v2, v26
	s_delay_alu instid0(VALU_DEP_1) | instskip(NEXT) | instid1(VALU_DEP_1)
	v_dual_add_f32 v1, v1, v120 :: v_dual_add_f32 v2, v2, v27
	v_add_f32_e32 v1, v1, v121
	scratch_load_b64 v[120:121], off, off offset:360
	v_dual_add_f32 v2, v2, v132 :: v_dual_add_f32 v1, v1, v122
	s_delay_alu instid0(VALU_DEP_1) | instskip(NEXT) | instid1(VALU_DEP_1)
	v_dual_add_f32 v2, v2, v124 :: v_dual_add_f32 v1, v1, v123
	v_add_f32_e32 v2, v2, v125
	s_delay_alu instid0(VALU_DEP_1) | instskip(NEXT) | instid1(VALU_DEP_1)
	v_dual_add_f32 v1, v1, v13 :: v_dual_add_f32 v2, v2, v15
	v_add_f32_e32 v2, v2, v18
	s_delay_alu instid0(VALU_DEP_1) | instskip(NEXT) | instid1(VALU_DEP_1)
	v_add_f32_e32 v2, v2, v19
	v_add_f32_e32 v2, v2, v20
	s_delay_alu instid0(VALU_DEP_1) | instskip(NEXT) | instid1(VALU_DEP_1)
	v_add_f32_e32 v2, v2, v133
	v_add_f32_e32 v2, v2, v134
	s_delay_alu instid0(VALU_DEP_1) | instskip(NEXT) | instid1(VALU_DEP_1)
	v_dual_add_f32 v2, v2, v137 :: v_dual_add_f32 v1, v1, v14
	v_dual_add_f32 v2, v2, v139 :: v_dual_add_f32 v1, v1, v16
	s_delay_alu instid0(VALU_DEP_1) | instskip(NEXT) | instid1(VALU_DEP_1)
	v_add_f32_e32 v1, v1, v17
	v_add_f32_e32 v1, v1, v126
	s_delay_alu instid0(VALU_DEP_1) | instskip(NEXT) | instid1(VALU_DEP_1)
	v_add_f32_e32 v1, v1, v127
	v_add_f32_e32 v1, v1, v135
	;; [unrolled: 3-line block ×4, first 2 shown]
	s_delay_alu instid0(VALU_DEP_1) | instskip(NEXT) | instid1(VALU_DEP_1)
	v_add_f32_e32 v6, v1, v144
	v_dual_mul_f32 v171, v7, v4 :: v_dual_add_f32 v6, v6, v146
	s_delay_alu instid0(VALU_DEP_1) | instskip(NEXT) | instid1(VALU_DEP_2)
	v_fmac_f32_e32 v171, v8, v3
	v_add_f32_e32 v13, v6, v148
	s_delay_alu instid0(VALU_DEP_1) | instskip(NEXT) | instid1(VALU_DEP_1)
	v_add_f32_e32 v13, v13, v150
	v_add_f32_e32 v13, v13, v152
	s_delay_alu instid0(VALU_DEP_1) | instskip(SKIP_3) | instid1(VALU_DEP_1)
	v_add_f32_e32 v13, v13, v154
	v_add_f32_e32 v5, v2, v141
	ds_load_2addr_b64 v[1:4], v21 offset0:83 offset1:84
	v_add_f32_e32 v18, v13, v156
	v_dual_add_f32 v5, v5, v143 :: v_dual_add_f32 v18, v18, v158
	s_delay_alu instid0(VALU_DEP_1) | instskip(NEXT) | instid1(VALU_DEP_1)
	v_dual_add_f32 v5, v5, v145 :: v_dual_add_f32 v18, v18, v160
	v_add_f32_e32 v14, v5, v147
	ds_load_2addr_b64 v[5:8], v21 offset0:85 offset1:86
	v_add_f32_e32 v18, v18, v162
	v_add_f32_e32 v14, v14, v149
	s_wait_loadcnt_dscnt 0x101
	v_mul_f32_e32 v22, v1, v10
	v_mul_f32_e32 v10, v2, v10
	v_mul_f32_e32 v124, v3, v12
	v_mul_f32_e32 v12, v4, v12
	v_add_f32_e32 v18, v18, v164
	v_fmac_f32_e32 v22, v2, v9
	v_fma_f32 v125, v1, v9, -v10
	v_fmac_f32_e32 v124, v4, v11
	v_fma_f32 v126, v3, v11, -v12
	s_clause 0x1
	scratch_load_b128 v[1:4], off, off offset:312
	scratch_load_b128 v[9:12], off, off offset:328
	v_add_f32_e32 v122, v18, v166
	v_add_f32_e32 v14, v14, v151
	s_delay_alu instid0(VALU_DEP_2) | instskip(NEXT) | instid1(VALU_DEP_1)
	v_add_f32_e32 v127, v122, v168
	v_add_f32_e32 v127, v127, v170
	s_delay_alu instid0(VALU_DEP_1) | instskip(NEXT) | instid1(VALU_DEP_1)
	v_add_f32_e32 v127, v127, v172
	v_add_f32_e32 v125, v127, v125
	s_delay_alu instid0(VALU_DEP_1)
	v_add_f32_e32 v125, v125, v126
	s_wait_loadcnt_dscnt 0x100
	v_mul_f32_e32 v131, v5, v2
	v_mul_f32_e32 v2, v6, v2
	;; [unrolled: 1-line block ×4, first 2 shown]
	s_delay_alu instid0(VALU_DEP_3)
	v_fma_f32 v2, v5, v1, -v2
	v_add_f32_e32 v17, v14, v153
	scratch_load_b128 v[13:16], off, off offset:344
	v_fmac_f32_e32 v132, v8, v3
	v_add_f32_e32 v2, v125, v2
	v_add_f32_e32 v17, v17, v155
	s_delay_alu instid0(VALU_DEP_1) | instskip(NEXT) | instid1(VALU_DEP_1)
	v_add_f32_e32 v17, v17, v157
	v_add_f32_e32 v17, v17, v159
	s_delay_alu instid0(VALU_DEP_1) | instskip(NEXT) | instid1(VALU_DEP_1)
	v_add_f32_e32 v17, v17, v161
	v_add_f32_e32 v24, v17, v163
	ds_load_2addr_b64 v[17:20], v21 offset0:87 offset1:88
	v_add_f32_e32 v123, v24, v165
	ds_load_2addr_b64 v[24:27], v21 offset0:89 offset1:90
	v_add_f32_e32 v130, v123, v167
	ds_load_b64 v[122:123], v21 offset:728
	v_add_f32_e32 v130, v130, v169
	s_wait_loadcnt_dscnt 0x102
	s_delay_alu instid0(VALU_DEP_1) | instskip(NEXT) | instid1(VALU_DEP_1)
	v_dual_add_f32 v130, v130, v171 :: v_dual_mul_f32 v127, v17, v10
	v_dual_mul_f32 v5, v20, v12 :: v_dual_add_f32 v22, v130, v22
	s_delay_alu instid0(VALU_DEP_2) | instskip(NEXT) | instid1(VALU_DEP_2)
	v_dual_mul_f32 v130, v19, v12 :: v_dual_fmac_f32 v127, v18, v9
	v_fma_f32 v5, v19, v11, -v5
	s_delay_alu instid0(VALU_DEP_3) | instskip(NEXT) | instid1(VALU_DEP_3)
	v_add_f32_e32 v22, v22, v124
	v_fmac_f32_e32 v130, v20, v11
	s_wait_dscnt 0x0
	v_mul_f32_e32 v124, v122, v121
	s_delay_alu instid0(VALU_DEP_1) | instskip(SKIP_2) | instid1(VALU_DEP_3)
	v_dual_fmac_f32 v124, v123, v120 :: v_dual_fmac_f32 v131, v6, v1
	v_fma_f32 v1, v7, v3, -v4
	v_mul_f32_e32 v3, v18, v10
	v_add_f32_e32 v4, v22, v131
	s_delay_alu instid0(VALU_DEP_3) | instskip(NEXT) | instid1(VALU_DEP_3)
	v_add_f32_e32 v1, v2, v1
	v_fma_f32 v3, v17, v9, -v3
	s_delay_alu instid0(VALU_DEP_1) | instskip(NEXT) | instid1(VALU_DEP_1)
	v_dual_add_f32 v2, v4, v132 :: v_dual_add_f32 v1, v1, v3
	v_dual_add_f32 v2, v2, v127 :: v_dual_add_f32 v1, v1, v5
	s_delay_alu instid0(VALU_DEP_1)
	v_dual_mul_f32 v5, v123, v121 :: v_dual_add_f32 v2, v2, v130
	s_wait_loadcnt 0x0
	v_mul_f32_e32 v133, v24, v14
	v_mul_f32_e32 v4, v25, v14
	;; [unrolled: 1-line block ×4, first 2 shown]
	s_delay_alu instid0(VALU_DEP_4) | instskip(NEXT) | instid1(VALU_DEP_4)
	v_fmac_f32_e32 v133, v25, v13
	v_fma_f32 v4, v24, v13, -v4
	s_delay_alu instid0(VALU_DEP_4) | instskip(NEXT) | instid1(VALU_DEP_4)
	v_fmac_f32_e32 v126, v27, v15
	v_fma_f32 v3, v26, v15, -v3
	s_delay_alu instid0(VALU_DEP_3) | instskip(SKIP_1) | instid1(VALU_DEP_2)
	v_dual_add_f32 v2, v2, v133 :: v_dual_add_f32 v1, v1, v4
	v_fma_f32 v4, v122, v120, -v5
	v_dual_add_f32 v2, v2, v126 :: v_dual_add_f32 v1, v1, v3
	s_delay_alu instid0(VALU_DEP_1) | instskip(NEXT) | instid1(VALU_DEP_2)
	v_add_f32_e32 v2, v2, v124
	v_add_f32_e32 v1, v1, v4
	s_delay_alu instid0(VALU_DEP_1)
	v_dual_sub_f32 v2, v129, v2 :: v_dual_sub_f32 v1, v128, v1
	scratch_store_b64 off, v[1:2], off offset:32
	v_cmpx_lt_u32_e32 3, v0
	s_cbranch_execz .LBB109_283
; %bb.282:
	scratch_load_b64 v[1:2], off, off offset:24
	v_mov_b32_e32 v22, v21
	scratch_store_b64 off, v[21:22], off offset:24
	s_wait_loadcnt 0x0
	ds_store_b64 v23, v[1:2]
.LBB109_283:
	s_wait_alu 0xfffe
	s_or_b32 exec_lo, exec_lo, s0
	s_wait_storecnt_dscnt 0x0
	s_barrier_signal -1
	s_barrier_wait -1
	global_inv scope:SCOPE_SE
	s_clause 0x4
	scratch_load_b128 v[5:8], off, off offset:32
	scratch_load_b128 v[1:4], off, off offset:48
	;; [unrolled: 1-line block ×5, first 2 shown]
	ds_load_b128 v[24:27], v21 offset:400
	ds_load_b128 v[120:123], v21 offset:416
	;; [unrolled: 1-line block ×3, first 2 shown]
	scratch_load_b64 v[128:129], off, off offset:24
	s_mov_b32 s0, exec_lo
	s_wait_loadcnt_dscnt 0x502
	v_dual_mul_f32 v22, v25, v6 :: v_dual_mul_f32 v131, v26, v8
	v_mul_f32_e32 v130, v24, v6
	v_mul_f32_e32 v6, v27, v8
	s_wait_loadcnt_dscnt 0x300
	v_mul_f32_e32 v132, v126, v12
	v_fma_f32 v22, v24, v5, -v22
	v_dual_fmac_f32 v131, v27, v7 :: v_dual_fmac_f32 v130, v25, v5
	v_mul_f32_e32 v27, v124, v10
	v_mul_f32_e32 v25, v120, v2
	v_fma_f32 v24, v26, v7, -v6
	ds_load_b128 v[5:8], v21 offset:448
	v_mul_f32_e32 v26, v122, v4
	v_dual_mul_f32 v4, v123, v4 :: v_dual_fmac_f32 v27, v125, v9
	v_mul_f32_e32 v10, v125, v10
	v_mul_f32_e32 v12, v127, v12
	;; [unrolled: 1-line block ×3, first 2 shown]
	v_dual_fmac_f32 v25, v121, v1 :: v_dual_fmac_f32 v26, v123, v3
	v_fma_f32 v121, v122, v3, -v4
	v_fma_f32 v122, v124, v9, -v10
	v_fmac_f32_e32 v132, v127, v11
	v_fma_f32 v123, v126, v11, -v12
	ds_load_b128 v[9:12], v21 offset:464
	s_wait_loadcnt_dscnt 0x201
	v_mul_f32_e32 v125, v7, v16
	v_fma_f32 v120, v120, v1, -v2
	scratch_load_b128 v[1:4], off, off offset:112
	v_mul_f32_e32 v124, v5, v14
	v_mul_f32_e32 v14, v6, v14
	;; [unrolled: 1-line block ×3, first 2 shown]
	s_delay_alu instid0(VALU_DEP_3) | instskip(NEXT) | instid1(VALU_DEP_3)
	v_dual_fmac_f32 v125, v8, v15 :: v_dual_fmac_f32 v124, v6, v13
	v_fma_f32 v13, v5, v13, -v14
	s_delay_alu instid0(VALU_DEP_3)
	v_fma_f32 v14, v7, v15, -v16
	ds_load_b128 v[5:8], v21 offset:480
	s_wait_loadcnt_dscnt 0x201
	v_mul_f32_e32 v15, v9, v18
	v_mul_f32_e32 v16, v10, v18
	;; [unrolled: 1-line block ×3, first 2 shown]
	s_delay_alu instid0(VALU_DEP_3) | instskip(NEXT) | instid1(VALU_DEP_3)
	v_dual_mul_f32 v20, v12, v20 :: v_dual_fmac_f32 v15, v10, v17
	v_fma_f32 v16, v9, v17, -v16
	s_delay_alu instid0(VALU_DEP_3) | instskip(NEXT) | instid1(VALU_DEP_3)
	v_fmac_f32_e32 v18, v12, v19
	v_fma_f32 v17, v11, v19, -v20
	scratch_load_b128 v[9:12], off, off offset:128
	s_wait_loadcnt_dscnt 0x100
	v_mul_f32_e32 v19, v5, v2
	v_mul_f32_e32 v2, v6, v2
	;; [unrolled: 1-line block ×3, first 2 shown]
	s_delay_alu instid0(VALU_DEP_3) | instskip(NEXT) | instid1(VALU_DEP_3)
	v_dual_mul_f32 v4, v8, v4 :: v_dual_fmac_f32 v19, v6, v1
	v_fma_f32 v126, v5, v1, -v2
	s_delay_alu instid0(VALU_DEP_3) | instskip(NEXT) | instid1(VALU_DEP_3)
	v_fmac_f32_e32 v20, v8, v3
	v_fma_f32 v127, v7, v3, -v4
	ds_load_b128 v[1:4], v21 offset:496
	ds_load_b128 v[5:8], v21 offset:512
	s_wait_loadcnt_dscnt 0x1
	v_mul_f32_e32 v133, v1, v10
	v_mul_f32_e32 v10, v2, v10
	s_delay_alu instid0(VALU_DEP_2) | instskip(NEXT) | instid1(VALU_DEP_2)
	v_dual_mul_f32 v134, v3, v12 :: v_dual_fmac_f32 v133, v2, v9
	v_fma_f32 v135, v1, v9, -v10
	v_mul_f32_e32 v1, v4, v12
	s_delay_alu instid0(VALU_DEP_3) | instskip(NEXT) | instid1(VALU_DEP_2)
	v_fmac_f32_e32 v134, v4, v11
	v_fma_f32 v136, v3, v11, -v1
	s_clause 0x1
	scratch_load_b128 v[1:4], off, off offset:144
	scratch_load_b128 v[9:12], off, off offset:160
	s_wait_loadcnt_dscnt 0x100
	v_mul_f32_e32 v137, v5, v2
	v_dual_mul_f32 v2, v6, v2 :: v_dual_mul_f32 v139, v7, v4
	s_delay_alu instid0(VALU_DEP_2) | instskip(NEXT) | instid1(VALU_DEP_2)
	v_fmac_f32_e32 v137, v6, v1
	v_fma_f32 v138, v5, v1, -v2
	v_mul_f32_e32 v1, v8, v4
	s_delay_alu instid0(VALU_DEP_4) | instskip(NEXT) | instid1(VALU_DEP_2)
	v_fmac_f32_e32 v139, v8, v3
	v_fma_f32 v140, v7, v3, -v1
	ds_load_b128 v[1:4], v21 offset:528
	ds_load_b128 v[5:8], v21 offset:544
	s_wait_loadcnt_dscnt 0x1
	v_mul_f32_e32 v141, v1, v10
	v_mul_f32_e32 v143, v3, v12
	s_delay_alu instid0(VALU_DEP_2) | instskip(NEXT) | instid1(VALU_DEP_2)
	v_fmac_f32_e32 v141, v2, v9
	v_dual_mul_f32 v2, v2, v10 :: v_dual_fmac_f32 v143, v4, v11
	s_delay_alu instid0(VALU_DEP_1) | instskip(SKIP_1) | instid1(VALU_DEP_1)
	v_fma_f32 v142, v1, v9, -v2
	v_mul_f32_e32 v1, v4, v12
	v_fma_f32 v144, v3, v11, -v1
	s_clause 0x1
	scratch_load_b128 v[1:4], off, off offset:176
	scratch_load_b128 v[9:12], off, off offset:192
	s_wait_loadcnt_dscnt 0x100
	v_mul_f32_e32 v145, v5, v2
	v_dual_mul_f32 v2, v6, v2 :: v_dual_mul_f32 v147, v7, v4
	s_delay_alu instid0(VALU_DEP_2) | instskip(NEXT) | instid1(VALU_DEP_2)
	v_fmac_f32_e32 v145, v6, v1
	v_fma_f32 v146, v5, v1, -v2
	v_mul_f32_e32 v1, v8, v4
	s_delay_alu instid0(VALU_DEP_4) | instskip(NEXT) | instid1(VALU_DEP_2)
	v_fmac_f32_e32 v147, v8, v3
	v_fma_f32 v148, v7, v3, -v1
	ds_load_b128 v[1:4], v21 offset:560
	ds_load_b128 v[5:8], v21 offset:576
	s_wait_loadcnt_dscnt 0x1
	v_mul_f32_e32 v149, v1, v10
	v_mul_f32_e32 v151, v3, v12
	s_delay_alu instid0(VALU_DEP_2) | instskip(NEXT) | instid1(VALU_DEP_2)
	v_fmac_f32_e32 v149, v2, v9
	v_dual_mul_f32 v2, v2, v10 :: v_dual_fmac_f32 v151, v4, v11
	s_delay_alu instid0(VALU_DEP_1) | instskip(SKIP_1) | instid1(VALU_DEP_1)
	v_fma_f32 v150, v1, v9, -v2
	v_mul_f32_e32 v1, v4, v12
	;; [unrolled: 25-line block ×4, first 2 shown]
	v_fma_f32 v168, v3, v11, -v1
	s_clause 0x1
	scratch_load_b128 v[1:4], off, off offset:272
	scratch_load_b128 v[9:12], off, off offset:288
	s_wait_loadcnt_dscnt 0x100
	v_mul_f32_e32 v169, v5, v2
	v_mul_f32_e32 v2, v6, v2
	s_delay_alu instid0(VALU_DEP_1) | instskip(SKIP_1) | instid1(VALU_DEP_1)
	v_fma_f32 v170, v5, v1, -v2
	v_add_f32_e32 v2, 0, v130
	v_add_f32_e32 v2, v2, v131
	s_delay_alu instid0(VALU_DEP_1) | instskip(NEXT) | instid1(VALU_DEP_1)
	v_add_f32_e32 v2, v2, v25
	v_add_f32_e32 v2, v2, v26
	s_delay_alu instid0(VALU_DEP_1) | instskip(NEXT) | instid1(VALU_DEP_1)
	;; [unrolled: 3-line block ×7, first 2 shown]
	v_add_f32_e32 v2, v2, v137
	v_add_f32_e32 v2, v2, v139
	v_fmac_f32_e32 v169, v6, v1
	v_mul_f32_e32 v1, v8, v4
	s_delay_alu instid0(VALU_DEP_3) | instskip(NEXT) | instid1(VALU_DEP_2)
	v_dual_mul_f32 v171, v7, v4 :: v_dual_add_f32 v2, v2, v141
	v_fma_f32 v172, v7, v3, -v1
	v_add_f32_e32 v1, 0, v22
	s_delay_alu instid0(VALU_DEP_1) | instskip(NEXT) | instid1(VALU_DEP_1)
	v_add_f32_e32 v1, v1, v24
	v_add_f32_e32 v1, v1, v120
	s_delay_alu instid0(VALU_DEP_1) | instskip(NEXT) | instid1(VALU_DEP_1)
	v_add_f32_e32 v1, v1, v121
	v_add_f32_e32 v1, v1, v122
	s_delay_alu instid0(VALU_DEP_1) | instskip(NEXT) | instid1(VALU_DEP_1)
	v_add_f32_e32 v1, v1, v123
	v_add_f32_e32 v1, v1, v13
	s_delay_alu instid0(VALU_DEP_1) | instskip(NEXT) | instid1(VALU_DEP_1)
	v_add_f32_e32 v1, v1, v14
	v_add_f32_e32 v1, v1, v16
	s_delay_alu instid0(VALU_DEP_1) | instskip(NEXT) | instid1(VALU_DEP_1)
	v_add_f32_e32 v1, v1, v17
	v_add_f32_e32 v1, v1, v126
	s_delay_alu instid0(VALU_DEP_1) | instskip(NEXT) | instid1(VALU_DEP_1)
	v_add_f32_e32 v1, v1, v127
	v_add_f32_e32 v1, v1, v135
	s_delay_alu instid0(VALU_DEP_1) | instskip(NEXT) | instid1(VALU_DEP_1)
	v_add_f32_e32 v1, v1, v136
	v_add_f32_e32 v1, v1, v138
	s_delay_alu instid0(VALU_DEP_1) | instskip(NEXT) | instid1(VALU_DEP_1)
	v_add_f32_e32 v1, v1, v140
	v_add_f32_e32 v1, v1, v142
	s_delay_alu instid0(VALU_DEP_1) | instskip(NEXT) | instid1(VALU_DEP_1)
	v_add_f32_e32 v1, v1, v144
	v_dual_add_f32 v6, v1, v146 :: v_dual_fmac_f32 v171, v8, v3
	s_delay_alu instid0(VALU_DEP_1) | instskip(NEXT) | instid1(VALU_DEP_1)
	v_add_f32_e32 v14, v6, v148
	v_add_f32_e32 v14, v14, v150
	s_delay_alu instid0(VALU_DEP_1) | instskip(NEXT) | instid1(VALU_DEP_1)
	v_add_f32_e32 v17, v14, v152
	v_add_f32_e32 v17, v17, v154
	;; [unrolled: 3-line block ×4, first 2 shown]
	s_delay_alu instid0(VALU_DEP_1)
	v_add_f32_e32 v25, v25, v164
	v_add_f32_e32 v5, v2, v143
	ds_load_b128 v[1:4], v21 offset:656
	v_add_f32_e32 v13, v5, v145
	scratch_load_b128 v[5:8], off, off offset:304
	v_add_f32_e32 v13, v13, v147
	s_delay_alu instid0(VALU_DEP_1) | instskip(NEXT) | instid1(VALU_DEP_1)
	v_add_f32_e32 v13, v13, v149
	v_add_f32_e32 v18, v13, v151
	ds_load_b128 v[13:16], v21 offset:672
	s_wait_loadcnt_dscnt 0x101
	v_mul_f32_e32 v22, v1, v10
	v_mul_f32_e32 v10, v2, v10
	;; [unrolled: 1-line block ×4, first 2 shown]
	v_add_f32_e32 v18, v18, v153
	v_fmac_f32_e32 v22, v2, v9
	v_fma_f32 v121, v1, v9, -v10
	v_fmac_f32_e32 v120, v4, v11
	v_fma_f32 v122, v3, v11, -v12
	s_clause 0x1
	scratch_load_b128 v[1:4], off, off offset:320
	scratch_load_b128 v[9:12], off, off offset:336
	v_add_f32_e32 v18, v18, v155
	s_delay_alu instid0(VALU_DEP_1) | instskip(SKIP_3) | instid1(VALU_DEP_1)
	v_add_f32_e32 v24, v18, v157
	scratch_load_b128 v[17:20], off, off offset:352
	v_add_f32_e32 v24, v24, v159
	s_wait_loadcnt_dscnt 0x300
	v_dual_add_f32 v24, v24, v161 :: v_dual_mul_f32 v123, v13, v6
	v_mul_f32_e32 v6, v14, v6
	v_mul_f32_e32 v124, v15, v8
	s_delay_alu instid0(VALU_DEP_3) | instskip(NEXT) | instid1(VALU_DEP_3)
	v_dual_mul_f32 v8, v16, v8 :: v_dual_fmac_f32 v123, v14, v5
	v_fma_f32 v125, v13, v5, -v6
	v_dual_add_f32 v13, v24, v163 :: v_dual_add_f32 v24, v25, v166
	s_delay_alu instid0(VALU_DEP_4) | instskip(NEXT) | instid1(VALU_DEP_4)
	v_fmac_f32_e32 v124, v16, v7
	v_fma_f32 v126, v15, v7, -v8
	ds_load_b128 v[5:8], v21 offset:688
	v_add_f32_e32 v25, v13, v165
	v_add_f32_e32 v127, v24, v168
	ds_load_b128 v[13:16], v21 offset:704
	v_add_f32_e32 v130, v25, v167
	ds_load_b128 v[24:27], v21 offset:720
	v_add_f32_e32 v21, v127, v170
	v_add_f32_e32 v127, v130, v169
	s_delay_alu instid0(VALU_DEP_2) | instskip(NEXT) | instid1(VALU_DEP_2)
	v_add_f32_e32 v21, v21, v172
	v_add_f32_e32 v127, v127, v171
	s_delay_alu instid0(VALU_DEP_2) | instskip(SKIP_2) | instid1(VALU_DEP_3)
	v_add_f32_e32 v21, v21, v121
	s_wait_loadcnt_dscnt 0x202
	v_mul_f32_e32 v130, v5, v2
	v_add_f32_e32 v22, v127, v22
	v_mul_f32_e32 v2, v6, v2
	v_add_f32_e32 v21, v21, v122
	v_mul_f32_e32 v121, v7, v4
	v_mul_f32_e32 v4, v8, v4
	v_add_f32_e32 v22, v22, v120
	v_fma_f32 v2, v5, v1, -v2
	v_add_f32_e32 v21, v21, v125
	s_wait_loadcnt_dscnt 0x101
	v_dual_fmac_f32 v130, v6, v1 :: v_dual_mul_f32 v127, v13, v10
	v_add_f32_e32 v22, v22, v123
	v_mul_f32_e32 v6, v14, v10
	v_add_f32_e32 v1, v21, v126
	v_fmac_f32_e32 v121, v8, v3
	v_fma_f32 v3, v7, v3, -v4
	v_add_f32_e32 v5, v22, v124
	v_mul_f32_e32 v131, v15, v12
	v_dual_add_f32 v1, v1, v2 :: v_dual_mul_f32 v4, v16, v12
	s_delay_alu instid0(VALU_DEP_3) | instskip(SKIP_2) | instid1(VALU_DEP_3)
	v_dual_fmac_f32 v127, v14, v9 :: v_dual_add_f32 v2, v5, v130
	v_fma_f32 v5, v13, v9, -v6
	s_wait_loadcnt_dscnt 0x0
	v_dual_add_f32 v1, v1, v3 :: v_dual_mul_f32 v120, v24, v18
	s_delay_alu instid0(VALU_DEP_3) | instskip(SKIP_2) | instid1(VALU_DEP_4)
	v_dual_mul_f32 v3, v25, v18 :: v_dual_add_f32 v2, v2, v121
	v_fmac_f32_e32 v131, v16, v11
	v_fma_f32 v4, v15, v11, -v4
	v_dual_add_f32 v1, v1, v5 :: v_dual_mul_f32 v122, v26, v20
	s_delay_alu instid0(VALU_DEP_4) | instskip(SKIP_2) | instid1(VALU_DEP_3)
	v_dual_add_f32 v2, v2, v127 :: v_dual_mul_f32 v5, v27, v20
	v_fmac_f32_e32 v120, v25, v17
	v_fma_f32 v3, v24, v17, -v3
	v_dual_add_f32 v1, v1, v4 :: v_dual_add_f32 v2, v2, v131
	v_fmac_f32_e32 v122, v27, v19
	v_fma_f32 v4, v26, v19, -v5
	s_delay_alu instid0(VALU_DEP_3) | instskip(NEXT) | instid1(VALU_DEP_1)
	v_dual_add_f32 v1, v1, v3 :: v_dual_add_f32 v2, v2, v120
	v_dual_add_f32 v1, v1, v4 :: v_dual_add_f32 v2, v2, v122
	s_delay_alu instid0(VALU_DEP_1)
	v_dual_sub_f32 v1, v128, v1 :: v_dual_sub_f32 v2, v129, v2
	scratch_store_b64 off, v[1:2], off offset:24
	v_cmpx_lt_u32_e32 2, v0
	s_cbranch_execz .LBB109_285
; %bb.284:
	scratch_load_b64 v[1:2], off, off offset:16
	v_mov_b32_e32 v3, 0
	s_delay_alu instid0(VALU_DEP_1)
	v_mov_b32_e32 v4, v3
	scratch_store_b64 off, v[3:4], off offset:16
	s_wait_loadcnt 0x0
	ds_store_b64 v23, v[1:2]
.LBB109_285:
	s_wait_alu 0xfffe
	s_or_b32 exec_lo, exec_lo, s0
	s_wait_storecnt_dscnt 0x0
	s_barrier_signal -1
	s_barrier_wait -1
	global_inv scope:SCOPE_SE
	s_clause 0x4
	scratch_load_b128 v[5:8], off, off offset:24
	scratch_load_b128 v[1:4], off, off offset:40
	;; [unrolled: 1-line block ×5, first 2 shown]
	v_mov_b32_e32 v21, 0
	ds_load_2addr_b64 v[24:27], v21 offset0:49 offset1:50
	ds_load_2addr_b64 v[120:123], v21 offset0:51 offset1:52
	;; [unrolled: 1-line block ×3, first 2 shown]
	scratch_load_b64 v[128:129], off, off offset:16
	s_mov_b32 s0, exec_lo
	s_wait_loadcnt_dscnt 0x502
	v_mul_f32_e32 v22, v25, v6
	v_dual_mul_f32 v130, v24, v6 :: v_dual_mul_f32 v131, v26, v8
	v_mul_f32_e32 v6, v27, v8
	s_delay_alu instid0(VALU_DEP_3) | instskip(NEXT) | instid1(VALU_DEP_3)
	v_fma_f32 v22, v24, v5, -v22
	v_dual_fmac_f32 v130, v25, v5 :: v_dual_fmac_f32 v131, v27, v7
	s_wait_loadcnt_dscnt 0x401
	v_mul_f32_e32 v25, v120, v2
	v_fma_f32 v24, v26, v7, -v6
	ds_load_2addr_b64 v[5:8], v21 offset0:55 offset1:56
	s_wait_loadcnt_dscnt 0x301
	v_dual_mul_f32 v26, v122, v4 :: v_dual_mul_f32 v27, v124, v10
	v_dual_mul_f32 v4, v123, v4 :: v_dual_fmac_f32 v25, v121, v1
	v_mul_f32_e32 v10, v125, v10
	s_delay_alu instid0(VALU_DEP_3)
	v_dual_mul_f32 v132, v126, v12 :: v_dual_fmac_f32 v27, v125, v9
	v_mul_f32_e32 v12, v127, v12
	v_mul_f32_e32 v2, v121, v2
	v_fmac_f32_e32 v26, v123, v3
	v_fma_f32 v121, v122, v3, -v4
	v_fma_f32 v122, v124, v9, -v10
	v_fmac_f32_e32 v132, v127, v11
	v_fma_f32 v123, v126, v11, -v12
	ds_load_2addr_b64 v[9:12], v21 offset0:57 offset1:58
	s_wait_loadcnt_dscnt 0x201
	v_mul_f32_e32 v125, v7, v16
	v_fma_f32 v120, v120, v1, -v2
	scratch_load_b128 v[1:4], off, off offset:104
	v_mul_f32_e32 v124, v5, v14
	v_mul_f32_e32 v14, v6, v14
	v_mul_f32_e32 v16, v8, v16
	s_delay_alu instid0(VALU_DEP_3) | instskip(NEXT) | instid1(VALU_DEP_3)
	v_dual_fmac_f32 v125, v8, v15 :: v_dual_fmac_f32 v124, v6, v13
	v_fma_f32 v13, v5, v13, -v14
	s_delay_alu instid0(VALU_DEP_3)
	v_fma_f32 v14, v7, v15, -v16
	ds_load_2addr_b64 v[5:8], v21 offset0:59 offset1:60
	s_wait_loadcnt_dscnt 0x201
	v_mul_f32_e32 v15, v9, v18
	v_mul_f32_e32 v16, v10, v18
	;; [unrolled: 1-line block ×3, first 2 shown]
	s_delay_alu instid0(VALU_DEP_3) | instskip(NEXT) | instid1(VALU_DEP_3)
	v_dual_mul_f32 v20, v12, v20 :: v_dual_fmac_f32 v15, v10, v17
	v_fma_f32 v16, v9, v17, -v16
	s_delay_alu instid0(VALU_DEP_3) | instskip(NEXT) | instid1(VALU_DEP_3)
	v_fmac_f32_e32 v18, v12, v19
	v_fma_f32 v17, v11, v19, -v20
	scratch_load_b128 v[9:12], off, off offset:120
	s_wait_loadcnt_dscnt 0x100
	v_mul_f32_e32 v19, v5, v2
	v_mul_f32_e32 v2, v6, v2
	;; [unrolled: 1-line block ×3, first 2 shown]
	s_delay_alu instid0(VALU_DEP_3) | instskip(NEXT) | instid1(VALU_DEP_3)
	v_dual_mul_f32 v4, v8, v4 :: v_dual_fmac_f32 v19, v6, v1
	v_fma_f32 v126, v5, v1, -v2
	s_delay_alu instid0(VALU_DEP_3) | instskip(NEXT) | instid1(VALU_DEP_3)
	v_fmac_f32_e32 v20, v8, v3
	v_fma_f32 v127, v7, v3, -v4
	ds_load_2addr_b64 v[1:4], v21 offset0:61 offset1:62
	ds_load_2addr_b64 v[5:8], v21 offset0:63 offset1:64
	s_wait_loadcnt_dscnt 0x1
	v_mul_f32_e32 v133, v1, v10
	v_mul_f32_e32 v10, v2, v10
	s_delay_alu instid0(VALU_DEP_2) | instskip(NEXT) | instid1(VALU_DEP_2)
	v_dual_mul_f32 v134, v3, v12 :: v_dual_fmac_f32 v133, v2, v9
	v_fma_f32 v135, v1, v9, -v10
	v_mul_f32_e32 v1, v4, v12
	s_delay_alu instid0(VALU_DEP_3) | instskip(NEXT) | instid1(VALU_DEP_2)
	v_fmac_f32_e32 v134, v4, v11
	v_fma_f32 v136, v3, v11, -v1
	s_clause 0x1
	scratch_load_b128 v[1:4], off, off offset:136
	scratch_load_b128 v[9:12], off, off offset:152
	s_wait_loadcnt_dscnt 0x100
	v_mul_f32_e32 v137, v5, v2
	v_dual_mul_f32 v2, v6, v2 :: v_dual_mul_f32 v139, v7, v4
	s_delay_alu instid0(VALU_DEP_2) | instskip(NEXT) | instid1(VALU_DEP_2)
	v_fmac_f32_e32 v137, v6, v1
	v_fma_f32 v138, v5, v1, -v2
	v_mul_f32_e32 v1, v8, v4
	s_delay_alu instid0(VALU_DEP_4) | instskip(NEXT) | instid1(VALU_DEP_2)
	v_fmac_f32_e32 v139, v8, v3
	v_fma_f32 v140, v7, v3, -v1
	ds_load_2addr_b64 v[1:4], v21 offset0:65 offset1:66
	ds_load_2addr_b64 v[5:8], v21 offset0:67 offset1:68
	s_wait_loadcnt_dscnt 0x1
	v_mul_f32_e32 v141, v1, v10
	v_mul_f32_e32 v143, v3, v12
	s_delay_alu instid0(VALU_DEP_2) | instskip(NEXT) | instid1(VALU_DEP_2)
	v_fmac_f32_e32 v141, v2, v9
	v_dual_mul_f32 v2, v2, v10 :: v_dual_fmac_f32 v143, v4, v11
	s_delay_alu instid0(VALU_DEP_1) | instskip(SKIP_1) | instid1(VALU_DEP_1)
	v_fma_f32 v142, v1, v9, -v2
	v_mul_f32_e32 v1, v4, v12
	v_fma_f32 v144, v3, v11, -v1
	s_clause 0x1
	scratch_load_b128 v[1:4], off, off offset:168
	scratch_load_b128 v[9:12], off, off offset:184
	s_wait_loadcnt_dscnt 0x100
	v_mul_f32_e32 v145, v5, v2
	v_dual_mul_f32 v147, v7, v4 :: v_dual_mul_f32 v2, v6, v2
	s_delay_alu instid0(VALU_DEP_2) | instskip(NEXT) | instid1(VALU_DEP_2)
	v_fmac_f32_e32 v145, v6, v1
	v_fmac_f32_e32 v147, v8, v3
	s_delay_alu instid0(VALU_DEP_3) | instskip(SKIP_1) | instid1(VALU_DEP_1)
	v_fma_f32 v146, v5, v1, -v2
	v_mul_f32_e32 v1, v8, v4
	v_fma_f32 v148, v7, v3, -v1
	ds_load_2addr_b64 v[1:4], v21 offset0:69 offset1:70
	ds_load_2addr_b64 v[5:8], v21 offset0:71 offset1:72
	s_wait_loadcnt_dscnt 0x1
	v_mul_f32_e32 v149, v1, v10
	v_mul_f32_e32 v151, v3, v12
	s_delay_alu instid0(VALU_DEP_2) | instskip(NEXT) | instid1(VALU_DEP_2)
	v_fmac_f32_e32 v149, v2, v9
	v_dual_mul_f32 v2, v2, v10 :: v_dual_fmac_f32 v151, v4, v11
	s_delay_alu instid0(VALU_DEP_1) | instskip(SKIP_1) | instid1(VALU_DEP_1)
	v_fma_f32 v150, v1, v9, -v2
	v_mul_f32_e32 v1, v4, v12
	v_fma_f32 v152, v3, v11, -v1
	s_clause 0x1
	scratch_load_b128 v[1:4], off, off offset:200
	scratch_load_b128 v[9:12], off, off offset:216
	s_wait_loadcnt_dscnt 0x100
	v_mul_f32_e32 v153, v5, v2
	v_dual_mul_f32 v2, v6, v2 :: v_dual_mul_f32 v155, v7, v4
	s_delay_alu instid0(VALU_DEP_2) | instskip(NEXT) | instid1(VALU_DEP_2)
	v_fmac_f32_e32 v153, v6, v1
	v_fma_f32 v154, v5, v1, -v2
	v_mul_f32_e32 v1, v8, v4
	s_delay_alu instid0(VALU_DEP_4) | instskip(NEXT) | instid1(VALU_DEP_2)
	v_fmac_f32_e32 v155, v8, v3
	v_fma_f32 v156, v7, v3, -v1
	ds_load_2addr_b64 v[1:4], v21 offset0:73 offset1:74
	ds_load_2addr_b64 v[5:8], v21 offset0:75 offset1:76
	s_wait_loadcnt_dscnt 0x1
	v_mul_f32_e32 v157, v1, v10
	v_mul_f32_e32 v159, v3, v12
	s_delay_alu instid0(VALU_DEP_2) | instskip(NEXT) | instid1(VALU_DEP_2)
	v_fmac_f32_e32 v157, v2, v9
	v_dual_mul_f32 v2, v2, v10 :: v_dual_fmac_f32 v159, v4, v11
	s_delay_alu instid0(VALU_DEP_1) | instskip(SKIP_1) | instid1(VALU_DEP_1)
	v_fma_f32 v158, v1, v9, -v2
	v_mul_f32_e32 v1, v4, v12
	v_fma_f32 v160, v3, v11, -v1
	s_clause 0x1
	scratch_load_b128 v[1:4], off, off offset:232
	scratch_load_b128 v[9:12], off, off offset:248
	s_wait_loadcnt_dscnt 0x100
	v_mul_f32_e32 v161, v5, v2
	v_dual_mul_f32 v2, v6, v2 :: v_dual_mul_f32 v163, v7, v4
	s_delay_alu instid0(VALU_DEP_2) | instskip(NEXT) | instid1(VALU_DEP_2)
	v_fmac_f32_e32 v161, v6, v1
	v_fma_f32 v162, v5, v1, -v2
	v_mul_f32_e32 v1, v8, v4
	s_delay_alu instid0(VALU_DEP_4) | instskip(NEXT) | instid1(VALU_DEP_2)
	v_fmac_f32_e32 v163, v8, v3
	v_fma_f32 v164, v7, v3, -v1
	ds_load_2addr_b64 v[1:4], v21 offset0:77 offset1:78
	ds_load_2addr_b64 v[5:8], v21 offset0:79 offset1:80
	s_wait_loadcnt_dscnt 0x1
	v_mul_f32_e32 v165, v1, v10
	v_mul_f32_e32 v167, v3, v12
	s_delay_alu instid0(VALU_DEP_2) | instskip(NEXT) | instid1(VALU_DEP_2)
	v_fmac_f32_e32 v165, v2, v9
	v_dual_mul_f32 v2, v2, v10 :: v_dual_fmac_f32 v167, v4, v11
	s_delay_alu instid0(VALU_DEP_1) | instskip(SKIP_1) | instid1(VALU_DEP_1)
	v_fma_f32 v166, v1, v9, -v2
	v_mul_f32_e32 v1, v4, v12
	v_fma_f32 v168, v3, v11, -v1
	s_clause 0x1
	scratch_load_b128 v[1:4], off, off offset:264
	scratch_load_b128 v[9:12], off, off offset:280
	s_wait_loadcnt_dscnt 0x100
	v_mul_f32_e32 v169, v5, v2
	v_mul_f32_e32 v2, v6, v2
	s_delay_alu instid0(VALU_DEP_1) | instskip(SKIP_1) | instid1(VALU_DEP_1)
	v_fma_f32 v170, v5, v1, -v2
	v_add_f32_e32 v2, 0, v130
	v_add_f32_e32 v2, v2, v131
	s_delay_alu instid0(VALU_DEP_1) | instskip(NEXT) | instid1(VALU_DEP_1)
	v_add_f32_e32 v2, v2, v25
	v_add_f32_e32 v2, v2, v26
	s_delay_alu instid0(VALU_DEP_1) | instskip(NEXT) | instid1(VALU_DEP_1)
	;; [unrolled: 3-line block ×7, first 2 shown]
	v_add_f32_e32 v2, v2, v137
	v_add_f32_e32 v2, v2, v139
	s_delay_alu instid0(VALU_DEP_1) | instskip(SKIP_2) | instid1(VALU_DEP_1)
	v_add_f32_e32 v2, v2, v141
	v_fmac_f32_e32 v169, v6, v1
	v_mul_f32_e32 v1, v8, v4
	v_fma_f32 v172, v7, v3, -v1
	v_add_f32_e32 v1, 0, v22
	s_delay_alu instid0(VALU_DEP_1) | instskip(NEXT) | instid1(VALU_DEP_1)
	v_add_f32_e32 v1, v1, v24
	v_add_f32_e32 v1, v1, v120
	s_delay_alu instid0(VALU_DEP_1) | instskip(SKIP_2) | instid1(VALU_DEP_1)
	v_add_f32_e32 v1, v1, v121
	scratch_load_b64 v[120:121], off, off offset:360
	v_add_f32_e32 v1, v1, v122
	v_add_f32_e32 v1, v1, v123
	s_delay_alu instid0(VALU_DEP_1) | instskip(NEXT) | instid1(VALU_DEP_1)
	v_add_f32_e32 v1, v1, v13
	v_add_f32_e32 v1, v1, v14
	s_delay_alu instid0(VALU_DEP_1) | instskip(NEXT) | instid1(VALU_DEP_1)
	;; [unrolled: 3-line block ×8, first 2 shown]
	v_dual_mul_f32 v171, v7, v4 :: v_dual_add_f32 v14, v14, v150
	v_fmac_f32_e32 v171, v8, v3
	s_delay_alu instid0(VALU_DEP_2) | instskip(NEXT) | instid1(VALU_DEP_1)
	v_add_f32_e32 v17, v14, v152
	v_add_f32_e32 v17, v17, v154
	s_delay_alu instid0(VALU_DEP_1) | instskip(NEXT) | instid1(VALU_DEP_1)
	v_add_f32_e32 v17, v17, v156
	v_add_f32_e32 v17, v17, v158
	s_delay_alu instid0(VALU_DEP_1) | instskip(NEXT) | instid1(VALU_DEP_1)
	;; [unrolled: 3-line block ×3, first 2 shown]
	v_add_f32_e32 v25, v25, v164
	v_add_f32_e32 v25, v25, v166
	;; [unrolled: 1-line block ×3, first 2 shown]
	scratch_load_b128 v[1:4], off, off offset:296
	v_add_f32_e32 v13, v5, v145
	ds_load_2addr_b64 v[5:8], v21 offset0:81 offset1:82
	v_add_f32_e32 v13, v13, v147
	s_delay_alu instid0(VALU_DEP_1) | instskip(NEXT) | instid1(VALU_DEP_1)
	v_add_f32_e32 v13, v13, v149
	v_add_f32_e32 v18, v13, v151
	ds_load_2addr_b64 v[13:16], v21 offset0:83 offset1:84
	v_add_f32_e32 v18, v18, v153
	s_wait_loadcnt_dscnt 0x201
	v_mul_f32_e32 v22, v5, v10
	v_mul_f32_e32 v10, v6, v10
	;; [unrolled: 1-line block ×4, first 2 shown]
	v_add_f32_e32 v18, v18, v155
	v_fmac_f32_e32 v22, v6, v9
	v_fma_f32 v125, v5, v9, -v10
	v_fmac_f32_e32 v124, v8, v11
	v_fma_f32 v126, v7, v11, -v12
	s_clause 0x1
	scratch_load_b128 v[9:12], off, off offset:328
	scratch_load_b128 v[5:8], off, off offset:312
	v_add_f32_e32 v24, v18, v157
	scratch_load_b128 v[17:20], off, off offset:344
	v_add_f32_e32 v24, v24, v159
	s_delay_alu instid0(VALU_DEP_1) | instskip(SKIP_1) | instid1(VALU_DEP_1)
	v_add_f32_e32 v24, v24, v161
	s_wait_loadcnt_dscnt 0x300
	v_dual_add_f32 v24, v24, v163 :: v_dual_mul_f32 v127, v13, v2
	v_mul_f32_e32 v2, v14, v2
	v_mul_f32_e32 v130, v15, v4
	s_delay_alu instid0(VALU_DEP_3) | instskip(NEXT) | instid1(VALU_DEP_3)
	v_dual_mul_f32 v4, v16, v4 :: v_dual_fmac_f32 v127, v14, v1
	v_fma_f32 v131, v13, v1, -v2
	v_dual_add_f32 v13, v24, v165 :: v_dual_add_f32 v14, v25, v168
	s_delay_alu instid0(VALU_DEP_4) | instskip(NEXT) | instid1(VALU_DEP_4)
	v_fmac_f32_e32 v130, v16, v3
	v_fma_f32 v132, v15, v3, -v4
	ds_load_2addr_b64 v[1:4], v21 offset0:85 offset1:86
	v_add_f32_e32 v24, v13, v167
	v_add_f32_e32 v122, v14, v170
	ds_load_2addr_b64 v[13:16], v21 offset0:87 offset1:88
	v_add_f32_e32 v123, v24, v169
	ds_load_2addr_b64 v[24:27], v21 offset0:89 offset1:90
	v_dual_add_f32 v133, v122, v172 :: v_dual_add_f32 v134, v123, v171
	ds_load_b64 v[122:123], v21 offset:728
	v_dual_add_f32 v125, v133, v125 :: v_dual_add_f32 v22, v134, v22
	s_delay_alu instid0(VALU_DEP_1)
	v_dual_add_f32 v125, v125, v126 :: v_dual_add_f32 v22, v22, v124
	s_wait_loadcnt_dscnt 0x202
	v_mul_f32_e32 v126, v13, v10
	s_wait_loadcnt 0x1
	v_mul_f32_e32 v124, v3, v8
	v_mul_f32_e32 v8, v4, v8
	v_dual_add_f32 v22, v22, v127 :: v_dual_mul_f32 v127, v15, v12
	v_fmac_f32_e32 v126, v14, v9
	s_delay_alu instid0(VALU_DEP_4) | instskip(NEXT) | instid1(VALU_DEP_3)
	v_fmac_f32_e32 v124, v4, v7
	v_add_f32_e32 v22, v22, v130
	s_wait_dscnt 0x0
	v_dual_mul_f32 v130, v122, v121 :: v_dual_mul_f32 v133, v1, v6
	v_dual_mul_f32 v6, v2, v6 :: v_dual_fmac_f32 v127, v16, v11
	s_delay_alu instid0(VALU_DEP_2) | instskip(NEXT) | instid1(VALU_DEP_2)
	v_dual_fmac_f32 v130, v123, v120 :: v_dual_add_f32 v125, v125, v131
	v_fma_f32 v1, v1, v5, -v6
	s_delay_alu instid0(VALU_DEP_4) | instskip(SKIP_3) | instid1(VALU_DEP_4)
	v_fmac_f32_e32 v133, v2, v5
	v_fma_f32 v2, v3, v7, -v8
	v_mul_f32_e32 v3, v14, v10
	v_add_f32_e32 v125, v125, v132
	v_dual_mul_f32 v5, v16, v12 :: v_dual_add_f32 v4, v22, v133
	s_wait_loadcnt 0x0
	v_mul_f32_e32 v131, v24, v18
	v_fma_f32 v3, v13, v9, -v3
	v_add_f32_e32 v1, v125, v1
	v_fma_f32 v5, v15, v11, -v5
	s_delay_alu instid0(VALU_DEP_4) | instskip(NEXT) | instid1(VALU_DEP_3)
	v_dual_mul_f32 v132, v26, v20 :: v_dual_fmac_f32 v131, v25, v17
	v_dual_add_f32 v1, v1, v2 :: v_dual_add_f32 v2, v4, v124
	v_mul_f32_e32 v4, v25, v18
	s_delay_alu instid0(VALU_DEP_3) | instskip(NEXT) | instid1(VALU_DEP_3)
	v_fmac_f32_e32 v132, v27, v19
	v_dual_add_f32 v1, v1, v3 :: v_dual_add_f32 v2, v2, v126
	v_mul_f32_e32 v3, v27, v20
	s_delay_alu instid0(VALU_DEP_4) | instskip(NEXT) | instid1(VALU_DEP_3)
	v_fma_f32 v4, v24, v17, -v4
	v_dual_add_f32 v1, v1, v5 :: v_dual_add_f32 v2, v2, v127
	v_mul_f32_e32 v5, v123, v121
	s_delay_alu instid0(VALU_DEP_4) | instskip(NEXT) | instid1(VALU_DEP_3)
	v_fma_f32 v3, v26, v19, -v3
	v_dual_add_f32 v1, v1, v4 :: v_dual_add_f32 v2, v2, v131
	s_delay_alu instid0(VALU_DEP_3) | instskip(NEXT) | instid1(VALU_DEP_2)
	v_fma_f32 v4, v122, v120, -v5
	v_dual_add_f32 v1, v1, v3 :: v_dual_add_f32 v2, v2, v132
	s_delay_alu instid0(VALU_DEP_1) | instskip(NEXT) | instid1(VALU_DEP_1)
	v_dual_add_f32 v1, v1, v4 :: v_dual_add_f32 v2, v2, v130
	v_dual_sub_f32 v1, v128, v1 :: v_dual_sub_f32 v2, v129, v2
	scratch_store_b64 off, v[1:2], off offset:16
	v_cmpx_lt_u32_e32 1, v0
	s_cbranch_execz .LBB109_287
; %bb.286:
	scratch_load_b64 v[1:2], off, off offset:8
	v_mov_b32_e32 v22, v21
	scratch_store_b64 off, v[21:22], off offset:8
	s_wait_loadcnt 0x0
	ds_store_b64 v23, v[1:2]
.LBB109_287:
	s_wait_alu 0xfffe
	s_or_b32 exec_lo, exec_lo, s0
	s_wait_storecnt_dscnt 0x0
	s_barrier_signal -1
	s_barrier_wait -1
	global_inv scope:SCOPE_SE
	s_clause 0x4
	scratch_load_b128 v[5:8], off, off offset:16
	scratch_load_b128 v[1:4], off, off offset:32
	;; [unrolled: 1-line block ×5, first 2 shown]
	ds_load_b128 v[24:27], v21 offset:384
	ds_load_b128 v[120:123], v21 offset:400
	;; [unrolled: 1-line block ×3, first 2 shown]
	scratch_load_b64 v[128:129], off, off offset:8
	s_mov_b32 s0, exec_lo
	s_wait_loadcnt_dscnt 0x502
	v_dual_mul_f32 v22, v25, v6 :: v_dual_mul_f32 v131, v26, v8
	v_mul_f32_e32 v130, v24, v6
	v_mul_f32_e32 v6, v27, v8
	s_wait_loadcnt_dscnt 0x300
	v_mul_f32_e32 v132, v126, v12
	v_fma_f32 v22, v24, v5, -v22
	v_dual_fmac_f32 v131, v27, v7 :: v_dual_fmac_f32 v130, v25, v5
	v_mul_f32_e32 v27, v124, v10
	v_mul_f32_e32 v25, v120, v2
	v_fma_f32 v24, v26, v7, -v6
	ds_load_b128 v[5:8], v21 offset:432
	v_mul_f32_e32 v26, v122, v4
	v_dual_mul_f32 v4, v123, v4 :: v_dual_fmac_f32 v27, v125, v9
	v_mul_f32_e32 v10, v125, v10
	v_mul_f32_e32 v12, v127, v12
	;; [unrolled: 1-line block ×3, first 2 shown]
	v_dual_fmac_f32 v25, v121, v1 :: v_dual_fmac_f32 v26, v123, v3
	v_fma_f32 v121, v122, v3, -v4
	v_fma_f32 v122, v124, v9, -v10
	v_fmac_f32_e32 v132, v127, v11
	v_fma_f32 v123, v126, v11, -v12
	ds_load_b128 v[9:12], v21 offset:448
	s_wait_loadcnt_dscnt 0x201
	v_mul_f32_e32 v125, v7, v16
	v_fma_f32 v120, v120, v1, -v2
	scratch_load_b128 v[1:4], off, off offset:96
	v_mul_f32_e32 v124, v5, v14
	v_mul_f32_e32 v14, v6, v14
	;; [unrolled: 1-line block ×3, first 2 shown]
	s_delay_alu instid0(VALU_DEP_3) | instskip(NEXT) | instid1(VALU_DEP_3)
	v_dual_fmac_f32 v125, v8, v15 :: v_dual_fmac_f32 v124, v6, v13
	v_fma_f32 v13, v5, v13, -v14
	s_delay_alu instid0(VALU_DEP_3)
	v_fma_f32 v14, v7, v15, -v16
	ds_load_b128 v[5:8], v21 offset:464
	s_wait_loadcnt_dscnt 0x201
	v_mul_f32_e32 v15, v9, v18
	v_mul_f32_e32 v16, v10, v18
	;; [unrolled: 1-line block ×3, first 2 shown]
	s_delay_alu instid0(VALU_DEP_3) | instskip(NEXT) | instid1(VALU_DEP_3)
	v_dual_mul_f32 v20, v12, v20 :: v_dual_fmac_f32 v15, v10, v17
	v_fma_f32 v16, v9, v17, -v16
	s_delay_alu instid0(VALU_DEP_3) | instskip(NEXT) | instid1(VALU_DEP_3)
	v_fmac_f32_e32 v18, v12, v19
	v_fma_f32 v17, v11, v19, -v20
	scratch_load_b128 v[9:12], off, off offset:112
	s_wait_loadcnt_dscnt 0x100
	v_mul_f32_e32 v19, v5, v2
	v_mul_f32_e32 v2, v6, v2
	;; [unrolled: 1-line block ×3, first 2 shown]
	s_delay_alu instid0(VALU_DEP_3) | instskip(NEXT) | instid1(VALU_DEP_3)
	v_dual_mul_f32 v4, v8, v4 :: v_dual_fmac_f32 v19, v6, v1
	v_fma_f32 v126, v5, v1, -v2
	s_delay_alu instid0(VALU_DEP_3) | instskip(NEXT) | instid1(VALU_DEP_3)
	v_fmac_f32_e32 v20, v8, v3
	v_fma_f32 v127, v7, v3, -v4
	ds_load_b128 v[1:4], v21 offset:480
	ds_load_b128 v[5:8], v21 offset:496
	s_wait_loadcnt_dscnt 0x1
	v_mul_f32_e32 v133, v1, v10
	v_mul_f32_e32 v10, v2, v10
	s_delay_alu instid0(VALU_DEP_2) | instskip(NEXT) | instid1(VALU_DEP_2)
	v_dual_mul_f32 v134, v3, v12 :: v_dual_fmac_f32 v133, v2, v9
	v_fma_f32 v135, v1, v9, -v10
	v_mul_f32_e32 v1, v4, v12
	s_delay_alu instid0(VALU_DEP_3) | instskip(NEXT) | instid1(VALU_DEP_2)
	v_fmac_f32_e32 v134, v4, v11
	v_fma_f32 v136, v3, v11, -v1
	s_clause 0x1
	scratch_load_b128 v[1:4], off, off offset:128
	scratch_load_b128 v[9:12], off, off offset:144
	s_wait_loadcnt_dscnt 0x100
	v_mul_f32_e32 v137, v5, v2
	v_dual_mul_f32 v2, v6, v2 :: v_dual_mul_f32 v139, v7, v4
	s_delay_alu instid0(VALU_DEP_2) | instskip(NEXT) | instid1(VALU_DEP_2)
	v_fmac_f32_e32 v137, v6, v1
	v_fma_f32 v138, v5, v1, -v2
	v_mul_f32_e32 v1, v8, v4
	s_delay_alu instid0(VALU_DEP_4) | instskip(NEXT) | instid1(VALU_DEP_2)
	v_fmac_f32_e32 v139, v8, v3
	v_fma_f32 v140, v7, v3, -v1
	ds_load_b128 v[1:4], v21 offset:512
	ds_load_b128 v[5:8], v21 offset:528
	s_wait_loadcnt_dscnt 0x1
	v_mul_f32_e32 v141, v1, v10
	v_mul_f32_e32 v143, v3, v12
	s_delay_alu instid0(VALU_DEP_2) | instskip(NEXT) | instid1(VALU_DEP_2)
	v_fmac_f32_e32 v141, v2, v9
	v_dual_mul_f32 v2, v2, v10 :: v_dual_fmac_f32 v143, v4, v11
	s_delay_alu instid0(VALU_DEP_1) | instskip(SKIP_1) | instid1(VALU_DEP_1)
	v_fma_f32 v142, v1, v9, -v2
	v_mul_f32_e32 v1, v4, v12
	v_fma_f32 v144, v3, v11, -v1
	s_clause 0x1
	scratch_load_b128 v[1:4], off, off offset:160
	scratch_load_b128 v[9:12], off, off offset:176
	s_wait_loadcnt_dscnt 0x100
	v_mul_f32_e32 v145, v5, v2
	v_dual_mul_f32 v2, v6, v2 :: v_dual_mul_f32 v147, v7, v4
	s_delay_alu instid0(VALU_DEP_2) | instskip(NEXT) | instid1(VALU_DEP_2)
	v_fmac_f32_e32 v145, v6, v1
	v_fma_f32 v146, v5, v1, -v2
	v_mul_f32_e32 v1, v8, v4
	s_delay_alu instid0(VALU_DEP_4) | instskip(NEXT) | instid1(VALU_DEP_2)
	v_fmac_f32_e32 v147, v8, v3
	v_fma_f32 v148, v7, v3, -v1
	ds_load_b128 v[1:4], v21 offset:544
	ds_load_b128 v[5:8], v21 offset:560
	s_wait_loadcnt_dscnt 0x1
	v_mul_f32_e32 v149, v1, v10
	v_mul_f32_e32 v151, v3, v12
	s_delay_alu instid0(VALU_DEP_2) | instskip(NEXT) | instid1(VALU_DEP_2)
	v_fmac_f32_e32 v149, v2, v9
	v_dual_mul_f32 v2, v2, v10 :: v_dual_fmac_f32 v151, v4, v11
	s_delay_alu instid0(VALU_DEP_1) | instskip(SKIP_1) | instid1(VALU_DEP_1)
	v_fma_f32 v150, v1, v9, -v2
	v_mul_f32_e32 v1, v4, v12
	;; [unrolled: 25-line block ×5, first 2 shown]
	v_fma_f32 v176, v3, v11, -v1
	s_clause 0x1
	scratch_load_b128 v[1:4], off, off offset:288
	scratch_load_b128 v[9:12], off, off offset:304
	s_wait_loadcnt_dscnt 0x100
	v_mul_f32_e32 v177, v5, v2
	v_dual_mul_f32 v2, v6, v2 :: v_dual_mul_f32 v179, v7, v4
	s_delay_alu instid0(VALU_DEP_2) | instskip(NEXT) | instid1(VALU_DEP_2)
	v_fmac_f32_e32 v177, v6, v1
	v_fma_f32 v178, v5, v1, -v2
	v_dual_mul_f32 v1, v8, v4 :: v_dual_add_f32 v2, 0, v130
	s_delay_alu instid0(VALU_DEP_4) | instskip(NEXT) | instid1(VALU_DEP_2)
	v_fmac_f32_e32 v179, v8, v3
	v_fma_f32 v180, v7, v3, -v1
	s_delay_alu instid0(VALU_DEP_3) | instskip(NEXT) | instid1(VALU_DEP_1)
	v_dual_add_f32 v1, 0, v22 :: v_dual_add_f32 v2, v2, v131
	v_dual_add_f32 v1, v1, v24 :: v_dual_add_f32 v2, v2, v25
	s_delay_alu instid0(VALU_DEP_1) | instskip(NEXT) | instid1(VALU_DEP_1)
	v_dual_add_f32 v1, v1, v120 :: v_dual_add_f32 v2, v2, v26
	v_dual_add_f32 v1, v1, v121 :: v_dual_add_f32 v2, v2, v27
	s_delay_alu instid0(VALU_DEP_1) | instskip(NEXT) | instid1(VALU_DEP_1)
	;; [unrolled: 3-line block ×3, first 2 shown]
	v_add_f32_e32 v1, v1, v13
	v_dual_add_f32 v2, v2, v125 :: v_dual_add_f32 v1, v1, v14
	s_delay_alu instid0(VALU_DEP_1) | instskip(NEXT) | instid1(VALU_DEP_1)
	v_dual_add_f32 v2, v2, v15 :: v_dual_add_f32 v1, v1, v16
	v_dual_add_f32 v2, v2, v18 :: v_dual_add_f32 v1, v1, v17
	s_delay_alu instid0(VALU_DEP_1) | instskip(NEXT) | instid1(VALU_DEP_1)
	v_dual_add_f32 v2, v2, v19 :: v_dual_add_f32 v1, v1, v126
	;; [unrolled: 3-line block ×6, first 2 shown]
	v_dual_add_f32 v2, v2, v147 :: v_dual_add_f32 v1, v1, v148
	s_delay_alu instid0(VALU_DEP_1) | instskip(NEXT) | instid1(VALU_DEP_2)
	v_add_f32_e32 v5, v2, v149
	v_add_f32_e32 v1, v1, v150
	s_delay_alu instid0(VALU_DEP_2) | instskip(NEXT) | instid1(VALU_DEP_2)
	v_add_f32_e32 v5, v5, v151
	v_add_f32_e32 v6, v1, v152
	ds_load_b128 v[1:4], v21 offset:672
	v_dual_add_f32 v5, v5, v153 :: v_dual_add_f32 v6, v6, v154
	s_delay_alu instid0(VALU_DEP_1) | instskip(SKIP_2) | instid1(VALU_DEP_1)
	v_dual_add_f32 v14, v5, v155 :: v_dual_add_f32 v13, v6, v156
	ds_load_b128 v[5:8], v21 offset:688
	v_dual_add_f32 v14, v14, v157 :: v_dual_add_f32 v13, v13, v158
	v_dual_add_f32 v14, v14, v159 :: v_dual_add_f32 v13, v13, v160
	s_wait_loadcnt_dscnt 0x1
	v_mul_f32_e32 v22, v1, v10
	v_mul_f32_e32 v120, v3, v12
	;; [unrolled: 1-line block ×3, first 2 shown]
	v_dual_mul_f32 v12, v4, v12 :: v_dual_add_f32 v13, v13, v162
	s_delay_alu instid0(VALU_DEP_4) | instskip(NEXT) | instid1(VALU_DEP_4)
	v_fmac_f32_e32 v22, v2, v9
	v_fmac_f32_e32 v120, v4, v11
	s_delay_alu instid0(VALU_DEP_4) | instskip(NEXT) | instid1(VALU_DEP_4)
	v_fma_f32 v121, v1, v9, -v10
	v_fma_f32 v122, v3, v11, -v12
	s_clause 0x1
	scratch_load_b128 v[1:4], off, off offset:320
	scratch_load_b128 v[9:12], off, off offset:336
	v_dual_add_f32 v17, v14, v161 :: v_dual_add_f32 v18, v13, v164
	scratch_load_b128 v[13:16], off, off offset:352
	v_dual_add_f32 v17, v17, v163 :: v_dual_add_f32 v18, v18, v166
	s_delay_alu instid0(VALU_DEP_1) | instskip(NEXT) | instid1(VALU_DEP_1)
	v_dual_add_f32 v17, v17, v165 :: v_dual_add_f32 v18, v18, v168
	v_dual_add_f32 v17, v17, v167 :: v_dual_add_f32 v24, v18, v170
	s_delay_alu instid0(VALU_DEP_1)
	v_add_f32_e32 v25, v17, v169
	ds_load_b128 v[17:20], v21 offset:704
	v_dual_add_f32 v123, v24, v172 :: v_dual_add_f32 v124, v25, v171
	ds_load_b128 v[24:27], v21 offset:720
	s_wait_loadcnt_dscnt 0x101
	v_dual_mul_f32 v125, v7, v4 :: v_dual_mul_f32 v126, v17, v10
	v_mul_f32_e32 v4, v8, v4
	s_wait_loadcnt_dscnt 0x0
	v_dual_mul_f32 v127, v19, v12 :: v_dual_mul_f32 v130, v24, v14
	v_add_f32_e32 v21, v123, v174
	v_dual_add_f32 v123, v124, v173 :: v_dual_mul_f32 v124, v5, v2
	v_mul_f32_e32 v2, v6, v2
	s_delay_alu instid0(VALU_DEP_4) | instskip(NEXT) | instid1(VALU_DEP_4)
	v_fmac_f32_e32 v130, v25, v13
	v_add_f32_e32 v21, v21, v176
	s_delay_alu instid0(VALU_DEP_4) | instskip(NEXT) | instid1(VALU_DEP_4)
	v_dual_add_f32 v123, v123, v175 :: v_dual_fmac_f32 v124, v6, v1
	v_fma_f32 v2, v5, v1, -v2
	v_mul_f32_e32 v6, v18, v10
	s_delay_alu instid0(VALU_DEP_4) | instskip(NEXT) | instid1(VALU_DEP_4)
	v_add_f32_e32 v21, v21, v178
	v_add_f32_e32 v123, v123, v177
	v_fmac_f32_e32 v125, v8, v3
	v_fma_f32 v3, v7, v3, -v4
	v_mul_f32_e32 v4, v20, v12
	v_add_f32_e32 v21, v21, v180
	v_dual_add_f32 v123, v123, v179 :: v_dual_fmac_f32 v126, v18, v9
	v_fmac_f32_e32 v127, v20, v11
	s_delay_alu instid0(VALU_DEP_4) | instskip(NEXT) | instid1(VALU_DEP_3)
	v_fma_f32 v4, v19, v11, -v4
	v_dual_add_f32 v21, v21, v121 :: v_dual_add_f32 v22, v123, v22
	v_mul_f32_e32 v121, v26, v16
	s_delay_alu instid0(VALU_DEP_2) | instskip(NEXT) | instid1(VALU_DEP_3)
	v_add_f32_e32 v1, v21, v122
	v_add_f32_e32 v5, v22, v120
	s_delay_alu instid0(VALU_DEP_3) | instskip(NEXT) | instid1(VALU_DEP_3)
	v_fmac_f32_e32 v121, v27, v15
	v_add_f32_e32 v1, v1, v2
	s_delay_alu instid0(VALU_DEP_3) | instskip(SKIP_1) | instid1(VALU_DEP_2)
	v_add_f32_e32 v2, v5, v124
	v_fma_f32 v5, v17, v9, -v6
	v_dual_add_f32 v1, v1, v3 :: v_dual_add_f32 v2, v2, v125
	v_mul_f32_e32 v3, v25, v14
	s_delay_alu instid0(VALU_DEP_2) | instskip(SKIP_1) | instid1(VALU_DEP_3)
	v_dual_add_f32 v1, v1, v5 :: v_dual_add_f32 v2, v2, v126
	v_mul_f32_e32 v5, v27, v16
	v_fma_f32 v3, v24, v13, -v3
	s_delay_alu instid0(VALU_DEP_3) | instskip(NEXT) | instid1(VALU_DEP_3)
	v_dual_add_f32 v1, v1, v4 :: v_dual_add_f32 v2, v2, v127
	v_fma_f32 v4, v26, v15, -v5
	s_delay_alu instid0(VALU_DEP_2) | instskip(NEXT) | instid1(VALU_DEP_1)
	v_dual_add_f32 v1, v1, v3 :: v_dual_add_f32 v2, v2, v130
	v_dual_add_f32 v1, v1, v4 :: v_dual_add_f32 v2, v2, v121
	s_delay_alu instid0(VALU_DEP_1)
	v_dual_sub_f32 v1, v128, v1 :: v_dual_sub_f32 v2, v129, v2
	scratch_store_b64 off, v[1:2], off offset:8
	v_cmpx_ne_u32_e32 0, v0
	s_cbranch_execz .LBB109_289
; %bb.288:
	scratch_load_b64 v[0:1], off, off
	v_mov_b32_e32 v2, 0
	s_delay_alu instid0(VALU_DEP_1)
	v_mov_b32_e32 v3, v2
	scratch_store_b64 off, v[2:3], off
	s_wait_loadcnt 0x0
	ds_store_b64 v23, v[0:1]
.LBB109_289:
	s_wait_alu 0xfffe
	s_or_b32 exec_lo, exec_lo, s0
	s_wait_storecnt_dscnt 0x0
	s_barrier_signal -1
	s_barrier_wait -1
	global_inv scope:SCOPE_SE
	s_clause 0x6
	scratch_load_b128 v[0:3], off, off offset:8
	scratch_load_b128 v[4:7], off, off offset:24
	;; [unrolled: 1-line block ×7, first 2 shown]
	v_mov_b32_e32 v120, 0
	scratch_load_b64 v[129:130], off, off
	s_and_b32 vcc_lo, exec_lo, s12
	ds_load_2addr_b64 v[121:124], v120 offset0:47 offset1:48
	ds_load_2addr_b64 v[125:128], v120 offset0:49 offset1:50
	s_wait_loadcnt_dscnt 0x701
	v_mul_f32_e32 v131, v122, v1
	v_dual_mul_f32 v132, v121, v1 :: v_dual_mul_f32 v133, v123, v3
	v_mul_f32_e32 v1, v124, v3
	s_delay_alu instid0(VALU_DEP_3) | instskip(NEXT) | instid1(VALU_DEP_3)
	v_fma_f32 v121, v121, v0, -v131
	v_dual_fmac_f32 v132, v122, v0 :: v_dual_fmac_f32 v133, v124, v2
	s_wait_loadcnt_dscnt 0x600
	v_mul_f32_e32 v124, v127, v7
	v_fma_f32 v122, v123, v2, -v1
	ds_load_2addr_b64 v[0:3], v120 offset0:51 offset1:52
	v_mul_f32_e32 v123, v125, v5
	v_mul_f32_e32 v5, v126, v5
	;; [unrolled: 1-line block ×3, first 2 shown]
	s_delay_alu instid0(VALU_DEP_3) | instskip(NEXT) | instid1(VALU_DEP_3)
	v_dual_fmac_f32 v124, v128, v6 :: v_dual_fmac_f32 v123, v126, v4
	v_fma_f32 v125, v125, v4, -v5
	s_delay_alu instid0(VALU_DEP_3)
	v_fma_f32 v126, v127, v6, -v7
	ds_load_2addr_b64 v[4:7], v120 offset0:53 offset1:54
	s_wait_loadcnt_dscnt 0x501
	v_dual_mul_f32 v127, v0, v9 :: v_dual_mul_f32 v128, v2, v11
	v_mul_f32_e32 v9, v1, v9
	v_mul_f32_e32 v11, v3, v11
	s_delay_alu instid0(VALU_DEP_3) | instskip(NEXT) | instid1(VALU_DEP_3)
	v_dual_fmac_f32 v127, v1, v8 :: v_dual_fmac_f32 v128, v3, v10
	v_fma_f32 v131, v0, v8, -v9
	s_delay_alu instid0(VALU_DEP_3)
	v_fma_f32 v134, v2, v10, -v11
	ds_load_2addr_b64 v[0:3], v120 offset0:55 offset1:56
	s_wait_loadcnt_dscnt 0x401
	v_mul_f32_e32 v135, v4, v13
	v_dual_mul_f32 v8, v5, v13 :: v_dual_mul_f32 v13, v6, v15
	v_mul_f32_e32 v9, v7, v15
	s_delay_alu instid0(VALU_DEP_3) | instskip(NEXT) | instid1(VALU_DEP_3)
	v_fmac_f32_e32 v135, v5, v12
	v_fma_f32 v12, v4, v12, -v8
	s_delay_alu instid0(VALU_DEP_4) | instskip(NEXT) | instid1(VALU_DEP_4)
	v_fmac_f32_e32 v13, v7, v14
	v_fma_f32 v14, v6, v14, -v9
	ds_load_2addr_b64 v[4:7], v120 offset0:57 offset1:58
	s_wait_loadcnt_dscnt 0x301
	v_mul_f32_e32 v15, v0, v17
	v_dual_mul_f32 v8, v1, v17 :: v_dual_mul_f32 v17, v2, v19
	v_mul_f32_e32 v9, v3, v19
	s_delay_alu instid0(VALU_DEP_3) | instskip(NEXT) | instid1(VALU_DEP_3)
	v_fmac_f32_e32 v15, v1, v16
	v_fma_f32 v16, v0, v16, -v8
	s_delay_alu instid0(VALU_DEP_4) | instskip(NEXT) | instid1(VALU_DEP_4)
	v_fmac_f32_e32 v17, v3, v18
	;; [unrolled: 11-line block ×4, first 2 shown]
	v_fma_f32 v26, v2, v26, -v9
	s_clause 0x1
	scratch_load_b128 v[0:3], off, off offset:120
	scratch_load_b128 v[8:11], off, off offset:136
	s_wait_loadcnt_dscnt 0x100
	v_mul_f32_e32 v27, v4, v1
	v_mul_f32_e32 v1, v5, v1
	;; [unrolled: 1-line block ×3, first 2 shown]
	s_delay_alu instid0(VALU_DEP_3) | instskip(NEXT) | instid1(VALU_DEP_3)
	v_fmac_f32_e32 v27, v5, v0
	v_fma_f32 v136, v4, v0, -v1
	v_mul_f32_e32 v0, v7, v3
	s_delay_alu instid0(VALU_DEP_4) | instskip(NEXT) | instid1(VALU_DEP_2)
	v_fmac_f32_e32 v137, v7, v2
	v_fma_f32 v138, v6, v2, -v0
	ds_load_2addr_b64 v[0:3], v120 offset0:63 offset1:64
	ds_load_2addr_b64 v[4:7], v120 offset0:65 offset1:66
	s_wait_loadcnt_dscnt 0x1
	v_mul_f32_e32 v139, v0, v9
	s_delay_alu instid0(VALU_DEP_1) | instskip(SKIP_1) | instid1(VALU_DEP_1)
	v_fmac_f32_e32 v139, v1, v8
	v_mul_f32_e32 v1, v1, v9
	v_fma_f32 v140, v0, v8, -v1
	v_mul_f32_e32 v0, v3, v11
	s_delay_alu instid0(VALU_DEP_1) | instskip(SKIP_1) | instid1(VALU_DEP_1)
	v_fma_f32 v142, v2, v10, -v0
	v_mul_f32_e32 v141, v2, v11
	v_fmac_f32_e32 v141, v3, v10
	s_clause 0x1
	scratch_load_b128 v[0:3], off, off offset:152
	scratch_load_b128 v[8:11], off, off offset:168
	s_wait_loadcnt_dscnt 0x100
	v_mul_f32_e32 v143, v4, v1
	v_mul_f32_e32 v1, v5, v1
	v_mul_f32_e32 v145, v6, v3
	s_delay_alu instid0(VALU_DEP_3) | instskip(NEXT) | instid1(VALU_DEP_3)
	v_fmac_f32_e32 v143, v5, v0
	v_fma_f32 v144, v4, v0, -v1
	v_mul_f32_e32 v0, v7, v3
	s_delay_alu instid0(VALU_DEP_4) | instskip(NEXT) | instid1(VALU_DEP_2)
	v_fmac_f32_e32 v145, v7, v2
	v_fma_f32 v146, v6, v2, -v0
	ds_load_2addr_b64 v[0:3], v120 offset0:67 offset1:68
	ds_load_2addr_b64 v[4:7], v120 offset0:69 offset1:70
	s_wait_loadcnt_dscnt 0x1
	v_mul_f32_e32 v147, v0, v9
	v_mul_f32_e32 v149, v2, v11
	s_delay_alu instid0(VALU_DEP_2) | instskip(SKIP_1) | instid1(VALU_DEP_3)
	v_fmac_f32_e32 v147, v1, v8
	v_mul_f32_e32 v1, v1, v9
	v_fmac_f32_e32 v149, v3, v10
	s_delay_alu instid0(VALU_DEP_2) | instskip(SKIP_1) | instid1(VALU_DEP_1)
	v_fma_f32 v148, v0, v8, -v1
	v_mul_f32_e32 v0, v3, v11
	v_fma_f32 v150, v2, v10, -v0
	s_clause 0x1
	scratch_load_b128 v[0:3], off, off offset:184
	scratch_load_b128 v[8:11], off, off offset:200
	s_wait_loadcnt_dscnt 0x100
	v_mul_f32_e32 v151, v4, v1
	v_mul_f32_e32 v1, v5, v1
	v_mul_f32_e32 v153, v6, v3
	s_delay_alu instid0(VALU_DEP_3) | instskip(NEXT) | instid1(VALU_DEP_3)
	v_fmac_f32_e32 v151, v5, v0
	v_fma_f32 v152, v4, v0, -v1
	v_mul_f32_e32 v0, v7, v3
	s_delay_alu instid0(VALU_DEP_4) | instskip(NEXT) | instid1(VALU_DEP_2)
	v_fmac_f32_e32 v153, v7, v2
	v_fma_f32 v154, v6, v2, -v0
	ds_load_2addr_b64 v[0:3], v120 offset0:71 offset1:72
	ds_load_2addr_b64 v[4:7], v120 offset0:73 offset1:74
	s_wait_loadcnt_dscnt 0x1
	v_mul_f32_e32 v155, v0, v9
	v_mul_f32_e32 v157, v2, v11
	s_delay_alu instid0(VALU_DEP_2) | instskip(SKIP_1) | instid1(VALU_DEP_3)
	v_fmac_f32_e32 v155, v1, v8
	v_mul_f32_e32 v1, v1, v9
	v_fmac_f32_e32 v157, v3, v10
	s_delay_alu instid0(VALU_DEP_2) | instskip(SKIP_1) | instid1(VALU_DEP_1)
	v_fma_f32 v156, v0, v8, -v1
	v_mul_f32_e32 v0, v3, v11
	v_fma_f32 v158, v2, v10, -v0
	s_clause 0x1
	scratch_load_b128 v[0:3], off, off offset:216
	scratch_load_b128 v[8:11], off, off offset:232
	s_wait_loadcnt_dscnt 0x100
	v_mul_f32_e32 v159, v4, v1
	v_mul_f32_e32 v1, v5, v1
	v_mul_f32_e32 v161, v6, v3
	s_delay_alu instid0(VALU_DEP_3) | instskip(NEXT) | instid1(VALU_DEP_3)
	v_fmac_f32_e32 v159, v5, v0
	v_fma_f32 v160, v4, v0, -v1
	v_mul_f32_e32 v0, v7, v3
	s_delay_alu instid0(VALU_DEP_4) | instskip(NEXT) | instid1(VALU_DEP_2)
	v_fmac_f32_e32 v161, v7, v2
	v_fma_f32 v162, v6, v2, -v0
	ds_load_2addr_b64 v[0:3], v120 offset0:75 offset1:76
	ds_load_2addr_b64 v[4:7], v120 offset0:77 offset1:78
	s_wait_loadcnt_dscnt 0x1
	v_mul_f32_e32 v163, v0, v9
	v_mul_f32_e32 v165, v2, v11
	s_delay_alu instid0(VALU_DEP_2) | instskip(SKIP_1) | instid1(VALU_DEP_3)
	v_fmac_f32_e32 v163, v1, v8
	v_mul_f32_e32 v1, v1, v9
	v_fmac_f32_e32 v165, v3, v10
	s_delay_alu instid0(VALU_DEP_2) | instskip(SKIP_1) | instid1(VALU_DEP_1)
	v_fma_f32 v164, v0, v8, -v1
	v_mul_f32_e32 v0, v3, v11
	v_fma_f32 v166, v2, v10, -v0
	s_clause 0x1
	scratch_load_b128 v[0:3], off, off offset:248
	scratch_load_b128 v[8:11], off, off offset:264
	s_wait_loadcnt_dscnt 0x100
	v_mul_f32_e32 v167, v4, v1
	v_mul_f32_e32 v1, v5, v1
	v_mul_f32_e32 v169, v6, v3
	s_delay_alu instid0(VALU_DEP_3) | instskip(NEXT) | instid1(VALU_DEP_3)
	v_fmac_f32_e32 v167, v5, v0
	v_fma_f32 v168, v4, v0, -v1
	v_mul_f32_e32 v0, v7, v3
	s_delay_alu instid0(VALU_DEP_4) | instskip(NEXT) | instid1(VALU_DEP_2)
	v_fmac_f32_e32 v169, v7, v2
	v_fma_f32 v170, v6, v2, -v0
	ds_load_2addr_b64 v[0:3], v120 offset0:79 offset1:80
	ds_load_2addr_b64 v[4:7], v120 offset0:81 offset1:82
	s_wait_loadcnt_dscnt 0x1
	v_mul_f32_e32 v171, v0, v9
	v_mul_f32_e32 v173, v2, v11
	s_delay_alu instid0(VALU_DEP_2) | instskip(SKIP_1) | instid1(VALU_DEP_3)
	v_fmac_f32_e32 v171, v1, v8
	v_mul_f32_e32 v1, v1, v9
	v_fmac_f32_e32 v173, v3, v10
	s_delay_alu instid0(VALU_DEP_2) | instskip(SKIP_1) | instid1(VALU_DEP_1)
	v_fma_f32 v172, v0, v8, -v1
	v_mul_f32_e32 v0, v3, v11
	v_fma_f32 v174, v2, v10, -v0
	s_clause 0x1
	scratch_load_b128 v[0:3], off, off offset:280
	scratch_load_b128 v[8:11], off, off offset:296
	s_wait_loadcnt_dscnt 0x100
	v_mul_f32_e32 v175, v4, v1
	v_mul_f32_e32 v1, v5, v1
	;; [unrolled: 1-line block ×3, first 2 shown]
	s_delay_alu instid0(VALU_DEP_3) | instskip(NEXT) | instid1(VALU_DEP_3)
	v_fmac_f32_e32 v175, v5, v0
	v_fma_f32 v176, v4, v0, -v1
	v_dual_mul_f32 v0, v7, v3 :: v_dual_add_f32 v1, 0, v132
	s_delay_alu instid0(VALU_DEP_4) | instskip(NEXT) | instid1(VALU_DEP_2)
	v_fmac_f32_e32 v177, v7, v2
	v_fma_f32 v178, v6, v2, -v0
	v_add_f32_e32 v0, 0, v121
	s_delay_alu instid0(VALU_DEP_1) | instskip(NEXT) | instid1(VALU_DEP_1)
	v_dual_add_f32 v1, v1, v133 :: v_dual_add_f32 v0, v0, v122
	v_dual_add_f32 v1, v1, v123 :: v_dual_add_f32 v0, v0, v125
	s_delay_alu instid0(VALU_DEP_1) | instskip(NEXT) | instid1(VALU_DEP_1)
	v_dual_add_f32 v1, v1, v124 :: v_dual_add_f32 v0, v0, v126
	v_add_f32_e32 v1, v1, v127
	s_delay_alu instid0(VALU_DEP_1) | instskip(NEXT) | instid1(VALU_DEP_1)
	v_dual_add_f32 v0, v0, v131 :: v_dual_add_f32 v1, v1, v128
	v_dual_add_f32 v0, v0, v134 :: v_dual_add_f32 v1, v1, v135
	s_delay_alu instid0(VALU_DEP_1) | instskip(NEXT) | instid1(VALU_DEP_1)
	v_dual_add_f32 v0, v0, v12 :: v_dual_add_f32 v1, v1, v13
	v_dual_add_f32 v0, v0, v14 :: v_dual_add_f32 v1, v1, v15
	;; [unrolled: 3-line block ×4, first 2 shown]
	s_delay_alu instid0(VALU_DEP_1) | instskip(SKIP_2) | instid1(VALU_DEP_1)
	v_dual_add_f32 v0, v0, v24 :: v_dual_add_f32 v1, v1, v25
	scratch_load_b64 v[24:25], off, off offset:360
	v_dual_add_f32 v0, v0, v26 :: v_dual_add_f32 v1, v1, v27
	v_dual_add_f32 v0, v0, v136 :: v_dual_add_f32 v1, v1, v137
	s_delay_alu instid0(VALU_DEP_1) | instskip(NEXT) | instid1(VALU_DEP_1)
	v_dual_add_f32 v0, v0, v138 :: v_dual_add_f32 v1, v1, v139
	v_add_f32_e32 v0, v0, v140
	s_delay_alu instid0(VALU_DEP_1) | instskip(NEXT) | instid1(VALU_DEP_1)
	v_add_f32_e32 v0, v0, v142
	v_dual_add_f32 v0, v0, v144 :: v_dual_add_f32 v1, v1, v141
	s_delay_alu instid0(VALU_DEP_1) | instskip(NEXT) | instid1(VALU_DEP_1)
	v_dual_add_f32 v0, v0, v146 :: v_dual_add_f32 v1, v1, v143
	v_add_f32_e32 v5, v0, v148
	s_delay_alu instid0(VALU_DEP_1) | instskip(NEXT) | instid1(VALU_DEP_1)
	v_add_f32_e32 v5, v5, v150
	v_add_f32_e32 v12, v5, v152
	s_delay_alu instid0(VALU_DEP_1) | instskip(NEXT) | instid1(VALU_DEP_1)
	v_add_f32_e32 v12, v12, v154
	v_add_f32_e32 v12, v12, v156
	;; [unrolled: 1-line block ×3, first 2 shown]
	ds_load_2addr_b64 v[0:3], v120 offset0:83 offset1:84
	v_add_f32_e32 v12, v12, v158
	v_add_f32_e32 v4, v4, v147
	s_delay_alu instid0(VALU_DEP_2) | instskip(NEXT) | instid1(VALU_DEP_1)
	v_add_f32_e32 v17, v12, v160
	v_dual_add_f32 v4, v4, v149 :: v_dual_add_f32 v17, v17, v162
	s_delay_alu instid0(VALU_DEP_1)
	v_add_f32_e32 v13, v4, v151
	ds_load_2addr_b64 v[4:7], v120 offset0:85 offset1:86
	v_add_f32_e32 v17, v17, v164
	v_add_f32_e32 v13, v13, v153
	s_wait_loadcnt_dscnt 0x101
	v_mul_f32_e32 v121, v0, v9
	v_dual_mul_f32 v9, v1, v9 :: v_dual_mul_f32 v122, v2, v11
	v_mul_f32_e32 v11, v3, v11
	v_add_f32_e32 v13, v13, v155
	s_delay_alu instid0(VALU_DEP_4) | instskip(NEXT) | instid1(VALU_DEP_4)
	v_fmac_f32_e32 v121, v1, v8
	v_fma_f32 v123, v0, v8, -v9
	v_fmac_f32_e32 v122, v3, v10
	v_fma_f32 v124, v2, v10, -v11
	s_clause 0x1
	scratch_load_b128 v[0:3], off, off offset:312
	scratch_load_b128 v[8:11], off, off offset:328
	v_add_f32_e32 v16, v13, v157
	scratch_load_b128 v[12:15], off, off offset:344
	v_dual_add_f32 v17, v17, v166 :: v_dual_add_f32 v16, v16, v159
	s_delay_alu instid0(VALU_DEP_1) | instskip(NEXT) | instid1(VALU_DEP_1)
	v_dual_add_f32 v17, v17, v168 :: v_dual_add_f32 v16, v16, v161
	v_add_f32_e32 v26, v17, v170
	s_delay_alu instid0(VALU_DEP_1) | instskip(NEXT) | instid1(VALU_DEP_1)
	v_add_f32_e32 v125, v26, v172
	v_add_f32_e32 v125, v125, v174
	s_delay_alu instid0(VALU_DEP_1) | instskip(NEXT) | instid1(VALU_DEP_1)
	v_add_f32_e32 v125, v125, v176
	v_add_f32_e32 v125, v125, v178
	s_delay_alu instid0(VALU_DEP_1) | instskip(SKIP_4) | instid1(VALU_DEP_3)
	v_add_f32_e32 v123, v125, v123
	s_wait_loadcnt_dscnt 0x200
	v_mul_f32_e32 v127, v4, v1
	v_dual_mul_f32 v1, v5, v1 :: v_dual_mul_f32 v128, v6, v3
	v_mul_f32_e32 v3, v7, v3
	v_fmac_f32_e32 v127, v5, v0
	s_delay_alu instid0(VALU_DEP_3) | instskip(SKIP_3) | instid1(VALU_DEP_3)
	v_fma_f32 v0, v4, v0, -v1
	v_add_f32_e32 v1, v123, v124
	v_fmac_f32_e32 v128, v7, v2
	v_fma_f32 v2, v6, v2, -v3
	v_add_f32_e32 v0, v1, v0
	s_delay_alu instid0(VALU_DEP_1) | instskip(SKIP_1) | instid1(VALU_DEP_1)
	v_add_f32_e32 v0, v0, v2
	v_add_f32_e32 v16, v16, v163
	;; [unrolled: 1-line block ×3, first 2 shown]
	s_delay_alu instid0(VALU_DEP_1)
	v_add_f32_e32 v20, v16, v167
	ds_load_2addr_b64 v[16:19], v120 offset0:87 offset1:88
	v_add_f32_e32 v27, v20, v169
	ds_load_2addr_b64 v[20:23], v120 offset0:89 offset1:90
	v_add_f32_e32 v126, v27, v171
	ds_load_b64 v[26:27], v120 offset:728
	v_add_f32_e32 v126, v126, v173
	s_wait_loadcnt_dscnt 0x102
	s_delay_alu instid0(VALU_DEP_1) | instskip(SKIP_1) | instid1(VALU_DEP_2)
	v_dual_add_f32 v126, v126, v175 :: v_dual_mul_f32 v131, v16, v9
	v_dual_mul_f32 v5, v17, v9 :: v_dual_mul_f32 v132, v18, v11
	v_dual_mul_f32 v3, v19, v11 :: v_dual_add_f32 v126, v126, v177
	s_delay_alu instid0(VALU_DEP_3)
	v_fmac_f32_e32 v131, v17, v8
	s_wait_loadcnt_dscnt 0x1
	v_mul_f32_e32 v133, v20, v13
	v_mul_f32_e32 v2, v21, v13
	v_dual_fmac_f32 v132, v19, v10 :: v_dual_add_f32 v121, v126, v121
	v_fma_f32 v3, v18, v10, -v3
	v_mul_f32_e32 v125, v22, v15
	v_fmac_f32_e32 v133, v21, v12
	v_fma_f32 v2, v20, v12, -v2
	v_add_f32_e32 v4, v121, v122
	s_wait_dscnt 0x0
	v_dual_mul_f32 v126, v26, v25 :: v_dual_fmac_f32 v125, v23, v14
	s_delay_alu instid0(VALU_DEP_2) | instskip(SKIP_1) | instid1(VALU_DEP_3)
	v_add_f32_e32 v1, v4, v127
	v_fma_f32 v4, v16, v8, -v5
	v_fmac_f32_e32 v126, v27, v24
	s_delay_alu instid0(VALU_DEP_3) | instskip(NEXT) | instid1(VALU_DEP_3)
	v_add_f32_e32 v1, v1, v128
	v_add_f32_e32 v0, v0, v4
	v_mul_f32_e32 v4, v23, v15
	s_delay_alu instid0(VALU_DEP_3) | instskip(NEXT) | instid1(VALU_DEP_3)
	v_add_f32_e32 v1, v1, v131
	v_dual_add_f32 v0, v0, v3 :: v_dual_mul_f32 v3, v27, v25
	s_delay_alu instid0(VALU_DEP_3) | instskip(NEXT) | instid1(VALU_DEP_2)
	v_fma_f32 v4, v22, v14, -v4
	v_dual_add_f32 v1, v1, v132 :: v_dual_add_f32 v0, v0, v2
	s_delay_alu instid0(VALU_DEP_3) | instskip(NEXT) | instid1(VALU_DEP_2)
	v_fma_f32 v2, v26, v24, -v3
	v_dual_add_f32 v1, v1, v133 :: v_dual_add_f32 v0, v0, v4
	s_delay_alu instid0(VALU_DEP_1) | instskip(NEXT) | instid1(VALU_DEP_1)
	v_dual_add_f32 v1, v1, v125 :: v_dual_add_f32 v0, v0, v2
	v_add_f32_e32 v1, v1, v126
	s_delay_alu instid0(VALU_DEP_1)
	v_dual_sub_f32 v0, v129, v0 :: v_dual_sub_f32 v1, v130, v1
	scratch_store_b64 off, v[0:1], off
	s_wait_alu 0xfffe
	s_cbranch_vccz .LBB109_380
; %bb.290:
	global_load_b32 v0, v120, s[2:3] offset:176
	s_wait_loadcnt 0x0
	v_cmp_ne_u32_e32 vcc_lo, 45, v0
	s_cbranch_vccz .LBB109_292
; %bb.291:
	v_lshlrev_b32_e32 v0, 3, v0
	s_delay_alu instid0(VALU_DEP_1)
	v_mov_b32_e32 v4, v0
	scratch_load_b64 v[0:1], v4, off offset:-8
	scratch_load_b64 v[2:3], off, off offset:352
	s_wait_loadcnt 0x1
	scratch_store_b64 off, v[0:1], off offset:352
	s_wait_loadcnt 0x0
	scratch_store_b64 v4, v[2:3], off offset:-8
.LBB109_292:
	v_mov_b32_e32 v0, 0
	global_load_b32 v1, v0, s[2:3] offset:172
	s_wait_loadcnt 0x0
	v_cmp_eq_u32_e32 vcc_lo, 44, v1
	s_cbranch_vccnz .LBB109_294
; %bb.293:
	v_lshlrev_b32_e32 v1, 3, v1
	s_delay_alu instid0(VALU_DEP_1)
	v_mov_b32_e32 v5, v1
	scratch_load_b64 v[1:2], v5, off offset:-8
	scratch_load_b64 v[3:4], off, off offset:344
	s_wait_loadcnt 0x1
	scratch_store_b64 off, v[1:2], off offset:344
	s_wait_loadcnt 0x0
	scratch_store_b64 v5, v[3:4], off offset:-8
.LBB109_294:
	global_load_b32 v0, v0, s[2:3] offset:168
	s_wait_loadcnt 0x0
	v_cmp_eq_u32_e32 vcc_lo, 43, v0
	s_cbranch_vccnz .LBB109_296
; %bb.295:
	v_lshlrev_b32_e32 v0, 3, v0
	s_delay_alu instid0(VALU_DEP_1)
	v_mov_b32_e32 v4, v0
	scratch_load_b64 v[0:1], v4, off offset:-8
	scratch_load_b64 v[2:3], off, off offset:336
	s_wait_loadcnt 0x1
	scratch_store_b64 off, v[0:1], off offset:336
	s_wait_loadcnt 0x0
	scratch_store_b64 v4, v[2:3], off offset:-8
.LBB109_296:
	v_mov_b32_e32 v0, 0
	global_load_b32 v1, v0, s[2:3] offset:164
	s_wait_loadcnt 0x0
	v_cmp_eq_u32_e32 vcc_lo, 42, v1
	s_cbranch_vccnz .LBB109_298
; %bb.297:
	v_lshlrev_b32_e32 v1, 3, v1
	s_delay_alu instid0(VALU_DEP_1)
	v_mov_b32_e32 v5, v1
	scratch_load_b64 v[1:2], v5, off offset:-8
	scratch_load_b64 v[3:4], off, off offset:328
	s_wait_loadcnt 0x1
	scratch_store_b64 off, v[1:2], off offset:328
	s_wait_loadcnt 0x0
	scratch_store_b64 v5, v[3:4], off offset:-8
.LBB109_298:
	global_load_b32 v0, v0, s[2:3] offset:160
	s_wait_loadcnt 0x0
	v_cmp_eq_u32_e32 vcc_lo, 41, v0
	s_cbranch_vccnz .LBB109_300
; %bb.299:
	v_lshlrev_b32_e32 v0, 3, v0
	s_delay_alu instid0(VALU_DEP_1)
	v_mov_b32_e32 v4, v0
	scratch_load_b64 v[0:1], v4, off offset:-8
	scratch_load_b64 v[2:3], off, off offset:320
	s_wait_loadcnt 0x1
	scratch_store_b64 off, v[0:1], off offset:320
	s_wait_loadcnt 0x0
	scratch_store_b64 v4, v[2:3], off offset:-8
.LBB109_300:
	;; [unrolled: 31-line block ×21, first 2 shown]
	v_mov_b32_e32 v0, 0
	global_load_b32 v1, v0, s[2:3] offset:4
	s_wait_loadcnt 0x0
	v_cmp_eq_u32_e32 vcc_lo, 2, v1
	s_cbranch_vccnz .LBB109_378
; %bb.377:
	v_lshlrev_b32_e32 v1, 3, v1
	s_delay_alu instid0(VALU_DEP_1)
	v_mov_b32_e32 v5, v1
	scratch_load_b64 v[1:2], v5, off offset:-8
	scratch_load_b64 v[3:4], off, off offset:8
	s_wait_loadcnt 0x1
	scratch_store_b64 off, v[1:2], off offset:8
	s_wait_loadcnt 0x0
	scratch_store_b64 v5, v[3:4], off offset:-8
.LBB109_378:
	global_load_b32 v0, v0, s[2:3]
	s_wait_loadcnt 0x0
	v_cmp_eq_u32_e32 vcc_lo, 1, v0
	s_cbranch_vccnz .LBB109_380
; %bb.379:
	v_lshlrev_b32_e32 v0, 3, v0
	s_delay_alu instid0(VALU_DEP_1)
	v_mov_b32_e32 v4, v0
	scratch_load_b64 v[0:1], v4, off offset:-8
	scratch_load_b64 v[2:3], off, off
	s_wait_loadcnt 0x1
	scratch_store_b64 off, v[0:1], off
	s_wait_loadcnt 0x0
	scratch_store_b64 v4, v[2:3], off offset:-8
.LBB109_380:
	scratch_load_b64 v[0:1], off, off
	s_wait_loadcnt 0x0
	flat_store_b64 v[28:29], v[0:1]
	scratch_load_b64 v[0:1], off, off offset:8
	s_wait_loadcnt 0x0
	flat_store_b64 v[30:31], v[0:1]
	scratch_load_b64 v[0:1], off, off offset:16
	s_wait_loadcnt 0x0
	flat_store_b64 v[32:33], v[0:1]
	scratch_load_b64 v[0:1], off, off offset:24
	s_wait_loadcnt 0x0
	flat_store_b64 v[34:35], v[0:1]
	scratch_load_b64 v[0:1], off, off offset:32
	s_wait_loadcnt 0x0
	flat_store_b64 v[36:37], v[0:1]
	scratch_load_b64 v[0:1], off, off offset:40
	s_wait_loadcnt 0x0
	flat_store_b64 v[38:39], v[0:1]
	scratch_load_b64 v[0:1], off, off offset:48
	s_wait_loadcnt 0x0
	flat_store_b64 v[40:41], v[0:1]
	scratch_load_b64 v[0:1], off, off offset:56
	s_wait_loadcnt 0x0
	flat_store_b64 v[42:43], v[0:1]
	scratch_load_b64 v[0:1], off, off offset:64
	s_wait_loadcnt 0x0
	flat_store_b64 v[44:45], v[0:1]
	scratch_load_b64 v[0:1], off, off offset:72
	s_wait_loadcnt 0x0
	flat_store_b64 v[46:47], v[0:1]
	scratch_load_b64 v[0:1], off, off offset:80
	s_wait_loadcnt 0x0
	flat_store_b64 v[48:49], v[0:1]
	scratch_load_b64 v[0:1], off, off offset:88
	s_wait_loadcnt 0x0
	flat_store_b64 v[50:51], v[0:1]
	scratch_load_b64 v[0:1], off, off offset:96
	s_wait_loadcnt 0x0
	flat_store_b64 v[52:53], v[0:1]
	scratch_load_b64 v[0:1], off, off offset:104
	s_wait_loadcnt 0x0
	flat_store_b64 v[54:55], v[0:1]
	scratch_load_b64 v[0:1], off, off offset:112
	s_wait_loadcnt 0x0
	flat_store_b64 v[56:57], v[0:1]
	scratch_load_b64 v[0:1], off, off offset:120
	s_wait_loadcnt 0x0
	flat_store_b64 v[58:59], v[0:1]
	scratch_load_b64 v[0:1], off, off offset:128
	s_wait_loadcnt 0x0
	flat_store_b64 v[60:61], v[0:1]
	scratch_load_b64 v[0:1], off, off offset:136
	s_wait_loadcnt 0x0
	flat_store_b64 v[62:63], v[0:1]
	scratch_load_b64 v[0:1], off, off offset:144
	s_wait_loadcnt 0x0
	flat_store_b64 v[64:65], v[0:1]
	scratch_load_b64 v[0:1], off, off offset:152
	s_wait_loadcnt 0x0
	flat_store_b64 v[66:67], v[0:1]
	scratch_load_b64 v[0:1], off, off offset:160
	s_wait_loadcnt 0x0
	flat_store_b64 v[68:69], v[0:1]
	scratch_load_b64 v[0:1], off, off offset:168
	s_wait_loadcnt 0x0
	flat_store_b64 v[70:71], v[0:1]
	scratch_load_b64 v[0:1], off, off offset:176
	s_wait_loadcnt 0x0
	flat_store_b64 v[72:73], v[0:1]
	scratch_load_b64 v[0:1], off, off offset:184
	s_wait_loadcnt 0x0
	flat_store_b64 v[74:75], v[0:1]
	scratch_load_b64 v[0:1], off, off offset:192
	s_wait_loadcnt 0x0
	flat_store_b64 v[76:77], v[0:1]
	scratch_load_b64 v[0:1], off, off offset:200
	s_wait_loadcnt 0x0
	flat_store_b64 v[78:79], v[0:1]
	scratch_load_b64 v[0:1], off, off offset:208
	s_wait_loadcnt 0x0
	flat_store_b64 v[80:81], v[0:1]
	scratch_load_b64 v[0:1], off, off offset:216
	s_wait_loadcnt 0x0
	flat_store_b64 v[82:83], v[0:1]
	scratch_load_b64 v[0:1], off, off offset:224
	s_wait_loadcnt 0x0
	flat_store_b64 v[84:85], v[0:1]
	scratch_load_b64 v[0:1], off, off offset:232
	s_wait_loadcnt 0x0
	flat_store_b64 v[86:87], v[0:1]
	scratch_load_b64 v[0:1], off, off offset:240
	s_wait_loadcnt 0x0
	flat_store_b64 v[88:89], v[0:1]
	scratch_load_b64 v[0:1], off, off offset:248
	s_wait_loadcnt 0x0
	flat_store_b64 v[90:91], v[0:1]
	scratch_load_b64 v[0:1], off, off offset:256
	s_wait_loadcnt 0x0
	flat_store_b64 v[92:93], v[0:1]
	scratch_load_b64 v[0:1], off, off offset:264
	s_wait_loadcnt 0x0
	flat_store_b64 v[94:95], v[0:1]
	scratch_load_b64 v[0:1], off, off offset:272
	s_wait_loadcnt 0x0
	flat_store_b64 v[96:97], v[0:1]
	scratch_load_b64 v[0:1], off, off offset:280
	s_wait_loadcnt 0x0
	flat_store_b64 v[98:99], v[0:1]
	scratch_load_b64 v[0:1], off, off offset:288
	s_wait_loadcnt 0x0
	flat_store_b64 v[100:101], v[0:1]
	scratch_load_b64 v[0:1], off, off offset:296
	s_wait_loadcnt 0x0
	flat_store_b64 v[102:103], v[0:1]
	scratch_load_b64 v[0:1], off, off offset:304
	s_wait_loadcnt 0x0
	flat_store_b64 v[104:105], v[0:1]
	scratch_load_b64 v[0:1], off, off offset:312
	s_wait_loadcnt 0x0
	flat_store_b64 v[106:107], v[0:1]
	scratch_load_b64 v[0:1], off, off offset:320
	s_wait_loadcnt 0x0
	flat_store_b64 v[108:109], v[0:1]
	scratch_load_b64 v[0:1], off, off offset:328
	s_wait_loadcnt 0x0
	flat_store_b64 v[110:111], v[0:1]
	scratch_load_b64 v[0:1], off, off offset:336
	s_wait_loadcnt 0x0
	flat_store_b64 v[112:113], v[0:1]
	scratch_load_b64 v[0:1], off, off offset:344
	s_wait_loadcnt 0x0
	flat_store_b64 v[114:115], v[0:1]
	scratch_load_b64 v[0:1], off, off offset:352
	s_wait_loadcnt 0x0
	flat_store_b64 v[116:117], v[0:1]
	scratch_load_b64 v[0:1], off, off offset:360
	s_wait_loadcnt 0x0
	flat_store_b64 v[118:119], v[0:1]
	s_nop 0
	s_sendmsg sendmsg(MSG_DEALLOC_VGPRS)
	s_endpgm
	.section	.rodata,"a",@progbits
	.p2align	6, 0x0
	.amdhsa_kernel _ZN9rocsolver6v33100L18getri_kernel_smallILi46E19rocblas_complex_numIfEPKPS3_EEvT1_iilPiilS8_bb
		.amdhsa_group_segment_fixed_size 740
		.amdhsa_private_segment_fixed_size 384
		.amdhsa_kernarg_size 60
		.amdhsa_user_sgpr_count 2
		.amdhsa_user_sgpr_dispatch_ptr 0
		.amdhsa_user_sgpr_queue_ptr 0
		.amdhsa_user_sgpr_kernarg_segment_ptr 1
		.amdhsa_user_sgpr_dispatch_id 0
		.amdhsa_user_sgpr_private_segment_size 0
		.amdhsa_wavefront_size32 1
		.amdhsa_uses_dynamic_stack 0
		.amdhsa_enable_private_segment 1
		.amdhsa_system_sgpr_workgroup_id_x 1
		.amdhsa_system_sgpr_workgroup_id_y 0
		.amdhsa_system_sgpr_workgroup_id_z 0
		.amdhsa_system_sgpr_workgroup_info 0
		.amdhsa_system_vgpr_workitem_id 0
		.amdhsa_next_free_vgpr 252
		.amdhsa_next_free_sgpr 19
		.amdhsa_reserve_vcc 1
		.amdhsa_float_round_mode_32 0
		.amdhsa_float_round_mode_16_64 0
		.amdhsa_float_denorm_mode_32 3
		.amdhsa_float_denorm_mode_16_64 3
		.amdhsa_fp16_overflow 0
		.amdhsa_workgroup_processor_mode 1
		.amdhsa_memory_ordered 1
		.amdhsa_forward_progress 1
		.amdhsa_inst_pref_size 255
		.amdhsa_round_robin_scheduling 0
		.amdhsa_exception_fp_ieee_invalid_op 0
		.amdhsa_exception_fp_denorm_src 0
		.amdhsa_exception_fp_ieee_div_zero 0
		.amdhsa_exception_fp_ieee_overflow 0
		.amdhsa_exception_fp_ieee_underflow 0
		.amdhsa_exception_fp_ieee_inexact 0
		.amdhsa_exception_int_div_zero 0
	.end_amdhsa_kernel
	.section	.text._ZN9rocsolver6v33100L18getri_kernel_smallILi46E19rocblas_complex_numIfEPKPS3_EEvT1_iilPiilS8_bb,"axG",@progbits,_ZN9rocsolver6v33100L18getri_kernel_smallILi46E19rocblas_complex_numIfEPKPS3_EEvT1_iilPiilS8_bb,comdat
.Lfunc_end109:
	.size	_ZN9rocsolver6v33100L18getri_kernel_smallILi46E19rocblas_complex_numIfEPKPS3_EEvT1_iilPiilS8_bb, .Lfunc_end109-_ZN9rocsolver6v33100L18getri_kernel_smallILi46E19rocblas_complex_numIfEPKPS3_EEvT1_iilPiilS8_bb
                                        ; -- End function
	.set _ZN9rocsolver6v33100L18getri_kernel_smallILi46E19rocblas_complex_numIfEPKPS3_EEvT1_iilPiilS8_bb.num_vgpr, 252
	.set _ZN9rocsolver6v33100L18getri_kernel_smallILi46E19rocblas_complex_numIfEPKPS3_EEvT1_iilPiilS8_bb.num_agpr, 0
	.set _ZN9rocsolver6v33100L18getri_kernel_smallILi46E19rocblas_complex_numIfEPKPS3_EEvT1_iilPiilS8_bb.numbered_sgpr, 19
	.set _ZN9rocsolver6v33100L18getri_kernel_smallILi46E19rocblas_complex_numIfEPKPS3_EEvT1_iilPiilS8_bb.num_named_barrier, 0
	.set _ZN9rocsolver6v33100L18getri_kernel_smallILi46E19rocblas_complex_numIfEPKPS3_EEvT1_iilPiilS8_bb.private_seg_size, 384
	.set _ZN9rocsolver6v33100L18getri_kernel_smallILi46E19rocblas_complex_numIfEPKPS3_EEvT1_iilPiilS8_bb.uses_vcc, 1
	.set _ZN9rocsolver6v33100L18getri_kernel_smallILi46E19rocblas_complex_numIfEPKPS3_EEvT1_iilPiilS8_bb.uses_flat_scratch, 1
	.set _ZN9rocsolver6v33100L18getri_kernel_smallILi46E19rocblas_complex_numIfEPKPS3_EEvT1_iilPiilS8_bb.has_dyn_sized_stack, 0
	.set _ZN9rocsolver6v33100L18getri_kernel_smallILi46E19rocblas_complex_numIfEPKPS3_EEvT1_iilPiilS8_bb.has_recursion, 0
	.set _ZN9rocsolver6v33100L18getri_kernel_smallILi46E19rocblas_complex_numIfEPKPS3_EEvT1_iilPiilS8_bb.has_indirect_call, 0
	.section	.AMDGPU.csdata,"",@progbits
; Kernel info:
; codeLenInByte = 74596
; TotalNumSgprs: 21
; NumVgprs: 252
; ScratchSize: 384
; MemoryBound: 0
; FloatMode: 240
; IeeeMode: 1
; LDSByteSize: 740 bytes/workgroup (compile time only)
; SGPRBlocks: 0
; VGPRBlocks: 31
; NumSGPRsForWavesPerEU: 21
; NumVGPRsForWavesPerEU: 252
; Occupancy: 5
; WaveLimiterHint : 1
; COMPUTE_PGM_RSRC2:SCRATCH_EN: 1
; COMPUTE_PGM_RSRC2:USER_SGPR: 2
; COMPUTE_PGM_RSRC2:TRAP_HANDLER: 0
; COMPUTE_PGM_RSRC2:TGID_X_EN: 1
; COMPUTE_PGM_RSRC2:TGID_Y_EN: 0
; COMPUTE_PGM_RSRC2:TGID_Z_EN: 0
; COMPUTE_PGM_RSRC2:TIDIG_COMP_CNT: 0
	.section	.text._ZN9rocsolver6v33100L18getri_kernel_smallILi47E19rocblas_complex_numIfEPKPS3_EEvT1_iilPiilS8_bb,"axG",@progbits,_ZN9rocsolver6v33100L18getri_kernel_smallILi47E19rocblas_complex_numIfEPKPS3_EEvT1_iilPiilS8_bb,comdat
	.globl	_ZN9rocsolver6v33100L18getri_kernel_smallILi47E19rocblas_complex_numIfEPKPS3_EEvT1_iilPiilS8_bb ; -- Begin function _ZN9rocsolver6v33100L18getri_kernel_smallILi47E19rocblas_complex_numIfEPKPS3_EEvT1_iilPiilS8_bb
	.p2align	8
	.type	_ZN9rocsolver6v33100L18getri_kernel_smallILi47E19rocblas_complex_numIfEPKPS3_EEvT1_iilPiilS8_bb,@function
_ZN9rocsolver6v33100L18getri_kernel_smallILi47E19rocblas_complex_numIfEPKPS3_EEvT1_iilPiilS8_bb: ; @_ZN9rocsolver6v33100L18getri_kernel_smallILi47E19rocblas_complex_numIfEPKPS3_EEvT1_iilPiilS8_bb
; %bb.0:
	s_mov_b32 s2, exec_lo
	v_cmpx_gt_u32_e32 47, v0
	s_cbranch_execz .LBB110_202
; %bb.1:
	s_clause 0x1
	s_load_b32 s13, s[0:1], 0x38
	s_load_b64 s[2:3], s[0:1], 0x0
	s_mov_b32 s8, ttmp9
	s_load_b128 s[4:7], s[0:1], 0x28
	s_wait_kmcnt 0x0
	s_bitcmp1_b32 s13, 8
	s_cselect_b32 s12, -1, 0
	s_ashr_i32 s9, ttmp9, 31
	s_delay_alu instid0(SALU_CYCLE_1) | instskip(NEXT) | instid1(SALU_CYCLE_1)
	s_lshl_b64 s[10:11], s[8:9], 3
	s_add_nc_u64 s[2:3], s[2:3], s[10:11]
	s_load_b64 s[10:11], s[2:3], 0x0
	s_bfe_u32 s2, s13, 0x10008
	s_delay_alu instid0(SALU_CYCLE_1)
	s_cmp_eq_u32 s2, 0
                                        ; implicit-def: $sgpr2_sgpr3
	s_cbranch_scc1 .LBB110_3
; %bb.2:
	s_load_b96 s[16:18], s[0:1], 0x18
	s_mul_u64 s[2:3], s[4:5], s[8:9]
	s_delay_alu instid0(SALU_CYCLE_1)
	s_lshl_b64 s[2:3], s[2:3], 2
	s_wait_kmcnt 0x0
	s_ashr_i32 s5, s18, 31
	s_mov_b32 s4, s18
	s_add_nc_u64 s[2:3], s[16:17], s[2:3]
	s_lshl_b64 s[4:5], s[4:5], 2
	s_delay_alu instid0(SALU_CYCLE_1)
	s_add_nc_u64 s[2:3], s[2:3], s[4:5]
.LBB110_3:
	s_clause 0x1
	s_load_b64 s[4:5], s[0:1], 0x8
	s_load_b32 s13, s[0:1], 0x38
	v_lshlrev_b32_e32 v7, 3, v0
	s_wait_kmcnt 0x0
	s_ashr_i32 s1, s4, 31
	s_mov_b32 s0, s4
	v_add3_u32 v3, s5, s5, v0
	s_lshl_b64 s[0:1], s[0:1], 3
	s_delay_alu instid0(SALU_CYCLE_1)
	s_add_nc_u64 s[0:1], s[10:11], s[0:1]
	s_ashr_i32 s11, s5, 31
	v_add_co_u32 v24, s4, s0, v7
	s_wait_alu 0xf1ff
	v_add_co_ci_u32_e64 v25, null, s1, 0, s4
	s_mov_b32 s10, s5
	v_ashrrev_i32_e32 v4, 31, v3
	s_lshl_b64 s[10:11], s[10:11], 3
	flat_load_b64 v[1:2], v[24:25]
	v_add_co_u32 v26, vcc_lo, v24, s10
	s_delay_alu instid0(VALU_DEP_1) | instskip(SKIP_3) | instid1(VALU_DEP_2)
	v_add_co_ci_u32_e64 v27, null, s11, v25, vcc_lo
	v_lshlrev_b64_e32 v[4:5], 3, v[3:4]
	v_add_nc_u32_e32 v3, s5, v3
	s_bitcmp0_b32 s13, 0
	v_add_co_u32 v28, vcc_lo, s0, v4
	s_wait_alu 0xfffd
	s_delay_alu instid0(VALU_DEP_3) | instskip(SKIP_1) | instid1(VALU_DEP_1)
	v_add_co_ci_u32_e64 v29, null, s1, v5, vcc_lo
	v_ashrrev_i32_e32 v4, 31, v3
	v_lshlrev_b64_e32 v[4:5], 3, v[3:4]
	v_add_nc_u32_e32 v3, s5, v3
	s_delay_alu instid0(VALU_DEP_2) | instskip(SKIP_1) | instid1(VALU_DEP_3)
	v_add_co_u32 v30, vcc_lo, s0, v4
	s_wait_alu 0xfffd
	v_add_co_ci_u32_e64 v31, null, s1, v5, vcc_lo
	s_delay_alu instid0(VALU_DEP_3) | instskip(NEXT) | instid1(VALU_DEP_1)
	v_ashrrev_i32_e32 v4, 31, v3
	v_lshlrev_b64_e32 v[4:5], 3, v[3:4]
	v_add_nc_u32_e32 v3, s5, v3
	s_delay_alu instid0(VALU_DEP_2) | instskip(SKIP_1) | instid1(VALU_DEP_3)
	v_add_co_u32 v32, vcc_lo, s0, v4
	s_wait_alu 0xfffd
	v_add_co_ci_u32_e64 v33, null, s1, v5, vcc_lo
	s_delay_alu instid0(VALU_DEP_3) | instskip(NEXT) | instid1(VALU_DEP_1)
	v_ashrrev_i32_e32 v4, 31, v3
	v_lshlrev_b64_e32 v[4:5], 3, v[3:4]
	v_add_nc_u32_e32 v3, s5, v3
	s_delay_alu instid0(VALU_DEP_2) | instskip(SKIP_1) | instid1(VALU_DEP_3)
	v_add_co_u32 v34, vcc_lo, s0, v4
	s_wait_alu 0xfffd
	v_add_co_ci_u32_e64 v35, null, s1, v5, vcc_lo
	s_delay_alu instid0(VALU_DEP_3) | instskip(NEXT) | instid1(VALU_DEP_1)
	v_ashrrev_i32_e32 v4, 31, v3
	v_lshlrev_b64_e32 v[4:5], 3, v[3:4]
	v_add_nc_u32_e32 v3, s5, v3
	s_delay_alu instid0(VALU_DEP_2) | instskip(SKIP_1) | instid1(VALU_DEP_3)
	v_add_co_u32 v36, vcc_lo, s0, v4
	s_wait_alu 0xfffd
	v_add_co_ci_u32_e64 v37, null, s1, v5, vcc_lo
	s_delay_alu instid0(VALU_DEP_3) | instskip(NEXT) | instid1(VALU_DEP_1)
	v_ashrrev_i32_e32 v4, 31, v3
	v_lshlrev_b64_e32 v[4:5], 3, v[3:4]
	v_add_nc_u32_e32 v3, s5, v3
	s_delay_alu instid0(VALU_DEP_2) | instskip(SKIP_1) | instid1(VALU_DEP_3)
	v_add_co_u32 v38, vcc_lo, s0, v4
	s_wait_alu 0xfffd
	v_add_co_ci_u32_e64 v39, null, s1, v5, vcc_lo
	s_delay_alu instid0(VALU_DEP_3) | instskip(NEXT) | instid1(VALU_DEP_1)
	v_ashrrev_i32_e32 v4, 31, v3
	v_lshlrev_b64_e32 v[4:5], 3, v[3:4]
	v_add_nc_u32_e32 v3, s5, v3
	s_delay_alu instid0(VALU_DEP_2) | instskip(SKIP_1) | instid1(VALU_DEP_3)
	v_add_co_u32 v40, vcc_lo, s0, v4
	s_wait_alu 0xfffd
	v_add_co_ci_u32_e64 v41, null, s1, v5, vcc_lo
	s_delay_alu instid0(VALU_DEP_3) | instskip(NEXT) | instid1(VALU_DEP_1)
	v_ashrrev_i32_e32 v4, 31, v3
	v_lshlrev_b64_e32 v[4:5], 3, v[3:4]
	v_add_nc_u32_e32 v3, s5, v3
	s_delay_alu instid0(VALU_DEP_2) | instskip(SKIP_1) | instid1(VALU_DEP_3)
	v_add_co_u32 v42, vcc_lo, s0, v4
	s_wait_alu 0xfffd
	v_add_co_ci_u32_e64 v43, null, s1, v5, vcc_lo
	s_delay_alu instid0(VALU_DEP_3) | instskip(NEXT) | instid1(VALU_DEP_1)
	v_ashrrev_i32_e32 v4, 31, v3
	v_lshlrev_b64_e32 v[4:5], 3, v[3:4]
	v_add_nc_u32_e32 v3, s5, v3
	s_delay_alu instid0(VALU_DEP_2) | instskip(SKIP_1) | instid1(VALU_DEP_3)
	v_add_co_u32 v44, vcc_lo, s0, v4
	s_wait_alu 0xfffd
	v_add_co_ci_u32_e64 v45, null, s1, v5, vcc_lo
	s_delay_alu instid0(VALU_DEP_3) | instskip(NEXT) | instid1(VALU_DEP_1)
	v_ashrrev_i32_e32 v4, 31, v3
	v_lshlrev_b64_e32 v[4:5], 3, v[3:4]
	v_add_nc_u32_e32 v3, s5, v3
	s_delay_alu instid0(VALU_DEP_2) | instskip(SKIP_1) | instid1(VALU_DEP_3)
	v_add_co_u32 v46, vcc_lo, s0, v4
	s_wait_alu 0xfffd
	v_add_co_ci_u32_e64 v47, null, s1, v5, vcc_lo
	s_delay_alu instid0(VALU_DEP_3) | instskip(NEXT) | instid1(VALU_DEP_1)
	v_ashrrev_i32_e32 v4, 31, v3
	v_lshlrev_b64_e32 v[4:5], 3, v[3:4]
	v_add_nc_u32_e32 v3, s5, v3
	s_delay_alu instid0(VALU_DEP_2) | instskip(SKIP_1) | instid1(VALU_DEP_3)
	v_add_co_u32 v48, vcc_lo, s0, v4
	s_wait_alu 0xfffd
	v_add_co_ci_u32_e64 v49, null, s1, v5, vcc_lo
	s_delay_alu instid0(VALU_DEP_3) | instskip(NEXT) | instid1(VALU_DEP_1)
	v_ashrrev_i32_e32 v4, 31, v3
	v_lshlrev_b64_e32 v[4:5], 3, v[3:4]
	v_add_nc_u32_e32 v3, s5, v3
	s_delay_alu instid0(VALU_DEP_2) | instskip(SKIP_1) | instid1(VALU_DEP_3)
	v_add_co_u32 v50, vcc_lo, s0, v4
	s_wait_alu 0xfffd
	v_add_co_ci_u32_e64 v51, null, s1, v5, vcc_lo
	s_delay_alu instid0(VALU_DEP_3) | instskip(NEXT) | instid1(VALU_DEP_1)
	v_ashrrev_i32_e32 v4, 31, v3
	v_lshlrev_b64_e32 v[4:5], 3, v[3:4]
	v_add_nc_u32_e32 v3, s5, v3
	s_delay_alu instid0(VALU_DEP_2) | instskip(SKIP_1) | instid1(VALU_DEP_3)
	v_add_co_u32 v52, vcc_lo, s0, v4
	s_wait_alu 0xfffd
	v_add_co_ci_u32_e64 v53, null, s1, v5, vcc_lo
	s_delay_alu instid0(VALU_DEP_3) | instskip(NEXT) | instid1(VALU_DEP_1)
	v_ashrrev_i32_e32 v4, 31, v3
	v_lshlrev_b64_e32 v[4:5], 3, v[3:4]
	v_add_nc_u32_e32 v3, s5, v3
	s_delay_alu instid0(VALU_DEP_2) | instskip(SKIP_1) | instid1(VALU_DEP_3)
	v_add_co_u32 v54, vcc_lo, s0, v4
	s_wait_alu 0xfffd
	v_add_co_ci_u32_e64 v55, null, s1, v5, vcc_lo
	s_delay_alu instid0(VALU_DEP_3) | instskip(NEXT) | instid1(VALU_DEP_1)
	v_ashrrev_i32_e32 v4, 31, v3
	v_lshlrev_b64_e32 v[4:5], 3, v[3:4]
	v_add_nc_u32_e32 v3, s5, v3
	s_delay_alu instid0(VALU_DEP_2) | instskip(SKIP_1) | instid1(VALU_DEP_3)
	v_add_co_u32 v56, vcc_lo, s0, v4
	s_wait_alu 0xfffd
	v_add_co_ci_u32_e64 v57, null, s1, v5, vcc_lo
	s_delay_alu instid0(VALU_DEP_3) | instskip(NEXT) | instid1(VALU_DEP_1)
	v_ashrrev_i32_e32 v4, 31, v3
	v_lshlrev_b64_e32 v[4:5], 3, v[3:4]
	v_add_nc_u32_e32 v3, s5, v3
	s_delay_alu instid0(VALU_DEP_2) | instskip(SKIP_1) | instid1(VALU_DEP_3)
	v_add_co_u32 v58, vcc_lo, s0, v4
	s_wait_alu 0xfffd
	v_add_co_ci_u32_e64 v59, null, s1, v5, vcc_lo
	s_delay_alu instid0(VALU_DEP_3) | instskip(NEXT) | instid1(VALU_DEP_1)
	v_ashrrev_i32_e32 v4, 31, v3
	v_lshlrev_b64_e32 v[4:5], 3, v[3:4]
	v_add_nc_u32_e32 v3, s5, v3
	s_delay_alu instid0(VALU_DEP_2) | instskip(SKIP_1) | instid1(VALU_DEP_3)
	v_add_co_u32 v60, vcc_lo, s0, v4
	s_wait_alu 0xfffd
	v_add_co_ci_u32_e64 v61, null, s1, v5, vcc_lo
	s_delay_alu instid0(VALU_DEP_3) | instskip(NEXT) | instid1(VALU_DEP_1)
	v_ashrrev_i32_e32 v4, 31, v3
	v_lshlrev_b64_e32 v[4:5], 3, v[3:4]
	v_add_nc_u32_e32 v3, s5, v3
	s_delay_alu instid0(VALU_DEP_2) | instskip(SKIP_1) | instid1(VALU_DEP_3)
	v_add_co_u32 v62, vcc_lo, s0, v4
	s_wait_alu 0xfffd
	v_add_co_ci_u32_e64 v63, null, s1, v5, vcc_lo
	s_delay_alu instid0(VALU_DEP_3) | instskip(NEXT) | instid1(VALU_DEP_1)
	v_ashrrev_i32_e32 v4, 31, v3
	v_lshlrev_b64_e32 v[4:5], 3, v[3:4]
	v_add_nc_u32_e32 v3, s5, v3
	s_delay_alu instid0(VALU_DEP_2) | instskip(SKIP_1) | instid1(VALU_DEP_3)
	v_add_co_u32 v64, vcc_lo, s0, v4
	s_wait_alu 0xfffd
	v_add_co_ci_u32_e64 v65, null, s1, v5, vcc_lo
	s_delay_alu instid0(VALU_DEP_3) | instskip(NEXT) | instid1(VALU_DEP_1)
	v_ashrrev_i32_e32 v4, 31, v3
	v_lshlrev_b64_e32 v[4:5], 3, v[3:4]
	v_add_nc_u32_e32 v3, s5, v3
	s_delay_alu instid0(VALU_DEP_2) | instskip(SKIP_1) | instid1(VALU_DEP_3)
	v_add_co_u32 v66, vcc_lo, s0, v4
	s_wait_alu 0xfffd
	v_add_co_ci_u32_e64 v67, null, s1, v5, vcc_lo
	s_delay_alu instid0(VALU_DEP_3) | instskip(NEXT) | instid1(VALU_DEP_1)
	v_ashrrev_i32_e32 v4, 31, v3
	v_lshlrev_b64_e32 v[4:5], 3, v[3:4]
	v_add_nc_u32_e32 v3, s5, v3
	s_delay_alu instid0(VALU_DEP_2) | instskip(SKIP_1) | instid1(VALU_DEP_3)
	v_add_co_u32 v68, vcc_lo, s0, v4
	s_wait_alu 0xfffd
	v_add_co_ci_u32_e64 v69, null, s1, v5, vcc_lo
	s_delay_alu instid0(VALU_DEP_3) | instskip(NEXT) | instid1(VALU_DEP_1)
	v_ashrrev_i32_e32 v4, 31, v3
	v_lshlrev_b64_e32 v[4:5], 3, v[3:4]
	s_wait_loadcnt_dscnt 0x0
	scratch_store_b64 off, v[1:2], off
	flat_load_b64 v[1:2], v[26:27]
	v_add_nc_u32_e32 v3, s5, v3
	v_add_co_u32 v70, vcc_lo, s0, v4
	s_wait_alu 0xfffd
	v_add_co_ci_u32_e64 v71, null, s1, v5, vcc_lo
	s_delay_alu instid0(VALU_DEP_3) | instskip(NEXT) | instid1(VALU_DEP_1)
	v_ashrrev_i32_e32 v4, 31, v3
	v_lshlrev_b64_e32 v[4:5], 3, v[3:4]
	v_add_nc_u32_e32 v3, s5, v3
	s_delay_alu instid0(VALU_DEP_2) | instskip(SKIP_1) | instid1(VALU_DEP_3)
	v_add_co_u32 v72, vcc_lo, s0, v4
	s_wait_alu 0xfffd
	v_add_co_ci_u32_e64 v73, null, s1, v5, vcc_lo
	s_delay_alu instid0(VALU_DEP_3) | instskip(NEXT) | instid1(VALU_DEP_1)
	v_ashrrev_i32_e32 v4, 31, v3
	v_lshlrev_b64_e32 v[4:5], 3, v[3:4]
	v_add_nc_u32_e32 v3, s5, v3
	s_delay_alu instid0(VALU_DEP_2) | instskip(SKIP_1) | instid1(VALU_DEP_3)
	;; [unrolled: 8-line block ×20, first 2 shown]
	v_add_co_u32 v110, vcc_lo, s0, v4
	s_wait_alu 0xfffd
	v_add_co_ci_u32_e64 v111, null, s1, v5, vcc_lo
	s_delay_alu instid0(VALU_DEP_3) | instskip(NEXT) | instid1(VALU_DEP_1)
	v_ashrrev_i32_e32 v4, 31, v3
	v_lshlrev_b64_e32 v[4:5], 3, v[3:4]
	v_add_nc_u32_e32 v3, s5, v3
	s_delay_alu instid0(VALU_DEP_2)
	v_add_co_u32 v112, vcc_lo, s0, v4
	s_wait_loadcnt_dscnt 0x0
	scratch_store_b64 off, v[1:2], off offset:8
	flat_load_b64 v[1:2], v[28:29]
	s_wait_alu 0xfffd
	v_add_co_ci_u32_e64 v113, null, s1, v5, vcc_lo
	v_ashrrev_i32_e32 v4, 31, v3
	s_delay_alu instid0(VALU_DEP_1) | instskip(SKIP_1) | instid1(VALU_DEP_2)
	v_lshlrev_b64_e32 v[4:5], 3, v[3:4]
	v_add_nc_u32_e32 v3, s5, v3
	v_add_co_u32 v114, vcc_lo, s0, v4
	s_wait_alu 0xfffd
	s_delay_alu instid0(VALU_DEP_3) | instskip(NEXT) | instid1(VALU_DEP_3)
	v_add_co_ci_u32_e64 v115, null, s1, v5, vcc_lo
	v_ashrrev_i32_e32 v4, 31, v3
	s_delay_alu instid0(VALU_DEP_1) | instskip(NEXT) | instid1(VALU_DEP_1)
	v_lshlrev_b64_e32 v[3:4], 3, v[3:4]
	v_add_co_u32 v116, vcc_lo, s0, v3
	s_wait_alu 0xfffd
	s_delay_alu instid0(VALU_DEP_2)
	v_add_co_ci_u32_e64 v117, null, s1, v4, vcc_lo
	s_mov_b32 s1, -1
	s_wait_loadcnt_dscnt 0x0
	scratch_store_b64 off, v[1:2], off offset:16
	flat_load_b64 v[1:2], v[30:31]
	s_wait_loadcnt_dscnt 0x0
	scratch_store_b64 off, v[1:2], off offset:24
	flat_load_b64 v[1:2], v[32:33]
	s_wait_loadcnt_dscnt 0x0
	scratch_store_b64 off, v[1:2], off offset:32
	flat_load_b64 v[1:2], v[34:35]
	s_wait_loadcnt_dscnt 0x0
	scratch_store_b64 off, v[1:2], off offset:40
	flat_load_b64 v[1:2], v[36:37]
	s_wait_loadcnt_dscnt 0x0
	scratch_store_b64 off, v[1:2], off offset:48
	flat_load_b64 v[1:2], v[38:39]
	s_wait_loadcnt_dscnt 0x0
	scratch_store_b64 off, v[1:2], off offset:56
	flat_load_b64 v[1:2], v[40:41]
	s_wait_loadcnt_dscnt 0x0
	scratch_store_b64 off, v[1:2], off offset:64
	flat_load_b64 v[1:2], v[42:43]
	s_wait_loadcnt_dscnt 0x0
	scratch_store_b64 off, v[1:2], off offset:72
	flat_load_b64 v[1:2], v[44:45]
	s_wait_loadcnt_dscnt 0x0
	scratch_store_b64 off, v[1:2], off offset:80
	flat_load_b64 v[1:2], v[46:47]
	s_wait_loadcnt_dscnt 0x0
	scratch_store_b64 off, v[1:2], off offset:88
	flat_load_b64 v[1:2], v[48:49]
	s_wait_loadcnt_dscnt 0x0
	scratch_store_b64 off, v[1:2], off offset:96
	flat_load_b64 v[1:2], v[50:51]
	s_wait_loadcnt_dscnt 0x0
	scratch_store_b64 off, v[1:2], off offset:104
	flat_load_b64 v[1:2], v[52:53]
	s_wait_loadcnt_dscnt 0x0
	scratch_store_b64 off, v[1:2], off offset:112
	flat_load_b64 v[1:2], v[54:55]
	s_wait_loadcnt_dscnt 0x0
	scratch_store_b64 off, v[1:2], off offset:120
	flat_load_b64 v[1:2], v[56:57]
	s_wait_loadcnt_dscnt 0x0
	scratch_store_b64 off, v[1:2], off offset:128
	flat_load_b64 v[1:2], v[58:59]
	s_wait_loadcnt_dscnt 0x0
	scratch_store_b64 off, v[1:2], off offset:136
	flat_load_b64 v[1:2], v[60:61]
	s_wait_loadcnt_dscnt 0x0
	scratch_store_b64 off, v[1:2], off offset:144
	flat_load_b64 v[1:2], v[62:63]
	s_wait_loadcnt_dscnt 0x0
	scratch_store_b64 off, v[1:2], off offset:152
	flat_load_b64 v[1:2], v[64:65]
	s_wait_loadcnt_dscnt 0x0
	scratch_store_b64 off, v[1:2], off offset:160
	flat_load_b64 v[1:2], v[66:67]
	s_wait_loadcnt_dscnt 0x0
	scratch_store_b64 off, v[1:2], off offset:168
	flat_load_b64 v[1:2], v[68:69]
	s_wait_loadcnt_dscnt 0x0
	scratch_store_b64 off, v[1:2], off offset:176
	flat_load_b64 v[1:2], v[70:71]
	s_wait_loadcnt_dscnt 0x0
	scratch_store_b64 off, v[1:2], off offset:184
	flat_load_b64 v[1:2], v[72:73]
	s_wait_loadcnt_dscnt 0x0
	scratch_store_b64 off, v[1:2], off offset:192
	flat_load_b64 v[1:2], v[74:75]
	s_wait_loadcnt_dscnt 0x0
	scratch_store_b64 off, v[1:2], off offset:200
	flat_load_b64 v[1:2], v[76:77]
	s_wait_loadcnt_dscnt 0x0
	scratch_store_b64 off, v[1:2], off offset:208
	flat_load_b64 v[1:2], v[78:79]
	s_wait_loadcnt_dscnt 0x0
	scratch_store_b64 off, v[1:2], off offset:216
	flat_load_b64 v[1:2], v[80:81]
	s_wait_loadcnt_dscnt 0x0
	scratch_store_b64 off, v[1:2], off offset:224
	flat_load_b64 v[1:2], v[82:83]
	s_wait_loadcnt_dscnt 0x0
	scratch_store_b64 off, v[1:2], off offset:232
	flat_load_b64 v[1:2], v[84:85]
	s_wait_loadcnt_dscnt 0x0
	scratch_store_b64 off, v[1:2], off offset:240
	flat_load_b64 v[1:2], v[86:87]
	s_wait_loadcnt_dscnt 0x0
	scratch_store_b64 off, v[1:2], off offset:248
	flat_load_b64 v[1:2], v[88:89]
	s_wait_loadcnt_dscnt 0x0
	scratch_store_b64 off, v[1:2], off offset:256
	flat_load_b64 v[1:2], v[90:91]
	s_wait_loadcnt_dscnt 0x0
	scratch_store_b64 off, v[1:2], off offset:264
	flat_load_b64 v[1:2], v[92:93]
	s_wait_loadcnt_dscnt 0x0
	scratch_store_b64 off, v[1:2], off offset:272
	flat_load_b64 v[1:2], v[94:95]
	s_wait_loadcnt_dscnt 0x0
	scratch_store_b64 off, v[1:2], off offset:280
	flat_load_b64 v[1:2], v[96:97]
	s_wait_loadcnt_dscnt 0x0
	scratch_store_b64 off, v[1:2], off offset:288
	flat_load_b64 v[1:2], v[98:99]
	s_wait_loadcnt_dscnt 0x0
	scratch_store_b64 off, v[1:2], off offset:296
	flat_load_b64 v[1:2], v[100:101]
	s_wait_loadcnt_dscnt 0x0
	scratch_store_b64 off, v[1:2], off offset:304
	flat_load_b64 v[1:2], v[102:103]
	s_wait_loadcnt_dscnt 0x0
	scratch_store_b64 off, v[1:2], off offset:312
	flat_load_b64 v[1:2], v[104:105]
	s_wait_loadcnt_dscnt 0x0
	scratch_store_b64 off, v[1:2], off offset:320
	flat_load_b64 v[1:2], v[106:107]
	s_wait_loadcnt_dscnt 0x0
	scratch_store_b64 off, v[1:2], off offset:328
	flat_load_b64 v[1:2], v[108:109]
	s_wait_loadcnt_dscnt 0x0
	scratch_store_b64 off, v[1:2], off offset:336
	flat_load_b64 v[1:2], v[110:111]
	s_wait_loadcnt_dscnt 0x0
	scratch_store_b64 off, v[1:2], off offset:344
	flat_load_b64 v[1:2], v[112:113]
	s_wait_loadcnt_dscnt 0x0
	scratch_store_b64 off, v[1:2], off offset:352
	flat_load_b64 v[1:2], v[114:115]
	s_wait_loadcnt_dscnt 0x0
	scratch_store_b64 off, v[1:2], off offset:360
	flat_load_b64 v[1:2], v[116:117]
	s_wait_loadcnt_dscnt 0x0
	scratch_store_b64 off, v[1:2], off offset:368
	s_cbranch_scc1 .LBB110_200
; %bb.4:
	v_cmp_eq_u32_e64 s0, 0, v0
	s_and_saveexec_b32 s1, s0
; %bb.5:
	v_mov_b32_e32 v1, 0
	ds_store_b32 v1, v1 offset:376
; %bb.6:
	s_wait_alu 0xfffe
	s_or_b32 exec_lo, exec_lo, s1
	s_wait_storecnt_dscnt 0x0
	s_barrier_signal -1
	s_barrier_wait -1
	global_inv scope:SCOPE_SE
	scratch_load_b64 v[1:2], v7, off
	s_wait_loadcnt 0x0
	v_cmp_eq_f32_e32 vcc_lo, 0, v1
	v_cmp_eq_f32_e64 s1, 0, v2
	s_and_b32 s1, vcc_lo, s1
	s_wait_alu 0xfffe
	s_and_saveexec_b32 s4, s1
	s_cbranch_execz .LBB110_10
; %bb.7:
	v_mov_b32_e32 v1, 0
	s_mov_b32 s5, 0
	ds_load_b32 v2, v1 offset:376
	s_wait_dscnt 0x0
	v_readfirstlane_b32 s1, v2
	v_add_nc_u32_e32 v2, 1, v0
	s_cmp_eq_u32 s1, 0
	s_delay_alu instid0(VALU_DEP_1)
	v_cmp_gt_i32_e32 vcc_lo, s1, v2
	s_cselect_b32 s10, -1, 0
	s_wait_alu 0xfffe
	s_or_b32 s10, s10, vcc_lo
	s_wait_alu 0xfffe
	s_and_b32 exec_lo, exec_lo, s10
	s_cbranch_execz .LBB110_10
; %bb.8:
	v_mov_b32_e32 v3, s1
.LBB110_9:                              ; =>This Inner Loop Header: Depth=1
	ds_cmpstore_rtn_b32 v3, v1, v2, v3 offset:376
	s_wait_dscnt 0x0
	v_cmp_ne_u32_e32 vcc_lo, 0, v3
	v_cmp_le_i32_e64 s1, v3, v2
	s_and_b32 s1, vcc_lo, s1
	s_wait_alu 0xfffe
	s_and_b32 s1, exec_lo, s1
	s_wait_alu 0xfffe
	s_or_b32 s5, s1, s5
	s_wait_alu 0xfffe
	s_and_not1_b32 exec_lo, exec_lo, s5
	s_cbranch_execnz .LBB110_9
.LBB110_10:
	s_wait_alu 0xfffe
	s_or_b32 exec_lo, exec_lo, s4
	v_mov_b32_e32 v1, 0
	s_barrier_signal -1
	s_barrier_wait -1
	global_inv scope:SCOPE_SE
	ds_load_b32 v2, v1 offset:376
	s_and_saveexec_b32 s1, s0
	s_cbranch_execz .LBB110_12
; %bb.11:
	s_lshl_b64 s[4:5], s[8:9], 2
	s_wait_alu 0xfffe
	s_add_nc_u64 s[4:5], s[6:7], s[4:5]
	s_wait_dscnt 0x0
	global_store_b32 v1, v2, s[4:5]
.LBB110_12:
	s_wait_alu 0xfffe
	s_or_b32 exec_lo, exec_lo, s1
	s_wait_dscnt 0x0
	v_cmp_ne_u32_e32 vcc_lo, 0, v2
	s_mov_b32 s1, 0
	s_cbranch_vccnz .LBB110_200
; %bb.13:
	v_mov_b32_e32 v8, v7
                                        ; implicit-def: $vgpr3
                                        ; implicit-def: $vgpr5
	scratch_load_b64 v[1:2], v8, off
	s_wait_loadcnt 0x0
	v_cmp_ngt_f32_e64 s1, |v1|, |v2|
	s_wait_alu 0xfffe
	s_and_saveexec_b32 s4, s1
	s_wait_alu 0xfffe
	s_xor_b32 s1, exec_lo, s4
	s_cbranch_execz .LBB110_15
; %bb.14:
	v_div_scale_f32 v3, null, v2, v2, v1
	v_div_scale_f32 v6, vcc_lo, v1, v2, v1
	s_delay_alu instid0(VALU_DEP_2) | instskip(NEXT) | instid1(TRANS32_DEP_1)
	v_rcp_f32_e32 v4, v3
	v_fma_f32 v5, -v3, v4, 1.0
	s_delay_alu instid0(VALU_DEP_1) | instskip(NEXT) | instid1(VALU_DEP_1)
	v_fmac_f32_e32 v4, v5, v4
	v_mul_f32_e32 v5, v6, v4
	s_delay_alu instid0(VALU_DEP_1) | instskip(NEXT) | instid1(VALU_DEP_1)
	v_fma_f32 v9, -v3, v5, v6
	v_fmac_f32_e32 v5, v9, v4
	s_delay_alu instid0(VALU_DEP_1) | instskip(SKIP_1) | instid1(VALU_DEP_1)
	v_fma_f32 v3, -v3, v5, v6
	s_wait_alu 0xfffd
	v_div_fmas_f32 v3, v3, v4, v5
	s_delay_alu instid0(VALU_DEP_1) | instskip(NEXT) | instid1(VALU_DEP_1)
	v_div_fixup_f32 v3, v3, v2, v1
	v_fmac_f32_e32 v2, v1, v3
	s_delay_alu instid0(VALU_DEP_1) | instskip(NEXT) | instid1(VALU_DEP_1)
	v_div_scale_f32 v1, null, v2, v2, 1.0
	v_rcp_f32_e32 v4, v1
	s_delay_alu instid0(TRANS32_DEP_1) | instskip(NEXT) | instid1(VALU_DEP_1)
	v_fma_f32 v5, -v1, v4, 1.0
	v_fmac_f32_e32 v4, v5, v4
	v_div_scale_f32 v5, vcc_lo, 1.0, v2, 1.0
	s_delay_alu instid0(VALU_DEP_1) | instskip(NEXT) | instid1(VALU_DEP_1)
	v_mul_f32_e32 v6, v5, v4
	v_fma_f32 v9, -v1, v6, v5
	s_delay_alu instid0(VALU_DEP_1) | instskip(NEXT) | instid1(VALU_DEP_1)
	v_fmac_f32_e32 v6, v9, v4
	v_fma_f32 v1, -v1, v6, v5
	s_wait_alu 0xfffd
	s_delay_alu instid0(VALU_DEP_1) | instskip(NEXT) | instid1(VALU_DEP_1)
	v_div_fmas_f32 v1, v1, v4, v6
	v_div_fixup_f32 v1, v1, v2, 1.0
	s_delay_alu instid0(VALU_DEP_1) | instskip(SKIP_1) | instid1(VALU_DEP_2)
	v_mul_f32_e32 v3, v3, v1
	v_xor_b32_e32 v4, 0x80000000, v1
                                        ; implicit-def: $vgpr1_vgpr2
	v_xor_b32_e32 v5, 0x80000000, v3
.LBB110_15:
	s_wait_alu 0xfffe
	s_and_not1_saveexec_b32 s1, s1
	s_cbranch_execz .LBB110_17
; %bb.16:
	v_div_scale_f32 v3, null, v1, v1, v2
	v_div_scale_f32 v6, vcc_lo, v2, v1, v2
	s_delay_alu instid0(VALU_DEP_2) | instskip(NEXT) | instid1(TRANS32_DEP_1)
	v_rcp_f32_e32 v4, v3
	v_fma_f32 v5, -v3, v4, 1.0
	s_delay_alu instid0(VALU_DEP_1) | instskip(NEXT) | instid1(VALU_DEP_1)
	v_fmac_f32_e32 v4, v5, v4
	v_mul_f32_e32 v5, v6, v4
	s_delay_alu instid0(VALU_DEP_1) | instskip(NEXT) | instid1(VALU_DEP_1)
	v_fma_f32 v9, -v3, v5, v6
	v_fmac_f32_e32 v5, v9, v4
	s_delay_alu instid0(VALU_DEP_1) | instskip(SKIP_1) | instid1(VALU_DEP_1)
	v_fma_f32 v3, -v3, v5, v6
	s_wait_alu 0xfffd
	v_div_fmas_f32 v3, v3, v4, v5
	s_delay_alu instid0(VALU_DEP_1) | instskip(NEXT) | instid1(VALU_DEP_1)
	v_div_fixup_f32 v4, v3, v1, v2
	v_fmac_f32_e32 v1, v2, v4
	s_delay_alu instid0(VALU_DEP_1) | instskip(SKIP_1) | instid1(VALU_DEP_2)
	v_div_scale_f32 v2, null, v1, v1, 1.0
	v_div_scale_f32 v6, vcc_lo, 1.0, v1, 1.0
	v_rcp_f32_e32 v3, v2
	s_delay_alu instid0(TRANS32_DEP_1) | instskip(NEXT) | instid1(VALU_DEP_1)
	v_fma_f32 v5, -v2, v3, 1.0
	v_fmac_f32_e32 v3, v5, v3
	s_delay_alu instid0(VALU_DEP_1) | instskip(NEXT) | instid1(VALU_DEP_1)
	v_mul_f32_e32 v5, v6, v3
	v_fma_f32 v9, -v2, v5, v6
	s_delay_alu instid0(VALU_DEP_1) | instskip(NEXT) | instid1(VALU_DEP_1)
	v_fmac_f32_e32 v5, v9, v3
	v_fma_f32 v2, -v2, v5, v6
	s_wait_alu 0xfffd
	s_delay_alu instid0(VALU_DEP_1) | instskip(NEXT) | instid1(VALU_DEP_1)
	v_div_fmas_f32 v2, v2, v3, v5
	v_div_fixup_f32 v3, v2, v1, 1.0
	s_delay_alu instid0(VALU_DEP_1)
	v_xor_b32_e32 v5, 0x80000000, v3
	v_mul_f32_e64 v4, v4, -v3
.LBB110_17:
	s_wait_alu 0xfffe
	s_or_b32 exec_lo, exec_lo, s1
	scratch_store_b64 v8, v[3:4], off
	scratch_load_b64 v[2:3], off, off offset:8
	v_xor_b32_e32 v6, 0x80000000, v4
	v_add_nc_u32_e32 v1, 0x180, v7
	s_wait_loadcnt 0x0
	ds_store_2addr_b64 v7, v[5:6], v[2:3] offset1:48
	s_wait_storecnt_dscnt 0x0
	s_barrier_signal -1
	s_barrier_wait -1
	global_inv scope:SCOPE_SE
	s_and_saveexec_b32 s1, s0
	s_cbranch_execz .LBB110_19
; %bb.18:
	scratch_load_b64 v[2:3], v8, off
	ds_load_b64 v[4:5], v1
	v_mov_b32_e32 v6, 0
	ds_load_b64 v[9:10], v6 offset:8
	s_wait_loadcnt_dscnt 0x1
	v_mul_f32_e32 v6, v4, v3
	v_mul_f32_e32 v3, v5, v3
	s_delay_alu instid0(VALU_DEP_2) | instskip(NEXT) | instid1(VALU_DEP_2)
	v_fmac_f32_e32 v6, v5, v2
	v_fma_f32 v2, v4, v2, -v3
	s_delay_alu instid0(VALU_DEP_2) | instskip(NEXT) | instid1(VALU_DEP_2)
	v_add_f32_e32 v4, 0, v6
	v_add_f32_e32 v2, 0, v2
	s_wait_dscnt 0x0
	s_delay_alu instid0(VALU_DEP_2) | instskip(NEXT) | instid1(VALU_DEP_2)
	v_mul_f32_e32 v5, v4, v10
	v_mul_f32_e32 v3, v2, v10
	s_delay_alu instid0(VALU_DEP_2) | instskip(NEXT) | instid1(VALU_DEP_2)
	v_fma_f32 v2, v2, v9, -v5
	v_fmac_f32_e32 v3, v4, v9
	scratch_store_b64 off, v[2:3], off offset:8
.LBB110_19:
	s_wait_alu 0xfffe
	s_or_b32 exec_lo, exec_lo, s1
	s_wait_loadcnt 0x0
	s_wait_storecnt 0x0
	s_barrier_signal -1
	s_barrier_wait -1
	global_inv scope:SCOPE_SE
	scratch_load_b64 v[2:3], off, off offset:16
	s_mov_b32 s1, exec_lo
	s_wait_loadcnt 0x0
	ds_store_b64 v1, v[2:3]
	s_wait_dscnt 0x0
	s_barrier_signal -1
	s_barrier_wait -1
	global_inv scope:SCOPE_SE
	v_cmpx_gt_u32_e32 2, v0
	s_cbranch_execz .LBB110_23
; %bb.20:
	scratch_load_b64 v[2:3], v8, off
	ds_load_b64 v[4:5], v1
	s_wait_loadcnt_dscnt 0x0
	v_mul_f32_e32 v6, v5, v3
	v_mul_f32_e32 v9, v4, v3
	s_delay_alu instid0(VALU_DEP_2) | instskip(NEXT) | instid1(VALU_DEP_2)
	v_fma_f32 v3, v4, v2, -v6
	v_fmac_f32_e32 v9, v5, v2
	s_delay_alu instid0(VALU_DEP_1)
	v_dual_add_f32 v3, 0, v3 :: v_dual_add_f32 v2, 0, v9
	s_and_saveexec_b32 s4, s0
	s_cbranch_execz .LBB110_22
; %bb.21:
	scratch_load_b64 v[4:5], off, off offset:8
	v_mov_b32_e32 v6, 0
	ds_load_b64 v[9:10], v6 offset:392
	s_wait_loadcnt_dscnt 0x0
	v_mul_f32_e32 v6, v9, v5
	v_mul_f32_e32 v5, v10, v5
	s_delay_alu instid0(VALU_DEP_2) | instskip(NEXT) | instid1(VALU_DEP_2)
	v_fmac_f32_e32 v6, v10, v4
	v_fma_f32 v4, v9, v4, -v5
	s_delay_alu instid0(VALU_DEP_1)
	v_dual_add_f32 v2, v2, v6 :: v_dual_add_f32 v3, v3, v4
.LBB110_22:
	s_wait_alu 0xfffe
	s_or_b32 exec_lo, exec_lo, s4
	v_mov_b32_e32 v4, 0
	ds_load_b64 v[4:5], v4 offset:16
	s_wait_dscnt 0x0
	v_mul_f32_e32 v9, v2, v5
	v_mul_f32_e32 v6, v3, v5
	s_delay_alu instid0(VALU_DEP_2) | instskip(NEXT) | instid1(VALU_DEP_2)
	v_fma_f32 v5, v3, v4, -v9
	v_fmac_f32_e32 v6, v2, v4
	scratch_store_b64 off, v[5:6], off offset:16
.LBB110_23:
	s_wait_alu 0xfffe
	s_or_b32 exec_lo, exec_lo, s1
	s_wait_loadcnt 0x0
	s_wait_storecnt 0x0
	s_barrier_signal -1
	s_barrier_wait -1
	global_inv scope:SCOPE_SE
	scratch_load_b64 v[3:4], off, off offset:24
	v_add_nc_u32_e32 v2, -1, v0
	s_mov_b32 s0, exec_lo
	s_wait_loadcnt 0x0
	ds_store_b64 v1, v[3:4]
	s_wait_dscnt 0x0
	s_barrier_signal -1
	s_barrier_wait -1
	global_inv scope:SCOPE_SE
	v_cmpx_gt_u32_e32 3, v0
	s_cbranch_execz .LBB110_27
; %bb.24:
	v_dual_mov_b32 v3, 0 :: v_dual_add_nc_u32 v4, -1, v0
	v_dual_mov_b32 v6, v7 :: v_dual_add_nc_u32 v5, 0x180, v7
	v_mov_b32_e32 v9, 0
	s_mov_b32 s1, 0
.LBB110_25:                             ; =>This Inner Loop Header: Depth=1
	scratch_load_b64 v[10:11], v6, off
	ds_load_b64 v[12:13], v5
	v_add_nc_u32_e32 v4, 1, v4
	v_add_nc_u32_e32 v5, 8, v5
	s_delay_alu instid0(VALU_DEP_2)
	v_cmp_lt_u32_e32 vcc_lo, 1, v4
	s_wait_alu 0xfffe
	s_or_b32 s1, vcc_lo, s1
	s_wait_loadcnt_dscnt 0x0
	v_mul_f32_e32 v14, v13, v11
	v_mul_f32_e32 v11, v12, v11
	s_delay_alu instid0(VALU_DEP_2) | instskip(NEXT) | instid1(VALU_DEP_2)
	v_fma_f32 v12, v12, v10, -v14
	v_fmac_f32_e32 v11, v13, v10
	s_delay_alu instid0(VALU_DEP_2) | instskip(NEXT) | instid1(VALU_DEP_2)
	v_dual_add_f32 v9, v9, v12 :: v_dual_add_nc_u32 v6, 8, v6
	v_add_f32_e32 v3, v3, v11
	s_wait_alu 0xfffe
	s_and_not1_b32 exec_lo, exec_lo, s1
	s_cbranch_execnz .LBB110_25
; %bb.26:
	s_or_b32 exec_lo, exec_lo, s1
	v_mov_b32_e32 v4, 0
	ds_load_b64 v[4:5], v4 offset:24
	s_wait_dscnt 0x0
	v_mul_f32_e32 v10, v3, v5
	v_mul_f32_e32 v6, v9, v5
	s_delay_alu instid0(VALU_DEP_2) | instskip(NEXT) | instid1(VALU_DEP_2)
	v_fma_f32 v5, v9, v4, -v10
	v_fmac_f32_e32 v6, v3, v4
	scratch_store_b64 off, v[5:6], off offset:24
.LBB110_27:
	s_wait_alu 0xfffe
	s_or_b32 exec_lo, exec_lo, s0
	s_wait_loadcnt 0x0
	s_wait_storecnt 0x0
	s_barrier_signal -1
	s_barrier_wait -1
	global_inv scope:SCOPE_SE
	scratch_load_b64 v[3:4], off, off offset:32
	s_mov_b32 s0, exec_lo
	s_wait_loadcnt 0x0
	ds_store_b64 v1, v[3:4]
	s_wait_dscnt 0x0
	s_barrier_signal -1
	s_barrier_wait -1
	global_inv scope:SCOPE_SE
	v_cmpx_gt_u32_e32 4, v0
	s_cbranch_execz .LBB110_31
; %bb.28:
	v_dual_mov_b32 v3, 0 :: v_dual_add_nc_u32 v4, -1, v0
	v_dual_mov_b32 v6, v7 :: v_dual_add_nc_u32 v5, 0x180, v7
	v_mov_b32_e32 v9, 0
	s_mov_b32 s1, 0
.LBB110_29:                             ; =>This Inner Loop Header: Depth=1
	scratch_load_b64 v[10:11], v6, off
	ds_load_b64 v[12:13], v5
	v_add_nc_u32_e32 v4, 1, v4
	v_add_nc_u32_e32 v5, 8, v5
	s_delay_alu instid0(VALU_DEP_2)
	v_cmp_lt_u32_e32 vcc_lo, 2, v4
	s_wait_alu 0xfffe
	s_or_b32 s1, vcc_lo, s1
	s_wait_loadcnt_dscnt 0x0
	v_mul_f32_e32 v14, v13, v11
	v_mul_f32_e32 v11, v12, v11
	s_delay_alu instid0(VALU_DEP_2) | instskip(NEXT) | instid1(VALU_DEP_2)
	v_fma_f32 v12, v12, v10, -v14
	v_fmac_f32_e32 v11, v13, v10
	s_delay_alu instid0(VALU_DEP_2) | instskip(NEXT) | instid1(VALU_DEP_2)
	v_dual_add_f32 v9, v9, v12 :: v_dual_add_nc_u32 v6, 8, v6
	v_add_f32_e32 v3, v3, v11
	s_wait_alu 0xfffe
	s_and_not1_b32 exec_lo, exec_lo, s1
	s_cbranch_execnz .LBB110_29
; %bb.30:
	s_or_b32 exec_lo, exec_lo, s1
	v_mov_b32_e32 v4, 0
	ds_load_b64 v[4:5], v4 offset:32
	s_wait_dscnt 0x0
	v_mul_f32_e32 v10, v3, v5
	v_mul_f32_e32 v6, v9, v5
	s_delay_alu instid0(VALU_DEP_2) | instskip(NEXT) | instid1(VALU_DEP_2)
	v_fma_f32 v5, v9, v4, -v10
	v_fmac_f32_e32 v6, v3, v4
	scratch_store_b64 off, v[5:6], off offset:32
.LBB110_31:
	s_wait_alu 0xfffe
	s_or_b32 exec_lo, exec_lo, s0
	s_wait_loadcnt 0x0
	s_wait_storecnt 0x0
	s_barrier_signal -1
	s_barrier_wait -1
	global_inv scope:SCOPE_SE
	scratch_load_b64 v[3:4], off, off offset:40
	;; [unrolled: 55-line block ×19, first 2 shown]
	s_mov_b32 s0, exec_lo
	s_wait_loadcnt 0x0
	ds_store_b64 v1, v[3:4]
	s_wait_dscnt 0x0
	s_barrier_signal -1
	s_barrier_wait -1
	global_inv scope:SCOPE_SE
	v_cmpx_gt_u32_e32 22, v0
	s_cbranch_execz .LBB110_103
; %bb.100:
	v_dual_mov_b32 v3, 0 :: v_dual_add_nc_u32 v4, -1, v0
	v_dual_mov_b32 v6, v7 :: v_dual_add_nc_u32 v5, 0x180, v7
	v_mov_b32_e32 v9, 0
	s_mov_b32 s1, 0
.LBB110_101:                            ; =>This Inner Loop Header: Depth=1
	scratch_load_b64 v[10:11], v6, off
	ds_load_b64 v[12:13], v5
	v_add_nc_u32_e32 v4, 1, v4
	v_add_nc_u32_e32 v5, 8, v5
	s_delay_alu instid0(VALU_DEP_2)
	v_cmp_lt_u32_e32 vcc_lo, 20, v4
	s_wait_alu 0xfffe
	s_or_b32 s1, vcc_lo, s1
	s_wait_loadcnt_dscnt 0x0
	v_mul_f32_e32 v14, v13, v11
	v_mul_f32_e32 v11, v12, v11
	s_delay_alu instid0(VALU_DEP_2) | instskip(NEXT) | instid1(VALU_DEP_2)
	v_fma_f32 v12, v12, v10, -v14
	v_fmac_f32_e32 v11, v13, v10
	s_delay_alu instid0(VALU_DEP_2) | instskip(NEXT) | instid1(VALU_DEP_2)
	v_dual_add_f32 v9, v9, v12 :: v_dual_add_nc_u32 v6, 8, v6
	v_add_f32_e32 v3, v3, v11
	s_wait_alu 0xfffe
	s_and_not1_b32 exec_lo, exec_lo, s1
	s_cbranch_execnz .LBB110_101
; %bb.102:
	s_or_b32 exec_lo, exec_lo, s1
	v_mov_b32_e32 v4, 0
	ds_load_b64 v[4:5], v4 offset:176
	s_wait_dscnt 0x0
	v_mul_f32_e32 v10, v3, v5
	v_mul_f32_e32 v6, v9, v5
	s_delay_alu instid0(VALU_DEP_2) | instskip(NEXT) | instid1(VALU_DEP_2)
	v_fma_f32 v5, v9, v4, -v10
	v_fmac_f32_e32 v6, v3, v4
	scratch_store_b64 off, v[5:6], off offset:176
.LBB110_103:
	s_wait_alu 0xfffe
	s_or_b32 exec_lo, exec_lo, s0
	s_wait_loadcnt 0x0
	s_wait_storecnt 0x0
	s_barrier_signal -1
	s_barrier_wait -1
	global_inv scope:SCOPE_SE
	scratch_load_b64 v[3:4], off, off offset:184
	s_mov_b32 s0, exec_lo
	s_wait_loadcnt 0x0
	ds_store_b64 v1, v[3:4]
	s_wait_dscnt 0x0
	s_barrier_signal -1
	s_barrier_wait -1
	global_inv scope:SCOPE_SE
	v_cmpx_gt_u32_e32 23, v0
	s_cbranch_execz .LBB110_107
; %bb.104:
	v_dual_mov_b32 v3, 0 :: v_dual_add_nc_u32 v4, -1, v0
	v_dual_mov_b32 v6, v7 :: v_dual_add_nc_u32 v5, 0x180, v7
	v_mov_b32_e32 v9, 0
	s_mov_b32 s1, 0
.LBB110_105:                            ; =>This Inner Loop Header: Depth=1
	scratch_load_b64 v[10:11], v6, off
	ds_load_b64 v[12:13], v5
	v_add_nc_u32_e32 v4, 1, v4
	v_add_nc_u32_e32 v5, 8, v5
	s_delay_alu instid0(VALU_DEP_2)
	v_cmp_lt_u32_e32 vcc_lo, 21, v4
	s_wait_alu 0xfffe
	s_or_b32 s1, vcc_lo, s1
	s_wait_loadcnt_dscnt 0x0
	v_mul_f32_e32 v14, v13, v11
	v_mul_f32_e32 v11, v12, v11
	s_delay_alu instid0(VALU_DEP_2) | instskip(NEXT) | instid1(VALU_DEP_2)
	v_fma_f32 v12, v12, v10, -v14
	v_fmac_f32_e32 v11, v13, v10
	s_delay_alu instid0(VALU_DEP_2) | instskip(NEXT) | instid1(VALU_DEP_2)
	v_dual_add_f32 v9, v9, v12 :: v_dual_add_nc_u32 v6, 8, v6
	v_add_f32_e32 v3, v3, v11
	s_wait_alu 0xfffe
	s_and_not1_b32 exec_lo, exec_lo, s1
	s_cbranch_execnz .LBB110_105
; %bb.106:
	s_or_b32 exec_lo, exec_lo, s1
	v_mov_b32_e32 v4, 0
	ds_load_b64 v[4:5], v4 offset:184
	s_wait_dscnt 0x0
	v_mul_f32_e32 v10, v3, v5
	v_mul_f32_e32 v6, v9, v5
	s_delay_alu instid0(VALU_DEP_2) | instskip(NEXT) | instid1(VALU_DEP_2)
	v_fma_f32 v5, v9, v4, -v10
	v_fmac_f32_e32 v6, v3, v4
	scratch_store_b64 off, v[5:6], off offset:184
.LBB110_107:
	s_wait_alu 0xfffe
	s_or_b32 exec_lo, exec_lo, s0
	s_wait_loadcnt 0x0
	s_wait_storecnt 0x0
	s_barrier_signal -1
	s_barrier_wait -1
	global_inv scope:SCOPE_SE
	scratch_load_b64 v[3:4], off, off offset:192
	;; [unrolled: 55-line block ×23, first 2 shown]
	s_mov_b32 s0, exec_lo
	s_wait_loadcnt 0x0
	ds_store_b64 v1, v[3:4]
	s_wait_dscnt 0x0
	s_barrier_signal -1
	s_barrier_wait -1
	global_inv scope:SCOPE_SE
	v_cmpx_gt_u32_e32 45, v0
	s_cbranch_execz .LBB110_195
; %bb.192:
	v_dual_mov_b32 v3, 0 :: v_dual_add_nc_u32 v4, -1, v0
	v_dual_mov_b32 v6, v7 :: v_dual_add_nc_u32 v5, 0x180, v7
	v_mov_b32_e32 v7, 0
	s_mov_b32 s1, 0
.LBB110_193:                            ; =>This Inner Loop Header: Depth=1
	scratch_load_b64 v[9:10], v6, off
	ds_load_b64 v[11:12], v5
	v_add_nc_u32_e32 v6, 8, v6
	v_add_nc_u32_e32 v4, 1, v4
	;; [unrolled: 1-line block ×3, first 2 shown]
	s_delay_alu instid0(VALU_DEP_2)
	v_cmp_lt_u32_e32 vcc_lo, 43, v4
	s_wait_alu 0xfffe
	s_or_b32 s1, vcc_lo, s1
	s_wait_loadcnt_dscnt 0x0
	v_mul_f32_e32 v13, v12, v10
	v_mul_f32_e32 v10, v11, v10
	s_delay_alu instid0(VALU_DEP_2) | instskip(NEXT) | instid1(VALU_DEP_1)
	v_fma_f32 v11, v11, v9, -v13
	v_dual_fmac_f32 v10, v12, v9 :: v_dual_add_f32 v7, v7, v11
	s_delay_alu instid0(VALU_DEP_1)
	v_add_f32_e32 v3, v3, v10
	s_wait_alu 0xfffe
	s_and_not1_b32 exec_lo, exec_lo, s1
	s_cbranch_execnz .LBB110_193
; %bb.194:
	s_or_b32 exec_lo, exec_lo, s1
	v_mov_b32_e32 v4, 0
	ds_load_b64 v[4:5], v4 offset:360
	s_wait_dscnt 0x0
	v_mul_f32_e32 v9, v3, v5
	v_mul_f32_e32 v6, v7, v5
	s_delay_alu instid0(VALU_DEP_2) | instskip(NEXT) | instid1(VALU_DEP_2)
	v_fma_f32 v5, v7, v4, -v9
	v_fmac_f32_e32 v6, v3, v4
	scratch_store_b64 off, v[5:6], off offset:360
.LBB110_195:
	s_wait_alu 0xfffe
	s_or_b32 exec_lo, exec_lo, s0
	s_wait_loadcnt 0x0
	s_wait_storecnt 0x0
	s_barrier_signal -1
	s_barrier_wait -1
	global_inv scope:SCOPE_SE
	scratch_load_b64 v[3:4], off, off offset:368
	s_mov_b32 s0, exec_lo
	s_wait_loadcnt 0x0
	ds_store_b64 v1, v[3:4]
	s_wait_dscnt 0x0
	s_barrier_signal -1
	s_barrier_wait -1
	global_inv scope:SCOPE_SE
	v_cmpx_ne_u32_e32 46, v0
	s_cbranch_execz .LBB110_199
; %bb.196:
	v_dual_mov_b32 v3, 0 :: v_dual_mov_b32 v4, 0
	s_mov_b32 s1, 0
.LBB110_197:                            ; =>This Inner Loop Header: Depth=1
	scratch_load_b64 v[5:6], v8, off
	ds_load_b64 v[9:10], v1
	v_add_nc_u32_e32 v2, 1, v2
	v_add_nc_u32_e32 v1, 8, v1
	;; [unrolled: 1-line block ×3, first 2 shown]
	s_delay_alu instid0(VALU_DEP_3)
	v_cmp_lt_u32_e32 vcc_lo, 44, v2
	s_wait_alu 0xfffe
	s_or_b32 s1, vcc_lo, s1
	s_wait_loadcnt_dscnt 0x0
	v_mul_f32_e32 v7, v10, v6
	v_mul_f32_e32 v6, v9, v6
	s_delay_alu instid0(VALU_DEP_2) | instskip(NEXT) | instid1(VALU_DEP_2)
	v_fma_f32 v7, v9, v5, -v7
	v_fmac_f32_e32 v6, v10, v5
	s_delay_alu instid0(VALU_DEP_1)
	v_dual_add_f32 v4, v4, v7 :: v_dual_add_f32 v3, v3, v6
	s_wait_alu 0xfffe
	s_and_not1_b32 exec_lo, exec_lo, s1
	s_cbranch_execnz .LBB110_197
; %bb.198:
	s_or_b32 exec_lo, exec_lo, s1
	v_mov_b32_e32 v1, 0
	ds_load_b64 v[1:2], v1 offset:368
	s_wait_dscnt 0x0
	v_mul_f32_e32 v6, v3, v2
	v_mul_f32_e32 v5, v4, v2
	s_delay_alu instid0(VALU_DEP_2) | instskip(NEXT) | instid1(VALU_DEP_2)
	v_fma_f32 v4, v4, v1, -v6
	v_fmac_f32_e32 v5, v3, v1
	scratch_store_b64 off, v[4:5], off offset:368
.LBB110_199:
	s_wait_alu 0xfffe
	s_or_b32 exec_lo, exec_lo, s0
	s_mov_b32 s1, -1
	s_wait_loadcnt 0x0
	s_wait_storecnt 0x0
	s_barrier_signal -1
	s_barrier_wait -1
	global_inv scope:SCOPE_SE
.LBB110_200:
	s_wait_alu 0xfffe
	s_and_b32 vcc_lo, exec_lo, s1
	s_wait_alu 0xfffe
	s_cbranch_vccz .LBB110_202
; %bb.201:
	v_mov_b32_e32 v1, 0
	s_lshl_b64 s[0:1], s[8:9], 2
	s_wait_alu 0xfffe
	s_add_nc_u64 s[0:1], s[6:7], s[0:1]
	global_load_b32 v1, v1, s[0:1]
	s_wait_loadcnt 0x0
	v_cmp_ne_u32_e32 vcc_lo, 0, v1
	s_cbranch_vccz .LBB110_203
.LBB110_202:
	s_nop 0
	s_sendmsg sendmsg(MSG_DEALLOC_VGPRS)
	s_endpgm
.LBB110_203:
	v_lshl_add_u32 v23, v0, 3, 0x180
	s_mov_b32 s0, exec_lo
	v_cmpx_eq_u32_e32 46, v0
	s_cbranch_execz .LBB110_205
; %bb.204:
	scratch_load_b64 v[1:2], off, off offset:360
	v_mov_b32_e32 v3, 0
	s_delay_alu instid0(VALU_DEP_1)
	v_mov_b32_e32 v4, v3
	scratch_store_b64 off, v[3:4], off offset:360
	s_wait_loadcnt 0x0
	ds_store_b64 v23, v[1:2]
.LBB110_205:
	s_wait_alu 0xfffe
	s_or_b32 exec_lo, exec_lo, s0
	s_wait_storecnt_dscnt 0x0
	s_barrier_signal -1
	s_barrier_wait -1
	global_inv scope:SCOPE_SE
	s_clause 0x1
	scratch_load_b64 v[2:3], off, off offset:368
	scratch_load_b64 v[4:5], off, off offset:360
	v_mov_b32_e32 v1, 0
	s_mov_b32 s0, exec_lo
	ds_load_b64 v[6:7], v1 offset:752
	s_wait_loadcnt_dscnt 0x100
	v_mul_f32_e32 v8, v7, v3
	v_mul_f32_e32 v3, v6, v3
	s_delay_alu instid0(VALU_DEP_2) | instskip(NEXT) | instid1(VALU_DEP_2)
	v_fma_f32 v6, v6, v2, -v8
	v_fmac_f32_e32 v3, v7, v2
	s_delay_alu instid0(VALU_DEP_1) | instskip(SKIP_1) | instid1(VALU_DEP_1)
	v_dual_add_f32 v2, 0, v6 :: v_dual_add_f32 v3, 0, v3
	s_wait_loadcnt 0x0
	v_dual_sub_f32 v2, v4, v2 :: v_dual_sub_f32 v3, v5, v3
	scratch_store_b64 off, v[2:3], off offset:360
	v_cmpx_lt_u32_e32 44, v0
	s_cbranch_execz .LBB110_207
; %bb.206:
	scratch_load_b64 v[3:4], off, off offset:352
	v_mov_b32_e32 v2, v1
	scratch_store_b64 off, v[1:2], off offset:352
	s_wait_loadcnt 0x0
	ds_store_b64 v23, v[3:4]
.LBB110_207:
	s_wait_alu 0xfffe
	s_or_b32 exec_lo, exec_lo, s0
	s_wait_storecnt_dscnt 0x0
	s_barrier_signal -1
	s_barrier_wait -1
	global_inv scope:SCOPE_SE
	s_clause 0x1
	scratch_load_b128 v[2:5], off, off offset:360
	scratch_load_b64 v[10:11], off, off offset:352
	ds_load_2addr_b64 v[6:9], v1 offset0:93 offset1:94
	s_mov_b32 s0, exec_lo
	s_wait_loadcnt_dscnt 0x100
	v_dual_mul_f32 v1, v7, v3 :: v_dual_mul_f32 v12, v8, v5
	v_mul_f32_e32 v3, v6, v3
	s_delay_alu instid0(VALU_DEP_2) | instskip(NEXT) | instid1(VALU_DEP_2)
	v_fma_f32 v1, v6, v2, -v1
	v_dual_fmac_f32 v12, v9, v4 :: v_dual_fmac_f32 v3, v7, v2
	s_delay_alu instid0(VALU_DEP_2) | instskip(NEXT) | instid1(VALU_DEP_2)
	v_add_f32_e32 v1, 0, v1
	v_add_f32_e32 v3, 0, v3
	v_mul_f32_e32 v5, v9, v5
	s_delay_alu instid0(VALU_DEP_1) | instskip(NEXT) | instid1(VALU_DEP_1)
	v_fma_f32 v2, v8, v4, -v5
	v_dual_add_f32 v1, v1, v2 :: v_dual_add_f32 v2, v3, v12
	s_wait_loadcnt 0x0
	s_delay_alu instid0(VALU_DEP_1)
	v_dual_sub_f32 v1, v10, v1 :: v_dual_sub_f32 v2, v11, v2
	scratch_store_b64 off, v[1:2], off offset:352
	v_cmpx_lt_u32_e32 43, v0
	s_cbranch_execz .LBB110_209
; %bb.208:
	scratch_load_b64 v[1:2], off, off offset:344
	v_mov_b32_e32 v3, 0
	s_delay_alu instid0(VALU_DEP_1)
	v_mov_b32_e32 v4, v3
	scratch_store_b64 off, v[3:4], off offset:344
	s_wait_loadcnt 0x0
	ds_store_b64 v23, v[1:2]
.LBB110_209:
	s_wait_alu 0xfffe
	s_or_b32 exec_lo, exec_lo, s0
	s_wait_storecnt_dscnt 0x0
	s_barrier_signal -1
	s_barrier_wait -1
	global_inv scope:SCOPE_SE
	s_clause 0x2
	scratch_load_b128 v[2:5], off, off offset:352
	scratch_load_b64 v[10:11], off, off offset:368
	scratch_load_b64 v[12:13], off, off offset:344
	v_mov_b32_e32 v1, 0
	ds_load_b128 v[6:9], v1 offset:736
	ds_load_b64 v[14:15], v1 offset:752
	s_mov_b32 s0, exec_lo
	s_wait_loadcnt_dscnt 0x201
	v_dual_mul_f32 v16, v7, v3 :: v_dual_mul_f32 v17, v8, v5
	s_wait_loadcnt_dscnt 0x100
	v_mul_f32_e32 v18, v14, v11
	v_mul_f32_e32 v3, v6, v3
	;; [unrolled: 1-line block ×3, first 2 shown]
	v_fma_f32 v6, v6, v2, -v16
	s_delay_alu instid0(VALU_DEP_4) | instskip(NEXT) | instid1(VALU_DEP_4)
	v_fmac_f32_e32 v18, v15, v10
	v_fmac_f32_e32 v3, v7, v2
	v_mul_f32_e32 v2, v15, v11
	s_delay_alu instid0(VALU_DEP_1) | instskip(SKIP_3) | instid1(VALU_DEP_1)
	v_fma_f32 v2, v14, v10, -v2
	v_fmac_f32_e32 v17, v9, v4
	v_fma_f32 v4, v8, v4, -v5
	v_add_f32_e32 v5, 0, v6
	v_add_f32_e32 v4, v5, v4
	s_delay_alu instid0(VALU_DEP_1) | instskip(SKIP_1) | instid1(VALU_DEP_1)
	v_dual_add_f32 v2, v4, v2 :: v_dual_add_f32 v3, 0, v3
	s_wait_loadcnt 0x0
	v_dual_sub_f32 v2, v12, v2 :: v_dual_add_f32 v3, v3, v17
	s_delay_alu instid0(VALU_DEP_1) | instskip(NEXT) | instid1(VALU_DEP_1)
	v_add_f32_e32 v3, v3, v18
	v_sub_f32_e32 v3, v13, v3
	scratch_store_b64 off, v[2:3], off offset:344
	v_cmpx_lt_u32_e32 42, v0
	s_cbranch_execz .LBB110_211
; %bb.210:
	scratch_load_b64 v[3:4], off, off offset:336
	v_mov_b32_e32 v2, v1
	scratch_store_b64 off, v[1:2], off offset:336
	s_wait_loadcnt 0x0
	ds_store_b64 v23, v[3:4]
.LBB110_211:
	s_wait_alu 0xfffe
	s_or_b32 exec_lo, exec_lo, s0
	s_wait_storecnt_dscnt 0x0
	s_barrier_signal -1
	s_barrier_wait -1
	global_inv scope:SCOPE_SE
	s_clause 0x2
	scratch_load_b128 v[2:5], off, off offset:344
	scratch_load_b128 v[6:9], off, off offset:360
	scratch_load_b64 v[18:19], off, off offset:336
	ds_load_2addr_b64 v[10:13], v1 offset0:91 offset1:92
	ds_load_2addr_b64 v[14:17], v1 offset0:93 offset1:94
	s_mov_b32 s0, exec_lo
	s_wait_loadcnt_dscnt 0x201
	v_dual_mul_f32 v1, v10, v3 :: v_dual_mul_f32 v20, v12, v5
	s_wait_loadcnt_dscnt 0x100
	v_dual_mul_f32 v3, v11, v3 :: v_dual_mul_f32 v22, v16, v9
	v_mul_f32_e32 v5, v13, v5
	s_delay_alu instid0(VALU_DEP_3) | instskip(NEXT) | instid1(VALU_DEP_3)
	v_dual_mul_f32 v21, v14, v7 :: v_dual_fmac_f32 v20, v13, v4
	v_fma_f32 v3, v10, v2, -v3
	s_delay_alu instid0(VALU_DEP_4) | instskip(SKIP_2) | instid1(VALU_DEP_4)
	v_dual_fmac_f32 v1, v11, v2 :: v_dual_fmac_f32 v22, v17, v8
	v_mul_f32_e32 v2, v15, v7
	v_fma_f32 v4, v12, v4, -v5
	v_add_f32_e32 v3, 0, v3
	v_fmac_f32_e32 v21, v15, v6
	s_delay_alu instid0(VALU_DEP_4) | instskip(NEXT) | instid1(VALU_DEP_3)
	v_fma_f32 v2, v14, v6, -v2
	v_add_f32_e32 v3, v3, v4
	s_delay_alu instid0(VALU_DEP_1) | instskip(NEXT) | instid1(VALU_DEP_1)
	v_dual_add_f32 v1, 0, v1 :: v_dual_add_f32 v2, v3, v2
	v_add_f32_e32 v1, v1, v20
	s_delay_alu instid0(VALU_DEP_1) | instskip(NEXT) | instid1(VALU_DEP_1)
	v_add_f32_e32 v1, v1, v21
	v_add_f32_e32 v3, v1, v22
	v_mul_f32_e32 v5, v17, v9
	s_delay_alu instid0(VALU_DEP_1) | instskip(NEXT) | instid1(VALU_DEP_1)
	v_fma_f32 v4, v16, v8, -v5
	v_add_f32_e32 v2, v2, v4
	s_wait_loadcnt 0x0
	s_delay_alu instid0(VALU_DEP_1)
	v_dual_sub_f32 v1, v18, v2 :: v_dual_sub_f32 v2, v19, v3
	scratch_store_b64 off, v[1:2], off offset:336
	v_cmpx_lt_u32_e32 41, v0
	s_cbranch_execz .LBB110_213
; %bb.212:
	scratch_load_b64 v[1:2], off, off offset:328
	v_mov_b32_e32 v3, 0
	s_delay_alu instid0(VALU_DEP_1)
	v_mov_b32_e32 v4, v3
	scratch_store_b64 off, v[3:4], off offset:328
	s_wait_loadcnt 0x0
	ds_store_b64 v23, v[1:2]
.LBB110_213:
	s_wait_alu 0xfffe
	s_or_b32 exec_lo, exec_lo, s0
	s_wait_storecnt_dscnt 0x0
	s_barrier_signal -1
	s_barrier_wait -1
	global_inv scope:SCOPE_SE
	s_clause 0x3
	scratch_load_b128 v[2:5], off, off offset:336
	scratch_load_b128 v[6:9], off, off offset:352
	scratch_load_b64 v[18:19], off, off offset:368
	scratch_load_b64 v[20:21], off, off offset:328
	v_mov_b32_e32 v1, 0
	ds_load_b128 v[10:13], v1 offset:720
	ds_load_b128 v[14:17], v1 offset:736
	ds_load_b64 v[118:119], v1 offset:752
	s_mov_b32 s0, exec_lo
	s_wait_loadcnt_dscnt 0x302
	v_mul_f32_e32 v22, v10, v3
	v_dual_mul_f32 v120, v12, v5 :: v_dual_mul_f32 v3, v11, v3
	v_mul_f32_e32 v5, v13, v5
	s_wait_loadcnt_dscnt 0x100
	s_delay_alu instid0(VALU_DEP_3)
	v_dual_mul_f32 v123, v118, v19 :: v_dual_fmac_f32 v22, v11, v2
	v_dual_mul_f32 v121, v14, v7 :: v_dual_mul_f32 v122, v16, v9
	v_fma_f32 v3, v10, v2, -v3
	v_mul_f32_e32 v2, v15, v7
	v_fmac_f32_e32 v120, v13, v4
	v_fma_f32 v4, v12, v4, -v5
	v_dual_add_f32 v5, 0, v22 :: v_dual_fmac_f32 v122, v17, v8
	v_add_f32_e32 v3, 0, v3
	v_fma_f32 v2, v14, v6, -v2
	v_fmac_f32_e32 v121, v15, v6
	v_fmac_f32_e32 v123, v119, v18
	s_delay_alu instid0(VALU_DEP_4) | instskip(SKIP_2) | instid1(VALU_DEP_3)
	v_add_f32_e32 v3, v3, v4
	v_mul_f32_e32 v7, v17, v9
	v_add_f32_e32 v4, v5, v120
	v_add_f32_e32 v2, v3, v2
	s_delay_alu instid0(VALU_DEP_3) | instskip(NEXT) | instid1(VALU_DEP_1)
	v_fma_f32 v6, v16, v8, -v7
	v_dual_add_f32 v3, v4, v121 :: v_dual_add_f32 v2, v2, v6
	v_mul_f32_e32 v5, v119, v19
	s_delay_alu instid0(VALU_DEP_2) | instskip(NEXT) | instid1(VALU_DEP_2)
	v_add_f32_e32 v3, v3, v122
	v_fma_f32 v4, v118, v18, -v5
	s_delay_alu instid0(VALU_DEP_1) | instskip(SKIP_1) | instid1(VALU_DEP_1)
	v_dual_add_f32 v2, v2, v4 :: v_dual_add_f32 v3, v3, v123
	s_wait_loadcnt 0x0
	v_dual_sub_f32 v2, v20, v2 :: v_dual_sub_f32 v3, v21, v3
	scratch_store_b64 off, v[2:3], off offset:328
	v_cmpx_lt_u32_e32 40, v0
	s_cbranch_execz .LBB110_215
; %bb.214:
	scratch_load_b64 v[3:4], off, off offset:320
	v_mov_b32_e32 v2, v1
	scratch_store_b64 off, v[1:2], off offset:320
	s_wait_loadcnt 0x0
	ds_store_b64 v23, v[3:4]
.LBB110_215:
	s_wait_alu 0xfffe
	s_or_b32 exec_lo, exec_lo, s0
	s_wait_storecnt_dscnt 0x0
	s_barrier_signal -1
	s_barrier_wait -1
	global_inv scope:SCOPE_SE
	s_clause 0x3
	scratch_load_b128 v[2:5], off, off offset:328
	scratch_load_b128 v[6:9], off, off offset:344
	;; [unrolled: 1-line block ×3, first 2 shown]
	scratch_load_b64 v[122:123], off, off offset:320
	ds_load_2addr_b64 v[14:17], v1 offset0:89 offset1:90
	ds_load_2addr_b64 v[18:21], v1 offset0:91 offset1:92
	;; [unrolled: 1-line block ×3, first 2 shown]
	s_mov_b32 s0, exec_lo
	s_wait_loadcnt_dscnt 0x302
	v_dual_mul_f32 v1, v14, v3 :: v_dual_mul_f32 v22, v16, v5
	v_mul_f32_e32 v3, v15, v3
	s_wait_loadcnt_dscnt 0x201
	v_dual_mul_f32 v5, v17, v5 :: v_dual_mul_f32 v124, v18, v7
	s_delay_alu instid0(VALU_DEP_3) | instskip(NEXT) | instid1(VALU_DEP_3)
	v_dual_mul_f32 v125, v20, v9 :: v_dual_fmac_f32 v22, v17, v4
	v_fma_f32 v3, v14, v2, -v3
	v_fmac_f32_e32 v1, v15, v2
	v_mul_f32_e32 v2, v19, v7
	v_fma_f32 v4, v16, v4, -v5
	s_delay_alu instid0(VALU_DEP_4)
	v_dual_fmac_f32 v124, v19, v6 :: v_dual_add_f32 v3, 0, v3
	s_wait_loadcnt_dscnt 0x100
	v_dual_mul_f32 v126, v118, v11 :: v_dual_mul_f32 v127, v120, v13
	v_fma_f32 v2, v18, v6, -v2
	v_fmac_f32_e32 v125, v21, v8
	v_add_f32_e32 v3, v3, v4
	s_delay_alu instid0(VALU_DEP_4) | instskip(SKIP_1) | instid1(VALU_DEP_3)
	v_dual_mul_f32 v5, v21, v9 :: v_dual_fmac_f32 v126, v119, v10
	v_dual_fmac_f32 v127, v121, v12 :: v_dual_mul_f32 v4, v119, v11
	v_add_f32_e32 v2, v3, v2
	s_delay_alu instid0(VALU_DEP_3) | instskip(SKIP_1) | instid1(VALU_DEP_4)
	v_fma_f32 v5, v20, v8, -v5
	v_mul_f32_e32 v3, v121, v13
	v_fma_f32 v4, v118, v10, -v4
	s_delay_alu instid0(VALU_DEP_3) | instskip(SKIP_1) | instid1(VALU_DEP_4)
	v_add_f32_e32 v2, v2, v5
	v_add_f32_e32 v1, 0, v1
	v_fma_f32 v3, v120, v12, -v3
	s_delay_alu instid0(VALU_DEP_2) | instskip(NEXT) | instid1(VALU_DEP_1)
	v_dual_add_f32 v2, v2, v4 :: v_dual_add_f32 v1, v1, v22
	v_dual_add_f32 v2, v2, v3 :: v_dual_add_f32 v1, v1, v124
	s_delay_alu instid0(VALU_DEP_1) | instskip(NEXT) | instid1(VALU_DEP_1)
	v_add_f32_e32 v1, v1, v125
	v_add_f32_e32 v1, v1, v126
	s_delay_alu instid0(VALU_DEP_1) | instskip(SKIP_1) | instid1(VALU_DEP_1)
	v_add_f32_e32 v3, v1, v127
	s_wait_loadcnt 0x0
	v_dual_sub_f32 v1, v122, v2 :: v_dual_sub_f32 v2, v123, v3
	scratch_store_b64 off, v[1:2], off offset:320
	v_cmpx_lt_u32_e32 39, v0
	s_cbranch_execz .LBB110_217
; %bb.216:
	scratch_load_b64 v[1:2], off, off offset:312
	v_mov_b32_e32 v3, 0
	s_delay_alu instid0(VALU_DEP_1)
	v_mov_b32_e32 v4, v3
	scratch_store_b64 off, v[3:4], off offset:312
	s_wait_loadcnt 0x0
	ds_store_b64 v23, v[1:2]
.LBB110_217:
	s_wait_alu 0xfffe
	s_or_b32 exec_lo, exec_lo, s0
	s_wait_storecnt_dscnt 0x0
	s_barrier_signal -1
	s_barrier_wait -1
	global_inv scope:SCOPE_SE
	s_clause 0x4
	scratch_load_b128 v[2:5], off, off offset:320
	scratch_load_b128 v[6:9], off, off offset:336
	;; [unrolled: 1-line block ×3, first 2 shown]
	scratch_load_b64 v[122:123], off, off offset:368
	scratch_load_b64 v[124:125], off, off offset:312
	v_mov_b32_e32 v1, 0
	ds_load_b128 v[14:17], v1 offset:704
	ds_load_b128 v[18:21], v1 offset:720
	;; [unrolled: 1-line block ×3, first 2 shown]
	ds_load_b64 v[126:127], v1 offset:752
	s_mov_b32 s0, exec_lo
	s_wait_loadcnt_dscnt 0x403
	v_mul_f32_e32 v22, v14, v3
	s_wait_loadcnt_dscnt 0x302
	v_dual_mul_f32 v130, v20, v9 :: v_dual_mul_f32 v3, v15, v3
	v_dual_mul_f32 v128, v16, v5 :: v_dual_mul_f32 v129, v18, v7
	v_mul_f32_e32 v5, v17, v5
	s_wait_loadcnt_dscnt 0x100
	v_dual_mul_f32 v133, v126, v123 :: v_dual_fmac_f32 v22, v15, v2
	v_fma_f32 v3, v14, v2, -v3
	v_mul_f32_e32 v2, v19, v7
	v_fmac_f32_e32 v128, v17, v4
	v_fma_f32 v4, v16, v4, -v5
	v_dual_add_f32 v5, 0, v22 :: v_dual_fmac_f32 v130, v21, v8
	v_add_f32_e32 v3, 0, v3
	v_fma_f32 v2, v18, v6, -v2
	v_fmac_f32_e32 v129, v19, v6
	v_dual_mul_f32 v131, v118, v11 :: v_dual_mul_f32 v132, v120, v13
	s_delay_alu instid0(VALU_DEP_4) | instskip(SKIP_1) | instid1(VALU_DEP_3)
	v_add_f32_e32 v3, v3, v4
	v_mul_f32_e32 v7, v21, v9
	v_dual_add_f32 v4, v5, v128 :: v_dual_fmac_f32 v131, v119, v10
	s_delay_alu instid0(VALU_DEP_4) | instskip(NEXT) | instid1(VALU_DEP_4)
	v_fmac_f32_e32 v132, v121, v12
	v_add_f32_e32 v2, v3, v2
	s_delay_alu instid0(VALU_DEP_4) | instskip(SKIP_3) | instid1(VALU_DEP_4)
	v_fma_f32 v6, v20, v8, -v7
	v_mul_f32_e32 v5, v119, v11
	v_add_f32_e32 v3, v4, v129
	v_mul_f32_e32 v4, v121, v13
	v_add_f32_e32 v2, v2, v6
	s_delay_alu instid0(VALU_DEP_4) | instskip(SKIP_3) | instid1(VALU_DEP_4)
	v_fma_f32 v5, v118, v10, -v5
	v_mul_f32_e32 v6, v127, v123
	v_add_f32_e32 v3, v3, v130
	v_fma_f32 v4, v120, v12, -v4
	v_add_f32_e32 v2, v2, v5
	s_delay_alu instid0(VALU_DEP_4) | instskip(NEXT) | instid1(VALU_DEP_2)
	v_fma_f32 v5, v126, v122, -v6
	v_dual_add_f32 v3, v3, v131 :: v_dual_add_f32 v2, v2, v4
	s_delay_alu instid0(VALU_DEP_1) | instskip(SKIP_1) | instid1(VALU_DEP_1)
	v_dual_fmac_f32 v133, v127, v122 :: v_dual_add_f32 v2, v2, v5
	s_wait_loadcnt 0x0
	v_dual_add_f32 v3, v3, v132 :: v_dual_sub_f32 v2, v124, v2
	s_delay_alu instid0(VALU_DEP_1) | instskip(NEXT) | instid1(VALU_DEP_1)
	v_add_f32_e32 v3, v3, v133
	v_sub_f32_e32 v3, v125, v3
	scratch_store_b64 off, v[2:3], off offset:312
	v_cmpx_lt_u32_e32 38, v0
	s_cbranch_execz .LBB110_219
; %bb.218:
	scratch_load_b64 v[3:4], off, off offset:304
	v_mov_b32_e32 v2, v1
	scratch_store_b64 off, v[1:2], off offset:304
	s_wait_loadcnt 0x0
	ds_store_b64 v23, v[3:4]
.LBB110_219:
	s_wait_alu 0xfffe
	s_or_b32 exec_lo, exec_lo, s0
	s_wait_storecnt_dscnt 0x0
	s_barrier_signal -1
	s_barrier_wait -1
	global_inv scope:SCOPE_SE
	s_clause 0x4
	scratch_load_b128 v[2:5], off, off offset:312
	scratch_load_b128 v[6:9], off, off offset:328
	;; [unrolled: 1-line block ×4, first 2 shown]
	scratch_load_b64 v[130:131], off, off offset:304
	ds_load_2addr_b64 v[18:21], v1 offset0:87 offset1:88
	ds_load_2addr_b64 v[118:121], v1 offset0:89 offset1:90
	;; [unrolled: 1-line block ×4, first 2 shown]
	s_mov_b32 s0, exec_lo
	s_wait_loadcnt_dscnt 0x403
	v_dual_mul_f32 v1, v18, v3 :: v_dual_mul_f32 v22, v20, v5
	v_mul_f32_e32 v3, v19, v3
	s_wait_loadcnt_dscnt 0x302
	v_dual_mul_f32 v5, v21, v5 :: v_dual_mul_f32 v132, v118, v7
	s_delay_alu instid0(VALU_DEP_3) | instskip(NEXT) | instid1(VALU_DEP_3)
	v_dual_mul_f32 v133, v120, v9 :: v_dual_fmac_f32 v22, v21, v4
	v_fma_f32 v3, v18, v2, -v3
	v_fmac_f32_e32 v1, v19, v2
	v_mul_f32_e32 v2, v119, v7
	v_fma_f32 v4, v20, v4, -v5
	s_delay_alu instid0(VALU_DEP_4)
	v_dual_fmac_f32 v132, v119, v6 :: v_dual_add_f32 v3, 0, v3
	s_wait_loadcnt_dscnt 0x201
	v_dual_mul_f32 v134, v122, v11 :: v_dual_mul_f32 v135, v124, v13
	v_fma_f32 v2, v118, v6, -v2
	s_wait_loadcnt_dscnt 0x100
	v_dual_mul_f32 v136, v126, v15 :: v_dual_mul_f32 v137, v128, v17
	v_add_f32_e32 v3, v3, v4
	v_mul_f32_e32 v5, v121, v9
	v_dual_fmac_f32 v133, v121, v8 :: v_dual_fmac_f32 v134, v123, v10
	v_mul_f32_e32 v4, v123, v11
	s_delay_alu instid0(VALU_DEP_4) | instskip(NEXT) | instid1(VALU_DEP_4)
	v_add_f32_e32 v2, v3, v2
	v_fma_f32 v5, v120, v8, -v5
	v_mul_f32_e32 v3, v125, v13
	v_fmac_f32_e32 v137, v129, v16
	v_fma_f32 v4, v122, v10, -v4
	v_fmac_f32_e32 v136, v127, v14
	v_add_f32_e32 v2, v2, v5
	v_add_f32_e32 v1, 0, v1
	v_mul_f32_e32 v5, v127, v15
	v_fma_f32 v3, v124, v12, -v3
	s_delay_alu instid0(VALU_DEP_3) | instskip(SKIP_1) | instid1(VALU_DEP_4)
	v_dual_add_f32 v2, v2, v4 :: v_dual_add_f32 v1, v1, v22
	v_mul_f32_e32 v4, v129, v17
	v_fma_f32 v5, v126, v14, -v5
	s_delay_alu instid0(VALU_DEP_3) | instskip(SKIP_1) | instid1(VALU_DEP_4)
	v_dual_add_f32 v2, v2, v3 :: v_dual_add_f32 v1, v1, v132
	v_fmac_f32_e32 v135, v125, v12
	v_fma_f32 v3, v128, v16, -v4
	s_delay_alu instid0(VALU_DEP_3) | instskip(NEXT) | instid1(VALU_DEP_1)
	v_add_f32_e32 v2, v2, v5
	v_dual_add_f32 v1, v1, v133 :: v_dual_add_f32 v2, v2, v3
	s_delay_alu instid0(VALU_DEP_1) | instskip(NEXT) | instid1(VALU_DEP_1)
	v_add_f32_e32 v1, v1, v134
	v_add_f32_e32 v1, v1, v135
	s_delay_alu instid0(VALU_DEP_1) | instskip(NEXT) | instid1(VALU_DEP_1)
	v_add_f32_e32 v1, v1, v136
	v_add_f32_e32 v3, v1, v137
	s_wait_loadcnt 0x0
	s_delay_alu instid0(VALU_DEP_1)
	v_dual_sub_f32 v1, v130, v2 :: v_dual_sub_f32 v2, v131, v3
	scratch_store_b64 off, v[1:2], off offset:304
	v_cmpx_lt_u32_e32 37, v0
	s_cbranch_execz .LBB110_221
; %bb.220:
	scratch_load_b64 v[1:2], off, off offset:296
	v_mov_b32_e32 v3, 0
	s_delay_alu instid0(VALU_DEP_1)
	v_mov_b32_e32 v4, v3
	scratch_store_b64 off, v[3:4], off offset:296
	s_wait_loadcnt 0x0
	ds_store_b64 v23, v[1:2]
.LBB110_221:
	s_wait_alu 0xfffe
	s_or_b32 exec_lo, exec_lo, s0
	s_wait_storecnt_dscnt 0x0
	s_barrier_signal -1
	s_barrier_wait -1
	global_inv scope:SCOPE_SE
	s_clause 0x5
	scratch_load_b128 v[2:5], off, off offset:304
	scratch_load_b128 v[6:9], off, off offset:320
	;; [unrolled: 1-line block ×4, first 2 shown]
	scratch_load_b64 v[130:131], off, off offset:368
	scratch_load_b64 v[132:133], off, off offset:296
	v_mov_b32_e32 v1, 0
	ds_load_b128 v[18:21], v1 offset:688
	ds_load_b128 v[118:121], v1 offset:704
	;; [unrolled: 1-line block ×4, first 2 shown]
	ds_load_b64 v[134:135], v1 offset:752
	s_mov_b32 s0, exec_lo
	s_wait_loadcnt_dscnt 0x504
	v_mul_f32_e32 v22, v18, v3
	s_wait_loadcnt_dscnt 0x302
	v_dual_mul_f32 v3, v19, v3 :: v_dual_mul_f32 v140, v124, v13
	v_dual_mul_f32 v136, v20, v5 :: v_dual_mul_f32 v137, v118, v7
	v_mul_f32_e32 v5, v21, v5
	s_delay_alu instid0(VALU_DEP_3) | instskip(SKIP_3) | instid1(VALU_DEP_3)
	v_fma_f32 v3, v18, v2, -v3
	s_wait_loadcnt_dscnt 0x100
	v_dual_mul_f32 v143, v134, v131 :: v_dual_fmac_f32 v22, v19, v2
	v_mul_f32_e32 v2, v119, v7
	v_dual_fmac_f32 v136, v21, v4 :: v_dual_add_f32 v3, 0, v3
	v_fma_f32 v4, v20, v4, -v5
	v_dual_mul_f32 v138, v120, v9 :: v_dual_mul_f32 v139, v122, v11
	v_add_f32_e32 v5, 0, v22
	v_fma_f32 v2, v118, v6, -v2
	s_delay_alu instid0(VALU_DEP_4) | instskip(SKIP_3) | instid1(VALU_DEP_4)
	v_add_f32_e32 v3, v3, v4
	v_mul_f32_e32 v7, v121, v9
	v_dual_fmac_f32 v138, v121, v8 :: v_dual_fmac_f32 v137, v119, v6
	v_add_f32_e32 v4, v5, v136
	v_add_f32_e32 v2, v3, v2
	s_delay_alu instid0(VALU_DEP_4)
	v_fma_f32 v6, v120, v8, -v7
	v_mul_f32_e32 v5, v123, v11
	v_dual_fmac_f32 v139, v123, v10 :: v_dual_fmac_f32 v140, v125, v12
	v_add_f32_e32 v3, v4, v137
	v_mul_f32_e32 v4, v125, v13
	v_add_f32_e32 v2, v2, v6
	v_fma_f32 v5, v122, v10, -v5
	v_mul_f32_e32 v6, v127, v15
	v_add_f32_e32 v3, v3, v138
	v_fma_f32 v4, v124, v12, -v4
	v_dual_mul_f32 v141, v126, v15 :: v_dual_mul_f32 v142, v128, v17
	s_delay_alu instid0(VALU_DEP_3) | instskip(SKIP_2) | instid1(VALU_DEP_4)
	v_dual_add_f32 v2, v2, v5 :: v_dual_add_f32 v3, v3, v139
	v_mul_f32_e32 v5, v129, v17
	v_fma_f32 v6, v126, v14, -v6
	v_dual_fmac_f32 v141, v127, v14 :: v_dual_fmac_f32 v142, v129, v16
	s_delay_alu instid0(VALU_DEP_4) | instskip(SKIP_3) | instid1(VALU_DEP_4)
	v_add_f32_e32 v2, v2, v4
	v_add_f32_e32 v3, v3, v140
	v_mul_f32_e32 v4, v135, v131
	v_fma_f32 v5, v128, v16, -v5
	v_add_f32_e32 v2, v2, v6
	v_fmac_f32_e32 v143, v135, v130
	s_delay_alu instid0(VALU_DEP_4) | instskip(NEXT) | instid1(VALU_DEP_3)
	v_fma_f32 v4, v134, v130, -v4
	v_add_f32_e32 v2, v2, v5
	s_delay_alu instid0(VALU_DEP_1) | instskip(NEXT) | instid1(VALU_DEP_1)
	v_dual_add_f32 v3, v3, v141 :: v_dual_add_f32 v2, v2, v4
	v_add_f32_e32 v3, v3, v142
	s_wait_loadcnt 0x0
	s_delay_alu instid0(VALU_DEP_1) | instskip(NEXT) | instid1(VALU_DEP_1)
	v_dual_sub_f32 v2, v132, v2 :: v_dual_add_f32 v3, v3, v143
	v_sub_f32_e32 v3, v133, v3
	scratch_store_b64 off, v[2:3], off offset:296
	v_cmpx_lt_u32_e32 36, v0
	s_cbranch_execz .LBB110_223
; %bb.222:
	scratch_load_b64 v[3:4], off, off offset:288
	v_mov_b32_e32 v2, v1
	scratch_store_b64 off, v[1:2], off offset:288
	s_wait_loadcnt 0x0
	ds_store_b64 v23, v[3:4]
.LBB110_223:
	s_wait_alu 0xfffe
	s_or_b32 exec_lo, exec_lo, s0
	s_wait_storecnt_dscnt 0x0
	s_barrier_signal -1
	s_barrier_wait -1
	global_inv scope:SCOPE_SE
	s_clause 0x5
	scratch_load_b128 v[2:5], off, off offset:296
	scratch_load_b128 v[6:9], off, off offset:312
	;; [unrolled: 1-line block ×5, first 2 shown]
	scratch_load_b64 v[138:139], off, off offset:288
	ds_load_2addr_b64 v[118:121], v1 offset0:85 offset1:86
	ds_load_2addr_b64 v[122:125], v1 offset0:87 offset1:88
	ds_load_2addr_b64 v[126:129], v1 offset0:89 offset1:90
	ds_load_2addr_b64 v[130:133], v1 offset0:91 offset1:92
	ds_load_2addr_b64 v[134:137], v1 offset0:93 offset1:94
	s_mov_b32 s0, exec_lo
	s_wait_loadcnt_dscnt 0x504
	v_dual_mul_f32 v1, v118, v3 :: v_dual_mul_f32 v22, v120, v5
	v_mul_f32_e32 v3, v119, v3
	s_wait_loadcnt_dscnt 0x403
	v_dual_mul_f32 v5, v121, v5 :: v_dual_mul_f32 v140, v122, v7
	s_delay_alu instid0(VALU_DEP_3) | instskip(NEXT) | instid1(VALU_DEP_3)
	v_dual_mul_f32 v141, v124, v9 :: v_dual_fmac_f32 v22, v121, v4
	v_fma_f32 v3, v118, v2, -v3
	v_fmac_f32_e32 v1, v119, v2
	v_mul_f32_e32 v2, v123, v7
	v_fma_f32 v4, v120, v4, -v5
	s_delay_alu instid0(VALU_DEP_4)
	v_dual_fmac_f32 v140, v123, v6 :: v_dual_add_f32 v3, 0, v3
	s_wait_loadcnt_dscnt 0x100
	v_dual_mul_f32 v146, v134, v19 :: v_dual_mul_f32 v147, v136, v21
	v_fma_f32 v2, v122, v6, -v2
	v_dual_mul_f32 v142, v126, v11 :: v_dual_mul_f32 v143, v128, v13
	v_add_f32_e32 v3, v3, v4
	v_dual_mul_f32 v5, v125, v9 :: v_dual_mul_f32 v144, v130, v15
	v_dual_mul_f32 v145, v132, v17 :: v_dual_mul_f32 v4, v127, v11
	s_delay_alu instid0(VALU_DEP_3) | instskip(NEXT) | instid1(VALU_DEP_3)
	v_add_f32_e32 v2, v3, v2
	v_fma_f32 v5, v124, v8, -v5
	v_dual_mul_f32 v3, v129, v13 :: v_dual_fmac_f32 v146, v135, v18
	s_delay_alu instid0(VALU_DEP_4) | instskip(SKIP_1) | instid1(VALU_DEP_4)
	v_fma_f32 v4, v126, v10, -v4
	v_dual_fmac_f32 v141, v125, v8 :: v_dual_fmac_f32 v142, v127, v10
	v_add_f32_e32 v2, v2, v5
	v_add_f32_e32 v1, 0, v1
	v_fma_f32 v3, v128, v12, -v3
	v_dual_fmac_f32 v144, v131, v14 :: v_dual_fmac_f32 v145, v133, v16
	s_delay_alu instid0(VALU_DEP_3) | instskip(SKIP_1) | instid1(VALU_DEP_2)
	v_dual_add_f32 v2, v2, v4 :: v_dual_add_f32 v1, v1, v22
	v_mul_f32_e32 v4, v133, v17
	v_dual_fmac_f32 v147, v137, v20 :: v_dual_add_f32 v2, v2, v3
	s_delay_alu instid0(VALU_DEP_3) | instskip(NEXT) | instid1(VALU_DEP_3)
	v_add_f32_e32 v1, v1, v140
	v_fma_f32 v4, v132, v16, -v4
	v_mul_f32_e32 v5, v131, v15
	v_mul_f32_e32 v3, v135, v19
	s_delay_alu instid0(VALU_DEP_4) | instskip(NEXT) | instid1(VALU_DEP_3)
	v_add_f32_e32 v1, v1, v141
	v_fma_f32 v5, v130, v14, -v5
	v_fmac_f32_e32 v143, v129, v12
	s_delay_alu instid0(VALU_DEP_4) | instskip(NEXT) | instid1(VALU_DEP_3)
	v_fma_f32 v3, v134, v18, -v3
	v_add_f32_e32 v2, v2, v5
	s_delay_alu instid0(VALU_DEP_1) | instskip(SKIP_1) | instid1(VALU_DEP_2)
	v_dual_mul_f32 v5, v137, v21 :: v_dual_add_f32 v2, v2, v4
	v_add_f32_e32 v1, v1, v142
	v_fma_f32 v4, v136, v20, -v5
	s_delay_alu instid0(VALU_DEP_3) | instskip(NEXT) | instid1(VALU_DEP_1)
	v_add_f32_e32 v2, v2, v3
	v_dual_add_f32 v1, v1, v143 :: v_dual_add_f32 v2, v2, v4
	s_delay_alu instid0(VALU_DEP_1) | instskip(NEXT) | instid1(VALU_DEP_1)
	v_add_f32_e32 v1, v1, v144
	v_add_f32_e32 v1, v1, v145
	s_delay_alu instid0(VALU_DEP_1) | instskip(NEXT) | instid1(VALU_DEP_1)
	v_add_f32_e32 v1, v1, v146
	v_add_f32_e32 v3, v1, v147
	s_wait_loadcnt 0x0
	s_delay_alu instid0(VALU_DEP_1)
	v_dual_sub_f32 v1, v138, v2 :: v_dual_sub_f32 v2, v139, v3
	scratch_store_b64 off, v[1:2], off offset:288
	v_cmpx_lt_u32_e32 35, v0
	s_cbranch_execz .LBB110_225
; %bb.224:
	scratch_load_b64 v[1:2], off, off offset:280
	v_mov_b32_e32 v3, 0
	s_delay_alu instid0(VALU_DEP_1)
	v_mov_b32_e32 v4, v3
	scratch_store_b64 off, v[3:4], off offset:280
	s_wait_loadcnt 0x0
	ds_store_b64 v23, v[1:2]
.LBB110_225:
	s_wait_alu 0xfffe
	s_or_b32 exec_lo, exec_lo, s0
	s_wait_storecnt_dscnt 0x0
	s_barrier_signal -1
	s_barrier_wait -1
	global_inv scope:SCOPE_SE
	s_clause 0x6
	scratch_load_b128 v[2:5], off, off offset:288
	scratch_load_b128 v[6:9], off, off offset:304
	;; [unrolled: 1-line block ×5, first 2 shown]
	scratch_load_b64 v[138:139], off, off offset:368
	scratch_load_b64 v[140:141], off, off offset:280
	v_mov_b32_e32 v1, 0
	ds_load_b128 v[118:121], v1 offset:672
	ds_load_b128 v[122:125], v1 offset:688
	;; [unrolled: 1-line block ×5, first 2 shown]
	ds_load_b64 v[142:143], v1 offset:752
	s_mov_b32 s0, exec_lo
	s_wait_loadcnt_dscnt 0x605
	v_mul_f32_e32 v22, v118, v3
	v_dual_mul_f32 v3, v119, v3 :: v_dual_mul_f32 v144, v120, v5
	s_wait_loadcnt_dscnt 0x302
	v_dual_mul_f32 v145, v122, v7 :: v_dual_mul_f32 v150, v132, v17
	v_mul_f32_e32 v5, v121, v5
	s_delay_alu instid0(VALU_DEP_3) | instskip(SKIP_3) | instid1(VALU_DEP_3)
	v_fma_f32 v3, v118, v2, -v3
	s_wait_loadcnt_dscnt 0x100
	v_dual_mul_f32 v153, v142, v139 :: v_dual_fmac_f32 v22, v119, v2
	v_mul_f32_e32 v2, v123, v7
	v_dual_fmac_f32 v144, v121, v4 :: v_dual_add_f32 v3, 0, v3
	v_fma_f32 v4, v120, v4, -v5
	v_dual_mul_f32 v146, v124, v9 :: v_dual_mul_f32 v147, v126, v11
	v_add_f32_e32 v5, 0, v22
	v_fma_f32 v2, v122, v6, -v2
	s_delay_alu instid0(VALU_DEP_4) | instskip(SKIP_3) | instid1(VALU_DEP_4)
	v_add_f32_e32 v3, v3, v4
	v_mul_f32_e32 v7, v125, v9
	v_dual_fmac_f32 v146, v125, v8 :: v_dual_fmac_f32 v145, v123, v6
	v_add_f32_e32 v4, v5, v144
	v_add_f32_e32 v2, v3, v2
	s_delay_alu instid0(VALU_DEP_4)
	v_fma_f32 v6, v124, v8, -v7
	v_dual_mul_f32 v5, v127, v11 :: v_dual_mul_f32 v148, v128, v13
	v_mul_f32_e32 v149, v130, v15
	v_add_f32_e32 v3, v4, v145
	v_mul_f32_e32 v4, v129, v13
	v_add_f32_e32 v2, v2, v6
	v_fma_f32 v5, v126, v10, -v5
	v_dual_fmac_f32 v147, v127, v10 :: v_dual_fmac_f32 v148, v129, v12
	v_mul_f32_e32 v6, v131, v15
	s_delay_alu instid0(VALU_DEP_3) | instskip(SKIP_2) | instid1(VALU_DEP_4)
	v_dual_add_f32 v3, v3, v146 :: v_dual_add_f32 v2, v2, v5
	v_fma_f32 v4, v128, v12, -v4
	v_mul_f32_e32 v5, v133, v17
	v_fma_f32 v6, v130, v14, -v6
	s_delay_alu instid0(VALU_DEP_4) | instskip(SKIP_3) | instid1(VALU_DEP_4)
	v_add_f32_e32 v3, v3, v147
	v_dual_mul_f32 v151, v134, v19 :: v_dual_mul_f32 v152, v136, v21
	v_dual_add_f32 v2, v2, v4 :: v_dual_fmac_f32 v149, v131, v14
	v_fmac_f32_e32 v150, v133, v16
	v_add_f32_e32 v3, v3, v148
	v_mul_f32_e32 v4, v135, v19
	v_fma_f32 v5, v132, v16, -v5
	v_add_f32_e32 v2, v2, v6
	v_dual_mul_f32 v6, v137, v21 :: v_dual_fmac_f32 v151, v135, v18
	v_dual_add_f32 v3, v3, v149 :: v_dual_fmac_f32 v152, v137, v20
	v_fma_f32 v4, v134, v18, -v4
	s_delay_alu instid0(VALU_DEP_4) | instskip(NEXT) | instid1(VALU_DEP_4)
	v_add_f32_e32 v2, v2, v5
	v_fma_f32 v6, v136, v20, -v6
	s_delay_alu instid0(VALU_DEP_4) | instskip(NEXT) | instid1(VALU_DEP_3)
	v_add_f32_e32 v3, v3, v150
	v_dual_mul_f32 v5, v143, v139 :: v_dual_add_f32 v2, v2, v4
	s_delay_alu instid0(VALU_DEP_2) | instskip(NEXT) | instid1(VALU_DEP_2)
	v_add_f32_e32 v3, v3, v151
	v_fma_f32 v4, v142, v138, -v5
	s_delay_alu instid0(VALU_DEP_3) | instskip(NEXT) | instid1(VALU_DEP_1)
	v_add_f32_e32 v2, v2, v6
	v_dual_fmac_f32 v153, v143, v138 :: v_dual_add_f32 v2, v2, v4
	s_wait_loadcnt 0x0
	s_delay_alu instid0(VALU_DEP_1) | instskip(NEXT) | instid1(VALU_DEP_1)
	v_dual_add_f32 v3, v3, v152 :: v_dual_sub_f32 v2, v140, v2
	v_add_f32_e32 v3, v3, v153
	s_delay_alu instid0(VALU_DEP_1)
	v_sub_f32_e32 v3, v141, v3
	scratch_store_b64 off, v[2:3], off offset:280
	v_cmpx_lt_u32_e32 34, v0
	s_cbranch_execz .LBB110_227
; %bb.226:
	scratch_load_b64 v[3:4], off, off offset:272
	v_mov_b32_e32 v2, v1
	scratch_store_b64 off, v[1:2], off offset:272
	s_wait_loadcnt 0x0
	ds_store_b64 v23, v[3:4]
.LBB110_227:
	s_wait_alu 0xfffe
	s_or_b32 exec_lo, exec_lo, s0
	s_wait_storecnt_dscnt 0x0
	s_barrier_signal -1
	s_barrier_wait -1
	global_inv scope:SCOPE_SE
	s_clause 0x6
	scratch_load_b128 v[2:5], off, off offset:280
	scratch_load_b128 v[6:9], off, off offset:296
	;; [unrolled: 1-line block ×6, first 2 shown]
	scratch_load_b64 v[146:147], off, off offset:272
	ds_load_2addr_b64 v[122:125], v1 offset0:83 offset1:84
	ds_load_2addr_b64 v[126:129], v1 offset0:85 offset1:86
	;; [unrolled: 1-line block ×6, first 2 shown]
	s_mov_b32 s0, exec_lo
	s_wait_loadcnt_dscnt 0x605
	v_dual_mul_f32 v1, v122, v3 :: v_dual_mul_f32 v22, v124, v5
	v_mul_f32_e32 v3, v123, v3
	s_wait_loadcnt_dscnt 0x504
	v_dual_mul_f32 v5, v125, v5 :: v_dual_mul_f32 v148, v126, v7
	s_delay_alu instid0(VALU_DEP_3) | instskip(NEXT) | instid1(VALU_DEP_3)
	v_dual_mul_f32 v149, v128, v9 :: v_dual_fmac_f32 v22, v125, v4
	v_fma_f32 v3, v122, v2, -v3
	v_fmac_f32_e32 v1, v123, v2
	v_mul_f32_e32 v2, v127, v7
	v_fma_f32 v4, v124, v4, -v5
	s_delay_alu instid0(VALU_DEP_4)
	v_dual_fmac_f32 v148, v127, v6 :: v_dual_add_f32 v3, 0, v3
	s_wait_loadcnt_dscnt 0x201
	v_dual_mul_f32 v154, v138, v19 :: v_dual_mul_f32 v155, v140, v21
	v_fma_f32 v2, v126, v6, -v2
	v_dual_mul_f32 v150, v130, v11 :: v_dual_mul_f32 v151, v132, v13
	v_add_f32_e32 v3, v3, v4
	v_dual_mul_f32 v5, v129, v9 :: v_dual_mul_f32 v152, v134, v15
	v_dual_mul_f32 v153, v136, v17 :: v_dual_mul_f32 v4, v131, v11
	s_delay_alu instid0(VALU_DEP_3) | instskip(NEXT) | instid1(VALU_DEP_3)
	v_add_f32_e32 v2, v3, v2
	v_fma_f32 v5, v128, v8, -v5
	v_dual_mul_f32 v3, v133, v13 :: v_dual_fmac_f32 v154, v139, v18
	s_delay_alu instid0(VALU_DEP_4) | instskip(SKIP_1) | instid1(VALU_DEP_4)
	v_fma_f32 v4, v130, v10, -v4
	v_dual_fmac_f32 v149, v129, v8 :: v_dual_fmac_f32 v150, v131, v10
	v_add_f32_e32 v2, v2, v5
	v_add_f32_e32 v1, 0, v1
	v_fma_f32 v3, v132, v12, -v3
	v_fmac_f32_e32 v152, v135, v14
	s_wait_loadcnt_dscnt 0x100
	v_dual_mul_f32 v156, v142, v119 :: v_dual_mul_f32 v157, v144, v121
	v_dual_add_f32 v1, v1, v22 :: v_dual_add_f32 v2, v2, v4
	v_mul_f32_e32 v4, v137, v17
	v_fmac_f32_e32 v155, v141, v20
	s_delay_alu instid0(VALU_DEP_4) | instskip(NEXT) | instid1(VALU_DEP_4)
	v_fmac_f32_e32 v157, v145, v120
	v_dual_add_f32 v1, v1, v148 :: v_dual_add_f32 v2, v2, v3
	s_delay_alu instid0(VALU_DEP_4) | instskip(SKIP_1) | instid1(VALU_DEP_3)
	v_fma_f32 v4, v136, v16, -v4
	v_mul_f32_e32 v5, v135, v15
	v_dual_fmac_f32 v156, v143, v118 :: v_dual_add_f32 v1, v1, v149
	s_delay_alu instid0(VALU_DEP_2) | instskip(SKIP_1) | instid1(VALU_DEP_2)
	v_fma_f32 v5, v134, v14, -v5
	v_fmac_f32_e32 v151, v133, v12
	v_dual_add_f32 v1, v1, v150 :: v_dual_add_f32 v2, v2, v5
	s_delay_alu instid0(VALU_DEP_1) | instskip(SKIP_1) | instid1(VALU_DEP_3)
	v_add_f32_e32 v2, v2, v4
	v_mul_f32_e32 v4, v143, v119
	v_add_f32_e32 v1, v1, v151
	s_delay_alu instid0(VALU_DEP_2) | instskip(SKIP_1) | instid1(VALU_DEP_1)
	v_fma_f32 v4, v142, v118, -v4
	v_mul_f32_e32 v5, v141, v21
	v_fma_f32 v5, v140, v20, -v5
	v_mul_f32_e32 v3, v139, v19
	s_delay_alu instid0(VALU_DEP_1) | instskip(NEXT) | instid1(VALU_DEP_1)
	v_fma_f32 v3, v138, v18, -v3
	v_dual_fmac_f32 v153, v137, v16 :: v_dual_add_f32 v2, v2, v3
	v_mul_f32_e32 v3, v145, v121
	s_delay_alu instid0(VALU_DEP_2) | instskip(NEXT) | instid1(VALU_DEP_2)
	v_add_f32_e32 v2, v2, v5
	v_fma_f32 v3, v144, v120, -v3
	s_delay_alu instid0(VALU_DEP_2) | instskip(NEXT) | instid1(VALU_DEP_1)
	v_add_f32_e32 v2, v2, v4
	v_dual_add_f32 v1, v1, v152 :: v_dual_add_f32 v2, v2, v3
	s_delay_alu instid0(VALU_DEP_1) | instskip(NEXT) | instid1(VALU_DEP_1)
	v_add_f32_e32 v1, v1, v153
	v_add_f32_e32 v1, v1, v154
	s_delay_alu instid0(VALU_DEP_1) | instskip(NEXT) | instid1(VALU_DEP_1)
	v_add_f32_e32 v1, v1, v155
	v_add_f32_e32 v1, v1, v156
	s_delay_alu instid0(VALU_DEP_1) | instskip(SKIP_1) | instid1(VALU_DEP_1)
	v_add_f32_e32 v3, v1, v157
	s_wait_loadcnt 0x0
	v_dual_sub_f32 v1, v146, v2 :: v_dual_sub_f32 v2, v147, v3
	scratch_store_b64 off, v[1:2], off offset:272
	v_cmpx_lt_u32_e32 33, v0
	s_cbranch_execz .LBB110_229
; %bb.228:
	scratch_load_b64 v[1:2], off, off offset:264
	v_mov_b32_e32 v3, 0
	s_delay_alu instid0(VALU_DEP_1)
	v_mov_b32_e32 v4, v3
	scratch_store_b64 off, v[3:4], off offset:264
	s_wait_loadcnt 0x0
	ds_store_b64 v23, v[1:2]
.LBB110_229:
	s_wait_alu 0xfffe
	s_or_b32 exec_lo, exec_lo, s0
	s_wait_storecnt_dscnt 0x0
	s_barrier_signal -1
	s_barrier_wait -1
	global_inv scope:SCOPE_SE
	s_clause 0x7
	scratch_load_b128 v[2:5], off, off offset:272
	scratch_load_b128 v[6:9], off, off offset:288
	;; [unrolled: 1-line block ×6, first 2 shown]
	scratch_load_b64 v[146:147], off, off offset:368
	scratch_load_b64 v[148:149], off, off offset:264
	v_mov_b32_e32 v1, 0
	ds_load_b128 v[122:125], v1 offset:656
	ds_load_b128 v[126:129], v1 offset:672
	;; [unrolled: 1-line block ×6, first 2 shown]
	ds_load_b64 v[150:151], v1 offset:752
	s_mov_b32 s0, exec_lo
	s_wait_loadcnt_dscnt 0x706
	v_mul_f32_e32 v22, v122, v3
	v_dual_mul_f32 v3, v123, v3 :: v_dual_mul_f32 v152, v124, v5
	s_wait_loadcnt_dscnt 0x302
	v_dual_mul_f32 v153, v126, v7 :: v_dual_mul_f32 v160, v140, v21
	v_mul_f32_e32 v5, v125, v5
	s_wait_loadcnt_dscnt 0x100
	v_dual_mul_f32 v163, v150, v147 :: v_dual_fmac_f32 v22, v123, v2
	v_fma_f32 v3, v122, v2, -v3
	v_dual_mul_f32 v154, v128, v9 :: v_dual_mul_f32 v155, v130, v11
	v_mul_f32_e32 v2, v127, v7
	s_delay_alu instid0(VALU_DEP_3) | instskip(SKIP_1) | instid1(VALU_DEP_4)
	v_dual_fmac_f32 v152, v125, v4 :: v_dual_add_f32 v3, 0, v3
	v_fma_f32 v4, v124, v4, -v5
	v_dual_add_f32 v5, 0, v22 :: v_dual_fmac_f32 v154, v129, v8
	v_fmac_f32_e32 v153, v127, v6
	v_fma_f32 v2, v126, v6, -v2
	s_delay_alu instid0(VALU_DEP_4) | instskip(SKIP_3) | instid1(VALU_DEP_4)
	v_add_f32_e32 v3, v3, v4
	v_mul_f32_e32 v7, v129, v9
	v_add_f32_e32 v4, v5, v152
	v_dual_mul_f32 v156, v132, v13 :: v_dual_mul_f32 v157, v134, v15
	v_add_f32_e32 v2, v3, v2
	s_delay_alu instid0(VALU_DEP_4)
	v_fma_f32 v6, v128, v8, -v7
	v_mul_f32_e32 v5, v131, v11
	v_add_f32_e32 v3, v4, v153
	v_dual_mul_f32 v4, v133, v13 :: v_dual_fmac_f32 v155, v131, v10
	v_fmac_f32_e32 v156, v133, v12
	v_add_f32_e32 v2, v2, v6
	v_fma_f32 v5, v130, v10, -v5
	v_mul_f32_e32 v6, v135, v15
	v_add_f32_e32 v3, v3, v154
	v_fma_f32 v4, v132, v12, -v4
	v_dual_mul_f32 v158, v136, v17 :: v_dual_mul_f32 v159, v138, v19
	s_delay_alu instid0(VALU_DEP_3) | instskip(SKIP_1) | instid1(VALU_DEP_3)
	v_dual_add_f32 v2, v2, v5 :: v_dual_add_f32 v3, v3, v155
	v_mul_f32_e32 v5, v137, v17
	v_dual_fmac_f32 v157, v135, v14 :: v_dual_fmac_f32 v158, v137, v16
	v_fma_f32 v6, v134, v14, -v6
	s_delay_alu instid0(VALU_DEP_4) | instskip(SKIP_4) | instid1(VALU_DEP_4)
	v_add_f32_e32 v2, v2, v4
	v_add_f32_e32 v3, v3, v156
	v_mul_f32_e32 v4, v139, v19
	v_fma_f32 v5, v136, v16, -v5
	v_fmac_f32_e32 v159, v139, v18
	v_dual_add_f32 v2, v2, v6 :: v_dual_add_f32 v3, v3, v157
	v_fmac_f32_e32 v160, v141, v20
	v_mul_f32_e32 v6, v141, v21
	v_fma_f32 v4, v138, v18, -v4
	s_delay_alu instid0(VALU_DEP_4) | instskip(SKIP_1) | instid1(VALU_DEP_2)
	v_dual_add_f32 v2, v2, v5 :: v_dual_add_f32 v3, v3, v158
	v_dual_mul_f32 v161, v142, v119 :: v_dual_mul_f32 v162, v144, v121
	v_dual_mul_f32 v5, v143, v119 :: v_dual_add_f32 v2, v2, v4
	v_fma_f32 v6, v140, v20, -v6
	s_delay_alu instid0(VALU_DEP_4) | instskip(NEXT) | instid1(VALU_DEP_4)
	v_dual_add_f32 v3, v3, v159 :: v_dual_mul_f32 v4, v145, v121
	v_dual_fmac_f32 v161, v143, v118 :: v_dual_fmac_f32 v162, v145, v120
	s_delay_alu instid0(VALU_DEP_4) | instskip(NEXT) | instid1(VALU_DEP_3)
	v_fma_f32 v5, v142, v118, -v5
	v_dual_add_f32 v2, v2, v6 :: v_dual_add_f32 v3, v3, v160
	v_mul_f32_e32 v6, v151, v147
	v_fma_f32 v4, v144, v120, -v4
	s_delay_alu instid0(VALU_DEP_3) | instskip(NEXT) | instid1(VALU_DEP_4)
	v_dual_fmac_f32 v163, v151, v146 :: v_dual_add_f32 v2, v2, v5
	v_add_f32_e32 v3, v3, v161
	s_delay_alu instid0(VALU_DEP_4) | instskip(NEXT) | instid1(VALU_DEP_2)
	v_fma_f32 v5, v150, v146, -v6
	v_dual_add_f32 v2, v2, v4 :: v_dual_add_f32 v3, v3, v162
	s_delay_alu instid0(VALU_DEP_1) | instskip(SKIP_1) | instid1(VALU_DEP_1)
	v_dual_add_f32 v2, v2, v5 :: v_dual_add_f32 v3, v3, v163
	s_wait_loadcnt 0x0
	v_dual_sub_f32 v2, v148, v2 :: v_dual_sub_f32 v3, v149, v3
	scratch_store_b64 off, v[2:3], off offset:264
	v_cmpx_lt_u32_e32 32, v0
	s_cbranch_execz .LBB110_231
; %bb.230:
	scratch_load_b64 v[3:4], off, off offset:256
	v_mov_b32_e32 v2, v1
	scratch_store_b64 off, v[1:2], off offset:256
	s_wait_loadcnt 0x0
	ds_store_b64 v23, v[3:4]
.LBB110_231:
	s_wait_alu 0xfffe
	s_or_b32 exec_lo, exec_lo, s0
	s_wait_storecnt_dscnt 0x0
	s_barrier_signal -1
	s_barrier_wait -1
	global_inv scope:SCOPE_SE
	s_clause 0x7
	scratch_load_b128 v[2:5], off, off offset:264
	scratch_load_b128 v[6:9], off, off offset:280
	;; [unrolled: 1-line block ×7, first 2 shown]
	scratch_load_b64 v[154:155], off, off offset:256
	ds_load_2addr_b64 v[126:129], v1 offset0:81 offset1:82
	ds_load_2addr_b64 v[130:133], v1 offset0:83 offset1:84
	;; [unrolled: 1-line block ×7, first 2 shown]
	s_mov_b32 s0, exec_lo
	s_wait_loadcnt_dscnt 0x706
	v_dual_mul_f32 v1, v126, v3 :: v_dual_mul_f32 v22, v128, v5
	v_mul_f32_e32 v3, v127, v3
	s_wait_loadcnt_dscnt 0x605
	v_dual_mul_f32 v5, v129, v5 :: v_dual_mul_f32 v156, v130, v7
	s_delay_alu instid0(VALU_DEP_3) | instskip(NEXT) | instid1(VALU_DEP_3)
	v_dual_mul_f32 v157, v132, v9 :: v_dual_fmac_f32 v22, v129, v4
	v_fma_f32 v3, v126, v2, -v3
	v_fmac_f32_e32 v1, v127, v2
	v_mul_f32_e32 v2, v131, v7
	v_fma_f32 v4, v128, v4, -v5
	s_delay_alu instid0(VALU_DEP_4)
	v_dual_fmac_f32 v156, v131, v6 :: v_dual_add_f32 v3, 0, v3
	s_wait_loadcnt_dscnt 0x302
	v_dual_mul_f32 v162, v142, v19 :: v_dual_mul_f32 v163, v144, v21
	v_fma_f32 v2, v130, v6, -v2
	v_dual_mul_f32 v158, v134, v11 :: v_dual_mul_f32 v159, v136, v13
	v_add_f32_e32 v3, v3, v4
	v_dual_mul_f32 v5, v133, v9 :: v_dual_mul_f32 v160, v138, v15
	v_dual_mul_f32 v161, v140, v17 :: v_dual_mul_f32 v4, v135, v11
	s_delay_alu instid0(VALU_DEP_3) | instskip(NEXT) | instid1(VALU_DEP_3)
	v_add_f32_e32 v2, v3, v2
	v_fma_f32 v5, v132, v8, -v5
	v_dual_mul_f32 v3, v137, v13 :: v_dual_fmac_f32 v162, v143, v18
	s_delay_alu instid0(VALU_DEP_4) | instskip(SKIP_1) | instid1(VALU_DEP_4)
	v_fma_f32 v4, v134, v10, -v4
	v_dual_fmac_f32 v157, v133, v8 :: v_dual_fmac_f32 v158, v135, v10
	v_add_f32_e32 v2, v2, v5
	v_add_f32_e32 v1, 0, v1
	v_fma_f32 v3, v136, v12, -v3
	v_fmac_f32_e32 v160, v139, v14
	s_wait_loadcnt_dscnt 0x201
	v_dual_mul_f32 v164, v146, v119 :: v_dual_mul_f32 v165, v148, v121
	v_dual_add_f32 v1, v1, v22 :: v_dual_add_f32 v2, v2, v4
	v_mul_f32_e32 v4, v141, v17
	s_wait_loadcnt_dscnt 0x100
	v_dual_mul_f32 v166, v150, v123 :: v_dual_mul_f32 v167, v152, v125
	s_delay_alu instid0(VALU_DEP_3) | instskip(NEXT) | instid1(VALU_DEP_3)
	v_dual_add_f32 v1, v1, v156 :: v_dual_add_f32 v2, v2, v3
	v_fma_f32 v4, v140, v16, -v4
	v_mul_f32_e32 v5, v139, v15
	v_fmac_f32_e32 v165, v149, v120
	s_delay_alu instid0(VALU_DEP_4) | instskip(SKIP_1) | instid1(VALU_DEP_4)
	v_add_f32_e32 v1, v1, v157
	v_dual_fmac_f32 v167, v153, v124 :: v_dual_fmac_f32 v164, v147, v118
	v_fma_f32 v5, v138, v14, -v5
	v_fmac_f32_e32 v159, v137, v12
	s_delay_alu instid0(VALU_DEP_4) | instskip(SKIP_1) | instid1(VALU_DEP_4)
	v_add_f32_e32 v1, v1, v158
	v_fmac_f32_e32 v166, v151, v122
	v_add_f32_e32 v2, v2, v5
	s_delay_alu instid0(VALU_DEP_1) | instskip(SKIP_2) | instid1(VALU_DEP_2)
	v_add_f32_e32 v2, v2, v4
	v_mul_f32_e32 v4, v147, v119
	v_add_f32_e32 v1, v1, v159
	v_fma_f32 v4, v146, v118, -v4
	v_mul_f32_e32 v5, v145, v21
	s_delay_alu instid0(VALU_DEP_3) | instskip(NEXT) | instid1(VALU_DEP_2)
	v_add_f32_e32 v1, v1, v160
	v_fma_f32 v5, v144, v20, -v5
	v_mul_f32_e32 v3, v143, v19
	s_delay_alu instid0(VALU_DEP_1) | instskip(NEXT) | instid1(VALU_DEP_1)
	v_fma_f32 v3, v142, v18, -v3
	v_dual_fmac_f32 v161, v141, v16 :: v_dual_add_f32 v2, v2, v3
	v_mul_f32_e32 v3, v149, v121
	s_delay_alu instid0(VALU_DEP_2) | instskip(NEXT) | instid1(VALU_DEP_2)
	v_dual_add_f32 v2, v2, v5 :: v_dual_mul_f32 v5, v151, v123
	v_fma_f32 v3, v148, v120, -v3
	s_delay_alu instid0(VALU_DEP_2) | instskip(SKIP_1) | instid1(VALU_DEP_4)
	v_dual_add_f32 v2, v2, v4 :: v_dual_add_f32 v1, v1, v161
	v_mul_f32_e32 v4, v153, v125
	v_fma_f32 v5, v150, v122, -v5
	s_delay_alu instid0(VALU_DEP_3) | instskip(NEXT) | instid1(VALU_DEP_3)
	v_dual_add_f32 v2, v2, v3 :: v_dual_fmac_f32 v163, v145, v20
	v_fma_f32 v3, v152, v124, -v4
	s_delay_alu instid0(VALU_DEP_2) | instskip(NEXT) | instid1(VALU_DEP_1)
	v_dual_add_f32 v2, v2, v5 :: v_dual_add_f32 v1, v1, v162
	v_add_f32_e32 v2, v2, v3
	s_delay_alu instid0(VALU_DEP_2) | instskip(NEXT) | instid1(VALU_DEP_1)
	v_add_f32_e32 v1, v1, v163
	v_add_f32_e32 v1, v1, v164
	s_delay_alu instid0(VALU_DEP_1) | instskip(NEXT) | instid1(VALU_DEP_1)
	v_add_f32_e32 v1, v1, v165
	v_add_f32_e32 v1, v1, v166
	s_delay_alu instid0(VALU_DEP_1) | instskip(SKIP_1) | instid1(VALU_DEP_1)
	v_add_f32_e32 v3, v1, v167
	s_wait_loadcnt 0x0
	v_dual_sub_f32 v1, v154, v2 :: v_dual_sub_f32 v2, v155, v3
	scratch_store_b64 off, v[1:2], off offset:256
	v_cmpx_lt_u32_e32 31, v0
	s_cbranch_execz .LBB110_233
; %bb.232:
	scratch_load_b64 v[1:2], off, off offset:248
	v_mov_b32_e32 v3, 0
	s_delay_alu instid0(VALU_DEP_1)
	v_mov_b32_e32 v4, v3
	scratch_store_b64 off, v[3:4], off offset:248
	s_wait_loadcnt 0x0
	ds_store_b64 v23, v[1:2]
.LBB110_233:
	s_wait_alu 0xfffe
	s_or_b32 exec_lo, exec_lo, s0
	s_wait_storecnt_dscnt 0x0
	s_barrier_signal -1
	s_barrier_wait -1
	global_inv scope:SCOPE_SE
	s_clause 0x8
	scratch_load_b128 v[2:5], off, off offset:256
	scratch_load_b128 v[6:9], off, off offset:272
	;; [unrolled: 1-line block ×7, first 2 shown]
	scratch_load_b64 v[154:155], off, off offset:368
	scratch_load_b64 v[156:157], off, off offset:248
	v_mov_b32_e32 v1, 0
	ds_load_b128 v[126:129], v1 offset:640
	ds_load_b128 v[130:133], v1 offset:656
	;; [unrolled: 1-line block ×7, first 2 shown]
	ds_load_b64 v[158:159], v1 offset:752
	s_mov_b32 s0, exec_lo
	s_wait_loadcnt_dscnt 0x807
	v_mul_f32_e32 v22, v126, v3
	v_dual_mul_f32 v3, v127, v3 :: v_dual_mul_f32 v160, v128, v5
	s_wait_loadcnt_dscnt 0x706
	v_mul_f32_e32 v161, v130, v7
	v_mul_f32_e32 v5, v129, v5
	s_wait_loadcnt_dscnt 0x302
	v_mul_f32_e32 v170, v148, v121
	v_fma_f32 v3, v126, v2, -v3
	s_wait_loadcnt_dscnt 0x100
	v_dual_mul_f32 v173, v158, v155 :: v_dual_fmac_f32 v22, v127, v2
	v_mul_f32_e32 v2, v131, v7
	s_delay_alu instid0(VALU_DEP_3) | instskip(SKIP_4) | instid1(VALU_DEP_4)
	v_dual_fmac_f32 v160, v129, v4 :: v_dual_add_f32 v3, 0, v3
	v_fma_f32 v4, v128, v4, -v5
	v_dual_mul_f32 v162, v132, v9 :: v_dual_mul_f32 v163, v134, v11
	v_add_f32_e32 v5, 0, v22
	v_fma_f32 v2, v130, v6, -v2
	v_add_f32_e32 v3, v3, v4
	v_mul_f32_e32 v7, v133, v9
	v_dual_fmac_f32 v162, v133, v8 :: v_dual_fmac_f32 v161, v131, v6
	v_add_f32_e32 v4, v5, v160
	s_delay_alu instid0(VALU_DEP_4) | instskip(NEXT) | instid1(VALU_DEP_4)
	v_add_f32_e32 v2, v3, v2
	v_fma_f32 v6, v132, v8, -v7
	v_dual_mul_f32 v5, v135, v11 :: v_dual_mul_f32 v164, v136, v13
	v_mul_f32_e32 v165, v138, v15
	v_add_f32_e32 v3, v4, v161
	v_mul_f32_e32 v4, v137, v13
	v_add_f32_e32 v2, v2, v6
	v_fma_f32 v5, v134, v10, -v5
	v_dual_fmac_f32 v163, v135, v10 :: v_dual_fmac_f32 v164, v137, v12
	v_mul_f32_e32 v6, v139, v15
	s_delay_alu instid0(VALU_DEP_3) | instskip(SKIP_2) | instid1(VALU_DEP_4)
	v_dual_add_f32 v3, v3, v162 :: v_dual_add_f32 v2, v2, v5
	v_fma_f32 v4, v136, v12, -v4
	v_mul_f32_e32 v5, v141, v17
	v_fma_f32 v6, v138, v14, -v6
	s_delay_alu instid0(VALU_DEP_4) | instskip(SKIP_3) | instid1(VALU_DEP_4)
	v_dual_add_f32 v3, v3, v163 :: v_dual_mul_f32 v166, v140, v17
	v_mul_f32_e32 v167, v142, v19
	v_add_f32_e32 v2, v2, v4
	v_dual_mul_f32 v168, v144, v21 :: v_dual_mul_f32 v169, v146, v119
	v_dual_fmac_f32 v165, v139, v14 :: v_dual_fmac_f32 v166, v141, v16
	s_delay_alu instid0(VALU_DEP_3) | instskip(SKIP_3) | instid1(VALU_DEP_4)
	v_dual_add_f32 v3, v3, v164 :: v_dual_add_f32 v2, v2, v6
	v_mul_f32_e32 v4, v143, v19
	v_fma_f32 v5, v140, v16, -v5
	v_dual_mul_f32 v6, v145, v21 :: v_dual_fmac_f32 v167, v143, v18
	v_dual_add_f32 v3, v3, v165 :: v_dual_fmac_f32 v168, v145, v20
	s_delay_alu instid0(VALU_DEP_4) | instskip(NEXT) | instid1(VALU_DEP_4)
	v_fma_f32 v4, v142, v18, -v4
	v_add_f32_e32 v2, v2, v5
	s_delay_alu instid0(VALU_DEP_4) | instskip(NEXT) | instid1(VALU_DEP_4)
	v_fma_f32 v6, v144, v20, -v6
	v_add_f32_e32 v3, v3, v166
	v_mul_f32_e32 v5, v147, v119
	v_dual_mul_f32 v171, v150, v123 :: v_dual_mul_f32 v172, v152, v125
	s_delay_alu instid0(VALU_DEP_3) | instskip(SKIP_1) | instid1(VALU_DEP_4)
	v_dual_add_f32 v2, v2, v4 :: v_dual_add_f32 v3, v3, v167
	v_mul_f32_e32 v4, v149, v121
	v_fma_f32 v5, v146, v118, -v5
	v_dual_fmac_f32 v169, v147, v118 :: v_dual_fmac_f32 v170, v149, v120
	s_delay_alu instid0(VALU_DEP_4) | instskip(SKIP_2) | instid1(VALU_DEP_3)
	v_dual_add_f32 v2, v2, v6 :: v_dual_add_f32 v3, v3, v168
	v_mul_f32_e32 v6, v151, v123
	v_fma_f32 v4, v148, v120, -v4
	v_dual_fmac_f32 v171, v151, v122 :: v_dual_add_f32 v2, v2, v5
	s_delay_alu instid0(VALU_DEP_4) | instskip(SKIP_3) | instid1(VALU_DEP_4)
	v_add_f32_e32 v3, v3, v169
	v_mul_f32_e32 v5, v153, v125
	v_fma_f32 v6, v150, v122, -v6
	v_fmac_f32_e32 v172, v153, v124
	v_dual_add_f32 v2, v2, v4 :: v_dual_add_f32 v3, v3, v170
	v_mul_f32_e32 v4, v159, v155
	v_fma_f32 v5, v152, v124, -v5
	s_delay_alu instid0(VALU_DEP_3) | instskip(SKIP_1) | instid1(VALU_DEP_4)
	v_dual_add_f32 v2, v2, v6 :: v_dual_add_f32 v3, v3, v171
	v_fmac_f32_e32 v173, v159, v154
	v_fma_f32 v4, v158, v154, -v4
	s_delay_alu instid0(VALU_DEP_3) | instskip(NEXT) | instid1(VALU_DEP_1)
	v_add_f32_e32 v2, v2, v5
	v_add_f32_e32 v2, v2, v4
	s_wait_loadcnt 0x0
	s_delay_alu instid0(VALU_DEP_1) | instskip(NEXT) | instid1(VALU_DEP_1)
	v_dual_add_f32 v3, v3, v172 :: v_dual_sub_f32 v2, v156, v2
	v_add_f32_e32 v3, v3, v173
	s_delay_alu instid0(VALU_DEP_1)
	v_sub_f32_e32 v3, v157, v3
	scratch_store_b64 off, v[2:3], off offset:248
	v_cmpx_lt_u32_e32 30, v0
	s_cbranch_execz .LBB110_235
; %bb.234:
	scratch_load_b64 v[3:4], off, off offset:240
	v_mov_b32_e32 v2, v1
	scratch_store_b64 off, v[1:2], off offset:240
	s_wait_loadcnt 0x0
	ds_store_b64 v23, v[3:4]
.LBB110_235:
	s_wait_alu 0xfffe
	s_or_b32 exec_lo, exec_lo, s0
	s_wait_storecnt_dscnt 0x0
	s_barrier_signal -1
	s_barrier_wait -1
	global_inv scope:SCOPE_SE
	s_clause 0x8
	scratch_load_b128 v[2:5], off, off offset:248
	scratch_load_b128 v[6:9], off, off offset:264
	;; [unrolled: 1-line block ×8, first 2 shown]
	scratch_load_b64 v[162:163], off, off offset:240
	ds_load_2addr_b64 v[130:133], v1 offset0:79 offset1:80
	ds_load_2addr_b64 v[134:137], v1 offset0:81 offset1:82
	;; [unrolled: 1-line block ×8, first 2 shown]
	s_mov_b32 s0, exec_lo
	s_wait_loadcnt_dscnt 0x807
	v_dual_mul_f32 v1, v130, v3 :: v_dual_mul_f32 v22, v132, v5
	v_mul_f32_e32 v3, v131, v3
	s_wait_loadcnt_dscnt 0x706
	v_dual_mul_f32 v5, v133, v5 :: v_dual_mul_f32 v164, v134, v7
	s_delay_alu instid0(VALU_DEP_3) | instskip(NEXT) | instid1(VALU_DEP_3)
	v_dual_mul_f32 v165, v136, v9 :: v_dual_fmac_f32 v22, v133, v4
	v_fma_f32 v3, v130, v2, -v3
	v_fmac_f32_e32 v1, v131, v2
	v_mul_f32_e32 v2, v135, v7
	v_fma_f32 v4, v132, v4, -v5
	s_delay_alu instid0(VALU_DEP_4)
	v_dual_fmac_f32 v164, v135, v6 :: v_dual_add_f32 v3, 0, v3
	s_wait_loadcnt_dscnt 0x403
	v_dual_mul_f32 v170, v146, v19 :: v_dual_mul_f32 v171, v148, v21
	v_fma_f32 v2, v134, v6, -v2
	v_dual_mul_f32 v166, v138, v11 :: v_dual_mul_f32 v167, v140, v13
	v_add_f32_e32 v3, v3, v4
	v_dual_mul_f32 v5, v137, v9 :: v_dual_mul_f32 v168, v142, v15
	v_dual_mul_f32 v169, v144, v17 :: v_dual_mul_f32 v4, v139, v11
	s_delay_alu instid0(VALU_DEP_3) | instskip(NEXT) | instid1(VALU_DEP_3)
	v_add_f32_e32 v2, v3, v2
	v_fma_f32 v5, v136, v8, -v5
	v_dual_mul_f32 v3, v141, v13 :: v_dual_fmac_f32 v170, v147, v18
	s_delay_alu instid0(VALU_DEP_4) | instskip(SKIP_1) | instid1(VALU_DEP_4)
	v_fma_f32 v4, v138, v10, -v4
	v_dual_fmac_f32 v165, v137, v8 :: v_dual_fmac_f32 v166, v139, v10
	v_add_f32_e32 v2, v2, v5
	v_add_f32_e32 v1, 0, v1
	v_fma_f32 v3, v140, v12, -v3
	v_fmac_f32_e32 v168, v143, v14
	s_wait_loadcnt_dscnt 0x302
	v_dual_mul_f32 v172, v150, v119 :: v_dual_mul_f32 v173, v152, v121
	v_dual_add_f32 v1, v1, v22 :: v_dual_add_f32 v2, v2, v4
	v_mul_f32_e32 v4, v145, v17
	s_wait_loadcnt_dscnt 0x100
	v_dual_mul_f32 v176, v158, v127 :: v_dual_mul_f32 v177, v160, v129
	s_delay_alu instid0(VALU_DEP_3) | instskip(NEXT) | instid1(VALU_DEP_3)
	v_dual_add_f32 v1, v1, v164 :: v_dual_add_f32 v2, v2, v3
	v_fma_f32 v4, v144, v16, -v4
	v_mul_f32_e32 v5, v143, v15
	v_dual_mul_f32 v174, v154, v123 :: v_dual_mul_f32 v175, v156, v125
	s_delay_alu instid0(VALU_DEP_4) | instskip(SKIP_1) | instid1(VALU_DEP_4)
	v_add_f32_e32 v1, v1, v165
	v_fmac_f32_e32 v177, v161, v128
	v_fma_f32 v5, v142, v14, -v5
	v_dual_fmac_f32 v167, v141, v12 :: v_dual_fmac_f32 v172, v151, v118
	s_delay_alu instid0(VALU_DEP_4) | instskip(NEXT) | instid1(VALU_DEP_3)
	v_add_f32_e32 v1, v1, v166
	v_dual_fmac_f32 v175, v157, v124 :: v_dual_add_f32 v2, v2, v5
	v_fmac_f32_e32 v174, v155, v122
	v_fmac_f32_e32 v176, v159, v126
	s_delay_alu instid0(VALU_DEP_3) | instskip(SKIP_2) | instid1(VALU_DEP_2)
	v_add_f32_e32 v2, v2, v4
	v_mul_f32_e32 v4, v151, v119
	v_add_f32_e32 v1, v1, v167
	v_fma_f32 v4, v150, v118, -v4
	v_mul_f32_e32 v5, v149, v21
	s_delay_alu instid0(VALU_DEP_3) | instskip(NEXT) | instid1(VALU_DEP_2)
	v_add_f32_e32 v1, v1, v168
	v_fma_f32 v5, v148, v20, -v5
	v_mul_f32_e32 v3, v147, v19
	s_delay_alu instid0(VALU_DEP_1) | instskip(NEXT) | instid1(VALU_DEP_1)
	v_fma_f32 v3, v146, v18, -v3
	v_dual_fmac_f32 v169, v145, v16 :: v_dual_add_f32 v2, v2, v3
	v_mul_f32_e32 v3, v153, v121
	s_delay_alu instid0(VALU_DEP_2) | instskip(NEXT) | instid1(VALU_DEP_2)
	v_dual_add_f32 v2, v2, v5 :: v_dual_mul_f32 v5, v155, v123
	v_fma_f32 v3, v152, v120, -v3
	s_delay_alu instid0(VALU_DEP_2) | instskip(SKIP_1) | instid1(VALU_DEP_4)
	v_dual_add_f32 v2, v2, v4 :: v_dual_add_f32 v1, v1, v169
	v_mul_f32_e32 v4, v157, v125
	v_fma_f32 v5, v154, v122, -v5
	s_delay_alu instid0(VALU_DEP_3) | instskip(SKIP_1) | instid1(VALU_DEP_4)
	v_dual_add_f32 v2, v2, v3 :: v_dual_fmac_f32 v171, v149, v20
	v_mul_f32_e32 v3, v159, v127
	v_fma_f32 v4, v156, v124, -v4
	s_delay_alu instid0(VALU_DEP_3) | instskip(SKIP_1) | instid1(VALU_DEP_4)
	v_dual_add_f32 v2, v2, v5 :: v_dual_add_f32 v1, v1, v170
	v_mul_f32_e32 v5, v161, v129
	v_fma_f32 v3, v158, v126, -v3
	s_delay_alu instid0(VALU_DEP_3) | instskip(SKIP_1) | instid1(VALU_DEP_4)
	v_add_f32_e32 v2, v2, v4
	v_fmac_f32_e32 v173, v153, v120
	v_fma_f32 v4, v160, v128, -v5
	s_delay_alu instid0(VALU_DEP_3) | instskip(NEXT) | instid1(VALU_DEP_1)
	v_add_f32_e32 v2, v2, v3
	v_dual_add_f32 v1, v1, v171 :: v_dual_add_f32 v2, v2, v4
	s_delay_alu instid0(VALU_DEP_1) | instskip(NEXT) | instid1(VALU_DEP_1)
	v_add_f32_e32 v1, v1, v172
	v_add_f32_e32 v1, v1, v173
	s_delay_alu instid0(VALU_DEP_1) | instskip(NEXT) | instid1(VALU_DEP_1)
	v_add_f32_e32 v1, v1, v174
	v_add_f32_e32 v1, v1, v175
	;; [unrolled: 3-line block ×3, first 2 shown]
	s_wait_loadcnt 0x0
	s_delay_alu instid0(VALU_DEP_1)
	v_dual_sub_f32 v1, v162, v2 :: v_dual_sub_f32 v2, v163, v3
	scratch_store_b64 off, v[1:2], off offset:240
	v_cmpx_lt_u32_e32 29, v0
	s_cbranch_execz .LBB110_237
; %bb.236:
	scratch_load_b64 v[1:2], off, off offset:232
	v_mov_b32_e32 v3, 0
	s_delay_alu instid0(VALU_DEP_1)
	v_mov_b32_e32 v4, v3
	scratch_store_b64 off, v[3:4], off offset:232
	s_wait_loadcnt 0x0
	ds_store_b64 v23, v[1:2]
.LBB110_237:
	s_wait_alu 0xfffe
	s_or_b32 exec_lo, exec_lo, s0
	s_wait_storecnt_dscnt 0x0
	s_barrier_signal -1
	s_barrier_wait -1
	global_inv scope:SCOPE_SE
	s_clause 0x9
	scratch_load_b128 v[2:5], off, off offset:240
	scratch_load_b128 v[6:9], off, off offset:256
	;; [unrolled: 1-line block ×8, first 2 shown]
	scratch_load_b64 v[162:163], off, off offset:368
	scratch_load_b64 v[164:165], off, off offset:232
	v_mov_b32_e32 v1, 0
	ds_load_b128 v[130:133], v1 offset:624
	ds_load_b128 v[134:137], v1 offset:640
	;; [unrolled: 1-line block ×8, first 2 shown]
	ds_load_b64 v[166:167], v1 offset:752
	s_mov_b32 s0, exec_lo
	s_wait_loadcnt_dscnt 0x908
	v_mul_f32_e32 v22, v130, v3
	s_wait_loadcnt_dscnt 0x807
	v_dual_mul_f32 v168, v132, v5 :: v_dual_mul_f32 v169, v134, v7
	v_mul_f32_e32 v3, v131, v3
	s_delay_alu instid0(VALU_DEP_3)
	v_dual_mul_f32 v5, v133, v5 :: v_dual_fmac_f32 v22, v131, v2
	s_wait_loadcnt_dscnt 0x302
	v_mul_f32_e32 v180, v156, v125
	v_dual_mul_f32 v170, v136, v9 :: v_dual_mul_f32 v171, v138, v11
	s_wait_loadcnt_dscnt 0x100
	v_mul_f32_e32 v183, v166, v163
	v_fma_f32 v3, v130, v2, -v3
	v_mul_f32_e32 v2, v135, v7
	v_fmac_f32_e32 v168, v133, v4
	v_fma_f32 v4, v132, v4, -v5
	v_dual_add_f32 v5, 0, v22 :: v_dual_fmac_f32 v170, v137, v8
	v_add_f32_e32 v3, 0, v3
	v_fmac_f32_e32 v169, v135, v6
	v_fma_f32 v2, v134, v6, -v2
	v_dual_mul_f32 v172, v140, v13 :: v_dual_mul_f32 v173, v142, v15
	s_delay_alu instid0(VALU_DEP_4) | instskip(SKIP_2) | instid1(VALU_DEP_4)
	v_add_f32_e32 v3, v3, v4
	v_mul_f32_e32 v7, v137, v9
	v_dual_add_f32 v4, v5, v168 :: v_dual_fmac_f32 v171, v139, v10
	v_fmac_f32_e32 v172, v141, v12
	s_delay_alu instid0(VALU_DEP_4) | instskip(NEXT) | instid1(VALU_DEP_4)
	v_add_f32_e32 v2, v3, v2
	v_fma_f32 v6, v136, v8, -v7
	v_mul_f32_e32 v5, v139, v11
	v_add_f32_e32 v3, v4, v169
	v_mul_f32_e32 v4, v141, v13
	v_dual_mul_f32 v174, v144, v17 :: v_dual_mul_f32 v175, v146, v19
	v_add_f32_e32 v2, v2, v6
	v_fma_f32 v5, v138, v10, -v5
	v_mul_f32_e32 v6, v143, v15
	v_add_f32_e32 v3, v3, v170
	v_fma_f32 v4, v140, v12, -v4
	v_dual_fmac_f32 v173, v143, v14 :: v_dual_fmac_f32 v174, v145, v16
	s_delay_alu instid0(VALU_DEP_3) | instskip(SKIP_3) | instid1(VALU_DEP_4)
	v_dual_add_f32 v2, v2, v5 :: v_dual_add_f32 v3, v3, v171
	v_mul_f32_e32 v5, v145, v17
	v_fma_f32 v6, v142, v14, -v6
	v_dual_mul_f32 v176, v148, v21 :: v_dual_mul_f32 v177, v150, v119
	v_add_f32_e32 v2, v2, v4
	v_add_f32_e32 v3, v3, v172
	v_mul_f32_e32 v4, v147, v19
	v_fma_f32 v5, v144, v16, -v5
	v_fmac_f32_e32 v175, v147, v18
	s_delay_alu instid0(VALU_DEP_4) | instskip(SKIP_3) | instid1(VALU_DEP_4)
	v_dual_add_f32 v2, v2, v6 :: v_dual_add_f32 v3, v3, v173
	v_fmac_f32_e32 v176, v149, v20
	v_mul_f32_e32 v6, v149, v21
	v_fma_f32 v4, v146, v18, -v4
	v_dual_add_f32 v2, v2, v5 :: v_dual_add_f32 v3, v3, v174
	v_mul_f32_e32 v5, v151, v119
	s_delay_alu instid0(VALU_DEP_4) | instskip(SKIP_1) | instid1(VALU_DEP_4)
	v_fma_f32 v6, v148, v20, -v6
	v_dual_mul_f32 v178, v152, v121 :: v_dual_mul_f32 v179, v154, v123
	v_dual_add_f32 v2, v2, v4 :: v_dual_add_f32 v3, v3, v175
	v_dual_mul_f32 v4, v153, v121 :: v_dual_fmac_f32 v177, v151, v118
	s_delay_alu instid0(VALU_DEP_3) | instskip(SKIP_1) | instid1(VALU_DEP_4)
	v_fmac_f32_e32 v178, v153, v120
	v_fma_f32 v5, v150, v118, -v5
	v_dual_add_f32 v2, v2, v6 :: v_dual_add_f32 v3, v3, v176
	v_mul_f32_e32 v6, v155, v123
	v_fma_f32 v4, v152, v120, -v4
	s_delay_alu instid0(VALU_DEP_3) | instskip(NEXT) | instid1(VALU_DEP_4)
	v_dual_fmac_f32 v179, v155, v122 :: v_dual_add_f32 v2, v2, v5
	v_add_f32_e32 v3, v3, v177
	v_mul_f32_e32 v5, v157, v125
	v_fma_f32 v6, v154, v122, -v6
	v_dual_mul_f32 v181, v158, v127 :: v_dual_mul_f32 v182, v160, v129
	s_delay_alu instid0(VALU_DEP_4) | instskip(SKIP_3) | instid1(VALU_DEP_4)
	v_dual_add_f32 v2, v2, v4 :: v_dual_add_f32 v3, v3, v178
	v_fmac_f32_e32 v180, v157, v124
	v_mul_f32_e32 v4, v159, v127
	v_fma_f32 v5, v156, v124, -v5
	v_dual_add_f32 v2, v2, v6 :: v_dual_add_f32 v3, v3, v179
	v_dual_mul_f32 v6, v161, v129 :: v_dual_fmac_f32 v181, v159, v126
	s_delay_alu instid0(VALU_DEP_4) | instskip(NEXT) | instid1(VALU_DEP_3)
	v_fma_f32 v4, v158, v126, -v4
	v_dual_add_f32 v2, v2, v5 :: v_dual_add_f32 v3, v3, v180
	v_dual_mul_f32 v5, v167, v163 :: v_dual_fmac_f32 v182, v161, v128
	s_delay_alu instid0(VALU_DEP_4) | instskip(NEXT) | instid1(VALU_DEP_3)
	v_fma_f32 v6, v160, v128, -v6
	v_dual_add_f32 v2, v2, v4 :: v_dual_add_f32 v3, v3, v181
	s_delay_alu instid0(VALU_DEP_3) | instskip(NEXT) | instid1(VALU_DEP_2)
	v_fma_f32 v4, v166, v162, -v5
	v_add_f32_e32 v3, v3, v182
	s_delay_alu instid0(VALU_DEP_3) | instskip(NEXT) | instid1(VALU_DEP_1)
	v_add_f32_e32 v2, v2, v6
	v_dual_fmac_f32 v183, v167, v162 :: v_dual_add_f32 v2, v2, v4
	s_wait_loadcnt 0x0
	s_delay_alu instid0(VALU_DEP_1) | instskip(NEXT) | instid1(VALU_DEP_1)
	v_dual_add_f32 v3, v3, v183 :: v_dual_sub_f32 v2, v164, v2
	v_sub_f32_e32 v3, v165, v3
	scratch_store_b64 off, v[2:3], off offset:232
	v_cmpx_lt_u32_e32 28, v0
	s_cbranch_execz .LBB110_239
; %bb.238:
	scratch_load_b64 v[3:4], off, off offset:224
	v_mov_b32_e32 v2, v1
	scratch_store_b64 off, v[1:2], off offset:224
	s_wait_loadcnt 0x0
	ds_store_b64 v23, v[3:4]
.LBB110_239:
	s_wait_alu 0xfffe
	s_or_b32 exec_lo, exec_lo, s0
	s_wait_storecnt_dscnt 0x0
	s_barrier_signal -1
	s_barrier_wait -1
	global_inv scope:SCOPE_SE
	s_clause 0x9
	scratch_load_b128 v[2:5], off, off offset:232
	scratch_load_b128 v[6:9], off, off offset:248
	;; [unrolled: 1-line block ×9, first 2 shown]
	scratch_load_b64 v[170:171], off, off offset:224
	ds_load_2addr_b64 v[134:137], v1 offset0:77 offset1:78
	ds_load_2addr_b64 v[138:141], v1 offset0:79 offset1:80
	;; [unrolled: 1-line block ×9, first 2 shown]
	s_mov_b32 s0, exec_lo
	s_wait_loadcnt_dscnt 0x908
	v_dual_mul_f32 v1, v134, v3 :: v_dual_mul_f32 v22, v136, v5
	v_mul_f32_e32 v3, v135, v3
	s_wait_loadcnt_dscnt 0x807
	v_dual_mul_f32 v5, v137, v5 :: v_dual_mul_f32 v172, v138, v7
	s_delay_alu instid0(VALU_DEP_3) | instskip(NEXT) | instid1(VALU_DEP_3)
	v_dual_mul_f32 v173, v140, v9 :: v_dual_fmac_f32 v22, v137, v4
	v_fma_f32 v3, v134, v2, -v3
	v_fmac_f32_e32 v1, v135, v2
	v_mul_f32_e32 v2, v139, v7
	v_fma_f32 v4, v136, v4, -v5
	s_delay_alu instid0(VALU_DEP_4)
	v_dual_fmac_f32 v172, v139, v6 :: v_dual_add_f32 v3, 0, v3
	s_wait_loadcnt_dscnt 0x504
	v_dual_mul_f32 v178, v150, v19 :: v_dual_mul_f32 v179, v152, v21
	v_fma_f32 v2, v138, v6, -v2
	v_dual_mul_f32 v174, v142, v11 :: v_dual_mul_f32 v175, v144, v13
	v_add_f32_e32 v3, v3, v4
	v_dual_mul_f32 v5, v141, v9 :: v_dual_mul_f32 v176, v146, v15
	v_dual_mul_f32 v177, v148, v17 :: v_dual_mul_f32 v4, v143, v11
	s_delay_alu instid0(VALU_DEP_3) | instskip(NEXT) | instid1(VALU_DEP_3)
	v_add_f32_e32 v2, v3, v2
	v_fma_f32 v5, v140, v8, -v5
	v_dual_mul_f32 v3, v145, v13 :: v_dual_fmac_f32 v178, v151, v18
	s_delay_alu instid0(VALU_DEP_4) | instskip(SKIP_1) | instid1(VALU_DEP_4)
	v_fma_f32 v4, v142, v10, -v4
	v_dual_fmac_f32 v173, v141, v8 :: v_dual_fmac_f32 v174, v143, v10
	v_add_f32_e32 v2, v2, v5
	v_add_f32_e32 v1, 0, v1
	v_fma_f32 v3, v144, v12, -v3
	v_fmac_f32_e32 v176, v147, v14
	s_wait_loadcnt_dscnt 0x403
	v_dual_mul_f32 v180, v154, v119 :: v_dual_mul_f32 v181, v156, v121
	v_dual_add_f32 v1, v1, v22 :: v_dual_add_f32 v2, v2, v4
	v_mul_f32_e32 v4, v149, v17
	s_wait_loadcnt_dscnt 0x201
	v_dual_mul_f32 v184, v162, v127 :: v_dual_mul_f32 v185, v164, v129
	s_delay_alu instid0(VALU_DEP_3) | instskip(NEXT) | instid1(VALU_DEP_3)
	v_dual_add_f32 v1, v1, v172 :: v_dual_add_f32 v2, v2, v3
	v_fma_f32 v4, v148, v16, -v4
	v_mul_f32_e32 v5, v147, v15
	v_dual_mul_f32 v182, v158, v123 :: v_dual_mul_f32 v183, v160, v125
	s_wait_loadcnt_dscnt 0x100
	v_dual_add_f32 v1, v1, v173 :: v_dual_mul_f32 v186, v166, v131
	v_mul_f32_e32 v187, v168, v133
	v_fma_f32 v5, v146, v14, -v5
	v_fmac_f32_e32 v175, v145, v12
	s_delay_alu instid0(VALU_DEP_4) | instskip(SKIP_1) | instid1(VALU_DEP_4)
	v_add_f32_e32 v1, v1, v174
	v_dual_fmac_f32 v180, v155, v118 :: v_dual_fmac_f32 v181, v157, v120
	v_add_f32_e32 v2, v2, v5
	v_dual_fmac_f32 v182, v159, v122 :: v_dual_fmac_f32 v185, v165, v128
	v_dual_fmac_f32 v187, v169, v132 :: v_dual_fmac_f32 v184, v163, v126
	s_delay_alu instid0(VALU_DEP_3) | instskip(SKIP_2) | instid1(VALU_DEP_2)
	v_add_f32_e32 v2, v2, v4
	v_mul_f32_e32 v4, v155, v119
	v_dual_add_f32 v1, v1, v175 :: v_dual_fmac_f32 v186, v167, v130
	v_fma_f32 v4, v154, v118, -v4
	v_mul_f32_e32 v5, v153, v21
	s_delay_alu instid0(VALU_DEP_3) | instskip(NEXT) | instid1(VALU_DEP_2)
	v_add_f32_e32 v1, v1, v176
	v_fma_f32 v5, v152, v20, -v5
	v_mul_f32_e32 v3, v151, v19
	s_delay_alu instid0(VALU_DEP_1) | instskip(NEXT) | instid1(VALU_DEP_1)
	v_fma_f32 v3, v150, v18, -v3
	v_dual_fmac_f32 v177, v149, v16 :: v_dual_add_f32 v2, v2, v3
	v_mul_f32_e32 v3, v157, v121
	s_delay_alu instid0(VALU_DEP_2) | instskip(NEXT) | instid1(VALU_DEP_2)
	v_dual_add_f32 v2, v2, v5 :: v_dual_mul_f32 v5, v159, v123
	v_fma_f32 v3, v156, v120, -v3
	s_delay_alu instid0(VALU_DEP_2) | instskip(SKIP_1) | instid1(VALU_DEP_4)
	v_dual_add_f32 v2, v2, v4 :: v_dual_add_f32 v1, v1, v177
	v_mul_f32_e32 v4, v161, v125
	v_fma_f32 v5, v158, v122, -v5
	s_delay_alu instid0(VALU_DEP_3) | instskip(NEXT) | instid1(VALU_DEP_3)
	v_dual_add_f32 v2, v2, v3 :: v_dual_fmac_f32 v179, v153, v20
	v_fma_f32 v4, v160, v124, -v4
	s_delay_alu instid0(VALU_DEP_2) | instskip(SKIP_1) | instid1(VALU_DEP_2)
	v_add_f32_e32 v2, v2, v5
	v_mul_f32_e32 v5, v165, v129
	v_dual_add_f32 v1, v1, v178 :: v_dual_add_f32 v2, v2, v4
	s_delay_alu instid0(VALU_DEP_2) | instskip(SKIP_1) | instid1(VALU_DEP_3)
	v_fma_f32 v5, v164, v128, -v5
	v_mul_f32_e32 v3, v163, v127
	v_add_f32_e32 v1, v1, v179
	v_mul_f32_e32 v4, v167, v131
	s_delay_alu instid0(VALU_DEP_3) | instskip(NEXT) | instid1(VALU_DEP_3)
	v_fma_f32 v3, v162, v126, -v3
	v_add_f32_e32 v1, v1, v180
	s_delay_alu instid0(VALU_DEP_3) | instskip(NEXT) | instid1(VALU_DEP_3)
	v_fma_f32 v4, v166, v130, -v4
	v_dual_add_f32 v2, v2, v3 :: v_dual_mul_f32 v3, v169, v133
	s_delay_alu instid0(VALU_DEP_1) | instskip(NEXT) | instid1(VALU_DEP_4)
	v_add_f32_e32 v2, v2, v5
	v_add_f32_e32 v1, v1, v181
	s_delay_alu instid0(VALU_DEP_3) | instskip(NEXT) | instid1(VALU_DEP_3)
	v_fma_f32 v3, v168, v132, -v3
	v_add_f32_e32 v2, v2, v4
	v_fmac_f32_e32 v183, v161, v124
	s_delay_alu instid0(VALU_DEP_2) | instskip(NEXT) | instid1(VALU_DEP_1)
	v_dual_add_f32 v1, v1, v182 :: v_dual_add_f32 v2, v2, v3
	v_add_f32_e32 v1, v1, v183
	s_delay_alu instid0(VALU_DEP_1) | instskip(NEXT) | instid1(VALU_DEP_1)
	v_add_f32_e32 v1, v1, v184
	v_add_f32_e32 v1, v1, v185
	s_delay_alu instid0(VALU_DEP_1) | instskip(NEXT) | instid1(VALU_DEP_1)
	v_add_f32_e32 v1, v1, v186
	v_add_f32_e32 v3, v1, v187
	s_wait_loadcnt 0x0
	s_delay_alu instid0(VALU_DEP_1)
	v_dual_sub_f32 v1, v170, v2 :: v_dual_sub_f32 v2, v171, v3
	scratch_store_b64 off, v[1:2], off offset:224
	v_cmpx_lt_u32_e32 27, v0
	s_cbranch_execz .LBB110_241
; %bb.240:
	scratch_load_b64 v[1:2], off, off offset:216
	v_mov_b32_e32 v3, 0
	s_delay_alu instid0(VALU_DEP_1)
	v_mov_b32_e32 v4, v3
	scratch_store_b64 off, v[3:4], off offset:216
	s_wait_loadcnt 0x0
	ds_store_b64 v23, v[1:2]
.LBB110_241:
	s_wait_alu 0xfffe
	s_or_b32 exec_lo, exec_lo, s0
	s_wait_storecnt_dscnt 0x0
	s_barrier_signal -1
	s_barrier_wait -1
	global_inv scope:SCOPE_SE
	s_clause 0xa
	scratch_load_b128 v[2:5], off, off offset:224
	scratch_load_b128 v[6:9], off, off offset:240
	;; [unrolled: 1-line block ×9, first 2 shown]
	scratch_load_b64 v[170:171], off, off offset:368
	scratch_load_b64 v[172:173], off, off offset:216
	v_mov_b32_e32 v1, 0
	ds_load_b128 v[134:137], v1 offset:608
	ds_load_b128 v[138:141], v1 offset:624
	;; [unrolled: 1-line block ×9, first 2 shown]
	ds_load_b64 v[174:175], v1 offset:752
	s_mov_b32 s0, exec_lo
	s_wait_loadcnt_dscnt 0xa09
	v_mul_f32_e32 v22, v134, v3
	s_wait_loadcnt_dscnt 0x908
	v_dual_mul_f32 v176, v136, v5 :: v_dual_mul_f32 v177, v138, v7
	v_mul_f32_e32 v3, v135, v3
	s_delay_alu instid0(VALU_DEP_3)
	v_dual_mul_f32 v5, v137, v5 :: v_dual_fmac_f32 v22, v135, v2
	s_wait_loadcnt_dscnt 0x807
	v_dual_mul_f32 v178, v140, v9 :: v_dual_mul_f32 v179, v142, v11
	s_wait_loadcnt_dscnt 0x100
	v_dual_mul_f32 v190, v164, v129 :: v_dual_mul_f32 v193, v174, v171
	v_fma_f32 v3, v134, v2, -v3
	v_mul_f32_e32 v2, v139, v7
	v_fmac_f32_e32 v176, v137, v4
	v_fma_f32 v4, v136, v4, -v5
	v_dual_add_f32 v5, 0, v22 :: v_dual_fmac_f32 v178, v141, v8
	v_add_f32_e32 v3, 0, v3
	v_fmac_f32_e32 v177, v139, v6
	v_fma_f32 v2, v138, v6, -v2
	v_dual_mul_f32 v180, v144, v13 :: v_dual_mul_f32 v181, v146, v15
	s_delay_alu instid0(VALU_DEP_4) | instskip(SKIP_2) | instid1(VALU_DEP_4)
	v_add_f32_e32 v3, v3, v4
	v_mul_f32_e32 v7, v141, v9
	v_dual_add_f32 v4, v5, v176 :: v_dual_fmac_f32 v179, v143, v10
	v_fmac_f32_e32 v180, v145, v12
	s_delay_alu instid0(VALU_DEP_4) | instskip(NEXT) | instid1(VALU_DEP_4)
	v_add_f32_e32 v2, v3, v2
	v_fma_f32 v6, v140, v8, -v7
	v_mul_f32_e32 v5, v143, v11
	v_add_f32_e32 v3, v4, v177
	v_mul_f32_e32 v4, v145, v13
	v_dual_mul_f32 v182, v148, v17 :: v_dual_mul_f32 v183, v150, v19
	v_add_f32_e32 v2, v2, v6
	v_fma_f32 v5, v142, v10, -v5
	v_mul_f32_e32 v6, v147, v15
	v_add_f32_e32 v3, v3, v178
	v_fma_f32 v4, v144, v12, -v4
	v_dual_fmac_f32 v181, v147, v14 :: v_dual_fmac_f32 v182, v149, v16
	s_delay_alu instid0(VALU_DEP_3) | instskip(SKIP_3) | instid1(VALU_DEP_4)
	v_dual_add_f32 v2, v2, v5 :: v_dual_add_f32 v3, v3, v179
	v_mul_f32_e32 v5, v149, v17
	v_fma_f32 v6, v146, v14, -v6
	v_dual_mul_f32 v184, v152, v21 :: v_dual_mul_f32 v185, v154, v119
	v_add_f32_e32 v2, v2, v4
	v_add_f32_e32 v3, v3, v180
	v_mul_f32_e32 v4, v151, v19
	v_fma_f32 v5, v148, v16, -v5
	v_fmac_f32_e32 v183, v151, v18
	s_delay_alu instid0(VALU_DEP_4) | instskip(SKIP_3) | instid1(VALU_DEP_4)
	v_dual_add_f32 v2, v2, v6 :: v_dual_add_f32 v3, v3, v181
	v_fmac_f32_e32 v184, v153, v20
	v_mul_f32_e32 v6, v153, v21
	v_fma_f32 v4, v150, v18, -v4
	v_dual_add_f32 v2, v2, v5 :: v_dual_add_f32 v3, v3, v182
	v_mul_f32_e32 v5, v155, v119
	s_delay_alu instid0(VALU_DEP_4) | instskip(SKIP_1) | instid1(VALU_DEP_4)
	v_fma_f32 v6, v152, v20, -v6
	v_dual_mul_f32 v186, v156, v121 :: v_dual_mul_f32 v187, v158, v123
	v_dual_add_f32 v2, v2, v4 :: v_dual_add_f32 v3, v3, v183
	v_dual_mul_f32 v4, v157, v121 :: v_dual_fmac_f32 v185, v155, v118
	s_delay_alu instid0(VALU_DEP_3) | instskip(SKIP_1) | instid1(VALU_DEP_4)
	v_fmac_f32_e32 v186, v157, v120
	v_fma_f32 v5, v154, v118, -v5
	v_dual_add_f32 v2, v2, v6 :: v_dual_add_f32 v3, v3, v184
	v_mul_f32_e32 v6, v159, v123
	v_fma_f32 v4, v156, v120, -v4
	s_delay_alu instid0(VALU_DEP_3) | instskip(NEXT) | instid1(VALU_DEP_4)
	v_dual_fmac_f32 v187, v159, v122 :: v_dual_add_f32 v2, v2, v5
	v_add_f32_e32 v3, v3, v185
	v_dual_mul_f32 v188, v160, v125 :: v_dual_mul_f32 v189, v162, v127
	v_mul_f32_e32 v5, v161, v125
	v_fma_f32 v6, v158, v122, -v6
	s_delay_alu instid0(VALU_DEP_4) | instskip(NEXT) | instid1(VALU_DEP_4)
	v_dual_add_f32 v2, v2, v4 :: v_dual_add_f32 v3, v3, v186
	v_fmac_f32_e32 v188, v161, v124
	v_mul_f32_e32 v4, v163, v127
	v_fma_f32 v5, v160, v124, -v5
	s_delay_alu instid0(VALU_DEP_4) | instskip(SKIP_1) | instid1(VALU_DEP_4)
	v_dual_add_f32 v2, v2, v6 :: v_dual_add_f32 v3, v3, v187
	v_dual_mul_f32 v6, v165, v129 :: v_dual_fmac_f32 v189, v163, v126
	v_fma_f32 v4, v162, v126, -v4
	s_delay_alu instid0(VALU_DEP_3) | instskip(SKIP_3) | instid1(VALU_DEP_4)
	v_dual_add_f32 v2, v2, v5 :: v_dual_add_f32 v3, v3, v188
	v_dual_mul_f32 v191, v166, v131 :: v_dual_mul_f32 v192, v168, v133
	v_dual_mul_f32 v5, v167, v131 :: v_dual_fmac_f32 v190, v165, v128
	v_fma_f32 v6, v164, v128, -v6
	v_dual_add_f32 v2, v2, v4 :: v_dual_add_f32 v3, v3, v189
	s_delay_alu instid0(VALU_DEP_4) | instskip(NEXT) | instid1(VALU_DEP_4)
	v_dual_mul_f32 v4, v169, v133 :: v_dual_fmac_f32 v191, v167, v130
	v_fma_f32 v5, v166, v130, -v5
	s_delay_alu instid0(VALU_DEP_3) | instskip(NEXT) | instid1(VALU_DEP_4)
	v_dual_fmac_f32 v192, v169, v132 :: v_dual_add_f32 v3, v3, v190
	v_add_f32_e32 v2, v2, v6
	v_mul_f32_e32 v6, v175, v171
	v_fma_f32 v4, v168, v132, -v4
	v_fmac_f32_e32 v193, v175, v170
	s_delay_alu instid0(VALU_DEP_4) | instskip(NEXT) | instid1(VALU_DEP_4)
	v_dual_add_f32 v3, v3, v191 :: v_dual_add_f32 v2, v2, v5
	v_fma_f32 v5, v174, v170, -v6
	s_delay_alu instid0(VALU_DEP_2) | instskip(NEXT) | instid1(VALU_DEP_1)
	v_add_f32_e32 v3, v3, v192
	v_dual_add_f32 v2, v2, v4 :: v_dual_add_f32 v3, v3, v193
	s_wait_loadcnt 0x0
	s_delay_alu instid0(VALU_DEP_1) | instskip(NEXT) | instid1(VALU_DEP_1)
	v_dual_add_f32 v2, v2, v5 :: v_dual_sub_f32 v3, v173, v3
	v_sub_f32_e32 v2, v172, v2
	scratch_store_b64 off, v[2:3], off offset:216
	v_cmpx_lt_u32_e32 26, v0
	s_cbranch_execz .LBB110_243
; %bb.242:
	scratch_load_b64 v[3:4], off, off offset:208
	v_mov_b32_e32 v2, v1
	scratch_store_b64 off, v[1:2], off offset:208
	s_wait_loadcnt 0x0
	ds_store_b64 v23, v[3:4]
.LBB110_243:
	s_wait_alu 0xfffe
	s_or_b32 exec_lo, exec_lo, s0
	s_wait_storecnt_dscnt 0x0
	s_barrier_signal -1
	s_barrier_wait -1
	global_inv scope:SCOPE_SE
	s_clause 0xa
	scratch_load_b128 v[2:5], off, off offset:216
	scratch_load_b128 v[6:9], off, off offset:232
	;; [unrolled: 1-line block ×10, first 2 shown]
	scratch_load_b64 v[178:179], off, off offset:208
	ds_load_2addr_b64 v[138:141], v1 offset0:75 offset1:76
	ds_load_2addr_b64 v[142:145], v1 offset0:77 offset1:78
	;; [unrolled: 1-line block ×10, first 2 shown]
	s_mov_b32 s0, exec_lo
	s_wait_loadcnt_dscnt 0xa09
	v_dual_mul_f32 v1, v138, v3 :: v_dual_mul_f32 v22, v140, v5
	v_mul_f32_e32 v3, v139, v3
	s_wait_loadcnt_dscnt 0x908
	v_dual_mul_f32 v5, v141, v5 :: v_dual_mul_f32 v180, v142, v7
	s_delay_alu instid0(VALU_DEP_3) | instskip(NEXT) | instid1(VALU_DEP_3)
	v_dual_mul_f32 v181, v144, v9 :: v_dual_fmac_f32 v22, v141, v4
	v_fma_f32 v3, v138, v2, -v3
	v_fmac_f32_e32 v1, v139, v2
	v_mul_f32_e32 v2, v143, v7
	v_fma_f32 v4, v140, v4, -v5
	s_delay_alu instid0(VALU_DEP_4)
	v_dual_fmac_f32 v180, v143, v6 :: v_dual_add_f32 v3, 0, v3
	s_wait_loadcnt_dscnt 0x605
	v_dual_mul_f32 v186, v154, v19 :: v_dual_mul_f32 v187, v156, v21
	v_fma_f32 v2, v142, v6, -v2
	v_dual_mul_f32 v182, v146, v11 :: v_dual_mul_f32 v183, v148, v13
	v_add_f32_e32 v3, v3, v4
	v_dual_mul_f32 v5, v145, v9 :: v_dual_mul_f32 v184, v150, v15
	v_dual_mul_f32 v185, v152, v17 :: v_dual_mul_f32 v4, v147, v11
	s_delay_alu instid0(VALU_DEP_3) | instskip(NEXT) | instid1(VALU_DEP_3)
	v_add_f32_e32 v2, v3, v2
	v_fma_f32 v5, v144, v8, -v5
	v_dual_mul_f32 v3, v149, v13 :: v_dual_fmac_f32 v186, v155, v18
	s_delay_alu instid0(VALU_DEP_4) | instskip(SKIP_1) | instid1(VALU_DEP_4)
	v_fma_f32 v4, v146, v10, -v4
	v_dual_fmac_f32 v181, v145, v8 :: v_dual_fmac_f32 v182, v147, v10
	v_add_f32_e32 v2, v2, v5
	v_add_f32_e32 v1, 0, v1
	v_fma_f32 v3, v148, v12, -v3
	v_fmac_f32_e32 v184, v151, v14
	s_wait_loadcnt_dscnt 0x504
	v_dual_mul_f32 v188, v158, v119 :: v_dual_mul_f32 v189, v160, v121
	v_dual_add_f32 v1, v1, v22 :: v_dual_add_f32 v2, v2, v4
	v_mul_f32_e32 v4, v153, v17
	s_wait_loadcnt_dscnt 0x302
	v_dual_mul_f32 v192, v166, v127 :: v_dual_mul_f32 v193, v168, v129
	s_delay_alu instid0(VALU_DEP_3) | instskip(NEXT) | instid1(VALU_DEP_3)
	v_dual_add_f32 v1, v1, v180 :: v_dual_add_f32 v2, v2, v3
	v_fma_f32 v4, v152, v16, -v4
	v_mul_f32_e32 v5, v151, v15
	v_dual_mul_f32 v190, v162, v123 :: v_dual_mul_f32 v191, v164, v125
	s_wait_loadcnt_dscnt 0x201
	v_dual_add_f32 v1, v1, v181 :: v_dual_mul_f32 v194, v170, v131
	v_mul_f32_e32 v195, v172, v133
	v_fma_f32 v5, v150, v14, -v5
	v_fmac_f32_e32 v183, v149, v12
	s_delay_alu instid0(VALU_DEP_4) | instskip(SKIP_1) | instid1(VALU_DEP_4)
	v_add_f32_e32 v1, v1, v182
	v_dual_fmac_f32 v188, v159, v118 :: v_dual_fmac_f32 v189, v161, v120
	v_add_f32_e32 v2, v2, v5
	v_fmac_f32_e32 v190, v163, v122
	s_wait_loadcnt_dscnt 0x100
	v_dual_mul_f32 v196, v174, v135 :: v_dual_mul_f32 v197, v176, v137
	v_fmac_f32_e32 v191, v165, v124
	v_add_f32_e32 v2, v2, v4
	v_mul_f32_e32 v4, v159, v119
	s_delay_alu instid0(VALU_DEP_4) | instskip(SKIP_2) | instid1(VALU_DEP_4)
	v_dual_add_f32 v1, v1, v183 :: v_dual_fmac_f32 v196, v175, v134
	v_fmac_f32_e32 v193, v169, v128
	v_fmac_f32_e32 v195, v173, v132
	v_fma_f32 v4, v158, v118, -v4
	v_mul_f32_e32 v5, v157, v21
	v_add_f32_e32 v1, v1, v184
	v_dual_fmac_f32 v197, v177, v136 :: v_dual_fmac_f32 v192, v167, v126
	v_fmac_f32_e32 v194, v171, v130
	s_delay_alu instid0(VALU_DEP_4) | instskip(SKIP_1) | instid1(VALU_DEP_1)
	v_fma_f32 v5, v156, v20, -v5
	v_mul_f32_e32 v3, v155, v19
	v_fma_f32 v3, v154, v18, -v3
	s_delay_alu instid0(VALU_DEP_1) | instskip(SKIP_1) | instid1(VALU_DEP_2)
	v_dual_fmac_f32 v185, v153, v16 :: v_dual_add_f32 v2, v2, v3
	v_mul_f32_e32 v3, v161, v121
	v_dual_add_f32 v2, v2, v5 :: v_dual_mul_f32 v5, v163, v123
	s_delay_alu instid0(VALU_DEP_2) | instskip(NEXT) | instid1(VALU_DEP_2)
	v_fma_f32 v3, v160, v120, -v3
	v_dual_add_f32 v2, v2, v4 :: v_dual_add_f32 v1, v1, v185
	v_mul_f32_e32 v4, v165, v125
	s_delay_alu instid0(VALU_DEP_4) | instskip(NEXT) | instid1(VALU_DEP_3)
	v_fma_f32 v5, v162, v122, -v5
	v_dual_add_f32 v2, v2, v3 :: v_dual_fmac_f32 v187, v157, v20
	s_delay_alu instid0(VALU_DEP_3) | instskip(NEXT) | instid1(VALU_DEP_2)
	v_fma_f32 v4, v164, v124, -v4
	v_add_f32_e32 v2, v2, v5
	v_mul_f32_e32 v5, v169, v129
	s_delay_alu instid0(VALU_DEP_2) | instskip(NEXT) | instid1(VALU_DEP_2)
	v_dual_add_f32 v1, v1, v186 :: v_dual_add_f32 v2, v2, v4
	v_fma_f32 v5, v168, v128, -v5
	v_mul_f32_e32 v3, v167, v127
	s_delay_alu instid0(VALU_DEP_3) | instskip(SKIP_1) | instid1(VALU_DEP_3)
	v_add_f32_e32 v1, v1, v187
	v_mul_f32_e32 v4, v171, v131
	v_fma_f32 v3, v166, v126, -v3
	s_delay_alu instid0(VALU_DEP_3) | instskip(NEXT) | instid1(VALU_DEP_3)
	v_add_f32_e32 v1, v1, v188
	v_fma_f32 v4, v170, v130, -v4
	s_delay_alu instid0(VALU_DEP_3) | instskip(NEXT) | instid1(VALU_DEP_1)
	v_dual_add_f32 v2, v2, v3 :: v_dual_mul_f32 v3, v173, v133
	v_add_f32_e32 v2, v2, v5
	s_delay_alu instid0(VALU_DEP_4) | instskip(SKIP_1) | instid1(VALU_DEP_4)
	v_add_f32_e32 v1, v1, v189
	v_mul_f32_e32 v5, v175, v135
	v_fma_f32 v3, v172, v132, -v3
	s_delay_alu instid0(VALU_DEP_3) | instskip(SKIP_1) | instid1(VALU_DEP_4)
	v_dual_add_f32 v2, v2, v4 :: v_dual_add_f32 v1, v1, v190
	v_mul_f32_e32 v4, v177, v137
	v_fma_f32 v5, v174, v134, -v5
	s_delay_alu instid0(VALU_DEP_3) | instskip(NEXT) | instid1(VALU_DEP_4)
	v_add_f32_e32 v2, v2, v3
	v_add_f32_e32 v1, v1, v191
	s_delay_alu instid0(VALU_DEP_4) | instskip(NEXT) | instid1(VALU_DEP_2)
	v_fma_f32 v3, v176, v136, -v4
	v_dual_add_f32 v2, v2, v5 :: v_dual_add_f32 v1, v1, v192
	s_delay_alu instid0(VALU_DEP_1) | instskip(NEXT) | instid1(VALU_DEP_1)
	v_dual_add_f32 v2, v2, v3 :: v_dual_add_f32 v1, v1, v193
	v_add_f32_e32 v1, v1, v194
	s_delay_alu instid0(VALU_DEP_1) | instskip(NEXT) | instid1(VALU_DEP_1)
	v_add_f32_e32 v1, v1, v195
	v_add_f32_e32 v1, v1, v196
	s_delay_alu instid0(VALU_DEP_1) | instskip(SKIP_1) | instid1(VALU_DEP_1)
	v_add_f32_e32 v3, v1, v197
	s_wait_loadcnt 0x0
	v_dual_sub_f32 v1, v178, v2 :: v_dual_sub_f32 v2, v179, v3
	scratch_store_b64 off, v[1:2], off offset:208
	v_cmpx_lt_u32_e32 25, v0
	s_cbranch_execz .LBB110_245
; %bb.244:
	scratch_load_b64 v[1:2], off, off offset:200
	v_mov_b32_e32 v3, 0
	s_delay_alu instid0(VALU_DEP_1)
	v_mov_b32_e32 v4, v3
	scratch_store_b64 off, v[3:4], off offset:200
	s_wait_loadcnt 0x0
	ds_store_b64 v23, v[1:2]
.LBB110_245:
	s_wait_alu 0xfffe
	s_or_b32 exec_lo, exec_lo, s0
	s_wait_storecnt_dscnt 0x0
	s_barrier_signal -1
	s_barrier_wait -1
	global_inv scope:SCOPE_SE
	s_clause 0xb
	scratch_load_b128 v[2:5], off, off offset:208
	scratch_load_b128 v[6:9], off, off offset:224
	;; [unrolled: 1-line block ×10, first 2 shown]
	scratch_load_b64 v[178:179], off, off offset:368
	scratch_load_b64 v[180:181], off, off offset:200
	v_mov_b32_e32 v1, 0
	ds_load_b128 v[138:141], v1 offset:592
	ds_load_b128 v[142:145], v1 offset:608
	;; [unrolled: 1-line block ×10, first 2 shown]
	ds_load_b64 v[182:183], v1 offset:752
	s_mov_b32 s0, exec_lo
	s_wait_loadcnt_dscnt 0xb0a
	v_mul_f32_e32 v22, v138, v3
	s_wait_loadcnt_dscnt 0xa09
	v_dual_mul_f32 v184, v140, v5 :: v_dual_mul_f32 v185, v142, v7
	v_mul_f32_e32 v5, v141, v5
	v_dual_mul_f32 v3, v139, v3 :: v_dual_mul_f32 v186, v144, v9
	s_wait_loadcnt_dscnt 0x908
	v_dual_mul_f32 v187, v146, v11 :: v_dual_fmac_f32 v22, v139, v2
	s_wait_loadcnt_dscnt 0x302
	v_mul_f32_e32 v200, v172, v133
	v_fma_f32 v3, v138, v2, -v3
	s_wait_loadcnt_dscnt 0x100
	v_mul_f32_e32 v203, v182, v179
	v_mul_f32_e32 v2, v143, v7
	v_fmac_f32_e32 v184, v141, v4
	v_fma_f32 v4, v140, v4, -v5
	v_add_f32_e32 v3, 0, v3
	v_dual_add_f32 v5, 0, v22 :: v_dual_fmac_f32 v186, v145, v8
	v_fmac_f32_e32 v185, v143, v6
	v_fma_f32 v2, v142, v6, -v2
	s_delay_alu instid0(VALU_DEP_4) | instskip(SKIP_3) | instid1(VALU_DEP_4)
	v_add_f32_e32 v3, v3, v4
	v_mul_f32_e32 v7, v145, v9
	v_add_f32_e32 v4, v5, v184
	v_dual_mul_f32 v188, v148, v13 :: v_dual_mul_f32 v189, v150, v15
	v_add_f32_e32 v2, v3, v2
	s_delay_alu instid0(VALU_DEP_4)
	v_fma_f32 v6, v144, v8, -v7
	v_mul_f32_e32 v5, v147, v11
	v_add_f32_e32 v3, v4, v185
	v_dual_mul_f32 v4, v149, v13 :: v_dual_fmac_f32 v187, v147, v10
	v_fmac_f32_e32 v188, v149, v12
	v_add_f32_e32 v2, v2, v6
	v_fma_f32 v5, v146, v10, -v5
	v_mul_f32_e32 v6, v151, v15
	v_add_f32_e32 v3, v3, v186
	v_fma_f32 v4, v148, v12, -v4
	v_dual_mul_f32 v190, v152, v17 :: v_dual_mul_f32 v191, v154, v19
	s_delay_alu instid0(VALU_DEP_3) | instskip(SKIP_1) | instid1(VALU_DEP_3)
	v_dual_add_f32 v2, v2, v5 :: v_dual_add_f32 v3, v3, v187
	v_mul_f32_e32 v5, v153, v17
	v_dual_fmac_f32 v189, v151, v14 :: v_dual_fmac_f32 v190, v153, v16
	v_fma_f32 v6, v150, v14, -v6
	s_delay_alu instid0(VALU_DEP_4) | instskip(SKIP_4) | instid1(VALU_DEP_4)
	v_add_f32_e32 v2, v2, v4
	v_dual_add_f32 v3, v3, v188 :: v_dual_mul_f32 v192, v156, v21
	v_mul_f32_e32 v193, v158, v119
	v_mul_f32_e32 v4, v155, v19
	v_fma_f32 v5, v152, v16, -v5
	v_dual_add_f32 v2, v2, v6 :: v_dual_add_f32 v3, v3, v189
	v_fmac_f32_e32 v192, v157, v20
	v_dual_mul_f32 v6, v157, v21 :: v_dual_fmac_f32 v191, v155, v18
	v_fma_f32 v4, v154, v18, -v4
	s_delay_alu instid0(VALU_DEP_4) | instskip(SKIP_1) | instid1(VALU_DEP_4)
	v_dual_add_f32 v2, v2, v5 :: v_dual_add_f32 v3, v3, v190
	v_mul_f32_e32 v5, v159, v119
	v_fma_f32 v6, v156, v20, -v6
	v_dual_mul_f32 v194, v160, v121 :: v_dual_mul_f32 v195, v162, v123
	s_delay_alu instid0(VALU_DEP_4) | instskip(SKIP_1) | instid1(VALU_DEP_3)
	v_dual_add_f32 v2, v2, v4 :: v_dual_add_f32 v3, v3, v191
	v_dual_mul_f32 v4, v161, v121 :: v_dual_fmac_f32 v193, v159, v118
	v_fmac_f32_e32 v194, v161, v120
	v_fma_f32 v5, v158, v118, -v5
	s_delay_alu instid0(VALU_DEP_4) | instskip(SKIP_2) | instid1(VALU_DEP_3)
	v_dual_add_f32 v2, v2, v6 :: v_dual_add_f32 v3, v3, v192
	v_mul_f32_e32 v6, v163, v123
	v_fma_f32 v4, v160, v120, -v4
	v_dual_fmac_f32 v195, v163, v122 :: v_dual_add_f32 v2, v2, v5
	s_delay_alu instid0(VALU_DEP_4) | instskip(SKIP_3) | instid1(VALU_DEP_4)
	v_add_f32_e32 v3, v3, v193
	v_dual_mul_f32 v196, v164, v125 :: v_dual_mul_f32 v197, v166, v127
	v_mul_f32_e32 v5, v165, v125
	v_fma_f32 v6, v162, v122, -v6
	v_dual_add_f32 v2, v2, v4 :: v_dual_add_f32 v3, v3, v194
	s_delay_alu instid0(VALU_DEP_4) | instskip(SKIP_2) | instid1(VALU_DEP_4)
	v_fmac_f32_e32 v196, v165, v124
	v_mul_f32_e32 v4, v167, v127
	v_fma_f32 v5, v164, v124, -v5
	v_dual_add_f32 v2, v2, v6 :: v_dual_add_f32 v3, v3, v195
	v_dual_mul_f32 v198, v168, v129 :: v_dual_mul_f32 v199, v170, v131
	v_dual_mul_f32 v6, v169, v129 :: v_dual_fmac_f32 v197, v167, v126
	v_fma_f32 v4, v166, v126, -v4
	s_delay_alu instid0(VALU_DEP_4) | instskip(NEXT) | instid1(VALU_DEP_4)
	v_dual_add_f32 v2, v2, v5 :: v_dual_add_f32 v3, v3, v196
	v_dual_mul_f32 v5, v171, v131 :: v_dual_fmac_f32 v198, v169, v128
	s_delay_alu instid0(VALU_DEP_4) | instskip(NEXT) | instid1(VALU_DEP_3)
	v_fma_f32 v6, v168, v128, -v6
	v_dual_add_f32 v2, v2, v4 :: v_dual_add_f32 v3, v3, v197
	v_dual_mul_f32 v4, v173, v133 :: v_dual_fmac_f32 v199, v171, v130
	s_delay_alu instid0(VALU_DEP_4) | instskip(NEXT) | instid1(VALU_DEP_3)
	v_fma_f32 v5, v170, v130, -v5
	v_dual_fmac_f32 v200, v173, v132 :: v_dual_add_f32 v3, v3, v198
	s_delay_alu instid0(VALU_DEP_4) | instskip(SKIP_3) | instid1(VALU_DEP_4)
	v_add_f32_e32 v2, v2, v6
	v_dual_mul_f32 v201, v174, v135 :: v_dual_mul_f32 v202, v176, v137
	v_mul_f32_e32 v6, v175, v135
	v_fma_f32 v4, v172, v132, -v4
	v_dual_add_f32 v3, v3, v199 :: v_dual_add_f32 v2, v2, v5
	s_delay_alu instid0(VALU_DEP_4) | instskip(SKIP_2) | instid1(VALU_DEP_4)
	v_fmac_f32_e32 v201, v175, v134
	v_mul_f32_e32 v5, v177, v137
	v_fma_f32 v6, v174, v134, -v6
	v_add_f32_e32 v3, v3, v200
	v_add_f32_e32 v2, v2, v4
	v_mul_f32_e32 v4, v183, v179
	v_dual_fmac_f32 v202, v177, v136 :: v_dual_fmac_f32 v203, v183, v178
	v_fma_f32 v5, v176, v136, -v5
	s_delay_alu instid0(VALU_DEP_4) | instskip(NEXT) | instid1(VALU_DEP_4)
	v_dual_add_f32 v3, v3, v201 :: v_dual_add_f32 v2, v2, v6
	v_fma_f32 v4, v182, v178, -v4
	s_delay_alu instid0(VALU_DEP_2) | instskip(NEXT) | instid1(VALU_DEP_1)
	v_dual_add_f32 v3, v3, v202 :: v_dual_add_f32 v2, v2, v5
	v_dual_add_f32 v3, v3, v203 :: v_dual_add_f32 v2, v2, v4
	s_wait_loadcnt 0x0
	s_delay_alu instid0(VALU_DEP_1)
	v_dual_sub_f32 v3, v181, v3 :: v_dual_sub_f32 v2, v180, v2
	scratch_store_b64 off, v[2:3], off offset:200
	v_cmpx_lt_u32_e32 24, v0
	s_cbranch_execz .LBB110_247
; %bb.246:
	scratch_load_b64 v[3:4], off, off offset:192
	v_mov_b32_e32 v2, v1
	scratch_store_b64 off, v[1:2], off offset:192
	s_wait_loadcnt 0x0
	ds_store_b64 v23, v[3:4]
.LBB110_247:
	s_wait_alu 0xfffe
	s_or_b32 exec_lo, exec_lo, s0
	s_wait_storecnt_dscnt 0x0
	s_barrier_signal -1
	s_barrier_wait -1
	global_inv scope:SCOPE_SE
	s_clause 0xb
	scratch_load_b128 v[2:5], off, off offset:200
	scratch_load_b128 v[6:9], off, off offset:216
	scratch_load_b128 v[10:13], off, off offset:232
	scratch_load_b128 v[14:17], off, off offset:248
	scratch_load_b128 v[18:21], off, off offset:264
	scratch_load_b128 v[118:121], off, off offset:280
	scratch_load_b128 v[122:125], off, off offset:296
	scratch_load_b128 v[126:129], off, off offset:312
	scratch_load_b128 v[130:133], off, off offset:328
	scratch_load_b128 v[134:137], off, off offset:344
	scratch_load_b128 v[138:141], off, off offset:360
	scratch_load_b64 v[186:187], off, off offset:192
	ds_load_2addr_b64 v[142:145], v1 offset0:73 offset1:74
	ds_load_2addr_b64 v[146:149], v1 offset0:75 offset1:76
	;; [unrolled: 1-line block ×11, first 2 shown]
	s_mov_b32 s0, exec_lo
	s_wait_loadcnt_dscnt 0xb0a
	v_dual_mul_f32 v1, v142, v3 :: v_dual_mul_f32 v22, v144, v5
	v_mul_f32_e32 v3, v143, v3
	s_wait_loadcnt_dscnt 0xa09
	v_dual_mul_f32 v5, v145, v5 :: v_dual_mul_f32 v188, v146, v7
	s_delay_alu instid0(VALU_DEP_3) | instskip(NEXT) | instid1(VALU_DEP_3)
	v_dual_mul_f32 v189, v148, v9 :: v_dual_fmac_f32 v22, v145, v4
	v_fma_f32 v3, v142, v2, -v3
	v_fmac_f32_e32 v1, v143, v2
	v_mul_f32_e32 v2, v147, v7
	v_fma_f32 v4, v144, v4, -v5
	s_delay_alu instid0(VALU_DEP_4)
	v_dual_fmac_f32 v188, v147, v6 :: v_dual_add_f32 v3, 0, v3
	s_wait_loadcnt_dscnt 0x706
	v_dual_mul_f32 v194, v158, v19 :: v_dual_mul_f32 v195, v160, v21
	v_fma_f32 v2, v146, v6, -v2
	v_dual_mul_f32 v190, v150, v11 :: v_dual_mul_f32 v191, v152, v13
	v_add_f32_e32 v3, v3, v4
	v_dual_mul_f32 v5, v149, v9 :: v_dual_mul_f32 v192, v154, v15
	v_dual_mul_f32 v193, v156, v17 :: v_dual_mul_f32 v4, v151, v11
	s_delay_alu instid0(VALU_DEP_3) | instskip(NEXT) | instid1(VALU_DEP_3)
	v_add_f32_e32 v2, v3, v2
	v_fma_f32 v5, v148, v8, -v5
	v_dual_mul_f32 v3, v153, v13 :: v_dual_fmac_f32 v194, v159, v18
	s_delay_alu instid0(VALU_DEP_4) | instskip(SKIP_1) | instid1(VALU_DEP_4)
	v_fma_f32 v4, v150, v10, -v4
	v_dual_fmac_f32 v189, v149, v8 :: v_dual_fmac_f32 v190, v151, v10
	v_add_f32_e32 v2, v2, v5
	v_add_f32_e32 v1, 0, v1
	v_fma_f32 v3, v152, v12, -v3
	v_fmac_f32_e32 v192, v155, v14
	s_wait_loadcnt_dscnt 0x605
	v_dual_mul_f32 v196, v162, v119 :: v_dual_mul_f32 v197, v164, v121
	v_dual_add_f32 v1, v1, v22 :: v_dual_add_f32 v2, v2, v4
	v_mul_f32_e32 v4, v157, v17
	s_wait_loadcnt_dscnt 0x403
	v_dual_mul_f32 v200, v170, v127 :: v_dual_mul_f32 v201, v172, v129
	s_delay_alu instid0(VALU_DEP_3) | instskip(NEXT) | instid1(VALU_DEP_3)
	v_dual_add_f32 v1, v1, v188 :: v_dual_add_f32 v2, v2, v3
	v_fma_f32 v4, v156, v16, -v4
	v_mul_f32_e32 v5, v155, v15
	v_dual_mul_f32 v198, v166, v123 :: v_dual_mul_f32 v199, v168, v125
	s_wait_loadcnt_dscnt 0x100
	v_dual_add_f32 v1, v1, v189 :: v_dual_mul_f32 v206, v182, v139
	v_mul_f32_e32 v207, v184, v141
	v_fma_f32 v5, v154, v14, -v5
	v_fmac_f32_e32 v191, v153, v12
	s_delay_alu instid0(VALU_DEP_4)
	v_add_f32_e32 v1, v1, v190
	v_fmac_f32_e32 v196, v163, v118
	v_dual_mul_f32 v202, v174, v131 :: v_dual_mul_f32 v203, v176, v133
	v_add_f32_e32 v2, v2, v5
	v_dual_fmac_f32 v198, v167, v122 :: v_dual_fmac_f32 v197, v165, v120
	v_dual_mul_f32 v204, v178, v135 :: v_dual_mul_f32 v205, v180, v137
	s_delay_alu instid0(VALU_DEP_3) | instskip(SKIP_2) | instid1(VALU_DEP_4)
	v_add_f32_e32 v2, v2, v4
	v_mul_f32_e32 v4, v163, v119
	v_add_f32_e32 v1, v1, v191
	v_dual_fmac_f32 v199, v169, v124 :: v_dual_fmac_f32 v204, v179, v134
	v_fmac_f32_e32 v203, v177, v132
	s_delay_alu instid0(VALU_DEP_4) | instskip(SKIP_4) | instid1(VALU_DEP_4)
	v_fma_f32 v4, v162, v118, -v4
	v_mul_f32_e32 v5, v161, v21
	v_add_f32_e32 v1, v1, v192
	v_dual_fmac_f32 v205, v181, v136 :: v_dual_fmac_f32 v200, v171, v126
	v_fmac_f32_e32 v207, v185, v140
	v_fma_f32 v5, v160, v20, -v5
	v_mul_f32_e32 v3, v159, v19
	v_fmac_f32_e32 v206, v183, v138
	v_fmac_f32_e32 v202, v175, v130
	s_delay_alu instid0(VALU_DEP_3) | instskip(NEXT) | instid1(VALU_DEP_1)
	v_fma_f32 v3, v158, v18, -v3
	v_dual_fmac_f32 v193, v157, v16 :: v_dual_add_f32 v2, v2, v3
	v_mul_f32_e32 v3, v165, v121
	s_delay_alu instid0(VALU_DEP_2) | instskip(NEXT) | instid1(VALU_DEP_2)
	v_dual_add_f32 v2, v2, v5 :: v_dual_mul_f32 v5, v167, v123
	v_fma_f32 v3, v164, v120, -v3
	s_delay_alu instid0(VALU_DEP_2) | instskip(SKIP_1) | instid1(VALU_DEP_4)
	v_dual_add_f32 v2, v2, v4 :: v_dual_add_f32 v1, v1, v193
	v_mul_f32_e32 v4, v169, v125
	v_fma_f32 v5, v166, v122, -v5
	s_delay_alu instid0(VALU_DEP_3) | instskip(NEXT) | instid1(VALU_DEP_3)
	v_dual_add_f32 v2, v2, v3 :: v_dual_fmac_f32 v195, v161, v20
	v_fma_f32 v4, v168, v124, -v4
	s_delay_alu instid0(VALU_DEP_2) | instskip(SKIP_1) | instid1(VALU_DEP_2)
	v_add_f32_e32 v2, v2, v5
	v_mul_f32_e32 v5, v173, v129
	v_dual_add_f32 v1, v1, v194 :: v_dual_add_f32 v2, v2, v4
	s_delay_alu instid0(VALU_DEP_2) | instskip(SKIP_1) | instid1(VALU_DEP_3)
	v_fma_f32 v5, v172, v128, -v5
	v_mul_f32_e32 v3, v171, v127
	v_add_f32_e32 v1, v1, v195
	v_mul_f32_e32 v4, v175, v131
	s_delay_alu instid0(VALU_DEP_3) | instskip(NEXT) | instid1(VALU_DEP_3)
	v_fma_f32 v3, v170, v126, -v3
	v_add_f32_e32 v1, v1, v196
	s_delay_alu instid0(VALU_DEP_3) | instskip(NEXT) | instid1(VALU_DEP_3)
	v_fma_f32 v4, v174, v130, -v4
	v_add_f32_e32 v2, v2, v3
	s_delay_alu instid0(VALU_DEP_1) | instskip(NEXT) | instid1(VALU_DEP_4)
	v_add_f32_e32 v2, v2, v5
	v_add_f32_e32 v1, v1, v197
	s_delay_alu instid0(VALU_DEP_2) | instskip(SKIP_1) | instid1(VALU_DEP_2)
	v_dual_mul_f32 v5, v179, v135 :: v_dual_add_f32 v2, v2, v4
	v_mul_f32_e32 v4, v181, v137
	v_fma_f32 v5, v178, v134, -v5
	s_delay_alu instid0(VALU_DEP_2) | instskip(SKIP_1) | instid1(VALU_DEP_1)
	v_fma_f32 v4, v180, v136, -v4
	v_mul_f32_e32 v3, v177, v133
	v_fma_f32 v3, v176, v132, -v3
	s_delay_alu instid0(VALU_DEP_1) | instskip(NEXT) | instid1(VALU_DEP_1)
	v_dual_add_f32 v1, v1, v198 :: v_dual_add_f32 v2, v2, v3
	v_add_f32_e32 v1, v1, v199
	s_delay_alu instid0(VALU_DEP_2) | instskip(NEXT) | instid1(VALU_DEP_2)
	v_dual_mul_f32 v3, v183, v139 :: v_dual_add_f32 v2, v2, v5
	v_add_f32_e32 v1, v1, v200
	v_mul_f32_e32 v5, v185, v141
	s_delay_alu instid0(VALU_DEP_3) | instskip(NEXT) | instid1(VALU_DEP_4)
	v_fma_f32 v3, v182, v138, -v3
	v_add_f32_e32 v2, v2, v4
	v_fmac_f32_e32 v201, v173, v128
	s_delay_alu instid0(VALU_DEP_4) | instskip(NEXT) | instid1(VALU_DEP_2)
	v_fma_f32 v4, v184, v140, -v5
	v_dual_add_f32 v2, v2, v3 :: v_dual_add_f32 v1, v1, v201
	s_delay_alu instid0(VALU_DEP_1) | instskip(NEXT) | instid1(VALU_DEP_1)
	v_dual_add_f32 v2, v2, v4 :: v_dual_add_f32 v1, v1, v202
	v_add_f32_e32 v1, v1, v203
	s_delay_alu instid0(VALU_DEP_1) | instskip(NEXT) | instid1(VALU_DEP_1)
	v_add_f32_e32 v1, v1, v204
	v_add_f32_e32 v1, v1, v205
	s_delay_alu instid0(VALU_DEP_1) | instskip(NEXT) | instid1(VALU_DEP_1)
	v_add_f32_e32 v1, v1, v206
	v_add_f32_e32 v3, v1, v207
	s_wait_loadcnt 0x0
	s_delay_alu instid0(VALU_DEP_1)
	v_dual_sub_f32 v1, v186, v2 :: v_dual_sub_f32 v2, v187, v3
	scratch_store_b64 off, v[1:2], off offset:192
	v_cmpx_lt_u32_e32 23, v0
	s_cbranch_execz .LBB110_249
; %bb.248:
	scratch_load_b64 v[1:2], off, off offset:184
	v_mov_b32_e32 v3, 0
	s_delay_alu instid0(VALU_DEP_1)
	v_mov_b32_e32 v4, v3
	scratch_store_b64 off, v[3:4], off offset:184
	s_wait_loadcnt 0x0
	ds_store_b64 v23, v[1:2]
.LBB110_249:
	s_wait_alu 0xfffe
	s_or_b32 exec_lo, exec_lo, s0
	s_wait_storecnt_dscnt 0x0
	s_barrier_signal -1
	s_barrier_wait -1
	global_inv scope:SCOPE_SE
	s_clause 0xc
	scratch_load_b128 v[2:5], off, off offset:192
	scratch_load_b128 v[6:9], off, off offset:208
	;; [unrolled: 1-line block ×11, first 2 shown]
	scratch_load_b64 v[186:187], off, off offset:368
	scratch_load_b64 v[188:189], off, off offset:184
	v_mov_b32_e32 v1, 0
	ds_load_b128 v[142:145], v1 offset:576
	ds_load_b128 v[146:149], v1 offset:592
	;; [unrolled: 1-line block ×11, first 2 shown]
	ds_load_b64 v[190:191], v1 offset:752
	s_mov_b32 s0, exec_lo
	s_wait_loadcnt_dscnt 0xc0b
	v_mul_f32_e32 v22, v142, v3
	s_wait_loadcnt_dscnt 0xb0a
	v_dual_mul_f32 v192, v144, v5 :: v_dual_mul_f32 v193, v146, v7
	v_mul_f32_e32 v5, v145, v5
	s_wait_loadcnt_dscnt 0xa09
	v_dual_mul_f32 v194, v148, v9 :: v_dual_mul_f32 v195, v150, v11
	v_mul_f32_e32 v3, v143, v3
	v_fmac_f32_e32 v22, v143, v2
	s_wait_loadcnt_dscnt 0x908
	v_dual_mul_f32 v196, v152, v13 :: v_dual_mul_f32 v197, v154, v15
	s_wait_loadcnt_dscnt 0x100
	v_dual_mul_f32 v210, v180, v137 :: v_dual_mul_f32 v213, v190, v187
	v_fma_f32 v3, v142, v2, -v3
	v_mul_f32_e32 v2, v147, v7
	v_fmac_f32_e32 v192, v145, v4
	v_fma_f32 v4, v144, v4, -v5
	v_dual_add_f32 v5, 0, v22 :: v_dual_fmac_f32 v194, v149, v8
	v_add_f32_e32 v3, 0, v3
	v_fmac_f32_e32 v193, v147, v6
	v_fma_f32 v2, v146, v6, -v2
	v_dual_fmac_f32 v195, v151, v10 :: v_dual_fmac_f32 v196, v153, v12
	s_delay_alu instid0(VALU_DEP_4) | instskip(SKIP_3) | instid1(VALU_DEP_4)
	v_add_f32_e32 v3, v3, v4
	v_mul_f32_e32 v7, v149, v9
	v_add_f32_e32 v4, v5, v192
	v_dual_mul_f32 v198, v156, v17 :: v_dual_mul_f32 v199, v158, v19
	v_add_f32_e32 v2, v3, v2
	s_delay_alu instid0(VALU_DEP_4)
	v_fma_f32 v6, v148, v8, -v7
	v_mul_f32_e32 v5, v151, v11
	v_add_f32_e32 v3, v4, v193
	v_dual_mul_f32 v4, v153, v13 :: v_dual_fmac_f32 v197, v155, v14
	v_fmac_f32_e32 v198, v157, v16
	v_add_f32_e32 v2, v2, v6
	v_fma_f32 v5, v150, v10, -v5
	v_mul_f32_e32 v6, v155, v15
	v_add_f32_e32 v3, v3, v194
	v_fma_f32 v4, v152, v12, -v4
	v_dual_mul_f32 v200, v160, v21 :: v_dual_mul_f32 v201, v162, v119
	s_delay_alu instid0(VALU_DEP_3) | instskip(SKIP_2) | instid1(VALU_DEP_3)
	v_dual_add_f32 v2, v2, v5 :: v_dual_add_f32 v3, v3, v195
	v_mul_f32_e32 v5, v157, v17
	v_fma_f32 v6, v154, v14, -v6
	v_dual_fmac_f32 v199, v159, v18 :: v_dual_add_f32 v2, v2, v4
	s_delay_alu instid0(VALU_DEP_4) | instskip(SKIP_3) | instid1(VALU_DEP_4)
	v_add_f32_e32 v3, v3, v196
	v_mul_f32_e32 v4, v159, v19
	v_fma_f32 v5, v156, v16, -v5
	v_fmac_f32_e32 v200, v161, v20
	v_dual_add_f32 v2, v2, v6 :: v_dual_add_f32 v3, v3, v197
	v_mul_f32_e32 v6, v161, v21
	v_fma_f32 v4, v158, v18, -v4
	v_dual_mul_f32 v202, v164, v121 :: v_dual_mul_f32 v203, v166, v123
	s_delay_alu instid0(VALU_DEP_4) | instskip(SKIP_2) | instid1(VALU_DEP_4)
	v_dual_add_f32 v2, v2, v5 :: v_dual_add_f32 v3, v3, v198
	v_mul_f32_e32 v5, v163, v119
	v_fma_f32 v6, v160, v20, -v6
	v_dual_fmac_f32 v201, v163, v118 :: v_dual_fmac_f32 v202, v165, v120
	s_delay_alu instid0(VALU_DEP_4) | instskip(SKIP_3) | instid1(VALU_DEP_4)
	v_dual_add_f32 v2, v2, v4 :: v_dual_add_f32 v3, v3, v199
	v_mul_f32_e32 v4, v165, v121
	v_fma_f32 v5, v162, v118, -v5
	v_fmac_f32_e32 v203, v167, v122
	v_dual_add_f32 v2, v2, v6 :: v_dual_add_f32 v3, v3, v200
	v_mul_f32_e32 v6, v167, v123
	v_fma_f32 v4, v164, v120, -v4
	v_dual_mul_f32 v204, v168, v125 :: v_dual_mul_f32 v205, v170, v127
	s_delay_alu instid0(VALU_DEP_4) | instskip(SKIP_4) | instid1(VALU_DEP_4)
	v_add_f32_e32 v2, v2, v5
	v_add_f32_e32 v3, v3, v201
	v_mul_f32_e32 v5, v169, v125
	v_fma_f32 v6, v166, v122, -v6
	v_fmac_f32_e32 v204, v169, v124
	v_dual_add_f32 v2, v2, v4 :: v_dual_add_f32 v3, v3, v202
	v_mul_f32_e32 v4, v171, v127
	v_fma_f32 v5, v168, v124, -v5
	v_dual_mul_f32 v206, v172, v129 :: v_dual_mul_f32 v207, v174, v131
	s_delay_alu instid0(VALU_DEP_4) | instskip(SKIP_2) | instid1(VALU_DEP_3)
	v_dual_add_f32 v2, v2, v6 :: v_dual_add_f32 v3, v3, v203
	v_dual_mul_f32 v6, v173, v129 :: v_dual_fmac_f32 v205, v171, v126
	v_fma_f32 v4, v170, v126, -v4
	v_dual_add_f32 v2, v2, v5 :: v_dual_add_f32 v3, v3, v204
	v_dual_mul_f32 v208, v176, v133 :: v_dual_mul_f32 v209, v178, v135
	v_dual_mul_f32 v5, v175, v131 :: v_dual_fmac_f32 v206, v173, v128
	v_fma_f32 v6, v172, v128, -v6
	s_delay_alu instid0(VALU_DEP_4) | instskip(SKIP_1) | instid1(VALU_DEP_4)
	v_dual_add_f32 v2, v2, v4 :: v_dual_add_f32 v3, v3, v205
	v_dual_mul_f32 v4, v177, v133 :: v_dual_fmac_f32 v207, v175, v130
	v_fma_f32 v5, v174, v130, -v5
	s_delay_alu instid0(VALU_DEP_3) | instskip(NEXT) | instid1(VALU_DEP_4)
	v_dual_fmac_f32 v208, v177, v132 :: v_dual_add_f32 v3, v3, v206
	v_add_f32_e32 v2, v2, v6
	v_mul_f32_e32 v6, v179, v135
	v_fma_f32 v4, v176, v132, -v4
	v_fmac_f32_e32 v209, v179, v134
	s_delay_alu instid0(VALU_DEP_4) | instskip(SKIP_3) | instid1(VALU_DEP_4)
	v_dual_add_f32 v3, v3, v207 :: v_dual_add_f32 v2, v2, v5
	v_mul_f32_e32 v5, v181, v137
	v_fma_f32 v6, v178, v134, -v6
	v_dual_mul_f32 v211, v182, v139 :: v_dual_mul_f32 v212, v184, v141
	v_add_f32_e32 v3, v3, v208
	v_add_f32_e32 v2, v2, v4
	v_mul_f32_e32 v4, v183, v139
	s_delay_alu instid0(VALU_DEP_4) | instskip(SKIP_1) | instid1(VALU_DEP_4)
	v_dual_fmac_f32 v210, v181, v136 :: v_dual_fmac_f32 v211, v183, v138
	v_fma_f32 v5, v180, v136, -v5
	v_dual_add_f32 v3, v3, v209 :: v_dual_add_f32 v2, v2, v6
	v_mul_f32_e32 v6, v185, v141
	v_fma_f32 v4, v182, v138, -v4
	v_fmac_f32_e32 v213, v191, v186
	s_delay_alu instid0(VALU_DEP_4) | instskip(SKIP_2) | instid1(VALU_DEP_3)
	v_dual_add_f32 v3, v3, v210 :: v_dual_add_f32 v2, v2, v5
	v_dual_mul_f32 v5, v191, v187 :: v_dual_fmac_f32 v212, v185, v140
	v_fma_f32 v6, v184, v140, -v6
	v_dual_add_f32 v3, v3, v211 :: v_dual_add_f32 v2, v2, v4
	s_delay_alu instid0(VALU_DEP_3) | instskip(NEXT) | instid1(VALU_DEP_2)
	v_fma_f32 v4, v190, v186, -v5
	v_dual_add_f32 v3, v3, v212 :: v_dual_add_f32 v2, v2, v6
	s_delay_alu instid0(VALU_DEP_1) | instskip(SKIP_1) | instid1(VALU_DEP_1)
	v_dual_add_f32 v3, v3, v213 :: v_dual_add_f32 v2, v2, v4
	s_wait_loadcnt 0x0
	v_dual_sub_f32 v3, v189, v3 :: v_dual_sub_f32 v2, v188, v2
	scratch_store_b64 off, v[2:3], off offset:184
	v_cmpx_lt_u32_e32 22, v0
	s_cbranch_execz .LBB110_251
; %bb.250:
	scratch_load_b64 v[3:4], off, off offset:176
	v_mov_b32_e32 v2, v1
	scratch_store_b64 off, v[1:2], off offset:176
	s_wait_loadcnt 0x0
	ds_store_b64 v23, v[3:4]
.LBB110_251:
	s_wait_alu 0xfffe
	s_or_b32 exec_lo, exec_lo, s0
	s_wait_storecnt_dscnt 0x0
	s_barrier_signal -1
	s_barrier_wait -1
	global_inv scope:SCOPE_SE
	s_clause 0xc
	scratch_load_b128 v[2:5], off, off offset:184
	scratch_load_b128 v[6:9], off, off offset:200
	;; [unrolled: 1-line block ×12, first 2 shown]
	scratch_load_b64 v[194:195], off, off offset:176
	ds_load_2addr_b64 v[146:149], v1 offset0:71 offset1:72
	ds_load_2addr_b64 v[150:153], v1 offset0:73 offset1:74
	;; [unrolled: 1-line block ×12, first 2 shown]
	s_mov_b32 s0, exec_lo
	s_wait_loadcnt_dscnt 0xc0b
	v_dual_mul_f32 v1, v146, v3 :: v_dual_mul_f32 v22, v148, v5
	v_mul_f32_e32 v3, v147, v3
	s_wait_loadcnt_dscnt 0xb0a
	v_dual_mul_f32 v5, v149, v5 :: v_dual_mul_f32 v196, v150, v7
	s_delay_alu instid0(VALU_DEP_3) | instskip(NEXT) | instid1(VALU_DEP_3)
	v_dual_mul_f32 v197, v152, v9 :: v_dual_fmac_f32 v22, v149, v4
	v_fma_f32 v3, v146, v2, -v3
	v_fmac_f32_e32 v1, v147, v2
	v_mul_f32_e32 v2, v151, v7
	v_fma_f32 v4, v148, v4, -v5
	s_delay_alu instid0(VALU_DEP_4)
	v_dual_fmac_f32 v196, v151, v6 :: v_dual_add_f32 v3, 0, v3
	s_wait_loadcnt_dscnt 0x807
	v_dual_mul_f32 v202, v162, v19 :: v_dual_mul_f32 v203, v164, v21
	v_fma_f32 v2, v150, v6, -v2
	v_dual_mul_f32 v198, v154, v11 :: v_dual_mul_f32 v199, v156, v13
	v_add_f32_e32 v3, v3, v4
	v_dual_mul_f32 v5, v153, v9 :: v_dual_mul_f32 v200, v158, v15
	v_dual_mul_f32 v201, v160, v17 :: v_dual_mul_f32 v4, v155, v11
	s_delay_alu instid0(VALU_DEP_3) | instskip(NEXT) | instid1(VALU_DEP_3)
	v_add_f32_e32 v2, v3, v2
	v_fma_f32 v5, v152, v8, -v5
	v_dual_mul_f32 v3, v157, v13 :: v_dual_fmac_f32 v202, v163, v18
	s_delay_alu instid0(VALU_DEP_4) | instskip(SKIP_1) | instid1(VALU_DEP_4)
	v_fma_f32 v4, v154, v10, -v4
	v_dual_fmac_f32 v197, v153, v8 :: v_dual_fmac_f32 v198, v155, v10
	v_add_f32_e32 v2, v2, v5
	v_add_f32_e32 v1, 0, v1
	v_fma_f32 v3, v156, v12, -v3
	v_fmac_f32_e32 v200, v159, v14
	s_wait_loadcnt_dscnt 0x706
	v_dual_mul_f32 v204, v166, v119 :: v_dual_mul_f32 v205, v168, v121
	v_dual_add_f32 v1, v1, v22 :: v_dual_add_f32 v2, v2, v4
	v_mul_f32_e32 v4, v161, v17
	s_wait_loadcnt_dscnt 0x504
	v_dual_mul_f32 v208, v174, v127 :: v_dual_mul_f32 v209, v176, v129
	s_delay_alu instid0(VALU_DEP_3) | instskip(NEXT) | instid1(VALU_DEP_3)
	v_dual_add_f32 v1, v1, v196 :: v_dual_add_f32 v2, v2, v3
	v_fma_f32 v4, v160, v16, -v4
	v_mul_f32_e32 v5, v159, v15
	v_dual_mul_f32 v206, v170, v123 :: v_dual_mul_f32 v207, v172, v125
	s_wait_loadcnt_dscnt 0x201
	v_dual_add_f32 v1, v1, v197 :: v_dual_mul_f32 v214, v186, v139
	v_mul_f32_e32 v215, v188, v141
	v_fma_f32 v5, v158, v14, -v5
	v_fmac_f32_e32 v199, v157, v12
	s_delay_alu instid0(VALU_DEP_4)
	v_add_f32_e32 v1, v1, v198
	v_fmac_f32_e32 v204, v167, v118
	v_dual_mul_f32 v210, v178, v131 :: v_dual_mul_f32 v211, v180, v133
	v_add_f32_e32 v2, v2, v5
	v_dual_fmac_f32 v206, v171, v122 :: v_dual_fmac_f32 v205, v169, v120
	v_dual_mul_f32 v212, v182, v135 :: v_dual_mul_f32 v213, v184, v137
	s_delay_alu instid0(VALU_DEP_3) | instskip(SKIP_2) | instid1(VALU_DEP_4)
	v_add_f32_e32 v2, v2, v4
	v_mul_f32_e32 v4, v167, v119
	v_add_f32_e32 v1, v1, v199
	v_dual_fmac_f32 v207, v173, v124 :: v_dual_fmac_f32 v212, v183, v134
	v_fmac_f32_e32 v209, v177, v128
	s_delay_alu instid0(VALU_DEP_4) | instskip(SKIP_4) | instid1(VALU_DEP_3)
	v_fma_f32 v4, v166, v118, -v4
	v_mul_f32_e32 v5, v165, v21
	s_wait_loadcnt_dscnt 0x100
	v_dual_add_f32 v1, v1, v200 :: v_dual_mul_f32 v216, v190, v143
	v_dual_mul_f32 v217, v192, v145 :: v_dual_fmac_f32 v208, v175, v126
	v_fma_f32 v5, v164, v20, -v5
	v_mul_f32_e32 v3, v163, v19
	v_fmac_f32_e32 v215, v189, v140
	s_delay_alu instid0(VALU_DEP_4) | instskip(SKIP_1) | instid1(VALU_DEP_4)
	v_dual_fmac_f32 v217, v193, v144 :: v_dual_fmac_f32 v214, v187, v138
	v_fmac_f32_e32 v210, v179, v130
	v_fma_f32 v3, v162, v18, -v3
	v_dual_fmac_f32 v201, v161, v16 :: v_dual_fmac_f32 v216, v191, v142
	s_delay_alu instid0(VALU_DEP_2) | instskip(NEXT) | instid1(VALU_DEP_1)
	v_dual_add_f32 v2, v2, v3 :: v_dual_mul_f32 v3, v169, v121
	v_dual_add_f32 v2, v2, v5 :: v_dual_mul_f32 v5, v171, v123
	s_delay_alu instid0(VALU_DEP_2) | instskip(NEXT) | instid1(VALU_DEP_2)
	v_fma_f32 v3, v168, v120, -v3
	v_dual_add_f32 v2, v2, v4 :: v_dual_add_f32 v1, v1, v201
	v_mul_f32_e32 v4, v173, v125
	s_delay_alu instid0(VALU_DEP_4) | instskip(NEXT) | instid1(VALU_DEP_3)
	v_fma_f32 v5, v170, v122, -v5
	v_dual_add_f32 v2, v2, v3 :: v_dual_fmac_f32 v203, v165, v20
	s_delay_alu instid0(VALU_DEP_3) | instskip(NEXT) | instid1(VALU_DEP_2)
	v_fma_f32 v4, v172, v124, -v4
	v_add_f32_e32 v2, v2, v5
	v_mul_f32_e32 v5, v177, v129
	s_delay_alu instid0(VALU_DEP_2) | instskip(NEXT) | instid1(VALU_DEP_2)
	v_dual_add_f32 v1, v1, v202 :: v_dual_add_f32 v2, v2, v4
	v_fma_f32 v5, v176, v128, -v5
	v_mul_f32_e32 v3, v175, v127
	s_delay_alu instid0(VALU_DEP_3) | instskip(SKIP_1) | instid1(VALU_DEP_3)
	v_add_f32_e32 v1, v1, v203
	v_mul_f32_e32 v4, v179, v131
	v_fma_f32 v3, v174, v126, -v3
	s_delay_alu instid0(VALU_DEP_3) | instskip(NEXT) | instid1(VALU_DEP_3)
	v_add_f32_e32 v1, v1, v204
	v_fma_f32 v4, v178, v130, -v4
	s_delay_alu instid0(VALU_DEP_3) | instskip(NEXT) | instid1(VALU_DEP_1)
	v_add_f32_e32 v2, v2, v3
	v_add_f32_e32 v2, v2, v5
	s_delay_alu instid0(VALU_DEP_4) | instskip(NEXT) | instid1(VALU_DEP_2)
	v_add_f32_e32 v1, v1, v205
	v_dual_mul_f32 v5, v183, v135 :: v_dual_add_f32 v2, v2, v4
	v_mul_f32_e32 v4, v185, v137
	s_delay_alu instid0(VALU_DEP_2) | instskip(NEXT) | instid1(VALU_DEP_2)
	v_fma_f32 v5, v182, v134, -v5
	v_fma_f32 v4, v184, v136, -v4
	v_mul_f32_e32 v3, v181, v133
	s_delay_alu instid0(VALU_DEP_1) | instskip(NEXT) | instid1(VALU_DEP_1)
	v_fma_f32 v3, v180, v132, -v3
	v_dual_add_f32 v1, v1, v206 :: v_dual_add_f32 v2, v2, v3
	s_delay_alu instid0(VALU_DEP_1) | instskip(NEXT) | instid1(VALU_DEP_2)
	v_add_f32_e32 v1, v1, v207
	v_dual_mul_f32 v3, v187, v139 :: v_dual_add_f32 v2, v2, v5
	v_mul_f32_e32 v5, v189, v141
	s_delay_alu instid0(VALU_DEP_2) | instskip(NEXT) | instid1(VALU_DEP_3)
	v_fma_f32 v3, v186, v138, -v3
	v_add_f32_e32 v2, v2, v4
	v_dual_add_f32 v1, v1, v208 :: v_dual_mul_f32 v4, v191, v143
	s_delay_alu instid0(VALU_DEP_4) | instskip(NEXT) | instid1(VALU_DEP_2)
	v_fma_f32 v5, v188, v140, -v5
	v_dual_add_f32 v2, v2, v3 :: v_dual_add_f32 v1, v1, v209
	v_fmac_f32_e32 v211, v181, v132
	s_delay_alu instid0(VALU_DEP_4) | instskip(SKIP_1) | instid1(VALU_DEP_4)
	v_fma_f32 v4, v190, v142, -v4
	v_mul_f32_e32 v3, v193, v145
	v_dual_add_f32 v2, v2, v5 :: v_dual_add_f32 v1, v1, v210
	s_delay_alu instid0(VALU_DEP_2) | instskip(NEXT) | instid1(VALU_DEP_2)
	v_fma_f32 v3, v192, v144, -v3
	v_dual_add_f32 v2, v2, v4 :: v_dual_add_f32 v1, v1, v211
	s_delay_alu instid0(VALU_DEP_1) | instskip(NEXT) | instid1(VALU_DEP_2)
	v_dual_fmac_f32 v213, v185, v136 :: v_dual_add_f32 v2, v2, v3
	v_add_f32_e32 v1, v1, v212
	s_delay_alu instid0(VALU_DEP_1) | instskip(NEXT) | instid1(VALU_DEP_1)
	v_add_f32_e32 v1, v1, v213
	v_add_f32_e32 v1, v1, v214
	s_delay_alu instid0(VALU_DEP_1) | instskip(NEXT) | instid1(VALU_DEP_1)
	v_add_f32_e32 v1, v1, v215
	v_add_f32_e32 v1, v1, v216
	s_delay_alu instid0(VALU_DEP_1) | instskip(SKIP_1) | instid1(VALU_DEP_1)
	v_add_f32_e32 v3, v1, v217
	s_wait_loadcnt 0x0
	v_dual_sub_f32 v1, v194, v2 :: v_dual_sub_f32 v2, v195, v3
	scratch_store_b64 off, v[1:2], off offset:176
	v_cmpx_lt_u32_e32 21, v0
	s_cbranch_execz .LBB110_253
; %bb.252:
	scratch_load_b64 v[1:2], off, off offset:168
	v_mov_b32_e32 v3, 0
	s_delay_alu instid0(VALU_DEP_1)
	v_mov_b32_e32 v4, v3
	scratch_store_b64 off, v[3:4], off offset:168
	s_wait_loadcnt 0x0
	ds_store_b64 v23, v[1:2]
.LBB110_253:
	s_wait_alu 0xfffe
	s_or_b32 exec_lo, exec_lo, s0
	s_wait_storecnt_dscnt 0x0
	s_barrier_signal -1
	s_barrier_wait -1
	global_inv scope:SCOPE_SE
	s_clause 0xd
	scratch_load_b128 v[2:5], off, off offset:176
	scratch_load_b128 v[6:9], off, off offset:192
	;; [unrolled: 1-line block ×12, first 2 shown]
	scratch_load_b64 v[194:195], off, off offset:368
	scratch_load_b64 v[196:197], off, off offset:168
	v_mov_b32_e32 v1, 0
	ds_load_b128 v[146:149], v1 offset:560
	ds_load_b128 v[150:153], v1 offset:576
	;; [unrolled: 1-line block ×12, first 2 shown]
	ds_load_b64 v[198:199], v1 offset:752
	s_mov_b32 s0, exec_lo
	s_wait_loadcnt_dscnt 0xd0c
	v_mul_f32_e32 v22, v146, v3
	s_wait_loadcnt_dscnt 0xc0b
	v_dual_mul_f32 v200, v148, v5 :: v_dual_mul_f32 v201, v150, v7
	v_mul_f32_e32 v5, v149, v5
	s_wait_loadcnt_dscnt 0xb0a
	v_dual_mul_f32 v202, v152, v9 :: v_dual_mul_f32 v203, v154, v11
	v_dual_mul_f32 v3, v147, v3 :: v_dual_mul_f32 v204, v156, v13
	s_wait_loadcnt_dscnt 0xa09
	v_dual_mul_f32 v205, v158, v15 :: v_dual_fmac_f32 v22, v147, v2
	s_wait_loadcnt_dscnt 0x302
	v_mul_f32_e32 v220, v188, v141
	v_fma_f32 v3, v146, v2, -v3
	s_wait_loadcnt_dscnt 0x100
	v_mul_f32_e32 v223, v198, v195
	v_mul_f32_e32 v2, v151, v7
	v_fmac_f32_e32 v200, v149, v4
	v_fma_f32 v4, v148, v4, -v5
	v_add_f32_e32 v3, 0, v3
	v_dual_add_f32 v5, 0, v22 :: v_dual_fmac_f32 v202, v153, v8
	v_fmac_f32_e32 v201, v151, v6
	v_fma_f32 v2, v150, v6, -v2
	s_delay_alu instid0(VALU_DEP_4) | instskip(SKIP_3) | instid1(VALU_DEP_4)
	v_add_f32_e32 v3, v3, v4
	v_mul_f32_e32 v7, v153, v9
	v_dual_add_f32 v4, v5, v200 :: v_dual_fmac_f32 v203, v155, v10
	v_fmac_f32_e32 v204, v157, v12
	v_add_f32_e32 v2, v3, v2
	s_delay_alu instid0(VALU_DEP_4)
	v_fma_f32 v6, v152, v8, -v7
	v_mul_f32_e32 v5, v155, v11
	v_add_f32_e32 v3, v4, v201
	v_mul_f32_e32 v4, v157, v13
	v_dual_mul_f32 v206, v160, v17 :: v_dual_mul_f32 v207, v162, v19
	v_add_f32_e32 v2, v2, v6
	v_fma_f32 v5, v154, v10, -v5
	v_mul_f32_e32 v6, v159, v15
	v_add_f32_e32 v3, v3, v202
	v_fma_f32 v4, v156, v12, -v4
	v_dual_fmac_f32 v205, v159, v14 :: v_dual_fmac_f32 v206, v161, v16
	s_delay_alu instid0(VALU_DEP_3) | instskip(SKIP_3) | instid1(VALU_DEP_4)
	v_dual_add_f32 v2, v2, v5 :: v_dual_add_f32 v3, v3, v203
	v_mul_f32_e32 v5, v161, v17
	v_fma_f32 v6, v158, v14, -v6
	v_dual_mul_f32 v208, v164, v21 :: v_dual_mul_f32 v209, v166, v119
	v_add_f32_e32 v2, v2, v4
	v_add_f32_e32 v3, v3, v204
	v_mul_f32_e32 v4, v163, v19
	v_fma_f32 v5, v160, v16, -v5
	v_fmac_f32_e32 v207, v163, v18
	s_delay_alu instid0(VALU_DEP_4) | instskip(SKIP_3) | instid1(VALU_DEP_4)
	v_dual_add_f32 v2, v2, v6 :: v_dual_add_f32 v3, v3, v205
	v_fmac_f32_e32 v208, v165, v20
	v_mul_f32_e32 v6, v165, v21
	v_fma_f32 v4, v162, v18, -v4
	v_dual_add_f32 v2, v2, v5 :: v_dual_add_f32 v3, v3, v206
	v_mul_f32_e32 v5, v167, v119
	s_delay_alu instid0(VALU_DEP_4) | instskip(SKIP_1) | instid1(VALU_DEP_4)
	v_fma_f32 v6, v164, v20, -v6
	v_dual_mul_f32 v210, v168, v121 :: v_dual_mul_f32 v211, v170, v123
	v_dual_add_f32 v2, v2, v4 :: v_dual_add_f32 v3, v3, v207
	v_dual_mul_f32 v4, v169, v121 :: v_dual_fmac_f32 v209, v167, v118
	s_delay_alu instid0(VALU_DEP_3) | instskip(SKIP_1) | instid1(VALU_DEP_4)
	v_fmac_f32_e32 v210, v169, v120
	v_fma_f32 v5, v166, v118, -v5
	v_dual_add_f32 v2, v2, v6 :: v_dual_add_f32 v3, v3, v208
	v_mul_f32_e32 v6, v171, v123
	v_fma_f32 v4, v168, v120, -v4
	s_delay_alu instid0(VALU_DEP_3) | instskip(NEXT) | instid1(VALU_DEP_4)
	v_dual_fmac_f32 v211, v171, v122 :: v_dual_add_f32 v2, v2, v5
	v_add_f32_e32 v3, v3, v209
	v_dual_mul_f32 v212, v172, v125 :: v_dual_mul_f32 v213, v174, v127
	v_mul_f32_e32 v5, v173, v125
	v_fma_f32 v6, v170, v122, -v6
	s_delay_alu instid0(VALU_DEP_4) | instskip(NEXT) | instid1(VALU_DEP_4)
	v_dual_add_f32 v2, v2, v4 :: v_dual_add_f32 v3, v3, v210
	v_fmac_f32_e32 v212, v173, v124
	v_mul_f32_e32 v4, v175, v127
	v_fma_f32 v5, v172, v124, -v5
	s_delay_alu instid0(VALU_DEP_4) | instskip(SKIP_3) | instid1(VALU_DEP_4)
	v_dual_add_f32 v2, v2, v6 :: v_dual_add_f32 v3, v3, v211
	v_dual_mul_f32 v214, v176, v129 :: v_dual_mul_f32 v215, v178, v131
	v_dual_mul_f32 v6, v177, v129 :: v_dual_fmac_f32 v213, v175, v126
	v_fma_f32 v4, v174, v126, -v4
	v_dual_add_f32 v2, v2, v5 :: v_dual_add_f32 v3, v3, v212
	v_dual_mul_f32 v216, v180, v133 :: v_dual_mul_f32 v217, v182, v135
	v_dual_mul_f32 v5, v179, v131 :: v_dual_fmac_f32 v214, v177, v128
	v_fma_f32 v6, v176, v128, -v6
	s_delay_alu instid0(VALU_DEP_4) | instskip(SKIP_1) | instid1(VALU_DEP_4)
	v_dual_add_f32 v2, v2, v4 :: v_dual_add_f32 v3, v3, v213
	v_dual_mul_f32 v4, v181, v133 :: v_dual_fmac_f32 v215, v179, v130
	v_fma_f32 v5, v178, v130, -v5
	s_delay_alu instid0(VALU_DEP_3) | instskip(NEXT) | instid1(VALU_DEP_4)
	v_dual_fmac_f32 v216, v181, v132 :: v_dual_add_f32 v3, v3, v214
	v_add_f32_e32 v2, v2, v6
	v_mul_f32_e32 v6, v183, v135
	v_fma_f32 v4, v180, v132, -v4
	v_dual_mul_f32 v218, v184, v137 :: v_dual_mul_f32 v219, v186, v139
	s_delay_alu instid0(VALU_DEP_4) | instskip(SKIP_3) | instid1(VALU_DEP_4)
	v_dual_add_f32 v3, v3, v215 :: v_dual_add_f32 v2, v2, v5
	v_fmac_f32_e32 v217, v183, v134
	v_mul_f32_e32 v5, v185, v137
	v_fma_f32 v6, v182, v134, -v6
	v_add_f32_e32 v3, v3, v216
	v_add_f32_e32 v2, v2, v4
	v_mul_f32_e32 v4, v187, v139
	v_dual_fmac_f32 v218, v185, v136 :: v_dual_fmac_f32 v219, v187, v138
	v_fma_f32 v5, v184, v136, -v5
	s_delay_alu instid0(VALU_DEP_4) | instskip(SKIP_3) | instid1(VALU_DEP_4)
	v_dual_add_f32 v3, v3, v217 :: v_dual_add_f32 v2, v2, v6
	v_mul_f32_e32 v6, v189, v141
	v_fma_f32 v4, v186, v138, -v4
	v_dual_mul_f32 v221, v190, v143 :: v_dual_mul_f32 v222, v192, v145
	v_dual_add_f32 v2, v2, v5 :: v_dual_mul_f32 v5, v191, v143
	v_dual_add_f32 v3, v3, v218 :: v_dual_fmac_f32 v220, v189, v140
	v_fma_f32 v6, v188, v140, -v6
	s_delay_alu instid0(VALU_DEP_3) | instskip(NEXT) | instid1(VALU_DEP_3)
	v_dual_add_f32 v2, v2, v4 :: v_dual_fmac_f32 v221, v191, v142
	v_dual_add_f32 v3, v3, v219 :: v_dual_mul_f32 v4, v193, v145
	v_fma_f32 v5, v190, v142, -v5
	v_dual_fmac_f32 v222, v193, v144 :: v_dual_fmac_f32 v223, v199, v194
	s_delay_alu instid0(VALU_DEP_3) | instskip(SKIP_2) | instid1(VALU_DEP_3)
	v_dual_add_f32 v3, v3, v220 :: v_dual_add_f32 v2, v2, v6
	v_mul_f32_e32 v6, v199, v195
	v_fma_f32 v4, v192, v144, -v4
	v_add_f32_e32 v3, v3, v221
	s_delay_alu instid0(VALU_DEP_4) | instskip(NEXT) | instid1(VALU_DEP_4)
	v_add_f32_e32 v2, v2, v5
	v_fma_f32 v5, v198, v194, -v6
	s_delay_alu instid0(VALU_DEP_2) | instskip(NEXT) | instid1(VALU_DEP_1)
	v_dual_add_f32 v3, v3, v222 :: v_dual_add_f32 v2, v2, v4
	v_dual_add_f32 v3, v3, v223 :: v_dual_add_f32 v2, v2, v5
	s_wait_loadcnt 0x0
	s_delay_alu instid0(VALU_DEP_1)
	v_dual_sub_f32 v3, v197, v3 :: v_dual_sub_f32 v2, v196, v2
	scratch_store_b64 off, v[2:3], off offset:168
	v_cmpx_lt_u32_e32 20, v0
	s_cbranch_execz .LBB110_255
; %bb.254:
	scratch_load_b64 v[3:4], off, off offset:160
	v_mov_b32_e32 v2, v1
	scratch_store_b64 off, v[1:2], off offset:160
	s_wait_loadcnt 0x0
	ds_store_b64 v23, v[3:4]
.LBB110_255:
	s_wait_alu 0xfffe
	s_or_b32 exec_lo, exec_lo, s0
	s_wait_storecnt_dscnt 0x0
	s_barrier_signal -1
	s_barrier_wait -1
	global_inv scope:SCOPE_SE
	s_clause 0xd
	scratch_load_b128 v[2:5], off, off offset:168
	scratch_load_b128 v[6:9], off, off offset:184
	;; [unrolled: 1-line block ×13, first 2 shown]
	scratch_load_b64 v[202:203], off, off offset:160
	ds_load_2addr_b64 v[150:153], v1 offset0:69 offset1:70
	ds_load_2addr_b64 v[154:157], v1 offset0:71 offset1:72
	;; [unrolled: 1-line block ×13, first 2 shown]
	s_mov_b32 s0, exec_lo
	s_wait_loadcnt_dscnt 0xd0c
	v_dual_mul_f32 v1, v150, v3 :: v_dual_mul_f32 v22, v152, v5
	v_mul_f32_e32 v3, v151, v3
	s_wait_loadcnt_dscnt 0xc0b
	v_dual_mul_f32 v5, v153, v5 :: v_dual_mul_f32 v204, v154, v7
	s_delay_alu instid0(VALU_DEP_3) | instskip(NEXT) | instid1(VALU_DEP_3)
	v_dual_mul_f32 v205, v156, v9 :: v_dual_fmac_f32 v22, v153, v4
	v_fma_f32 v3, v150, v2, -v3
	v_fmac_f32_e32 v1, v151, v2
	v_mul_f32_e32 v2, v155, v7
	v_fma_f32 v4, v152, v4, -v5
	s_delay_alu instid0(VALU_DEP_4)
	v_dual_fmac_f32 v204, v155, v6 :: v_dual_add_f32 v3, 0, v3
	s_wait_loadcnt_dscnt 0x908
	v_dual_mul_f32 v210, v166, v19 :: v_dual_mul_f32 v211, v168, v21
	v_fma_f32 v2, v154, v6, -v2
	v_dual_mul_f32 v206, v158, v11 :: v_dual_mul_f32 v207, v160, v13
	v_add_f32_e32 v3, v3, v4
	v_dual_mul_f32 v5, v157, v9 :: v_dual_mul_f32 v208, v162, v15
	v_dual_mul_f32 v209, v164, v17 :: v_dual_mul_f32 v4, v159, v11
	s_delay_alu instid0(VALU_DEP_3) | instskip(NEXT) | instid1(VALU_DEP_3)
	v_add_f32_e32 v2, v3, v2
	v_fma_f32 v5, v156, v8, -v5
	v_dual_mul_f32 v3, v161, v13 :: v_dual_fmac_f32 v210, v167, v18
	s_delay_alu instid0(VALU_DEP_4) | instskip(SKIP_1) | instid1(VALU_DEP_4)
	v_fma_f32 v4, v158, v10, -v4
	v_dual_fmac_f32 v205, v157, v8 :: v_dual_fmac_f32 v206, v159, v10
	v_add_f32_e32 v2, v2, v5
	v_add_f32_e32 v1, 0, v1
	v_fma_f32 v3, v160, v12, -v3
	v_fmac_f32_e32 v208, v163, v14
	s_wait_loadcnt_dscnt 0x807
	v_dual_mul_f32 v212, v170, v119 :: v_dual_mul_f32 v213, v172, v121
	v_dual_add_f32 v1, v1, v22 :: v_dual_add_f32 v2, v2, v4
	v_mul_f32_e32 v4, v165, v17
	s_wait_loadcnt_dscnt 0x605
	v_dual_mul_f32 v216, v178, v127 :: v_dual_mul_f32 v217, v180, v129
	s_delay_alu instid0(VALU_DEP_3) | instskip(NEXT) | instid1(VALU_DEP_3)
	v_dual_add_f32 v1, v1, v204 :: v_dual_add_f32 v2, v2, v3
	v_fma_f32 v4, v164, v16, -v4
	v_mul_f32_e32 v5, v163, v15
	v_dual_mul_f32 v214, v174, v123 :: v_dual_mul_f32 v215, v176, v125
	s_wait_loadcnt_dscnt 0x302
	v_dual_add_f32 v1, v1, v205 :: v_dual_mul_f32 v222, v190, v139
	v_mul_f32_e32 v223, v192, v141
	v_fma_f32 v5, v162, v14, -v5
	v_fmac_f32_e32 v207, v161, v12
	s_delay_alu instid0(VALU_DEP_4)
	v_add_f32_e32 v1, v1, v206
	v_fmac_f32_e32 v212, v171, v118
	v_dual_mul_f32 v218, v182, v131 :: v_dual_mul_f32 v219, v184, v133
	v_add_f32_e32 v2, v2, v5
	v_dual_fmac_f32 v214, v175, v122 :: v_dual_fmac_f32 v213, v173, v120
	v_dual_mul_f32 v220, v186, v135 :: v_dual_mul_f32 v221, v188, v137
	s_delay_alu instid0(VALU_DEP_3) | instskip(SKIP_2) | instid1(VALU_DEP_4)
	v_add_f32_e32 v2, v2, v4
	v_mul_f32_e32 v4, v171, v119
	v_add_f32_e32 v1, v1, v207
	v_dual_fmac_f32 v215, v177, v124 :: v_dual_fmac_f32 v220, v187, v134
	v_fmac_f32_e32 v217, v181, v128
	s_delay_alu instid0(VALU_DEP_4) | instskip(SKIP_4) | instid1(VALU_DEP_3)
	v_fma_f32 v4, v170, v118, -v4
	v_mul_f32_e32 v5, v169, v21
	s_wait_loadcnt_dscnt 0x201
	v_dual_add_f32 v1, v1, v208 :: v_dual_mul_f32 v224, v194, v143
	v_dual_mul_f32 v225, v196, v145 :: v_dual_fmac_f32 v216, v179, v126
	v_fma_f32 v5, v168, v20, -v5
	v_mul_f32_e32 v3, v167, v19
	s_wait_loadcnt_dscnt 0x100
	v_dual_mul_f32 v226, v198, v147 :: v_dual_mul_f32 v227, v200, v149
	v_fmac_f32_e32 v223, v193, v140
	v_fmac_f32_e32 v225, v197, v144
	v_fma_f32 v3, v166, v18, -v3
	v_fmac_f32_e32 v209, v165, v16
	v_dual_fmac_f32 v227, v201, v148 :: v_dual_fmac_f32 v222, v191, v138
	v_fmac_f32_e32 v218, v183, v130
	s_delay_alu instid0(VALU_DEP_4) | instskip(SKIP_2) | instid1(VALU_DEP_3)
	v_dual_add_f32 v2, v2, v3 :: v_dual_mul_f32 v3, v173, v121
	v_fmac_f32_e32 v224, v195, v142
	v_fmac_f32_e32 v226, v199, v146
	v_dual_add_f32 v2, v2, v5 :: v_dual_mul_f32 v5, v175, v123
	s_delay_alu instid0(VALU_DEP_4) | instskip(NEXT) | instid1(VALU_DEP_2)
	v_fma_f32 v3, v172, v120, -v3
	v_dual_add_f32 v2, v2, v4 :: v_dual_add_f32 v1, v1, v209
	v_mul_f32_e32 v4, v177, v125
	s_delay_alu instid0(VALU_DEP_4) | instskip(NEXT) | instid1(VALU_DEP_3)
	v_fma_f32 v5, v174, v122, -v5
	v_dual_add_f32 v2, v2, v3 :: v_dual_fmac_f32 v211, v169, v20
	s_delay_alu instid0(VALU_DEP_3) | instskip(NEXT) | instid1(VALU_DEP_2)
	v_fma_f32 v4, v176, v124, -v4
	v_add_f32_e32 v2, v2, v5
	v_mul_f32_e32 v5, v181, v129
	s_delay_alu instid0(VALU_DEP_2) | instskip(NEXT) | instid1(VALU_DEP_2)
	v_dual_add_f32 v1, v1, v210 :: v_dual_add_f32 v2, v2, v4
	v_fma_f32 v5, v180, v128, -v5
	v_mul_f32_e32 v3, v179, v127
	s_delay_alu instid0(VALU_DEP_3) | instskip(SKIP_1) | instid1(VALU_DEP_3)
	v_add_f32_e32 v1, v1, v211
	v_mul_f32_e32 v4, v183, v131
	v_fma_f32 v3, v178, v126, -v3
	s_delay_alu instid0(VALU_DEP_3) | instskip(NEXT) | instid1(VALU_DEP_3)
	v_add_f32_e32 v1, v1, v212
	v_fma_f32 v4, v182, v130, -v4
	s_delay_alu instid0(VALU_DEP_3) | instskip(NEXT) | instid1(VALU_DEP_1)
	v_add_f32_e32 v2, v2, v3
	v_add_f32_e32 v2, v2, v5
	s_delay_alu instid0(VALU_DEP_4) | instskip(NEXT) | instid1(VALU_DEP_2)
	v_add_f32_e32 v1, v1, v213
	v_dual_mul_f32 v5, v187, v135 :: v_dual_add_f32 v2, v2, v4
	v_mul_f32_e32 v4, v189, v137
	s_delay_alu instid0(VALU_DEP_2) | instskip(NEXT) | instid1(VALU_DEP_2)
	v_fma_f32 v5, v186, v134, -v5
	v_fma_f32 v4, v188, v136, -v4
	v_mul_f32_e32 v3, v185, v133
	s_delay_alu instid0(VALU_DEP_1) | instskip(NEXT) | instid1(VALU_DEP_1)
	v_fma_f32 v3, v184, v132, -v3
	v_dual_add_f32 v1, v1, v214 :: v_dual_add_f32 v2, v2, v3
	s_delay_alu instid0(VALU_DEP_1) | instskip(NEXT) | instid1(VALU_DEP_2)
	v_add_f32_e32 v1, v1, v215
	v_dual_mul_f32 v3, v191, v139 :: v_dual_add_f32 v2, v2, v5
	v_mul_f32_e32 v5, v193, v141
	s_delay_alu instid0(VALU_DEP_2) | instskip(NEXT) | instid1(VALU_DEP_3)
	v_fma_f32 v3, v190, v138, -v3
	v_add_f32_e32 v2, v2, v4
	v_dual_add_f32 v1, v1, v216 :: v_dual_mul_f32 v4, v195, v143
	s_delay_alu instid0(VALU_DEP_4) | instskip(NEXT) | instid1(VALU_DEP_2)
	v_fma_f32 v5, v192, v140, -v5
	v_dual_add_f32 v2, v2, v3 :: v_dual_add_f32 v1, v1, v217
	v_fmac_f32_e32 v219, v185, v132
	v_mul_f32_e32 v3, v197, v145
	v_fma_f32 v4, v194, v142, -v4
	s_delay_alu instid0(VALU_DEP_4) | instskip(SKIP_1) | instid1(VALU_DEP_4)
	v_dual_add_f32 v2, v2, v5 :: v_dual_add_f32 v1, v1, v218
	v_mul_f32_e32 v5, v199, v147
	v_fma_f32 v3, v196, v144, -v3
	s_delay_alu instid0(VALU_DEP_3) | instskip(SKIP_1) | instid1(VALU_DEP_4)
	v_dual_add_f32 v2, v2, v4 :: v_dual_add_f32 v1, v1, v219
	v_fmac_f32_e32 v221, v189, v136
	v_fma_f32 v5, v198, v146, -v5
	v_mul_f32_e32 v4, v201, v149
	s_delay_alu instid0(VALU_DEP_4) | instskip(NEXT) | instid1(VALU_DEP_2)
	v_dual_add_f32 v2, v2, v3 :: v_dual_add_f32 v1, v1, v220
	v_fma_f32 v3, v200, v148, -v4
	s_delay_alu instid0(VALU_DEP_2) | instskip(NEXT) | instid1(VALU_DEP_1)
	v_add_f32_e32 v2, v2, v5
	v_dual_add_f32 v1, v1, v221 :: v_dual_add_f32 v2, v2, v3
	s_delay_alu instid0(VALU_DEP_1) | instskip(NEXT) | instid1(VALU_DEP_1)
	v_add_f32_e32 v1, v1, v222
	v_add_f32_e32 v1, v1, v223
	s_delay_alu instid0(VALU_DEP_1) | instskip(NEXT) | instid1(VALU_DEP_1)
	v_add_f32_e32 v1, v1, v224
	v_add_f32_e32 v1, v1, v225
	;; [unrolled: 3-line block ×3, first 2 shown]
	s_wait_loadcnt 0x0
	s_delay_alu instid0(VALU_DEP_1)
	v_dual_sub_f32 v1, v202, v2 :: v_dual_sub_f32 v2, v203, v3
	scratch_store_b64 off, v[1:2], off offset:160
	v_cmpx_lt_u32_e32 19, v0
	s_cbranch_execz .LBB110_257
; %bb.256:
	scratch_load_b64 v[1:2], off, off offset:152
	v_mov_b32_e32 v3, 0
	s_delay_alu instid0(VALU_DEP_1)
	v_mov_b32_e32 v4, v3
	scratch_store_b64 off, v[3:4], off offset:152
	s_wait_loadcnt 0x0
	ds_store_b64 v23, v[1:2]
.LBB110_257:
	s_wait_alu 0xfffe
	s_or_b32 exec_lo, exec_lo, s0
	s_wait_storecnt_dscnt 0x0
	s_barrier_signal -1
	s_barrier_wait -1
	global_inv scope:SCOPE_SE
	s_clause 0xe
	scratch_load_b128 v[2:5], off, off offset:160
	scratch_load_b128 v[6:9], off, off offset:176
	;; [unrolled: 1-line block ×13, first 2 shown]
	scratch_load_b64 v[202:203], off, off offset:368
	scratch_load_b64 v[204:205], off, off offset:152
	v_mov_b32_e32 v1, 0
	ds_load_b128 v[150:153], v1 offset:544
	ds_load_b128 v[154:157], v1 offset:560
	;; [unrolled: 1-line block ×13, first 2 shown]
	ds_load_b64 v[206:207], v1 offset:752
	s_mov_b32 s0, exec_lo
	s_wait_loadcnt_dscnt 0xe0d
	v_mul_f32_e32 v22, v150, v3
	s_wait_loadcnt_dscnt 0xd0c
	v_dual_mul_f32 v208, v152, v5 :: v_dual_mul_f32 v209, v154, v7
	v_mul_f32_e32 v5, v153, v5
	s_wait_loadcnt_dscnt 0xc0b
	v_dual_mul_f32 v210, v156, v9 :: v_dual_mul_f32 v211, v158, v11
	s_wait_loadcnt_dscnt 0xb0a
	v_dual_mul_f32 v212, v160, v13 :: v_dual_mul_f32 v213, v162, v15
	v_mul_f32_e32 v3, v151, v3
	v_fmac_f32_e32 v22, v151, v2
	s_delay_alu instid0(VALU_DEP_3)
	v_dual_fmac_f32 v211, v159, v10 :: v_dual_fmac_f32 v212, v161, v12
	s_wait_loadcnt_dscnt 0x100
	v_dual_mul_f32 v230, v196, v145 :: v_dual_mul_f32 v233, v206, v203
	v_fma_f32 v3, v150, v2, -v3
	v_mul_f32_e32 v2, v155, v7
	v_fmac_f32_e32 v208, v153, v4
	v_fma_f32 v4, v152, v4, -v5
	v_dual_add_f32 v5, 0, v22 :: v_dual_fmac_f32 v210, v157, v8
	v_add_f32_e32 v3, 0, v3
	v_fmac_f32_e32 v209, v155, v6
	v_fma_f32 v2, v154, v6, -v2
	v_dual_mul_f32 v214, v164, v17 :: v_dual_mul_f32 v215, v166, v19
	s_delay_alu instid0(VALU_DEP_4) | instskip(SKIP_2) | instid1(VALU_DEP_4)
	v_add_f32_e32 v3, v3, v4
	v_mul_f32_e32 v7, v157, v9
	v_dual_add_f32 v4, v5, v208 :: v_dual_fmac_f32 v213, v163, v14
	v_fmac_f32_e32 v214, v165, v16
	s_delay_alu instid0(VALU_DEP_4) | instskip(NEXT) | instid1(VALU_DEP_4)
	v_add_f32_e32 v2, v3, v2
	v_fma_f32 v6, v156, v8, -v7
	v_mul_f32_e32 v5, v159, v11
	v_add_f32_e32 v3, v4, v209
	v_mul_f32_e32 v4, v161, v13
	v_dual_mul_f32 v216, v168, v21 :: v_dual_mul_f32 v217, v170, v119
	v_add_f32_e32 v2, v2, v6
	v_fma_f32 v5, v158, v10, -v5
	v_mul_f32_e32 v6, v163, v15
	v_add_f32_e32 v3, v3, v210
	v_fma_f32 v4, v160, v12, -v4
	v_dual_mul_f32 v218, v172, v121 :: v_dual_mul_f32 v219, v174, v123
	s_delay_alu instid0(VALU_DEP_3) | instskip(SKIP_2) | instid1(VALU_DEP_3)
	v_dual_add_f32 v2, v2, v5 :: v_dual_add_f32 v3, v3, v211
	v_mul_f32_e32 v5, v165, v17
	v_fma_f32 v6, v162, v14, -v6
	v_dual_fmac_f32 v215, v167, v18 :: v_dual_add_f32 v2, v2, v4
	s_delay_alu instid0(VALU_DEP_4) | instskip(SKIP_3) | instid1(VALU_DEP_4)
	v_add_f32_e32 v3, v3, v212
	v_mul_f32_e32 v4, v167, v19
	v_fma_f32 v5, v164, v16, -v5
	v_fmac_f32_e32 v216, v169, v20
	v_dual_add_f32 v2, v2, v6 :: v_dual_add_f32 v3, v3, v213
	v_mul_f32_e32 v6, v169, v21
	v_fma_f32 v4, v166, v18, -v4
	v_dual_fmac_f32 v217, v171, v118 :: v_dual_fmac_f32 v218, v173, v120
	s_delay_alu instid0(VALU_DEP_4) | instskip(SKIP_3) | instid1(VALU_DEP_4)
	v_dual_add_f32 v2, v2, v5 :: v_dual_add_f32 v3, v3, v214
	v_mul_f32_e32 v5, v171, v119
	v_fma_f32 v6, v168, v20, -v6
	v_dual_mul_f32 v220, v176, v125 :: v_dual_mul_f32 v221, v178, v127
	v_dual_add_f32 v2, v2, v4 :: v_dual_add_f32 v3, v3, v215
	v_mul_f32_e32 v4, v173, v121
	v_fma_f32 v5, v170, v118, -v5
	v_fmac_f32_e32 v219, v175, v122
	s_delay_alu instid0(VALU_DEP_4) | instskip(SKIP_3) | instid1(VALU_DEP_4)
	v_dual_add_f32 v2, v2, v6 :: v_dual_add_f32 v3, v3, v216
	v_mul_f32_e32 v6, v175, v123
	v_fma_f32 v4, v172, v120, -v4
	v_fmac_f32_e32 v220, v177, v124
	v_add_f32_e32 v2, v2, v5
	v_add_f32_e32 v3, v3, v217
	v_mul_f32_e32 v5, v177, v125
	v_fma_f32 v6, v174, v122, -v6
	v_dual_mul_f32 v222, v180, v129 :: v_dual_mul_f32 v223, v182, v131
	s_delay_alu instid0(VALU_DEP_4) | instskip(SKIP_3) | instid1(VALU_DEP_4)
	v_dual_add_f32 v2, v2, v4 :: v_dual_add_f32 v3, v3, v218
	v_mul_f32_e32 v4, v179, v127
	v_fma_f32 v5, v176, v124, -v5
	v_fmac_f32_e32 v221, v179, v126
	v_dual_add_f32 v2, v2, v6 :: v_dual_add_f32 v3, v3, v219
	v_mul_f32_e32 v6, v181, v129
	v_fma_f32 v4, v178, v126, -v4
	v_fmac_f32_e32 v222, v181, v128
	s_delay_alu instid0(VALU_DEP_4) | instskip(SKIP_2) | instid1(VALU_DEP_3)
	v_dual_add_f32 v2, v2, v5 :: v_dual_add_f32 v3, v3, v220
	v_dual_mul_f32 v5, v183, v131 :: v_dual_mul_f32 v224, v184, v133
	v_mul_f32_e32 v225, v186, v135
	v_dual_add_f32 v2, v2, v4 :: v_dual_add_f32 v3, v3, v221
	v_fma_f32 v6, v180, v128, -v6
	v_dual_mul_f32 v4, v185, v133 :: v_dual_fmac_f32 v223, v183, v130
	v_fma_f32 v5, v182, v130, -v5
	s_delay_alu instid0(VALU_DEP_4) | instskip(NEXT) | instid1(VALU_DEP_4)
	v_dual_add_f32 v3, v3, v222 :: v_dual_fmac_f32 v224, v185, v132
	v_add_f32_e32 v2, v2, v6
	v_mul_f32_e32 v6, v187, v135
	v_dual_mul_f32 v226, v188, v137 :: v_dual_mul_f32 v227, v190, v139
	s_delay_alu instid0(VALU_DEP_4) | instskip(SKIP_3) | instid1(VALU_DEP_4)
	v_add_f32_e32 v3, v3, v223
	v_fma_f32 v4, v184, v132, -v4
	v_dual_add_f32 v2, v2, v5 :: v_dual_fmac_f32 v225, v187, v134
	v_fma_f32 v6, v186, v134, -v6
	v_add_f32_e32 v3, v3, v224
	s_delay_alu instid0(VALU_DEP_3) | instskip(SKIP_1) | instid1(VALU_DEP_3)
	v_dual_mul_f32 v5, v189, v137 :: v_dual_add_f32 v2, v2, v4
	v_dual_fmac_f32 v226, v189, v136 :: v_dual_fmac_f32 v227, v191, v138
	v_add_f32_e32 v3, v3, v225
	v_dual_mul_f32 v228, v192, v141 :: v_dual_mul_f32 v229, v194, v143
	v_mul_f32_e32 v4, v191, v139
	v_fma_f32 v5, v188, v136, -v5
	v_add_f32_e32 v2, v2, v6
	v_dual_mul_f32 v6, v193, v141 :: v_dual_add_f32 v3, v3, v226
	s_delay_alu instid0(VALU_DEP_4) | instskip(SKIP_1) | instid1(VALU_DEP_4)
	v_fma_f32 v4, v190, v138, -v4
	v_fmac_f32_e32 v228, v193, v140
	v_dual_add_f32 v2, v2, v5 :: v_dual_mul_f32 v5, v195, v143
	s_delay_alu instid0(VALU_DEP_4) | instskip(SKIP_1) | instid1(VALU_DEP_3)
	v_add_f32_e32 v3, v3, v227
	v_fma_f32 v6, v192, v140, -v6
	v_dual_fmac_f32 v229, v195, v142 :: v_dual_add_f32 v2, v2, v4
	s_delay_alu instid0(VALU_DEP_3) | instskip(SKIP_2) | instid1(VALU_DEP_3)
	v_dual_mul_f32 v4, v197, v145 :: v_dual_add_f32 v3, v3, v228
	v_dual_mul_f32 v231, v198, v147 :: v_dual_mul_f32 v232, v200, v149
	v_fma_f32 v5, v194, v142, -v5
	v_dual_add_f32 v2, v2, v6 :: v_dual_add_f32 v3, v3, v229
	s_delay_alu instid0(VALU_DEP_3) | instskip(SKIP_2) | instid1(VALU_DEP_3)
	v_dual_fmac_f32 v230, v197, v144 :: v_dual_fmac_f32 v231, v199, v146
	v_mul_f32_e32 v6, v199, v147
	v_fma_f32 v4, v196, v144, -v4
	v_dual_add_f32 v2, v2, v5 :: v_dual_add_f32 v3, v3, v230
	v_mul_f32_e32 v5, v201, v149
	s_delay_alu instid0(VALU_DEP_4) | instskip(SKIP_1) | instid1(VALU_DEP_4)
	v_fma_f32 v6, v198, v146, -v6
	v_dual_fmac_f32 v232, v201, v148 :: v_dual_fmac_f32 v233, v207, v202
	v_dual_add_f32 v2, v2, v4 :: v_dual_add_f32 v3, v3, v231
	v_mul_f32_e32 v4, v207, v203
	v_fma_f32 v5, v200, v148, -v5
	s_delay_alu instid0(VALU_DEP_3) | instskip(NEXT) | instid1(VALU_DEP_3)
	v_dual_add_f32 v2, v2, v6 :: v_dual_add_f32 v3, v3, v232
	v_fma_f32 v4, v206, v202, -v4
	s_delay_alu instid0(VALU_DEP_2) | instskip(SKIP_1) | instid1(VALU_DEP_1)
	v_add_f32_e32 v3, v3, v233
	s_wait_loadcnt 0x0
	v_dual_add_f32 v2, v2, v5 :: v_dual_sub_f32 v3, v205, v3
	s_delay_alu instid0(VALU_DEP_1) | instskip(NEXT) | instid1(VALU_DEP_1)
	v_add_f32_e32 v2, v2, v4
	v_sub_f32_e32 v2, v204, v2
	scratch_store_b64 off, v[2:3], off offset:152
	v_cmpx_lt_u32_e32 18, v0
	s_cbranch_execz .LBB110_259
; %bb.258:
	scratch_load_b64 v[3:4], off, off offset:144
	v_mov_b32_e32 v2, v1
	scratch_store_b64 off, v[1:2], off offset:144
	s_wait_loadcnt 0x0
	ds_store_b64 v23, v[3:4]
.LBB110_259:
	s_wait_alu 0xfffe
	s_or_b32 exec_lo, exec_lo, s0
	s_wait_storecnt_dscnt 0x0
	s_barrier_signal -1
	s_barrier_wait -1
	global_inv scope:SCOPE_SE
	s_clause 0xe
	scratch_load_b128 v[2:5], off, off offset:152
	scratch_load_b128 v[6:9], off, off offset:168
	;; [unrolled: 1-line block ×14, first 2 shown]
	scratch_load_b64 v[210:211], off, off offset:144
	ds_load_2addr_b64 v[154:157], v1 offset0:67 offset1:68
	ds_load_2addr_b64 v[158:161], v1 offset0:69 offset1:70
	;; [unrolled: 1-line block ×14, first 2 shown]
	s_mov_b32 s0, exec_lo
	s_wait_loadcnt_dscnt 0xe0d
	v_dual_mul_f32 v1, v154, v3 :: v_dual_mul_f32 v22, v156, v5
	v_mul_f32_e32 v3, v155, v3
	s_wait_loadcnt_dscnt 0xd0c
	v_dual_mul_f32 v5, v157, v5 :: v_dual_mul_f32 v212, v158, v7
	s_delay_alu instid0(VALU_DEP_3) | instskip(NEXT) | instid1(VALU_DEP_3)
	v_dual_mul_f32 v213, v160, v9 :: v_dual_fmac_f32 v22, v157, v4
	v_fma_f32 v3, v154, v2, -v3
	v_fmac_f32_e32 v1, v155, v2
	v_mul_f32_e32 v2, v159, v7
	v_fma_f32 v4, v156, v4, -v5
	s_delay_alu instid0(VALU_DEP_4)
	v_dual_fmac_f32 v212, v159, v6 :: v_dual_add_f32 v3, 0, v3
	s_wait_loadcnt_dscnt 0xa09
	v_dual_mul_f32 v218, v170, v19 :: v_dual_mul_f32 v219, v172, v21
	v_fma_f32 v2, v158, v6, -v2
	v_dual_mul_f32 v214, v162, v11 :: v_dual_mul_f32 v215, v164, v13
	v_add_f32_e32 v3, v3, v4
	v_dual_mul_f32 v5, v161, v9 :: v_dual_mul_f32 v216, v166, v15
	v_dual_mul_f32 v217, v168, v17 :: v_dual_mul_f32 v4, v163, v11
	s_delay_alu instid0(VALU_DEP_3) | instskip(NEXT) | instid1(VALU_DEP_3)
	v_add_f32_e32 v2, v3, v2
	v_fma_f32 v5, v160, v8, -v5
	v_dual_mul_f32 v3, v165, v13 :: v_dual_fmac_f32 v218, v171, v18
	s_delay_alu instid0(VALU_DEP_4) | instskip(SKIP_1) | instid1(VALU_DEP_4)
	v_fma_f32 v4, v162, v10, -v4
	v_dual_fmac_f32 v213, v161, v8 :: v_dual_fmac_f32 v214, v163, v10
	v_add_f32_e32 v2, v2, v5
	v_add_f32_e32 v1, 0, v1
	v_fma_f32 v3, v164, v12, -v3
	v_fmac_f32_e32 v216, v167, v14
	s_wait_loadcnt_dscnt 0x908
	v_dual_mul_f32 v220, v174, v119 :: v_dual_mul_f32 v221, v176, v121
	v_dual_add_f32 v1, v1, v22 :: v_dual_add_f32 v2, v2, v4
	v_mul_f32_e32 v4, v169, v17
	s_wait_loadcnt_dscnt 0x706
	v_dual_mul_f32 v224, v182, v127 :: v_dual_mul_f32 v225, v184, v129
	s_delay_alu instid0(VALU_DEP_3) | instskip(NEXT) | instid1(VALU_DEP_3)
	v_dual_add_f32 v1, v1, v212 :: v_dual_add_f32 v2, v2, v3
	v_fma_f32 v4, v168, v16, -v4
	v_mul_f32_e32 v5, v167, v15
	v_dual_mul_f32 v222, v178, v123 :: v_dual_mul_f32 v223, v180, v125
	s_wait_loadcnt_dscnt 0x403
	v_dual_add_f32 v1, v1, v213 :: v_dual_mul_f32 v230, v194, v139
	v_mul_f32_e32 v231, v196, v141
	v_fma_f32 v5, v166, v14, -v5
	v_fmac_f32_e32 v215, v165, v12
	s_delay_alu instid0(VALU_DEP_4)
	v_add_f32_e32 v1, v1, v214
	v_fmac_f32_e32 v220, v175, v118
	v_dual_mul_f32 v226, v186, v131 :: v_dual_mul_f32 v227, v188, v133
	v_add_f32_e32 v2, v2, v5
	v_dual_fmac_f32 v222, v179, v122 :: v_dual_fmac_f32 v221, v177, v120
	v_dual_mul_f32 v228, v190, v135 :: v_dual_mul_f32 v229, v192, v137
	s_delay_alu instid0(VALU_DEP_3) | instskip(SKIP_2) | instid1(VALU_DEP_4)
	v_add_f32_e32 v2, v2, v4
	v_mul_f32_e32 v4, v175, v119
	v_add_f32_e32 v1, v1, v215
	v_dual_fmac_f32 v223, v181, v124 :: v_dual_fmac_f32 v228, v191, v134
	s_wait_loadcnt_dscnt 0x100
	v_dual_mul_f32 v236, v206, v151 :: v_dual_mul_f32 v237, v208, v153
	v_fma_f32 v4, v174, v118, -v4
	v_mul_f32_e32 v5, v173, v21
	v_dual_add_f32 v1, v1, v216 :: v_dual_fmac_f32 v224, v183, v126
	v_dual_fmac_f32 v225, v185, v128 :: v_dual_mul_f32 v232, v198, v143
	v_mul_f32_e32 v233, v200, v145
	s_delay_alu instid0(VALU_DEP_4) | instskip(SKIP_2) | instid1(VALU_DEP_4)
	v_fma_f32 v5, v172, v20, -v5
	v_mul_f32_e32 v3, v171, v19
	v_dual_mul_f32 v234, v202, v147 :: v_dual_mul_f32 v235, v204, v149
	v_fmac_f32_e32 v233, v201, v144
	v_fmac_f32_e32 v237, v209, v152
	s_delay_alu instid0(VALU_DEP_4) | instskip(SKIP_3) | instid1(VALU_DEP_4)
	v_fma_f32 v3, v170, v18, -v3
	v_fmac_f32_e32 v217, v169, v16
	v_dual_fmac_f32 v235, v205, v148 :: v_dual_fmac_f32 v230, v195, v138
	v_fmac_f32_e32 v226, v187, v130
	v_dual_add_f32 v2, v2, v3 :: v_dual_mul_f32 v3, v177, v121
	v_fmac_f32_e32 v236, v207, v150
	v_fmac_f32_e32 v232, v199, v142
	;; [unrolled: 1-line block ×3, first 2 shown]
	s_delay_alu instid0(VALU_DEP_4) | instskip(SKIP_1) | instid1(VALU_DEP_2)
	v_dual_add_f32 v2, v2, v5 :: v_dual_mul_f32 v5, v179, v123
	v_fma_f32 v3, v176, v120, -v3
	v_dual_add_f32 v2, v2, v4 :: v_dual_add_f32 v1, v1, v217
	v_mul_f32_e32 v4, v181, v125
	s_delay_alu instid0(VALU_DEP_4) | instskip(NEXT) | instid1(VALU_DEP_3)
	v_fma_f32 v5, v178, v122, -v5
	v_dual_add_f32 v2, v2, v3 :: v_dual_fmac_f32 v219, v173, v20
	s_delay_alu instid0(VALU_DEP_3) | instskip(NEXT) | instid1(VALU_DEP_2)
	v_fma_f32 v4, v180, v124, -v4
	v_add_f32_e32 v2, v2, v5
	v_mul_f32_e32 v5, v185, v129
	s_delay_alu instid0(VALU_DEP_2) | instskip(NEXT) | instid1(VALU_DEP_2)
	v_dual_add_f32 v1, v1, v218 :: v_dual_add_f32 v2, v2, v4
	v_fma_f32 v5, v184, v128, -v5
	v_mul_f32_e32 v3, v183, v127
	s_delay_alu instid0(VALU_DEP_3) | instskip(SKIP_1) | instid1(VALU_DEP_3)
	v_add_f32_e32 v1, v1, v219
	v_mul_f32_e32 v4, v187, v131
	v_fma_f32 v3, v182, v126, -v3
	s_delay_alu instid0(VALU_DEP_3) | instskip(NEXT) | instid1(VALU_DEP_3)
	v_add_f32_e32 v1, v1, v220
	v_fma_f32 v4, v186, v130, -v4
	s_delay_alu instid0(VALU_DEP_3) | instskip(NEXT) | instid1(VALU_DEP_1)
	v_add_f32_e32 v2, v2, v3
	v_add_f32_e32 v2, v2, v5
	s_delay_alu instid0(VALU_DEP_4) | instskip(NEXT) | instid1(VALU_DEP_2)
	v_add_f32_e32 v1, v1, v221
	v_dual_mul_f32 v5, v191, v135 :: v_dual_add_f32 v2, v2, v4
	v_mul_f32_e32 v4, v193, v137
	s_delay_alu instid0(VALU_DEP_2) | instskip(NEXT) | instid1(VALU_DEP_2)
	v_fma_f32 v5, v190, v134, -v5
	v_fma_f32 v4, v192, v136, -v4
	v_mul_f32_e32 v3, v189, v133
	s_delay_alu instid0(VALU_DEP_1) | instskip(NEXT) | instid1(VALU_DEP_1)
	v_fma_f32 v3, v188, v132, -v3
	v_dual_add_f32 v1, v1, v222 :: v_dual_add_f32 v2, v2, v3
	s_delay_alu instid0(VALU_DEP_1) | instskip(NEXT) | instid1(VALU_DEP_2)
	v_add_f32_e32 v1, v1, v223
	v_dual_mul_f32 v3, v195, v139 :: v_dual_add_f32 v2, v2, v5
	v_mul_f32_e32 v5, v197, v141
	s_delay_alu instid0(VALU_DEP_2) | instskip(NEXT) | instid1(VALU_DEP_3)
	v_fma_f32 v3, v194, v138, -v3
	v_add_f32_e32 v2, v2, v4
	v_dual_add_f32 v1, v1, v224 :: v_dual_mul_f32 v4, v199, v143
	s_delay_alu instid0(VALU_DEP_4) | instskip(NEXT) | instid1(VALU_DEP_2)
	v_fma_f32 v5, v196, v140, -v5
	v_dual_add_f32 v2, v2, v3 :: v_dual_add_f32 v1, v1, v225
	v_fmac_f32_e32 v227, v189, v132
	v_mul_f32_e32 v3, v201, v145
	v_fma_f32 v4, v198, v142, -v4
	s_delay_alu instid0(VALU_DEP_4) | instskip(SKIP_1) | instid1(VALU_DEP_4)
	v_dual_add_f32 v2, v2, v5 :: v_dual_add_f32 v1, v1, v226
	v_mul_f32_e32 v5, v203, v147
	v_fma_f32 v3, v200, v144, -v3
	s_delay_alu instid0(VALU_DEP_3) | instskip(SKIP_3) | instid1(VALU_DEP_4)
	v_dual_add_f32 v2, v2, v4 :: v_dual_add_f32 v1, v1, v227
	v_fmac_f32_e32 v229, v193, v136
	v_mul_f32_e32 v4, v205, v149
	v_fma_f32 v5, v202, v146, -v5
	v_dual_add_f32 v2, v2, v3 :: v_dual_add_f32 v1, v1, v228
	v_mul_f32_e32 v3, v207, v151
	s_delay_alu instid0(VALU_DEP_4) | instskip(NEXT) | instid1(VALU_DEP_3)
	v_fma_f32 v4, v204, v148, -v4
	v_add_f32_e32 v2, v2, v5
	s_delay_alu instid0(VALU_DEP_4) | instskip(SKIP_2) | instid1(VALU_DEP_4)
	v_add_f32_e32 v1, v1, v229
	v_mul_f32_e32 v5, v209, v153
	v_fma_f32 v3, v206, v150, -v3
	v_add_f32_e32 v2, v2, v4
	v_fmac_f32_e32 v231, v197, v140
	s_delay_alu instid0(VALU_DEP_4) | instskip(NEXT) | instid1(VALU_DEP_3)
	v_fma_f32 v4, v208, v152, -v5
	v_dual_add_f32 v2, v2, v3 :: v_dual_add_f32 v1, v1, v230
	s_delay_alu instid0(VALU_DEP_1) | instskip(NEXT) | instid1(VALU_DEP_1)
	v_dual_add_f32 v2, v2, v4 :: v_dual_add_f32 v1, v1, v231
	v_add_f32_e32 v1, v1, v232
	s_delay_alu instid0(VALU_DEP_1) | instskip(NEXT) | instid1(VALU_DEP_1)
	v_add_f32_e32 v1, v1, v233
	v_add_f32_e32 v1, v1, v234
	s_delay_alu instid0(VALU_DEP_1) | instskip(NEXT) | instid1(VALU_DEP_1)
	v_add_f32_e32 v1, v1, v235
	v_add_f32_e32 v1, v1, v236
	s_delay_alu instid0(VALU_DEP_1) | instskip(SKIP_1) | instid1(VALU_DEP_1)
	v_add_f32_e32 v3, v1, v237
	s_wait_loadcnt 0x0
	v_dual_sub_f32 v1, v210, v2 :: v_dual_sub_f32 v2, v211, v3
	scratch_store_b64 off, v[1:2], off offset:144
	v_cmpx_lt_u32_e32 17, v0
	s_cbranch_execz .LBB110_261
; %bb.260:
	scratch_load_b64 v[1:2], off, off offset:136
	v_mov_b32_e32 v3, 0
	s_delay_alu instid0(VALU_DEP_1)
	v_mov_b32_e32 v4, v3
	scratch_store_b64 off, v[3:4], off offset:136
	s_wait_loadcnt 0x0
	ds_store_b64 v23, v[1:2]
.LBB110_261:
	s_wait_alu 0xfffe
	s_or_b32 exec_lo, exec_lo, s0
	s_wait_storecnt_dscnt 0x0
	s_barrier_signal -1
	s_barrier_wait -1
	global_inv scope:SCOPE_SE
	s_clause 0xf
	scratch_load_b128 v[2:5], off, off offset:144
	scratch_load_b128 v[6:9], off, off offset:160
	;; [unrolled: 1-line block ×14, first 2 shown]
	scratch_load_b64 v[210:211], off, off offset:368
	scratch_load_b64 v[212:213], off, off offset:136
	v_mov_b32_e32 v1, 0
	ds_load_b128 v[154:157], v1 offset:528
	ds_load_b128 v[158:161], v1 offset:544
	;; [unrolled: 1-line block ×14, first 2 shown]
	ds_load_b64 v[214:215], v1 offset:752
	s_mov_b32 s0, exec_lo
	s_wait_loadcnt_dscnt 0xf0e
	v_mul_f32_e32 v22, v154, v3
	s_wait_loadcnt_dscnt 0xe0d
	v_dual_mul_f32 v216, v156, v5 :: v_dual_mul_f32 v217, v158, v7
	v_mul_f32_e32 v5, v157, v5
	s_wait_loadcnt_dscnt 0xd0c
	v_dual_mul_f32 v218, v160, v9 :: v_dual_mul_f32 v219, v162, v11
	s_wait_loadcnt_dscnt 0xc0b
	v_dual_mul_f32 v220, v164, v13 :: v_dual_mul_f32 v221, v166, v15
	v_dual_mul_f32 v3, v155, v3 :: v_dual_mul_f32 v222, v168, v17
	s_wait_loadcnt_dscnt 0xb0a
	v_dual_mul_f32 v223, v170, v19 :: v_dual_fmac_f32 v22, v155, v2
	s_wait_loadcnt_dscnt 0x302
	v_mul_f32_e32 v240, v204, v149
	v_fma_f32 v3, v154, v2, -v3
	s_wait_loadcnt_dscnt 0x100
	v_mul_f32_e32 v243, v214, v211
	v_mul_f32_e32 v2, v159, v7
	v_fmac_f32_e32 v216, v157, v4
	v_fma_f32 v4, v156, v4, -v5
	v_add_f32_e32 v3, 0, v3
	v_dual_add_f32 v5, 0, v22 :: v_dual_fmac_f32 v218, v161, v8
	v_fmac_f32_e32 v217, v159, v6
	v_fma_f32 v2, v158, v6, -v2
	s_delay_alu instid0(VALU_DEP_4) | instskip(SKIP_3) | instid1(VALU_DEP_4)
	v_add_f32_e32 v3, v3, v4
	v_mul_f32_e32 v7, v161, v9
	v_dual_add_f32 v4, v5, v216 :: v_dual_fmac_f32 v219, v163, v10
	v_fmac_f32_e32 v220, v165, v12
	v_add_f32_e32 v2, v3, v2
	s_delay_alu instid0(VALU_DEP_4)
	v_fma_f32 v6, v160, v8, -v7
	v_mul_f32_e32 v5, v163, v11
	v_add_f32_e32 v3, v4, v217
	v_dual_mul_f32 v4, v165, v13 :: v_dual_fmac_f32 v221, v167, v14
	v_fmac_f32_e32 v222, v169, v16
	v_add_f32_e32 v2, v2, v6
	v_fma_f32 v5, v162, v10, -v5
	v_mul_f32_e32 v6, v167, v15
	v_add_f32_e32 v3, v3, v218
	v_fma_f32 v4, v164, v12, -v4
	v_dual_mul_f32 v224, v172, v21 :: v_dual_mul_f32 v225, v174, v119
	s_delay_alu instid0(VALU_DEP_3) | instskip(SKIP_3) | instid1(VALU_DEP_4)
	v_dual_add_f32 v2, v2, v5 :: v_dual_add_f32 v3, v3, v219
	v_mul_f32_e32 v5, v169, v17
	v_fma_f32 v6, v166, v14, -v6
	v_dual_mul_f32 v226, v176, v121 :: v_dual_mul_f32 v227, v178, v123
	v_add_f32_e32 v2, v2, v4
	v_add_f32_e32 v3, v3, v220
	v_mul_f32_e32 v4, v171, v19
	v_fma_f32 v5, v168, v16, -v5
	v_fmac_f32_e32 v223, v171, v18
	s_delay_alu instid0(VALU_DEP_4) | instskip(SKIP_3) | instid1(VALU_DEP_4)
	v_dual_add_f32 v2, v2, v6 :: v_dual_add_f32 v3, v3, v221
	v_fmac_f32_e32 v224, v173, v20
	v_mul_f32_e32 v6, v173, v21
	v_fma_f32 v4, v170, v18, -v4
	v_dual_add_f32 v2, v2, v5 :: v_dual_add_f32 v3, v3, v222
	v_mul_f32_e32 v5, v175, v119
	s_delay_alu instid0(VALU_DEP_4) | instskip(SKIP_1) | instid1(VALU_DEP_4)
	v_fma_f32 v6, v172, v20, -v6
	v_dual_fmac_f32 v225, v175, v118 :: v_dual_fmac_f32 v226, v177, v120
	v_dual_add_f32 v2, v2, v4 :: v_dual_add_f32 v3, v3, v223
	v_mul_f32_e32 v4, v177, v121
	v_fma_f32 v5, v174, v118, -v5
	v_fmac_f32_e32 v227, v179, v122
	s_delay_alu instid0(VALU_DEP_4) | instskip(SKIP_3) | instid1(VALU_DEP_4)
	v_dual_add_f32 v2, v2, v6 :: v_dual_add_f32 v3, v3, v224
	v_mul_f32_e32 v6, v179, v123
	v_fma_f32 v4, v176, v120, -v4
	v_dual_mul_f32 v228, v180, v125 :: v_dual_mul_f32 v229, v182, v127
	v_add_f32_e32 v2, v2, v5
	v_add_f32_e32 v3, v3, v225
	v_mul_f32_e32 v5, v181, v125
	v_fma_f32 v6, v178, v122, -v6
	v_fmac_f32_e32 v228, v181, v124
	s_delay_alu instid0(VALU_DEP_4) | instskip(SKIP_3) | instid1(VALU_DEP_4)
	v_dual_add_f32 v2, v2, v4 :: v_dual_add_f32 v3, v3, v226
	v_mul_f32_e32 v4, v183, v127
	v_fma_f32 v5, v180, v124, -v5
	v_dual_mul_f32 v230, v184, v129 :: v_dual_mul_f32 v231, v186, v131
	v_dual_add_f32 v2, v2, v6 :: v_dual_add_f32 v3, v3, v227
	v_dual_mul_f32 v6, v185, v129 :: v_dual_fmac_f32 v229, v183, v126
	v_fma_f32 v4, v182, v126, -v4
	s_delay_alu instid0(VALU_DEP_3) | instskip(SKIP_3) | instid1(VALU_DEP_4)
	v_dual_add_f32 v2, v2, v5 :: v_dual_add_f32 v3, v3, v228
	v_dual_mul_f32 v232, v188, v133 :: v_dual_mul_f32 v233, v190, v135
	v_dual_mul_f32 v5, v187, v131 :: v_dual_fmac_f32 v230, v185, v128
	v_fma_f32 v6, v184, v128, -v6
	v_dual_add_f32 v2, v2, v4 :: v_dual_add_f32 v3, v3, v229
	v_dual_mul_f32 v4, v189, v133 :: v_dual_fmac_f32 v231, v187, v130
	s_delay_alu instid0(VALU_DEP_4) | instskip(NEXT) | instid1(VALU_DEP_3)
	v_fma_f32 v5, v186, v130, -v5
	v_dual_fmac_f32 v232, v189, v132 :: v_dual_add_f32 v3, v3, v230
	s_delay_alu instid0(VALU_DEP_4) | instskip(SKIP_3) | instid1(VALU_DEP_4)
	v_add_f32_e32 v2, v2, v6
	v_mul_f32_e32 v6, v191, v135
	v_fma_f32 v4, v188, v132, -v4
	v_dual_mul_f32 v234, v192, v137 :: v_dual_mul_f32 v235, v194, v139
	v_dual_add_f32 v3, v3, v231 :: v_dual_add_f32 v2, v2, v5
	v_fmac_f32_e32 v233, v191, v134
	v_mul_f32_e32 v5, v193, v137
	v_fma_f32 v6, v190, v134, -v6
	s_delay_alu instid0(VALU_DEP_4) | instskip(SKIP_4) | instid1(VALU_DEP_4)
	v_add_f32_e32 v3, v3, v232
	v_add_f32_e32 v2, v2, v4
	v_mul_f32_e32 v4, v195, v139
	v_dual_fmac_f32 v234, v193, v136 :: v_dual_fmac_f32 v235, v195, v138
	v_fma_f32 v5, v192, v136, -v5
	v_dual_add_f32 v3, v3, v233 :: v_dual_add_f32 v2, v2, v6
	v_dual_mul_f32 v236, v196, v141 :: v_dual_mul_f32 v237, v198, v143
	s_delay_alu instid0(VALU_DEP_2) | instskip(SKIP_1) | instid1(VALU_DEP_4)
	v_dual_mul_f32 v6, v197, v141 :: v_dual_add_f32 v3, v3, v234
	v_fma_f32 v4, v194, v138, -v4
	v_dual_add_f32 v2, v2, v5 :: v_dual_mul_f32 v5, v199, v143
	s_delay_alu instid0(VALU_DEP_3) | instskip(NEXT) | instid1(VALU_DEP_4)
	v_dual_fmac_f32 v236, v197, v140 :: v_dual_add_f32 v3, v3, v235
	v_fma_f32 v6, v196, v140, -v6
	s_delay_alu instid0(VALU_DEP_3) | instskip(SKIP_1) | instid1(VALU_DEP_4)
	v_dual_add_f32 v2, v2, v4 :: v_dual_fmac_f32 v237, v199, v142
	v_dual_mul_f32 v238, v200, v145 :: v_dual_mul_f32 v239, v202, v147
	v_dual_mul_f32 v4, v201, v145 :: v_dual_add_f32 v3, v3, v236
	v_fma_f32 v5, v198, v142, -v5
	s_delay_alu instid0(VALU_DEP_4)
	v_add_f32_e32 v2, v2, v6
	v_mul_f32_e32 v6, v203, v147
	v_dual_fmac_f32 v238, v201, v144 :: v_dual_fmac_f32 v239, v203, v146
	v_fma_f32 v4, v200, v144, -v4
	v_add_f32_e32 v3, v3, v237
	v_add_f32_e32 v2, v2, v5
	v_dual_mul_f32 v241, v206, v151 :: v_dual_mul_f32 v242, v208, v153
	v_mul_f32_e32 v5, v205, v149
	v_fma_f32 v6, v202, v146, -v6
	s_delay_alu instid0(VALU_DEP_4) | instskip(SKIP_3) | instid1(VALU_DEP_4)
	v_dual_add_f32 v3, v3, v238 :: v_dual_add_f32 v2, v2, v4
	v_mul_f32_e32 v4, v207, v151
	v_dual_fmac_f32 v240, v205, v148 :: v_dual_fmac_f32 v241, v207, v150
	v_fma_f32 v5, v204, v148, -v5
	v_dual_add_f32 v3, v3, v239 :: v_dual_add_f32 v2, v2, v6
	v_mul_f32_e32 v6, v209, v153
	v_fma_f32 v4, v206, v150, -v4
	v_fmac_f32_e32 v243, v215, v210
	s_delay_alu instid0(VALU_DEP_4) | instskip(SKIP_2) | instid1(VALU_DEP_3)
	v_dual_add_f32 v3, v3, v240 :: v_dual_add_f32 v2, v2, v5
	v_dual_mul_f32 v5, v215, v211 :: v_dual_fmac_f32 v242, v209, v152
	v_fma_f32 v6, v208, v152, -v6
	v_dual_add_f32 v3, v3, v241 :: v_dual_add_f32 v2, v2, v4
	s_delay_alu instid0(VALU_DEP_3) | instskip(NEXT) | instid1(VALU_DEP_2)
	v_fma_f32 v4, v214, v210, -v5
	v_add_f32_e32 v3, v3, v242
	s_delay_alu instid0(VALU_DEP_1) | instskip(SKIP_1) | instid1(VALU_DEP_1)
	v_dual_add_f32 v2, v2, v6 :: v_dual_add_f32 v3, v3, v243
	s_wait_loadcnt 0x0
	v_dual_add_f32 v2, v2, v4 :: v_dual_sub_f32 v3, v213, v3
	s_delay_alu instid0(VALU_DEP_1)
	v_sub_f32_e32 v2, v212, v2
	scratch_store_b64 off, v[2:3], off offset:136
	v_cmpx_lt_u32_e32 16, v0
	s_cbranch_execz .LBB110_263
; %bb.262:
	scratch_load_b64 v[3:4], off, off offset:128
	v_mov_b32_e32 v2, v1
	scratch_store_b64 off, v[1:2], off offset:128
	s_wait_loadcnt 0x0
	ds_store_b64 v23, v[3:4]
.LBB110_263:
	s_wait_alu 0xfffe
	s_or_b32 exec_lo, exec_lo, s0
	s_wait_storecnt_dscnt 0x0
	s_barrier_signal -1
	s_barrier_wait -1
	global_inv scope:SCOPE_SE
	s_clause 0xf
	scratch_load_b128 v[2:5], off, off offset:136
	scratch_load_b128 v[6:9], off, off offset:152
	;; [unrolled: 1-line block ×15, first 2 shown]
	scratch_load_b64 v[218:219], off, off offset:128
	ds_load_2addr_b64 v[158:161], v1 offset0:65 offset1:66
	ds_load_2addr_b64 v[162:165], v1 offset0:67 offset1:68
	;; [unrolled: 1-line block ×15, first 2 shown]
	s_mov_b32 s0, exec_lo
	s_wait_loadcnt_dscnt 0xf0e
	v_dual_mul_f32 v1, v158, v3 :: v_dual_mul_f32 v22, v160, v5
	v_mul_f32_e32 v3, v159, v3
	s_wait_loadcnt_dscnt 0xe0d
	v_dual_mul_f32 v5, v161, v5 :: v_dual_mul_f32 v220, v162, v7
	s_delay_alu instid0(VALU_DEP_3) | instskip(NEXT) | instid1(VALU_DEP_3)
	v_dual_mul_f32 v221, v164, v9 :: v_dual_fmac_f32 v22, v161, v4
	v_fma_f32 v3, v158, v2, -v3
	v_fmac_f32_e32 v1, v159, v2
	v_mul_f32_e32 v2, v163, v7
	v_fma_f32 v4, v160, v4, -v5
	s_delay_alu instid0(VALU_DEP_4)
	v_dual_fmac_f32 v220, v163, v6 :: v_dual_add_f32 v3, 0, v3
	s_wait_loadcnt_dscnt 0xb0a
	v_dual_mul_f32 v226, v174, v19 :: v_dual_mul_f32 v227, v176, v21
	v_fma_f32 v2, v162, v6, -v2
	v_dual_mul_f32 v222, v166, v11 :: v_dual_mul_f32 v223, v168, v13
	v_add_f32_e32 v3, v3, v4
	v_dual_mul_f32 v5, v165, v9 :: v_dual_mul_f32 v224, v170, v15
	v_dual_mul_f32 v225, v172, v17 :: v_dual_mul_f32 v4, v167, v11
	s_delay_alu instid0(VALU_DEP_3) | instskip(NEXT) | instid1(VALU_DEP_3)
	v_add_f32_e32 v2, v3, v2
	v_fma_f32 v5, v164, v8, -v5
	v_dual_mul_f32 v3, v169, v13 :: v_dual_fmac_f32 v226, v175, v18
	s_delay_alu instid0(VALU_DEP_4) | instskip(SKIP_1) | instid1(VALU_DEP_4)
	v_fma_f32 v4, v166, v10, -v4
	v_dual_fmac_f32 v221, v165, v8 :: v_dual_fmac_f32 v222, v167, v10
	v_add_f32_e32 v2, v2, v5
	v_add_f32_e32 v1, 0, v1
	v_fma_f32 v3, v168, v12, -v3
	v_fmac_f32_e32 v224, v171, v14
	s_wait_loadcnt_dscnt 0xa09
	v_dual_mul_f32 v228, v178, v119 :: v_dual_mul_f32 v229, v180, v121
	v_dual_add_f32 v1, v1, v22 :: v_dual_add_f32 v2, v2, v4
	v_mul_f32_e32 v4, v173, v17
	s_wait_loadcnt_dscnt 0x807
	v_dual_mul_f32 v232, v186, v127 :: v_dual_mul_f32 v233, v188, v129
	s_delay_alu instid0(VALU_DEP_3) | instskip(NEXT) | instid1(VALU_DEP_3)
	v_dual_add_f32 v1, v1, v220 :: v_dual_add_f32 v2, v2, v3
	v_fma_f32 v4, v172, v16, -v4
	v_mul_f32_e32 v5, v171, v15
	v_dual_mul_f32 v230, v182, v123 :: v_dual_mul_f32 v231, v184, v125
	s_wait_loadcnt_dscnt 0x504
	v_dual_add_f32 v1, v1, v221 :: v_dual_mul_f32 v238, v198, v139
	v_mul_f32_e32 v239, v200, v141
	v_fma_f32 v5, v170, v14, -v5
	v_fmac_f32_e32 v223, v169, v12
	s_delay_alu instid0(VALU_DEP_4)
	v_add_f32_e32 v1, v1, v222
	v_fmac_f32_e32 v228, v179, v118
	v_dual_mul_f32 v234, v190, v131 :: v_dual_mul_f32 v235, v192, v133
	v_add_f32_e32 v2, v2, v5
	v_dual_fmac_f32 v230, v183, v122 :: v_dual_fmac_f32 v229, v181, v120
	v_dual_mul_f32 v236, v194, v135 :: v_dual_mul_f32 v237, v196, v137
	s_delay_alu instid0(VALU_DEP_3) | instskip(SKIP_2) | instid1(VALU_DEP_4)
	v_add_f32_e32 v2, v2, v4
	v_mul_f32_e32 v4, v179, v119
	v_add_f32_e32 v1, v1, v223
	v_dual_fmac_f32 v231, v185, v124 :: v_dual_fmac_f32 v236, v195, v134
	s_wait_loadcnt_dscnt 0x201
	v_dual_mul_f32 v244, v210, v151 :: v_dual_mul_f32 v245, v212, v153
	v_fma_f32 v4, v178, v118, -v4
	v_mul_f32_e32 v5, v177, v21
	v_dual_add_f32 v1, v1, v224 :: v_dual_fmac_f32 v232, v187, v126
	v_dual_fmac_f32 v233, v189, v128 :: v_dual_mul_f32 v240, v202, v143
	v_mul_f32_e32 v241, v204, v145
	s_delay_alu instid0(VALU_DEP_4) | instskip(SKIP_4) | instid1(VALU_DEP_3)
	v_fma_f32 v5, v176, v20, -v5
	v_mul_f32_e32 v3, v175, v19
	s_wait_loadcnt_dscnt 0x100
	v_dual_mul_f32 v246, v214, v155 :: v_dual_mul_f32 v247, v216, v157
	v_dual_mul_f32 v242, v206, v147 :: v_dual_mul_f32 v243, v208, v149
	v_fma_f32 v3, v174, v18, -v3
	v_fmac_f32_e32 v225, v173, v16
	v_fmac_f32_e32 v239, v201, v140
	;; [unrolled: 1-line block ×3, first 2 shown]
	s_delay_alu instid0(VALU_DEP_4) | instskip(SKIP_3) | instid1(VALU_DEP_4)
	v_dual_fmac_f32 v243, v209, v148 :: v_dual_add_f32 v2, v2, v3
	v_mul_f32_e32 v3, v181, v121
	v_dual_fmac_f32 v247, v217, v156 :: v_dual_fmac_f32 v238, v199, v138
	v_fmac_f32_e32 v234, v191, v130
	v_dual_add_f32 v2, v2, v5 :: v_dual_mul_f32 v5, v183, v123
	s_delay_alu instid0(VALU_DEP_4) | instskip(SKIP_2) | instid1(VALU_DEP_4)
	v_fma_f32 v3, v180, v120, -v3
	v_fmac_f32_e32 v244, v211, v150
	v_fmac_f32_e32 v240, v203, v142
	v_dual_add_f32 v2, v2, v4 :: v_dual_add_f32 v1, v1, v225
	v_mul_f32_e32 v4, v185, v125
	v_fma_f32 v5, v182, v122, -v5
	v_fmac_f32_e32 v246, v215, v154
	s_delay_alu instid0(VALU_DEP_4) | instskip(NEXT) | instid1(VALU_DEP_4)
	v_dual_add_f32 v2, v2, v3 :: v_dual_fmac_f32 v227, v177, v20
	v_fma_f32 v4, v184, v124, -v4
	v_fmac_f32_e32 v242, v207, v146
	s_delay_alu instid0(VALU_DEP_3) | instskip(SKIP_1) | instid1(VALU_DEP_2)
	v_add_f32_e32 v2, v2, v5
	v_mul_f32_e32 v5, v189, v129
	v_dual_add_f32 v1, v1, v226 :: v_dual_add_f32 v2, v2, v4
	s_delay_alu instid0(VALU_DEP_2) | instskip(SKIP_1) | instid1(VALU_DEP_3)
	v_fma_f32 v5, v188, v128, -v5
	v_mul_f32_e32 v3, v187, v127
	v_add_f32_e32 v1, v1, v227
	v_mul_f32_e32 v4, v191, v131
	s_delay_alu instid0(VALU_DEP_3) | instskip(NEXT) | instid1(VALU_DEP_3)
	v_fma_f32 v3, v186, v126, -v3
	v_add_f32_e32 v1, v1, v228
	s_delay_alu instid0(VALU_DEP_3) | instskip(NEXT) | instid1(VALU_DEP_3)
	v_fma_f32 v4, v190, v130, -v4
	v_add_f32_e32 v2, v2, v3
	s_delay_alu instid0(VALU_DEP_1) | instskip(NEXT) | instid1(VALU_DEP_4)
	v_add_f32_e32 v2, v2, v5
	v_add_f32_e32 v1, v1, v229
	s_delay_alu instid0(VALU_DEP_2) | instskip(SKIP_1) | instid1(VALU_DEP_2)
	v_dual_mul_f32 v5, v195, v135 :: v_dual_add_f32 v2, v2, v4
	v_mul_f32_e32 v4, v197, v137
	v_fma_f32 v5, v194, v134, -v5
	s_delay_alu instid0(VALU_DEP_2) | instskip(SKIP_1) | instid1(VALU_DEP_1)
	v_fma_f32 v4, v196, v136, -v4
	v_mul_f32_e32 v3, v193, v133
	v_fma_f32 v3, v192, v132, -v3
	s_delay_alu instid0(VALU_DEP_1) | instskip(NEXT) | instid1(VALU_DEP_1)
	v_dual_add_f32 v1, v1, v230 :: v_dual_add_f32 v2, v2, v3
	v_add_f32_e32 v1, v1, v231
	s_delay_alu instid0(VALU_DEP_2) | instskip(SKIP_1) | instid1(VALU_DEP_2)
	v_dual_mul_f32 v3, v199, v139 :: v_dual_add_f32 v2, v2, v5
	v_mul_f32_e32 v5, v201, v141
	v_fma_f32 v3, v198, v138, -v3
	s_delay_alu instid0(VALU_DEP_3) | instskip(SKIP_1) | instid1(VALU_DEP_4)
	v_add_f32_e32 v2, v2, v4
	v_dual_add_f32 v1, v1, v232 :: v_dual_mul_f32 v4, v203, v143
	v_fma_f32 v5, v200, v140, -v5
	s_delay_alu instid0(VALU_DEP_2) | instskip(SKIP_3) | instid1(VALU_DEP_4)
	v_dual_add_f32 v2, v2, v3 :: v_dual_add_f32 v1, v1, v233
	v_fmac_f32_e32 v235, v193, v132
	v_mul_f32_e32 v3, v205, v145
	v_fma_f32 v4, v202, v142, -v4
	v_dual_add_f32 v2, v2, v5 :: v_dual_add_f32 v1, v1, v234
	v_mul_f32_e32 v5, v207, v147
	s_delay_alu instid0(VALU_DEP_4) | instskip(NEXT) | instid1(VALU_DEP_3)
	v_fma_f32 v3, v204, v144, -v3
	v_dual_add_f32 v2, v2, v4 :: v_dual_add_f32 v1, v1, v235
	v_fmac_f32_e32 v237, v197, v136
	v_mul_f32_e32 v4, v209, v149
	v_fma_f32 v5, v206, v146, -v5
	s_delay_alu instid0(VALU_DEP_4) | instskip(SKIP_1) | instid1(VALU_DEP_4)
	v_dual_add_f32 v2, v2, v3 :: v_dual_add_f32 v1, v1, v236
	v_mul_f32_e32 v3, v211, v151
	v_fma_f32 v4, v208, v148, -v4
	s_delay_alu instid0(VALU_DEP_3) | instskip(NEXT) | instid1(VALU_DEP_4)
	v_add_f32_e32 v2, v2, v5
	v_add_f32_e32 v1, v1, v237
	v_mul_f32_e32 v5, v213, v153
	v_fma_f32 v3, v210, v150, -v3
	s_delay_alu instid0(VALU_DEP_3) | instskip(SKIP_1) | instid1(VALU_DEP_4)
	v_dual_add_f32 v2, v2, v4 :: v_dual_add_f32 v1, v1, v238
	v_mul_f32_e32 v4, v215, v155
	v_fma_f32 v5, v212, v152, -v5
	s_delay_alu instid0(VALU_DEP_3) | instskip(NEXT) | instid1(VALU_DEP_4)
	v_add_f32_e32 v2, v2, v3
	v_add_f32_e32 v1, v1, v239
	v_mul_f32_e32 v3, v217, v157
	v_fma_f32 v4, v214, v154, -v4
	s_delay_alu instid0(VALU_DEP_3) | instskip(NEXT) | instid1(VALU_DEP_3)
	v_dual_add_f32 v2, v2, v5 :: v_dual_add_f32 v1, v1, v240
	v_fma_f32 v3, v216, v156, -v3
	s_delay_alu instid0(VALU_DEP_2) | instskip(NEXT) | instid1(VALU_DEP_1)
	v_add_f32_e32 v2, v2, v4
	v_dual_fmac_f32 v241, v205, v144 :: v_dual_add_f32 v2, v2, v3
	s_delay_alu instid0(VALU_DEP_1) | instskip(NEXT) | instid1(VALU_DEP_1)
	v_add_f32_e32 v1, v1, v241
	v_add_f32_e32 v1, v1, v242
	s_delay_alu instid0(VALU_DEP_1) | instskip(NEXT) | instid1(VALU_DEP_1)
	v_add_f32_e32 v1, v1, v243
	v_add_f32_e32 v1, v1, v244
	;; [unrolled: 3-line block ×3, first 2 shown]
	s_delay_alu instid0(VALU_DEP_1) | instskip(SKIP_1) | instid1(VALU_DEP_1)
	v_add_f32_e32 v3, v1, v247
	s_wait_loadcnt 0x0
	v_dual_sub_f32 v1, v218, v2 :: v_dual_sub_f32 v2, v219, v3
	scratch_store_b64 off, v[1:2], off offset:128
	v_cmpx_lt_u32_e32 15, v0
	s_cbranch_execz .LBB110_265
; %bb.264:
	scratch_load_b64 v[1:2], off, off offset:120
	v_mov_b32_e32 v3, 0
	s_delay_alu instid0(VALU_DEP_1)
	v_mov_b32_e32 v4, v3
	scratch_store_b64 off, v[3:4], off offset:120
	s_wait_loadcnt 0x0
	ds_store_b64 v23, v[1:2]
.LBB110_265:
	s_wait_alu 0xfffe
	s_or_b32 exec_lo, exec_lo, s0
	s_wait_storecnt_dscnt 0x0
	s_barrier_signal -1
	s_barrier_wait -1
	global_inv scope:SCOPE_SE
	s_clause 0x10
	scratch_load_b128 v[1:4], off, off offset:128
	scratch_load_b128 v[5:8], off, off offset:144
	;; [unrolled: 1-line block ×15, first 2 shown]
	scratch_load_b64 v[218:219], off, off offset:368
	scratch_load_b64 v[220:221], off, off offset:120
	v_mov_b32_e32 v21, 0
	ds_load_b128 v[158:161], v21 offset:512
	ds_load_b128 v[162:165], v21 offset:528
	;; [unrolled: 1-line block ×15, first 2 shown]
	ds_load_b64 v[222:223], v21 offset:752
	s_mov_b32 s0, exec_lo
	s_wait_loadcnt_dscnt 0x100f
	v_mul_f32_e32 v22, v158, v2
	v_mul_f32_e32 v2, v159, v2
	s_wait_loadcnt_dscnt 0xf0e
	v_dual_mul_f32 v224, v160, v4 :: v_dual_mul_f32 v225, v162, v6
	v_mul_f32_e32 v4, v161, v4
	s_wait_loadcnt_dscnt 0xe0d
	v_dual_mul_f32 v226, v164, v8 :: v_dual_mul_f32 v227, v166, v10
	s_delay_alu instid0(VALU_DEP_3)
	v_fmac_f32_e32 v224, v161, v3
	v_fmac_f32_e32 v22, v159, v1
	;; [unrolled: 1-line block ×3, first 2 shown]
	v_fma_f32 v3, v160, v3, -v4
	v_dual_fmac_f32 v227, v167, v9 :: v_dual_mul_f32 v228, v168, v12
	s_wait_loadcnt_dscnt 0x201
	v_dual_mul_f32 v229, v170, v14 :: v_dual_mul_f32 v252, v216, v157
	s_wait_loadcnt_dscnt 0x100
	v_mul_f32_e32 v253, v222, v219
	v_fma_f32 v2, v158, v1, -v2
	v_dual_mul_f32 v1, v163, v6 :: v_dual_mul_f32 v6, v165, v8
	v_add_f32_e32 v4, 0, v22
	v_dual_fmac_f32 v226, v165, v7 :: v_dual_fmac_f32 v229, v171, v13
	s_delay_alu instid0(VALU_DEP_4) | instskip(NEXT) | instid1(VALU_DEP_4)
	v_add_f32_e32 v2, 0, v2
	v_fma_f32 v1, v162, v5, -v1
	v_fma_f32 v5, v164, v7, -v6
	v_dual_mul_f32 v230, v172, v16 :: v_dual_mul_f32 v231, v174, v18
	s_delay_alu instid0(VALU_DEP_4) | instskip(SKIP_2) | instid1(VALU_DEP_3)
	v_add_f32_e32 v2, v2, v3
	v_dual_mul_f32 v232, v176, v20 :: v_dual_mul_f32 v233, v178, v119
	v_fmac_f32_e32 v228, v169, v11
	v_dual_fmac_f32 v230, v173, v15 :: v_dual_add_f32 v1, v2, v1
	v_add_f32_e32 v3, v4, v224
	s_delay_alu instid0(VALU_DEP_4) | instskip(SKIP_1) | instid1(VALU_DEP_4)
	v_dual_fmac_f32 v233, v179, v118 :: v_dual_mul_f32 v234, v180, v121
	v_mul_f32_e32 v235, v182, v123
	v_add_f32_e32 v1, v1, v5
	s_delay_alu instid0(VALU_DEP_4) | instskip(SKIP_1) | instid1(VALU_DEP_4)
	v_dual_add_f32 v2, v3, v225 :: v_dual_mul_f32 v3, v169, v12
	v_dual_mul_f32 v5, v171, v14 :: v_dual_fmac_f32 v232, v177, v19
	v_dual_fmac_f32 v235, v183, v122 :: v_dual_mul_f32 v236, v184, v125
	v_mul_f32_e32 v237, v186, v127
	s_delay_alu instid0(VALU_DEP_4) | instskip(SKIP_4) | instid1(VALU_DEP_4)
	v_fma_f32 v3, v168, v11, -v3
	v_mul_f32_e32 v4, v167, v10
	v_fma_f32 v5, v170, v13, -v5
	v_dual_fmac_f32 v231, v175, v17 :: v_dual_fmac_f32 v234, v181, v120
	v_dual_mul_f32 v238, v188, v129 :: v_dual_mul_f32 v239, v190, v131
	v_fma_f32 v4, v166, v9, -v4
	v_fmac_f32_e32 v236, v185, v124
	v_dual_mul_f32 v240, v192, v133 :: v_dual_mul_f32 v241, v194, v135
	s_delay_alu instid0(VALU_DEP_4) | instskip(NEXT) | instid1(VALU_DEP_4)
	v_fmac_f32_e32 v239, v191, v130
	v_add_f32_e32 v1, v1, v4
	v_mul_f32_e32 v4, v173, v16
	v_fmac_f32_e32 v238, v189, v128
	v_dual_fmac_f32 v240, v193, v132 :: v_dual_fmac_f32 v241, v195, v134
	s_delay_alu instid0(VALU_DEP_4) | instskip(SKIP_3) | instid1(VALU_DEP_4)
	v_dual_add_f32 v1, v1, v3 :: v_dual_add_f32 v2, v2, v226
	v_mul_f32_e32 v3, v175, v18
	v_fma_f32 v4, v172, v15, -v4
	v_dual_mul_f32 v242, v196, v137 :: v_dual_mul_f32 v243, v198, v139
	v_dual_add_f32 v1, v1, v5 :: v_dual_add_f32 v2, v2, v227
	v_mul_f32_e32 v5, v177, v20
	v_fma_f32 v3, v174, v17, -v3
	s_delay_alu instid0(VALU_DEP_4) | instskip(NEXT) | instid1(VALU_DEP_4)
	v_dual_fmac_f32 v242, v197, v136 :: v_dual_fmac_f32 v243, v199, v138
	v_add_f32_e32 v1, v1, v4
	v_add_f32_e32 v2, v2, v228
	v_fma_f32 v5, v176, v19, -v5
	v_mul_f32_e32 v4, v179, v119
	v_fmac_f32_e32 v237, v187, v126
	s_delay_alu instid0(VALU_DEP_4) | instskip(SKIP_1) | instid1(VALU_DEP_4)
	v_dual_add_f32 v1, v1, v3 :: v_dual_add_f32 v2, v2, v229
	v_mul_f32_e32 v3, v181, v121
	v_fma_f32 v4, v178, v118, -v4
	v_dual_mul_f32 v244, v200, v141 :: v_dual_mul_f32 v245, v202, v143
	s_delay_alu instid0(VALU_DEP_4) | instskip(SKIP_2) | instid1(VALU_DEP_4)
	v_add_f32_e32 v1, v1, v5
	v_dual_mul_f32 v5, v183, v123 :: v_dual_add_f32 v2, v2, v230
	v_fma_f32 v3, v180, v120, -v3
	v_dual_fmac_f32 v244, v201, v140 :: v_dual_fmac_f32 v245, v203, v142
	s_delay_alu instid0(VALU_DEP_3) | instskip(SKIP_3) | instid1(VALU_DEP_4)
	v_dual_add_f32 v1, v1, v4 :: v_dual_add_f32 v2, v2, v231
	v_mul_f32_e32 v4, v185, v125
	v_fma_f32 v5, v182, v122, -v5
	v_dual_mul_f32 v246, v204, v145 :: v_dual_mul_f32 v247, v206, v147
	v_dual_add_f32 v2, v2, v232 :: v_dual_add_f32 v1, v1, v3
	v_mul_f32_e32 v3, v187, v127
	v_fma_f32 v4, v184, v124, -v4
	s_delay_alu instid0(VALU_DEP_4) | instskip(NEXT) | instid1(VALU_DEP_4)
	v_dual_fmac_f32 v246, v205, v144 :: v_dual_fmac_f32 v247, v207, v146
	v_add_f32_e32 v2, v2, v233
	v_add_f32_e32 v1, v1, v5
	v_mul_f32_e32 v5, v189, v129
	v_fma_f32 v3, v186, v126, -v3
	v_dual_mul_f32 v248, v208, v149 :: v_dual_mul_f32 v249, v210, v151
	s_delay_alu instid0(VALU_DEP_4) | instskip(SKIP_3) | instid1(VALU_DEP_4)
	v_dual_add_f32 v2, v2, v234 :: v_dual_add_f32 v1, v1, v4
	v_mul_f32_e32 v4, v191, v131
	v_fma_f32 v5, v188, v128, -v5
	v_dual_mul_f32 v250, v212, v153 :: v_dual_mul_f32 v251, v214, v155
	v_add_f32_e32 v2, v2, v235
	v_add_f32_e32 v1, v1, v3
	v_fma_f32 v4, v190, v130, -v4
	s_delay_alu instid0(VALU_DEP_4) | instskip(NEXT) | instid1(VALU_DEP_3)
	v_dual_fmac_f32 v249, v211, v150 :: v_dual_fmac_f32 v250, v213, v152
	v_dual_add_f32 v2, v2, v236 :: v_dual_add_f32 v1, v1, v5
	v_mul_f32_e32 v5, v195, v135
	v_dual_fmac_f32 v251, v215, v154 :: v_dual_fmac_f32 v252, v217, v156
	s_delay_alu instid0(VALU_DEP_3) | instskip(SKIP_3) | instid1(VALU_DEP_4)
	v_dual_add_f32 v2, v2, v237 :: v_dual_add_f32 v1, v1, v4
	v_mul_f32_e32 v3, v193, v133
	v_mul_f32_e32 v4, v197, v137
	v_fma_f32 v5, v194, v134, -v5
	v_add_f32_e32 v2, v2, v238
	v_fmac_f32_e32 v253, v223, v218
	v_fma_f32 v3, v192, v132, -v3
	v_fmac_f32_e32 v248, v209, v148
	s_delay_alu instid0(VALU_DEP_4) | instskip(NEXT) | instid1(VALU_DEP_3)
	v_add_f32_e32 v2, v2, v239
	v_add_f32_e32 v1, v1, v3
	v_mul_f32_e32 v3, v199, v139
	v_fma_f32 v4, v196, v136, -v4
	s_delay_alu instid0(VALU_DEP_4) | instskip(NEXT) | instid1(VALU_DEP_3)
	v_add_f32_e32 v2, v2, v240
	v_fma_f32 v3, v198, v138, -v3
	s_delay_alu instid0(VALU_DEP_2) | instskip(SKIP_1) | instid1(VALU_DEP_2)
	v_add_f32_e32 v2, v2, v241
	v_add_f32_e32 v1, v1, v5
	v_dual_mul_f32 v5, v201, v141 :: v_dual_add_f32 v2, v2, v242
	s_delay_alu instid0(VALU_DEP_2) | instskip(NEXT) | instid1(VALU_DEP_2)
	v_dual_add_f32 v1, v1, v4 :: v_dual_mul_f32 v4, v203, v143
	v_fma_f32 v5, v200, v140, -v5
	s_delay_alu instid0(VALU_DEP_3) | instskip(NEXT) | instid1(VALU_DEP_3)
	v_add_f32_e32 v2, v2, v243
	v_add_f32_e32 v1, v1, v3
	v_mul_f32_e32 v3, v205, v145
	v_fma_f32 v4, v202, v142, -v4
	s_delay_alu instid0(VALU_DEP_4) | instskip(NEXT) | instid1(VALU_DEP_3)
	v_add_f32_e32 v2, v2, v244
	v_fma_f32 v3, v204, v144, -v3
	s_delay_alu instid0(VALU_DEP_2) | instskip(SKIP_1) | instid1(VALU_DEP_2)
	v_add_f32_e32 v2, v2, v245
	v_add_f32_e32 v1, v1, v5
	v_dual_mul_f32 v5, v207, v147 :: v_dual_add_f32 v2, v2, v246
	s_delay_alu instid0(VALU_DEP_2) | instskip(SKIP_1) | instid1(VALU_DEP_3)
	v_add_f32_e32 v1, v1, v4
	v_mul_f32_e32 v4, v209, v149
	v_fma_f32 v5, v206, v146, -v5
	s_delay_alu instid0(VALU_DEP_4) | instskip(NEXT) | instid1(VALU_DEP_4)
	v_add_f32_e32 v2, v2, v247
	v_add_f32_e32 v1, v1, v3
	v_mul_f32_e32 v3, v211, v151
	v_fma_f32 v4, v208, v148, -v4
	s_delay_alu instid0(VALU_DEP_3) | instskip(SKIP_1) | instid1(VALU_DEP_4)
	v_dual_add_f32 v2, v2, v248 :: v_dual_add_f32 v1, v1, v5
	v_mul_f32_e32 v5, v213, v153
	v_fma_f32 v3, v210, v150, -v3
	s_delay_alu instid0(VALU_DEP_3) | instskip(SKIP_1) | instid1(VALU_DEP_4)
	v_dual_add_f32 v2, v2, v249 :: v_dual_add_f32 v1, v1, v4
	;; [unrolled: 4-line block ×3, first 2 shown]
	v_mul_f32_e32 v3, v217, v157
	v_fma_f32 v4, v214, v154, -v4
	s_delay_alu instid0(VALU_DEP_3) | instskip(NEXT) | instid1(VALU_DEP_3)
	v_dual_add_f32 v2, v2, v251 :: v_dual_add_f32 v1, v1, v5
	v_fma_f32 v3, v216, v156, -v3
	s_delay_alu instid0(VALU_DEP_2) | instskip(NEXT) | instid1(VALU_DEP_1)
	v_dual_add_f32 v2, v2, v252 :: v_dual_mul_f32 v5, v223, v219
	v_dual_add_f32 v1, v1, v4 :: v_dual_add_f32 v2, v2, v253
	s_delay_alu instid0(VALU_DEP_2) | instskip(NEXT) | instid1(VALU_DEP_2)
	v_fma_f32 v4, v222, v218, -v5
	v_add_f32_e32 v1, v1, v3
	s_wait_loadcnt 0x0
	s_delay_alu instid0(VALU_DEP_3) | instskip(NEXT) | instid1(VALU_DEP_2)
	v_sub_f32_e32 v2, v221, v2
	v_add_f32_e32 v1, v1, v4
	s_delay_alu instid0(VALU_DEP_1)
	v_sub_f32_e32 v1, v220, v1
	scratch_store_b64 off, v[1:2], off offset:120
	v_cmpx_lt_u32_e32 14, v0
	s_cbranch_execz .LBB110_267
; %bb.266:
	scratch_load_b64 v[1:2], off, off offset:112
	v_mov_b32_e32 v22, v21
	scratch_store_b64 off, v[21:22], off offset:112
	s_wait_loadcnt 0x0
	ds_store_b64 v23, v[1:2]
.LBB110_267:
	s_wait_alu 0xfffe
	s_or_b32 exec_lo, exec_lo, s0
	s_wait_storecnt_dscnt 0x0
	s_barrier_signal -1
	s_barrier_wait -1
	global_inv scope:SCOPE_SE
	s_clause 0x4
	scratch_load_b128 v[5:8], off, off offset:120
	scratch_load_b128 v[1:4], off, off offset:136
	;; [unrolled: 1-line block ×5, first 2 shown]
	ds_load_2addr_b64 v[118:121], v21 offset0:63 offset1:64
	ds_load_2addr_b64 v[122:125], v21 offset0:65 offset1:66
	ds_load_2addr_b64 v[126:129], v21 offset0:67 offset1:68
	scratch_load_b64 v[130:131], off, off offset:112
	s_mov_b32 s0, exec_lo
	s_wait_loadcnt_dscnt 0x502
	v_dual_mul_f32 v22, v119, v6 :: v_dual_mul_f32 v133, v120, v8
	v_mul_f32_e32 v132, v118, v6
	v_mul_f32_e32 v6, v121, v8
	s_wait_loadcnt_dscnt 0x300
	v_mul_f32_e32 v134, v128, v12
	v_fma_f32 v22, v118, v5, -v22
	v_dual_fmac_f32 v133, v121, v7 :: v_dual_fmac_f32 v132, v119, v5
	v_mul_f32_e32 v121, v126, v10
	v_mul_f32_e32 v119, v122, v2
	v_fma_f32 v118, v120, v7, -v6
	ds_load_2addr_b64 v[5:8], v21 offset0:69 offset1:70
	v_mul_f32_e32 v120, v124, v4
	v_dual_mul_f32 v4, v125, v4 :: v_dual_fmac_f32 v121, v127, v9
	v_mul_f32_e32 v10, v127, v10
	v_mul_f32_e32 v12, v129, v12
	;; [unrolled: 1-line block ×3, first 2 shown]
	v_dual_fmac_f32 v119, v123, v1 :: v_dual_fmac_f32 v120, v125, v3
	v_fma_f32 v123, v124, v3, -v4
	v_fma_f32 v124, v126, v9, -v10
	v_fmac_f32_e32 v134, v129, v11
	v_fma_f32 v125, v128, v11, -v12
	ds_load_2addr_b64 v[9:12], v21 offset0:71 offset1:72
	s_wait_loadcnt_dscnt 0x201
	v_dual_mul_f32 v127, v7, v16 :: v_dual_mul_f32 v126, v5, v14
	s_delay_alu instid0(VALU_DEP_1)
	v_dual_mul_f32 v14, v6, v14 :: v_dual_fmac_f32 v127, v8, v15
	v_fma_f32 v122, v122, v1, -v2
	scratch_load_b128 v[1:4], off, off offset:200
	v_mul_f32_e32 v16, v8, v16
	v_fmac_f32_e32 v126, v6, v13
	v_fma_f32 v13, v5, v13, -v14
	s_delay_alu instid0(VALU_DEP_3)
	v_fma_f32 v14, v7, v15, -v16
	s_wait_loadcnt_dscnt 0x200
	v_mul_f32_e32 v15, v9, v18
	v_mul_f32_e32 v16, v10, v18
	;; [unrolled: 1-line block ×4, first 2 shown]
	ds_load_2addr_b64 v[5:8], v21 offset0:73 offset1:74
	v_fmac_f32_e32 v15, v10, v17
	v_fma_f32 v16, v9, v17, -v16
	v_fmac_f32_e32 v18, v12, v19
	v_fma_f32 v17, v11, v19, -v20
	scratch_load_b128 v[9:12], off, off offset:216
	s_wait_loadcnt_dscnt 0x100
	v_mul_f32_e32 v19, v5, v2
	v_mul_f32_e32 v2, v6, v2
	;; [unrolled: 1-line block ×3, first 2 shown]
	s_delay_alu instid0(VALU_DEP_3) | instskip(NEXT) | instid1(VALU_DEP_3)
	v_dual_mul_f32 v4, v8, v4 :: v_dual_fmac_f32 v19, v6, v1
	v_fma_f32 v128, v5, v1, -v2
	s_delay_alu instid0(VALU_DEP_3) | instskip(NEXT) | instid1(VALU_DEP_3)
	v_fmac_f32_e32 v20, v8, v3
	v_fma_f32 v129, v7, v3, -v4
	ds_load_2addr_b64 v[1:4], v21 offset0:75 offset1:76
	ds_load_2addr_b64 v[5:8], v21 offset0:77 offset1:78
	s_wait_loadcnt_dscnt 0x1
	v_mul_f32_e32 v135, v1, v10
	v_mul_f32_e32 v10, v2, v10
	s_delay_alu instid0(VALU_DEP_2) | instskip(NEXT) | instid1(VALU_DEP_2)
	v_dual_mul_f32 v136, v3, v12 :: v_dual_fmac_f32 v135, v2, v9
	v_fma_f32 v137, v1, v9, -v10
	v_mul_f32_e32 v1, v4, v12
	s_delay_alu instid0(VALU_DEP_3) | instskip(NEXT) | instid1(VALU_DEP_2)
	v_fmac_f32_e32 v136, v4, v11
	v_fma_f32 v138, v3, v11, -v1
	s_clause 0x1
	scratch_load_b128 v[1:4], off, off offset:232
	scratch_load_b128 v[9:12], off, off offset:248
	s_wait_loadcnt_dscnt 0x100
	v_mul_f32_e32 v139, v5, v2
	v_dual_mul_f32 v2, v6, v2 :: v_dual_mul_f32 v141, v7, v4
	s_delay_alu instid0(VALU_DEP_2) | instskip(NEXT) | instid1(VALU_DEP_2)
	v_fmac_f32_e32 v139, v6, v1
	v_fma_f32 v140, v5, v1, -v2
	v_mul_f32_e32 v1, v8, v4
	s_delay_alu instid0(VALU_DEP_4) | instskip(NEXT) | instid1(VALU_DEP_2)
	v_fmac_f32_e32 v141, v8, v3
	v_fma_f32 v142, v7, v3, -v1
	ds_load_2addr_b64 v[1:4], v21 offset0:79 offset1:80
	ds_load_2addr_b64 v[5:8], v21 offset0:81 offset1:82
	s_wait_loadcnt_dscnt 0x1
	v_mul_f32_e32 v143, v1, v10
	v_mul_f32_e32 v145, v3, v12
	s_delay_alu instid0(VALU_DEP_2) | instskip(NEXT) | instid1(VALU_DEP_2)
	v_fmac_f32_e32 v143, v2, v9
	v_dual_mul_f32 v2, v2, v10 :: v_dual_fmac_f32 v145, v4, v11
	s_delay_alu instid0(VALU_DEP_1) | instskip(SKIP_1) | instid1(VALU_DEP_1)
	v_fma_f32 v144, v1, v9, -v2
	v_mul_f32_e32 v1, v4, v12
	v_fma_f32 v146, v3, v11, -v1
	s_clause 0x1
	scratch_load_b128 v[1:4], off, off offset:264
	scratch_load_b128 v[9:12], off, off offset:280
	s_wait_loadcnt_dscnt 0x100
	v_mul_f32_e32 v147, v5, v2
	v_dual_mul_f32 v2, v6, v2 :: v_dual_mul_f32 v149, v7, v4
	s_delay_alu instid0(VALU_DEP_2) | instskip(NEXT) | instid1(VALU_DEP_2)
	v_fmac_f32_e32 v147, v6, v1
	v_fma_f32 v148, v5, v1, -v2
	v_mul_f32_e32 v1, v8, v4
	s_delay_alu instid0(VALU_DEP_4) | instskip(NEXT) | instid1(VALU_DEP_2)
	v_fmac_f32_e32 v149, v8, v3
	v_fma_f32 v150, v7, v3, -v1
	ds_load_2addr_b64 v[1:4], v21 offset0:83 offset1:84
	ds_load_2addr_b64 v[5:8], v21 offset0:85 offset1:86
	s_wait_loadcnt_dscnt 0x1
	v_mul_f32_e32 v151, v1, v10
	v_mul_f32_e32 v153, v3, v12
	s_delay_alu instid0(VALU_DEP_2) | instskip(NEXT) | instid1(VALU_DEP_2)
	v_fmac_f32_e32 v151, v2, v9
	v_dual_mul_f32 v2, v2, v10 :: v_dual_fmac_f32 v153, v4, v11
	s_delay_alu instid0(VALU_DEP_1) | instskip(SKIP_1) | instid1(VALU_DEP_1)
	v_fma_f32 v152, v1, v9, -v2
	v_mul_f32_e32 v1, v4, v12
	v_fma_f32 v154, v3, v11, -v1
	s_clause 0x1
	scratch_load_b128 v[1:4], off, off offset:296
	scratch_load_b128 v[9:12], off, off offset:312
	s_wait_loadcnt_dscnt 0x100
	v_mul_f32_e32 v155, v5, v2
	v_mul_f32_e32 v2, v6, v2
	s_delay_alu instid0(VALU_DEP_1) | instskip(SKIP_1) | instid1(VALU_DEP_1)
	v_fma_f32 v156, v5, v1, -v2
	v_add_f32_e32 v2, 0, v132
	v_add_f32_e32 v2, v2, v133
	s_delay_alu instid0(VALU_DEP_1) | instskip(SKIP_1) | instid1(VALU_DEP_2)
	v_add_f32_e32 v2, v2, v119
	v_fmac_f32_e32 v155, v6, v1
	v_add_f32_e32 v2, v2, v120
	s_delay_alu instid0(VALU_DEP_1) | instskip(NEXT) | instid1(VALU_DEP_1)
	v_dual_mul_f32 v157, v7, v4 :: v_dual_add_f32 v2, v2, v121
	v_dual_fmac_f32 v157, v8, v3 :: v_dual_add_f32 v2, v2, v134
	s_delay_alu instid0(VALU_DEP_1) | instskip(NEXT) | instid1(VALU_DEP_1)
	v_dual_mul_f32 v1, v8, v4 :: v_dual_add_f32 v2, v2, v126
	v_fma_f32 v158, v7, v3, -v1
	s_delay_alu instid0(VALU_DEP_2) | instskip(NEXT) | instid1(VALU_DEP_1)
	v_dual_add_f32 v1, 0, v22 :: v_dual_add_f32 v2, v2, v127
	v_add_f32_e32 v1, v1, v118
	s_delay_alu instid0(VALU_DEP_1) | instskip(NEXT) | instid1(VALU_DEP_1)
	v_add_f32_e32 v1, v1, v122
	v_add_f32_e32 v1, v1, v123
	s_delay_alu instid0(VALU_DEP_1) | instskip(NEXT) | instid1(VALU_DEP_1)
	v_add_f32_e32 v1, v1, v124
	;; [unrolled: 3-line block ×4, first 2 shown]
	v_dual_add_f32 v5, v2, v15 :: v_dual_add_f32 v6, v1, v17
	ds_load_2addr_b64 v[1:4], v21 offset0:87 offset1:88
	v_dual_add_f32 v5, v5, v18 :: v_dual_add_f32 v6, v6, v128
	s_delay_alu instid0(VALU_DEP_1) | instskip(NEXT) | instid1(VALU_DEP_1)
	v_add_f32_e32 v13, v6, v129
	v_add_f32_e32 v13, v13, v137
	s_delay_alu instid0(VALU_DEP_1) | instskip(NEXT) | instid1(VALU_DEP_1)
	v_add_f32_e32 v13, v13, v138
	v_add_f32_e32 v13, v13, v140
	s_delay_alu instid0(VALU_DEP_1) | instskip(NEXT) | instid1(VALU_DEP_1)
	v_add_f32_e32 v18, v13, v142
	v_dual_add_f32 v5, v5, v19 :: v_dual_add_f32 v18, v18, v144
	s_delay_alu instid0(VALU_DEP_1)
	v_add_f32_e32 v14, v5, v20
	ds_load_2addr_b64 v[5:8], v21 offset0:89 offset1:90
	s_wait_loadcnt_dscnt 0x1
	v_mul_f32_e32 v22, v1, v10
	v_mul_f32_e32 v122, v3, v12
	;; [unrolled: 1-line block ×4, first 2 shown]
	v_add_f32_e32 v14, v14, v135
	v_fmac_f32_e32 v22, v2, v9
	v_fmac_f32_e32 v122, v4, v11
	v_fma_f32 v123, v1, v9, -v10
	v_fma_f32 v124, v3, v11, -v12
	s_clause 0x1
	scratch_load_b128 v[1:4], off, off offset:328
	scratch_load_b128 v[9:12], off, off offset:344
	v_add_f32_e32 v14, v14, v136
	v_add_f32_e32 v18, v18, v146
	s_delay_alu instid0(VALU_DEP_2)
	v_add_f32_e32 v17, v14, v139
	scratch_load_b128 v[13:16], off, off offset:360
	v_add_f32_e32 v118, v18, v148
	s_wait_loadcnt_dscnt 0x200
	v_mul_f32_e32 v127, v7, v4
	v_dual_mul_f32 v4, v8, v4 :: v_dual_add_f32 v17, v17, v141
	s_delay_alu instid0(VALU_DEP_1) | instskip(NEXT) | instid1(VALU_DEP_1)
	v_add_f32_e32 v17, v17, v143
	v_add_f32_e32 v17, v17, v145
	s_delay_alu instid0(VALU_DEP_1)
	v_add_f32_e32 v119, v17, v147
	ds_load_2addr_b64 v[17:20], v21 offset0:91 offset1:92
	v_dual_add_f32 v125, v118, v150 :: v_dual_add_f32 v126, v119, v149
	ds_load_2addr_b64 v[118:121], v21 offset0:93 offset1:94
	s_wait_loadcnt_dscnt 0x101
	v_dual_mul_f32 v128, v17, v10 :: v_dual_fmac_f32 v127, v8, v3
	v_fma_f32 v3, v7, v3, -v4
	v_mul_f32_e32 v4, v20, v12
	s_delay_alu instid0(VALU_DEP_3)
	v_dual_add_f32 v21, v125, v152 :: v_dual_fmac_f32 v128, v18, v9
	v_add_f32_e32 v125, v126, v151
	s_wait_loadcnt_dscnt 0x0
	v_mul_f32_e32 v132, v118, v14
	v_mul_f32_e32 v126, v5, v2
	v_add_f32_e32 v21, v21, v154
	v_mul_f32_e32 v129, v19, v12
	v_add_f32_e32 v125, v125, v153
	v_fmac_f32_e32 v132, v119, v13
	s_delay_alu instid0(VALU_DEP_4) | instskip(NEXT) | instid1(VALU_DEP_4)
	v_dual_fmac_f32 v126, v6, v1 :: v_dual_add_f32 v21, v21, v156
	v_fmac_f32_e32 v129, v20, v11
	s_delay_alu instid0(VALU_DEP_4) | instskip(SKIP_1) | instid1(VALU_DEP_4)
	v_dual_add_f32 v125, v125, v155 :: v_dual_mul_f32 v2, v6, v2
	v_mul_f32_e32 v6, v18, v10
	v_add_f32_e32 v21, v21, v158
	v_fma_f32 v4, v19, v11, -v4
	s_delay_alu instid0(VALU_DEP_4) | instskip(NEXT) | instid1(VALU_DEP_3)
	v_fma_f32 v2, v5, v1, -v2
	v_add_f32_e32 v21, v21, v123
	v_mul_f32_e32 v123, v120, v16
	s_delay_alu instid0(VALU_DEP_2) | instskip(NEXT) | instid1(VALU_DEP_2)
	v_add_f32_e32 v1, v21, v124
	v_fmac_f32_e32 v123, v121, v15
	v_add_f32_e32 v125, v125, v157
	s_delay_alu instid0(VALU_DEP_3) | instskip(NEXT) | instid1(VALU_DEP_2)
	v_add_f32_e32 v1, v1, v2
	v_add_f32_e32 v22, v125, v22
	s_delay_alu instid0(VALU_DEP_2) | instskip(SKIP_1) | instid1(VALU_DEP_3)
	v_add_f32_e32 v1, v1, v3
	v_mul_f32_e32 v3, v119, v14
	v_add_f32_e32 v5, v22, v122
	s_delay_alu instid0(VALU_DEP_2) | instskip(NEXT) | instid1(VALU_DEP_2)
	v_fma_f32 v3, v118, v13, -v3
	v_add_f32_e32 v2, v5, v126
	v_fma_f32 v5, v17, v9, -v6
	s_delay_alu instid0(VALU_DEP_1) | instskip(SKIP_1) | instid1(VALU_DEP_2)
	v_dual_add_f32 v2, v2, v127 :: v_dual_add_f32 v1, v1, v5
	v_mul_f32_e32 v5, v121, v16
	v_add_f32_e32 v2, v2, v128
	s_delay_alu instid0(VALU_DEP_3) | instskip(NEXT) | instid1(VALU_DEP_3)
	v_add_f32_e32 v1, v1, v4
	v_fma_f32 v4, v120, v15, -v5
	s_delay_alu instid0(VALU_DEP_2) | instskip(NEXT) | instid1(VALU_DEP_1)
	v_dual_add_f32 v2, v2, v129 :: v_dual_add_f32 v1, v1, v3
	v_add_f32_e32 v2, v2, v132
	s_delay_alu instid0(VALU_DEP_1) | instskip(NEXT) | instid1(VALU_DEP_1)
	v_dual_add_f32 v1, v1, v4 :: v_dual_add_f32 v2, v2, v123
	v_dual_sub_f32 v1, v130, v1 :: v_dual_sub_f32 v2, v131, v2
	scratch_store_b64 off, v[1:2], off offset:112
	v_cmpx_lt_u32_e32 13, v0
	s_cbranch_execz .LBB110_269
; %bb.268:
	scratch_load_b64 v[1:2], off, off offset:104
	v_mov_b32_e32 v3, 0
	s_delay_alu instid0(VALU_DEP_1)
	v_mov_b32_e32 v4, v3
	scratch_store_b64 off, v[3:4], off offset:104
	s_wait_loadcnt 0x0
	ds_store_b64 v23, v[1:2]
.LBB110_269:
	s_wait_alu 0xfffe
	s_or_b32 exec_lo, exec_lo, s0
	s_wait_storecnt_dscnt 0x0
	s_barrier_signal -1
	s_barrier_wait -1
	global_inv scope:SCOPE_SE
	s_clause 0x4
	scratch_load_b128 v[5:8], off, off offset:112
	scratch_load_b128 v[1:4], off, off offset:128
	;; [unrolled: 1-line block ×5, first 2 shown]
	v_mov_b32_e32 v21, 0
	ds_load_b128 v[118:121], v21 offset:496
	ds_load_b128 v[122:125], v21 offset:512
	;; [unrolled: 1-line block ×3, first 2 shown]
	scratch_load_b64 v[130:131], off, off offset:104
	s_mov_b32 s0, exec_lo
	s_wait_loadcnt_dscnt 0x502
	v_mul_f32_e32 v22, v119, v6
	v_dual_mul_f32 v132, v118, v6 :: v_dual_mul_f32 v133, v120, v8
	v_mul_f32_e32 v6, v121, v8
	s_delay_alu instid0(VALU_DEP_3) | instskip(NEXT) | instid1(VALU_DEP_3)
	v_fma_f32 v22, v118, v5, -v22
	v_dual_fmac_f32 v132, v119, v5 :: v_dual_fmac_f32 v133, v121, v7
	s_wait_loadcnt_dscnt 0x401
	v_mul_f32_e32 v119, v122, v2
	v_fma_f32 v118, v120, v7, -v6
	ds_load_b128 v[5:8], v21 offset:544
	s_wait_loadcnt_dscnt 0x301
	v_dual_mul_f32 v120, v124, v4 :: v_dual_mul_f32 v121, v126, v10
	v_dual_mul_f32 v4, v125, v4 :: v_dual_fmac_f32 v119, v123, v1
	v_mul_f32_e32 v10, v127, v10
	s_delay_alu instid0(VALU_DEP_3)
	v_dual_mul_f32 v134, v128, v12 :: v_dual_fmac_f32 v121, v127, v9
	v_mul_f32_e32 v12, v129, v12
	v_mul_f32_e32 v2, v123, v2
	v_fmac_f32_e32 v120, v125, v3
	v_fma_f32 v123, v124, v3, -v4
	v_fma_f32 v124, v126, v9, -v10
	v_fmac_f32_e32 v134, v129, v11
	v_fma_f32 v125, v128, v11, -v12
	ds_load_b128 v[9:12], v21 offset:560
	s_wait_loadcnt_dscnt 0x201
	v_dual_mul_f32 v127, v7, v16 :: v_dual_mul_f32 v126, v5, v14
	v_mul_f32_e32 v14, v6, v14
	v_mul_f32_e32 v16, v8, v16
	s_delay_alu instid0(VALU_DEP_3)
	v_fmac_f32_e32 v127, v8, v15
	v_fma_f32 v122, v122, v1, -v2
	scratch_load_b128 v[1:4], off, off offset:192
	v_fmac_f32_e32 v126, v6, v13
	v_fma_f32 v13, v5, v13, -v14
	v_fma_f32 v14, v7, v15, -v16
	ds_load_b128 v[5:8], v21 offset:576
	s_wait_loadcnt_dscnt 0x201
	v_mul_f32_e32 v15, v9, v18
	v_mul_f32_e32 v16, v10, v18
	;; [unrolled: 1-line block ×3, first 2 shown]
	s_delay_alu instid0(VALU_DEP_3) | instskip(NEXT) | instid1(VALU_DEP_3)
	v_dual_mul_f32 v20, v12, v20 :: v_dual_fmac_f32 v15, v10, v17
	v_fma_f32 v16, v9, v17, -v16
	s_delay_alu instid0(VALU_DEP_3) | instskip(NEXT) | instid1(VALU_DEP_3)
	v_fmac_f32_e32 v18, v12, v19
	v_fma_f32 v17, v11, v19, -v20
	scratch_load_b128 v[9:12], off, off offset:208
	s_wait_loadcnt_dscnt 0x100
	v_mul_f32_e32 v19, v5, v2
	v_mul_f32_e32 v2, v6, v2
	;; [unrolled: 1-line block ×3, first 2 shown]
	s_delay_alu instid0(VALU_DEP_3) | instskip(NEXT) | instid1(VALU_DEP_3)
	v_dual_mul_f32 v4, v8, v4 :: v_dual_fmac_f32 v19, v6, v1
	v_fma_f32 v128, v5, v1, -v2
	s_delay_alu instid0(VALU_DEP_3) | instskip(NEXT) | instid1(VALU_DEP_3)
	v_fmac_f32_e32 v20, v8, v3
	v_fma_f32 v129, v7, v3, -v4
	ds_load_b128 v[1:4], v21 offset:592
	ds_load_b128 v[5:8], v21 offset:608
	s_wait_loadcnt_dscnt 0x1
	v_mul_f32_e32 v135, v1, v10
	v_mul_f32_e32 v10, v2, v10
	s_delay_alu instid0(VALU_DEP_2) | instskip(NEXT) | instid1(VALU_DEP_2)
	v_dual_mul_f32 v136, v3, v12 :: v_dual_fmac_f32 v135, v2, v9
	v_fma_f32 v137, v1, v9, -v10
	v_mul_f32_e32 v1, v4, v12
	s_delay_alu instid0(VALU_DEP_3) | instskip(NEXT) | instid1(VALU_DEP_2)
	v_fmac_f32_e32 v136, v4, v11
	v_fma_f32 v138, v3, v11, -v1
	s_clause 0x1
	scratch_load_b128 v[1:4], off, off offset:224
	scratch_load_b128 v[9:12], off, off offset:240
	s_wait_loadcnt_dscnt 0x100
	v_mul_f32_e32 v139, v5, v2
	v_dual_mul_f32 v2, v6, v2 :: v_dual_mul_f32 v141, v7, v4
	s_delay_alu instid0(VALU_DEP_2) | instskip(NEXT) | instid1(VALU_DEP_2)
	v_fmac_f32_e32 v139, v6, v1
	v_fma_f32 v140, v5, v1, -v2
	v_mul_f32_e32 v1, v8, v4
	s_delay_alu instid0(VALU_DEP_4) | instskip(NEXT) | instid1(VALU_DEP_2)
	v_fmac_f32_e32 v141, v8, v3
	v_fma_f32 v142, v7, v3, -v1
	ds_load_b128 v[1:4], v21 offset:624
	ds_load_b128 v[5:8], v21 offset:640
	s_wait_loadcnt_dscnt 0x1
	v_mul_f32_e32 v143, v1, v10
	v_mul_f32_e32 v145, v3, v12
	s_delay_alu instid0(VALU_DEP_2) | instskip(NEXT) | instid1(VALU_DEP_2)
	v_fmac_f32_e32 v143, v2, v9
	v_dual_mul_f32 v2, v2, v10 :: v_dual_fmac_f32 v145, v4, v11
	s_delay_alu instid0(VALU_DEP_1) | instskip(SKIP_1) | instid1(VALU_DEP_1)
	v_fma_f32 v144, v1, v9, -v2
	v_mul_f32_e32 v1, v4, v12
	v_fma_f32 v146, v3, v11, -v1
	s_clause 0x1
	scratch_load_b128 v[1:4], off, off offset:256
	scratch_load_b128 v[9:12], off, off offset:272
	s_wait_loadcnt_dscnt 0x100
	v_mul_f32_e32 v147, v5, v2
	v_dual_mul_f32 v149, v7, v4 :: v_dual_mul_f32 v2, v6, v2
	s_delay_alu instid0(VALU_DEP_2) | instskip(NEXT) | instid1(VALU_DEP_2)
	v_fmac_f32_e32 v147, v6, v1
	v_fmac_f32_e32 v149, v8, v3
	s_delay_alu instid0(VALU_DEP_3) | instskip(SKIP_1) | instid1(VALU_DEP_1)
	v_fma_f32 v148, v5, v1, -v2
	v_mul_f32_e32 v1, v8, v4
	v_fma_f32 v150, v7, v3, -v1
	ds_load_b128 v[1:4], v21 offset:656
	ds_load_b128 v[5:8], v21 offset:672
	s_wait_loadcnt_dscnt 0x1
	v_mul_f32_e32 v151, v1, v10
	v_mul_f32_e32 v153, v3, v12
	s_delay_alu instid0(VALU_DEP_2) | instskip(NEXT) | instid1(VALU_DEP_2)
	v_fmac_f32_e32 v151, v2, v9
	v_dual_mul_f32 v2, v2, v10 :: v_dual_fmac_f32 v153, v4, v11
	s_delay_alu instid0(VALU_DEP_1) | instskip(SKIP_1) | instid1(VALU_DEP_1)
	v_fma_f32 v152, v1, v9, -v2
	v_mul_f32_e32 v1, v4, v12
	v_fma_f32 v154, v3, v11, -v1
	s_clause 0x1
	scratch_load_b128 v[1:4], off, off offset:288
	scratch_load_b128 v[9:12], off, off offset:304
	s_wait_loadcnt_dscnt 0x100
	v_mul_f32_e32 v155, v5, v2
	v_mul_f32_e32 v2, v6, v2
	s_delay_alu instid0(VALU_DEP_1) | instskip(SKIP_1) | instid1(VALU_DEP_1)
	v_fma_f32 v156, v5, v1, -v2
	v_add_f32_e32 v2, 0, v132
	v_add_f32_e32 v2, v2, v133
	s_delay_alu instid0(VALU_DEP_1) | instskip(NEXT) | instid1(VALU_DEP_1)
	v_add_f32_e32 v2, v2, v119
	v_add_f32_e32 v2, v2, v120
	v_mul_f32_e32 v157, v7, v4
	v_fmac_f32_e32 v155, v6, v1
	s_delay_alu instid0(VALU_DEP_2) | instskip(NEXT) | instid1(VALU_DEP_1)
	v_dual_add_f32 v2, v2, v121 :: v_dual_fmac_f32 v157, v8, v3
	v_dual_add_f32 v2, v2, v134 :: v_dual_mul_f32 v1, v8, v4
	s_delay_alu instid0(VALU_DEP_1) | instskip(NEXT) | instid1(VALU_DEP_2)
	v_add_f32_e32 v2, v2, v126
	v_fma_f32 v158, v7, v3, -v1
	s_delay_alu instid0(VALU_DEP_2) | instskip(NEXT) | instid1(VALU_DEP_1)
	v_dual_add_f32 v1, 0, v22 :: v_dual_add_f32 v2, v2, v127
	v_add_f32_e32 v1, v1, v118
	s_delay_alu instid0(VALU_DEP_1) | instskip(NEXT) | instid1(VALU_DEP_1)
	v_add_f32_e32 v1, v1, v122
	v_add_f32_e32 v1, v1, v123
	scratch_load_b64 v[122:123], off, off offset:368
	v_add_f32_e32 v1, v1, v124
	s_delay_alu instid0(VALU_DEP_1) | instskip(NEXT) | instid1(VALU_DEP_1)
	v_add_f32_e32 v1, v1, v125
	v_add_f32_e32 v1, v1, v13
	s_delay_alu instid0(VALU_DEP_1) | instskip(NEXT) | instid1(VALU_DEP_1)
	v_add_f32_e32 v1, v1, v14
	v_add_f32_e32 v1, v1, v16
	s_delay_alu instid0(VALU_DEP_1) | instskip(SKIP_2) | instid1(VALU_DEP_1)
	v_dual_add_f32 v5, v2, v15 :: v_dual_add_f32 v6, v1, v17
	ds_load_b128 v[1:4], v21 offset:688
	v_dual_add_f32 v5, v5, v18 :: v_dual_add_f32 v6, v6, v128
	v_add_f32_e32 v13, v6, v129
	s_delay_alu instid0(VALU_DEP_1) | instskip(NEXT) | instid1(VALU_DEP_1)
	v_add_f32_e32 v13, v13, v137
	v_add_f32_e32 v13, v13, v138
	s_delay_alu instid0(VALU_DEP_1) | instskip(NEXT) | instid1(VALU_DEP_1)
	v_add_f32_e32 v13, v13, v140
	v_add_f32_e32 v18, v13, v142
	s_delay_alu instid0(VALU_DEP_1) | instskip(NEXT) | instid1(VALU_DEP_1)
	v_dual_add_f32 v5, v5, v19 :: v_dual_add_f32 v18, v18, v144
	v_add_f32_e32 v14, v5, v20
	ds_load_b128 v[5:8], v21 offset:704
	s_wait_loadcnt_dscnt 0x101
	v_mul_f32_e32 v22, v1, v10
	v_mul_f32_e32 v10, v2, v10
	v_mul_f32_e32 v126, v3, v12
	v_mul_f32_e32 v12, v4, v12
	v_add_f32_e32 v14, v14, v135
	v_fmac_f32_e32 v22, v2, v9
	v_fma_f32 v127, v1, v9, -v10
	v_fmac_f32_e32 v126, v4, v11
	v_fma_f32 v128, v3, v11, -v12
	s_clause 0x1
	scratch_load_b128 v[1:4], off, off offset:320
	scratch_load_b128 v[9:12], off, off offset:336
	v_add_f32_e32 v14, v14, v136
	v_add_f32_e32 v18, v18, v146
	s_delay_alu instid0(VALU_DEP_2) | instskip(SKIP_2) | instid1(VALU_DEP_1)
	v_add_f32_e32 v17, v14, v139
	scratch_load_b128 v[13:16], off, off offset:352
	v_dual_add_f32 v18, v18, v148 :: v_dual_add_f32 v17, v17, v141
	v_add_f32_e32 v18, v18, v150
	s_delay_alu instid0(VALU_DEP_1) | instskip(NEXT) | instid1(VALU_DEP_1)
	v_add_f32_e32 v124, v18, v152
	v_add_f32_e32 v129, v124, v154
	s_wait_loadcnt_dscnt 0x200
	v_mul_f32_e32 v133, v5, v2
	v_dual_mul_f32 v2, v6, v2 :: v_dual_add_f32 v17, v17, v143
	v_mul_f32_e32 v134, v7, v4
	v_mul_f32_e32 v4, v8, v4
	s_delay_alu instid0(VALU_DEP_3) | instskip(NEXT) | instid1(VALU_DEP_3)
	v_fma_f32 v2, v5, v1, -v2
	v_dual_add_f32 v17, v17, v145 :: v_dual_fmac_f32 v134, v8, v3
	s_delay_alu instid0(VALU_DEP_1) | instskip(NEXT) | instid1(VALU_DEP_1)
	v_add_f32_e32 v17, v17, v147
	v_add_f32_e32 v118, v17, v149
	ds_load_b128 v[17:20], v21 offset:720
	v_add_f32_e32 v125, v118, v151
	ds_load_b128 v[118:121], v21 offset:736
	v_add_f32_e32 v132, v125, v153
	ds_load_b64 v[124:125], v21 offset:752
	v_add_f32_e32 v132, v132, v155
	s_delay_alu instid0(VALU_DEP_1) | instskip(SKIP_2) | instid1(VALU_DEP_2)
	v_dual_add_f32 v132, v132, v157 :: v_dual_add_f32 v129, v129, v156
	s_wait_loadcnt_dscnt 0x102
	v_mul_f32_e32 v5, v20, v12
	v_add_f32_e32 v22, v132, v22
	s_delay_alu instid0(VALU_DEP_3) | instskip(SKIP_3) | instid1(VALU_DEP_3)
	v_dual_add_f32 v129, v129, v158 :: v_dual_mul_f32 v132, v19, v12
	v_fmac_f32_e32 v133, v6, v1
	s_wait_loadcnt_dscnt 0x1
	v_mul_f32_e32 v135, v118, v14
	v_dual_add_f32 v22, v22, v126 :: v_dual_add_f32 v127, v129, v127
	s_wait_dscnt 0x0
	v_dual_mul_f32 v129, v17, v10 :: v_dual_mul_f32 v126, v124, v123
	v_fma_f32 v1, v7, v3, -v4
	v_dual_mul_f32 v3, v18, v10 :: v_dual_fmac_f32 v132, v20, v11
	v_dual_add_f32 v127, v127, v128 :: v_dual_add_f32 v4, v22, v133
	s_delay_alu instid0(VALU_DEP_4) | instskip(NEXT) | instid1(VALU_DEP_3)
	v_dual_mul_f32 v128, v120, v16 :: v_dual_fmac_f32 v129, v18, v9
	v_fma_f32 v3, v17, v9, -v3
	s_delay_alu instid0(VALU_DEP_3) | instskip(SKIP_1) | instid1(VALU_DEP_2)
	v_add_f32_e32 v2, v127, v2
	v_fmac_f32_e32 v126, v125, v122
	v_dual_fmac_f32 v128, v121, v15 :: v_dual_add_f32 v1, v2, v1
	v_add_f32_e32 v2, v4, v134
	v_mul_f32_e32 v4, v119, v14
	v_fma_f32 v5, v19, v11, -v5
	s_delay_alu instid0(VALU_DEP_3) | instskip(SKIP_1) | instid1(VALU_DEP_4)
	v_dual_add_f32 v1, v1, v3 :: v_dual_add_f32 v2, v2, v129
	v_fmac_f32_e32 v135, v119, v13
	v_fma_f32 v4, v118, v13, -v4
	s_delay_alu instid0(VALU_DEP_3) | instskip(NEXT) | instid1(VALU_DEP_1)
	v_add_f32_e32 v2, v2, v132
	v_dual_mul_f32 v3, v121, v16 :: v_dual_add_f32 v2, v2, v135
	v_add_f32_e32 v1, v1, v5
	s_delay_alu instid0(VALU_DEP_2) | instskip(NEXT) | instid1(VALU_DEP_3)
	v_fma_f32 v3, v120, v15, -v3
	v_dual_add_f32 v2, v2, v128 :: v_dual_mul_f32 v5, v125, v123
	s_delay_alu instid0(VALU_DEP_1) | instskip(NEXT) | instid1(VALU_DEP_2)
	v_dual_add_f32 v2, v2, v126 :: v_dual_add_f32 v1, v1, v4
	v_fma_f32 v4, v124, v122, -v5
	s_delay_alu instid0(VALU_DEP_2) | instskip(NEXT) | instid1(VALU_DEP_1)
	v_dual_sub_f32 v2, v131, v2 :: v_dual_add_f32 v1, v1, v3
	v_add_f32_e32 v1, v1, v4
	s_delay_alu instid0(VALU_DEP_1)
	v_sub_f32_e32 v1, v130, v1
	scratch_store_b64 off, v[1:2], off offset:104
	v_cmpx_lt_u32_e32 12, v0
	s_cbranch_execz .LBB110_271
; %bb.270:
	scratch_load_b64 v[1:2], off, off offset:96
	v_mov_b32_e32 v22, v21
	scratch_store_b64 off, v[21:22], off offset:96
	s_wait_loadcnt 0x0
	ds_store_b64 v23, v[1:2]
.LBB110_271:
	s_wait_alu 0xfffe
	s_or_b32 exec_lo, exec_lo, s0
	s_wait_storecnt_dscnt 0x0
	s_barrier_signal -1
	s_barrier_wait -1
	global_inv scope:SCOPE_SE
	s_clause 0x4
	scratch_load_b128 v[5:8], off, off offset:104
	scratch_load_b128 v[1:4], off, off offset:120
	;; [unrolled: 1-line block ×5, first 2 shown]
	ds_load_2addr_b64 v[118:121], v21 offset0:61 offset1:62
	ds_load_2addr_b64 v[122:125], v21 offset0:63 offset1:64
	;; [unrolled: 1-line block ×3, first 2 shown]
	scratch_load_b64 v[130:131], off, off offset:96
	s_mov_b32 s0, exec_lo
	s_wait_loadcnt_dscnt 0x502
	v_dual_mul_f32 v22, v119, v6 :: v_dual_mul_f32 v133, v120, v8
	v_mul_f32_e32 v132, v118, v6
	v_mul_f32_e32 v6, v121, v8
	s_wait_loadcnt_dscnt 0x300
	v_mul_f32_e32 v134, v128, v12
	v_fma_f32 v22, v118, v5, -v22
	v_dual_fmac_f32 v133, v121, v7 :: v_dual_fmac_f32 v132, v119, v5
	v_mul_f32_e32 v121, v126, v10
	v_mul_f32_e32 v119, v122, v2
	v_fma_f32 v118, v120, v7, -v6
	ds_load_2addr_b64 v[5:8], v21 offset0:67 offset1:68
	v_mul_f32_e32 v120, v124, v4
	v_dual_mul_f32 v4, v125, v4 :: v_dual_fmac_f32 v121, v127, v9
	v_mul_f32_e32 v10, v127, v10
	v_mul_f32_e32 v12, v129, v12
	;; [unrolled: 1-line block ×3, first 2 shown]
	v_dual_fmac_f32 v119, v123, v1 :: v_dual_fmac_f32 v120, v125, v3
	v_fma_f32 v123, v124, v3, -v4
	v_fma_f32 v124, v126, v9, -v10
	v_fmac_f32_e32 v134, v129, v11
	v_fma_f32 v125, v128, v11, -v12
	ds_load_2addr_b64 v[9:12], v21 offset0:69 offset1:70
	s_wait_loadcnt_dscnt 0x201
	v_dual_mul_f32 v127, v7, v16 :: v_dual_mul_f32 v126, v5, v14
	s_delay_alu instid0(VALU_DEP_1)
	v_dual_mul_f32 v14, v6, v14 :: v_dual_fmac_f32 v127, v8, v15
	v_fma_f32 v122, v122, v1, -v2
	scratch_load_b128 v[1:4], off, off offset:184
	v_mul_f32_e32 v16, v8, v16
	v_fmac_f32_e32 v126, v6, v13
	v_fma_f32 v13, v5, v13, -v14
	s_delay_alu instid0(VALU_DEP_3)
	v_fma_f32 v14, v7, v15, -v16
	s_wait_loadcnt_dscnt 0x200
	v_mul_f32_e32 v15, v9, v18
	v_mul_f32_e32 v16, v10, v18
	;; [unrolled: 1-line block ×4, first 2 shown]
	ds_load_2addr_b64 v[5:8], v21 offset0:71 offset1:72
	v_fmac_f32_e32 v15, v10, v17
	v_fma_f32 v16, v9, v17, -v16
	v_fmac_f32_e32 v18, v12, v19
	v_fma_f32 v17, v11, v19, -v20
	scratch_load_b128 v[9:12], off, off offset:200
	s_wait_loadcnt_dscnt 0x100
	v_mul_f32_e32 v19, v5, v2
	v_mul_f32_e32 v2, v6, v2
	;; [unrolled: 1-line block ×3, first 2 shown]
	s_delay_alu instid0(VALU_DEP_3) | instskip(NEXT) | instid1(VALU_DEP_3)
	v_dual_mul_f32 v4, v8, v4 :: v_dual_fmac_f32 v19, v6, v1
	v_fma_f32 v128, v5, v1, -v2
	s_delay_alu instid0(VALU_DEP_3) | instskip(NEXT) | instid1(VALU_DEP_3)
	v_fmac_f32_e32 v20, v8, v3
	v_fma_f32 v129, v7, v3, -v4
	ds_load_2addr_b64 v[1:4], v21 offset0:73 offset1:74
	ds_load_2addr_b64 v[5:8], v21 offset0:75 offset1:76
	s_wait_loadcnt_dscnt 0x1
	v_mul_f32_e32 v135, v1, v10
	v_mul_f32_e32 v10, v2, v10
	s_delay_alu instid0(VALU_DEP_2) | instskip(NEXT) | instid1(VALU_DEP_2)
	v_dual_mul_f32 v136, v3, v12 :: v_dual_fmac_f32 v135, v2, v9
	v_fma_f32 v137, v1, v9, -v10
	v_mul_f32_e32 v1, v4, v12
	s_delay_alu instid0(VALU_DEP_3) | instskip(NEXT) | instid1(VALU_DEP_2)
	v_fmac_f32_e32 v136, v4, v11
	v_fma_f32 v138, v3, v11, -v1
	s_clause 0x1
	scratch_load_b128 v[1:4], off, off offset:216
	scratch_load_b128 v[9:12], off, off offset:232
	s_wait_loadcnt_dscnt 0x100
	v_mul_f32_e32 v139, v5, v2
	v_dual_mul_f32 v2, v6, v2 :: v_dual_mul_f32 v141, v7, v4
	s_delay_alu instid0(VALU_DEP_2) | instskip(NEXT) | instid1(VALU_DEP_2)
	v_fmac_f32_e32 v139, v6, v1
	v_fma_f32 v140, v5, v1, -v2
	v_mul_f32_e32 v1, v8, v4
	s_delay_alu instid0(VALU_DEP_4) | instskip(NEXT) | instid1(VALU_DEP_2)
	v_fmac_f32_e32 v141, v8, v3
	v_fma_f32 v142, v7, v3, -v1
	ds_load_2addr_b64 v[1:4], v21 offset0:77 offset1:78
	ds_load_2addr_b64 v[5:8], v21 offset0:79 offset1:80
	s_wait_loadcnt_dscnt 0x1
	v_mul_f32_e32 v143, v1, v10
	v_mul_f32_e32 v145, v3, v12
	s_delay_alu instid0(VALU_DEP_2) | instskip(NEXT) | instid1(VALU_DEP_2)
	v_fmac_f32_e32 v143, v2, v9
	v_dual_mul_f32 v2, v2, v10 :: v_dual_fmac_f32 v145, v4, v11
	s_delay_alu instid0(VALU_DEP_1) | instskip(SKIP_1) | instid1(VALU_DEP_1)
	v_fma_f32 v144, v1, v9, -v2
	v_mul_f32_e32 v1, v4, v12
	v_fma_f32 v146, v3, v11, -v1
	s_clause 0x1
	scratch_load_b128 v[1:4], off, off offset:248
	scratch_load_b128 v[9:12], off, off offset:264
	s_wait_loadcnt_dscnt 0x100
	v_mul_f32_e32 v147, v5, v2
	v_dual_mul_f32 v2, v6, v2 :: v_dual_mul_f32 v149, v7, v4
	s_delay_alu instid0(VALU_DEP_2) | instskip(NEXT) | instid1(VALU_DEP_2)
	v_fmac_f32_e32 v147, v6, v1
	v_fma_f32 v148, v5, v1, -v2
	v_mul_f32_e32 v1, v8, v4
	s_delay_alu instid0(VALU_DEP_4) | instskip(NEXT) | instid1(VALU_DEP_2)
	v_fmac_f32_e32 v149, v8, v3
	v_fma_f32 v150, v7, v3, -v1
	ds_load_2addr_b64 v[1:4], v21 offset0:81 offset1:82
	ds_load_2addr_b64 v[5:8], v21 offset0:83 offset1:84
	s_wait_loadcnt_dscnt 0x1
	v_mul_f32_e32 v151, v1, v10
	v_mul_f32_e32 v153, v3, v12
	s_delay_alu instid0(VALU_DEP_2) | instskip(NEXT) | instid1(VALU_DEP_2)
	v_fmac_f32_e32 v151, v2, v9
	v_dual_mul_f32 v2, v2, v10 :: v_dual_fmac_f32 v153, v4, v11
	s_delay_alu instid0(VALU_DEP_1) | instskip(SKIP_1) | instid1(VALU_DEP_1)
	v_fma_f32 v152, v1, v9, -v2
	v_mul_f32_e32 v1, v4, v12
	v_fma_f32 v154, v3, v11, -v1
	s_clause 0x1
	scratch_load_b128 v[1:4], off, off offset:280
	scratch_load_b128 v[9:12], off, off offset:296
	s_wait_loadcnt_dscnt 0x100
	v_mul_f32_e32 v155, v5, v2
	v_mul_f32_e32 v2, v6, v2
	s_delay_alu instid0(VALU_DEP_1) | instskip(SKIP_1) | instid1(VALU_DEP_1)
	v_fma_f32 v156, v5, v1, -v2
	v_add_f32_e32 v2, 0, v132
	v_add_f32_e32 v2, v2, v133
	s_delay_alu instid0(VALU_DEP_1) | instskip(SKIP_1) | instid1(VALU_DEP_2)
	v_add_f32_e32 v2, v2, v119
	v_fmac_f32_e32 v155, v6, v1
	v_add_f32_e32 v2, v2, v120
	s_delay_alu instid0(VALU_DEP_1) | instskip(NEXT) | instid1(VALU_DEP_1)
	v_dual_mul_f32 v157, v7, v4 :: v_dual_add_f32 v2, v2, v121
	v_dual_fmac_f32 v157, v8, v3 :: v_dual_add_f32 v2, v2, v134
	s_delay_alu instid0(VALU_DEP_1) | instskip(NEXT) | instid1(VALU_DEP_1)
	v_dual_mul_f32 v1, v8, v4 :: v_dual_add_f32 v2, v2, v126
	v_fma_f32 v158, v7, v3, -v1
	s_delay_alu instid0(VALU_DEP_2) | instskip(NEXT) | instid1(VALU_DEP_1)
	v_dual_add_f32 v1, 0, v22 :: v_dual_add_f32 v2, v2, v127
	v_dual_add_f32 v1, v1, v118 :: v_dual_add_f32 v2, v2, v15
	s_delay_alu instid0(VALU_DEP_1) | instskip(NEXT) | instid1(VALU_DEP_2)
	v_add_f32_e32 v1, v1, v122
	v_add_f32_e32 v5, v2, v18
	s_delay_alu instid0(VALU_DEP_2) | instskip(NEXT) | instid1(VALU_DEP_1)
	v_add_f32_e32 v1, v1, v123
	v_add_f32_e32 v1, v1, v124
	s_delay_alu instid0(VALU_DEP_1) | instskip(NEXT) | instid1(VALU_DEP_1)
	v_add_f32_e32 v1, v1, v125
	v_add_f32_e32 v1, v1, v13
	;; [unrolled: 1-line block ×3, first 2 shown]
	s_delay_alu instid0(VALU_DEP_1) | instskip(NEXT) | instid1(VALU_DEP_1)
	v_add_f32_e32 v13, v13, v20
	v_add_f32_e32 v13, v13, v135
	s_delay_alu instid0(VALU_DEP_1) | instskip(NEXT) | instid1(VALU_DEP_1)
	v_add_f32_e32 v18, v13, v136
	v_dual_add_f32 v18, v18, v139 :: v_dual_add_f32 v1, v1, v14
	s_delay_alu instid0(VALU_DEP_1) | instskip(NEXT) | instid1(VALU_DEP_1)
	v_dual_add_f32 v18, v18, v141 :: v_dual_add_f32 v1, v1, v16
	v_dual_add_f32 v118, v18, v143 :: v_dual_add_f32 v1, v1, v17
	s_delay_alu instid0(VALU_DEP_1) | instskip(NEXT) | instid1(VALU_DEP_2)
	v_add_f32_e32 v118, v118, v145
	v_add_f32_e32 v6, v1, v128
	ds_load_2addr_b64 v[1:4], v21 offset0:85 offset1:86
	v_add_f32_e32 v118, v118, v147
	v_add_f32_e32 v14, v6, v129
	scratch_load_b128 v[5:8], off, off offset:312
	v_add_f32_e32 v14, v14, v137
	s_delay_alu instid0(VALU_DEP_1)
	v_add_f32_e32 v17, v14, v138
	ds_load_2addr_b64 v[13:16], v21 offset0:87 offset1:88
	s_wait_loadcnt_dscnt 0x101
	v_mul_f32_e32 v22, v1, v10
	v_mul_f32_e32 v10, v2, v10
	;; [unrolled: 1-line block ×4, first 2 shown]
	s_delay_alu instid0(VALU_DEP_4) | instskip(NEXT) | instid1(VALU_DEP_4)
	v_fmac_f32_e32 v22, v2, v9
	v_fma_f32 v123, v1, v9, -v10
	s_delay_alu instid0(VALU_DEP_4) | instskip(NEXT) | instid1(VALU_DEP_4)
	v_fmac_f32_e32 v122, v4, v11
	v_fma_f32 v124, v3, v11, -v12
	s_clause 0x1
	scratch_load_b128 v[1:4], off, off offset:328
	scratch_load_b128 v[9:12], off, off offset:344
	s_wait_loadcnt_dscnt 0x200
	v_mul_f32_e32 v126, v15, v8
	v_add_f32_e32 v17, v17, v140
	v_mul_f32_e32 v125, v13, v6
	v_mul_f32_e32 v6, v14, v6
	;; [unrolled: 1-line block ×3, first 2 shown]
	s_delay_alu instid0(VALU_DEP_4) | instskip(NEXT) | instid1(VALU_DEP_3)
	v_dual_fmac_f32 v126, v16, v7 :: v_dual_add_f32 v17, v17, v142
	v_fma_f32 v127, v13, v5, -v6
	v_add_f32_e32 v13, v118, v149
	s_delay_alu instid0(VALU_DEP_4) | instskip(NEXT) | instid1(VALU_DEP_4)
	v_fma_f32 v128, v15, v7, -v8
	v_add_f32_e32 v17, v17, v144
	s_delay_alu instid0(VALU_DEP_1) | instskip(SKIP_2) | instid1(VALU_DEP_1)
	v_add_f32_e32 v119, v17, v146
	scratch_load_b128 v[17:20], off, off offset:360
	v_add_f32_e32 v119, v119, v148
	v_add_f32_e32 v119, v119, v150
	s_delay_alu instid0(VALU_DEP_1)
	v_dual_add_f32 v118, v119, v152 :: v_dual_fmac_f32 v125, v14, v5
	ds_load_2addr_b64 v[5:8], v21 offset0:89 offset1:90
	v_add_f32_e32 v119, v13, v151
	ds_load_2addr_b64 v[13:16], v21 offset0:91 offset1:92
	v_dual_add_f32 v129, v118, v154 :: v_dual_add_f32 v132, v119, v153
	ds_load_2addr_b64 v[118:121], v21 offset0:93 offset1:94
	v_add_f32_e32 v21, v129, v156
	s_wait_loadcnt_dscnt 0x202
	v_dual_add_f32 v129, v132, v155 :: v_dual_mul_f32 v132, v5, v2
	s_delay_alu instid0(VALU_DEP_1) | instskip(NEXT) | instid1(VALU_DEP_2)
	v_dual_mul_f32 v2, v6, v2 :: v_dual_add_f32 v129, v129, v157
	v_fmac_f32_e32 v132, v6, v1
	s_wait_loadcnt_dscnt 0x101
	v_mul_f32_e32 v6, v14, v10
	s_delay_alu instid0(VALU_DEP_3) | instskip(SKIP_2) | instid1(VALU_DEP_3)
	v_add_f32_e32 v22, v129, v22
	v_mul_f32_e32 v129, v13, v10
	v_fma_f32 v2, v5, v1, -v2
	v_add_f32_e32 v22, v22, v122
	s_delay_alu instid0(VALU_DEP_1) | instskip(SKIP_2) | instid1(VALU_DEP_1)
	v_add_f32_e32 v22, v22, v125
	s_wait_loadcnt_dscnt 0x0
	v_mul_f32_e32 v122, v118, v18
	v_dual_add_f32 v21, v21, v158 :: v_dual_fmac_f32 v122, v119, v17
	s_delay_alu instid0(VALU_DEP_1) | instskip(SKIP_2) | instid1(VALU_DEP_2)
	v_add_f32_e32 v21, v21, v123
	v_mul_f32_e32 v123, v7, v4
	v_mul_f32_e32 v4, v8, v4
	v_fmac_f32_e32 v123, v8, v3
	s_delay_alu instid0(VALU_DEP_2) | instskip(SKIP_3) | instid1(VALU_DEP_3)
	v_fma_f32 v3, v7, v3, -v4
	v_dual_mul_f32 v4, v16, v12 :: v_dual_fmac_f32 v129, v14, v9
	v_add_f32_e32 v21, v21, v124
	v_dual_mul_f32 v124, v120, v20 :: v_dual_add_f32 v5, v22, v126
	v_fma_f32 v4, v15, v11, -v4
	s_delay_alu instid0(VALU_DEP_3) | instskip(NEXT) | instid1(VALU_DEP_3)
	v_add_f32_e32 v21, v21, v127
	v_fmac_f32_e32 v124, v121, v19
	s_delay_alu instid0(VALU_DEP_2) | instskip(NEXT) | instid1(VALU_DEP_1)
	v_add_f32_e32 v1, v21, v128
	v_add_f32_e32 v1, v1, v2
	;; [unrolled: 1-line block ×3, first 2 shown]
	v_mul_f32_e32 v133, v15, v12
	v_fma_f32 v5, v13, v9, -v6
	s_delay_alu instid0(VALU_DEP_3) | instskip(NEXT) | instid1(VALU_DEP_1)
	v_add_f32_e32 v2, v2, v123
	v_dual_fmac_f32 v133, v16, v11 :: v_dual_add_f32 v2, v2, v129
	s_delay_alu instid0(VALU_DEP_1) | instskip(NEXT) | instid1(VALU_DEP_1)
	v_add_f32_e32 v2, v2, v133
	v_add_f32_e32 v2, v2, v122
	s_delay_alu instid0(VALU_DEP_1) | instskip(SKIP_1) | instid1(VALU_DEP_2)
	v_dual_add_f32 v2, v2, v124 :: v_dual_add_f32 v1, v1, v3
	v_mul_f32_e32 v3, v119, v18
	v_dual_sub_f32 v2, v131, v2 :: v_dual_add_f32 v1, v1, v5
	v_mul_f32_e32 v5, v121, v20
	s_delay_alu instid0(VALU_DEP_3) | instskip(NEXT) | instid1(VALU_DEP_3)
	v_fma_f32 v3, v118, v17, -v3
	v_add_f32_e32 v1, v1, v4
	s_delay_alu instid0(VALU_DEP_3) | instskip(NEXT) | instid1(VALU_DEP_2)
	v_fma_f32 v4, v120, v19, -v5
	v_add_f32_e32 v1, v1, v3
	s_delay_alu instid0(VALU_DEP_1) | instskip(NEXT) | instid1(VALU_DEP_1)
	v_add_f32_e32 v1, v1, v4
	v_sub_f32_e32 v1, v130, v1
	scratch_store_b64 off, v[1:2], off offset:96
	v_cmpx_lt_u32_e32 11, v0
	s_cbranch_execz .LBB110_273
; %bb.272:
	scratch_load_b64 v[1:2], off, off offset:88
	v_mov_b32_e32 v3, 0
	s_delay_alu instid0(VALU_DEP_1)
	v_mov_b32_e32 v4, v3
	scratch_store_b64 off, v[3:4], off offset:88
	s_wait_loadcnt 0x0
	ds_store_b64 v23, v[1:2]
.LBB110_273:
	s_wait_alu 0xfffe
	s_or_b32 exec_lo, exec_lo, s0
	s_wait_storecnt_dscnt 0x0
	s_barrier_signal -1
	s_barrier_wait -1
	global_inv scope:SCOPE_SE
	s_clause 0x4
	scratch_load_b128 v[5:8], off, off offset:96
	scratch_load_b128 v[1:4], off, off offset:112
	;; [unrolled: 1-line block ×5, first 2 shown]
	v_mov_b32_e32 v21, 0
	ds_load_b128 v[118:121], v21 offset:480
	ds_load_b128 v[122:125], v21 offset:496
	;; [unrolled: 1-line block ×3, first 2 shown]
	scratch_load_b64 v[130:131], off, off offset:88
	s_mov_b32 s0, exec_lo
	s_wait_loadcnt_dscnt 0x502
	v_mul_f32_e32 v22, v119, v6
	v_dual_mul_f32 v132, v118, v6 :: v_dual_mul_f32 v133, v120, v8
	v_mul_f32_e32 v6, v121, v8
	s_delay_alu instid0(VALU_DEP_3) | instskip(NEXT) | instid1(VALU_DEP_3)
	v_fma_f32 v22, v118, v5, -v22
	v_dual_fmac_f32 v132, v119, v5 :: v_dual_fmac_f32 v133, v121, v7
	s_wait_loadcnt_dscnt 0x401
	v_mul_f32_e32 v119, v122, v2
	v_fma_f32 v118, v120, v7, -v6
	ds_load_b128 v[5:8], v21 offset:528
	s_wait_loadcnt_dscnt 0x301
	v_dual_mul_f32 v120, v124, v4 :: v_dual_mul_f32 v121, v126, v10
	v_dual_mul_f32 v4, v125, v4 :: v_dual_fmac_f32 v119, v123, v1
	v_mul_f32_e32 v10, v127, v10
	s_delay_alu instid0(VALU_DEP_3)
	v_dual_mul_f32 v134, v128, v12 :: v_dual_fmac_f32 v121, v127, v9
	v_mul_f32_e32 v12, v129, v12
	v_mul_f32_e32 v2, v123, v2
	v_fmac_f32_e32 v120, v125, v3
	v_fma_f32 v123, v124, v3, -v4
	v_fma_f32 v124, v126, v9, -v10
	v_fmac_f32_e32 v134, v129, v11
	v_fma_f32 v125, v128, v11, -v12
	ds_load_b128 v[9:12], v21 offset:544
	s_wait_loadcnt_dscnt 0x201
	v_dual_mul_f32 v127, v7, v16 :: v_dual_mul_f32 v126, v5, v14
	v_mul_f32_e32 v14, v6, v14
	v_mul_f32_e32 v16, v8, v16
	s_delay_alu instid0(VALU_DEP_3)
	v_fmac_f32_e32 v127, v8, v15
	v_fma_f32 v122, v122, v1, -v2
	scratch_load_b128 v[1:4], off, off offset:176
	v_fmac_f32_e32 v126, v6, v13
	v_fma_f32 v13, v5, v13, -v14
	v_fma_f32 v14, v7, v15, -v16
	ds_load_b128 v[5:8], v21 offset:560
	s_wait_loadcnt_dscnt 0x201
	v_mul_f32_e32 v15, v9, v18
	v_mul_f32_e32 v16, v10, v18
	;; [unrolled: 1-line block ×3, first 2 shown]
	s_delay_alu instid0(VALU_DEP_3) | instskip(NEXT) | instid1(VALU_DEP_3)
	v_dual_mul_f32 v20, v12, v20 :: v_dual_fmac_f32 v15, v10, v17
	v_fma_f32 v16, v9, v17, -v16
	s_delay_alu instid0(VALU_DEP_3) | instskip(NEXT) | instid1(VALU_DEP_3)
	v_fmac_f32_e32 v18, v12, v19
	v_fma_f32 v17, v11, v19, -v20
	scratch_load_b128 v[9:12], off, off offset:192
	s_wait_loadcnt_dscnt 0x100
	v_mul_f32_e32 v19, v5, v2
	v_mul_f32_e32 v2, v6, v2
	;; [unrolled: 1-line block ×3, first 2 shown]
	s_delay_alu instid0(VALU_DEP_3) | instskip(NEXT) | instid1(VALU_DEP_3)
	v_dual_mul_f32 v4, v8, v4 :: v_dual_fmac_f32 v19, v6, v1
	v_fma_f32 v128, v5, v1, -v2
	s_delay_alu instid0(VALU_DEP_3) | instskip(NEXT) | instid1(VALU_DEP_3)
	v_fmac_f32_e32 v20, v8, v3
	v_fma_f32 v129, v7, v3, -v4
	ds_load_b128 v[1:4], v21 offset:576
	ds_load_b128 v[5:8], v21 offset:592
	s_wait_loadcnt_dscnt 0x1
	v_mul_f32_e32 v135, v1, v10
	v_mul_f32_e32 v10, v2, v10
	s_delay_alu instid0(VALU_DEP_2) | instskip(NEXT) | instid1(VALU_DEP_2)
	v_dual_mul_f32 v136, v3, v12 :: v_dual_fmac_f32 v135, v2, v9
	v_fma_f32 v137, v1, v9, -v10
	v_mul_f32_e32 v1, v4, v12
	s_delay_alu instid0(VALU_DEP_3) | instskip(NEXT) | instid1(VALU_DEP_2)
	v_fmac_f32_e32 v136, v4, v11
	v_fma_f32 v138, v3, v11, -v1
	s_clause 0x1
	scratch_load_b128 v[1:4], off, off offset:208
	scratch_load_b128 v[9:12], off, off offset:224
	s_wait_loadcnt_dscnt 0x100
	v_mul_f32_e32 v139, v5, v2
	v_dual_mul_f32 v2, v6, v2 :: v_dual_mul_f32 v141, v7, v4
	s_delay_alu instid0(VALU_DEP_2) | instskip(NEXT) | instid1(VALU_DEP_2)
	v_fmac_f32_e32 v139, v6, v1
	v_fma_f32 v140, v5, v1, -v2
	v_mul_f32_e32 v1, v8, v4
	s_delay_alu instid0(VALU_DEP_4) | instskip(NEXT) | instid1(VALU_DEP_2)
	v_fmac_f32_e32 v141, v8, v3
	v_fma_f32 v142, v7, v3, -v1
	ds_load_b128 v[1:4], v21 offset:608
	ds_load_b128 v[5:8], v21 offset:624
	s_wait_loadcnt_dscnt 0x1
	v_mul_f32_e32 v143, v1, v10
	v_mul_f32_e32 v145, v3, v12
	s_delay_alu instid0(VALU_DEP_2) | instskip(NEXT) | instid1(VALU_DEP_2)
	v_fmac_f32_e32 v143, v2, v9
	v_dual_mul_f32 v2, v2, v10 :: v_dual_fmac_f32 v145, v4, v11
	s_delay_alu instid0(VALU_DEP_1) | instskip(SKIP_1) | instid1(VALU_DEP_1)
	v_fma_f32 v144, v1, v9, -v2
	v_mul_f32_e32 v1, v4, v12
	v_fma_f32 v146, v3, v11, -v1
	s_clause 0x1
	scratch_load_b128 v[1:4], off, off offset:240
	scratch_load_b128 v[9:12], off, off offset:256
	s_wait_loadcnt_dscnt 0x100
	v_mul_f32_e32 v147, v5, v2
	v_dual_mul_f32 v149, v7, v4 :: v_dual_mul_f32 v2, v6, v2
	s_delay_alu instid0(VALU_DEP_2) | instskip(NEXT) | instid1(VALU_DEP_2)
	v_fmac_f32_e32 v147, v6, v1
	v_fmac_f32_e32 v149, v8, v3
	s_delay_alu instid0(VALU_DEP_3) | instskip(SKIP_1) | instid1(VALU_DEP_1)
	v_fma_f32 v148, v5, v1, -v2
	v_mul_f32_e32 v1, v8, v4
	v_fma_f32 v150, v7, v3, -v1
	ds_load_b128 v[1:4], v21 offset:640
	ds_load_b128 v[5:8], v21 offset:656
	s_wait_loadcnt_dscnt 0x1
	v_mul_f32_e32 v151, v1, v10
	v_mul_f32_e32 v153, v3, v12
	s_delay_alu instid0(VALU_DEP_2) | instskip(NEXT) | instid1(VALU_DEP_2)
	v_fmac_f32_e32 v151, v2, v9
	v_dual_mul_f32 v2, v2, v10 :: v_dual_fmac_f32 v153, v4, v11
	s_delay_alu instid0(VALU_DEP_1) | instskip(SKIP_1) | instid1(VALU_DEP_1)
	v_fma_f32 v152, v1, v9, -v2
	v_mul_f32_e32 v1, v4, v12
	v_fma_f32 v154, v3, v11, -v1
	s_clause 0x1
	scratch_load_b128 v[1:4], off, off offset:272
	scratch_load_b128 v[9:12], off, off offset:288
	s_wait_loadcnt_dscnt 0x100
	v_mul_f32_e32 v155, v5, v2
	v_mul_f32_e32 v2, v6, v2
	s_delay_alu instid0(VALU_DEP_1) | instskip(SKIP_1) | instid1(VALU_DEP_1)
	v_fma_f32 v156, v5, v1, -v2
	v_add_f32_e32 v2, 0, v132
	v_add_f32_e32 v2, v2, v133
	s_delay_alu instid0(VALU_DEP_1) | instskip(NEXT) | instid1(VALU_DEP_1)
	v_add_f32_e32 v2, v2, v119
	v_add_f32_e32 v2, v2, v120
	v_mul_f32_e32 v157, v7, v4
	v_fmac_f32_e32 v155, v6, v1
	s_delay_alu instid0(VALU_DEP_2) | instskip(NEXT) | instid1(VALU_DEP_1)
	v_dual_add_f32 v2, v2, v121 :: v_dual_fmac_f32 v157, v8, v3
	v_dual_add_f32 v2, v2, v134 :: v_dual_mul_f32 v1, v8, v4
	s_delay_alu instid0(VALU_DEP_1) | instskip(NEXT) | instid1(VALU_DEP_2)
	v_add_f32_e32 v2, v2, v126
	v_fma_f32 v158, v7, v3, -v1
	s_delay_alu instid0(VALU_DEP_2) | instskip(NEXT) | instid1(VALU_DEP_1)
	v_dual_add_f32 v1, 0, v22 :: v_dual_add_f32 v2, v2, v127
	v_dual_add_f32 v1, v1, v118 :: v_dual_add_f32 v2, v2, v15
	s_delay_alu instid0(VALU_DEP_1) | instskip(NEXT) | instid1(VALU_DEP_2)
	v_add_f32_e32 v1, v1, v122
	v_add_f32_e32 v5, v2, v18
	s_delay_alu instid0(VALU_DEP_2) | instskip(SKIP_2) | instid1(VALU_DEP_1)
	v_add_f32_e32 v1, v1, v123
	scratch_load_b64 v[122:123], off, off offset:368
	v_add_f32_e32 v1, v1, v124
	v_add_f32_e32 v1, v1, v125
	s_delay_alu instid0(VALU_DEP_1) | instskip(SKIP_1) | instid1(VALU_DEP_2)
	v_add_f32_e32 v1, v1, v13
	v_add_f32_e32 v13, v5, v19
	;; [unrolled: 1-line block ×3, first 2 shown]
	s_delay_alu instid0(VALU_DEP_2) | instskip(NEXT) | instid1(VALU_DEP_2)
	v_add_f32_e32 v13, v13, v20
	v_add_f32_e32 v1, v1, v16
	s_delay_alu instid0(VALU_DEP_2) | instskip(NEXT) | instid1(VALU_DEP_2)
	v_add_f32_e32 v13, v13, v135
	v_add_f32_e32 v1, v1, v17
	;; [unrolled: 3-line block ×3, first 2 shown]
	scratch_load_b128 v[1:4], off, off offset:304
	v_add_f32_e32 v18, v18, v139
	v_add_f32_e32 v14, v6, v129
	ds_load_b128 v[5:8], v21 offset:672
	v_add_f32_e32 v18, v18, v141
	v_add_f32_e32 v14, v14, v137
	s_delay_alu instid0(VALU_DEP_2) | instskip(NEXT) | instid1(VALU_DEP_2)
	v_add_f32_e32 v118, v18, v143
	v_add_f32_e32 v17, v14, v138
	ds_load_b128 v[13:16], v21 offset:688
	v_add_f32_e32 v118, v118, v145
	s_delay_alu instid0(VALU_DEP_1)
	v_add_f32_e32 v118, v118, v147
	s_wait_loadcnt_dscnt 0x201
	v_mul_f32_e32 v22, v5, v10
	v_mul_f32_e32 v10, v6, v10
	;; [unrolled: 1-line block ×4, first 2 shown]
	v_add_f32_e32 v118, v118, v149
	v_fmac_f32_e32 v22, v6, v9
	v_fma_f32 v127, v5, v9, -v10
	v_fmac_f32_e32 v126, v8, v11
	v_fma_f32 v128, v7, v11, -v12
	s_clause 0x1
	scratch_load_b128 v[5:8], off, off offset:320
	scratch_load_b128 v[9:12], off, off offset:336
	s_wait_loadcnt_dscnt 0x200
	v_mul_f32_e32 v132, v15, v4
	v_mul_f32_e32 v4, v16, v4
	v_add_f32_e32 v17, v17, v140
	v_mul_f32_e32 v129, v13, v2
	v_mul_f32_e32 v2, v14, v2
	v_fmac_f32_e32 v132, v16, v3
	v_fma_f32 v134, v15, v3, -v4
	v_add_f32_e32 v17, v17, v142
	s_delay_alu instid0(VALU_DEP_4) | instskip(SKIP_1) | instid1(VALU_DEP_3)
	v_fma_f32 v133, v13, v1, -v2
	v_add_f32_e32 v13, v118, v151
	v_add_f32_e32 v17, v17, v144
	s_delay_alu instid0(VALU_DEP_2) | instskip(NEXT) | instid1(VALU_DEP_2)
	v_add_f32_e32 v118, v13, v153
	v_add_f32_e32 v119, v17, v146
	scratch_load_b128 v[17:20], off, off offset:352
	v_add_f32_e32 v125, v118, v155
	s_delay_alu instid0(VALU_DEP_1) | instskip(NEXT) | instid1(VALU_DEP_1)
	v_dual_add_f32 v119, v119, v148 :: v_dual_add_f32 v136, v125, v157
	v_add_f32_e32 v119, v119, v150
	s_delay_alu instid0(VALU_DEP_1)
	v_dual_add_f32 v22, v136, v22 :: v_dual_add_f32 v119, v119, v152
	v_fmac_f32_e32 v129, v14, v1
	ds_load_b128 v[1:4], v21 offset:704
	v_add_f32_e32 v22, v22, v126
	v_add_f32_e32 v14, v119, v154
	ds_load_b128 v[118:121], v21 offset:736
	v_add_f32_e32 v22, v22, v129
	v_add_f32_e32 v124, v14, v156
	ds_load_b128 v[13:16], v21 offset:720
	v_dual_add_f32 v22, v22, v132 :: v_dual_add_f32 v135, v124, v158
	ds_load_b64 v[124:125], v21 offset:752
	v_add_f32_e32 v127, v135, v127
	s_wait_loadcnt_dscnt 0x203
	v_mul_f32_e32 v135, v1, v6
	v_mul_f32_e32 v6, v2, v6
	;; [unrolled: 1-line block ×3, first 2 shown]
	v_add_f32_e32 v127, v127, v128
	s_delay_alu instid0(VALU_DEP_4) | instskip(NEXT) | instid1(VALU_DEP_4)
	v_dual_mul_f32 v8, v4, v8 :: v_dual_fmac_f32 v135, v2, v5
	v_fma_f32 v1, v1, v5, -v6
	s_delay_alu instid0(VALU_DEP_4)
	v_fmac_f32_e32 v126, v4, v7
	s_wait_loadcnt_dscnt 0x101
	v_dual_mul_f32 v128, v13, v10 :: v_dual_add_f32 v127, v127, v133
	v_fma_f32 v2, v3, v7, -v8
	v_dual_add_f32 v4, v22, v135 :: v_dual_mul_f32 v129, v15, v12
	s_wait_dscnt 0x0
	s_delay_alu instid0(VALU_DEP_3) | instskip(SKIP_1) | instid1(VALU_DEP_2)
	v_dual_mul_f32 v132, v124, v123 :: v_dual_add_f32 v127, v127, v134
	v_dual_mul_f32 v5, v16, v12 :: v_dual_fmac_f32 v128, v14, v9
	v_dual_fmac_f32 v129, v16, v11 :: v_dual_fmac_f32 v132, v125, v122
	s_delay_alu instid0(VALU_DEP_3) | instskip(NEXT) | instid1(VALU_DEP_3)
	v_add_f32_e32 v1, v127, v1
	v_fma_f32 v5, v15, v11, -v5
	s_delay_alu instid0(VALU_DEP_2) | instskip(SKIP_3) | instid1(VALU_DEP_2)
	v_add_f32_e32 v1, v1, v2
	s_wait_loadcnt 0x0
	v_dual_mul_f32 v133, v118, v18 :: v_dual_mul_f32 v134, v120, v20
	v_mul_f32_e32 v3, v14, v10
	v_dual_fmac_f32 v133, v119, v17 :: v_dual_fmac_f32 v134, v121, v19
	s_delay_alu instid0(VALU_DEP_2) | instskip(SKIP_2) | instid1(VALU_DEP_2)
	v_fma_f32 v3, v13, v9, -v3
	v_add_f32_e32 v2, v4, v126
	v_mul_f32_e32 v4, v119, v18
	v_dual_add_f32 v2, v2, v128 :: v_dual_add_f32 v1, v1, v3
	v_mul_f32_e32 v3, v121, v20
	s_delay_alu instid0(VALU_DEP_3) | instskip(NEXT) | instid1(VALU_DEP_3)
	v_fma_f32 v4, v118, v17, -v4
	v_add_f32_e32 v2, v2, v129
	s_delay_alu instid0(VALU_DEP_3) | instskip(NEXT) | instid1(VALU_DEP_2)
	v_fma_f32 v3, v120, v19, -v3
	v_add_f32_e32 v2, v2, v133
	s_delay_alu instid0(VALU_DEP_1) | instskip(NEXT) | instid1(VALU_DEP_1)
	v_dual_add_f32 v1, v1, v5 :: v_dual_add_f32 v2, v2, v134
	v_dual_mul_f32 v5, v125, v123 :: v_dual_add_f32 v2, v2, v132
	s_delay_alu instid0(VALU_DEP_2) | instskip(NEXT) | instid1(VALU_DEP_2)
	v_add_f32_e32 v1, v1, v4
	v_fma_f32 v4, v124, v122, -v5
	s_delay_alu instid0(VALU_DEP_2) | instskip(NEXT) | instid1(VALU_DEP_1)
	v_dual_sub_f32 v2, v131, v2 :: v_dual_add_f32 v1, v1, v3
	v_add_f32_e32 v1, v1, v4
	s_delay_alu instid0(VALU_DEP_1)
	v_sub_f32_e32 v1, v130, v1
	scratch_store_b64 off, v[1:2], off offset:88
	v_cmpx_lt_u32_e32 10, v0
	s_cbranch_execz .LBB110_275
; %bb.274:
	scratch_load_b64 v[1:2], off, off offset:80
	v_mov_b32_e32 v22, v21
	scratch_store_b64 off, v[21:22], off offset:80
	s_wait_loadcnt 0x0
	ds_store_b64 v23, v[1:2]
.LBB110_275:
	s_wait_alu 0xfffe
	s_or_b32 exec_lo, exec_lo, s0
	s_wait_storecnt_dscnt 0x0
	s_barrier_signal -1
	s_barrier_wait -1
	global_inv scope:SCOPE_SE
	s_clause 0x4
	scratch_load_b128 v[5:8], off, off offset:88
	scratch_load_b128 v[1:4], off, off offset:104
	;; [unrolled: 1-line block ×5, first 2 shown]
	ds_load_2addr_b64 v[118:121], v21 offset0:59 offset1:60
	ds_load_2addr_b64 v[122:125], v21 offset0:61 offset1:62
	;; [unrolled: 1-line block ×3, first 2 shown]
	scratch_load_b64 v[130:131], off, off offset:80
	s_mov_b32 s0, exec_lo
	s_wait_loadcnt_dscnt 0x502
	v_dual_mul_f32 v22, v119, v6 :: v_dual_mul_f32 v133, v120, v8
	v_mul_f32_e32 v132, v118, v6
	v_mul_f32_e32 v6, v121, v8
	s_wait_loadcnt_dscnt 0x300
	v_mul_f32_e32 v134, v128, v12
	v_fma_f32 v22, v118, v5, -v22
	v_dual_fmac_f32 v133, v121, v7 :: v_dual_fmac_f32 v132, v119, v5
	v_mul_f32_e32 v121, v126, v10
	v_mul_f32_e32 v119, v122, v2
	v_fma_f32 v118, v120, v7, -v6
	ds_load_2addr_b64 v[5:8], v21 offset0:65 offset1:66
	v_mul_f32_e32 v120, v124, v4
	v_dual_mul_f32 v4, v125, v4 :: v_dual_fmac_f32 v121, v127, v9
	v_mul_f32_e32 v10, v127, v10
	v_mul_f32_e32 v12, v129, v12
	;; [unrolled: 1-line block ×3, first 2 shown]
	v_dual_fmac_f32 v119, v123, v1 :: v_dual_fmac_f32 v120, v125, v3
	v_fma_f32 v123, v124, v3, -v4
	v_fma_f32 v124, v126, v9, -v10
	v_fmac_f32_e32 v134, v129, v11
	v_fma_f32 v125, v128, v11, -v12
	ds_load_2addr_b64 v[9:12], v21 offset0:67 offset1:68
	s_wait_loadcnt_dscnt 0x201
	v_dual_mul_f32 v127, v7, v16 :: v_dual_mul_f32 v126, v5, v14
	s_delay_alu instid0(VALU_DEP_1)
	v_dual_mul_f32 v14, v6, v14 :: v_dual_fmac_f32 v127, v8, v15
	v_fma_f32 v122, v122, v1, -v2
	scratch_load_b128 v[1:4], off, off offset:168
	v_mul_f32_e32 v16, v8, v16
	v_fmac_f32_e32 v126, v6, v13
	v_fma_f32 v13, v5, v13, -v14
	s_delay_alu instid0(VALU_DEP_3)
	v_fma_f32 v14, v7, v15, -v16
	s_wait_loadcnt_dscnt 0x200
	v_mul_f32_e32 v15, v9, v18
	v_mul_f32_e32 v16, v10, v18
	;; [unrolled: 1-line block ×4, first 2 shown]
	ds_load_2addr_b64 v[5:8], v21 offset0:69 offset1:70
	v_fmac_f32_e32 v15, v10, v17
	v_fma_f32 v16, v9, v17, -v16
	v_fmac_f32_e32 v18, v12, v19
	v_fma_f32 v17, v11, v19, -v20
	scratch_load_b128 v[9:12], off, off offset:184
	s_wait_loadcnt_dscnt 0x100
	v_mul_f32_e32 v19, v5, v2
	v_mul_f32_e32 v2, v6, v2
	;; [unrolled: 1-line block ×3, first 2 shown]
	s_delay_alu instid0(VALU_DEP_3) | instskip(NEXT) | instid1(VALU_DEP_3)
	v_dual_mul_f32 v4, v8, v4 :: v_dual_fmac_f32 v19, v6, v1
	v_fma_f32 v128, v5, v1, -v2
	s_delay_alu instid0(VALU_DEP_3) | instskip(NEXT) | instid1(VALU_DEP_3)
	v_fmac_f32_e32 v20, v8, v3
	v_fma_f32 v129, v7, v3, -v4
	ds_load_2addr_b64 v[1:4], v21 offset0:71 offset1:72
	ds_load_2addr_b64 v[5:8], v21 offset0:73 offset1:74
	s_wait_loadcnt_dscnt 0x1
	v_mul_f32_e32 v135, v1, v10
	v_mul_f32_e32 v10, v2, v10
	s_delay_alu instid0(VALU_DEP_2) | instskip(NEXT) | instid1(VALU_DEP_2)
	v_dual_mul_f32 v136, v3, v12 :: v_dual_fmac_f32 v135, v2, v9
	v_fma_f32 v137, v1, v9, -v10
	v_mul_f32_e32 v1, v4, v12
	s_delay_alu instid0(VALU_DEP_3) | instskip(NEXT) | instid1(VALU_DEP_2)
	v_fmac_f32_e32 v136, v4, v11
	v_fma_f32 v138, v3, v11, -v1
	s_clause 0x1
	scratch_load_b128 v[1:4], off, off offset:200
	scratch_load_b128 v[9:12], off, off offset:216
	s_wait_loadcnt_dscnt 0x100
	v_mul_f32_e32 v139, v5, v2
	v_dual_mul_f32 v2, v6, v2 :: v_dual_mul_f32 v141, v7, v4
	s_delay_alu instid0(VALU_DEP_2) | instskip(NEXT) | instid1(VALU_DEP_2)
	v_fmac_f32_e32 v139, v6, v1
	v_fma_f32 v140, v5, v1, -v2
	v_mul_f32_e32 v1, v8, v4
	s_delay_alu instid0(VALU_DEP_4) | instskip(NEXT) | instid1(VALU_DEP_2)
	v_fmac_f32_e32 v141, v8, v3
	v_fma_f32 v142, v7, v3, -v1
	ds_load_2addr_b64 v[1:4], v21 offset0:75 offset1:76
	ds_load_2addr_b64 v[5:8], v21 offset0:77 offset1:78
	s_wait_loadcnt_dscnt 0x1
	v_mul_f32_e32 v143, v1, v10
	v_mul_f32_e32 v145, v3, v12
	s_delay_alu instid0(VALU_DEP_2) | instskip(NEXT) | instid1(VALU_DEP_2)
	v_fmac_f32_e32 v143, v2, v9
	v_dual_mul_f32 v2, v2, v10 :: v_dual_fmac_f32 v145, v4, v11
	s_delay_alu instid0(VALU_DEP_1) | instskip(SKIP_1) | instid1(VALU_DEP_1)
	v_fma_f32 v144, v1, v9, -v2
	v_mul_f32_e32 v1, v4, v12
	v_fma_f32 v146, v3, v11, -v1
	s_clause 0x1
	scratch_load_b128 v[1:4], off, off offset:232
	scratch_load_b128 v[9:12], off, off offset:248
	s_wait_loadcnt_dscnt 0x100
	v_mul_f32_e32 v147, v5, v2
	v_dual_mul_f32 v2, v6, v2 :: v_dual_mul_f32 v149, v7, v4
	s_delay_alu instid0(VALU_DEP_2) | instskip(NEXT) | instid1(VALU_DEP_2)
	v_fmac_f32_e32 v147, v6, v1
	v_fma_f32 v148, v5, v1, -v2
	v_mul_f32_e32 v1, v8, v4
	s_delay_alu instid0(VALU_DEP_4) | instskip(NEXT) | instid1(VALU_DEP_2)
	v_fmac_f32_e32 v149, v8, v3
	v_fma_f32 v150, v7, v3, -v1
	ds_load_2addr_b64 v[1:4], v21 offset0:79 offset1:80
	ds_load_2addr_b64 v[5:8], v21 offset0:81 offset1:82
	s_wait_loadcnt_dscnt 0x1
	v_mul_f32_e32 v151, v1, v10
	v_mul_f32_e32 v153, v3, v12
	s_delay_alu instid0(VALU_DEP_2) | instskip(NEXT) | instid1(VALU_DEP_2)
	v_fmac_f32_e32 v151, v2, v9
	v_dual_mul_f32 v2, v2, v10 :: v_dual_fmac_f32 v153, v4, v11
	s_delay_alu instid0(VALU_DEP_1) | instskip(SKIP_1) | instid1(VALU_DEP_1)
	v_fma_f32 v152, v1, v9, -v2
	v_mul_f32_e32 v1, v4, v12
	;; [unrolled: 25-line block ×3, first 2 shown]
	v_fma_f32 v162, v3, v11, -v1
	s_clause 0x1
	scratch_load_b128 v[1:4], off, off offset:296
	scratch_load_b128 v[9:12], off, off offset:312
	s_wait_loadcnt_dscnt 0x100
	v_mul_f32_e32 v163, v5, v2
	v_mul_f32_e32 v2, v6, v2
	s_delay_alu instid0(VALU_DEP_1) | instskip(SKIP_1) | instid1(VALU_DEP_1)
	v_fma_f32 v164, v5, v1, -v2
	v_add_f32_e32 v2, 0, v132
	v_add_f32_e32 v2, v2, v133
	s_delay_alu instid0(VALU_DEP_1) | instskip(NEXT) | instid1(VALU_DEP_1)
	v_add_f32_e32 v2, v2, v119
	v_add_f32_e32 v2, v2, v120
	s_delay_alu instid0(VALU_DEP_1) | instskip(NEXT) | instid1(VALU_DEP_1)
	;; [unrolled: 3-line block ×3, first 2 shown]
	v_add_f32_e32 v2, v2, v126
	v_add_f32_e32 v2, v2, v127
	s_delay_alu instid0(VALU_DEP_1) | instskip(SKIP_1) | instid1(VALU_DEP_2)
	v_add_f32_e32 v2, v2, v15
	v_fmac_f32_e32 v163, v6, v1
	v_dual_mul_f32 v165, v7, v4 :: v_dual_add_f32 v2, v2, v18
	s_delay_alu instid0(VALU_DEP_1) | instskip(NEXT) | instid1(VALU_DEP_1)
	v_dual_mul_f32 v1, v8, v4 :: v_dual_add_f32 v2, v2, v19
	v_fma_f32 v166, v7, v3, -v1
	v_add_f32_e32 v1, 0, v22
	s_delay_alu instid0(VALU_DEP_3) | instskip(NEXT) | instid1(VALU_DEP_2)
	v_dual_fmac_f32 v165, v8, v3 :: v_dual_add_f32 v2, v2, v20
	v_add_f32_e32 v1, v1, v118
	s_delay_alu instid0(VALU_DEP_2) | instskip(NEXT) | instid1(VALU_DEP_2)
	v_add_f32_e32 v5, v2, v135
	v_add_f32_e32 v1, v1, v122
	s_delay_alu instid0(VALU_DEP_2) | instskip(NEXT) | instid1(VALU_DEP_2)
	v_add_f32_e32 v5, v5, v136
	;; [unrolled: 3-line block ×3, first 2 shown]
	v_add_f32_e32 v1, v1, v124
	s_delay_alu instid0(VALU_DEP_1) | instskip(NEXT) | instid1(VALU_DEP_1)
	v_add_f32_e32 v1, v1, v125
	v_add_f32_e32 v1, v1, v13
	s_delay_alu instid0(VALU_DEP_1) | instskip(SKIP_1) | instid1(VALU_DEP_1)
	v_add_f32_e32 v1, v1, v14
	v_add_f32_e32 v14, v5, v141
	;; [unrolled: 1-line block ×3, first 2 shown]
	s_delay_alu instid0(VALU_DEP_1) | instskip(NEXT) | instid1(VALU_DEP_1)
	v_dual_add_f32 v14, v14, v145 :: v_dual_add_f32 v1, v1, v16
	v_add_f32_e32 v1, v1, v17
	s_delay_alu instid0(VALU_DEP_1) | instskip(NEXT) | instid1(VALU_DEP_1)
	v_add_f32_e32 v1, v1, v128
	v_add_f32_e32 v1, v1, v129
	s_delay_alu instid0(VALU_DEP_1) | instskip(NEXT) | instid1(VALU_DEP_1)
	v_add_f32_e32 v1, v1, v137
	v_add_f32_e32 v6, v1, v138
	ds_load_2addr_b64 v[1:4], v21 offset0:87 offset1:88
	v_add_f32_e32 v6, v6, v140
	s_delay_alu instid0(VALU_DEP_1)
	v_add_f32_e32 v13, v6, v142
	ds_load_2addr_b64 v[5:8], v21 offset0:89 offset1:90
	s_wait_loadcnt_dscnt 0x1
	v_mul_f32_e32 v22, v1, v10
	v_mul_f32_e32 v122, v3, v12
	;; [unrolled: 1-line block ×4, first 2 shown]
	s_delay_alu instid0(VALU_DEP_4) | instskip(NEXT) | instid1(VALU_DEP_4)
	v_fmac_f32_e32 v22, v2, v9
	v_fmac_f32_e32 v122, v4, v11
	s_delay_alu instid0(VALU_DEP_4) | instskip(NEXT) | instid1(VALU_DEP_4)
	v_fma_f32 v123, v1, v9, -v10
	v_fma_f32 v124, v3, v11, -v12
	s_clause 0x1
	scratch_load_b128 v[1:4], off, off offset:328
	scratch_load_b128 v[9:12], off, off offset:344
	v_add_f32_e32 v13, v13, v144
	v_add_f32_e32 v17, v14, v147
	s_delay_alu instid0(VALU_DEP_1) | instskip(SKIP_3) | instid1(VALU_DEP_2)
	v_add_f32_e32 v17, v17, v149
	s_wait_loadcnt_dscnt 0x100
	v_mul_f32_e32 v127, v7, v4
	v_mul_f32_e32 v4, v8, v4
	v_fmac_f32_e32 v127, v8, v3
	v_add_f32_e32 v13, v13, v146
	s_delay_alu instid0(VALU_DEP_3) | instskip(NEXT) | instid1(VALU_DEP_2)
	v_fma_f32 v3, v7, v3, -v4
	v_add_f32_e32 v13, v13, v148
	s_delay_alu instid0(VALU_DEP_1) | instskip(SKIP_2) | instid1(VALU_DEP_1)
	v_add_f32_e32 v18, v13, v150
	scratch_load_b128 v[13:16], off, off offset:360
	v_dual_add_f32 v17, v17, v151 :: v_dual_add_f32 v18, v18, v152
	v_dual_add_f32 v17, v17, v153 :: v_dual_add_f32 v18, v18, v154
	s_delay_alu instid0(VALU_DEP_1)
	v_dual_add_f32 v119, v17, v155 :: v_dual_add_f32 v118, v18, v156
	ds_load_2addr_b64 v[17:20], v21 offset0:91 offset1:92
	v_dual_add_f32 v126, v119, v157 :: v_dual_add_f32 v125, v118, v158
	ds_load_2addr_b64 v[118:121], v21 offset0:93 offset1:94
	v_add_f32_e32 v21, v125, v160
	v_dual_add_f32 v125, v126, v159 :: v_dual_mul_f32 v126, v5, v2
	v_mul_f32_e32 v2, v6, v2
	s_delay_alu instid0(VALU_DEP_2) | instskip(NEXT) | instid1(VALU_DEP_2)
	v_dual_add_f32 v21, v21, v162 :: v_dual_fmac_f32 v126, v6, v1
	v_fma_f32 v2, v5, v1, -v2
	s_delay_alu instid0(VALU_DEP_2) | instskip(SKIP_3) | instid1(VALU_DEP_3)
	v_add_f32_e32 v21, v21, v164
	s_wait_loadcnt_dscnt 0x101
	v_mul_f32_e32 v128, v17, v10
	v_dual_add_f32 v125, v125, v161 :: v_dual_mul_f32 v6, v18, v10
	v_dual_mul_f32 v4, v20, v12 :: v_dual_add_f32 v21, v21, v166
	s_delay_alu instid0(VALU_DEP_2) | instskip(NEXT) | instid1(VALU_DEP_2)
	v_dual_fmac_f32 v128, v18, v9 :: v_dual_add_f32 v125, v125, v163
	v_fma_f32 v4, v19, v11, -v4
	s_delay_alu instid0(VALU_DEP_3) | instskip(NEXT) | instid1(VALU_DEP_3)
	v_add_f32_e32 v21, v21, v123
	v_add_f32_e32 v125, v125, v165
	s_delay_alu instid0(VALU_DEP_2) | instskip(NEXT) | instid1(VALU_DEP_2)
	v_add_f32_e32 v1, v21, v124
	v_add_f32_e32 v22, v125, v22
	s_delay_alu instid0(VALU_DEP_2) | instskip(NEXT) | instid1(VALU_DEP_2)
	v_add_f32_e32 v1, v1, v2
	v_add_f32_e32 v5, v22, v122
	v_mul_f32_e32 v129, v19, v12
	s_delay_alu instid0(VALU_DEP_3) | instskip(NEXT) | instid1(VALU_DEP_3)
	v_add_f32_e32 v1, v1, v3
	v_add_f32_e32 v2, v5, v126
	v_fma_f32 v5, v17, v9, -v6
	s_delay_alu instid0(VALU_DEP_4) | instskip(NEXT) | instid1(VALU_DEP_2)
	v_fmac_f32_e32 v129, v20, v11
	v_dual_add_f32 v2, v2, v127 :: v_dual_add_f32 v1, v1, v5
	s_delay_alu instid0(VALU_DEP_1) | instskip(NEXT) | instid1(VALU_DEP_1)
	v_add_f32_e32 v2, v2, v128
	v_dual_add_f32 v1, v1, v4 :: v_dual_add_f32 v2, v2, v129
	s_wait_loadcnt_dscnt 0x0
	v_mul_f32_e32 v132, v118, v14
	v_mul_f32_e32 v3, v119, v14
	;; [unrolled: 1-line block ×3, first 2 shown]
	s_delay_alu instid0(VALU_DEP_3) | instskip(NEXT) | instid1(VALU_DEP_3)
	v_dual_mul_f32 v5, v121, v16 :: v_dual_fmac_f32 v132, v119, v13
	v_fma_f32 v3, v118, v13, -v3
	s_delay_alu instid0(VALU_DEP_3) | instskip(NEXT) | instid1(VALU_DEP_3)
	v_fmac_f32_e32 v123, v121, v15
	v_fma_f32 v4, v120, v15, -v5
	s_delay_alu instid0(VALU_DEP_3) | instskip(NEXT) | instid1(VALU_DEP_1)
	v_dual_add_f32 v2, v2, v132 :: v_dual_add_f32 v1, v1, v3
	v_dual_add_f32 v2, v2, v123 :: v_dual_add_f32 v1, v1, v4
	s_delay_alu instid0(VALU_DEP_1)
	v_dual_sub_f32 v2, v131, v2 :: v_dual_sub_f32 v1, v130, v1
	scratch_store_b64 off, v[1:2], off offset:80
	v_cmpx_lt_u32_e32 9, v0
	s_cbranch_execz .LBB110_277
; %bb.276:
	scratch_load_b64 v[1:2], off, off offset:72
	v_mov_b32_e32 v3, 0
	s_delay_alu instid0(VALU_DEP_1)
	v_mov_b32_e32 v4, v3
	scratch_store_b64 off, v[3:4], off offset:72
	s_wait_loadcnt 0x0
	ds_store_b64 v23, v[1:2]
.LBB110_277:
	s_wait_alu 0xfffe
	s_or_b32 exec_lo, exec_lo, s0
	s_wait_storecnt_dscnt 0x0
	s_barrier_signal -1
	s_barrier_wait -1
	global_inv scope:SCOPE_SE
	s_clause 0x4
	scratch_load_b128 v[5:8], off, off offset:80
	scratch_load_b128 v[1:4], off, off offset:96
	;; [unrolled: 1-line block ×5, first 2 shown]
	v_mov_b32_e32 v21, 0
	ds_load_b128 v[118:121], v21 offset:464
	ds_load_b128 v[122:125], v21 offset:480
	;; [unrolled: 1-line block ×3, first 2 shown]
	scratch_load_b64 v[130:131], off, off offset:72
	s_mov_b32 s0, exec_lo
	s_wait_loadcnt_dscnt 0x502
	v_mul_f32_e32 v22, v119, v6
	v_dual_mul_f32 v132, v118, v6 :: v_dual_mul_f32 v133, v120, v8
	v_mul_f32_e32 v6, v121, v8
	s_delay_alu instid0(VALU_DEP_3) | instskip(NEXT) | instid1(VALU_DEP_3)
	v_fma_f32 v22, v118, v5, -v22
	v_dual_fmac_f32 v132, v119, v5 :: v_dual_fmac_f32 v133, v121, v7
	s_wait_loadcnt_dscnt 0x401
	v_mul_f32_e32 v119, v122, v2
	v_fma_f32 v118, v120, v7, -v6
	ds_load_b128 v[5:8], v21 offset:512
	s_wait_loadcnt_dscnt 0x301
	v_dual_mul_f32 v120, v124, v4 :: v_dual_mul_f32 v121, v126, v10
	v_dual_mul_f32 v4, v125, v4 :: v_dual_fmac_f32 v119, v123, v1
	v_mul_f32_e32 v10, v127, v10
	s_delay_alu instid0(VALU_DEP_3)
	v_dual_mul_f32 v134, v128, v12 :: v_dual_fmac_f32 v121, v127, v9
	v_mul_f32_e32 v12, v129, v12
	v_mul_f32_e32 v2, v123, v2
	v_fmac_f32_e32 v120, v125, v3
	v_fma_f32 v123, v124, v3, -v4
	v_fma_f32 v124, v126, v9, -v10
	v_fmac_f32_e32 v134, v129, v11
	v_fma_f32 v125, v128, v11, -v12
	ds_load_b128 v[9:12], v21 offset:528
	s_wait_loadcnt_dscnt 0x201
	v_dual_mul_f32 v127, v7, v16 :: v_dual_mul_f32 v126, v5, v14
	v_mul_f32_e32 v14, v6, v14
	v_mul_f32_e32 v16, v8, v16
	s_delay_alu instid0(VALU_DEP_3)
	v_fmac_f32_e32 v127, v8, v15
	v_fma_f32 v122, v122, v1, -v2
	scratch_load_b128 v[1:4], off, off offset:160
	v_fmac_f32_e32 v126, v6, v13
	v_fma_f32 v13, v5, v13, -v14
	v_fma_f32 v14, v7, v15, -v16
	ds_load_b128 v[5:8], v21 offset:544
	s_wait_loadcnt_dscnt 0x201
	v_mul_f32_e32 v15, v9, v18
	v_mul_f32_e32 v16, v10, v18
	;; [unrolled: 1-line block ×3, first 2 shown]
	s_delay_alu instid0(VALU_DEP_3) | instskip(NEXT) | instid1(VALU_DEP_3)
	v_dual_mul_f32 v20, v12, v20 :: v_dual_fmac_f32 v15, v10, v17
	v_fma_f32 v16, v9, v17, -v16
	s_delay_alu instid0(VALU_DEP_3) | instskip(NEXT) | instid1(VALU_DEP_3)
	v_fmac_f32_e32 v18, v12, v19
	v_fma_f32 v17, v11, v19, -v20
	scratch_load_b128 v[9:12], off, off offset:176
	s_wait_loadcnt_dscnt 0x100
	v_mul_f32_e32 v19, v5, v2
	v_mul_f32_e32 v2, v6, v2
	;; [unrolled: 1-line block ×3, first 2 shown]
	s_delay_alu instid0(VALU_DEP_3) | instskip(NEXT) | instid1(VALU_DEP_3)
	v_dual_mul_f32 v4, v8, v4 :: v_dual_fmac_f32 v19, v6, v1
	v_fma_f32 v128, v5, v1, -v2
	s_delay_alu instid0(VALU_DEP_3) | instskip(NEXT) | instid1(VALU_DEP_3)
	v_fmac_f32_e32 v20, v8, v3
	v_fma_f32 v129, v7, v3, -v4
	ds_load_b128 v[1:4], v21 offset:560
	ds_load_b128 v[5:8], v21 offset:576
	s_wait_loadcnt_dscnt 0x1
	v_mul_f32_e32 v135, v1, v10
	v_mul_f32_e32 v10, v2, v10
	s_delay_alu instid0(VALU_DEP_2) | instskip(NEXT) | instid1(VALU_DEP_2)
	v_dual_mul_f32 v136, v3, v12 :: v_dual_fmac_f32 v135, v2, v9
	v_fma_f32 v137, v1, v9, -v10
	v_mul_f32_e32 v1, v4, v12
	s_delay_alu instid0(VALU_DEP_3) | instskip(NEXT) | instid1(VALU_DEP_2)
	v_fmac_f32_e32 v136, v4, v11
	v_fma_f32 v138, v3, v11, -v1
	s_clause 0x1
	scratch_load_b128 v[1:4], off, off offset:192
	scratch_load_b128 v[9:12], off, off offset:208
	s_wait_loadcnt_dscnt 0x100
	v_mul_f32_e32 v139, v5, v2
	v_dual_mul_f32 v2, v6, v2 :: v_dual_mul_f32 v141, v7, v4
	s_delay_alu instid0(VALU_DEP_2) | instskip(NEXT) | instid1(VALU_DEP_2)
	v_fmac_f32_e32 v139, v6, v1
	v_fma_f32 v140, v5, v1, -v2
	v_mul_f32_e32 v1, v8, v4
	s_delay_alu instid0(VALU_DEP_4) | instskip(NEXT) | instid1(VALU_DEP_2)
	v_fmac_f32_e32 v141, v8, v3
	v_fma_f32 v142, v7, v3, -v1
	ds_load_b128 v[1:4], v21 offset:592
	ds_load_b128 v[5:8], v21 offset:608
	s_wait_loadcnt_dscnt 0x1
	v_mul_f32_e32 v143, v1, v10
	v_mul_f32_e32 v145, v3, v12
	s_delay_alu instid0(VALU_DEP_2) | instskip(NEXT) | instid1(VALU_DEP_2)
	v_fmac_f32_e32 v143, v2, v9
	v_dual_mul_f32 v2, v2, v10 :: v_dual_fmac_f32 v145, v4, v11
	s_delay_alu instid0(VALU_DEP_1) | instskip(SKIP_1) | instid1(VALU_DEP_1)
	v_fma_f32 v144, v1, v9, -v2
	v_mul_f32_e32 v1, v4, v12
	v_fma_f32 v146, v3, v11, -v1
	s_clause 0x1
	scratch_load_b128 v[1:4], off, off offset:224
	scratch_load_b128 v[9:12], off, off offset:240
	s_wait_loadcnt_dscnt 0x100
	v_mul_f32_e32 v147, v5, v2
	v_dual_mul_f32 v149, v7, v4 :: v_dual_mul_f32 v2, v6, v2
	s_delay_alu instid0(VALU_DEP_2) | instskip(NEXT) | instid1(VALU_DEP_2)
	v_fmac_f32_e32 v147, v6, v1
	v_fmac_f32_e32 v149, v8, v3
	s_delay_alu instid0(VALU_DEP_3) | instskip(SKIP_1) | instid1(VALU_DEP_1)
	v_fma_f32 v148, v5, v1, -v2
	v_mul_f32_e32 v1, v8, v4
	v_fma_f32 v150, v7, v3, -v1
	ds_load_b128 v[1:4], v21 offset:624
	ds_load_b128 v[5:8], v21 offset:640
	s_wait_loadcnt_dscnt 0x1
	v_mul_f32_e32 v151, v1, v10
	v_mul_f32_e32 v153, v3, v12
	s_delay_alu instid0(VALU_DEP_2) | instskip(NEXT) | instid1(VALU_DEP_2)
	v_fmac_f32_e32 v151, v2, v9
	v_dual_mul_f32 v2, v2, v10 :: v_dual_fmac_f32 v153, v4, v11
	s_delay_alu instid0(VALU_DEP_1) | instskip(SKIP_1) | instid1(VALU_DEP_1)
	v_fma_f32 v152, v1, v9, -v2
	v_mul_f32_e32 v1, v4, v12
	v_fma_f32 v154, v3, v11, -v1
	s_clause 0x1
	scratch_load_b128 v[1:4], off, off offset:256
	scratch_load_b128 v[9:12], off, off offset:272
	s_wait_loadcnt_dscnt 0x100
	v_mul_f32_e32 v155, v5, v2
	v_dual_mul_f32 v2, v6, v2 :: v_dual_mul_f32 v157, v7, v4
	s_delay_alu instid0(VALU_DEP_2) | instskip(NEXT) | instid1(VALU_DEP_2)
	v_fmac_f32_e32 v155, v6, v1
	v_fma_f32 v156, v5, v1, -v2
	v_mul_f32_e32 v1, v8, v4
	s_delay_alu instid0(VALU_DEP_4) | instskip(NEXT) | instid1(VALU_DEP_2)
	v_fmac_f32_e32 v157, v8, v3
	v_fma_f32 v158, v7, v3, -v1
	ds_load_b128 v[1:4], v21 offset:656
	ds_load_b128 v[5:8], v21 offset:672
	s_wait_loadcnt_dscnt 0x1
	v_mul_f32_e32 v159, v1, v10
	v_mul_f32_e32 v161, v3, v12
	s_delay_alu instid0(VALU_DEP_2) | instskip(NEXT) | instid1(VALU_DEP_2)
	v_fmac_f32_e32 v159, v2, v9
	v_dual_mul_f32 v2, v2, v10 :: v_dual_fmac_f32 v161, v4, v11
	s_delay_alu instid0(VALU_DEP_1) | instskip(SKIP_1) | instid1(VALU_DEP_1)
	v_fma_f32 v160, v1, v9, -v2
	v_mul_f32_e32 v1, v4, v12
	v_fma_f32 v162, v3, v11, -v1
	s_clause 0x1
	scratch_load_b128 v[1:4], off, off offset:288
	scratch_load_b128 v[9:12], off, off offset:304
	s_wait_loadcnt_dscnt 0x100
	v_mul_f32_e32 v163, v5, v2
	v_mul_f32_e32 v2, v6, v2
	s_delay_alu instid0(VALU_DEP_1) | instskip(SKIP_1) | instid1(VALU_DEP_1)
	v_fma_f32 v164, v5, v1, -v2
	v_add_f32_e32 v2, 0, v132
	v_add_f32_e32 v2, v2, v133
	s_delay_alu instid0(VALU_DEP_1) | instskip(NEXT) | instid1(VALU_DEP_1)
	v_add_f32_e32 v2, v2, v119
	v_add_f32_e32 v2, v2, v120
	s_delay_alu instid0(VALU_DEP_1) | instskip(NEXT) | instid1(VALU_DEP_1)
	;; [unrolled: 3-line block ×4, first 2 shown]
	v_dual_add_f32 v2, v2, v15 :: v_dual_mul_f32 v165, v7, v4
	v_add_f32_e32 v2, v2, v18
	s_delay_alu instid0(VALU_DEP_1) | instskip(NEXT) | instid1(VALU_DEP_3)
	v_add_f32_e32 v2, v2, v19
	v_fmac_f32_e32 v165, v8, v3
	v_fmac_f32_e32 v163, v6, v1
	s_delay_alu instid0(VALU_DEP_3) | instskip(NEXT) | instid1(VALU_DEP_1)
	v_add_f32_e32 v2, v2, v20
	v_add_f32_e32 v5, v2, v135
	s_delay_alu instid0(VALU_DEP_1) | instskip(NEXT) | instid1(VALU_DEP_1)
	v_add_f32_e32 v5, v5, v136
	v_add_f32_e32 v5, v5, v139
	v_mul_f32_e32 v1, v8, v4
	s_delay_alu instid0(VALU_DEP_1) | instskip(SKIP_1) | instid1(VALU_DEP_1)
	v_fma_f32 v166, v7, v3, -v1
	v_add_f32_e32 v1, 0, v22
	v_add_f32_e32 v1, v1, v118
	s_delay_alu instid0(VALU_DEP_1) | instskip(NEXT) | instid1(VALU_DEP_1)
	v_add_f32_e32 v1, v1, v122
	v_add_f32_e32 v1, v1, v123
	scratch_load_b64 v[122:123], off, off offset:368
	v_add_f32_e32 v1, v1, v124
	s_delay_alu instid0(VALU_DEP_1) | instskip(NEXT) | instid1(VALU_DEP_1)
	v_add_f32_e32 v1, v1, v125
	v_add_f32_e32 v1, v1, v13
	s_delay_alu instid0(VALU_DEP_1) | instskip(SKIP_1) | instid1(VALU_DEP_1)
	v_add_f32_e32 v1, v1, v14
	v_add_f32_e32 v14, v5, v141
	;; [unrolled: 1-line block ×3, first 2 shown]
	s_delay_alu instid0(VALU_DEP_1) | instskip(NEXT) | instid1(VALU_DEP_1)
	v_dual_add_f32 v14, v14, v145 :: v_dual_add_f32 v1, v1, v16
	v_add_f32_e32 v1, v1, v17
	s_delay_alu instid0(VALU_DEP_2) | instskip(NEXT) | instid1(VALU_DEP_2)
	v_add_f32_e32 v17, v14, v147
	v_add_f32_e32 v1, v1, v128
	s_delay_alu instid0(VALU_DEP_1) | instskip(NEXT) | instid1(VALU_DEP_1)
	v_add_f32_e32 v1, v1, v129
	v_add_f32_e32 v1, v1, v137
	s_delay_alu instid0(VALU_DEP_1) | instskip(SKIP_2) | instid1(VALU_DEP_1)
	v_add_f32_e32 v6, v1, v138
	ds_load_b128 v[1:4], v21 offset:688
	v_add_f32_e32 v6, v6, v140
	v_add_f32_e32 v13, v6, v142
	ds_load_b128 v[5:8], v21 offset:704
	s_wait_loadcnt_dscnt 0x101
	v_mul_f32_e32 v22, v1, v10
	v_mul_f32_e32 v10, v2, v10
	;; [unrolled: 1-line block ×4, first 2 shown]
	s_delay_alu instid0(VALU_DEP_4) | instskip(NEXT) | instid1(VALU_DEP_4)
	v_fmac_f32_e32 v22, v2, v9
	v_fma_f32 v127, v1, v9, -v10
	s_delay_alu instid0(VALU_DEP_4) | instskip(NEXT) | instid1(VALU_DEP_4)
	v_fmac_f32_e32 v126, v4, v11
	v_fma_f32 v128, v3, v11, -v12
	s_clause 0x1
	scratch_load_b128 v[1:4], off, off offset:320
	scratch_load_b128 v[9:12], off, off offset:336
	v_add_f32_e32 v17, v17, v149
	s_delay_alu instid0(VALU_DEP_1) | instskip(SKIP_1) | instid1(VALU_DEP_1)
	v_add_f32_e32 v17, v17, v151
	s_wait_loadcnt_dscnt 0x100
	v_dual_add_f32 v17, v17, v153 :: v_dual_mul_f32 v134, v7, v4
	v_mul_f32_e32 v133, v5, v2
	v_mul_f32_e32 v2, v6, v2
	;; [unrolled: 1-line block ×3, first 2 shown]
	s_delay_alu instid0(VALU_DEP_3) | instskip(NEXT) | instid1(VALU_DEP_3)
	v_dual_fmac_f32 v134, v8, v3 :: v_dual_fmac_f32 v133, v6, v1
	v_fma_f32 v2, v5, v1, -v2
	v_add_f32_e32 v17, v17, v155
	s_delay_alu instid0(VALU_DEP_4) | instskip(NEXT) | instid1(VALU_DEP_2)
	v_fma_f32 v1, v7, v3, -v4
	v_add_f32_e32 v118, v17, v157
	s_delay_alu instid0(VALU_DEP_1) | instskip(SKIP_2) | instid1(VALU_DEP_1)
	v_add_f32_e32 v125, v118, v159
	ds_load_b128 v[118:121], v21 offset:736
	v_add_f32_e32 v132, v125, v161
	v_add_f32_e32 v132, v132, v163
	s_delay_alu instid0(VALU_DEP_1) | instskip(NEXT) | instid1(VALU_DEP_1)
	v_dual_add_f32 v132, v132, v165 :: v_dual_add_f32 v13, v13, v144
	v_add_f32_e32 v22, v132, v22
	s_delay_alu instid0(VALU_DEP_2) | instskip(NEXT) | instid1(VALU_DEP_1)
	v_add_f32_e32 v13, v13, v146
	v_dual_add_f32 v22, v22, v126 :: v_dual_add_f32 v13, v13, v148
	s_delay_alu instid0(VALU_DEP_1) | instskip(SKIP_2) | instid1(VALU_DEP_1)
	v_add_f32_e32 v18, v13, v150
	scratch_load_b128 v[13:16], off, off offset:352
	v_add_f32_e32 v18, v18, v152
	v_add_f32_e32 v18, v18, v154
	s_delay_alu instid0(VALU_DEP_1) | instskip(NEXT) | instid1(VALU_DEP_1)
	v_add_f32_e32 v18, v18, v156
	v_add_f32_e32 v18, v18, v158
	s_delay_alu instid0(VALU_DEP_1)
	v_add_f32_e32 v124, v18, v160
	ds_load_b128 v[17:20], v21 offset:720
	v_add_f32_e32 v129, v124, v162
	ds_load_b64 v[124:125], v21 offset:752
	s_wait_loadcnt_dscnt 0x101
	v_dual_mul_f32 v132, v19, v12 :: v_dual_mul_f32 v3, v18, v10
	s_wait_dscnt 0x0
	v_mul_f32_e32 v126, v124, v123
	s_delay_alu instid0(VALU_DEP_2) | instskip(NEXT) | instid1(VALU_DEP_3)
	v_fma_f32 v3, v17, v9, -v3
	v_fmac_f32_e32 v132, v20, v11
	s_delay_alu instid0(VALU_DEP_3) | instskip(SKIP_1) | instid1(VALU_DEP_1)
	v_fmac_f32_e32 v126, v125, v122
	v_dual_add_f32 v4, v22, v133 :: v_dual_add_f32 v129, v129, v164
	v_add_f32_e32 v129, v129, v166
	s_delay_alu instid0(VALU_DEP_1) | instskip(SKIP_1) | instid1(VALU_DEP_2)
	v_add_f32_e32 v127, v129, v127
	v_mul_f32_e32 v129, v17, v10
	v_add_f32_e32 v127, v127, v128
	s_delay_alu instid0(VALU_DEP_1) | instskip(NEXT) | instid1(VALU_DEP_1)
	v_dual_fmac_f32 v129, v18, v9 :: v_dual_add_f32 v2, v127, v2
	v_dual_add_f32 v1, v2, v1 :: v_dual_add_f32 v2, v4, v134
	s_delay_alu instid0(VALU_DEP_1) | instskip(NEXT) | instid1(VALU_DEP_1)
	v_add_f32_e32 v2, v2, v129
	v_add_f32_e32 v2, v2, v132
	s_wait_loadcnt 0x0
	v_dual_mul_f32 v128, v120, v16 :: v_dual_mul_f32 v135, v118, v14
	v_mul_f32_e32 v4, v119, v14
	s_delay_alu instid0(VALU_DEP_2) | instskip(NEXT) | instid1(VALU_DEP_2)
	v_dual_fmac_f32 v128, v121, v15 :: v_dual_fmac_f32 v135, v119, v13
	v_fma_f32 v4, v118, v13, -v4
	s_delay_alu instid0(VALU_DEP_2) | instskip(SKIP_2) | instid1(VALU_DEP_3)
	v_add_f32_e32 v2, v2, v135
	v_add_f32_e32 v1, v1, v3
	v_mul_f32_e32 v3, v121, v16
	v_add_f32_e32 v2, v2, v128
	v_mul_f32_e32 v5, v20, v12
	s_delay_alu instid0(VALU_DEP_3) | instskip(NEXT) | instid1(VALU_DEP_3)
	v_fma_f32 v3, v120, v15, -v3
	v_add_f32_e32 v2, v2, v126
	s_delay_alu instid0(VALU_DEP_3) | instskip(NEXT) | instid1(VALU_DEP_1)
	v_fma_f32 v5, v19, v11, -v5
	v_dual_sub_f32 v2, v131, v2 :: v_dual_add_f32 v1, v1, v5
	v_mul_f32_e32 v5, v125, v123
	s_delay_alu instid0(VALU_DEP_2) | instskip(NEXT) | instid1(VALU_DEP_2)
	v_add_f32_e32 v1, v1, v4
	v_fma_f32 v4, v124, v122, -v5
	s_delay_alu instid0(VALU_DEP_2) | instskip(NEXT) | instid1(VALU_DEP_1)
	v_add_f32_e32 v1, v1, v3
	v_add_f32_e32 v1, v1, v4
	s_delay_alu instid0(VALU_DEP_1)
	v_sub_f32_e32 v1, v130, v1
	scratch_store_b64 off, v[1:2], off offset:72
	v_cmpx_lt_u32_e32 8, v0
	s_cbranch_execz .LBB110_279
; %bb.278:
	scratch_load_b64 v[1:2], off, off offset:64
	v_mov_b32_e32 v22, v21
	scratch_store_b64 off, v[21:22], off offset:64
	s_wait_loadcnt 0x0
	ds_store_b64 v23, v[1:2]
.LBB110_279:
	s_wait_alu 0xfffe
	s_or_b32 exec_lo, exec_lo, s0
	s_wait_storecnt_dscnt 0x0
	s_barrier_signal -1
	s_barrier_wait -1
	global_inv scope:SCOPE_SE
	s_clause 0x4
	scratch_load_b128 v[5:8], off, off offset:72
	scratch_load_b128 v[1:4], off, off offset:88
	;; [unrolled: 1-line block ×5, first 2 shown]
	ds_load_2addr_b64 v[118:121], v21 offset0:57 offset1:58
	ds_load_2addr_b64 v[122:125], v21 offset0:59 offset1:60
	;; [unrolled: 1-line block ×3, first 2 shown]
	scratch_load_b64 v[130:131], off, off offset:64
	s_mov_b32 s0, exec_lo
	s_wait_loadcnt_dscnt 0x502
	v_dual_mul_f32 v22, v119, v6 :: v_dual_mul_f32 v133, v120, v8
	v_mul_f32_e32 v132, v118, v6
	v_mul_f32_e32 v6, v121, v8
	s_wait_loadcnt_dscnt 0x300
	v_mul_f32_e32 v134, v128, v12
	v_fma_f32 v22, v118, v5, -v22
	v_dual_fmac_f32 v133, v121, v7 :: v_dual_fmac_f32 v132, v119, v5
	v_mul_f32_e32 v121, v126, v10
	v_mul_f32_e32 v119, v122, v2
	v_fma_f32 v118, v120, v7, -v6
	ds_load_2addr_b64 v[5:8], v21 offset0:63 offset1:64
	v_mul_f32_e32 v120, v124, v4
	v_dual_mul_f32 v4, v125, v4 :: v_dual_fmac_f32 v121, v127, v9
	v_mul_f32_e32 v10, v127, v10
	v_mul_f32_e32 v12, v129, v12
	;; [unrolled: 1-line block ×3, first 2 shown]
	v_dual_fmac_f32 v119, v123, v1 :: v_dual_fmac_f32 v120, v125, v3
	v_fma_f32 v123, v124, v3, -v4
	v_fma_f32 v124, v126, v9, -v10
	v_fmac_f32_e32 v134, v129, v11
	v_fma_f32 v125, v128, v11, -v12
	ds_load_2addr_b64 v[9:12], v21 offset0:65 offset1:66
	s_wait_loadcnt_dscnt 0x201
	v_dual_mul_f32 v127, v7, v16 :: v_dual_mul_f32 v126, v5, v14
	s_delay_alu instid0(VALU_DEP_1)
	v_dual_mul_f32 v14, v6, v14 :: v_dual_fmac_f32 v127, v8, v15
	v_fma_f32 v122, v122, v1, -v2
	scratch_load_b128 v[1:4], off, off offset:152
	v_mul_f32_e32 v16, v8, v16
	v_fmac_f32_e32 v126, v6, v13
	v_fma_f32 v13, v5, v13, -v14
	s_delay_alu instid0(VALU_DEP_3)
	v_fma_f32 v14, v7, v15, -v16
	s_wait_loadcnt_dscnt 0x200
	v_mul_f32_e32 v15, v9, v18
	v_mul_f32_e32 v16, v10, v18
	;; [unrolled: 1-line block ×4, first 2 shown]
	ds_load_2addr_b64 v[5:8], v21 offset0:67 offset1:68
	v_fmac_f32_e32 v15, v10, v17
	v_fma_f32 v16, v9, v17, -v16
	v_fmac_f32_e32 v18, v12, v19
	v_fma_f32 v17, v11, v19, -v20
	scratch_load_b128 v[9:12], off, off offset:168
	s_wait_loadcnt_dscnt 0x100
	v_mul_f32_e32 v19, v5, v2
	v_mul_f32_e32 v2, v6, v2
	;; [unrolled: 1-line block ×3, first 2 shown]
	s_delay_alu instid0(VALU_DEP_3) | instskip(NEXT) | instid1(VALU_DEP_3)
	v_dual_mul_f32 v4, v8, v4 :: v_dual_fmac_f32 v19, v6, v1
	v_fma_f32 v128, v5, v1, -v2
	s_delay_alu instid0(VALU_DEP_3) | instskip(NEXT) | instid1(VALU_DEP_3)
	v_fmac_f32_e32 v20, v8, v3
	v_fma_f32 v129, v7, v3, -v4
	ds_load_2addr_b64 v[1:4], v21 offset0:69 offset1:70
	ds_load_2addr_b64 v[5:8], v21 offset0:71 offset1:72
	s_wait_loadcnt_dscnt 0x1
	v_mul_f32_e32 v135, v1, v10
	v_mul_f32_e32 v10, v2, v10
	s_delay_alu instid0(VALU_DEP_2) | instskip(NEXT) | instid1(VALU_DEP_2)
	v_dual_mul_f32 v136, v3, v12 :: v_dual_fmac_f32 v135, v2, v9
	v_fma_f32 v137, v1, v9, -v10
	v_mul_f32_e32 v1, v4, v12
	s_delay_alu instid0(VALU_DEP_3) | instskip(NEXT) | instid1(VALU_DEP_2)
	v_fmac_f32_e32 v136, v4, v11
	v_fma_f32 v138, v3, v11, -v1
	s_clause 0x1
	scratch_load_b128 v[1:4], off, off offset:184
	scratch_load_b128 v[9:12], off, off offset:200
	s_wait_loadcnt_dscnt 0x100
	v_mul_f32_e32 v139, v5, v2
	v_dual_mul_f32 v2, v6, v2 :: v_dual_mul_f32 v141, v7, v4
	s_delay_alu instid0(VALU_DEP_2) | instskip(NEXT) | instid1(VALU_DEP_2)
	v_fmac_f32_e32 v139, v6, v1
	v_fma_f32 v140, v5, v1, -v2
	v_mul_f32_e32 v1, v8, v4
	s_delay_alu instid0(VALU_DEP_4) | instskip(NEXT) | instid1(VALU_DEP_2)
	v_fmac_f32_e32 v141, v8, v3
	v_fma_f32 v142, v7, v3, -v1
	ds_load_2addr_b64 v[1:4], v21 offset0:73 offset1:74
	ds_load_2addr_b64 v[5:8], v21 offset0:75 offset1:76
	s_wait_loadcnt_dscnt 0x1
	v_mul_f32_e32 v143, v1, v10
	v_mul_f32_e32 v145, v3, v12
	s_delay_alu instid0(VALU_DEP_2) | instskip(NEXT) | instid1(VALU_DEP_2)
	v_fmac_f32_e32 v143, v2, v9
	v_dual_mul_f32 v2, v2, v10 :: v_dual_fmac_f32 v145, v4, v11
	s_delay_alu instid0(VALU_DEP_1) | instskip(SKIP_1) | instid1(VALU_DEP_1)
	v_fma_f32 v144, v1, v9, -v2
	v_mul_f32_e32 v1, v4, v12
	v_fma_f32 v146, v3, v11, -v1
	s_clause 0x1
	scratch_load_b128 v[1:4], off, off offset:216
	scratch_load_b128 v[9:12], off, off offset:232
	s_wait_loadcnt_dscnt 0x100
	v_mul_f32_e32 v147, v5, v2
	v_dual_mul_f32 v2, v6, v2 :: v_dual_mul_f32 v149, v7, v4
	s_delay_alu instid0(VALU_DEP_2) | instskip(NEXT) | instid1(VALU_DEP_2)
	v_fmac_f32_e32 v147, v6, v1
	v_fma_f32 v148, v5, v1, -v2
	v_mul_f32_e32 v1, v8, v4
	s_delay_alu instid0(VALU_DEP_4) | instskip(NEXT) | instid1(VALU_DEP_2)
	v_fmac_f32_e32 v149, v8, v3
	v_fma_f32 v150, v7, v3, -v1
	ds_load_2addr_b64 v[1:4], v21 offset0:77 offset1:78
	ds_load_2addr_b64 v[5:8], v21 offset0:79 offset1:80
	s_wait_loadcnt_dscnt 0x1
	v_mul_f32_e32 v151, v1, v10
	v_mul_f32_e32 v153, v3, v12
	s_delay_alu instid0(VALU_DEP_2) | instskip(NEXT) | instid1(VALU_DEP_2)
	v_fmac_f32_e32 v151, v2, v9
	v_dual_mul_f32 v2, v2, v10 :: v_dual_fmac_f32 v153, v4, v11
	s_delay_alu instid0(VALU_DEP_1) | instskip(SKIP_1) | instid1(VALU_DEP_1)
	v_fma_f32 v152, v1, v9, -v2
	v_mul_f32_e32 v1, v4, v12
	;; [unrolled: 25-line block ×3, first 2 shown]
	v_fma_f32 v162, v3, v11, -v1
	s_clause 0x1
	scratch_load_b128 v[1:4], off, off offset:280
	scratch_load_b128 v[9:12], off, off offset:296
	s_wait_loadcnt_dscnt 0x100
	v_mul_f32_e32 v163, v5, v2
	v_mul_f32_e32 v2, v6, v2
	s_delay_alu instid0(VALU_DEP_1) | instskip(SKIP_1) | instid1(VALU_DEP_1)
	v_fma_f32 v164, v5, v1, -v2
	v_add_f32_e32 v2, 0, v132
	v_add_f32_e32 v2, v2, v133
	s_delay_alu instid0(VALU_DEP_1) | instskip(NEXT) | instid1(VALU_DEP_1)
	v_add_f32_e32 v2, v2, v119
	v_add_f32_e32 v2, v2, v120
	s_delay_alu instid0(VALU_DEP_1) | instskip(NEXT) | instid1(VALU_DEP_1)
	;; [unrolled: 3-line block ×3, first 2 shown]
	v_add_f32_e32 v2, v2, v126
	v_add_f32_e32 v2, v2, v127
	s_delay_alu instid0(VALU_DEP_1) | instskip(SKIP_1) | instid1(VALU_DEP_2)
	v_dual_add_f32 v2, v2, v15 :: v_dual_mul_f32 v165, v7, v4
	v_fmac_f32_e32 v163, v6, v1
	v_dual_add_f32 v2, v2, v18 :: v_dual_mul_f32 v1, v8, v4
	s_delay_alu instid0(VALU_DEP_1) | instskip(NEXT) | instid1(VALU_DEP_4)
	v_add_f32_e32 v2, v2, v19
	v_fmac_f32_e32 v165, v8, v3
	s_delay_alu instid0(VALU_DEP_3) | instskip(NEXT) | instid1(VALU_DEP_3)
	v_fma_f32 v166, v7, v3, -v1
	v_dual_add_f32 v2, v2, v20 :: v_dual_add_f32 v1, 0, v22
	s_delay_alu instid0(VALU_DEP_1) | instskip(NEXT) | instid1(VALU_DEP_1)
	v_dual_add_f32 v2, v2, v135 :: v_dual_add_f32 v1, v1, v118
	v_add_f32_e32 v5, v2, v136
	s_delay_alu instid0(VALU_DEP_2) | instskip(NEXT) | instid1(VALU_DEP_1)
	v_add_f32_e32 v1, v1, v122
	v_add_f32_e32 v1, v1, v123
	s_delay_alu instid0(VALU_DEP_1) | instskip(NEXT) | instid1(VALU_DEP_1)
	v_add_f32_e32 v1, v1, v124
	v_add_f32_e32 v1, v1, v125
	s_delay_alu instid0(VALU_DEP_1) | instskip(SKIP_1) | instid1(VALU_DEP_2)
	v_add_f32_e32 v1, v1, v13
	v_add_f32_e32 v13, v5, v139
	;; [unrolled: 1-line block ×3, first 2 shown]
	s_delay_alu instid0(VALU_DEP_2) | instskip(NEXT) | instid1(VALU_DEP_1)
	v_add_f32_e32 v13, v13, v141
	v_add_f32_e32 v13, v13, v143
	s_delay_alu instid0(VALU_DEP_1) | instskip(NEXT) | instid1(VALU_DEP_1)
	v_add_f32_e32 v18, v13, v145
	v_dual_add_f32 v18, v18, v147 :: v_dual_add_f32 v1, v1, v16
	s_delay_alu instid0(VALU_DEP_1) | instskip(NEXT) | instid1(VALU_DEP_2)
	v_add_f32_e32 v18, v18, v149
	v_add_f32_e32 v1, v1, v17
	s_delay_alu instid0(VALU_DEP_1) | instskip(NEXT) | instid1(VALU_DEP_1)
	v_add_f32_e32 v1, v1, v128
	v_add_f32_e32 v1, v1, v129
	s_delay_alu instid0(VALU_DEP_1) | instskip(NEXT) | instid1(VALU_DEP_1)
	v_add_f32_e32 v1, v1, v137
	v_add_f32_e32 v1, v1, v138
	s_delay_alu instid0(VALU_DEP_1)
	v_add_f32_e32 v6, v1, v140
	ds_load_2addr_b64 v[1:4], v21 offset0:85 offset1:86
	v_add_f32_e32 v118, v18, v151
	v_add_f32_e32 v14, v6, v142
	scratch_load_b128 v[5:8], off, off offset:312
	v_add_f32_e32 v118, v118, v153
	v_add_f32_e32 v14, v14, v144
	s_delay_alu instid0(VALU_DEP_1)
	v_add_f32_e32 v17, v14, v146
	ds_load_2addr_b64 v[13:16], v21 offset0:87 offset1:88
	s_wait_loadcnt_dscnt 0x101
	v_mul_f32_e32 v22, v1, v10
	v_mul_f32_e32 v10, v2, v10
	;; [unrolled: 1-line block ×4, first 2 shown]
	v_add_f32_e32 v118, v118, v155
	v_fmac_f32_e32 v22, v2, v9
	v_fma_f32 v123, v1, v9, -v10
	v_fmac_f32_e32 v122, v4, v11
	v_fma_f32 v124, v3, v11, -v12
	s_clause 0x1
	scratch_load_b128 v[9:12], off, off offset:344
	scratch_load_b128 v[1:4], off, off offset:328
	v_add_f32_e32 v17, v17, v148
	s_wait_loadcnt_dscnt 0x200
	v_mul_f32_e32 v125, v13, v6
	v_mul_f32_e32 v6, v14, v6
	v_mul_f32_e32 v126, v15, v8
	s_delay_alu instid0(VALU_DEP_3) | instskip(SKIP_1) | instid1(VALU_DEP_4)
	v_dual_mul_f32 v8, v16, v8 :: v_dual_fmac_f32 v125, v14, v5
	v_add_f32_e32 v17, v17, v150
	v_fma_f32 v127, v13, v5, -v6
	s_delay_alu instid0(VALU_DEP_4) | instskip(NEXT) | instid1(VALU_DEP_4)
	v_fmac_f32_e32 v126, v16, v7
	v_fma_f32 v128, v15, v7, -v8
	ds_load_2addr_b64 v[5:8], v21 offset0:89 offset1:90
	v_add_f32_e32 v17, v17, v152
	s_delay_alu instid0(VALU_DEP_1) | instskip(SKIP_3) | instid1(VALU_DEP_1)
	v_add_f32_e32 v119, v17, v154
	scratch_load_b128 v[17:20], off, off offset:360
	v_add_f32_e32 v13, v118, v157
	v_add_f32_e32 v119, v119, v156
	;; [unrolled: 1-line block ×3, first 2 shown]
	s_delay_alu instid0(VALU_DEP_1)
	v_dual_add_f32 v118, v119, v160 :: v_dual_add_f32 v119, v13, v159
	ds_load_2addr_b64 v[13:16], v21 offset0:91 offset1:92
	v_dual_add_f32 v129, v118, v162 :: v_dual_add_f32 v132, v119, v161
	ds_load_2addr_b64 v[118:121], v21 offset0:93 offset1:94
	v_add_f32_e32 v21, v129, v164
	s_wait_loadcnt_dscnt 0x201
	v_mul_f32_e32 v133, v15, v12
	s_delay_alu instid0(VALU_DEP_1) | instskip(SKIP_2) | instid1(VALU_DEP_1)
	v_fmac_f32_e32 v133, v16, v11
	s_wait_loadcnt 0x1
	v_dual_add_f32 v129, v132, v163 :: v_dual_mul_f32 v132, v5, v2
	v_dual_mul_f32 v2, v6, v2 :: v_dual_add_f32 v129, v129, v165
	s_delay_alu instid0(VALU_DEP_2) | instskip(SKIP_2) | instid1(VALU_DEP_4)
	v_fmac_f32_e32 v132, v6, v1
	v_mul_f32_e32 v6, v14, v10
	v_add_f32_e32 v21, v21, v166
	v_fma_f32 v2, v5, v1, -v2
	v_add_f32_e32 v22, v129, v22
	v_mul_f32_e32 v129, v13, v10
	s_delay_alu instid0(VALU_DEP_2) | instskip(NEXT) | instid1(VALU_DEP_2)
	v_add_f32_e32 v22, v22, v122
	v_fmac_f32_e32 v129, v14, v9
	s_delay_alu instid0(VALU_DEP_2) | instskip(NEXT) | instid1(VALU_DEP_1)
	v_dual_add_f32 v21, v21, v123 :: v_dual_add_f32 v22, v22, v125
	v_add_f32_e32 v21, v21, v124
	s_delay_alu instid0(VALU_DEP_2) | instskip(NEXT) | instid1(VALU_DEP_2)
	v_add_f32_e32 v5, v22, v126
	v_add_f32_e32 v21, v21, v127
	s_delay_alu instid0(VALU_DEP_1) | instskip(NEXT) | instid1(VALU_DEP_1)
	v_add_f32_e32 v1, v21, v128
	v_add_f32_e32 v1, v1, v2
	s_delay_alu instid0(VALU_DEP_4)
	v_add_f32_e32 v2, v5, v132
	v_fma_f32 v5, v13, v9, -v6
	s_wait_loadcnt_dscnt 0x0
	v_mul_f32_e32 v124, v120, v20
	v_mul_f32_e32 v123, v7, v4
	;; [unrolled: 1-line block ×4, first 2 shown]
	s_delay_alu instid0(VALU_DEP_4) | instskip(NEXT) | instid1(VALU_DEP_4)
	v_fmac_f32_e32 v124, v121, v19
	v_fmac_f32_e32 v123, v8, v3
	s_delay_alu instid0(VALU_DEP_4) | instskip(SKIP_2) | instid1(VALU_DEP_4)
	v_fma_f32 v3, v7, v3, -v4
	v_mul_f32_e32 v4, v16, v12
	v_fmac_f32_e32 v122, v119, v17
	v_add_f32_e32 v2, v2, v123
	s_delay_alu instid0(VALU_DEP_4) | instskip(SKIP_2) | instid1(VALU_DEP_4)
	v_add_f32_e32 v1, v1, v3
	v_mul_f32_e32 v3, v119, v18
	v_fma_f32 v4, v15, v11, -v4
	v_add_f32_e32 v2, v2, v129
	s_delay_alu instid0(VALU_DEP_4) | instskip(SKIP_2) | instid1(VALU_DEP_3)
	v_add_f32_e32 v1, v1, v5
	v_mul_f32_e32 v5, v121, v20
	v_fma_f32 v3, v118, v17, -v3
	v_dual_add_f32 v2, v2, v133 :: v_dual_add_f32 v1, v1, v4
	s_delay_alu instid0(VALU_DEP_3) | instskip(NEXT) | instid1(VALU_DEP_2)
	v_fma_f32 v4, v120, v19, -v5
	v_dual_add_f32 v2, v2, v122 :: v_dual_add_f32 v1, v1, v3
	s_delay_alu instid0(VALU_DEP_1) | instskip(NEXT) | instid1(VALU_DEP_1)
	v_add_f32_e32 v2, v2, v124
	v_dual_add_f32 v1, v1, v4 :: v_dual_sub_f32 v2, v131, v2
	s_delay_alu instid0(VALU_DEP_1)
	v_sub_f32_e32 v1, v130, v1
	scratch_store_b64 off, v[1:2], off offset:64
	v_cmpx_lt_u32_e32 7, v0
	s_cbranch_execz .LBB110_281
; %bb.280:
	scratch_load_b64 v[1:2], off, off offset:56
	v_mov_b32_e32 v3, 0
	s_delay_alu instid0(VALU_DEP_1)
	v_mov_b32_e32 v4, v3
	scratch_store_b64 off, v[3:4], off offset:56
	s_wait_loadcnt 0x0
	ds_store_b64 v23, v[1:2]
.LBB110_281:
	s_wait_alu 0xfffe
	s_or_b32 exec_lo, exec_lo, s0
	s_wait_storecnt_dscnt 0x0
	s_barrier_signal -1
	s_barrier_wait -1
	global_inv scope:SCOPE_SE
	s_clause 0x4
	scratch_load_b128 v[5:8], off, off offset:64
	scratch_load_b128 v[1:4], off, off offset:80
	;; [unrolled: 1-line block ×5, first 2 shown]
	v_mov_b32_e32 v21, 0
	ds_load_b128 v[118:121], v21 offset:448
	ds_load_b128 v[122:125], v21 offset:464
	;; [unrolled: 1-line block ×3, first 2 shown]
	scratch_load_b64 v[130:131], off, off offset:56
	s_mov_b32 s0, exec_lo
	s_wait_loadcnt_dscnt 0x502
	v_mul_f32_e32 v22, v119, v6
	v_dual_mul_f32 v132, v118, v6 :: v_dual_mul_f32 v133, v120, v8
	v_mul_f32_e32 v6, v121, v8
	s_delay_alu instid0(VALU_DEP_3) | instskip(NEXT) | instid1(VALU_DEP_3)
	v_fma_f32 v22, v118, v5, -v22
	v_dual_fmac_f32 v132, v119, v5 :: v_dual_fmac_f32 v133, v121, v7
	s_wait_loadcnt_dscnt 0x401
	v_mul_f32_e32 v119, v122, v2
	v_fma_f32 v118, v120, v7, -v6
	ds_load_b128 v[5:8], v21 offset:496
	s_wait_loadcnt_dscnt 0x301
	v_dual_mul_f32 v120, v124, v4 :: v_dual_mul_f32 v121, v126, v10
	v_dual_mul_f32 v4, v125, v4 :: v_dual_fmac_f32 v119, v123, v1
	v_mul_f32_e32 v10, v127, v10
	s_delay_alu instid0(VALU_DEP_3)
	v_dual_mul_f32 v134, v128, v12 :: v_dual_fmac_f32 v121, v127, v9
	v_mul_f32_e32 v12, v129, v12
	v_mul_f32_e32 v2, v123, v2
	v_fmac_f32_e32 v120, v125, v3
	v_fma_f32 v123, v124, v3, -v4
	v_fma_f32 v124, v126, v9, -v10
	v_fmac_f32_e32 v134, v129, v11
	v_fma_f32 v125, v128, v11, -v12
	ds_load_b128 v[9:12], v21 offset:512
	s_wait_loadcnt_dscnt 0x201
	v_dual_mul_f32 v127, v7, v16 :: v_dual_mul_f32 v126, v5, v14
	v_mul_f32_e32 v14, v6, v14
	v_mul_f32_e32 v16, v8, v16
	s_delay_alu instid0(VALU_DEP_3)
	v_fmac_f32_e32 v127, v8, v15
	v_fma_f32 v122, v122, v1, -v2
	scratch_load_b128 v[1:4], off, off offset:144
	v_fmac_f32_e32 v126, v6, v13
	v_fma_f32 v13, v5, v13, -v14
	v_fma_f32 v14, v7, v15, -v16
	ds_load_b128 v[5:8], v21 offset:528
	s_wait_loadcnt_dscnt 0x201
	v_mul_f32_e32 v15, v9, v18
	v_mul_f32_e32 v16, v10, v18
	;; [unrolled: 1-line block ×3, first 2 shown]
	s_delay_alu instid0(VALU_DEP_3) | instskip(NEXT) | instid1(VALU_DEP_3)
	v_dual_mul_f32 v20, v12, v20 :: v_dual_fmac_f32 v15, v10, v17
	v_fma_f32 v16, v9, v17, -v16
	s_delay_alu instid0(VALU_DEP_3) | instskip(NEXT) | instid1(VALU_DEP_3)
	v_fmac_f32_e32 v18, v12, v19
	v_fma_f32 v17, v11, v19, -v20
	scratch_load_b128 v[9:12], off, off offset:160
	s_wait_loadcnt_dscnt 0x100
	v_mul_f32_e32 v19, v5, v2
	v_mul_f32_e32 v2, v6, v2
	;; [unrolled: 1-line block ×3, first 2 shown]
	s_delay_alu instid0(VALU_DEP_3) | instskip(NEXT) | instid1(VALU_DEP_3)
	v_dual_mul_f32 v4, v8, v4 :: v_dual_fmac_f32 v19, v6, v1
	v_fma_f32 v128, v5, v1, -v2
	s_delay_alu instid0(VALU_DEP_3) | instskip(NEXT) | instid1(VALU_DEP_3)
	v_fmac_f32_e32 v20, v8, v3
	v_fma_f32 v129, v7, v3, -v4
	ds_load_b128 v[1:4], v21 offset:544
	ds_load_b128 v[5:8], v21 offset:560
	s_wait_loadcnt_dscnt 0x1
	v_mul_f32_e32 v135, v1, v10
	v_mul_f32_e32 v10, v2, v10
	s_delay_alu instid0(VALU_DEP_2) | instskip(NEXT) | instid1(VALU_DEP_2)
	v_dual_mul_f32 v136, v3, v12 :: v_dual_fmac_f32 v135, v2, v9
	v_fma_f32 v137, v1, v9, -v10
	v_mul_f32_e32 v1, v4, v12
	s_delay_alu instid0(VALU_DEP_3) | instskip(NEXT) | instid1(VALU_DEP_2)
	v_fmac_f32_e32 v136, v4, v11
	v_fma_f32 v138, v3, v11, -v1
	s_clause 0x1
	scratch_load_b128 v[1:4], off, off offset:176
	scratch_load_b128 v[9:12], off, off offset:192
	s_wait_loadcnt_dscnt 0x100
	v_mul_f32_e32 v139, v5, v2
	v_dual_mul_f32 v2, v6, v2 :: v_dual_mul_f32 v141, v7, v4
	s_delay_alu instid0(VALU_DEP_2) | instskip(NEXT) | instid1(VALU_DEP_2)
	v_fmac_f32_e32 v139, v6, v1
	v_fma_f32 v140, v5, v1, -v2
	v_mul_f32_e32 v1, v8, v4
	s_delay_alu instid0(VALU_DEP_4) | instskip(NEXT) | instid1(VALU_DEP_2)
	v_fmac_f32_e32 v141, v8, v3
	v_fma_f32 v142, v7, v3, -v1
	ds_load_b128 v[1:4], v21 offset:576
	ds_load_b128 v[5:8], v21 offset:592
	s_wait_loadcnt_dscnt 0x1
	v_mul_f32_e32 v143, v1, v10
	v_mul_f32_e32 v145, v3, v12
	s_delay_alu instid0(VALU_DEP_2) | instskip(NEXT) | instid1(VALU_DEP_2)
	v_fmac_f32_e32 v143, v2, v9
	v_dual_mul_f32 v2, v2, v10 :: v_dual_fmac_f32 v145, v4, v11
	s_delay_alu instid0(VALU_DEP_1) | instskip(SKIP_1) | instid1(VALU_DEP_1)
	v_fma_f32 v144, v1, v9, -v2
	v_mul_f32_e32 v1, v4, v12
	v_fma_f32 v146, v3, v11, -v1
	s_clause 0x1
	scratch_load_b128 v[1:4], off, off offset:208
	scratch_load_b128 v[9:12], off, off offset:224
	s_wait_loadcnt_dscnt 0x100
	v_mul_f32_e32 v147, v5, v2
	v_dual_mul_f32 v149, v7, v4 :: v_dual_mul_f32 v2, v6, v2
	s_delay_alu instid0(VALU_DEP_2) | instskip(NEXT) | instid1(VALU_DEP_2)
	v_fmac_f32_e32 v147, v6, v1
	v_fmac_f32_e32 v149, v8, v3
	s_delay_alu instid0(VALU_DEP_3) | instskip(SKIP_1) | instid1(VALU_DEP_1)
	v_fma_f32 v148, v5, v1, -v2
	v_mul_f32_e32 v1, v8, v4
	v_fma_f32 v150, v7, v3, -v1
	ds_load_b128 v[1:4], v21 offset:608
	ds_load_b128 v[5:8], v21 offset:624
	s_wait_loadcnt_dscnt 0x1
	v_mul_f32_e32 v151, v1, v10
	v_mul_f32_e32 v153, v3, v12
	s_delay_alu instid0(VALU_DEP_2) | instskip(NEXT) | instid1(VALU_DEP_2)
	v_fmac_f32_e32 v151, v2, v9
	v_dual_mul_f32 v2, v2, v10 :: v_dual_fmac_f32 v153, v4, v11
	s_delay_alu instid0(VALU_DEP_1) | instskip(SKIP_1) | instid1(VALU_DEP_1)
	v_fma_f32 v152, v1, v9, -v2
	v_mul_f32_e32 v1, v4, v12
	v_fma_f32 v154, v3, v11, -v1
	s_clause 0x1
	scratch_load_b128 v[1:4], off, off offset:240
	scratch_load_b128 v[9:12], off, off offset:256
	s_wait_loadcnt_dscnt 0x100
	v_mul_f32_e32 v155, v5, v2
	v_dual_mul_f32 v2, v6, v2 :: v_dual_mul_f32 v157, v7, v4
	s_delay_alu instid0(VALU_DEP_2) | instskip(NEXT) | instid1(VALU_DEP_2)
	v_fmac_f32_e32 v155, v6, v1
	v_fma_f32 v156, v5, v1, -v2
	v_mul_f32_e32 v1, v8, v4
	s_delay_alu instid0(VALU_DEP_4) | instskip(NEXT) | instid1(VALU_DEP_2)
	v_fmac_f32_e32 v157, v8, v3
	v_fma_f32 v158, v7, v3, -v1
	ds_load_b128 v[1:4], v21 offset:640
	ds_load_b128 v[5:8], v21 offset:656
	s_wait_loadcnt_dscnt 0x1
	v_mul_f32_e32 v159, v1, v10
	v_mul_f32_e32 v161, v3, v12
	s_delay_alu instid0(VALU_DEP_2) | instskip(NEXT) | instid1(VALU_DEP_2)
	v_fmac_f32_e32 v159, v2, v9
	v_dual_mul_f32 v2, v2, v10 :: v_dual_fmac_f32 v161, v4, v11
	s_delay_alu instid0(VALU_DEP_1) | instskip(SKIP_1) | instid1(VALU_DEP_1)
	v_fma_f32 v160, v1, v9, -v2
	v_mul_f32_e32 v1, v4, v12
	v_fma_f32 v162, v3, v11, -v1
	s_clause 0x1
	scratch_load_b128 v[1:4], off, off offset:272
	scratch_load_b128 v[9:12], off, off offset:288
	s_wait_loadcnt_dscnt 0x100
	v_mul_f32_e32 v163, v5, v2
	v_mul_f32_e32 v2, v6, v2
	s_delay_alu instid0(VALU_DEP_1) | instskip(SKIP_1) | instid1(VALU_DEP_1)
	v_fma_f32 v164, v5, v1, -v2
	v_add_f32_e32 v2, 0, v132
	v_add_f32_e32 v2, v2, v133
	s_delay_alu instid0(VALU_DEP_1) | instskip(NEXT) | instid1(VALU_DEP_1)
	v_add_f32_e32 v2, v2, v119
	v_add_f32_e32 v2, v2, v120
	s_delay_alu instid0(VALU_DEP_1) | instskip(NEXT) | instid1(VALU_DEP_1)
	;; [unrolled: 3-line block ×4, first 2 shown]
	v_dual_add_f32 v2, v2, v15 :: v_dual_mul_f32 v165, v7, v4
	v_add_f32_e32 v2, v2, v18
	s_delay_alu instid0(VALU_DEP_1) | instskip(SKIP_1) | instid1(VALU_DEP_2)
	v_add_f32_e32 v2, v2, v19
	v_fmac_f32_e32 v163, v6, v1
	v_dual_fmac_f32 v165, v8, v3 :: v_dual_add_f32 v2, v2, v20
	s_delay_alu instid0(VALU_DEP_1) | instskip(NEXT) | instid1(VALU_DEP_1)
	v_dual_mul_f32 v1, v8, v4 :: v_dual_add_f32 v2, v2, v135
	v_fma_f32 v166, v7, v3, -v1
	v_add_f32_e32 v1, 0, v22
	s_delay_alu instid0(VALU_DEP_3) | instskip(NEXT) | instid1(VALU_DEP_2)
	v_add_f32_e32 v5, v2, v136
	v_add_f32_e32 v1, v1, v118
	s_delay_alu instid0(VALU_DEP_1) | instskip(NEXT) | instid1(VALU_DEP_1)
	v_add_f32_e32 v1, v1, v122
	v_add_f32_e32 v1, v1, v123
	scratch_load_b64 v[122:123], off, off offset:368
	v_add_f32_e32 v1, v1, v124
	s_delay_alu instid0(VALU_DEP_1) | instskip(NEXT) | instid1(VALU_DEP_1)
	v_add_f32_e32 v1, v1, v125
	v_add_f32_e32 v1, v1, v13
	;; [unrolled: 1-line block ×3, first 2 shown]
	s_delay_alu instid0(VALU_DEP_1) | instskip(NEXT) | instid1(VALU_DEP_1)
	v_add_f32_e32 v13, v13, v141
	v_add_f32_e32 v13, v13, v143
	s_delay_alu instid0(VALU_DEP_1) | instskip(NEXT) | instid1(VALU_DEP_1)
	v_add_f32_e32 v18, v13, v145
	v_dual_add_f32 v18, v18, v147 :: v_dual_add_f32 v1, v1, v14
	s_delay_alu instid0(VALU_DEP_1) | instskip(NEXT) | instid1(VALU_DEP_1)
	v_dual_add_f32 v18, v18, v149 :: v_dual_add_f32 v1, v1, v16
	v_add_f32_e32 v1, v1, v17
	s_delay_alu instid0(VALU_DEP_1) | instskip(NEXT) | instid1(VALU_DEP_1)
	v_add_f32_e32 v1, v1, v128
	v_add_f32_e32 v1, v1, v129
	s_delay_alu instid0(VALU_DEP_1) | instskip(NEXT) | instid1(VALU_DEP_1)
	v_add_f32_e32 v1, v1, v137
	v_add_f32_e32 v1, v1, v138
	s_delay_alu instid0(VALU_DEP_1)
	v_add_f32_e32 v6, v1, v140
	scratch_load_b128 v[1:4], off, off offset:304
	v_add_f32_e32 v118, v18, v151
	v_add_f32_e32 v14, v6, v142
	ds_load_b128 v[5:8], v21 offset:672
	v_add_f32_e32 v118, v118, v153
	v_add_f32_e32 v14, v14, v144
	s_delay_alu instid0(VALU_DEP_1)
	v_add_f32_e32 v17, v14, v146
	ds_load_b128 v[13:16], v21 offset:688
	s_wait_loadcnt_dscnt 0x201
	v_mul_f32_e32 v22, v5, v10
	v_mul_f32_e32 v10, v6, v10
	;; [unrolled: 1-line block ×4, first 2 shown]
	v_add_f32_e32 v118, v118, v155
	v_fmac_f32_e32 v22, v6, v9
	v_fma_f32 v127, v5, v9, -v10
	v_fmac_f32_e32 v126, v8, v11
	v_fma_f32 v128, v7, v11, -v12
	scratch_load_b128 v[5:8], off, off offset:320
	v_add_f32_e32 v118, v118, v157
	scratch_load_b128 v[9:12], off, off offset:336
	s_wait_loadcnt_dscnt 0x200
	v_mul_f32_e32 v129, v13, v2
	v_mul_f32_e32 v2, v14, v2
	;; [unrolled: 1-line block ×3, first 2 shown]
	s_delay_alu instid0(VALU_DEP_3) | instskip(NEXT) | instid1(VALU_DEP_3)
	v_dual_mul_f32 v4, v16, v4 :: v_dual_fmac_f32 v129, v14, v1
	v_fma_f32 v133, v13, v1, -v2
	v_add_f32_e32 v13, v118, v159
	s_delay_alu instid0(VALU_DEP_4) | instskip(NEXT) | instid1(VALU_DEP_4)
	v_fmac_f32_e32 v132, v16, v3
	v_fma_f32 v134, v15, v3, -v4
	ds_load_b128 v[1:4], v21 offset:704
	v_add_f32_e32 v118, v13, v161
	s_delay_alu instid0(VALU_DEP_1) | instskip(NEXT) | instid1(VALU_DEP_1)
	v_add_f32_e32 v125, v118, v163
	v_add_f32_e32 v136, v125, v165
	s_delay_alu instid0(VALU_DEP_1) | instskip(NEXT) | instid1(VALU_DEP_1)
	v_dual_add_f32 v17, v17, v148 :: v_dual_add_f32 v22, v136, v22
	v_add_f32_e32 v17, v17, v150
	s_delay_alu instid0(VALU_DEP_1) | instskip(NEXT) | instid1(VALU_DEP_1)
	v_dual_add_f32 v22, v22, v126 :: v_dual_add_f32 v17, v17, v152
	v_dual_add_f32 v22, v22, v129 :: v_dual_add_f32 v119, v17, v154
	scratch_load_b128 v[17:20], off, off offset:352
	v_add_f32_e32 v22, v22, v132
	v_add_f32_e32 v119, v119, v156
	s_delay_alu instid0(VALU_DEP_1) | instskip(NEXT) | instid1(VALU_DEP_1)
	v_add_f32_e32 v119, v119, v158
	v_add_f32_e32 v119, v119, v160
	s_delay_alu instid0(VALU_DEP_1)
	v_add_f32_e32 v14, v119, v162
	ds_load_b128 v[118:121], v21 offset:736
	v_add_f32_e32 v124, v14, v164
	ds_load_b128 v[13:16], v21 offset:720
	s_wait_loadcnt_dscnt 0x202
	v_mul_f32_e32 v126, v3, v8
	v_mul_f32_e32 v8, v4, v8
	v_add_f32_e32 v135, v124, v166
	ds_load_b64 v[124:125], v21 offset:752
	v_fmac_f32_e32 v126, v4, v7
	v_add_f32_e32 v127, v135, v127
	v_mul_f32_e32 v135, v1, v6
	v_mul_f32_e32 v6, v2, v6
	s_delay_alu instid0(VALU_DEP_2) | instskip(NEXT) | instid1(VALU_DEP_4)
	v_fmac_f32_e32 v135, v2, v5
	v_add_f32_e32 v127, v127, v128
	s_delay_alu instid0(VALU_DEP_3)
	v_fma_f32 v1, v1, v5, -v6
	v_fma_f32 v2, v3, v7, -v8
	s_wait_loadcnt_dscnt 0x101
	v_mul_f32_e32 v128, v13, v10
	v_add_f32_e32 v4, v22, v135
	v_mul_f32_e32 v3, v14, v10
	s_delay_alu instid0(VALU_DEP_3) | instskip(SKIP_2) | instid1(VALU_DEP_3)
	v_fmac_f32_e32 v128, v14, v9
	s_wait_dscnt 0x0
	v_dual_add_f32 v127, v127, v133 :: v_dual_mul_f32 v132, v124, v123
	v_fma_f32 v3, v13, v9, -v3
	s_delay_alu instid0(VALU_DEP_2) | instskip(NEXT) | instid1(VALU_DEP_1)
	v_add_f32_e32 v127, v127, v134
	v_dual_fmac_f32 v132, v125, v122 :: v_dual_add_f32 v1, v127, v1
	s_delay_alu instid0(VALU_DEP_1) | instskip(SKIP_1) | instid1(VALU_DEP_1)
	v_add_f32_e32 v1, v1, v2
	v_add_f32_e32 v2, v4, v126
	;; [unrolled: 1-line block ×3, first 2 shown]
	s_wait_loadcnt 0x0
	v_mul_f32_e32 v134, v120, v20
	v_mul_f32_e32 v129, v15, v12
	;; [unrolled: 1-line block ×4, first 2 shown]
	s_delay_alu instid0(VALU_DEP_4) | instskip(NEXT) | instid1(VALU_DEP_4)
	v_fmac_f32_e32 v134, v121, v19
	v_fmac_f32_e32 v129, v16, v11
	s_delay_alu instid0(VALU_DEP_4) | instskip(NEXT) | instid1(VALU_DEP_4)
	v_fmac_f32_e32 v133, v119, v17
	v_fma_f32 v4, v118, v17, -v4
	s_delay_alu instid0(VALU_DEP_3) | instskip(NEXT) | instid1(VALU_DEP_1)
	v_dual_add_f32 v2, v2, v129 :: v_dual_mul_f32 v5, v16, v12
	v_add_f32_e32 v2, v2, v133
	s_delay_alu instid0(VALU_DEP_2) | instskip(NEXT) | instid1(VALU_DEP_2)
	v_fma_f32 v5, v15, v11, -v5
	v_add_f32_e32 v2, v2, v134
	s_delay_alu instid0(VALU_DEP_1) | instskip(NEXT) | instid1(VALU_DEP_1)
	v_dual_add_f32 v2, v2, v132 :: v_dual_add_f32 v1, v1, v3
	v_dual_mul_f32 v3, v121, v20 :: v_dual_sub_f32 v2, v131, v2
	s_delay_alu instid0(VALU_DEP_2) | instskip(SKIP_1) | instid1(VALU_DEP_3)
	v_add_f32_e32 v1, v1, v5
	v_mul_f32_e32 v5, v125, v123
	v_fma_f32 v3, v120, v19, -v3
	s_delay_alu instid0(VALU_DEP_3) | instskip(NEXT) | instid1(VALU_DEP_3)
	v_add_f32_e32 v1, v1, v4
	v_fma_f32 v4, v124, v122, -v5
	s_delay_alu instid0(VALU_DEP_2) | instskip(NEXT) | instid1(VALU_DEP_1)
	v_add_f32_e32 v1, v1, v3
	v_add_f32_e32 v1, v1, v4
	s_delay_alu instid0(VALU_DEP_1)
	v_sub_f32_e32 v1, v130, v1
	scratch_store_b64 off, v[1:2], off offset:56
	v_cmpx_lt_u32_e32 6, v0
	s_cbranch_execz .LBB110_283
; %bb.282:
	scratch_load_b64 v[1:2], off, off offset:48
	v_mov_b32_e32 v22, v21
	scratch_store_b64 off, v[21:22], off offset:48
	s_wait_loadcnt 0x0
	ds_store_b64 v23, v[1:2]
.LBB110_283:
	s_wait_alu 0xfffe
	s_or_b32 exec_lo, exec_lo, s0
	s_wait_storecnt_dscnt 0x0
	s_barrier_signal -1
	s_barrier_wait -1
	global_inv scope:SCOPE_SE
	s_clause 0x4
	scratch_load_b128 v[5:8], off, off offset:56
	scratch_load_b128 v[1:4], off, off offset:72
	;; [unrolled: 1-line block ×5, first 2 shown]
	ds_load_2addr_b64 v[118:121], v21 offset0:55 offset1:56
	ds_load_2addr_b64 v[122:125], v21 offset0:57 offset1:58
	;; [unrolled: 1-line block ×3, first 2 shown]
	scratch_load_b64 v[130:131], off, off offset:48
	s_mov_b32 s0, exec_lo
	s_wait_loadcnt_dscnt 0x502
	v_dual_mul_f32 v22, v119, v6 :: v_dual_mul_f32 v133, v120, v8
	v_mul_f32_e32 v132, v118, v6
	v_mul_f32_e32 v6, v121, v8
	s_wait_loadcnt_dscnt 0x300
	v_mul_f32_e32 v134, v128, v12
	v_fma_f32 v22, v118, v5, -v22
	v_dual_fmac_f32 v133, v121, v7 :: v_dual_fmac_f32 v132, v119, v5
	v_mul_f32_e32 v121, v126, v10
	v_mul_f32_e32 v119, v122, v2
	v_fma_f32 v118, v120, v7, -v6
	ds_load_2addr_b64 v[5:8], v21 offset0:61 offset1:62
	v_mul_f32_e32 v120, v124, v4
	v_dual_mul_f32 v4, v125, v4 :: v_dual_fmac_f32 v121, v127, v9
	v_mul_f32_e32 v10, v127, v10
	v_mul_f32_e32 v12, v129, v12
	;; [unrolled: 1-line block ×3, first 2 shown]
	v_dual_fmac_f32 v119, v123, v1 :: v_dual_fmac_f32 v120, v125, v3
	v_fma_f32 v123, v124, v3, -v4
	v_fma_f32 v124, v126, v9, -v10
	v_fmac_f32_e32 v134, v129, v11
	v_fma_f32 v125, v128, v11, -v12
	ds_load_2addr_b64 v[9:12], v21 offset0:63 offset1:64
	s_wait_loadcnt_dscnt 0x201
	v_dual_mul_f32 v127, v7, v16 :: v_dual_mul_f32 v126, v5, v14
	s_delay_alu instid0(VALU_DEP_1)
	v_dual_mul_f32 v14, v6, v14 :: v_dual_fmac_f32 v127, v8, v15
	v_fma_f32 v122, v122, v1, -v2
	scratch_load_b128 v[1:4], off, off offset:136
	v_mul_f32_e32 v16, v8, v16
	v_fmac_f32_e32 v126, v6, v13
	v_fma_f32 v13, v5, v13, -v14
	s_delay_alu instid0(VALU_DEP_3)
	v_fma_f32 v14, v7, v15, -v16
	s_wait_loadcnt_dscnt 0x200
	v_mul_f32_e32 v15, v9, v18
	v_mul_f32_e32 v16, v10, v18
	;; [unrolled: 1-line block ×4, first 2 shown]
	ds_load_2addr_b64 v[5:8], v21 offset0:65 offset1:66
	v_fmac_f32_e32 v15, v10, v17
	v_fma_f32 v16, v9, v17, -v16
	v_fmac_f32_e32 v18, v12, v19
	v_fma_f32 v17, v11, v19, -v20
	scratch_load_b128 v[9:12], off, off offset:152
	s_wait_loadcnt_dscnt 0x100
	v_mul_f32_e32 v19, v5, v2
	v_mul_f32_e32 v2, v6, v2
	;; [unrolled: 1-line block ×3, first 2 shown]
	s_delay_alu instid0(VALU_DEP_3) | instskip(NEXT) | instid1(VALU_DEP_3)
	v_dual_mul_f32 v4, v8, v4 :: v_dual_fmac_f32 v19, v6, v1
	v_fma_f32 v128, v5, v1, -v2
	s_delay_alu instid0(VALU_DEP_3) | instskip(NEXT) | instid1(VALU_DEP_3)
	v_fmac_f32_e32 v20, v8, v3
	v_fma_f32 v129, v7, v3, -v4
	ds_load_2addr_b64 v[1:4], v21 offset0:67 offset1:68
	ds_load_2addr_b64 v[5:8], v21 offset0:69 offset1:70
	s_wait_loadcnt_dscnt 0x1
	v_mul_f32_e32 v135, v1, v10
	v_mul_f32_e32 v10, v2, v10
	s_delay_alu instid0(VALU_DEP_2) | instskip(NEXT) | instid1(VALU_DEP_2)
	v_dual_mul_f32 v136, v3, v12 :: v_dual_fmac_f32 v135, v2, v9
	v_fma_f32 v137, v1, v9, -v10
	v_mul_f32_e32 v1, v4, v12
	s_delay_alu instid0(VALU_DEP_3) | instskip(NEXT) | instid1(VALU_DEP_2)
	v_fmac_f32_e32 v136, v4, v11
	v_fma_f32 v138, v3, v11, -v1
	s_clause 0x1
	scratch_load_b128 v[1:4], off, off offset:168
	scratch_load_b128 v[9:12], off, off offset:184
	s_wait_loadcnt_dscnt 0x100
	v_mul_f32_e32 v139, v5, v2
	v_dual_mul_f32 v2, v6, v2 :: v_dual_mul_f32 v141, v7, v4
	s_delay_alu instid0(VALU_DEP_2) | instskip(NEXT) | instid1(VALU_DEP_2)
	v_fmac_f32_e32 v139, v6, v1
	v_fma_f32 v140, v5, v1, -v2
	v_mul_f32_e32 v1, v8, v4
	s_delay_alu instid0(VALU_DEP_4) | instskip(NEXT) | instid1(VALU_DEP_2)
	v_fmac_f32_e32 v141, v8, v3
	v_fma_f32 v142, v7, v3, -v1
	ds_load_2addr_b64 v[1:4], v21 offset0:71 offset1:72
	ds_load_2addr_b64 v[5:8], v21 offset0:73 offset1:74
	s_wait_loadcnt_dscnt 0x1
	v_mul_f32_e32 v143, v1, v10
	v_mul_f32_e32 v145, v3, v12
	s_delay_alu instid0(VALU_DEP_2) | instskip(NEXT) | instid1(VALU_DEP_2)
	v_fmac_f32_e32 v143, v2, v9
	v_dual_mul_f32 v2, v2, v10 :: v_dual_fmac_f32 v145, v4, v11
	s_delay_alu instid0(VALU_DEP_1) | instskip(SKIP_1) | instid1(VALU_DEP_1)
	v_fma_f32 v144, v1, v9, -v2
	v_mul_f32_e32 v1, v4, v12
	v_fma_f32 v146, v3, v11, -v1
	s_clause 0x1
	scratch_load_b128 v[1:4], off, off offset:200
	scratch_load_b128 v[9:12], off, off offset:216
	s_wait_loadcnt_dscnt 0x100
	v_mul_f32_e32 v147, v5, v2
	v_dual_mul_f32 v2, v6, v2 :: v_dual_mul_f32 v149, v7, v4
	s_delay_alu instid0(VALU_DEP_2) | instskip(NEXT) | instid1(VALU_DEP_2)
	v_fmac_f32_e32 v147, v6, v1
	v_fma_f32 v148, v5, v1, -v2
	v_mul_f32_e32 v1, v8, v4
	s_delay_alu instid0(VALU_DEP_4) | instskip(NEXT) | instid1(VALU_DEP_2)
	v_fmac_f32_e32 v149, v8, v3
	v_fma_f32 v150, v7, v3, -v1
	ds_load_2addr_b64 v[1:4], v21 offset0:75 offset1:76
	ds_load_2addr_b64 v[5:8], v21 offset0:77 offset1:78
	s_wait_loadcnt_dscnt 0x1
	v_mul_f32_e32 v151, v1, v10
	v_mul_f32_e32 v153, v3, v12
	s_delay_alu instid0(VALU_DEP_2) | instskip(NEXT) | instid1(VALU_DEP_2)
	v_fmac_f32_e32 v151, v2, v9
	v_dual_mul_f32 v2, v2, v10 :: v_dual_fmac_f32 v153, v4, v11
	s_delay_alu instid0(VALU_DEP_1) | instskip(SKIP_1) | instid1(VALU_DEP_1)
	v_fma_f32 v152, v1, v9, -v2
	v_mul_f32_e32 v1, v4, v12
	v_fma_f32 v154, v3, v11, -v1
	s_clause 0x1
	scratch_load_b128 v[1:4], off, off offset:232
	scratch_load_b128 v[9:12], off, off offset:248
	s_wait_loadcnt_dscnt 0x100
	v_mul_f32_e32 v155, v5, v2
	v_dual_mul_f32 v2, v6, v2 :: v_dual_mul_f32 v157, v7, v4
	s_delay_alu instid0(VALU_DEP_2) | instskip(NEXT) | instid1(VALU_DEP_2)
	v_fmac_f32_e32 v155, v6, v1
	v_fma_f32 v156, v5, v1, -v2
	v_mul_f32_e32 v1, v8, v4
	s_delay_alu instid0(VALU_DEP_4) | instskip(NEXT) | instid1(VALU_DEP_2)
	v_fmac_f32_e32 v157, v8, v3
	v_fma_f32 v158, v7, v3, -v1
	ds_load_2addr_b64 v[1:4], v21 offset0:79 offset1:80
	ds_load_2addr_b64 v[5:8], v21 offset0:81 offset1:82
	s_wait_loadcnt_dscnt 0x1
	v_mul_f32_e32 v159, v1, v10
	v_mul_f32_e32 v161, v3, v12
	s_delay_alu instid0(VALU_DEP_2) | instskip(NEXT) | instid1(VALU_DEP_2)
	v_fmac_f32_e32 v159, v2, v9
	v_dual_mul_f32 v2, v2, v10 :: v_dual_fmac_f32 v161, v4, v11
	s_delay_alu instid0(VALU_DEP_1) | instskip(SKIP_1) | instid1(VALU_DEP_1)
	v_fma_f32 v160, v1, v9, -v2
	v_mul_f32_e32 v1, v4, v12
	v_fma_f32 v162, v3, v11, -v1
	s_clause 0x1
	scratch_load_b128 v[1:4], off, off offset:264
	scratch_load_b128 v[9:12], off, off offset:280
	s_wait_loadcnt_dscnt 0x100
	v_mul_f32_e32 v163, v5, v2
	v_dual_mul_f32 v2, v6, v2 :: v_dual_mul_f32 v165, v7, v4
	s_delay_alu instid0(VALU_DEP_2) | instskip(NEXT) | instid1(VALU_DEP_2)
	v_fmac_f32_e32 v163, v6, v1
	v_fma_f32 v164, v5, v1, -v2
	v_mul_f32_e32 v1, v8, v4
	s_delay_alu instid0(VALU_DEP_4) | instskip(NEXT) | instid1(VALU_DEP_2)
	v_fmac_f32_e32 v165, v8, v3
	v_fma_f32 v166, v7, v3, -v1
	ds_load_2addr_b64 v[1:4], v21 offset0:83 offset1:84
	ds_load_2addr_b64 v[5:8], v21 offset0:85 offset1:86
	s_wait_loadcnt_dscnt 0x1
	v_mul_f32_e32 v167, v1, v10
	v_mul_f32_e32 v169, v3, v12
	s_delay_alu instid0(VALU_DEP_2) | instskip(NEXT) | instid1(VALU_DEP_2)
	v_fmac_f32_e32 v167, v2, v9
	v_dual_mul_f32 v2, v2, v10 :: v_dual_fmac_f32 v169, v4, v11
	s_delay_alu instid0(VALU_DEP_1) | instskip(SKIP_1) | instid1(VALU_DEP_1)
	v_fma_f32 v168, v1, v9, -v2
	v_mul_f32_e32 v1, v4, v12
	v_fma_f32 v170, v3, v11, -v1
	s_clause 0x1
	scratch_load_b128 v[1:4], off, off offset:296
	scratch_load_b128 v[9:12], off, off offset:312
	s_wait_loadcnt_dscnt 0x100
	v_mul_f32_e32 v171, v5, v2
	v_mul_f32_e32 v2, v6, v2
	s_delay_alu instid0(VALU_DEP_1) | instskip(SKIP_1) | instid1(VALU_DEP_1)
	v_fma_f32 v172, v5, v1, -v2
	v_add_f32_e32 v2, 0, v132
	v_add_f32_e32 v2, v2, v133
	s_delay_alu instid0(VALU_DEP_1) | instskip(NEXT) | instid1(VALU_DEP_1)
	v_add_f32_e32 v2, v2, v119
	v_add_f32_e32 v2, v2, v120
	s_delay_alu instid0(VALU_DEP_1) | instskip(NEXT) | instid1(VALU_DEP_1)
	v_add_f32_e32 v2, v2, v121
	v_add_f32_e32 v2, v2, v134
	s_delay_alu instid0(VALU_DEP_1) | instskip(NEXT) | instid1(VALU_DEP_1)
	v_add_f32_e32 v2, v2, v126
	v_add_f32_e32 v2, v2, v127
	s_delay_alu instid0(VALU_DEP_1) | instskip(NEXT) | instid1(VALU_DEP_1)
	v_add_f32_e32 v2, v2, v15
	v_add_f32_e32 v2, v2, v18
	s_delay_alu instid0(VALU_DEP_1) | instskip(NEXT) | instid1(VALU_DEP_1)
	v_add_f32_e32 v2, v2, v19
	v_add_f32_e32 v2, v2, v20
	s_delay_alu instid0(VALU_DEP_1) | instskip(NEXT) | instid1(VALU_DEP_1)
	v_add_f32_e32 v2, v2, v135
	v_add_f32_e32 v2, v2, v136
	v_fmac_f32_e32 v171, v6, v1
	s_delay_alu instid0(VALU_DEP_2) | instskip(NEXT) | instid1(VALU_DEP_1)
	v_dual_add_f32 v2, v2, v139 :: v_dual_mul_f32 v173, v7, v4
	v_add_f32_e32 v2, v2, v141
	s_delay_alu instid0(VALU_DEP_1) | instskip(NEXT) | instid1(VALU_DEP_1)
	v_add_f32_e32 v5, v2, v143
	v_add_f32_e32 v5, v5, v145
	s_delay_alu instid0(VALU_DEP_1) | instskip(SKIP_1) | instid1(VALU_DEP_1)
	v_add_f32_e32 v5, v5, v147
	v_mul_f32_e32 v1, v8, v4
	v_fma_f32 v174, v7, v3, -v1
	v_add_f32_e32 v1, 0, v22
	s_delay_alu instid0(VALU_DEP_1) | instskip(NEXT) | instid1(VALU_DEP_1)
	v_add_f32_e32 v1, v1, v118
	v_add_f32_e32 v1, v1, v122
	s_delay_alu instid0(VALU_DEP_1) | instskip(NEXT) | instid1(VALU_DEP_1)
	v_add_f32_e32 v1, v1, v123
	;; [unrolled: 3-line block ×3, first 2 shown]
	v_add_f32_e32 v1, v1, v13
	s_delay_alu instid0(VALU_DEP_1) | instskip(SKIP_1) | instid1(VALU_DEP_2)
	v_add_f32_e32 v1, v1, v14
	v_add_f32_e32 v14, v5, v149
	;; [unrolled: 1-line block ×3, first 2 shown]
	s_delay_alu instid0(VALU_DEP_1) | instskip(NEXT) | instid1(VALU_DEP_1)
	v_add_f32_e32 v1, v1, v17
	v_add_f32_e32 v1, v1, v128
	s_delay_alu instid0(VALU_DEP_1) | instskip(NEXT) | instid1(VALU_DEP_1)
	v_add_f32_e32 v1, v1, v129
	v_add_f32_e32 v1, v1, v137
	;; [unrolled: 3-line block ×4, first 2 shown]
	s_delay_alu instid0(VALU_DEP_1) | instskip(SKIP_3) | instid1(VALU_DEP_2)
	v_dual_add_f32 v6, v1, v146 :: v_dual_fmac_f32 v173, v8, v3
	ds_load_2addr_b64 v[1:4], v21 offset0:87 offset1:88
	v_add_f32_e32 v14, v14, v151
	v_add_f32_e32 v6, v6, v148
	;; [unrolled: 1-line block ×3, first 2 shown]
	s_delay_alu instid0(VALU_DEP_2) | instskip(SKIP_2) | instid1(VALU_DEP_1)
	v_add_f32_e32 v13, v6, v150
	ds_load_2addr_b64 v[5:8], v21 offset0:89 offset1:90
	v_add_f32_e32 v13, v13, v152
	v_add_f32_e32 v13, v13, v154
	s_wait_loadcnt_dscnt 0x1
	v_mul_f32_e32 v22, v1, v10
	v_mul_f32_e32 v122, v3, v12
	;; [unrolled: 1-line block ×4, first 2 shown]
	s_delay_alu instid0(VALU_DEP_4) | instskip(NEXT) | instid1(VALU_DEP_4)
	v_dual_add_f32 v13, v13, v156 :: v_dual_fmac_f32 v22, v2, v9
	v_fmac_f32_e32 v122, v4, v11
	s_delay_alu instid0(VALU_DEP_4) | instskip(NEXT) | instid1(VALU_DEP_4)
	v_fma_f32 v123, v1, v9, -v10
	v_fma_f32 v124, v3, v11, -v12
	s_clause 0x1
	scratch_load_b128 v[1:4], off, off offset:328
	scratch_load_b128 v[9:12], off, off offset:344
	v_dual_add_f32 v17, v14, v155 :: v_dual_add_f32 v18, v13, v158
	scratch_load_b128 v[13:16], off, off offset:360
	v_dual_add_f32 v17, v17, v157 :: v_dual_add_f32 v18, v18, v160
	s_delay_alu instid0(VALU_DEP_1) | instskip(NEXT) | instid1(VALU_DEP_1)
	v_dual_add_f32 v17, v17, v159 :: v_dual_add_f32 v18, v18, v162
	v_dual_add_f32 v17, v17, v161 :: v_dual_add_f32 v118, v18, v164
	s_delay_alu instid0(VALU_DEP_1) | instskip(NEXT) | instid1(VALU_DEP_2)
	v_add_f32_e32 v119, v17, v163
	v_add_f32_e32 v125, v118, v166
	ds_load_2addr_b64 v[17:20], v21 offset0:91 offset1:92
	v_add_f32_e32 v126, v119, v165
	ds_load_2addr_b64 v[118:121], v21 offset0:93 offset1:94
	v_add_f32_e32 v21, v125, v168
	v_add_f32_e32 v125, v126, v167
	s_delay_alu instid0(VALU_DEP_2) | instskip(NEXT) | instid1(VALU_DEP_2)
	v_add_f32_e32 v21, v21, v170
	v_add_f32_e32 v125, v125, v169
	s_delay_alu instid0(VALU_DEP_2) | instskip(NEXT) | instid1(VALU_DEP_2)
	;; [unrolled: 3-line block ×3, first 2 shown]
	v_add_f32_e32 v21, v21, v174
	v_add_f32_e32 v125, v125, v173
	s_delay_alu instid0(VALU_DEP_2) | instskip(SKIP_1) | instid1(VALU_DEP_2)
	v_add_f32_e32 v21, v21, v123
	s_wait_loadcnt_dscnt 0x202
	v_dual_add_f32 v22, v125, v22 :: v_dual_mul_f32 v127, v7, v4
	v_mul_f32_e32 v126, v5, v2
	v_mul_f32_e32 v2, v6, v2
	;; [unrolled: 1-line block ×3, first 2 shown]
	s_wait_loadcnt_dscnt 0x101
	v_dual_mul_f32 v128, v17, v10 :: v_dual_fmac_f32 v127, v8, v3
	v_fmac_f32_e32 v126, v6, v1
	v_fma_f32 v2, v5, v1, -v2
	v_add_f32_e32 v1, v21, v124
	v_add_f32_e32 v5, v22, v122
	v_mul_f32_e32 v6, v18, v10
	v_fma_f32 v3, v7, v3, -v4
	v_mul_f32_e32 v129, v19, v12
	v_add_f32_e32 v1, v1, v2
	v_add_f32_e32 v2, v5, v126
	v_mul_f32_e32 v4, v20, v12
	v_fmac_f32_e32 v128, v18, v9
	v_fma_f32 v5, v17, v9, -v6
	v_add_f32_e32 v1, v1, v3
	v_add_f32_e32 v2, v2, v127
	s_wait_loadcnt_dscnt 0x0
	v_mul_f32_e32 v132, v118, v14
	v_mul_f32_e32 v3, v119, v14
	v_fmac_f32_e32 v129, v20, v11
	v_fma_f32 v4, v19, v11, -v4
	v_dual_add_f32 v1, v1, v5 :: v_dual_add_f32 v2, v2, v128
	v_mul_f32_e32 v123, v120, v16
	v_dual_mul_f32 v5, v121, v16 :: v_dual_fmac_f32 v132, v119, v13
	v_fma_f32 v3, v118, v13, -v3
	s_delay_alu instid0(VALU_DEP_4) | instskip(NEXT) | instid1(VALU_DEP_4)
	v_dual_add_f32 v1, v1, v4 :: v_dual_add_f32 v2, v2, v129
	v_fmac_f32_e32 v123, v121, v15
	s_delay_alu instid0(VALU_DEP_4) | instskip(NEXT) | instid1(VALU_DEP_3)
	v_fma_f32 v4, v120, v15, -v5
	v_dual_add_f32 v1, v1, v3 :: v_dual_add_f32 v2, v2, v132
	s_delay_alu instid0(VALU_DEP_1) | instskip(NEXT) | instid1(VALU_DEP_1)
	v_dual_add_f32 v1, v1, v4 :: v_dual_add_f32 v2, v2, v123
	v_dual_sub_f32 v1, v130, v1 :: v_dual_sub_f32 v2, v131, v2
	scratch_store_b64 off, v[1:2], off offset:48
	v_cmpx_lt_u32_e32 5, v0
	s_cbranch_execz .LBB110_285
; %bb.284:
	scratch_load_b64 v[1:2], off, off offset:40
	v_mov_b32_e32 v3, 0
	s_delay_alu instid0(VALU_DEP_1)
	v_mov_b32_e32 v4, v3
	scratch_store_b64 off, v[3:4], off offset:40
	s_wait_loadcnt 0x0
	ds_store_b64 v23, v[1:2]
.LBB110_285:
	s_wait_alu 0xfffe
	s_or_b32 exec_lo, exec_lo, s0
	s_wait_storecnt_dscnt 0x0
	s_barrier_signal -1
	s_barrier_wait -1
	global_inv scope:SCOPE_SE
	s_clause 0x4
	scratch_load_b128 v[5:8], off, off offset:48
	scratch_load_b128 v[1:4], off, off offset:64
	;; [unrolled: 1-line block ×5, first 2 shown]
	v_mov_b32_e32 v21, 0
	ds_load_b128 v[118:121], v21 offset:432
	ds_load_b128 v[122:125], v21 offset:448
	;; [unrolled: 1-line block ×3, first 2 shown]
	scratch_load_b64 v[130:131], off, off offset:40
	s_mov_b32 s0, exec_lo
	s_wait_loadcnt_dscnt 0x502
	v_mul_f32_e32 v22, v119, v6
	v_dual_mul_f32 v132, v118, v6 :: v_dual_mul_f32 v133, v120, v8
	v_mul_f32_e32 v6, v121, v8
	s_delay_alu instid0(VALU_DEP_3) | instskip(NEXT) | instid1(VALU_DEP_3)
	v_fma_f32 v22, v118, v5, -v22
	v_dual_fmac_f32 v132, v119, v5 :: v_dual_fmac_f32 v133, v121, v7
	s_wait_loadcnt_dscnt 0x401
	v_mul_f32_e32 v119, v122, v2
	v_fma_f32 v118, v120, v7, -v6
	ds_load_b128 v[5:8], v21 offset:480
	s_wait_loadcnt_dscnt 0x301
	v_dual_mul_f32 v120, v124, v4 :: v_dual_mul_f32 v121, v126, v10
	v_dual_mul_f32 v4, v125, v4 :: v_dual_fmac_f32 v119, v123, v1
	v_mul_f32_e32 v10, v127, v10
	s_delay_alu instid0(VALU_DEP_3)
	v_dual_mul_f32 v134, v128, v12 :: v_dual_fmac_f32 v121, v127, v9
	v_mul_f32_e32 v12, v129, v12
	v_mul_f32_e32 v2, v123, v2
	v_fmac_f32_e32 v120, v125, v3
	v_fma_f32 v123, v124, v3, -v4
	v_fma_f32 v124, v126, v9, -v10
	v_fmac_f32_e32 v134, v129, v11
	v_fma_f32 v125, v128, v11, -v12
	ds_load_b128 v[9:12], v21 offset:496
	s_wait_loadcnt_dscnt 0x201
	v_dual_mul_f32 v127, v7, v16 :: v_dual_mul_f32 v126, v5, v14
	v_mul_f32_e32 v14, v6, v14
	v_mul_f32_e32 v16, v8, v16
	s_delay_alu instid0(VALU_DEP_3)
	v_fmac_f32_e32 v127, v8, v15
	v_fma_f32 v122, v122, v1, -v2
	scratch_load_b128 v[1:4], off, off offset:128
	v_fmac_f32_e32 v126, v6, v13
	v_fma_f32 v13, v5, v13, -v14
	v_fma_f32 v14, v7, v15, -v16
	ds_load_b128 v[5:8], v21 offset:512
	s_wait_loadcnt_dscnt 0x201
	v_mul_f32_e32 v15, v9, v18
	v_mul_f32_e32 v16, v10, v18
	;; [unrolled: 1-line block ×3, first 2 shown]
	s_delay_alu instid0(VALU_DEP_3) | instskip(NEXT) | instid1(VALU_DEP_3)
	v_dual_mul_f32 v20, v12, v20 :: v_dual_fmac_f32 v15, v10, v17
	v_fma_f32 v16, v9, v17, -v16
	s_delay_alu instid0(VALU_DEP_3) | instskip(NEXT) | instid1(VALU_DEP_3)
	v_fmac_f32_e32 v18, v12, v19
	v_fma_f32 v17, v11, v19, -v20
	scratch_load_b128 v[9:12], off, off offset:144
	s_wait_loadcnt_dscnt 0x100
	v_mul_f32_e32 v19, v5, v2
	v_mul_f32_e32 v2, v6, v2
	;; [unrolled: 1-line block ×3, first 2 shown]
	s_delay_alu instid0(VALU_DEP_3) | instskip(NEXT) | instid1(VALU_DEP_3)
	v_dual_mul_f32 v4, v8, v4 :: v_dual_fmac_f32 v19, v6, v1
	v_fma_f32 v128, v5, v1, -v2
	s_delay_alu instid0(VALU_DEP_3) | instskip(NEXT) | instid1(VALU_DEP_3)
	v_fmac_f32_e32 v20, v8, v3
	v_fma_f32 v129, v7, v3, -v4
	ds_load_b128 v[1:4], v21 offset:528
	ds_load_b128 v[5:8], v21 offset:544
	s_wait_loadcnt_dscnt 0x1
	v_mul_f32_e32 v135, v1, v10
	v_mul_f32_e32 v10, v2, v10
	s_delay_alu instid0(VALU_DEP_2) | instskip(NEXT) | instid1(VALU_DEP_2)
	v_dual_mul_f32 v136, v3, v12 :: v_dual_fmac_f32 v135, v2, v9
	v_fma_f32 v137, v1, v9, -v10
	v_mul_f32_e32 v1, v4, v12
	s_delay_alu instid0(VALU_DEP_3) | instskip(NEXT) | instid1(VALU_DEP_2)
	v_fmac_f32_e32 v136, v4, v11
	v_fma_f32 v138, v3, v11, -v1
	s_clause 0x1
	scratch_load_b128 v[1:4], off, off offset:160
	scratch_load_b128 v[9:12], off, off offset:176
	s_wait_loadcnt_dscnt 0x100
	v_mul_f32_e32 v139, v5, v2
	v_dual_mul_f32 v2, v6, v2 :: v_dual_mul_f32 v141, v7, v4
	s_delay_alu instid0(VALU_DEP_2) | instskip(NEXT) | instid1(VALU_DEP_2)
	v_fmac_f32_e32 v139, v6, v1
	v_fma_f32 v140, v5, v1, -v2
	v_mul_f32_e32 v1, v8, v4
	s_delay_alu instid0(VALU_DEP_4) | instskip(NEXT) | instid1(VALU_DEP_2)
	v_fmac_f32_e32 v141, v8, v3
	v_fma_f32 v142, v7, v3, -v1
	ds_load_b128 v[1:4], v21 offset:560
	ds_load_b128 v[5:8], v21 offset:576
	s_wait_loadcnt_dscnt 0x1
	v_mul_f32_e32 v143, v1, v10
	v_mul_f32_e32 v145, v3, v12
	s_delay_alu instid0(VALU_DEP_2) | instskip(NEXT) | instid1(VALU_DEP_2)
	v_fmac_f32_e32 v143, v2, v9
	v_dual_mul_f32 v2, v2, v10 :: v_dual_fmac_f32 v145, v4, v11
	s_delay_alu instid0(VALU_DEP_1) | instskip(SKIP_1) | instid1(VALU_DEP_1)
	v_fma_f32 v144, v1, v9, -v2
	v_mul_f32_e32 v1, v4, v12
	v_fma_f32 v146, v3, v11, -v1
	s_clause 0x1
	scratch_load_b128 v[1:4], off, off offset:192
	scratch_load_b128 v[9:12], off, off offset:208
	s_wait_loadcnt_dscnt 0x100
	v_mul_f32_e32 v147, v5, v2
	v_dual_mul_f32 v149, v7, v4 :: v_dual_mul_f32 v2, v6, v2
	s_delay_alu instid0(VALU_DEP_2) | instskip(NEXT) | instid1(VALU_DEP_2)
	v_fmac_f32_e32 v147, v6, v1
	v_fmac_f32_e32 v149, v8, v3
	s_delay_alu instid0(VALU_DEP_3) | instskip(SKIP_1) | instid1(VALU_DEP_1)
	v_fma_f32 v148, v5, v1, -v2
	v_mul_f32_e32 v1, v8, v4
	v_fma_f32 v150, v7, v3, -v1
	ds_load_b128 v[1:4], v21 offset:592
	ds_load_b128 v[5:8], v21 offset:608
	s_wait_loadcnt_dscnt 0x1
	v_mul_f32_e32 v151, v1, v10
	v_mul_f32_e32 v153, v3, v12
	s_delay_alu instid0(VALU_DEP_2) | instskip(NEXT) | instid1(VALU_DEP_2)
	v_fmac_f32_e32 v151, v2, v9
	v_dual_mul_f32 v2, v2, v10 :: v_dual_fmac_f32 v153, v4, v11
	s_delay_alu instid0(VALU_DEP_1) | instskip(SKIP_1) | instid1(VALU_DEP_1)
	v_fma_f32 v152, v1, v9, -v2
	v_mul_f32_e32 v1, v4, v12
	v_fma_f32 v154, v3, v11, -v1
	s_clause 0x1
	scratch_load_b128 v[1:4], off, off offset:224
	scratch_load_b128 v[9:12], off, off offset:240
	s_wait_loadcnt_dscnt 0x100
	v_mul_f32_e32 v155, v5, v2
	v_dual_mul_f32 v2, v6, v2 :: v_dual_mul_f32 v157, v7, v4
	s_delay_alu instid0(VALU_DEP_2) | instskip(NEXT) | instid1(VALU_DEP_2)
	v_fmac_f32_e32 v155, v6, v1
	v_fma_f32 v156, v5, v1, -v2
	v_mul_f32_e32 v1, v8, v4
	s_delay_alu instid0(VALU_DEP_4) | instskip(NEXT) | instid1(VALU_DEP_2)
	v_fmac_f32_e32 v157, v8, v3
	v_fma_f32 v158, v7, v3, -v1
	ds_load_b128 v[1:4], v21 offset:624
	ds_load_b128 v[5:8], v21 offset:640
	s_wait_loadcnt_dscnt 0x1
	v_mul_f32_e32 v159, v1, v10
	v_mul_f32_e32 v161, v3, v12
	s_delay_alu instid0(VALU_DEP_2) | instskip(NEXT) | instid1(VALU_DEP_2)
	v_fmac_f32_e32 v159, v2, v9
	v_dual_mul_f32 v2, v2, v10 :: v_dual_fmac_f32 v161, v4, v11
	s_delay_alu instid0(VALU_DEP_1) | instskip(SKIP_1) | instid1(VALU_DEP_1)
	v_fma_f32 v160, v1, v9, -v2
	v_mul_f32_e32 v1, v4, v12
	v_fma_f32 v162, v3, v11, -v1
	s_clause 0x1
	scratch_load_b128 v[1:4], off, off offset:256
	scratch_load_b128 v[9:12], off, off offset:272
	s_wait_loadcnt_dscnt 0x100
	v_mul_f32_e32 v163, v5, v2
	v_dual_mul_f32 v2, v6, v2 :: v_dual_mul_f32 v165, v7, v4
	s_delay_alu instid0(VALU_DEP_2) | instskip(NEXT) | instid1(VALU_DEP_2)
	v_fmac_f32_e32 v163, v6, v1
	v_fma_f32 v164, v5, v1, -v2
	v_mul_f32_e32 v1, v8, v4
	s_delay_alu instid0(VALU_DEP_4) | instskip(NEXT) | instid1(VALU_DEP_2)
	v_fmac_f32_e32 v165, v8, v3
	v_fma_f32 v166, v7, v3, -v1
	ds_load_b128 v[1:4], v21 offset:656
	ds_load_b128 v[5:8], v21 offset:672
	s_wait_loadcnt_dscnt 0x1
	v_mul_f32_e32 v167, v1, v10
	v_mul_f32_e32 v169, v3, v12
	s_delay_alu instid0(VALU_DEP_2) | instskip(NEXT) | instid1(VALU_DEP_2)
	v_fmac_f32_e32 v167, v2, v9
	v_dual_mul_f32 v2, v2, v10 :: v_dual_fmac_f32 v169, v4, v11
	s_delay_alu instid0(VALU_DEP_1) | instskip(SKIP_1) | instid1(VALU_DEP_1)
	v_fma_f32 v168, v1, v9, -v2
	v_mul_f32_e32 v1, v4, v12
	v_fma_f32 v170, v3, v11, -v1
	s_clause 0x1
	scratch_load_b128 v[1:4], off, off offset:288
	scratch_load_b128 v[9:12], off, off offset:304
	s_wait_loadcnt_dscnt 0x100
	v_mul_f32_e32 v171, v5, v2
	v_mul_f32_e32 v2, v6, v2
	s_delay_alu instid0(VALU_DEP_1) | instskip(SKIP_1) | instid1(VALU_DEP_1)
	v_fma_f32 v172, v5, v1, -v2
	v_add_f32_e32 v2, 0, v132
	v_add_f32_e32 v2, v2, v133
	s_delay_alu instid0(VALU_DEP_1) | instskip(NEXT) | instid1(VALU_DEP_1)
	v_add_f32_e32 v2, v2, v119
	v_add_f32_e32 v2, v2, v120
	s_delay_alu instid0(VALU_DEP_1) | instskip(NEXT) | instid1(VALU_DEP_1)
	;; [unrolled: 3-line block ×7, first 2 shown]
	v_add_f32_e32 v2, v2, v139
	v_add_f32_e32 v2, v2, v141
	v_fmac_f32_e32 v171, v6, v1
	v_mul_f32_e32 v1, v8, v4
	s_delay_alu instid0(VALU_DEP_3) | instskip(NEXT) | instid1(VALU_DEP_2)
	v_add_f32_e32 v5, v2, v143
	v_fma_f32 v174, v7, v3, -v1
	v_add_f32_e32 v1, 0, v22
	s_delay_alu instid0(VALU_DEP_3) | instskip(NEXT) | instid1(VALU_DEP_2)
	v_add_f32_e32 v5, v5, v145
	v_add_f32_e32 v1, v1, v118
	s_delay_alu instid0(VALU_DEP_2) | instskip(SKIP_1) | instid1(VALU_DEP_3)
	v_add_f32_e32 v5, v5, v147
	v_mul_f32_e32 v173, v7, v4
	v_add_f32_e32 v1, v1, v122
	s_delay_alu instid0(VALU_DEP_1) | instskip(SKIP_2) | instid1(VALU_DEP_1)
	v_add_f32_e32 v1, v1, v123
	scratch_load_b64 v[122:123], off, off offset:368
	v_add_f32_e32 v1, v1, v124
	v_add_f32_e32 v1, v1, v125
	s_delay_alu instid0(VALU_DEP_1) | instskip(NEXT) | instid1(VALU_DEP_1)
	v_add_f32_e32 v1, v1, v13
	v_add_f32_e32 v1, v1, v14
	;; [unrolled: 1-line block ×3, first 2 shown]
	s_delay_alu instid0(VALU_DEP_2) | instskip(NEXT) | instid1(VALU_DEP_1)
	v_add_f32_e32 v1, v1, v16
	v_add_f32_e32 v1, v1, v17
	s_delay_alu instid0(VALU_DEP_1) | instskip(NEXT) | instid1(VALU_DEP_1)
	v_add_f32_e32 v1, v1, v128
	v_add_f32_e32 v1, v1, v129
	s_delay_alu instid0(VALU_DEP_1) | instskip(NEXT) | instid1(VALU_DEP_1)
	;; [unrolled: 3-line block ×4, first 2 shown]
	v_add_f32_e32 v1, v1, v144
	v_dual_add_f32 v6, v1, v146 :: v_dual_fmac_f32 v173, v8, v3
	ds_load_b128 v[1:4], v21 offset:688
	v_add_f32_e32 v14, v14, v151
	v_add_f32_e32 v6, v6, v148
	s_delay_alu instid0(VALU_DEP_2) | instskip(NEXT) | instid1(VALU_DEP_2)
	v_add_f32_e32 v14, v14, v153
	v_add_f32_e32 v13, v6, v150
	ds_load_b128 v[5:8], v21 offset:704
	s_wait_loadcnt_dscnt 0x101
	v_mul_f32_e32 v22, v1, v10
	v_mul_f32_e32 v10, v2, v10
	;; [unrolled: 1-line block ×3, first 2 shown]
	v_dual_mul_f32 v12, v4, v12 :: v_dual_add_f32 v17, v14, v155
	s_delay_alu instid0(VALU_DEP_4) | instskip(NEXT) | instid1(VALU_DEP_4)
	v_fmac_f32_e32 v22, v2, v9
	v_fma_f32 v127, v1, v9, -v10
	s_delay_alu instid0(VALU_DEP_4) | instskip(NEXT) | instid1(VALU_DEP_4)
	v_fmac_f32_e32 v126, v4, v11
	v_fma_f32 v128, v3, v11, -v12
	s_clause 0x1
	scratch_load_b128 v[1:4], off, off offset:320
	scratch_load_b128 v[9:12], off, off offset:336
	v_add_f32_e32 v17, v17, v157
	s_delay_alu instid0(VALU_DEP_1) | instskip(NEXT) | instid1(VALU_DEP_1)
	v_add_f32_e32 v17, v17, v159
	v_add_f32_e32 v17, v17, v161
	s_delay_alu instid0(VALU_DEP_1) | instskip(NEXT) | instid1(VALU_DEP_1)
	v_add_f32_e32 v17, v17, v163
	v_add_f32_e32 v118, v17, v165
	s_delay_alu instid0(VALU_DEP_1)
	v_add_f32_e32 v125, v118, v167
	ds_load_b128 v[118:121], v21 offset:736
	v_add_f32_e32 v132, v125, v169
	s_wait_loadcnt_dscnt 0x101
	v_dual_mul_f32 v133, v5, v2 :: v_dual_mul_f32 v134, v7, v4
	v_dual_add_f32 v13, v13, v152 :: v_dual_mul_f32 v2, v6, v2
	s_delay_alu instid0(VALU_DEP_2) | instskip(NEXT) | instid1(VALU_DEP_2)
	v_dual_mul_f32 v4, v8, v4 :: v_dual_fmac_f32 v133, v6, v1
	v_dual_fmac_f32 v134, v8, v3 :: v_dual_add_f32 v13, v13, v154
	s_delay_alu instid0(VALU_DEP_3) | instskip(NEXT) | instid1(VALU_DEP_3)
	v_fma_f32 v2, v5, v1, -v2
	v_fma_f32 v1, v7, v3, -v4
	s_delay_alu instid0(VALU_DEP_3) | instskip(NEXT) | instid1(VALU_DEP_1)
	v_add_f32_e32 v13, v13, v156
	v_add_f32_e32 v18, v13, v158
	scratch_load_b128 v[13:16], off, off offset:352
	v_add_f32_e32 v132, v132, v171
	v_add_f32_e32 v18, v18, v160
	s_delay_alu instid0(VALU_DEP_2) | instskip(NEXT) | instid1(VALU_DEP_2)
	v_add_f32_e32 v132, v132, v173
	v_add_f32_e32 v18, v18, v162
	s_delay_alu instid0(VALU_DEP_2) | instskip(NEXT) | instid1(VALU_DEP_2)
	v_add_f32_e32 v22, v132, v22
	v_add_f32_e32 v18, v18, v164
	s_delay_alu instid0(VALU_DEP_2) | instskip(NEXT) | instid1(VALU_DEP_2)
	v_add_f32_e32 v22, v22, v126
	v_add_f32_e32 v18, v18, v166
	s_delay_alu instid0(VALU_DEP_1)
	v_add_f32_e32 v124, v18, v168
	ds_load_b128 v[17:20], v21 offset:720
	v_add_f32_e32 v129, v124, v170
	ds_load_b64 v[124:125], v21 offset:752
	s_wait_loadcnt_dscnt 0x101
	v_dual_mul_f32 v3, v18, v10 :: v_dual_mul_f32 v132, v19, v12
	v_mul_f32_e32 v5, v20, v12
	s_delay_alu instid0(VALU_DEP_2) | instskip(NEXT) | instid1(VALU_DEP_3)
	v_fma_f32 v3, v17, v9, -v3
	v_fmac_f32_e32 v132, v20, v11
	s_delay_alu instid0(VALU_DEP_3) | instskip(SKIP_2) | instid1(VALU_DEP_1)
	v_fma_f32 v5, v19, v11, -v5
	s_wait_dscnt 0x0
	v_mul_f32_e32 v126, v124, v123
	v_fmac_f32_e32 v126, v125, v122
	v_add_f32_e32 v4, v22, v133
	s_wait_loadcnt 0x0
	v_mul_f32_e32 v135, v118, v14
	s_delay_alu instid0(VALU_DEP_1) | instskip(SKIP_1) | instid1(VALU_DEP_1)
	v_fmac_f32_e32 v135, v119, v13
	v_add_f32_e32 v129, v129, v172
	v_add_f32_e32 v129, v129, v174
	s_delay_alu instid0(VALU_DEP_1) | instskip(SKIP_1) | instid1(VALU_DEP_2)
	v_add_f32_e32 v127, v129, v127
	v_mul_f32_e32 v129, v17, v10
	v_add_f32_e32 v127, v127, v128
	s_delay_alu instid0(VALU_DEP_2) | instskip(NEXT) | instid1(VALU_DEP_2)
	v_dual_fmac_f32 v129, v18, v9 :: v_dual_mul_f32 v128, v120, v16
	v_add_f32_e32 v2, v127, v2
	s_delay_alu instid0(VALU_DEP_1) | instskip(SKIP_1) | instid1(VALU_DEP_2)
	v_dual_fmac_f32 v128, v121, v15 :: v_dual_add_f32 v1, v2, v1
	v_add_f32_e32 v2, v4, v134
	v_dual_mul_f32 v4, v119, v14 :: v_dual_add_f32 v1, v1, v3
	s_delay_alu instid0(VALU_DEP_2) | instskip(NEXT) | instid1(VALU_DEP_2)
	v_dual_add_f32 v2, v2, v129 :: v_dual_mul_f32 v3, v121, v16
	v_fma_f32 v4, v118, v13, -v4
	s_delay_alu instid0(VALU_DEP_2) | instskip(SKIP_1) | instid1(VALU_DEP_4)
	v_dual_add_f32 v1, v1, v5 :: v_dual_add_f32 v2, v2, v132
	v_mul_f32_e32 v5, v125, v123
	v_fma_f32 v3, v120, v15, -v3
	s_delay_alu instid0(VALU_DEP_3) | instskip(NEXT) | instid1(VALU_DEP_3)
	v_dual_add_f32 v1, v1, v4 :: v_dual_add_f32 v2, v2, v135
	v_fma_f32 v4, v124, v122, -v5
	s_delay_alu instid0(VALU_DEP_2) | instskip(NEXT) | instid1(VALU_DEP_1)
	v_dual_add_f32 v1, v1, v3 :: v_dual_add_f32 v2, v2, v128
	v_dual_add_f32 v1, v1, v4 :: v_dual_add_f32 v2, v2, v126
	s_delay_alu instid0(VALU_DEP_1)
	v_dual_sub_f32 v1, v130, v1 :: v_dual_sub_f32 v2, v131, v2
	scratch_store_b64 off, v[1:2], off offset:40
	v_cmpx_lt_u32_e32 4, v0
	s_cbranch_execz .LBB110_287
; %bb.286:
	scratch_load_b64 v[1:2], off, off offset:32
	v_mov_b32_e32 v22, v21
	scratch_store_b64 off, v[21:22], off offset:32
	s_wait_loadcnt 0x0
	ds_store_b64 v23, v[1:2]
.LBB110_287:
	s_wait_alu 0xfffe
	s_or_b32 exec_lo, exec_lo, s0
	s_wait_storecnt_dscnt 0x0
	s_barrier_signal -1
	s_barrier_wait -1
	global_inv scope:SCOPE_SE
	s_clause 0x4
	scratch_load_b128 v[5:8], off, off offset:40
	scratch_load_b128 v[1:4], off, off offset:56
	;; [unrolled: 1-line block ×5, first 2 shown]
	ds_load_2addr_b64 v[118:121], v21 offset0:53 offset1:54
	ds_load_2addr_b64 v[122:125], v21 offset0:55 offset1:56
	;; [unrolled: 1-line block ×3, first 2 shown]
	scratch_load_b64 v[130:131], off, off offset:32
	s_mov_b32 s0, exec_lo
	s_wait_loadcnt_dscnt 0x502
	v_dual_mul_f32 v22, v119, v6 :: v_dual_mul_f32 v133, v120, v8
	v_mul_f32_e32 v132, v118, v6
	v_mul_f32_e32 v6, v121, v8
	s_wait_loadcnt_dscnt 0x300
	v_mul_f32_e32 v134, v128, v12
	v_fma_f32 v22, v118, v5, -v22
	v_dual_fmac_f32 v133, v121, v7 :: v_dual_fmac_f32 v132, v119, v5
	v_mul_f32_e32 v121, v126, v10
	v_mul_f32_e32 v119, v122, v2
	v_fma_f32 v118, v120, v7, -v6
	ds_load_2addr_b64 v[5:8], v21 offset0:59 offset1:60
	v_mul_f32_e32 v120, v124, v4
	v_dual_mul_f32 v4, v125, v4 :: v_dual_fmac_f32 v121, v127, v9
	v_mul_f32_e32 v10, v127, v10
	v_mul_f32_e32 v12, v129, v12
	;; [unrolled: 1-line block ×3, first 2 shown]
	v_dual_fmac_f32 v119, v123, v1 :: v_dual_fmac_f32 v120, v125, v3
	v_fma_f32 v123, v124, v3, -v4
	v_fma_f32 v124, v126, v9, -v10
	v_fmac_f32_e32 v134, v129, v11
	v_fma_f32 v125, v128, v11, -v12
	ds_load_2addr_b64 v[9:12], v21 offset0:61 offset1:62
	s_wait_loadcnt_dscnt 0x201
	v_dual_mul_f32 v127, v7, v16 :: v_dual_mul_f32 v126, v5, v14
	s_delay_alu instid0(VALU_DEP_1)
	v_dual_mul_f32 v14, v6, v14 :: v_dual_fmac_f32 v127, v8, v15
	v_fma_f32 v122, v122, v1, -v2
	scratch_load_b128 v[1:4], off, off offset:120
	v_mul_f32_e32 v16, v8, v16
	v_fmac_f32_e32 v126, v6, v13
	v_fma_f32 v13, v5, v13, -v14
	s_delay_alu instid0(VALU_DEP_3)
	v_fma_f32 v14, v7, v15, -v16
	s_wait_loadcnt_dscnt 0x200
	v_mul_f32_e32 v15, v9, v18
	v_mul_f32_e32 v16, v10, v18
	;; [unrolled: 1-line block ×4, first 2 shown]
	ds_load_2addr_b64 v[5:8], v21 offset0:63 offset1:64
	v_fmac_f32_e32 v15, v10, v17
	v_fma_f32 v16, v9, v17, -v16
	v_fmac_f32_e32 v18, v12, v19
	v_fma_f32 v17, v11, v19, -v20
	scratch_load_b128 v[9:12], off, off offset:136
	s_wait_loadcnt_dscnt 0x100
	v_mul_f32_e32 v19, v5, v2
	v_mul_f32_e32 v2, v6, v2
	v_mul_f32_e32 v20, v7, v4
	s_delay_alu instid0(VALU_DEP_3) | instskip(NEXT) | instid1(VALU_DEP_3)
	v_dual_mul_f32 v4, v8, v4 :: v_dual_fmac_f32 v19, v6, v1
	v_fma_f32 v128, v5, v1, -v2
	s_delay_alu instid0(VALU_DEP_3) | instskip(NEXT) | instid1(VALU_DEP_3)
	v_fmac_f32_e32 v20, v8, v3
	v_fma_f32 v129, v7, v3, -v4
	ds_load_2addr_b64 v[1:4], v21 offset0:65 offset1:66
	ds_load_2addr_b64 v[5:8], v21 offset0:67 offset1:68
	s_wait_loadcnt_dscnt 0x1
	v_mul_f32_e32 v135, v1, v10
	v_mul_f32_e32 v10, v2, v10
	s_delay_alu instid0(VALU_DEP_2) | instskip(NEXT) | instid1(VALU_DEP_2)
	v_dual_mul_f32 v136, v3, v12 :: v_dual_fmac_f32 v135, v2, v9
	v_fma_f32 v137, v1, v9, -v10
	v_mul_f32_e32 v1, v4, v12
	s_delay_alu instid0(VALU_DEP_3) | instskip(NEXT) | instid1(VALU_DEP_2)
	v_fmac_f32_e32 v136, v4, v11
	v_fma_f32 v138, v3, v11, -v1
	s_clause 0x1
	scratch_load_b128 v[1:4], off, off offset:152
	scratch_load_b128 v[9:12], off, off offset:168
	s_wait_loadcnt_dscnt 0x100
	v_mul_f32_e32 v139, v5, v2
	v_dual_mul_f32 v2, v6, v2 :: v_dual_mul_f32 v141, v7, v4
	s_delay_alu instid0(VALU_DEP_2) | instskip(NEXT) | instid1(VALU_DEP_2)
	v_fmac_f32_e32 v139, v6, v1
	v_fma_f32 v140, v5, v1, -v2
	v_mul_f32_e32 v1, v8, v4
	s_delay_alu instid0(VALU_DEP_4) | instskip(NEXT) | instid1(VALU_DEP_2)
	v_fmac_f32_e32 v141, v8, v3
	v_fma_f32 v142, v7, v3, -v1
	ds_load_2addr_b64 v[1:4], v21 offset0:69 offset1:70
	ds_load_2addr_b64 v[5:8], v21 offset0:71 offset1:72
	s_wait_loadcnt_dscnt 0x1
	v_mul_f32_e32 v143, v1, v10
	v_mul_f32_e32 v145, v3, v12
	s_delay_alu instid0(VALU_DEP_2) | instskip(NEXT) | instid1(VALU_DEP_2)
	v_fmac_f32_e32 v143, v2, v9
	v_dual_mul_f32 v2, v2, v10 :: v_dual_fmac_f32 v145, v4, v11
	s_delay_alu instid0(VALU_DEP_1) | instskip(SKIP_1) | instid1(VALU_DEP_1)
	v_fma_f32 v144, v1, v9, -v2
	v_mul_f32_e32 v1, v4, v12
	v_fma_f32 v146, v3, v11, -v1
	s_clause 0x1
	scratch_load_b128 v[1:4], off, off offset:184
	scratch_load_b128 v[9:12], off, off offset:200
	s_wait_loadcnt_dscnt 0x100
	v_mul_f32_e32 v147, v5, v2
	v_dual_mul_f32 v2, v6, v2 :: v_dual_mul_f32 v149, v7, v4
	s_delay_alu instid0(VALU_DEP_2) | instskip(NEXT) | instid1(VALU_DEP_2)
	v_fmac_f32_e32 v147, v6, v1
	v_fma_f32 v148, v5, v1, -v2
	v_mul_f32_e32 v1, v8, v4
	s_delay_alu instid0(VALU_DEP_4) | instskip(NEXT) | instid1(VALU_DEP_2)
	v_fmac_f32_e32 v149, v8, v3
	v_fma_f32 v150, v7, v3, -v1
	ds_load_2addr_b64 v[1:4], v21 offset0:73 offset1:74
	ds_load_2addr_b64 v[5:8], v21 offset0:75 offset1:76
	s_wait_loadcnt_dscnt 0x1
	v_mul_f32_e32 v151, v1, v10
	v_mul_f32_e32 v153, v3, v12
	s_delay_alu instid0(VALU_DEP_2) | instskip(NEXT) | instid1(VALU_DEP_2)
	v_fmac_f32_e32 v151, v2, v9
	v_dual_mul_f32 v2, v2, v10 :: v_dual_fmac_f32 v153, v4, v11
	s_delay_alu instid0(VALU_DEP_1) | instskip(SKIP_1) | instid1(VALU_DEP_1)
	v_fma_f32 v152, v1, v9, -v2
	v_mul_f32_e32 v1, v4, v12
	;; [unrolled: 25-line block ×4, first 2 shown]
	v_fma_f32 v170, v3, v11, -v1
	s_clause 0x1
	scratch_load_b128 v[1:4], off, off offset:280
	scratch_load_b128 v[9:12], off, off offset:296
	s_wait_loadcnt_dscnt 0x100
	v_mul_f32_e32 v171, v5, v2
	v_mul_f32_e32 v2, v6, v2
	s_delay_alu instid0(VALU_DEP_1) | instskip(SKIP_1) | instid1(VALU_DEP_1)
	v_fma_f32 v172, v5, v1, -v2
	v_add_f32_e32 v2, 0, v132
	v_add_f32_e32 v2, v2, v133
	s_delay_alu instid0(VALU_DEP_1) | instskip(NEXT) | instid1(VALU_DEP_1)
	v_add_f32_e32 v2, v2, v119
	v_add_f32_e32 v2, v2, v120
	s_delay_alu instid0(VALU_DEP_1) | instskip(NEXT) | instid1(VALU_DEP_1)
	v_add_f32_e32 v2, v2, v121
	v_add_f32_e32 v2, v2, v134
	s_delay_alu instid0(VALU_DEP_1) | instskip(NEXT) | instid1(VALU_DEP_1)
	v_add_f32_e32 v2, v2, v126
	v_add_f32_e32 v2, v2, v127
	s_delay_alu instid0(VALU_DEP_1) | instskip(NEXT) | instid1(VALU_DEP_1)
	v_add_f32_e32 v2, v2, v15
	v_add_f32_e32 v2, v2, v18
	s_delay_alu instid0(VALU_DEP_1) | instskip(NEXT) | instid1(VALU_DEP_1)
	v_add_f32_e32 v2, v2, v19
	v_add_f32_e32 v2, v2, v20
	s_delay_alu instid0(VALU_DEP_1) | instskip(NEXT) | instid1(VALU_DEP_1)
	v_add_f32_e32 v2, v2, v135
	v_add_f32_e32 v2, v2, v136
	v_fmac_f32_e32 v171, v6, v1
	s_delay_alu instid0(VALU_DEP_2) | instskip(NEXT) | instid1(VALU_DEP_1)
	v_dual_add_f32 v2, v2, v139 :: v_dual_mul_f32 v173, v7, v4
	v_dual_add_f32 v2, v2, v141 :: v_dual_mul_f32 v1, v8, v4
	s_delay_alu instid0(VALU_DEP_1) | instskip(NEXT) | instid1(VALU_DEP_2)
	v_add_f32_e32 v2, v2, v143
	v_fma_f32 v174, v7, v3, -v1
	v_add_f32_e32 v1, 0, v22
	s_delay_alu instid0(VALU_DEP_3) | instskip(NEXT) | instid1(VALU_DEP_2)
	v_add_f32_e32 v5, v2, v145
	v_add_f32_e32 v1, v1, v118
	s_delay_alu instid0(VALU_DEP_1) | instskip(NEXT) | instid1(VALU_DEP_1)
	v_add_f32_e32 v1, v1, v122
	v_add_f32_e32 v1, v1, v123
	s_delay_alu instid0(VALU_DEP_1) | instskip(NEXT) | instid1(VALU_DEP_1)
	v_add_f32_e32 v1, v1, v124
	v_add_f32_e32 v1, v1, v125
	s_delay_alu instid0(VALU_DEP_1) | instskip(SKIP_1) | instid1(VALU_DEP_2)
	v_add_f32_e32 v1, v1, v13
	v_add_f32_e32 v13, v5, v147
	;; [unrolled: 1-line block ×3, first 2 shown]
	s_delay_alu instid0(VALU_DEP_2) | instskip(NEXT) | instid1(VALU_DEP_2)
	v_add_f32_e32 v13, v13, v149
	v_add_f32_e32 v1, v1, v16
	s_delay_alu instid0(VALU_DEP_1) | instskip(NEXT) | instid1(VALU_DEP_1)
	v_add_f32_e32 v1, v1, v17
	v_add_f32_e32 v1, v1, v128
	s_delay_alu instid0(VALU_DEP_1) | instskip(NEXT) | instid1(VALU_DEP_1)
	;; [unrolled: 3-line block ×5, first 2 shown]
	v_add_f32_e32 v1, v1, v146
	v_dual_add_f32 v6, v1, v148 :: v_dual_fmac_f32 v173, v8, v3
	ds_load_2addr_b64 v[1:4], v21 offset0:85 offset1:86
	v_dual_add_f32 v13, v13, v151 :: v_dual_add_f32 v14, v6, v150
	scratch_load_b128 v[5:8], off, off offset:312
	v_add_f32_e32 v18, v13, v153
	v_add_f32_e32 v14, v14, v152
	s_delay_alu instid0(VALU_DEP_1)
	v_add_f32_e32 v17, v14, v154
	ds_load_2addr_b64 v[13:16], v21 offset0:87 offset1:88
	v_add_f32_e32 v17, v17, v156
	s_wait_loadcnt_dscnt 0x101
	v_mul_f32_e32 v22, v1, v10
	v_mul_f32_e32 v10, v2, v10
	;; [unrolled: 1-line block ×4, first 2 shown]
	v_add_f32_e32 v18, v18, v155
	v_fmac_f32_e32 v22, v2, v9
	v_fma_f32 v123, v1, v9, -v10
	v_fmac_f32_e32 v122, v4, v11
	v_fma_f32 v124, v3, v11, -v12
	scratch_load_b128 v[9:12], off, off offset:344
	v_dual_add_f32 v17, v17, v158 :: v_dual_add_f32 v18, v18, v157
	scratch_load_b128 v[1:4], off, off offset:328
	v_dual_add_f32 v17, v17, v160 :: v_dual_add_f32 v118, v18, v159
	s_delay_alu instid0(VALU_DEP_1) | instskip(SKIP_3) | instid1(VALU_DEP_1)
	v_add_f32_e32 v119, v17, v162
	scratch_load_b128 v[17:20], off, off offset:360
	v_add_f32_e32 v118, v118, v161
	s_wait_loadcnt_dscnt 0x300
	v_dual_add_f32 v118, v118, v163 :: v_dual_mul_f32 v125, v13, v6
	v_mul_f32_e32 v6, v14, v6
	v_mul_f32_e32 v126, v15, v8
	s_delay_alu instid0(VALU_DEP_3) | instskip(NEXT) | instid1(VALU_DEP_3)
	v_dual_mul_f32 v8, v16, v8 :: v_dual_fmac_f32 v125, v14, v5
	v_fma_f32 v127, v13, v5, -v6
	s_delay_alu instid0(VALU_DEP_3) | instskip(NEXT) | instid1(VALU_DEP_3)
	v_fmac_f32_e32 v126, v16, v7
	v_fma_f32 v128, v15, v7, -v8
	ds_load_2addr_b64 v[5:8], v21 offset0:89 offset1:90
	v_add_f32_e32 v119, v119, v164
	v_add_f32_e32 v13, v118, v165
	s_delay_alu instid0(VALU_DEP_2) | instskip(NEXT) | instid1(VALU_DEP_1)
	v_add_f32_e32 v119, v119, v166
	v_dual_add_f32 v118, v119, v168 :: v_dual_add_f32 v119, v13, v167
	ds_load_2addr_b64 v[13:16], v21 offset0:91 offset1:92
	v_dual_add_f32 v129, v118, v170 :: v_dual_add_f32 v132, v119, v169
	ds_load_2addr_b64 v[118:121], v21 offset0:93 offset1:94
	v_add_f32_e32 v21, v129, v172
	s_delay_alu instid0(VALU_DEP_1) | instskip(NEXT) | instid1(VALU_DEP_1)
	v_add_f32_e32 v21, v21, v174
	v_add_f32_e32 v21, v21, v123
	s_wait_loadcnt_dscnt 0x102
	v_mul_f32_e32 v123, v7, v4
	v_mul_f32_e32 v4, v8, v4
	s_wait_dscnt 0x1
	v_mul_f32_e32 v133, v15, v12
	v_add_f32_e32 v21, v21, v124
	v_fmac_f32_e32 v123, v8, v3
	s_wait_loadcnt_dscnt 0x0
	v_mul_f32_e32 v124, v120, v20
	v_fma_f32 v3, v7, v3, -v4
	v_dual_mul_f32 v4, v16, v12 :: v_dual_add_f32 v21, v21, v127
	v_fmac_f32_e32 v133, v16, v11
	s_delay_alu instid0(VALU_DEP_4) | instskip(SKIP_3) | instid1(VALU_DEP_3)
	v_fmac_f32_e32 v124, v121, v19
	v_dual_add_f32 v129, v132, v171 :: v_dual_mul_f32 v132, v5, v2
	v_mul_f32_e32 v2, v6, v2
	v_fma_f32 v4, v15, v11, -v4
	v_add_f32_e32 v129, v129, v173
	s_delay_alu instid0(VALU_DEP_4) | instskip(NEXT) | instid1(VALU_DEP_4)
	v_fmac_f32_e32 v132, v6, v1
	v_fma_f32 v2, v5, v1, -v2
	v_dual_add_f32 v1, v21, v128 :: v_dual_mul_f32 v6, v14, v10
	s_delay_alu instid0(VALU_DEP_4) | instskip(SKIP_1) | instid1(VALU_DEP_3)
	v_add_f32_e32 v22, v129, v22
	v_mul_f32_e32 v129, v13, v10
	v_add_f32_e32 v1, v1, v2
	s_delay_alu instid0(VALU_DEP_3) | instskip(NEXT) | instid1(VALU_DEP_3)
	v_add_f32_e32 v22, v22, v122
	v_fmac_f32_e32 v129, v14, v9
	s_delay_alu instid0(VALU_DEP_3) | instskip(NEXT) | instid1(VALU_DEP_3)
	v_dual_mul_f32 v122, v118, v18 :: v_dual_add_f32 v1, v1, v3
	v_dual_mul_f32 v3, v119, v18 :: v_dual_add_f32 v22, v22, v125
	s_delay_alu instid0(VALU_DEP_2) | instskip(NEXT) | instid1(VALU_DEP_2)
	v_fmac_f32_e32 v122, v119, v17
	v_fma_f32 v3, v118, v17, -v3
	s_delay_alu instid0(VALU_DEP_3) | instskip(NEXT) | instid1(VALU_DEP_1)
	v_add_f32_e32 v5, v22, v126
	v_add_f32_e32 v2, v5, v132
	v_fma_f32 v5, v13, v9, -v6
	s_delay_alu instid0(VALU_DEP_1) | instskip(NEXT) | instid1(VALU_DEP_1)
	v_dual_add_f32 v2, v2, v123 :: v_dual_add_f32 v1, v1, v5
	v_dual_mul_f32 v5, v121, v20 :: v_dual_add_f32 v2, v2, v129
	s_delay_alu instid0(VALU_DEP_2) | instskip(NEXT) | instid1(VALU_DEP_2)
	v_add_f32_e32 v1, v1, v4
	v_fma_f32 v4, v120, v19, -v5
	s_delay_alu instid0(VALU_DEP_2) | instskip(NEXT) | instid1(VALU_DEP_1)
	v_dual_add_f32 v2, v2, v133 :: v_dual_add_f32 v1, v1, v3
	v_dual_add_f32 v2, v2, v122 :: v_dual_add_f32 v1, v1, v4
	s_delay_alu instid0(VALU_DEP_1) | instskip(NEXT) | instid1(VALU_DEP_1)
	v_add_f32_e32 v2, v2, v124
	v_dual_sub_f32 v1, v130, v1 :: v_dual_sub_f32 v2, v131, v2
	scratch_store_b64 off, v[1:2], off offset:32
	v_cmpx_lt_u32_e32 3, v0
	s_cbranch_execz .LBB110_289
; %bb.288:
	scratch_load_b64 v[1:2], off, off offset:24
	v_mov_b32_e32 v3, 0
	s_delay_alu instid0(VALU_DEP_1)
	v_mov_b32_e32 v4, v3
	scratch_store_b64 off, v[3:4], off offset:24
	s_wait_loadcnt 0x0
	ds_store_b64 v23, v[1:2]
.LBB110_289:
	s_wait_alu 0xfffe
	s_or_b32 exec_lo, exec_lo, s0
	s_wait_storecnt_dscnt 0x0
	s_barrier_signal -1
	s_barrier_wait -1
	global_inv scope:SCOPE_SE
	s_clause 0x4
	scratch_load_b128 v[5:8], off, off offset:32
	scratch_load_b128 v[1:4], off, off offset:48
	;; [unrolled: 1-line block ×5, first 2 shown]
	v_mov_b32_e32 v21, 0
	ds_load_b128 v[118:121], v21 offset:416
	ds_load_b128 v[122:125], v21 offset:432
	;; [unrolled: 1-line block ×3, first 2 shown]
	scratch_load_b64 v[130:131], off, off offset:24
	s_mov_b32 s0, exec_lo
	s_wait_loadcnt_dscnt 0x502
	v_mul_f32_e32 v22, v119, v6
	v_dual_mul_f32 v132, v118, v6 :: v_dual_mul_f32 v133, v120, v8
	v_mul_f32_e32 v6, v121, v8
	s_delay_alu instid0(VALU_DEP_3) | instskip(NEXT) | instid1(VALU_DEP_3)
	v_fma_f32 v22, v118, v5, -v22
	v_dual_fmac_f32 v132, v119, v5 :: v_dual_fmac_f32 v133, v121, v7
	s_wait_loadcnt_dscnt 0x401
	v_mul_f32_e32 v119, v122, v2
	v_fma_f32 v118, v120, v7, -v6
	ds_load_b128 v[5:8], v21 offset:464
	s_wait_loadcnt_dscnt 0x301
	v_dual_mul_f32 v120, v124, v4 :: v_dual_mul_f32 v121, v126, v10
	v_dual_mul_f32 v4, v125, v4 :: v_dual_fmac_f32 v119, v123, v1
	v_mul_f32_e32 v10, v127, v10
	s_delay_alu instid0(VALU_DEP_3)
	v_dual_mul_f32 v134, v128, v12 :: v_dual_fmac_f32 v121, v127, v9
	v_mul_f32_e32 v12, v129, v12
	v_mul_f32_e32 v2, v123, v2
	v_fmac_f32_e32 v120, v125, v3
	v_fma_f32 v123, v124, v3, -v4
	v_fma_f32 v124, v126, v9, -v10
	v_fmac_f32_e32 v134, v129, v11
	v_fma_f32 v125, v128, v11, -v12
	ds_load_b128 v[9:12], v21 offset:480
	s_wait_loadcnt_dscnt 0x201
	v_dual_mul_f32 v127, v7, v16 :: v_dual_mul_f32 v126, v5, v14
	v_mul_f32_e32 v14, v6, v14
	v_mul_f32_e32 v16, v8, v16
	s_delay_alu instid0(VALU_DEP_3)
	v_fmac_f32_e32 v127, v8, v15
	v_fma_f32 v122, v122, v1, -v2
	scratch_load_b128 v[1:4], off, off offset:112
	v_fmac_f32_e32 v126, v6, v13
	v_fma_f32 v13, v5, v13, -v14
	v_fma_f32 v14, v7, v15, -v16
	ds_load_b128 v[5:8], v21 offset:496
	s_wait_loadcnt_dscnt 0x201
	v_mul_f32_e32 v15, v9, v18
	v_mul_f32_e32 v16, v10, v18
	;; [unrolled: 1-line block ×3, first 2 shown]
	s_delay_alu instid0(VALU_DEP_3) | instskip(NEXT) | instid1(VALU_DEP_3)
	v_dual_mul_f32 v20, v12, v20 :: v_dual_fmac_f32 v15, v10, v17
	v_fma_f32 v16, v9, v17, -v16
	s_delay_alu instid0(VALU_DEP_3) | instskip(NEXT) | instid1(VALU_DEP_3)
	v_fmac_f32_e32 v18, v12, v19
	v_fma_f32 v17, v11, v19, -v20
	scratch_load_b128 v[9:12], off, off offset:128
	s_wait_loadcnt_dscnt 0x100
	v_mul_f32_e32 v19, v5, v2
	v_mul_f32_e32 v2, v6, v2
	;; [unrolled: 1-line block ×3, first 2 shown]
	s_delay_alu instid0(VALU_DEP_3) | instskip(NEXT) | instid1(VALU_DEP_3)
	v_dual_mul_f32 v4, v8, v4 :: v_dual_fmac_f32 v19, v6, v1
	v_fma_f32 v128, v5, v1, -v2
	s_delay_alu instid0(VALU_DEP_3) | instskip(NEXT) | instid1(VALU_DEP_3)
	v_fmac_f32_e32 v20, v8, v3
	v_fma_f32 v129, v7, v3, -v4
	ds_load_b128 v[1:4], v21 offset:512
	ds_load_b128 v[5:8], v21 offset:528
	s_wait_loadcnt_dscnt 0x1
	v_mul_f32_e32 v135, v1, v10
	v_mul_f32_e32 v10, v2, v10
	s_delay_alu instid0(VALU_DEP_2) | instskip(NEXT) | instid1(VALU_DEP_2)
	v_dual_mul_f32 v136, v3, v12 :: v_dual_fmac_f32 v135, v2, v9
	v_fma_f32 v137, v1, v9, -v10
	v_mul_f32_e32 v1, v4, v12
	s_delay_alu instid0(VALU_DEP_3) | instskip(NEXT) | instid1(VALU_DEP_2)
	v_fmac_f32_e32 v136, v4, v11
	v_fma_f32 v138, v3, v11, -v1
	s_clause 0x1
	scratch_load_b128 v[1:4], off, off offset:144
	scratch_load_b128 v[9:12], off, off offset:160
	s_wait_loadcnt_dscnt 0x100
	v_mul_f32_e32 v139, v5, v2
	v_dual_mul_f32 v2, v6, v2 :: v_dual_mul_f32 v141, v7, v4
	s_delay_alu instid0(VALU_DEP_2) | instskip(NEXT) | instid1(VALU_DEP_2)
	v_fmac_f32_e32 v139, v6, v1
	v_fma_f32 v140, v5, v1, -v2
	v_mul_f32_e32 v1, v8, v4
	s_delay_alu instid0(VALU_DEP_4) | instskip(NEXT) | instid1(VALU_DEP_2)
	v_fmac_f32_e32 v141, v8, v3
	v_fma_f32 v142, v7, v3, -v1
	ds_load_b128 v[1:4], v21 offset:544
	ds_load_b128 v[5:8], v21 offset:560
	s_wait_loadcnt_dscnt 0x1
	v_mul_f32_e32 v143, v1, v10
	v_mul_f32_e32 v145, v3, v12
	s_delay_alu instid0(VALU_DEP_2) | instskip(NEXT) | instid1(VALU_DEP_2)
	v_fmac_f32_e32 v143, v2, v9
	v_dual_mul_f32 v2, v2, v10 :: v_dual_fmac_f32 v145, v4, v11
	s_delay_alu instid0(VALU_DEP_1) | instskip(SKIP_1) | instid1(VALU_DEP_1)
	v_fma_f32 v144, v1, v9, -v2
	v_mul_f32_e32 v1, v4, v12
	v_fma_f32 v146, v3, v11, -v1
	s_clause 0x1
	scratch_load_b128 v[1:4], off, off offset:176
	scratch_load_b128 v[9:12], off, off offset:192
	s_wait_loadcnt_dscnt 0x100
	v_mul_f32_e32 v147, v5, v2
	v_dual_mul_f32 v149, v7, v4 :: v_dual_mul_f32 v2, v6, v2
	s_delay_alu instid0(VALU_DEP_2) | instskip(NEXT) | instid1(VALU_DEP_2)
	v_fmac_f32_e32 v147, v6, v1
	v_fmac_f32_e32 v149, v8, v3
	s_delay_alu instid0(VALU_DEP_3) | instskip(SKIP_1) | instid1(VALU_DEP_1)
	v_fma_f32 v148, v5, v1, -v2
	v_mul_f32_e32 v1, v8, v4
	v_fma_f32 v150, v7, v3, -v1
	ds_load_b128 v[1:4], v21 offset:576
	ds_load_b128 v[5:8], v21 offset:592
	s_wait_loadcnt_dscnt 0x1
	v_mul_f32_e32 v151, v1, v10
	v_mul_f32_e32 v153, v3, v12
	s_delay_alu instid0(VALU_DEP_2) | instskip(NEXT) | instid1(VALU_DEP_2)
	v_fmac_f32_e32 v151, v2, v9
	v_dual_mul_f32 v2, v2, v10 :: v_dual_fmac_f32 v153, v4, v11
	s_delay_alu instid0(VALU_DEP_1) | instskip(SKIP_1) | instid1(VALU_DEP_1)
	v_fma_f32 v152, v1, v9, -v2
	v_mul_f32_e32 v1, v4, v12
	v_fma_f32 v154, v3, v11, -v1
	s_clause 0x1
	scratch_load_b128 v[1:4], off, off offset:208
	scratch_load_b128 v[9:12], off, off offset:224
	s_wait_loadcnt_dscnt 0x100
	v_mul_f32_e32 v155, v5, v2
	v_dual_mul_f32 v2, v6, v2 :: v_dual_mul_f32 v157, v7, v4
	s_delay_alu instid0(VALU_DEP_2) | instskip(NEXT) | instid1(VALU_DEP_2)
	v_fmac_f32_e32 v155, v6, v1
	v_fma_f32 v156, v5, v1, -v2
	v_mul_f32_e32 v1, v8, v4
	s_delay_alu instid0(VALU_DEP_4) | instskip(NEXT) | instid1(VALU_DEP_2)
	v_fmac_f32_e32 v157, v8, v3
	v_fma_f32 v158, v7, v3, -v1
	ds_load_b128 v[1:4], v21 offset:608
	ds_load_b128 v[5:8], v21 offset:624
	s_wait_loadcnt_dscnt 0x1
	v_mul_f32_e32 v159, v1, v10
	v_mul_f32_e32 v161, v3, v12
	s_delay_alu instid0(VALU_DEP_2) | instskip(NEXT) | instid1(VALU_DEP_2)
	v_fmac_f32_e32 v159, v2, v9
	v_dual_mul_f32 v2, v2, v10 :: v_dual_fmac_f32 v161, v4, v11
	s_delay_alu instid0(VALU_DEP_1) | instskip(SKIP_1) | instid1(VALU_DEP_1)
	v_fma_f32 v160, v1, v9, -v2
	v_mul_f32_e32 v1, v4, v12
	v_fma_f32 v162, v3, v11, -v1
	s_clause 0x1
	scratch_load_b128 v[1:4], off, off offset:240
	scratch_load_b128 v[9:12], off, off offset:256
	s_wait_loadcnt_dscnt 0x100
	v_mul_f32_e32 v163, v5, v2
	v_dual_mul_f32 v2, v6, v2 :: v_dual_mul_f32 v165, v7, v4
	s_delay_alu instid0(VALU_DEP_2) | instskip(NEXT) | instid1(VALU_DEP_2)
	v_fmac_f32_e32 v163, v6, v1
	v_fma_f32 v164, v5, v1, -v2
	v_mul_f32_e32 v1, v8, v4
	s_delay_alu instid0(VALU_DEP_4) | instskip(NEXT) | instid1(VALU_DEP_2)
	v_fmac_f32_e32 v165, v8, v3
	v_fma_f32 v166, v7, v3, -v1
	ds_load_b128 v[1:4], v21 offset:640
	ds_load_b128 v[5:8], v21 offset:656
	s_wait_loadcnt_dscnt 0x1
	v_mul_f32_e32 v167, v1, v10
	v_mul_f32_e32 v169, v3, v12
	s_delay_alu instid0(VALU_DEP_2) | instskip(NEXT) | instid1(VALU_DEP_2)
	v_fmac_f32_e32 v167, v2, v9
	v_dual_mul_f32 v2, v2, v10 :: v_dual_fmac_f32 v169, v4, v11
	s_delay_alu instid0(VALU_DEP_1) | instskip(SKIP_1) | instid1(VALU_DEP_1)
	v_fma_f32 v168, v1, v9, -v2
	v_mul_f32_e32 v1, v4, v12
	v_fma_f32 v170, v3, v11, -v1
	s_clause 0x1
	scratch_load_b128 v[1:4], off, off offset:272
	scratch_load_b128 v[9:12], off, off offset:288
	s_wait_loadcnt_dscnt 0x100
	v_mul_f32_e32 v171, v5, v2
	v_mul_f32_e32 v2, v6, v2
	s_delay_alu instid0(VALU_DEP_1) | instskip(SKIP_1) | instid1(VALU_DEP_1)
	v_fma_f32 v172, v5, v1, -v2
	v_add_f32_e32 v2, 0, v132
	v_add_f32_e32 v2, v2, v133
	s_delay_alu instid0(VALU_DEP_1) | instskip(NEXT) | instid1(VALU_DEP_1)
	v_add_f32_e32 v2, v2, v119
	v_add_f32_e32 v2, v2, v120
	s_delay_alu instid0(VALU_DEP_1) | instskip(NEXT) | instid1(VALU_DEP_1)
	;; [unrolled: 3-line block ×7, first 2 shown]
	v_add_f32_e32 v2, v2, v139
	v_add_f32_e32 v2, v2, v141
	v_fmac_f32_e32 v171, v6, v1
	v_mul_f32_e32 v1, v8, v4
	s_delay_alu instid0(VALU_DEP_3) | instskip(NEXT) | instid1(VALU_DEP_2)
	v_dual_mul_f32 v173, v7, v4 :: v_dual_add_f32 v2, v2, v143
	v_fma_f32 v174, v7, v3, -v1
	v_add_f32_e32 v1, 0, v22
	s_delay_alu instid0(VALU_DEP_3) | instskip(NEXT) | instid1(VALU_DEP_2)
	v_add_f32_e32 v5, v2, v145
	v_add_f32_e32 v1, v1, v118
	s_delay_alu instid0(VALU_DEP_1) | instskip(NEXT) | instid1(VALU_DEP_1)
	v_add_f32_e32 v1, v1, v122
	v_add_f32_e32 v1, v1, v123
	scratch_load_b64 v[122:123], off, off offset:368
	v_add_f32_e32 v1, v1, v124
	s_delay_alu instid0(VALU_DEP_1) | instskip(NEXT) | instid1(VALU_DEP_1)
	v_add_f32_e32 v1, v1, v125
	v_add_f32_e32 v1, v1, v13
	;; [unrolled: 1-line block ×3, first 2 shown]
	s_delay_alu instid0(VALU_DEP_2) | instskip(NEXT) | instid1(VALU_DEP_2)
	v_add_f32_e32 v1, v1, v14
	v_add_f32_e32 v13, v13, v149
	s_delay_alu instid0(VALU_DEP_2) | instskip(NEXT) | instid1(VALU_DEP_1)
	v_add_f32_e32 v1, v1, v16
	v_add_f32_e32 v1, v1, v17
	s_delay_alu instid0(VALU_DEP_1) | instskip(NEXT) | instid1(VALU_DEP_1)
	v_add_f32_e32 v1, v1, v128
	v_add_f32_e32 v1, v1, v129
	s_delay_alu instid0(VALU_DEP_1) | instskip(NEXT) | instid1(VALU_DEP_1)
	;; [unrolled: 3-line block ×4, first 2 shown]
	v_add_f32_e32 v1, v1, v144
	v_add_f32_e32 v1, v1, v146
	s_delay_alu instid0(VALU_DEP_1)
	v_dual_add_f32 v6, v1, v148 :: v_dual_fmac_f32 v173, v8, v3
	scratch_load_b128 v[1:4], off, off offset:304
	v_dual_add_f32 v13, v13, v151 :: v_dual_add_f32 v14, v6, v150
	ds_load_b128 v[5:8], v21 offset:672
	v_add_f32_e32 v18, v13, v153
	v_add_f32_e32 v14, v14, v152
	s_delay_alu instid0(VALU_DEP_1)
	v_add_f32_e32 v17, v14, v154
	ds_load_b128 v[13:16], v21 offset:688
	s_wait_loadcnt_dscnt 0x201
	v_mul_f32_e32 v22, v5, v10
	v_add_f32_e32 v18, v18, v155
	v_mul_f32_e32 v10, v6, v10
	v_mul_f32_e32 v126, v7, v12
	;; [unrolled: 1-line block ×3, first 2 shown]
	v_fmac_f32_e32 v22, v6, v9
	v_add_f32_e32 v18, v18, v157
	v_fma_f32 v127, v5, v9, -v10
	v_fmac_f32_e32 v126, v8, v11
	v_fma_f32 v128, v7, v11, -v12
	scratch_load_b128 v[9:12], off, off offset:336
	v_add_f32_e32 v118, v18, v159
	scratch_load_b128 v[5:8], off, off offset:320
	v_add_f32_e32 v118, v118, v161
	s_delay_alu instid0(VALU_DEP_1) | instskip(SKIP_1) | instid1(VALU_DEP_1)
	v_add_f32_e32 v118, v118, v163
	s_wait_loadcnt_dscnt 0x200
	v_dual_add_f32 v118, v118, v165 :: v_dual_mul_f32 v129, v13, v2
	v_mul_f32_e32 v2, v14, v2
	v_mul_f32_e32 v132, v15, v4
	s_delay_alu instid0(VALU_DEP_3) | instskip(NEXT) | instid1(VALU_DEP_3)
	v_dual_mul_f32 v4, v16, v4 :: v_dual_fmac_f32 v129, v14, v1
	v_fma_f32 v133, v13, v1, -v2
	v_add_f32_e32 v13, v118, v167
	s_delay_alu instid0(VALU_DEP_4) | instskip(NEXT) | instid1(VALU_DEP_4)
	v_fmac_f32_e32 v132, v16, v3
	v_fma_f32 v134, v15, v3, -v4
	ds_load_b128 v[1:4], v21 offset:704
	v_add_f32_e32 v118, v13, v169
	v_add_f32_e32 v17, v17, v156
	s_delay_alu instid0(VALU_DEP_2) | instskip(NEXT) | instid1(VALU_DEP_1)
	v_add_f32_e32 v125, v118, v171
	v_add_f32_e32 v136, v125, v173
	s_delay_alu instid0(VALU_DEP_1) | instskip(NEXT) | instid1(VALU_DEP_1)
	v_add_f32_e32 v22, v136, v22
	v_add_f32_e32 v22, v22, v126
	s_delay_alu instid0(VALU_DEP_1) | instskip(NEXT) | instid1(VALU_DEP_1)
	v_dual_add_f32 v22, v22, v129 :: v_dual_add_f32 v17, v17, v158
	v_add_f32_e32 v22, v22, v132
	s_delay_alu instid0(VALU_DEP_2) | instskip(NEXT) | instid1(VALU_DEP_1)
	v_add_f32_e32 v17, v17, v160
	v_add_f32_e32 v119, v17, v162
	scratch_load_b128 v[17:20], off, off offset:352
	v_add_f32_e32 v119, v119, v164
	s_delay_alu instid0(VALU_DEP_1) | instskip(NEXT) | instid1(VALU_DEP_1)
	v_add_f32_e32 v119, v119, v166
	v_add_f32_e32 v119, v119, v168
	s_delay_alu instid0(VALU_DEP_1)
	v_add_f32_e32 v14, v119, v170
	ds_load_b128 v[118:121], v21 offset:736
	v_add_f32_e32 v124, v14, v172
	ds_load_b128 v[13:16], v21 offset:720
	s_wait_loadcnt_dscnt 0x102
	v_mul_f32_e32 v126, v3, v8
	v_mul_f32_e32 v8, v4, v8
	s_wait_dscnt 0x0
	s_delay_alu instid0(VALU_DEP_2) | instskip(NEXT) | instid1(VALU_DEP_1)
	v_dual_fmac_f32 v126, v4, v7 :: v_dual_mul_f32 v129, v15, v12
	v_fmac_f32_e32 v129, v16, v11
	v_add_f32_e32 v135, v124, v174
	ds_load_b64 v[124:125], v21 offset:752
	s_wait_dscnt 0x0
	v_mul_f32_e32 v132, v124, v123
	s_delay_alu instid0(VALU_DEP_1) | instskip(NEXT) | instid1(VALU_DEP_1)
	v_dual_add_f32 v127, v135, v127 :: v_dual_fmac_f32 v132, v125, v122
	v_add_f32_e32 v127, v127, v128
	v_mul_f32_e32 v135, v1, v6
	v_mul_f32_e32 v6, v2, v6
	s_delay_alu instid0(VALU_DEP_3) | instskip(NEXT) | instid1(VALU_DEP_3)
	v_dual_mul_f32 v128, v13, v10 :: v_dual_add_f32 v127, v127, v133
	v_fmac_f32_e32 v135, v2, v5
	s_delay_alu instid0(VALU_DEP_3) | instskip(SKIP_2) | instid1(VALU_DEP_4)
	v_fma_f32 v1, v1, v5, -v6
	v_fma_f32 v2, v3, v7, -v8
	v_mul_f32_e32 v3, v14, v10
	v_dual_add_f32 v127, v127, v134 :: v_dual_add_f32 v4, v22, v135
	v_dual_mul_f32 v5, v16, v12 :: v_dual_fmac_f32 v128, v14, v9
	s_delay_alu instid0(VALU_DEP_3) | instskip(NEXT) | instid1(VALU_DEP_3)
	v_fma_f32 v3, v13, v9, -v3
	v_add_f32_e32 v1, v127, v1
	s_delay_alu instid0(VALU_DEP_3) | instskip(NEXT) | instid1(VALU_DEP_2)
	v_fma_f32 v5, v15, v11, -v5
	v_add_f32_e32 v1, v1, v2
	s_delay_alu instid0(VALU_DEP_1) | instskip(NEXT) | instid1(VALU_DEP_1)
	v_dual_add_f32 v2, v4, v126 :: v_dual_add_f32 v1, v1, v3
	v_dual_add_f32 v2, v2, v128 :: v_dual_add_f32 v1, v1, v5
	s_delay_alu instid0(VALU_DEP_1)
	v_dual_add_f32 v2, v2, v129 :: v_dual_mul_f32 v5, v125, v123
	s_wait_loadcnt 0x0
	v_mul_f32_e32 v133, v118, v18
	v_mul_f32_e32 v4, v119, v18
	;; [unrolled: 1-line block ×4, first 2 shown]
	s_delay_alu instid0(VALU_DEP_4) | instskip(NEXT) | instid1(VALU_DEP_4)
	v_fmac_f32_e32 v133, v119, v17
	v_fma_f32 v4, v118, v17, -v4
	s_delay_alu instid0(VALU_DEP_4) | instskip(NEXT) | instid1(VALU_DEP_4)
	v_fmac_f32_e32 v134, v121, v19
	v_fma_f32 v3, v120, v19, -v3
	s_delay_alu instid0(VALU_DEP_3) | instskip(SKIP_1) | instid1(VALU_DEP_2)
	v_dual_add_f32 v2, v2, v133 :: v_dual_add_f32 v1, v1, v4
	v_fma_f32 v4, v124, v122, -v5
	v_dual_add_f32 v2, v2, v134 :: v_dual_add_f32 v1, v1, v3
	s_delay_alu instid0(VALU_DEP_1) | instskip(NEXT) | instid1(VALU_DEP_1)
	v_add_f32_e32 v2, v2, v132
	v_dual_add_f32 v1, v1, v4 :: v_dual_sub_f32 v2, v131, v2
	s_delay_alu instid0(VALU_DEP_1)
	v_sub_f32_e32 v1, v130, v1
	scratch_store_b64 off, v[1:2], off offset:24
	v_cmpx_lt_u32_e32 2, v0
	s_cbranch_execz .LBB110_291
; %bb.290:
	scratch_load_b64 v[1:2], off, off offset:16
	v_mov_b32_e32 v22, v21
	scratch_store_b64 off, v[21:22], off offset:16
	s_wait_loadcnt 0x0
	ds_store_b64 v23, v[1:2]
.LBB110_291:
	s_wait_alu 0xfffe
	s_or_b32 exec_lo, exec_lo, s0
	s_wait_storecnt_dscnt 0x0
	s_barrier_signal -1
	s_barrier_wait -1
	global_inv scope:SCOPE_SE
	s_clause 0x4
	scratch_load_b128 v[5:8], off, off offset:24
	scratch_load_b128 v[1:4], off, off offset:40
	;; [unrolled: 1-line block ×5, first 2 shown]
	ds_load_2addr_b64 v[118:121], v21 offset0:51 offset1:52
	ds_load_2addr_b64 v[122:125], v21 offset0:53 offset1:54
	;; [unrolled: 1-line block ×3, first 2 shown]
	scratch_load_b64 v[130:131], off, off offset:16
	s_mov_b32 s0, exec_lo
	s_wait_loadcnt_dscnt 0x502
	v_dual_mul_f32 v22, v119, v6 :: v_dual_mul_f32 v133, v120, v8
	v_mul_f32_e32 v132, v118, v6
	v_mul_f32_e32 v6, v121, v8
	s_wait_loadcnt_dscnt 0x300
	v_mul_f32_e32 v134, v128, v12
	v_fma_f32 v22, v118, v5, -v22
	v_dual_fmac_f32 v133, v121, v7 :: v_dual_fmac_f32 v132, v119, v5
	v_mul_f32_e32 v121, v126, v10
	v_mul_f32_e32 v119, v122, v2
	v_fma_f32 v118, v120, v7, -v6
	ds_load_2addr_b64 v[5:8], v21 offset0:57 offset1:58
	v_mul_f32_e32 v120, v124, v4
	v_dual_mul_f32 v4, v125, v4 :: v_dual_fmac_f32 v121, v127, v9
	v_mul_f32_e32 v10, v127, v10
	v_mul_f32_e32 v12, v129, v12
	;; [unrolled: 1-line block ×3, first 2 shown]
	v_dual_fmac_f32 v119, v123, v1 :: v_dual_fmac_f32 v120, v125, v3
	v_fma_f32 v123, v124, v3, -v4
	v_fma_f32 v124, v126, v9, -v10
	v_fmac_f32_e32 v134, v129, v11
	v_fma_f32 v125, v128, v11, -v12
	ds_load_2addr_b64 v[9:12], v21 offset0:59 offset1:60
	s_wait_loadcnt_dscnt 0x201
	v_dual_mul_f32 v127, v7, v16 :: v_dual_mul_f32 v126, v5, v14
	s_delay_alu instid0(VALU_DEP_1)
	v_dual_mul_f32 v14, v6, v14 :: v_dual_fmac_f32 v127, v8, v15
	v_fma_f32 v122, v122, v1, -v2
	scratch_load_b128 v[1:4], off, off offset:104
	v_mul_f32_e32 v16, v8, v16
	v_fmac_f32_e32 v126, v6, v13
	v_fma_f32 v13, v5, v13, -v14
	s_delay_alu instid0(VALU_DEP_3)
	v_fma_f32 v14, v7, v15, -v16
	s_wait_loadcnt_dscnt 0x200
	v_mul_f32_e32 v15, v9, v18
	v_mul_f32_e32 v16, v10, v18
	;; [unrolled: 1-line block ×4, first 2 shown]
	ds_load_2addr_b64 v[5:8], v21 offset0:61 offset1:62
	v_fmac_f32_e32 v15, v10, v17
	v_fma_f32 v16, v9, v17, -v16
	v_fmac_f32_e32 v18, v12, v19
	v_fma_f32 v17, v11, v19, -v20
	scratch_load_b128 v[9:12], off, off offset:120
	s_wait_loadcnt_dscnt 0x100
	v_mul_f32_e32 v19, v5, v2
	v_mul_f32_e32 v2, v6, v2
	;; [unrolled: 1-line block ×3, first 2 shown]
	s_delay_alu instid0(VALU_DEP_3) | instskip(NEXT) | instid1(VALU_DEP_3)
	v_dual_mul_f32 v4, v8, v4 :: v_dual_fmac_f32 v19, v6, v1
	v_fma_f32 v128, v5, v1, -v2
	s_delay_alu instid0(VALU_DEP_3) | instskip(NEXT) | instid1(VALU_DEP_3)
	v_fmac_f32_e32 v20, v8, v3
	v_fma_f32 v129, v7, v3, -v4
	ds_load_2addr_b64 v[1:4], v21 offset0:63 offset1:64
	ds_load_2addr_b64 v[5:8], v21 offset0:65 offset1:66
	s_wait_loadcnt_dscnt 0x1
	v_mul_f32_e32 v135, v1, v10
	v_mul_f32_e32 v10, v2, v10
	s_delay_alu instid0(VALU_DEP_2) | instskip(NEXT) | instid1(VALU_DEP_2)
	v_dual_mul_f32 v136, v3, v12 :: v_dual_fmac_f32 v135, v2, v9
	v_fma_f32 v137, v1, v9, -v10
	v_mul_f32_e32 v1, v4, v12
	s_delay_alu instid0(VALU_DEP_3) | instskip(NEXT) | instid1(VALU_DEP_2)
	v_fmac_f32_e32 v136, v4, v11
	v_fma_f32 v138, v3, v11, -v1
	s_clause 0x1
	scratch_load_b128 v[1:4], off, off offset:136
	scratch_load_b128 v[9:12], off, off offset:152
	s_wait_loadcnt_dscnt 0x100
	v_mul_f32_e32 v139, v5, v2
	v_dual_mul_f32 v2, v6, v2 :: v_dual_mul_f32 v141, v7, v4
	s_delay_alu instid0(VALU_DEP_2) | instskip(NEXT) | instid1(VALU_DEP_2)
	v_fmac_f32_e32 v139, v6, v1
	v_fma_f32 v140, v5, v1, -v2
	v_mul_f32_e32 v1, v8, v4
	s_delay_alu instid0(VALU_DEP_4) | instskip(NEXT) | instid1(VALU_DEP_2)
	v_fmac_f32_e32 v141, v8, v3
	v_fma_f32 v142, v7, v3, -v1
	ds_load_2addr_b64 v[1:4], v21 offset0:67 offset1:68
	ds_load_2addr_b64 v[5:8], v21 offset0:69 offset1:70
	s_wait_loadcnt_dscnt 0x1
	v_mul_f32_e32 v143, v1, v10
	v_mul_f32_e32 v145, v3, v12
	s_delay_alu instid0(VALU_DEP_2) | instskip(NEXT) | instid1(VALU_DEP_2)
	v_fmac_f32_e32 v143, v2, v9
	v_dual_mul_f32 v2, v2, v10 :: v_dual_fmac_f32 v145, v4, v11
	s_delay_alu instid0(VALU_DEP_1) | instskip(SKIP_1) | instid1(VALU_DEP_1)
	v_fma_f32 v144, v1, v9, -v2
	v_mul_f32_e32 v1, v4, v12
	v_fma_f32 v146, v3, v11, -v1
	s_clause 0x1
	scratch_load_b128 v[1:4], off, off offset:168
	scratch_load_b128 v[9:12], off, off offset:184
	s_wait_loadcnt_dscnt 0x100
	v_mul_f32_e32 v147, v5, v2
	v_dual_mul_f32 v2, v6, v2 :: v_dual_mul_f32 v149, v7, v4
	s_delay_alu instid0(VALU_DEP_2) | instskip(NEXT) | instid1(VALU_DEP_2)
	v_fmac_f32_e32 v147, v6, v1
	v_fma_f32 v148, v5, v1, -v2
	v_mul_f32_e32 v1, v8, v4
	s_delay_alu instid0(VALU_DEP_4) | instskip(NEXT) | instid1(VALU_DEP_2)
	v_fmac_f32_e32 v149, v8, v3
	v_fma_f32 v150, v7, v3, -v1
	ds_load_2addr_b64 v[1:4], v21 offset0:71 offset1:72
	ds_load_2addr_b64 v[5:8], v21 offset0:73 offset1:74
	s_wait_loadcnt_dscnt 0x1
	v_mul_f32_e32 v151, v1, v10
	v_mul_f32_e32 v153, v3, v12
	s_delay_alu instid0(VALU_DEP_2) | instskip(NEXT) | instid1(VALU_DEP_2)
	v_fmac_f32_e32 v151, v2, v9
	v_dual_mul_f32 v2, v2, v10 :: v_dual_fmac_f32 v153, v4, v11
	s_delay_alu instid0(VALU_DEP_1) | instskip(SKIP_1) | instid1(VALU_DEP_1)
	v_fma_f32 v152, v1, v9, -v2
	v_mul_f32_e32 v1, v4, v12
	;; [unrolled: 25-line block ×5, first 2 shown]
	v_fma_f32 v178, v3, v11, -v1
	s_clause 0x1
	scratch_load_b128 v[1:4], off, off offset:296
	scratch_load_b128 v[9:12], off, off offset:312
	s_wait_loadcnt_dscnt 0x100
	v_mul_f32_e32 v179, v5, v2
	v_mul_f32_e32 v2, v6, v2
	s_delay_alu instid0(VALU_DEP_2) | instskip(NEXT) | instid1(VALU_DEP_2)
	v_fmac_f32_e32 v179, v6, v1
	v_fma_f32 v180, v5, v1, -v2
	v_add_f32_e32 v2, 0, v132
	s_delay_alu instid0(VALU_DEP_1) | instskip(NEXT) | instid1(VALU_DEP_1)
	v_dual_mul_f32 v1, v8, v4 :: v_dual_add_f32 v2, v2, v133
	v_fma_f32 v182, v7, v3, -v1
	s_delay_alu instid0(VALU_DEP_2) | instskip(NEXT) | instid1(VALU_DEP_1)
	v_dual_add_f32 v1, 0, v22 :: v_dual_add_f32 v2, v2, v119
	v_dual_add_f32 v1, v1, v118 :: v_dual_add_f32 v2, v2, v120
	s_delay_alu instid0(VALU_DEP_1) | instskip(NEXT) | instid1(VALU_DEP_1)
	v_dual_add_f32 v1, v1, v122 :: v_dual_add_f32 v2, v2, v121
	v_dual_add_f32 v1, v1, v123 :: v_dual_add_f32 v2, v2, v134
	s_delay_alu instid0(VALU_DEP_1) | instskip(NEXT) | instid1(VALU_DEP_1)
	v_add_f32_e32 v2, v2, v126
	v_add_f32_e32 v2, v2, v127
	s_delay_alu instid0(VALU_DEP_1) | instskip(NEXT) | instid1(VALU_DEP_1)
	v_add_f32_e32 v2, v2, v15
	v_add_f32_e32 v2, v2, v18
	;; [unrolled: 3-line block ×4, first 2 shown]
	s_delay_alu instid0(VALU_DEP_1) | instskip(NEXT) | instid1(VALU_DEP_1)
	v_dual_add_f32 v1, v1, v124 :: v_dual_add_f32 v2, v2, v139
	v_add_f32_e32 v1, v1, v125
	s_delay_alu instid0(VALU_DEP_2) | instskip(NEXT) | instid1(VALU_DEP_1)
	v_add_f32_e32 v2, v2, v141
	v_dual_add_f32 v1, v1, v13 :: v_dual_add_f32 v2, v2, v143
	s_delay_alu instid0(VALU_DEP_1) | instskip(NEXT) | instid1(VALU_DEP_1)
	v_dual_add_f32 v1, v1, v14 :: v_dual_add_f32 v2, v2, v145
	v_dual_add_f32 v1, v1, v16 :: v_dual_add_f32 v2, v2, v147
	s_delay_alu instid0(VALU_DEP_1) | instskip(NEXT) | instid1(VALU_DEP_1)
	v_add_f32_e32 v1, v1, v17
	v_dual_add_f32 v2, v2, v149 :: v_dual_add_f32 v1, v1, v128
	s_delay_alu instid0(VALU_DEP_1) | instskip(NEXT) | instid1(VALU_DEP_1)
	v_add_f32_e32 v1, v1, v129
	v_add_f32_e32 v1, v1, v137
	s_delay_alu instid0(VALU_DEP_1) | instskip(NEXT) | instid1(VALU_DEP_1)
	v_add_f32_e32 v1, v1, v138
	v_add_f32_e32 v1, v1, v140
	;; [unrolled: 3-line block ×5, first 2 shown]
	s_delay_alu instid0(VALU_DEP_1) | instskip(NEXT) | instid1(VALU_DEP_1)
	v_dual_add_f32 v6, v1, v154 :: v_dual_add_f32 v5, v2, v151
	v_dual_add_f32 v6, v6, v156 :: v_dual_add_f32 v5, v5, v153
	s_delay_alu instid0(VALU_DEP_1) | instskip(NEXT) | instid1(VALU_DEP_2)
	v_add_f32_e32 v13, v6, v158
	v_add_f32_e32 v5, v5, v155
	v_mul_f32_e32 v181, v7, v4
	s_delay_alu instid0(VALU_DEP_3) | instskip(NEXT) | instid1(VALU_DEP_2)
	v_add_f32_e32 v13, v13, v160
	v_dual_add_f32 v14, v5, v157 :: v_dual_fmac_f32 v181, v8, v3
	ds_load_2addr_b64 v[1:4], v21 offset0:87 offset1:88
	ds_load_2addr_b64 v[5:8], v21 offset0:89 offset1:90
	v_add_f32_e32 v13, v13, v162
	s_delay_alu instid0(VALU_DEP_1) | instskip(NEXT) | instid1(VALU_DEP_1)
	v_add_f32_e32 v13, v13, v164
	v_add_f32_e32 v18, v13, v166
	s_delay_alu instid0(VALU_DEP_1)
	v_add_f32_e32 v18, v18, v168
	s_wait_loadcnt_dscnt 0x1
	v_mul_f32_e32 v22, v1, v10
	v_mul_f32_e32 v122, v3, v12
	;; [unrolled: 1-line block ×4, first 2 shown]
	v_add_f32_e32 v14, v14, v159
	v_fmac_f32_e32 v22, v2, v9
	v_fmac_f32_e32 v122, v4, v11
	v_fma_f32 v123, v1, v9, -v10
	v_fma_f32 v124, v3, v11, -v12
	s_clause 0x1
	scratch_load_b128 v[1:4], off, off offset:328
	scratch_load_b128 v[9:12], off, off offset:344
	v_add_f32_e32 v14, v14, v161
	v_add_f32_e32 v18, v18, v170
	s_delay_alu instid0(VALU_DEP_2) | instskip(SKIP_2) | instid1(VALU_DEP_1)
	v_add_f32_e32 v17, v14, v163
	scratch_load_b128 v[13:16], off, off offset:360
	v_dual_add_f32 v118, v18, v172 :: v_dual_add_f32 v17, v17, v165
	v_add_f32_e32 v125, v118, v174
	s_delay_alu instid0(VALU_DEP_2) | instskip(NEXT) | instid1(VALU_DEP_1)
	v_add_f32_e32 v17, v17, v167
	v_add_f32_e32 v17, v17, v169
	s_delay_alu instid0(VALU_DEP_1)
	v_add_f32_e32 v119, v17, v171
	ds_load_2addr_b64 v[17:20], v21 offset0:91 offset1:92
	v_add_f32_e32 v126, v119, v173
	ds_load_2addr_b64 v[118:121], v21 offset0:93 offset1:94
	v_add_f32_e32 v21, v125, v176
	v_add_f32_e32 v125, v126, v175
	s_delay_alu instid0(VALU_DEP_2) | instskip(NEXT) | instid1(VALU_DEP_2)
	v_add_f32_e32 v21, v21, v178
	v_add_f32_e32 v125, v125, v177
	s_delay_alu instid0(VALU_DEP_2) | instskip(NEXT) | instid1(VALU_DEP_1)
	v_add_f32_e32 v21, v21, v180
	v_add_f32_e32 v21, v21, v182
	s_delay_alu instid0(VALU_DEP_1)
	v_add_f32_e32 v21, v21, v123
	s_wait_loadcnt_dscnt 0x202
	v_mul_f32_e32 v126, v5, v2
	s_wait_loadcnt_dscnt 0x101
	v_mul_f32_e32 v128, v17, v10
	v_dual_add_f32 v125, v125, v179 :: v_dual_mul_f32 v2, v6, v2
	v_mul_f32_e32 v127, v7, v4
	v_mul_f32_e32 v4, v8, v4
	v_fmac_f32_e32 v126, v6, v1
	s_delay_alu instid0(VALU_DEP_4) | instskip(SKIP_2) | instid1(VALU_DEP_3)
	v_add_f32_e32 v125, v125, v181
	v_fma_f32 v2, v5, v1, -v2
	v_dual_add_f32 v1, v21, v124 :: v_dual_mul_f32 v6, v18, v10
	v_dual_fmac_f32 v127, v8, v3 :: v_dual_add_f32 v22, v125, v22
	v_fma_f32 v3, v7, v3, -v4
	s_delay_alu instid0(VALU_DEP_3) | instskip(SKIP_1) | instid1(VALU_DEP_4)
	v_add_f32_e32 v1, v1, v2
	v_mul_f32_e32 v129, v19, v12
	v_dual_mul_f32 v4, v20, v12 :: v_dual_add_f32 v5, v22, v122
	s_delay_alu instid0(VALU_DEP_3)
	v_dual_fmac_f32 v128, v18, v9 :: v_dual_add_f32 v1, v1, v3
	s_wait_loadcnt_dscnt 0x0
	v_mul_f32_e32 v132, v118, v14
	v_mul_f32_e32 v3, v119, v14
	v_add_f32_e32 v2, v5, v126
	v_fma_f32 v5, v17, v9, -v6
	v_fmac_f32_e32 v129, v20, v11
	v_fma_f32 v4, v19, v11, -v4
	s_delay_alu instid0(VALU_DEP_4) | instskip(NEXT) | instid1(VALU_DEP_4)
	v_dual_mul_f32 v123, v120, v16 :: v_dual_add_f32 v2, v2, v127
	v_add_f32_e32 v1, v1, v5
	v_dual_mul_f32 v5, v121, v16 :: v_dual_fmac_f32 v132, v119, v13
	v_fma_f32 v3, v118, v13, -v3
	s_delay_alu instid0(VALU_DEP_4) | instskip(NEXT) | instid1(VALU_DEP_4)
	v_add_f32_e32 v2, v2, v128
	v_add_f32_e32 v1, v1, v4
	v_fmac_f32_e32 v123, v121, v15
	v_fma_f32 v4, v120, v15, -v5
	s_delay_alu instid0(VALU_DEP_3) | instskip(NEXT) | instid1(VALU_DEP_1)
	v_dual_add_f32 v2, v2, v129 :: v_dual_add_f32 v1, v1, v3
	v_add_f32_e32 v2, v2, v132
	s_delay_alu instid0(VALU_DEP_1) | instskip(NEXT) | instid1(VALU_DEP_1)
	v_dual_add_f32 v1, v1, v4 :: v_dual_add_f32 v2, v2, v123
	v_dual_sub_f32 v1, v130, v1 :: v_dual_sub_f32 v2, v131, v2
	scratch_store_b64 off, v[1:2], off offset:16
	v_cmpx_lt_u32_e32 1, v0
	s_cbranch_execz .LBB110_293
; %bb.292:
	scratch_load_b64 v[1:2], off, off offset:8
	v_mov_b32_e32 v3, 0
	s_delay_alu instid0(VALU_DEP_1)
	v_mov_b32_e32 v4, v3
	scratch_store_b64 off, v[3:4], off offset:8
	s_wait_loadcnt 0x0
	ds_store_b64 v23, v[1:2]
.LBB110_293:
	s_wait_alu 0xfffe
	s_or_b32 exec_lo, exec_lo, s0
	s_wait_storecnt_dscnt 0x0
	s_barrier_signal -1
	s_barrier_wait -1
	global_inv scope:SCOPE_SE
	s_clause 0x4
	scratch_load_b128 v[5:8], off, off offset:16
	scratch_load_b128 v[1:4], off, off offset:32
	;; [unrolled: 1-line block ×5, first 2 shown]
	v_mov_b32_e32 v118, 0
	ds_load_b128 v[119:122], v118 offset:400
	ds_load_b128 v[123:126], v118 offset:416
	;; [unrolled: 1-line block ×3, first 2 shown]
	scratch_load_b64 v[21:22], off, off offset:8
	s_mov_b32 s0, exec_lo
	s_wait_loadcnt_dscnt 0x502
	v_mul_f32_e32 v131, v120, v6
	v_dual_mul_f32 v132, v119, v6 :: v_dual_mul_f32 v133, v121, v8
	v_mul_f32_e32 v6, v122, v8
	s_delay_alu instid0(VALU_DEP_3) | instskip(NEXT) | instid1(VALU_DEP_3)
	v_fma_f32 v119, v119, v5, -v131
	v_dual_fmac_f32 v132, v120, v5 :: v_dual_fmac_f32 v133, v122, v7
	s_delay_alu instid0(VALU_DEP_3)
	v_fma_f32 v120, v121, v7, -v6
	ds_load_b128 v[5:8], v118 offset:448
	s_wait_loadcnt_dscnt 0x402
	v_dual_mul_f32 v121, v123, v2 :: v_dual_mul_f32 v122, v125, v4
	s_wait_loadcnt_dscnt 0x301
	v_dual_mul_f32 v131, v127, v10 :: v_dual_mul_f32 v4, v126, v4
	v_mul_f32_e32 v10, v128, v10
	v_mul_f32_e32 v134, v129, v12
	;; [unrolled: 1-line block ×4, first 2 shown]
	v_dual_fmac_f32 v121, v124, v1 :: v_dual_fmac_f32 v122, v126, v3
	v_fma_f32 v124, v125, v3, -v4
	v_fmac_f32_e32 v131, v128, v9
	v_fma_f32 v125, v127, v9, -v10
	v_fmac_f32_e32 v134, v130, v11
	v_fma_f32 v126, v129, v11, -v12
	ds_load_b128 v[9:12], v118 offset:464
	s_wait_loadcnt_dscnt 0x201
	v_mul_f32_e32 v127, v5, v14
	v_mul_f32_e32 v14, v6, v14
	v_mul_f32_e32 v128, v7, v16
	s_delay_alu instid0(VALU_DEP_3)
	v_dual_mul_f32 v16, v8, v16 :: v_dual_fmac_f32 v127, v6, v13
	v_fma_f32 v123, v123, v1, -v2
	scratch_load_b128 v[1:4], off, off offset:96
	v_fma_f32 v13, v5, v13, -v14
	v_fmac_f32_e32 v128, v8, v15
	v_fma_f32 v14, v7, v15, -v16
	ds_load_b128 v[5:8], v118 offset:480
	s_wait_loadcnt_dscnt 0x201
	v_mul_f32_e32 v15, v9, v18
	v_mul_f32_e32 v16, v10, v18
	;; [unrolled: 1-line block ×3, first 2 shown]
	s_delay_alu instid0(VALU_DEP_3) | instskip(NEXT) | instid1(VALU_DEP_3)
	v_dual_mul_f32 v20, v12, v20 :: v_dual_fmac_f32 v15, v10, v17
	v_fma_f32 v16, v9, v17, -v16
	s_delay_alu instid0(VALU_DEP_3) | instskip(NEXT) | instid1(VALU_DEP_3)
	v_fmac_f32_e32 v18, v12, v19
	v_fma_f32 v17, v11, v19, -v20
	scratch_load_b128 v[9:12], off, off offset:112
	s_wait_loadcnt_dscnt 0x100
	v_mul_f32_e32 v19, v5, v2
	v_mul_f32_e32 v2, v6, v2
	v_mul_f32_e32 v20, v7, v4
	s_delay_alu instid0(VALU_DEP_3) | instskip(NEXT) | instid1(VALU_DEP_3)
	v_dual_mul_f32 v4, v8, v4 :: v_dual_fmac_f32 v19, v6, v1
	v_fma_f32 v129, v5, v1, -v2
	s_delay_alu instid0(VALU_DEP_3) | instskip(NEXT) | instid1(VALU_DEP_3)
	v_fmac_f32_e32 v20, v8, v3
	v_fma_f32 v130, v7, v3, -v4
	ds_load_b128 v[1:4], v118 offset:496
	ds_load_b128 v[5:8], v118 offset:512
	s_wait_loadcnt_dscnt 0x1
	v_mul_f32_e32 v135, v1, v10
	v_mul_f32_e32 v10, v2, v10
	s_delay_alu instid0(VALU_DEP_2) | instskip(NEXT) | instid1(VALU_DEP_2)
	v_dual_mul_f32 v136, v3, v12 :: v_dual_fmac_f32 v135, v2, v9
	v_fma_f32 v137, v1, v9, -v10
	v_mul_f32_e32 v1, v4, v12
	s_delay_alu instid0(VALU_DEP_3) | instskip(NEXT) | instid1(VALU_DEP_2)
	v_fmac_f32_e32 v136, v4, v11
	v_fma_f32 v138, v3, v11, -v1
	s_clause 0x1
	scratch_load_b128 v[1:4], off, off offset:128
	scratch_load_b128 v[9:12], off, off offset:144
	s_wait_loadcnt_dscnt 0x100
	v_mul_f32_e32 v139, v5, v2
	v_dual_mul_f32 v2, v6, v2 :: v_dual_mul_f32 v141, v7, v4
	s_delay_alu instid0(VALU_DEP_2) | instskip(NEXT) | instid1(VALU_DEP_2)
	v_fmac_f32_e32 v139, v6, v1
	v_fma_f32 v140, v5, v1, -v2
	v_mul_f32_e32 v1, v8, v4
	s_delay_alu instid0(VALU_DEP_4) | instskip(NEXT) | instid1(VALU_DEP_2)
	v_fmac_f32_e32 v141, v8, v3
	v_fma_f32 v142, v7, v3, -v1
	ds_load_b128 v[1:4], v118 offset:528
	ds_load_b128 v[5:8], v118 offset:544
	s_wait_loadcnt_dscnt 0x1
	v_mul_f32_e32 v143, v1, v10
	v_mul_f32_e32 v145, v3, v12
	s_delay_alu instid0(VALU_DEP_2) | instskip(NEXT) | instid1(VALU_DEP_2)
	v_fmac_f32_e32 v143, v2, v9
	v_dual_mul_f32 v2, v2, v10 :: v_dual_fmac_f32 v145, v4, v11
	s_delay_alu instid0(VALU_DEP_1) | instskip(SKIP_1) | instid1(VALU_DEP_1)
	v_fma_f32 v144, v1, v9, -v2
	v_mul_f32_e32 v1, v4, v12
	v_fma_f32 v146, v3, v11, -v1
	s_clause 0x1
	scratch_load_b128 v[1:4], off, off offset:160
	scratch_load_b128 v[9:12], off, off offset:176
	s_wait_loadcnt_dscnt 0x100
	v_mul_f32_e32 v147, v5, v2
	v_dual_mul_f32 v149, v7, v4 :: v_dual_mul_f32 v2, v6, v2
	s_delay_alu instid0(VALU_DEP_2) | instskip(NEXT) | instid1(VALU_DEP_2)
	v_fmac_f32_e32 v147, v6, v1
	v_fmac_f32_e32 v149, v8, v3
	s_delay_alu instid0(VALU_DEP_3) | instskip(SKIP_1) | instid1(VALU_DEP_1)
	v_fma_f32 v148, v5, v1, -v2
	v_mul_f32_e32 v1, v8, v4
	v_fma_f32 v150, v7, v3, -v1
	ds_load_b128 v[1:4], v118 offset:560
	ds_load_b128 v[5:8], v118 offset:576
	s_wait_loadcnt_dscnt 0x1
	v_mul_f32_e32 v151, v1, v10
	v_mul_f32_e32 v153, v3, v12
	s_delay_alu instid0(VALU_DEP_2) | instskip(NEXT) | instid1(VALU_DEP_2)
	v_fmac_f32_e32 v151, v2, v9
	v_dual_mul_f32 v2, v2, v10 :: v_dual_fmac_f32 v153, v4, v11
	s_delay_alu instid0(VALU_DEP_1) | instskip(SKIP_1) | instid1(VALU_DEP_1)
	v_fma_f32 v152, v1, v9, -v2
	v_mul_f32_e32 v1, v4, v12
	v_fma_f32 v154, v3, v11, -v1
	s_clause 0x1
	scratch_load_b128 v[1:4], off, off offset:192
	scratch_load_b128 v[9:12], off, off offset:208
	s_wait_loadcnt_dscnt 0x100
	v_mul_f32_e32 v155, v5, v2
	v_dual_mul_f32 v2, v6, v2 :: v_dual_mul_f32 v157, v7, v4
	s_delay_alu instid0(VALU_DEP_2) | instskip(NEXT) | instid1(VALU_DEP_2)
	v_fmac_f32_e32 v155, v6, v1
	v_fma_f32 v156, v5, v1, -v2
	v_mul_f32_e32 v1, v8, v4
	s_delay_alu instid0(VALU_DEP_4) | instskip(NEXT) | instid1(VALU_DEP_2)
	v_fmac_f32_e32 v157, v8, v3
	v_fma_f32 v158, v7, v3, -v1
	ds_load_b128 v[1:4], v118 offset:592
	ds_load_b128 v[5:8], v118 offset:608
	s_wait_loadcnt_dscnt 0x1
	v_mul_f32_e32 v159, v1, v10
	v_mul_f32_e32 v161, v3, v12
	s_delay_alu instid0(VALU_DEP_2) | instskip(NEXT) | instid1(VALU_DEP_2)
	v_fmac_f32_e32 v159, v2, v9
	v_dual_mul_f32 v2, v2, v10 :: v_dual_fmac_f32 v161, v4, v11
	s_delay_alu instid0(VALU_DEP_1) | instskip(SKIP_1) | instid1(VALU_DEP_1)
	v_fma_f32 v160, v1, v9, -v2
	v_mul_f32_e32 v1, v4, v12
	v_fma_f32 v162, v3, v11, -v1
	s_clause 0x1
	scratch_load_b128 v[1:4], off, off offset:224
	scratch_load_b128 v[9:12], off, off offset:240
	s_wait_loadcnt_dscnt 0x100
	v_mul_f32_e32 v163, v5, v2
	v_dual_mul_f32 v2, v6, v2 :: v_dual_mul_f32 v165, v7, v4
	s_delay_alu instid0(VALU_DEP_2) | instskip(NEXT) | instid1(VALU_DEP_2)
	v_fmac_f32_e32 v163, v6, v1
	v_fma_f32 v164, v5, v1, -v2
	v_mul_f32_e32 v1, v8, v4
	s_delay_alu instid0(VALU_DEP_4) | instskip(NEXT) | instid1(VALU_DEP_2)
	v_fmac_f32_e32 v165, v8, v3
	;; [unrolled: 25-line block ×3, first 2 shown]
	v_fma_f32 v174, v7, v3, -v1
	ds_load_b128 v[1:4], v118 offset:656
	ds_load_b128 v[5:8], v118 offset:672
	s_wait_loadcnt_dscnt 0x1
	v_mul_f32_e32 v175, v1, v10
	v_mul_f32_e32 v177, v3, v12
	s_delay_alu instid0(VALU_DEP_2) | instskip(NEXT) | instid1(VALU_DEP_2)
	v_fmac_f32_e32 v175, v2, v9
	v_dual_mul_f32 v2, v2, v10 :: v_dual_fmac_f32 v177, v4, v11
	s_delay_alu instid0(VALU_DEP_1) | instskip(SKIP_1) | instid1(VALU_DEP_1)
	v_fma_f32 v176, v1, v9, -v2
	v_mul_f32_e32 v1, v4, v12
	v_fma_f32 v178, v3, v11, -v1
	s_clause 0x1
	scratch_load_b128 v[1:4], off, off offset:288
	scratch_load_b128 v[9:12], off, off offset:304
	s_wait_loadcnt_dscnt 0x100
	v_mul_f32_e32 v179, v5, v2
	v_dual_mul_f32 v2, v6, v2 :: v_dual_mul_f32 v181, v7, v4
	s_delay_alu instid0(VALU_DEP_2) | instskip(NEXT) | instid1(VALU_DEP_2)
	v_fmac_f32_e32 v179, v6, v1
	v_fma_f32 v180, v5, v1, -v2
	v_add_f32_e32 v2, 0, v132
	s_delay_alu instid0(VALU_DEP_1) | instskip(NEXT) | instid1(VALU_DEP_1)
	v_dual_mul_f32 v1, v8, v4 :: v_dual_add_f32 v2, v2, v133
	v_fma_f32 v182, v7, v3, -v1
	s_delay_alu instid0(VALU_DEP_2) | instskip(NEXT) | instid1(VALU_DEP_1)
	v_dual_add_f32 v1, 0, v119 :: v_dual_add_f32 v2, v2, v121
	v_dual_add_f32 v1, v1, v120 :: v_dual_add_f32 v2, v2, v122
	v_fmac_f32_e32 v181, v8, v3
	s_delay_alu instid0(VALU_DEP_2) | instskip(NEXT) | instid1(VALU_DEP_1)
	v_add_f32_e32 v1, v1, v123
	v_dual_add_f32 v2, v2, v131 :: v_dual_add_f32 v1, v1, v124
	scratch_load_b64 v[123:124], off, off offset:368
	v_dual_add_f32 v2, v2, v134 :: v_dual_add_f32 v1, v1, v125
	s_delay_alu instid0(VALU_DEP_1) | instskip(NEXT) | instid1(VALU_DEP_1)
	v_add_f32_e32 v2, v2, v127
	v_add_f32_e32 v2, v2, v128
	s_delay_alu instid0(VALU_DEP_1) | instskip(NEXT) | instid1(VALU_DEP_1)
	v_add_f32_e32 v2, v2, v15
	v_add_f32_e32 v2, v2, v18
	;; [unrolled: 3-line block ×6, first 2 shown]
	s_delay_alu instid0(VALU_DEP_1) | instskip(NEXT) | instid1(VALU_DEP_1)
	v_add_f32_e32 v2, v2, v147
	v_dual_add_f32 v2, v2, v149 :: v_dual_add_f32 v1, v1, v126
	s_delay_alu instid0(VALU_DEP_1) | instskip(NEXT) | instid1(VALU_DEP_1)
	v_add_f32_e32 v1, v1, v13
	v_add_f32_e32 v1, v1, v14
	s_delay_alu instid0(VALU_DEP_1) | instskip(NEXT) | instid1(VALU_DEP_1)
	v_add_f32_e32 v1, v1, v16
	v_add_f32_e32 v1, v1, v17
	;; [unrolled: 3-line block ×7, first 2 shown]
	s_delay_alu instid0(VALU_DEP_1) | instskip(NEXT) | instid1(VALU_DEP_1)
	v_add_f32_e32 v1, v1, v152
	v_dual_add_f32 v6, v1, v154 :: v_dual_add_f32 v5, v2, v151
	ds_load_b128 v[1:4], v118 offset:688
	v_dual_add_f32 v6, v6, v156 :: v_dual_add_f32 v5, v5, v153
	s_delay_alu instid0(VALU_DEP_1) | instskip(NEXT) | instid1(VALU_DEP_2)
	v_add_f32_e32 v13, v6, v158
	v_add_f32_e32 v5, v5, v155
	s_delay_alu instid0(VALU_DEP_2) | instskip(NEXT) | instid1(VALU_DEP_2)
	v_add_f32_e32 v13, v13, v160
	v_add_f32_e32 v14, v5, v157
	ds_load_b128 v[5:8], v118 offset:704
	v_add_f32_e32 v13, v13, v162
	s_wait_loadcnt_dscnt 0x101
	v_mul_f32_e32 v127, v1, v10
	v_mul_f32_e32 v10, v2, v10
	;; [unrolled: 1-line block ×3, first 2 shown]
	v_add_f32_e32 v13, v13, v164
	v_mul_f32_e32 v12, v4, v12
	v_add_f32_e32 v14, v14, v159
	v_fma_f32 v129, v1, v9, -v10
	v_fmac_f32_e32 v128, v4, v11
	v_add_f32_e32 v18, v13, v166
	v_fma_f32 v130, v3, v11, -v12
	v_add_f32_e32 v14, v14, v161
	s_delay_alu instid0(VALU_DEP_3) | instskip(NEXT) | instid1(VALU_DEP_2)
	v_add_f32_e32 v18, v18, v168
	v_add_f32_e32 v17, v14, v163
	scratch_load_b128 v[13:16], off, off offset:352
	v_dual_add_f32 v18, v18, v170 :: v_dual_add_f32 v17, v17, v165
	s_delay_alu instid0(VALU_DEP_1) | instskip(NEXT) | instid1(VALU_DEP_1)
	v_dual_add_f32 v18, v18, v172 :: v_dual_add_f32 v17, v17, v167
	v_dual_add_f32 v18, v18, v174 :: v_dual_add_f32 v17, v17, v169
	s_delay_alu instid0(VALU_DEP_1) | instskip(NEXT) | instid1(VALU_DEP_2)
	v_add_f32_e32 v125, v18, v176
	v_add_f32_e32 v17, v17, v171
	s_delay_alu instid0(VALU_DEP_2) | instskip(NEXT) | instid1(VALU_DEP_2)
	v_add_f32_e32 v131, v125, v178
	v_add_f32_e32 v119, v17, v173
	ds_load_b128 v[17:20], v118 offset:720
	v_add_f32_e32 v131, v131, v180
	v_add_f32_e32 v126, v119, v175
	ds_load_b128 v[119:122], v118 offset:736
	v_dual_add_f32 v131, v131, v182 :: v_dual_add_f32 v132, v126, v177
	ds_load_b64 v[125:126], v118 offset:752
	v_add_f32_e32 v129, v131, v129
	s_delay_alu instid0(VALU_DEP_1)
	v_add_f32_e32 v129, v129, v130
	v_fmac_f32_e32 v127, v2, v9
	s_clause 0x1
	scratch_load_b128 v[1:4], off, off offset:320
	scratch_load_b128 v[9:12], off, off offset:336
	s_wait_loadcnt_dscnt 0x201
	v_dual_mul_f32 v135, v119, v14 :: v_dual_mul_f32 v130, v121, v16
	s_delay_alu instid0(VALU_DEP_1)
	v_dual_fmac_f32 v135, v120, v13 :: v_dual_fmac_f32 v130, v122, v15
	s_wait_loadcnt 0x1
	v_mul_f32_e32 v133, v5, v2
	v_mul_f32_e32 v2, v6, v2
	;; [unrolled: 1-line block ×3, first 2 shown]
	v_add_f32_e32 v132, v132, v179
	s_delay_alu instid0(VALU_DEP_4) | instskip(NEXT) | instid1(VALU_DEP_4)
	v_dual_mul_f32 v4, v8, v4 :: v_dual_fmac_f32 v133, v6, v1
	v_fma_f32 v2, v5, v1, -v2
	s_wait_loadcnt 0x0
	s_delay_alu instid0(VALU_DEP_3)
	v_dual_mul_f32 v131, v17, v10 :: v_dual_add_f32 v132, v132, v181
	v_fmac_f32_e32 v134, v8, v3
	v_fma_f32 v1, v7, v3, -v4
	v_add_f32_e32 v2, v129, v2
	v_mul_f32_e32 v3, v18, v10
	v_dual_add_f32 v127, v132, v127 :: v_dual_mul_f32 v132, v19, v12
	v_mul_f32_e32 v5, v20, v12
	v_fmac_f32_e32 v131, v18, v9
	s_delay_alu instid0(VALU_DEP_4) | instskip(NEXT) | instid1(VALU_DEP_4)
	v_fma_f32 v3, v17, v9, -v3
	v_add_f32_e32 v127, v127, v128
	v_dual_add_f32 v1, v2, v1 :: v_dual_fmac_f32 v132, v20, v11
	v_fma_f32 v5, v19, v11, -v5
	s_wait_dscnt 0x0
	v_mul_f32_e32 v128, v125, v124
	s_delay_alu instid0(VALU_DEP_3) | instskip(SKIP_1) | instid1(VALU_DEP_3)
	v_dual_add_f32 v4, v127, v133 :: v_dual_add_f32 v1, v1, v3
	v_mul_f32_e32 v3, v122, v16
	v_fmac_f32_e32 v128, v126, v123
	s_delay_alu instid0(VALU_DEP_3) | instskip(NEXT) | instid1(VALU_DEP_4)
	v_add_f32_e32 v2, v4, v134
	v_dual_mul_f32 v4, v120, v14 :: v_dual_add_f32 v1, v1, v5
	v_mul_f32_e32 v5, v126, v124
	v_fma_f32 v3, v121, v15, -v3
	s_delay_alu instid0(VALU_DEP_4) | instskip(NEXT) | instid1(VALU_DEP_4)
	v_add_f32_e32 v2, v2, v131
	v_fma_f32 v4, v119, v13, -v4
	s_delay_alu instid0(VALU_DEP_2) | instskip(NEXT) | instid1(VALU_DEP_2)
	v_add_f32_e32 v2, v2, v132
	v_add_f32_e32 v1, v1, v4
	v_fma_f32 v4, v125, v123, -v5
	s_delay_alu instid0(VALU_DEP_3) | instskip(NEXT) | instid1(VALU_DEP_1)
	v_add_f32_e32 v2, v2, v135
	v_dual_add_f32 v1, v1, v3 :: v_dual_add_f32 v2, v2, v130
	s_delay_alu instid0(VALU_DEP_1) | instskip(NEXT) | instid1(VALU_DEP_1)
	v_add_f32_e32 v1, v1, v4
	v_dual_add_f32 v2, v2, v128 :: v_dual_sub_f32 v1, v21, v1
	s_delay_alu instid0(VALU_DEP_1)
	v_sub_f32_e32 v2, v22, v2
	scratch_store_b64 off, v[1:2], off offset:8
	v_cmpx_ne_u32_e32 0, v0
	s_cbranch_execz .LBB110_295
; %bb.294:
	scratch_load_b64 v[0:1], off, off
	v_mov_b32_e32 v119, v118
	scratch_store_b64 off, v[118:119], off
	s_wait_loadcnt 0x0
	ds_store_b64 v23, v[0:1]
.LBB110_295:
	s_wait_alu 0xfffe
	s_or_b32 exec_lo, exec_lo, s0
	s_wait_storecnt_dscnt 0x0
	s_barrier_signal -1
	s_barrier_wait -1
	global_inv scope:SCOPE_SE
	s_clause 0x6
	scratch_load_b128 v[0:3], off, off offset:8
	scratch_load_b128 v[4:7], off, off offset:24
	;; [unrolled: 1-line block ×7, first 2 shown]
	ds_load_2addr_b64 v[123:126], v118 offset0:49 offset1:50
	ds_load_2addr_b64 v[127:130], v118 offset0:51 offset1:52
	scratch_load_b64 v[131:132], off, off
	s_and_b32 vcc_lo, exec_lo, s12
	s_wait_loadcnt_dscnt 0x701
	v_mul_f32_e32 v133, v124, v1
	v_dual_mul_f32 v134, v123, v1 :: v_dual_mul_f32 v135, v125, v3
	s_delay_alu instid0(VALU_DEP_1) | instskip(NEXT) | instid1(VALU_DEP_2)
	v_dual_mul_f32 v1, v126, v3 :: v_dual_fmac_f32 v134, v124, v0
	v_fmac_f32_e32 v135, v126, v2
	s_delay_alu instid0(VALU_DEP_2)
	v_fma_f32 v124, v125, v2, -v1
	s_wait_loadcnt_dscnt 0x600
	v_mul_f32_e32 v126, v129, v7
	v_fma_f32 v123, v123, v0, -v133
	ds_load_2addr_b64 v[0:3], v118 offset0:53 offset1:54
	v_mul_f32_e32 v125, v127, v5
	v_mul_f32_e32 v5, v128, v5
	;; [unrolled: 1-line block ×3, first 2 shown]
	s_delay_alu instid0(VALU_DEP_3) | instskip(NEXT) | instid1(VALU_DEP_3)
	v_dual_fmac_f32 v126, v130, v6 :: v_dual_fmac_f32 v125, v128, v4
	v_fma_f32 v127, v127, v4, -v5
	s_delay_alu instid0(VALU_DEP_3)
	v_fma_f32 v128, v129, v6, -v7
	ds_load_2addr_b64 v[4:7], v118 offset0:55 offset1:56
	s_wait_loadcnt_dscnt 0x501
	v_mul_f32_e32 v129, v0, v9
	v_dual_mul_f32 v9, v1, v9 :: v_dual_mul_f32 v130, v2, v11
	v_mul_f32_e32 v11, v3, v11
	s_delay_alu instid0(VALU_DEP_3) | instskip(NEXT) | instid1(VALU_DEP_3)
	v_fmac_f32_e32 v129, v1, v8
	v_fma_f32 v133, v0, v8, -v9
	s_delay_alu instid0(VALU_DEP_4) | instskip(NEXT) | instid1(VALU_DEP_4)
	v_fmac_f32_e32 v130, v3, v10
	v_fma_f32 v136, v2, v10, -v11
	ds_load_2addr_b64 v[0:3], v118 offset0:57 offset1:58
	s_wait_loadcnt_dscnt 0x401
	v_mul_f32_e32 v137, v4, v13
	v_dual_mul_f32 v8, v5, v13 :: v_dual_mul_f32 v13, v6, v15
	v_mul_f32_e32 v9, v7, v15
	s_delay_alu instid0(VALU_DEP_3) | instskip(NEXT) | instid1(VALU_DEP_3)
	v_fmac_f32_e32 v137, v5, v12
	v_fma_f32 v12, v4, v12, -v8
	s_delay_alu instid0(VALU_DEP_4) | instskip(NEXT) | instid1(VALU_DEP_4)
	v_fmac_f32_e32 v13, v7, v14
	;; [unrolled: 11-line block ×4, first 2 shown]
	v_fma_f32 v22, v6, v22, -v9
	ds_load_2addr_b64 v[4:7], v118 offset0:63 offset1:64
	s_wait_loadcnt_dscnt 0x101
	v_mul_f32_e32 v23, v0, v120
	v_mul_f32_e32 v8, v1, v120
	;; [unrolled: 1-line block ×4, first 2 shown]
	s_delay_alu instid0(VALU_DEP_4) | instskip(NEXT) | instid1(VALU_DEP_4)
	v_fmac_f32_e32 v23, v1, v119
	v_fma_f32 v119, v0, v119, -v8
	s_delay_alu instid0(VALU_DEP_4) | instskip(NEXT) | instid1(VALU_DEP_4)
	v_fmac_f32_e32 v120, v3, v121
	v_fma_f32 v121, v2, v121, -v9
	s_clause 0x1
	scratch_load_b128 v[0:3], off, off offset:120
	scratch_load_b128 v[8:11], off, off offset:136
	s_wait_loadcnt_dscnt 0x100
	v_mul_f32_e32 v122, v4, v1
	v_mul_f32_e32 v1, v5, v1
	s_delay_alu instid0(VALU_DEP_2) | instskip(NEXT) | instid1(VALU_DEP_2)
	v_dual_mul_f32 v139, v6, v3 :: v_dual_fmac_f32 v122, v5, v0
	v_fma_f32 v138, v4, v0, -v1
	v_mul_f32_e32 v0, v7, v3
	s_delay_alu instid0(VALU_DEP_3) | instskip(NEXT) | instid1(VALU_DEP_2)
	v_fmac_f32_e32 v139, v7, v2
	v_fma_f32 v140, v6, v2, -v0
	ds_load_2addr_b64 v[0:3], v118 offset0:65 offset1:66
	ds_load_2addr_b64 v[4:7], v118 offset0:67 offset1:68
	s_wait_loadcnt_dscnt 0x1
	v_mul_f32_e32 v141, v0, v9
	v_mul_f32_e32 v143, v2, v11
	s_delay_alu instid0(VALU_DEP_2) | instskip(SKIP_1) | instid1(VALU_DEP_3)
	v_fmac_f32_e32 v141, v1, v8
	v_mul_f32_e32 v1, v1, v9
	v_fmac_f32_e32 v143, v3, v10
	s_delay_alu instid0(VALU_DEP_2) | instskip(SKIP_1) | instid1(VALU_DEP_1)
	v_fma_f32 v142, v0, v8, -v1
	v_mul_f32_e32 v0, v3, v11
	v_fma_f32 v144, v2, v10, -v0
	s_clause 0x1
	scratch_load_b128 v[0:3], off, off offset:152
	scratch_load_b128 v[8:11], off, off offset:168
	s_wait_loadcnt_dscnt 0x100
	v_mul_f32_e32 v145, v4, v1
	v_mul_f32_e32 v1, v5, v1
	;; [unrolled: 1-line block ×3, first 2 shown]
	s_delay_alu instid0(VALU_DEP_3) | instskip(NEXT) | instid1(VALU_DEP_3)
	v_fmac_f32_e32 v145, v5, v0
	v_fma_f32 v146, v4, v0, -v1
	v_mul_f32_e32 v0, v7, v3
	s_delay_alu instid0(VALU_DEP_4) | instskip(NEXT) | instid1(VALU_DEP_2)
	v_fmac_f32_e32 v147, v7, v2
	v_fma_f32 v148, v6, v2, -v0
	ds_load_2addr_b64 v[0:3], v118 offset0:69 offset1:70
	ds_load_2addr_b64 v[4:7], v118 offset0:71 offset1:72
	s_wait_loadcnt_dscnt 0x1
	v_mul_f32_e32 v149, v0, v9
	s_delay_alu instid0(VALU_DEP_1) | instskip(SKIP_1) | instid1(VALU_DEP_1)
	v_fmac_f32_e32 v149, v1, v8
	v_mul_f32_e32 v1, v1, v9
	v_fma_f32 v150, v0, v8, -v1
	v_mul_f32_e32 v151, v2, v11
	v_mul_f32_e32 v0, v3, v11
	s_delay_alu instid0(VALU_DEP_1) | instskip(NEXT) | instid1(VALU_DEP_3)
	v_fma_f32 v152, v2, v10, -v0
	v_fmac_f32_e32 v151, v3, v10
	s_clause 0x1
	scratch_load_b128 v[0:3], off, off offset:184
	scratch_load_b128 v[8:11], off, off offset:200
	s_wait_loadcnt_dscnt 0x100
	v_mul_f32_e32 v155, v6, v3
	v_mul_f32_e32 v153, v4, v1
	s_delay_alu instid0(VALU_DEP_2) | instskip(SKIP_1) | instid1(VALU_DEP_1)
	v_fmac_f32_e32 v155, v7, v2
	v_mul_f32_e32 v1, v5, v1
	v_fma_f32 v154, v4, v0, -v1
	s_delay_alu instid0(VALU_DEP_4) | instskip(NEXT) | instid1(VALU_DEP_1)
	v_dual_fmac_f32 v153, v5, v0 :: v_dual_mul_f32 v0, v7, v3
	v_fma_f32 v156, v6, v2, -v0
	ds_load_2addr_b64 v[0:3], v118 offset0:73 offset1:74
	ds_load_2addr_b64 v[4:7], v118 offset0:75 offset1:76
	s_wait_loadcnt_dscnt 0x1
	v_mul_f32_e32 v157, v0, v9
	v_mul_f32_e32 v159, v2, v11
	s_delay_alu instid0(VALU_DEP_1) | instskip(NEXT) | instid1(VALU_DEP_3)
	v_fmac_f32_e32 v159, v3, v10
	v_fmac_f32_e32 v157, v1, v8
	v_mul_f32_e32 v1, v1, v9
	s_delay_alu instid0(VALU_DEP_1) | instskip(SKIP_1) | instid1(VALU_DEP_1)
	v_fma_f32 v158, v0, v8, -v1
	v_mul_f32_e32 v0, v3, v11
	v_fma_f32 v160, v2, v10, -v0
	s_clause 0x1
	scratch_load_b128 v[0:3], off, off offset:216
	scratch_load_b128 v[8:11], off, off offset:232
	s_wait_loadcnt_dscnt 0x100
	v_mul_f32_e32 v161, v4, v1
	v_mul_f32_e32 v1, v5, v1
	;; [unrolled: 1-line block ×3, first 2 shown]
	s_delay_alu instid0(VALU_DEP_3) | instskip(NEXT) | instid1(VALU_DEP_3)
	v_fmac_f32_e32 v161, v5, v0
	v_fma_f32 v162, v4, v0, -v1
	v_mul_f32_e32 v0, v7, v3
	s_delay_alu instid0(VALU_DEP_4) | instskip(NEXT) | instid1(VALU_DEP_2)
	v_fmac_f32_e32 v163, v7, v2
	v_fma_f32 v164, v6, v2, -v0
	ds_load_2addr_b64 v[0:3], v118 offset0:77 offset1:78
	ds_load_2addr_b64 v[4:7], v118 offset0:79 offset1:80
	s_wait_loadcnt_dscnt 0x1
	v_mul_f32_e32 v165, v0, v9
	v_mul_f32_e32 v167, v2, v11
	s_delay_alu instid0(VALU_DEP_2) | instskip(SKIP_1) | instid1(VALU_DEP_3)
	v_fmac_f32_e32 v165, v1, v8
	v_mul_f32_e32 v1, v1, v9
	v_fmac_f32_e32 v167, v3, v10
	s_delay_alu instid0(VALU_DEP_2) | instskip(SKIP_1) | instid1(VALU_DEP_1)
	v_fma_f32 v166, v0, v8, -v1
	v_mul_f32_e32 v0, v3, v11
	v_fma_f32 v168, v2, v10, -v0
	s_clause 0x1
	scratch_load_b128 v[0:3], off, off offset:248
	scratch_load_b128 v[8:11], off, off offset:264
	s_wait_loadcnt_dscnt 0x100
	v_mul_f32_e32 v169, v4, v1
	v_mul_f32_e32 v1, v5, v1
	;; [unrolled: 1-line block ×3, first 2 shown]
	s_delay_alu instid0(VALU_DEP_3) | instskip(NEXT) | instid1(VALU_DEP_3)
	v_fmac_f32_e32 v169, v5, v0
	v_fma_f32 v170, v4, v0, -v1
	v_mul_f32_e32 v0, v7, v3
	s_delay_alu instid0(VALU_DEP_4) | instskip(NEXT) | instid1(VALU_DEP_2)
	v_fmac_f32_e32 v171, v7, v2
	v_fma_f32 v172, v6, v2, -v0
	ds_load_2addr_b64 v[0:3], v118 offset0:81 offset1:82
	ds_load_2addr_b64 v[4:7], v118 offset0:83 offset1:84
	s_wait_loadcnt_dscnt 0x1
	v_mul_f32_e32 v173, v0, v9
	v_mul_f32_e32 v175, v2, v11
	s_delay_alu instid0(VALU_DEP_2) | instskip(SKIP_1) | instid1(VALU_DEP_3)
	v_fmac_f32_e32 v173, v1, v8
	v_mul_f32_e32 v1, v1, v9
	v_fmac_f32_e32 v175, v3, v10
	s_delay_alu instid0(VALU_DEP_2) | instskip(SKIP_1) | instid1(VALU_DEP_1)
	v_fma_f32 v174, v0, v8, -v1
	v_mul_f32_e32 v0, v3, v11
	v_fma_f32 v176, v2, v10, -v0
	s_clause 0x1
	scratch_load_b128 v[0:3], off, off offset:280
	scratch_load_b128 v[8:11], off, off offset:296
	s_wait_loadcnt_dscnt 0x100
	v_mul_f32_e32 v177, v4, v1
	v_mul_f32_e32 v1, v5, v1
	s_delay_alu instid0(VALU_DEP_2) | instskip(NEXT) | instid1(VALU_DEP_2)
	v_fmac_f32_e32 v177, v5, v0
	v_fma_f32 v178, v4, v0, -v1
	v_dual_mul_f32 v0, v7, v3 :: v_dual_add_f32 v1, 0, v134
	s_delay_alu instid0(VALU_DEP_1) | instskip(SKIP_1) | instid1(VALU_DEP_1)
	v_fma_f32 v180, v6, v2, -v0
	v_add_f32_e32 v0, 0, v123
	v_dual_add_f32 v1, v1, v135 :: v_dual_add_f32 v0, v0, v124
	s_delay_alu instid0(VALU_DEP_1) | instskip(NEXT) | instid1(VALU_DEP_1)
	v_dual_add_f32 v1, v1, v125 :: v_dual_add_f32 v0, v0, v127
	v_dual_add_f32 v1, v1, v126 :: v_dual_add_f32 v0, v0, v128
	s_delay_alu instid0(VALU_DEP_1) | instskip(NEXT) | instid1(VALU_DEP_1)
	v_add_f32_e32 v1, v1, v129
	v_dual_add_f32 v0, v0, v133 :: v_dual_add_f32 v1, v1, v130
	s_delay_alu instid0(VALU_DEP_1) | instskip(NEXT) | instid1(VALU_DEP_1)
	v_dual_add_f32 v0, v0, v136 :: v_dual_add_f32 v1, v1, v137
	v_dual_add_f32 v0, v0, v12 :: v_dual_add_f32 v1, v1, v13
	s_delay_alu instid0(VALU_DEP_1) | instskip(NEXT) | instid1(VALU_DEP_1)
	v_dual_add_f32 v0, v0, v14 :: v_dual_add_f32 v1, v1, v15
	;; [unrolled: 3-line block ×8, first 2 shown]
	v_add_f32_e32 v4, v0, v150
	s_delay_alu instid0(VALU_DEP_1) | instskip(NEXT) | instid1(VALU_DEP_1)
	v_dual_add_f32 v4, v4, v152 :: v_dual_add_f32 v5, v5, v151
	v_add_f32_e32 v4, v4, v154
	s_delay_alu instid0(VALU_DEP_1) | instskip(NEXT) | instid1(VALU_DEP_1)
	v_dual_add_f32 v12, v5, v153 :: v_dual_add_f32 v13, v4, v156
	v_dual_add_f32 v12, v12, v155 :: v_dual_add_f32 v13, v13, v158
	s_delay_alu instid0(VALU_DEP_1) | instskip(NEXT) | instid1(VALU_DEP_1)
	v_dual_add_f32 v12, v12, v157 :: v_dual_add_f32 v13, v13, v160
	v_add_f32_e32 v13, v13, v162
	s_delay_alu instid0(VALU_DEP_1) | instskip(NEXT) | instid1(VALU_DEP_1)
	v_add_f32_e32 v16, v13, v164
	v_add_f32_e32 v20, v16, v166
	s_delay_alu instid0(VALU_DEP_1) | instskip(SKIP_1) | instid1(VALU_DEP_2)
	v_add_f32_e32 v20, v20, v168
	v_add_f32_e32 v12, v12, v159
	;; [unrolled: 1-line block ×3, first 2 shown]
	s_delay_alu instid0(VALU_DEP_2) | instskip(NEXT) | instid1(VALU_DEP_2)
	v_add_f32_e32 v12, v12, v161
	v_add_f32_e32 v20, v20, v172
	s_delay_alu instid0(VALU_DEP_2) | instskip(SKIP_4) | instid1(VALU_DEP_1)
	v_add_f32_e32 v17, v12, v163
	scratch_load_b128 v[12:15], off, off offset:344
	v_dual_add_f32 v120, v20, v174 :: v_dual_add_f32 v21, v17, v165
	scratch_load_b128 v[16:19], off, off offset:360
	v_add_f32_e32 v123, v120, v176
	v_dual_add_f32 v21, v21, v167 :: v_dual_add_f32 v134, v123, v178
	ds_load_2addr_b64 v[123:126], v118 offset0:93 offset1:94
	v_mul_f32_e32 v179, v6, v3
	v_dual_add_f32 v21, v21, v169 :: v_dual_add_f32 v134, v134, v180
	s_delay_alu instid0(VALU_DEP_2)
	v_fmac_f32_e32 v179, v7, v2
	ds_load_2addr_b64 v[0:3], v118 offset0:85 offset1:86
	ds_load_2addr_b64 v[4:7], v118 offset0:87 offset1:88
	v_add_f32_e32 v119, v21, v171
	ds_load_2addr_b64 v[20:23], v118 offset0:89 offset1:90
	v_add_f32_e32 v119, v119, v173
	s_delay_alu instid0(VALU_DEP_1)
	v_add_f32_e32 v133, v119, v175
	ds_load_2addr_b64 v[119:122], v118 offset0:91 offset1:92
	v_add_f32_e32 v118, v133, v177
	s_wait_loadcnt_dscnt 0x203
	v_mul_f32_e32 v127, v0, v9
	v_dual_mul_f32 v9, v1, v9 :: v_dual_mul_f32 v128, v2, v11
	v_mul_f32_e32 v11, v3, v11
	s_delay_alu instid0(VALU_DEP_3) | instskip(NEXT) | instid1(VALU_DEP_3)
	v_dual_add_f32 v118, v118, v179 :: v_dual_fmac_f32 v127, v1, v8
	v_fma_f32 v129, v0, v8, -v9
	s_delay_alu instid0(VALU_DEP_4) | instskip(NEXT) | instid1(VALU_DEP_4)
	v_fmac_f32_e32 v128, v3, v10
	v_fma_f32 v130, v2, v10, -v11
	s_clause 0x1
	scratch_load_b128 v[0:3], off, off offset:312
	scratch_load_b128 v[8:11], off, off offset:328
	v_add_f32_e32 v129, v134, v129
	s_wait_loadcnt_dscnt 0x102
	v_dual_add_f32 v118, v118, v127 :: v_dual_mul_f32 v133, v4, v1
	v_mul_f32_e32 v1, v5, v1
	v_mul_f32_e32 v135, v6, v3
	s_wait_loadcnt_dscnt 0x1
	v_dual_mul_f32 v3, v7, v3 :: v_dual_mul_f32 v134, v20, v9
	v_fmac_f32_e32 v133, v5, v0
	v_fma_f32 v0, v4, v0, -v1
	v_dual_add_f32 v4, v129, v130 :: v_dual_add_f32 v5, v118, v128
	v_fmac_f32_e32 v135, v7, v2
	v_fma_f32 v1, v6, v2, -v3
	s_delay_alu instid0(VALU_DEP_3) | instskip(NEXT) | instid1(VALU_DEP_4)
	v_dual_mul_f32 v7, v21, v9 :: v_dual_add_f32 v0, v4, v0
	v_dual_add_f32 v4, v5, v133 :: v_dual_mul_f32 v127, v22, v11
	v_dual_mul_f32 v5, v23, v11 :: v_dual_fmac_f32 v134, v21, v8
	s_delay_alu instid0(VALU_DEP_3) | instskip(NEXT) | instid1(VALU_DEP_4)
	v_fma_f32 v7, v20, v8, -v7
	v_add_f32_e32 v0, v0, v1
	s_wait_dscnt 0x0
	v_dual_add_f32 v1, v4, v135 :: v_dual_mul_f32 v2, v119, v13
	v_dual_mul_f32 v4, v120, v13 :: v_dual_fmac_f32 v127, v23, v10
	v_fma_f32 v5, v22, v10, -v5
	s_delay_alu instid0(VALU_DEP_3) | instskip(SKIP_3) | instid1(VALU_DEP_4)
	v_dual_add_f32 v0, v0, v7 :: v_dual_add_f32 v1, v1, v134
	v_mul_f32_e32 v3, v121, v15
	v_dual_mul_f32 v7, v122, v15 :: v_dual_fmac_f32 v2, v120, v12
	v_fma_f32 v4, v119, v12, -v4
	v_dual_add_f32 v0, v0, v5 :: v_dual_add_f32 v1, v1, v127
	v_mul_f32_e32 v6, v123, v17
	v_mul_f32_e32 v5, v124, v17
	v_fmac_f32_e32 v3, v122, v14
	v_fma_f32 v7, v121, v14, -v7
	v_dual_add_f32 v0, v0, v4 :: v_dual_add_f32 v1, v1, v2
	v_mul_f32_e32 v9, v125, v19
	v_mul_f32_e32 v2, v126, v19
	v_fmac_f32_e32 v6, v124, v16
	v_fma_f32 v4, v123, v16, -v5
	v_add_f32_e32 v0, v0, v7
	v_add_f32_e32 v1, v1, v3
	v_fmac_f32_e32 v9, v126, v18
	v_fma_f32 v2, v125, v18, -v2
	s_delay_alu instid0(VALU_DEP_3) | instskip(NEXT) | instid1(VALU_DEP_1)
	v_dual_add_f32 v0, v0, v4 :: v_dual_add_f32 v1, v1, v6
	v_dual_add_f32 v0, v0, v2 :: v_dual_add_f32 v1, v1, v9
	s_delay_alu instid0(VALU_DEP_1)
	v_dual_sub_f32 v0, v131, v0 :: v_dual_sub_f32 v1, v132, v1
	scratch_store_b64 off, v[0:1], off
	s_wait_alu 0xfffe
	s_cbranch_vccz .LBB110_388
; %bb.296:
	v_mov_b32_e32 v0, 0
	global_load_b32 v1, v0, s[2:3] offset:180
	s_wait_loadcnt 0x0
	v_cmp_ne_u32_e32 vcc_lo, 46, v1
	s_cbranch_vccz .LBB110_298
; %bb.297:
	v_lshlrev_b32_e32 v1, 3, v1
	s_delay_alu instid0(VALU_DEP_1)
	v_mov_b32_e32 v5, v1
	scratch_load_b64 v[1:2], v5, off offset:-8
	scratch_load_b64 v[3:4], off, off offset:360
	s_wait_loadcnt 0x1
	scratch_store_b64 off, v[1:2], off offset:360
	s_wait_loadcnt 0x0
	scratch_store_b64 v5, v[3:4], off offset:-8
.LBB110_298:
	global_load_b32 v0, v0, s[2:3] offset:176
	s_wait_loadcnt 0x0
	v_cmp_eq_u32_e32 vcc_lo, 45, v0
	s_cbranch_vccnz .LBB110_300
; %bb.299:
	v_lshlrev_b32_e32 v0, 3, v0
	s_delay_alu instid0(VALU_DEP_1)
	v_mov_b32_e32 v4, v0
	scratch_load_b64 v[0:1], v4, off offset:-8
	scratch_load_b64 v[2:3], off, off offset:352
	s_wait_loadcnt 0x1
	scratch_store_b64 off, v[0:1], off offset:352
	s_wait_loadcnt 0x0
	scratch_store_b64 v4, v[2:3], off offset:-8
.LBB110_300:
	v_mov_b32_e32 v0, 0
	global_load_b32 v1, v0, s[2:3] offset:172
	s_wait_loadcnt 0x0
	v_cmp_eq_u32_e32 vcc_lo, 44, v1
	s_cbranch_vccnz .LBB110_302
; %bb.301:
	v_lshlrev_b32_e32 v1, 3, v1
	s_delay_alu instid0(VALU_DEP_1)
	v_mov_b32_e32 v5, v1
	scratch_load_b64 v[1:2], v5, off offset:-8
	scratch_load_b64 v[3:4], off, off offset:344
	s_wait_loadcnt 0x1
	scratch_store_b64 off, v[1:2], off offset:344
	s_wait_loadcnt 0x0
	scratch_store_b64 v5, v[3:4], off offset:-8
.LBB110_302:
	global_load_b32 v0, v0, s[2:3] offset:168
	s_wait_loadcnt 0x0
	v_cmp_eq_u32_e32 vcc_lo, 43, v0
	s_cbranch_vccnz .LBB110_304
; %bb.303:
	v_lshlrev_b32_e32 v0, 3, v0
	s_delay_alu instid0(VALU_DEP_1)
	v_mov_b32_e32 v4, v0
	scratch_load_b64 v[0:1], v4, off offset:-8
	scratch_load_b64 v[2:3], off, off offset:336
	s_wait_loadcnt 0x1
	scratch_store_b64 off, v[0:1], off offset:336
	s_wait_loadcnt 0x0
	scratch_store_b64 v4, v[2:3], off offset:-8
.LBB110_304:
	v_mov_b32_e32 v0, 0
	global_load_b32 v1, v0, s[2:3] offset:164
	s_wait_loadcnt 0x0
	v_cmp_eq_u32_e32 vcc_lo, 42, v1
	s_cbranch_vccnz .LBB110_306
; %bb.305:
	v_lshlrev_b32_e32 v1, 3, v1
	s_delay_alu instid0(VALU_DEP_1)
	v_mov_b32_e32 v5, v1
	scratch_load_b64 v[1:2], v5, off offset:-8
	scratch_load_b64 v[3:4], off, off offset:328
	s_wait_loadcnt 0x1
	scratch_store_b64 off, v[1:2], off offset:328
	s_wait_loadcnt 0x0
	scratch_store_b64 v5, v[3:4], off offset:-8
.LBB110_306:
	global_load_b32 v0, v0, s[2:3] offset:160
	s_wait_loadcnt 0x0
	v_cmp_eq_u32_e32 vcc_lo, 41, v0
	s_cbranch_vccnz .LBB110_308
; %bb.307:
	v_lshlrev_b32_e32 v0, 3, v0
	s_delay_alu instid0(VALU_DEP_1)
	v_mov_b32_e32 v4, v0
	scratch_load_b64 v[0:1], v4, off offset:-8
	scratch_load_b64 v[2:3], off, off offset:320
	s_wait_loadcnt 0x1
	scratch_store_b64 off, v[0:1], off offset:320
	s_wait_loadcnt 0x0
	scratch_store_b64 v4, v[2:3], off offset:-8
.LBB110_308:
	v_mov_b32_e32 v0, 0
	global_load_b32 v1, v0, s[2:3] offset:156
	s_wait_loadcnt 0x0
	v_cmp_eq_u32_e32 vcc_lo, 40, v1
	s_cbranch_vccnz .LBB110_310
; %bb.309:
	v_lshlrev_b32_e32 v1, 3, v1
	s_delay_alu instid0(VALU_DEP_1)
	v_mov_b32_e32 v5, v1
	scratch_load_b64 v[1:2], v5, off offset:-8
	scratch_load_b64 v[3:4], off, off offset:312
	s_wait_loadcnt 0x1
	scratch_store_b64 off, v[1:2], off offset:312
	s_wait_loadcnt 0x0
	scratch_store_b64 v5, v[3:4], off offset:-8
.LBB110_310:
	global_load_b32 v0, v0, s[2:3] offset:152
	s_wait_loadcnt 0x0
	v_cmp_eq_u32_e32 vcc_lo, 39, v0
	s_cbranch_vccnz .LBB110_312
; %bb.311:
	v_lshlrev_b32_e32 v0, 3, v0
	s_delay_alu instid0(VALU_DEP_1)
	v_mov_b32_e32 v4, v0
	scratch_load_b64 v[0:1], v4, off offset:-8
	scratch_load_b64 v[2:3], off, off offset:304
	s_wait_loadcnt 0x1
	scratch_store_b64 off, v[0:1], off offset:304
	s_wait_loadcnt 0x0
	scratch_store_b64 v4, v[2:3], off offset:-8
.LBB110_312:
	v_mov_b32_e32 v0, 0
	global_load_b32 v1, v0, s[2:3] offset:148
	s_wait_loadcnt 0x0
	v_cmp_eq_u32_e32 vcc_lo, 38, v1
	s_cbranch_vccnz .LBB110_314
; %bb.313:
	v_lshlrev_b32_e32 v1, 3, v1
	s_delay_alu instid0(VALU_DEP_1)
	v_mov_b32_e32 v5, v1
	scratch_load_b64 v[1:2], v5, off offset:-8
	scratch_load_b64 v[3:4], off, off offset:296
	s_wait_loadcnt 0x1
	scratch_store_b64 off, v[1:2], off offset:296
	s_wait_loadcnt 0x0
	scratch_store_b64 v5, v[3:4], off offset:-8
.LBB110_314:
	global_load_b32 v0, v0, s[2:3] offset:144
	s_wait_loadcnt 0x0
	v_cmp_eq_u32_e32 vcc_lo, 37, v0
	s_cbranch_vccnz .LBB110_316
; %bb.315:
	v_lshlrev_b32_e32 v0, 3, v0
	s_delay_alu instid0(VALU_DEP_1)
	v_mov_b32_e32 v4, v0
	scratch_load_b64 v[0:1], v4, off offset:-8
	scratch_load_b64 v[2:3], off, off offset:288
	s_wait_loadcnt 0x1
	scratch_store_b64 off, v[0:1], off offset:288
	s_wait_loadcnt 0x0
	scratch_store_b64 v4, v[2:3], off offset:-8
.LBB110_316:
	v_mov_b32_e32 v0, 0
	global_load_b32 v1, v0, s[2:3] offset:140
	s_wait_loadcnt 0x0
	v_cmp_eq_u32_e32 vcc_lo, 36, v1
	s_cbranch_vccnz .LBB110_318
; %bb.317:
	v_lshlrev_b32_e32 v1, 3, v1
	s_delay_alu instid0(VALU_DEP_1)
	v_mov_b32_e32 v5, v1
	scratch_load_b64 v[1:2], v5, off offset:-8
	scratch_load_b64 v[3:4], off, off offset:280
	s_wait_loadcnt 0x1
	scratch_store_b64 off, v[1:2], off offset:280
	s_wait_loadcnt 0x0
	scratch_store_b64 v5, v[3:4], off offset:-8
.LBB110_318:
	global_load_b32 v0, v0, s[2:3] offset:136
	s_wait_loadcnt 0x0
	v_cmp_eq_u32_e32 vcc_lo, 35, v0
	s_cbranch_vccnz .LBB110_320
; %bb.319:
	v_lshlrev_b32_e32 v0, 3, v0
	s_delay_alu instid0(VALU_DEP_1)
	v_mov_b32_e32 v4, v0
	scratch_load_b64 v[0:1], v4, off offset:-8
	scratch_load_b64 v[2:3], off, off offset:272
	s_wait_loadcnt 0x1
	scratch_store_b64 off, v[0:1], off offset:272
	s_wait_loadcnt 0x0
	scratch_store_b64 v4, v[2:3], off offset:-8
.LBB110_320:
	v_mov_b32_e32 v0, 0
	global_load_b32 v1, v0, s[2:3] offset:132
	s_wait_loadcnt 0x0
	v_cmp_eq_u32_e32 vcc_lo, 34, v1
	s_cbranch_vccnz .LBB110_322
; %bb.321:
	v_lshlrev_b32_e32 v1, 3, v1
	s_delay_alu instid0(VALU_DEP_1)
	v_mov_b32_e32 v5, v1
	scratch_load_b64 v[1:2], v5, off offset:-8
	scratch_load_b64 v[3:4], off, off offset:264
	s_wait_loadcnt 0x1
	scratch_store_b64 off, v[1:2], off offset:264
	s_wait_loadcnt 0x0
	scratch_store_b64 v5, v[3:4], off offset:-8
.LBB110_322:
	global_load_b32 v0, v0, s[2:3] offset:128
	s_wait_loadcnt 0x0
	v_cmp_eq_u32_e32 vcc_lo, 33, v0
	s_cbranch_vccnz .LBB110_324
; %bb.323:
	v_lshlrev_b32_e32 v0, 3, v0
	s_delay_alu instid0(VALU_DEP_1)
	v_mov_b32_e32 v4, v0
	scratch_load_b64 v[0:1], v4, off offset:-8
	scratch_load_b64 v[2:3], off, off offset:256
	s_wait_loadcnt 0x1
	scratch_store_b64 off, v[0:1], off offset:256
	s_wait_loadcnt 0x0
	scratch_store_b64 v4, v[2:3], off offset:-8
.LBB110_324:
	v_mov_b32_e32 v0, 0
	global_load_b32 v1, v0, s[2:3] offset:124
	s_wait_loadcnt 0x0
	v_cmp_eq_u32_e32 vcc_lo, 32, v1
	s_cbranch_vccnz .LBB110_326
; %bb.325:
	v_lshlrev_b32_e32 v1, 3, v1
	s_delay_alu instid0(VALU_DEP_1)
	v_mov_b32_e32 v5, v1
	scratch_load_b64 v[1:2], v5, off offset:-8
	scratch_load_b64 v[3:4], off, off offset:248
	s_wait_loadcnt 0x1
	scratch_store_b64 off, v[1:2], off offset:248
	s_wait_loadcnt 0x0
	scratch_store_b64 v5, v[3:4], off offset:-8
.LBB110_326:
	global_load_b32 v0, v0, s[2:3] offset:120
	s_wait_loadcnt 0x0
	v_cmp_eq_u32_e32 vcc_lo, 31, v0
	s_cbranch_vccnz .LBB110_328
; %bb.327:
	v_lshlrev_b32_e32 v0, 3, v0
	s_delay_alu instid0(VALU_DEP_1)
	v_mov_b32_e32 v4, v0
	scratch_load_b64 v[0:1], v4, off offset:-8
	scratch_load_b64 v[2:3], off, off offset:240
	s_wait_loadcnt 0x1
	scratch_store_b64 off, v[0:1], off offset:240
	s_wait_loadcnt 0x0
	scratch_store_b64 v4, v[2:3], off offset:-8
.LBB110_328:
	v_mov_b32_e32 v0, 0
	global_load_b32 v1, v0, s[2:3] offset:116
	s_wait_loadcnt 0x0
	v_cmp_eq_u32_e32 vcc_lo, 30, v1
	s_cbranch_vccnz .LBB110_330
; %bb.329:
	v_lshlrev_b32_e32 v1, 3, v1
	s_delay_alu instid0(VALU_DEP_1)
	v_mov_b32_e32 v5, v1
	scratch_load_b64 v[1:2], v5, off offset:-8
	scratch_load_b64 v[3:4], off, off offset:232
	s_wait_loadcnt 0x1
	scratch_store_b64 off, v[1:2], off offset:232
	s_wait_loadcnt 0x0
	scratch_store_b64 v5, v[3:4], off offset:-8
.LBB110_330:
	global_load_b32 v0, v0, s[2:3] offset:112
	s_wait_loadcnt 0x0
	v_cmp_eq_u32_e32 vcc_lo, 29, v0
	s_cbranch_vccnz .LBB110_332
; %bb.331:
	v_lshlrev_b32_e32 v0, 3, v0
	s_delay_alu instid0(VALU_DEP_1)
	v_mov_b32_e32 v4, v0
	scratch_load_b64 v[0:1], v4, off offset:-8
	scratch_load_b64 v[2:3], off, off offset:224
	s_wait_loadcnt 0x1
	scratch_store_b64 off, v[0:1], off offset:224
	s_wait_loadcnt 0x0
	scratch_store_b64 v4, v[2:3], off offset:-8
.LBB110_332:
	v_mov_b32_e32 v0, 0
	global_load_b32 v1, v0, s[2:3] offset:108
	s_wait_loadcnt 0x0
	v_cmp_eq_u32_e32 vcc_lo, 28, v1
	s_cbranch_vccnz .LBB110_334
; %bb.333:
	v_lshlrev_b32_e32 v1, 3, v1
	s_delay_alu instid0(VALU_DEP_1)
	v_mov_b32_e32 v5, v1
	scratch_load_b64 v[1:2], v5, off offset:-8
	scratch_load_b64 v[3:4], off, off offset:216
	s_wait_loadcnt 0x1
	scratch_store_b64 off, v[1:2], off offset:216
	s_wait_loadcnt 0x0
	scratch_store_b64 v5, v[3:4], off offset:-8
.LBB110_334:
	global_load_b32 v0, v0, s[2:3] offset:104
	s_wait_loadcnt 0x0
	v_cmp_eq_u32_e32 vcc_lo, 27, v0
	s_cbranch_vccnz .LBB110_336
; %bb.335:
	v_lshlrev_b32_e32 v0, 3, v0
	s_delay_alu instid0(VALU_DEP_1)
	v_mov_b32_e32 v4, v0
	scratch_load_b64 v[0:1], v4, off offset:-8
	scratch_load_b64 v[2:3], off, off offset:208
	s_wait_loadcnt 0x1
	scratch_store_b64 off, v[0:1], off offset:208
	s_wait_loadcnt 0x0
	scratch_store_b64 v4, v[2:3], off offset:-8
.LBB110_336:
	v_mov_b32_e32 v0, 0
	global_load_b32 v1, v0, s[2:3] offset:100
	s_wait_loadcnt 0x0
	v_cmp_eq_u32_e32 vcc_lo, 26, v1
	s_cbranch_vccnz .LBB110_338
; %bb.337:
	v_lshlrev_b32_e32 v1, 3, v1
	s_delay_alu instid0(VALU_DEP_1)
	v_mov_b32_e32 v5, v1
	scratch_load_b64 v[1:2], v5, off offset:-8
	scratch_load_b64 v[3:4], off, off offset:200
	s_wait_loadcnt 0x1
	scratch_store_b64 off, v[1:2], off offset:200
	s_wait_loadcnt 0x0
	scratch_store_b64 v5, v[3:4], off offset:-8
.LBB110_338:
	global_load_b32 v0, v0, s[2:3] offset:96
	s_wait_loadcnt 0x0
	v_cmp_eq_u32_e32 vcc_lo, 25, v0
	s_cbranch_vccnz .LBB110_340
; %bb.339:
	v_lshlrev_b32_e32 v0, 3, v0
	s_delay_alu instid0(VALU_DEP_1)
	v_mov_b32_e32 v4, v0
	scratch_load_b64 v[0:1], v4, off offset:-8
	scratch_load_b64 v[2:3], off, off offset:192
	s_wait_loadcnt 0x1
	scratch_store_b64 off, v[0:1], off offset:192
	s_wait_loadcnt 0x0
	scratch_store_b64 v4, v[2:3], off offset:-8
.LBB110_340:
	v_mov_b32_e32 v0, 0
	global_load_b32 v1, v0, s[2:3] offset:92
	s_wait_loadcnt 0x0
	v_cmp_eq_u32_e32 vcc_lo, 24, v1
	s_cbranch_vccnz .LBB110_342
; %bb.341:
	v_lshlrev_b32_e32 v1, 3, v1
	s_delay_alu instid0(VALU_DEP_1)
	v_mov_b32_e32 v5, v1
	scratch_load_b64 v[1:2], v5, off offset:-8
	scratch_load_b64 v[3:4], off, off offset:184
	s_wait_loadcnt 0x1
	scratch_store_b64 off, v[1:2], off offset:184
	s_wait_loadcnt 0x0
	scratch_store_b64 v5, v[3:4], off offset:-8
.LBB110_342:
	global_load_b32 v0, v0, s[2:3] offset:88
	s_wait_loadcnt 0x0
	v_cmp_eq_u32_e32 vcc_lo, 23, v0
	s_cbranch_vccnz .LBB110_344
; %bb.343:
	v_lshlrev_b32_e32 v0, 3, v0
	s_delay_alu instid0(VALU_DEP_1)
	v_mov_b32_e32 v4, v0
	scratch_load_b64 v[0:1], v4, off offset:-8
	scratch_load_b64 v[2:3], off, off offset:176
	s_wait_loadcnt 0x1
	scratch_store_b64 off, v[0:1], off offset:176
	s_wait_loadcnt 0x0
	scratch_store_b64 v4, v[2:3], off offset:-8
.LBB110_344:
	v_mov_b32_e32 v0, 0
	global_load_b32 v1, v0, s[2:3] offset:84
	s_wait_loadcnt 0x0
	v_cmp_eq_u32_e32 vcc_lo, 22, v1
	s_cbranch_vccnz .LBB110_346
; %bb.345:
	v_lshlrev_b32_e32 v1, 3, v1
	s_delay_alu instid0(VALU_DEP_1)
	v_mov_b32_e32 v5, v1
	scratch_load_b64 v[1:2], v5, off offset:-8
	scratch_load_b64 v[3:4], off, off offset:168
	s_wait_loadcnt 0x1
	scratch_store_b64 off, v[1:2], off offset:168
	s_wait_loadcnt 0x0
	scratch_store_b64 v5, v[3:4], off offset:-8
.LBB110_346:
	global_load_b32 v0, v0, s[2:3] offset:80
	s_wait_loadcnt 0x0
	v_cmp_eq_u32_e32 vcc_lo, 21, v0
	s_cbranch_vccnz .LBB110_348
; %bb.347:
	v_lshlrev_b32_e32 v0, 3, v0
	s_delay_alu instid0(VALU_DEP_1)
	v_mov_b32_e32 v4, v0
	scratch_load_b64 v[0:1], v4, off offset:-8
	scratch_load_b64 v[2:3], off, off offset:160
	s_wait_loadcnt 0x1
	scratch_store_b64 off, v[0:1], off offset:160
	s_wait_loadcnt 0x0
	scratch_store_b64 v4, v[2:3], off offset:-8
.LBB110_348:
	v_mov_b32_e32 v0, 0
	global_load_b32 v1, v0, s[2:3] offset:76
	s_wait_loadcnt 0x0
	v_cmp_eq_u32_e32 vcc_lo, 20, v1
	s_cbranch_vccnz .LBB110_350
; %bb.349:
	v_lshlrev_b32_e32 v1, 3, v1
	s_delay_alu instid0(VALU_DEP_1)
	v_mov_b32_e32 v5, v1
	scratch_load_b64 v[1:2], v5, off offset:-8
	scratch_load_b64 v[3:4], off, off offset:152
	s_wait_loadcnt 0x1
	scratch_store_b64 off, v[1:2], off offset:152
	s_wait_loadcnt 0x0
	scratch_store_b64 v5, v[3:4], off offset:-8
.LBB110_350:
	global_load_b32 v0, v0, s[2:3] offset:72
	s_wait_loadcnt 0x0
	v_cmp_eq_u32_e32 vcc_lo, 19, v0
	s_cbranch_vccnz .LBB110_352
; %bb.351:
	v_lshlrev_b32_e32 v0, 3, v0
	s_delay_alu instid0(VALU_DEP_1)
	v_mov_b32_e32 v4, v0
	scratch_load_b64 v[0:1], v4, off offset:-8
	scratch_load_b64 v[2:3], off, off offset:144
	s_wait_loadcnt 0x1
	scratch_store_b64 off, v[0:1], off offset:144
	s_wait_loadcnt 0x0
	scratch_store_b64 v4, v[2:3], off offset:-8
.LBB110_352:
	v_mov_b32_e32 v0, 0
	global_load_b32 v1, v0, s[2:3] offset:68
	s_wait_loadcnt 0x0
	v_cmp_eq_u32_e32 vcc_lo, 18, v1
	s_cbranch_vccnz .LBB110_354
; %bb.353:
	v_lshlrev_b32_e32 v1, 3, v1
	s_delay_alu instid0(VALU_DEP_1)
	v_mov_b32_e32 v5, v1
	scratch_load_b64 v[1:2], v5, off offset:-8
	scratch_load_b64 v[3:4], off, off offset:136
	s_wait_loadcnt 0x1
	scratch_store_b64 off, v[1:2], off offset:136
	s_wait_loadcnt 0x0
	scratch_store_b64 v5, v[3:4], off offset:-8
.LBB110_354:
	global_load_b32 v0, v0, s[2:3] offset:64
	s_wait_loadcnt 0x0
	v_cmp_eq_u32_e32 vcc_lo, 17, v0
	s_cbranch_vccnz .LBB110_356
; %bb.355:
	v_lshlrev_b32_e32 v0, 3, v0
	s_delay_alu instid0(VALU_DEP_1)
	v_mov_b32_e32 v4, v0
	scratch_load_b64 v[0:1], v4, off offset:-8
	scratch_load_b64 v[2:3], off, off offset:128
	s_wait_loadcnt 0x1
	scratch_store_b64 off, v[0:1], off offset:128
	s_wait_loadcnt 0x0
	scratch_store_b64 v4, v[2:3], off offset:-8
.LBB110_356:
	v_mov_b32_e32 v0, 0
	global_load_b32 v1, v0, s[2:3] offset:60
	s_wait_loadcnt 0x0
	v_cmp_eq_u32_e32 vcc_lo, 16, v1
	s_cbranch_vccnz .LBB110_358
; %bb.357:
	v_lshlrev_b32_e32 v1, 3, v1
	s_delay_alu instid0(VALU_DEP_1)
	v_mov_b32_e32 v5, v1
	scratch_load_b64 v[1:2], v5, off offset:-8
	scratch_load_b64 v[3:4], off, off offset:120
	s_wait_loadcnt 0x1
	scratch_store_b64 off, v[1:2], off offset:120
	s_wait_loadcnt 0x0
	scratch_store_b64 v5, v[3:4], off offset:-8
.LBB110_358:
	global_load_b32 v0, v0, s[2:3] offset:56
	s_wait_loadcnt 0x0
	v_cmp_eq_u32_e32 vcc_lo, 15, v0
	s_cbranch_vccnz .LBB110_360
; %bb.359:
	v_lshlrev_b32_e32 v0, 3, v0
	s_delay_alu instid0(VALU_DEP_1)
	v_mov_b32_e32 v4, v0
	scratch_load_b64 v[0:1], v4, off offset:-8
	scratch_load_b64 v[2:3], off, off offset:112
	s_wait_loadcnt 0x1
	scratch_store_b64 off, v[0:1], off offset:112
	s_wait_loadcnt 0x0
	scratch_store_b64 v4, v[2:3], off offset:-8
.LBB110_360:
	v_mov_b32_e32 v0, 0
	global_load_b32 v1, v0, s[2:3] offset:52
	s_wait_loadcnt 0x0
	v_cmp_eq_u32_e32 vcc_lo, 14, v1
	s_cbranch_vccnz .LBB110_362
; %bb.361:
	v_lshlrev_b32_e32 v1, 3, v1
	s_delay_alu instid0(VALU_DEP_1)
	v_mov_b32_e32 v5, v1
	scratch_load_b64 v[1:2], v5, off offset:-8
	scratch_load_b64 v[3:4], off, off offset:104
	s_wait_loadcnt 0x1
	scratch_store_b64 off, v[1:2], off offset:104
	s_wait_loadcnt 0x0
	scratch_store_b64 v5, v[3:4], off offset:-8
.LBB110_362:
	global_load_b32 v0, v0, s[2:3] offset:48
	s_wait_loadcnt 0x0
	v_cmp_eq_u32_e32 vcc_lo, 13, v0
	s_cbranch_vccnz .LBB110_364
; %bb.363:
	v_lshlrev_b32_e32 v0, 3, v0
	s_delay_alu instid0(VALU_DEP_1)
	v_mov_b32_e32 v4, v0
	scratch_load_b64 v[0:1], v4, off offset:-8
	scratch_load_b64 v[2:3], off, off offset:96
	s_wait_loadcnt 0x1
	scratch_store_b64 off, v[0:1], off offset:96
	s_wait_loadcnt 0x0
	scratch_store_b64 v4, v[2:3], off offset:-8
.LBB110_364:
	v_mov_b32_e32 v0, 0
	global_load_b32 v1, v0, s[2:3] offset:44
	s_wait_loadcnt 0x0
	v_cmp_eq_u32_e32 vcc_lo, 12, v1
	s_cbranch_vccnz .LBB110_366
; %bb.365:
	v_lshlrev_b32_e32 v1, 3, v1
	s_delay_alu instid0(VALU_DEP_1)
	v_mov_b32_e32 v5, v1
	scratch_load_b64 v[1:2], v5, off offset:-8
	scratch_load_b64 v[3:4], off, off offset:88
	s_wait_loadcnt 0x1
	scratch_store_b64 off, v[1:2], off offset:88
	s_wait_loadcnt 0x0
	scratch_store_b64 v5, v[3:4], off offset:-8
.LBB110_366:
	global_load_b32 v0, v0, s[2:3] offset:40
	s_wait_loadcnt 0x0
	v_cmp_eq_u32_e32 vcc_lo, 11, v0
	s_cbranch_vccnz .LBB110_368
; %bb.367:
	v_lshlrev_b32_e32 v0, 3, v0
	s_delay_alu instid0(VALU_DEP_1)
	v_mov_b32_e32 v4, v0
	scratch_load_b64 v[0:1], v4, off offset:-8
	scratch_load_b64 v[2:3], off, off offset:80
	s_wait_loadcnt 0x1
	scratch_store_b64 off, v[0:1], off offset:80
	s_wait_loadcnt 0x0
	scratch_store_b64 v4, v[2:3], off offset:-8
.LBB110_368:
	v_mov_b32_e32 v0, 0
	global_load_b32 v1, v0, s[2:3] offset:36
	s_wait_loadcnt 0x0
	v_cmp_eq_u32_e32 vcc_lo, 10, v1
	s_cbranch_vccnz .LBB110_370
; %bb.369:
	v_lshlrev_b32_e32 v1, 3, v1
	s_delay_alu instid0(VALU_DEP_1)
	v_mov_b32_e32 v5, v1
	scratch_load_b64 v[1:2], v5, off offset:-8
	scratch_load_b64 v[3:4], off, off offset:72
	s_wait_loadcnt 0x1
	scratch_store_b64 off, v[1:2], off offset:72
	s_wait_loadcnt 0x0
	scratch_store_b64 v5, v[3:4], off offset:-8
.LBB110_370:
	global_load_b32 v0, v0, s[2:3] offset:32
	s_wait_loadcnt 0x0
	v_cmp_eq_u32_e32 vcc_lo, 9, v0
	s_cbranch_vccnz .LBB110_372
; %bb.371:
	v_lshlrev_b32_e32 v0, 3, v0
	s_delay_alu instid0(VALU_DEP_1)
	v_mov_b32_e32 v4, v0
	scratch_load_b64 v[0:1], v4, off offset:-8
	scratch_load_b64 v[2:3], off, off offset:64
	s_wait_loadcnt 0x1
	scratch_store_b64 off, v[0:1], off offset:64
	s_wait_loadcnt 0x0
	scratch_store_b64 v4, v[2:3], off offset:-8
.LBB110_372:
	v_mov_b32_e32 v0, 0
	global_load_b32 v1, v0, s[2:3] offset:28
	s_wait_loadcnt 0x0
	v_cmp_eq_u32_e32 vcc_lo, 8, v1
	s_cbranch_vccnz .LBB110_374
; %bb.373:
	v_lshlrev_b32_e32 v1, 3, v1
	s_delay_alu instid0(VALU_DEP_1)
	v_mov_b32_e32 v5, v1
	scratch_load_b64 v[1:2], v5, off offset:-8
	scratch_load_b64 v[3:4], off, off offset:56
	s_wait_loadcnt 0x1
	scratch_store_b64 off, v[1:2], off offset:56
	s_wait_loadcnt 0x0
	scratch_store_b64 v5, v[3:4], off offset:-8
.LBB110_374:
	global_load_b32 v0, v0, s[2:3] offset:24
	s_wait_loadcnt 0x0
	v_cmp_eq_u32_e32 vcc_lo, 7, v0
	s_cbranch_vccnz .LBB110_376
; %bb.375:
	v_lshlrev_b32_e32 v0, 3, v0
	s_delay_alu instid0(VALU_DEP_1)
	v_mov_b32_e32 v4, v0
	scratch_load_b64 v[0:1], v4, off offset:-8
	scratch_load_b64 v[2:3], off, off offset:48
	s_wait_loadcnt 0x1
	scratch_store_b64 off, v[0:1], off offset:48
	s_wait_loadcnt 0x0
	scratch_store_b64 v4, v[2:3], off offset:-8
.LBB110_376:
	v_mov_b32_e32 v0, 0
	global_load_b32 v1, v0, s[2:3] offset:20
	s_wait_loadcnt 0x0
	v_cmp_eq_u32_e32 vcc_lo, 6, v1
	s_cbranch_vccnz .LBB110_378
; %bb.377:
	v_lshlrev_b32_e32 v1, 3, v1
	s_delay_alu instid0(VALU_DEP_1)
	v_mov_b32_e32 v5, v1
	scratch_load_b64 v[1:2], v5, off offset:-8
	scratch_load_b64 v[3:4], off, off offset:40
	s_wait_loadcnt 0x1
	scratch_store_b64 off, v[1:2], off offset:40
	s_wait_loadcnt 0x0
	scratch_store_b64 v5, v[3:4], off offset:-8
.LBB110_378:
	global_load_b32 v0, v0, s[2:3] offset:16
	s_wait_loadcnt 0x0
	v_cmp_eq_u32_e32 vcc_lo, 5, v0
	s_cbranch_vccnz .LBB110_380
; %bb.379:
	v_lshlrev_b32_e32 v0, 3, v0
	s_delay_alu instid0(VALU_DEP_1)
	v_mov_b32_e32 v4, v0
	scratch_load_b64 v[0:1], v4, off offset:-8
	scratch_load_b64 v[2:3], off, off offset:32
	s_wait_loadcnt 0x1
	scratch_store_b64 off, v[0:1], off offset:32
	s_wait_loadcnt 0x0
	scratch_store_b64 v4, v[2:3], off offset:-8
.LBB110_380:
	v_mov_b32_e32 v0, 0
	global_load_b32 v1, v0, s[2:3] offset:12
	s_wait_loadcnt 0x0
	v_cmp_eq_u32_e32 vcc_lo, 4, v1
	s_cbranch_vccnz .LBB110_382
; %bb.381:
	v_lshlrev_b32_e32 v1, 3, v1
	s_delay_alu instid0(VALU_DEP_1)
	v_mov_b32_e32 v5, v1
	scratch_load_b64 v[1:2], v5, off offset:-8
	scratch_load_b64 v[3:4], off, off offset:24
	s_wait_loadcnt 0x1
	scratch_store_b64 off, v[1:2], off offset:24
	s_wait_loadcnt 0x0
	scratch_store_b64 v5, v[3:4], off offset:-8
.LBB110_382:
	global_load_b32 v0, v0, s[2:3] offset:8
	s_wait_loadcnt 0x0
	v_cmp_eq_u32_e32 vcc_lo, 3, v0
	s_cbranch_vccnz .LBB110_384
; %bb.383:
	v_lshlrev_b32_e32 v0, 3, v0
	s_delay_alu instid0(VALU_DEP_1)
	v_mov_b32_e32 v4, v0
	scratch_load_b64 v[0:1], v4, off offset:-8
	scratch_load_b64 v[2:3], off, off offset:16
	s_wait_loadcnt 0x1
	scratch_store_b64 off, v[0:1], off offset:16
	s_wait_loadcnt 0x0
	scratch_store_b64 v4, v[2:3], off offset:-8
.LBB110_384:
	v_mov_b32_e32 v0, 0
	global_load_b32 v1, v0, s[2:3] offset:4
	s_wait_loadcnt 0x0
	v_cmp_eq_u32_e32 vcc_lo, 2, v1
	s_cbranch_vccnz .LBB110_386
; %bb.385:
	v_lshlrev_b32_e32 v1, 3, v1
	s_delay_alu instid0(VALU_DEP_1)
	v_mov_b32_e32 v5, v1
	scratch_load_b64 v[1:2], v5, off offset:-8
	scratch_load_b64 v[3:4], off, off offset:8
	s_wait_loadcnt 0x1
	scratch_store_b64 off, v[1:2], off offset:8
	s_wait_loadcnt 0x0
	scratch_store_b64 v5, v[3:4], off offset:-8
.LBB110_386:
	global_load_b32 v0, v0, s[2:3]
	s_wait_loadcnt 0x0
	v_cmp_eq_u32_e32 vcc_lo, 1, v0
	s_cbranch_vccnz .LBB110_388
; %bb.387:
	v_lshlrev_b32_e32 v0, 3, v0
	s_delay_alu instid0(VALU_DEP_1)
	v_mov_b32_e32 v4, v0
	scratch_load_b64 v[0:1], v4, off offset:-8
	scratch_load_b64 v[2:3], off, off
	s_wait_loadcnt 0x1
	scratch_store_b64 off, v[0:1], off
	s_wait_loadcnt 0x0
	scratch_store_b64 v4, v[2:3], off offset:-8
.LBB110_388:
	scratch_load_b64 v[0:1], off, off
	s_wait_loadcnt 0x0
	flat_store_b64 v[24:25], v[0:1]
	scratch_load_b64 v[0:1], off, off offset:8
	s_wait_loadcnt 0x0
	flat_store_b64 v[26:27], v[0:1]
	scratch_load_b64 v[0:1], off, off offset:16
	;; [unrolled: 3-line block ×46, first 2 shown]
	s_wait_loadcnt 0x0
	flat_store_b64 v[116:117], v[0:1]
	s_nop 0
	s_sendmsg sendmsg(MSG_DEALLOC_VGPRS)
	s_endpgm
	.section	.rodata,"a",@progbits
	.p2align	6, 0x0
	.amdhsa_kernel _ZN9rocsolver6v33100L18getri_kernel_smallILi47E19rocblas_complex_numIfEPKPS3_EEvT1_iilPiilS8_bb
		.amdhsa_group_segment_fixed_size 760
		.amdhsa_private_segment_fixed_size 384
		.amdhsa_kernarg_size 60
		.amdhsa_user_sgpr_count 2
		.amdhsa_user_sgpr_dispatch_ptr 0
		.amdhsa_user_sgpr_queue_ptr 0
		.amdhsa_user_sgpr_kernarg_segment_ptr 1
		.amdhsa_user_sgpr_dispatch_id 0
		.amdhsa_user_sgpr_private_segment_size 0
		.amdhsa_wavefront_size32 1
		.amdhsa_uses_dynamic_stack 0
		.amdhsa_enable_private_segment 1
		.amdhsa_system_sgpr_workgroup_id_x 1
		.amdhsa_system_sgpr_workgroup_id_y 0
		.amdhsa_system_sgpr_workgroup_id_z 0
		.amdhsa_system_sgpr_workgroup_info 0
		.amdhsa_system_vgpr_workitem_id 0
		.amdhsa_next_free_vgpr 254
		.amdhsa_next_free_sgpr 19
		.amdhsa_reserve_vcc 1
		.amdhsa_float_round_mode_32 0
		.amdhsa_float_round_mode_16_64 0
		.amdhsa_float_denorm_mode_32 3
		.amdhsa_float_denorm_mode_16_64 3
		.amdhsa_fp16_overflow 0
		.amdhsa_workgroup_processor_mode 1
		.amdhsa_memory_ordered 1
		.amdhsa_forward_progress 1
		.amdhsa_inst_pref_size 255
		.amdhsa_round_robin_scheduling 0
		.amdhsa_exception_fp_ieee_invalid_op 0
		.amdhsa_exception_fp_denorm_src 0
		.amdhsa_exception_fp_ieee_div_zero 0
		.amdhsa_exception_fp_ieee_overflow 0
		.amdhsa_exception_fp_ieee_underflow 0
		.amdhsa_exception_fp_ieee_inexact 0
		.amdhsa_exception_int_div_zero 0
	.end_amdhsa_kernel
	.section	.text._ZN9rocsolver6v33100L18getri_kernel_smallILi47E19rocblas_complex_numIfEPKPS3_EEvT1_iilPiilS8_bb,"axG",@progbits,_ZN9rocsolver6v33100L18getri_kernel_smallILi47E19rocblas_complex_numIfEPKPS3_EEvT1_iilPiilS8_bb,comdat
.Lfunc_end110:
	.size	_ZN9rocsolver6v33100L18getri_kernel_smallILi47E19rocblas_complex_numIfEPKPS3_EEvT1_iilPiilS8_bb, .Lfunc_end110-_ZN9rocsolver6v33100L18getri_kernel_smallILi47E19rocblas_complex_numIfEPKPS3_EEvT1_iilPiilS8_bb
                                        ; -- End function
	.set _ZN9rocsolver6v33100L18getri_kernel_smallILi47E19rocblas_complex_numIfEPKPS3_EEvT1_iilPiilS8_bb.num_vgpr, 254
	.set _ZN9rocsolver6v33100L18getri_kernel_smallILi47E19rocblas_complex_numIfEPKPS3_EEvT1_iilPiilS8_bb.num_agpr, 0
	.set _ZN9rocsolver6v33100L18getri_kernel_smallILi47E19rocblas_complex_numIfEPKPS3_EEvT1_iilPiilS8_bb.numbered_sgpr, 19
	.set _ZN9rocsolver6v33100L18getri_kernel_smallILi47E19rocblas_complex_numIfEPKPS3_EEvT1_iilPiilS8_bb.num_named_barrier, 0
	.set _ZN9rocsolver6v33100L18getri_kernel_smallILi47E19rocblas_complex_numIfEPKPS3_EEvT1_iilPiilS8_bb.private_seg_size, 384
	.set _ZN9rocsolver6v33100L18getri_kernel_smallILi47E19rocblas_complex_numIfEPKPS3_EEvT1_iilPiilS8_bb.uses_vcc, 1
	.set _ZN9rocsolver6v33100L18getri_kernel_smallILi47E19rocblas_complex_numIfEPKPS3_EEvT1_iilPiilS8_bb.uses_flat_scratch, 1
	.set _ZN9rocsolver6v33100L18getri_kernel_smallILi47E19rocblas_complex_numIfEPKPS3_EEvT1_iilPiilS8_bb.has_dyn_sized_stack, 0
	.set _ZN9rocsolver6v33100L18getri_kernel_smallILi47E19rocblas_complex_numIfEPKPS3_EEvT1_iilPiilS8_bb.has_recursion, 0
	.set _ZN9rocsolver6v33100L18getri_kernel_smallILi47E19rocblas_complex_numIfEPKPS3_EEvT1_iilPiilS8_bb.has_indirect_call, 0
	.section	.AMDGPU.csdata,"",@progbits
; Kernel info:
; codeLenInByte = 77380
; TotalNumSgprs: 21
; NumVgprs: 254
; ScratchSize: 384
; MemoryBound: 0
; FloatMode: 240
; IeeeMode: 1
; LDSByteSize: 760 bytes/workgroup (compile time only)
; SGPRBlocks: 0
; VGPRBlocks: 31
; NumSGPRsForWavesPerEU: 21
; NumVGPRsForWavesPerEU: 254
; Occupancy: 5
; WaveLimiterHint : 1
; COMPUTE_PGM_RSRC2:SCRATCH_EN: 1
; COMPUTE_PGM_RSRC2:USER_SGPR: 2
; COMPUTE_PGM_RSRC2:TRAP_HANDLER: 0
; COMPUTE_PGM_RSRC2:TGID_X_EN: 1
; COMPUTE_PGM_RSRC2:TGID_Y_EN: 0
; COMPUTE_PGM_RSRC2:TGID_Z_EN: 0
; COMPUTE_PGM_RSRC2:TIDIG_COMP_CNT: 0
	.section	.text._ZN9rocsolver6v33100L18getri_kernel_smallILi48E19rocblas_complex_numIfEPKPS3_EEvT1_iilPiilS8_bb,"axG",@progbits,_ZN9rocsolver6v33100L18getri_kernel_smallILi48E19rocblas_complex_numIfEPKPS3_EEvT1_iilPiilS8_bb,comdat
	.globl	_ZN9rocsolver6v33100L18getri_kernel_smallILi48E19rocblas_complex_numIfEPKPS3_EEvT1_iilPiilS8_bb ; -- Begin function _ZN9rocsolver6v33100L18getri_kernel_smallILi48E19rocblas_complex_numIfEPKPS3_EEvT1_iilPiilS8_bb
	.p2align	8
	.type	_ZN9rocsolver6v33100L18getri_kernel_smallILi48E19rocblas_complex_numIfEPKPS3_EEvT1_iilPiilS8_bb,@function
_ZN9rocsolver6v33100L18getri_kernel_smallILi48E19rocblas_complex_numIfEPKPS3_EEvT1_iilPiilS8_bb: ; @_ZN9rocsolver6v33100L18getri_kernel_smallILi48E19rocblas_complex_numIfEPKPS3_EEvT1_iilPiilS8_bb
; %bb.0:
	s_mov_b32 s2, exec_lo
	v_cmpx_gt_u32_e32 48, v0
	s_cbranch_execz .LBB111_206
; %bb.1:
	s_clause 0x1
	s_load_b32 s13, s[0:1], 0x38
	s_load_b64 s[2:3], s[0:1], 0x0
	s_mov_b32 s8, ttmp9
	s_load_b128 s[4:7], s[0:1], 0x28
	s_wait_kmcnt 0x0
	s_bitcmp1_b32 s13, 8
	s_cselect_b32 s12, -1, 0
	s_ashr_i32 s9, ttmp9, 31
	s_delay_alu instid0(SALU_CYCLE_1) | instskip(NEXT) | instid1(SALU_CYCLE_1)
	s_lshl_b64 s[10:11], s[8:9], 3
	s_add_nc_u64 s[2:3], s[2:3], s[10:11]
	s_load_b64 s[10:11], s[2:3], 0x0
	s_bfe_u32 s2, s13, 0x10008
	s_delay_alu instid0(SALU_CYCLE_1)
	s_cmp_eq_u32 s2, 0
                                        ; implicit-def: $sgpr2_sgpr3
	s_cbranch_scc1 .LBB111_3
; %bb.2:
	s_load_b96 s[16:18], s[0:1], 0x18
	s_mul_u64 s[2:3], s[4:5], s[8:9]
	s_delay_alu instid0(SALU_CYCLE_1)
	s_lshl_b64 s[2:3], s[2:3], 2
	s_wait_kmcnt 0x0
	s_ashr_i32 s5, s18, 31
	s_mov_b32 s4, s18
	s_add_nc_u64 s[2:3], s[16:17], s[2:3]
	s_lshl_b64 s[4:5], s[4:5], 2
	s_delay_alu instid0(SALU_CYCLE_1)
	s_add_nc_u64 s[2:3], s[2:3], s[4:5]
.LBB111_3:
	s_clause 0x1
	s_load_b64 s[4:5], s[0:1], 0x8
	s_load_b32 s13, s[0:1], 0x38
	v_lshlrev_b32_e32 v7, 3, v0
	s_wait_kmcnt 0x0
	s_ashr_i32 s1, s4, 31
	s_mov_b32 s0, s4
	v_add3_u32 v3, s5, s5, v0
	s_lshl_b64 s[0:1], s[0:1], 3
	s_delay_alu instid0(SALU_CYCLE_1)
	s_add_nc_u64 s[0:1], s[10:11], s[0:1]
	s_ashr_i32 s11, s5, 31
	v_add_co_u32 v28, s4, s0, v7
	s_wait_alu 0xf1ff
	v_add_co_ci_u32_e64 v29, null, s1, 0, s4
	s_mov_b32 s10, s5
	v_ashrrev_i32_e32 v4, 31, v3
	s_lshl_b64 s[10:11], s[10:11], 3
	flat_load_b64 v[1:2], v[28:29]
	v_add_co_u32 v30, vcc_lo, v28, s10
	s_delay_alu instid0(VALU_DEP_1) | instskip(SKIP_3) | instid1(VALU_DEP_2)
	v_add_co_ci_u32_e64 v31, null, s11, v29, vcc_lo
	v_lshlrev_b64_e32 v[4:5], 3, v[3:4]
	v_add_nc_u32_e32 v3, s5, v3
	s_bitcmp0_b32 s13, 0
	v_add_co_u32 v32, vcc_lo, s0, v4
	s_wait_alu 0xfffd
	s_delay_alu instid0(VALU_DEP_3) | instskip(SKIP_1) | instid1(VALU_DEP_1)
	v_add_co_ci_u32_e64 v33, null, s1, v5, vcc_lo
	v_ashrrev_i32_e32 v4, 31, v3
	v_lshlrev_b64_e32 v[4:5], 3, v[3:4]
	v_add_nc_u32_e32 v3, s5, v3
	s_delay_alu instid0(VALU_DEP_2) | instskip(SKIP_1) | instid1(VALU_DEP_3)
	v_add_co_u32 v34, vcc_lo, s0, v4
	s_wait_alu 0xfffd
	v_add_co_ci_u32_e64 v35, null, s1, v5, vcc_lo
	s_delay_alu instid0(VALU_DEP_3) | instskip(NEXT) | instid1(VALU_DEP_1)
	v_ashrrev_i32_e32 v4, 31, v3
	v_lshlrev_b64_e32 v[4:5], 3, v[3:4]
	v_add_nc_u32_e32 v3, s5, v3
	s_delay_alu instid0(VALU_DEP_2) | instskip(SKIP_1) | instid1(VALU_DEP_3)
	v_add_co_u32 v36, vcc_lo, s0, v4
	s_wait_alu 0xfffd
	v_add_co_ci_u32_e64 v37, null, s1, v5, vcc_lo
	s_delay_alu instid0(VALU_DEP_3) | instskip(NEXT) | instid1(VALU_DEP_1)
	;; [unrolled: 8-line block ×20, first 2 shown]
	v_ashrrev_i32_e32 v4, 31, v3
	v_lshlrev_b64_e32 v[4:5], 3, v[3:4]
	s_wait_loadcnt_dscnt 0x0
	scratch_store_b64 off, v[1:2], off
	flat_load_b64 v[1:2], v[30:31]
	v_add_nc_u32_e32 v3, s5, v3
	v_add_co_u32 v74, vcc_lo, s0, v4
	s_wait_alu 0xfffd
	v_add_co_ci_u32_e64 v75, null, s1, v5, vcc_lo
	s_delay_alu instid0(VALU_DEP_3) | instskip(NEXT) | instid1(VALU_DEP_1)
	v_ashrrev_i32_e32 v4, 31, v3
	v_lshlrev_b64_e32 v[4:5], 3, v[3:4]
	v_add_nc_u32_e32 v3, s5, v3
	s_delay_alu instid0(VALU_DEP_2) | instskip(SKIP_1) | instid1(VALU_DEP_3)
	v_add_co_u32 v76, vcc_lo, s0, v4
	s_wait_alu 0xfffd
	v_add_co_ci_u32_e64 v77, null, s1, v5, vcc_lo
	s_delay_alu instid0(VALU_DEP_3) | instskip(NEXT) | instid1(VALU_DEP_1)
	v_ashrrev_i32_e32 v4, 31, v3
	v_lshlrev_b64_e32 v[4:5], 3, v[3:4]
	v_add_nc_u32_e32 v3, s5, v3
	s_delay_alu instid0(VALU_DEP_2) | instskip(SKIP_1) | instid1(VALU_DEP_3)
	;; [unrolled: 8-line block ×20, first 2 shown]
	v_add_co_u32 v114, vcc_lo, s0, v4
	s_wait_alu 0xfffd
	v_add_co_ci_u32_e64 v115, null, s1, v5, vcc_lo
	s_delay_alu instid0(VALU_DEP_3) | instskip(NEXT) | instid1(VALU_DEP_1)
	v_ashrrev_i32_e32 v4, 31, v3
	v_lshlrev_b64_e32 v[4:5], 3, v[3:4]
	v_add_nc_u32_e32 v3, s5, v3
	s_delay_alu instid0(VALU_DEP_2)
	v_add_co_u32 v116, vcc_lo, s0, v4
	s_wait_loadcnt_dscnt 0x0
	scratch_store_b64 off, v[1:2], off offset:8
	flat_load_b64 v[1:2], v[32:33]
	s_wait_alu 0xfffd
	v_add_co_ci_u32_e64 v117, null, s1, v5, vcc_lo
	v_ashrrev_i32_e32 v4, 31, v3
	s_delay_alu instid0(VALU_DEP_1) | instskip(SKIP_1) | instid1(VALU_DEP_2)
	v_lshlrev_b64_e32 v[4:5], 3, v[3:4]
	v_add_nc_u32_e32 v3, s5, v3
	v_add_co_u32 v118, vcc_lo, s0, v4
	s_wait_alu 0xfffd
	s_delay_alu instid0(VALU_DEP_3) | instskip(NEXT) | instid1(VALU_DEP_3)
	v_add_co_ci_u32_e64 v119, null, s1, v5, vcc_lo
	v_ashrrev_i32_e32 v4, 31, v3
	s_delay_alu instid0(VALU_DEP_1) | instskip(SKIP_1) | instid1(VALU_DEP_2)
	v_lshlrev_b64_e32 v[4:5], 3, v[3:4]
	v_add_nc_u32_e32 v3, s5, v3
	v_add_co_u32 v120, vcc_lo, s0, v4
	s_wait_alu 0xfffd
	s_delay_alu instid0(VALU_DEP_3) | instskip(NEXT) | instid1(VALU_DEP_3)
	v_add_co_ci_u32_e64 v121, null, s1, v5, vcc_lo
	v_ashrrev_i32_e32 v4, 31, v3
	s_delay_alu instid0(VALU_DEP_1) | instskip(NEXT) | instid1(VALU_DEP_1)
	v_lshlrev_b64_e32 v[3:4], 3, v[3:4]
	v_add_co_u32 v122, vcc_lo, s0, v3
	s_wait_alu 0xfffd
	s_delay_alu instid0(VALU_DEP_2)
	v_add_co_ci_u32_e64 v123, null, s1, v4, vcc_lo
	s_mov_b32 s1, -1
	s_wait_loadcnt_dscnt 0x0
	scratch_store_b64 off, v[1:2], off offset:16
	flat_load_b64 v[1:2], v[34:35]
	s_wait_loadcnt_dscnt 0x0
	scratch_store_b64 off, v[1:2], off offset:24
	flat_load_b64 v[1:2], v[36:37]
	;; [unrolled: 3-line block ×45, first 2 shown]
	s_wait_loadcnt_dscnt 0x0
	scratch_store_b64 off, v[1:2], off offset:376
	s_cbranch_scc1 .LBB111_204
; %bb.4:
	v_cmp_eq_u32_e64 s0, 0, v0
	s_and_saveexec_b32 s1, s0
; %bb.5:
	v_mov_b32_e32 v1, 0
	ds_store_b32 v1, v1 offset:768
; %bb.6:
	s_wait_alu 0xfffe
	s_or_b32 exec_lo, exec_lo, s1
	s_wait_storecnt_dscnt 0x0
	s_barrier_signal -1
	s_barrier_wait -1
	global_inv scope:SCOPE_SE
	scratch_load_b64 v[1:2], v7, off
	s_wait_loadcnt 0x0
	v_cmp_eq_f32_e32 vcc_lo, 0, v1
	v_cmp_eq_f32_e64 s1, 0, v2
	s_and_b32 s1, vcc_lo, s1
	s_wait_alu 0xfffe
	s_and_saveexec_b32 s4, s1
	s_cbranch_execz .LBB111_10
; %bb.7:
	v_mov_b32_e32 v1, 0
	s_mov_b32 s5, 0
	ds_load_b32 v2, v1 offset:768
	s_wait_dscnt 0x0
	v_readfirstlane_b32 s1, v2
	v_add_nc_u32_e32 v2, 1, v0
	s_cmp_eq_u32 s1, 0
	s_delay_alu instid0(VALU_DEP_1)
	v_cmp_gt_i32_e32 vcc_lo, s1, v2
	s_cselect_b32 s10, -1, 0
	s_wait_alu 0xfffe
	s_or_b32 s10, s10, vcc_lo
	s_wait_alu 0xfffe
	s_and_b32 exec_lo, exec_lo, s10
	s_cbranch_execz .LBB111_10
; %bb.8:
	v_mov_b32_e32 v3, s1
.LBB111_9:                              ; =>This Inner Loop Header: Depth=1
	ds_cmpstore_rtn_b32 v3, v1, v2, v3 offset:768
	s_wait_dscnt 0x0
	v_cmp_ne_u32_e32 vcc_lo, 0, v3
	v_cmp_le_i32_e64 s1, v3, v2
	s_and_b32 s1, vcc_lo, s1
	s_wait_alu 0xfffe
	s_and_b32 s1, exec_lo, s1
	s_wait_alu 0xfffe
	s_or_b32 s5, s1, s5
	s_wait_alu 0xfffe
	s_and_not1_b32 exec_lo, exec_lo, s5
	s_cbranch_execnz .LBB111_9
.LBB111_10:
	s_wait_alu 0xfffe
	s_or_b32 exec_lo, exec_lo, s4
	v_mov_b32_e32 v1, 0
	s_barrier_signal -1
	s_barrier_wait -1
	global_inv scope:SCOPE_SE
	ds_load_b32 v2, v1 offset:768
	s_and_saveexec_b32 s1, s0
	s_cbranch_execz .LBB111_12
; %bb.11:
	s_lshl_b64 s[4:5], s[8:9], 2
	s_wait_alu 0xfffe
	s_add_nc_u64 s[4:5], s[6:7], s[4:5]
	s_wait_dscnt 0x0
	global_store_b32 v1, v2, s[4:5]
.LBB111_12:
	s_wait_alu 0xfffe
	s_or_b32 exec_lo, exec_lo, s1
	s_wait_dscnt 0x0
	v_cmp_ne_u32_e32 vcc_lo, 0, v2
	s_mov_b32 s1, 0
	s_cbranch_vccnz .LBB111_204
; %bb.13:
	v_mov_b32_e32 v8, v7
                                        ; implicit-def: $vgpr3
                                        ; implicit-def: $vgpr5
	scratch_load_b64 v[1:2], v8, off
	s_wait_loadcnt 0x0
	v_cmp_ngt_f32_e64 s1, |v1|, |v2|
	s_wait_alu 0xfffe
	s_and_saveexec_b32 s4, s1
	s_wait_alu 0xfffe
	s_xor_b32 s1, exec_lo, s4
	s_cbranch_execz .LBB111_15
; %bb.14:
	v_div_scale_f32 v3, null, v2, v2, v1
	v_div_scale_f32 v6, vcc_lo, v1, v2, v1
	s_delay_alu instid0(VALU_DEP_2) | instskip(NEXT) | instid1(TRANS32_DEP_1)
	v_rcp_f32_e32 v4, v3
	v_fma_f32 v5, -v3, v4, 1.0
	s_delay_alu instid0(VALU_DEP_1) | instskip(NEXT) | instid1(VALU_DEP_1)
	v_fmac_f32_e32 v4, v5, v4
	v_mul_f32_e32 v5, v6, v4
	s_delay_alu instid0(VALU_DEP_1) | instskip(NEXT) | instid1(VALU_DEP_1)
	v_fma_f32 v9, -v3, v5, v6
	v_fmac_f32_e32 v5, v9, v4
	s_delay_alu instid0(VALU_DEP_1) | instskip(SKIP_1) | instid1(VALU_DEP_1)
	v_fma_f32 v3, -v3, v5, v6
	s_wait_alu 0xfffd
	v_div_fmas_f32 v3, v3, v4, v5
	s_delay_alu instid0(VALU_DEP_1) | instskip(NEXT) | instid1(VALU_DEP_1)
	v_div_fixup_f32 v3, v3, v2, v1
	v_fmac_f32_e32 v2, v1, v3
	s_delay_alu instid0(VALU_DEP_1) | instskip(NEXT) | instid1(VALU_DEP_1)
	v_div_scale_f32 v1, null, v2, v2, 1.0
	v_rcp_f32_e32 v4, v1
	s_delay_alu instid0(TRANS32_DEP_1) | instskip(NEXT) | instid1(VALU_DEP_1)
	v_fma_f32 v5, -v1, v4, 1.0
	v_fmac_f32_e32 v4, v5, v4
	v_div_scale_f32 v5, vcc_lo, 1.0, v2, 1.0
	s_delay_alu instid0(VALU_DEP_1) | instskip(NEXT) | instid1(VALU_DEP_1)
	v_mul_f32_e32 v6, v5, v4
	v_fma_f32 v9, -v1, v6, v5
	s_delay_alu instid0(VALU_DEP_1) | instskip(NEXT) | instid1(VALU_DEP_1)
	v_fmac_f32_e32 v6, v9, v4
	v_fma_f32 v1, -v1, v6, v5
	s_wait_alu 0xfffd
	s_delay_alu instid0(VALU_DEP_1) | instskip(NEXT) | instid1(VALU_DEP_1)
	v_div_fmas_f32 v1, v1, v4, v6
	v_div_fixup_f32 v1, v1, v2, 1.0
	s_delay_alu instid0(VALU_DEP_1) | instskip(SKIP_1) | instid1(VALU_DEP_2)
	v_mul_f32_e32 v3, v3, v1
	v_xor_b32_e32 v4, 0x80000000, v1
                                        ; implicit-def: $vgpr1_vgpr2
	v_xor_b32_e32 v5, 0x80000000, v3
.LBB111_15:
	s_wait_alu 0xfffe
	s_and_not1_saveexec_b32 s1, s1
	s_cbranch_execz .LBB111_17
; %bb.16:
	v_div_scale_f32 v3, null, v1, v1, v2
	v_div_scale_f32 v6, vcc_lo, v2, v1, v2
	s_delay_alu instid0(VALU_DEP_2) | instskip(NEXT) | instid1(TRANS32_DEP_1)
	v_rcp_f32_e32 v4, v3
	v_fma_f32 v5, -v3, v4, 1.0
	s_delay_alu instid0(VALU_DEP_1) | instskip(NEXT) | instid1(VALU_DEP_1)
	v_fmac_f32_e32 v4, v5, v4
	v_mul_f32_e32 v5, v6, v4
	s_delay_alu instid0(VALU_DEP_1) | instskip(NEXT) | instid1(VALU_DEP_1)
	v_fma_f32 v9, -v3, v5, v6
	v_fmac_f32_e32 v5, v9, v4
	s_delay_alu instid0(VALU_DEP_1) | instskip(SKIP_1) | instid1(VALU_DEP_1)
	v_fma_f32 v3, -v3, v5, v6
	s_wait_alu 0xfffd
	v_div_fmas_f32 v3, v3, v4, v5
	s_delay_alu instid0(VALU_DEP_1) | instskip(NEXT) | instid1(VALU_DEP_1)
	v_div_fixup_f32 v4, v3, v1, v2
	v_fmac_f32_e32 v1, v2, v4
	s_delay_alu instid0(VALU_DEP_1) | instskip(SKIP_1) | instid1(VALU_DEP_2)
	v_div_scale_f32 v2, null, v1, v1, 1.0
	v_div_scale_f32 v6, vcc_lo, 1.0, v1, 1.0
	v_rcp_f32_e32 v3, v2
	s_delay_alu instid0(TRANS32_DEP_1) | instskip(NEXT) | instid1(VALU_DEP_1)
	v_fma_f32 v5, -v2, v3, 1.0
	v_fmac_f32_e32 v3, v5, v3
	s_delay_alu instid0(VALU_DEP_1) | instskip(NEXT) | instid1(VALU_DEP_1)
	v_mul_f32_e32 v5, v6, v3
	v_fma_f32 v9, -v2, v5, v6
	s_delay_alu instid0(VALU_DEP_1) | instskip(NEXT) | instid1(VALU_DEP_1)
	v_fmac_f32_e32 v5, v9, v3
	v_fma_f32 v2, -v2, v5, v6
	s_wait_alu 0xfffd
	s_delay_alu instid0(VALU_DEP_1) | instskip(NEXT) | instid1(VALU_DEP_1)
	v_div_fmas_f32 v2, v2, v3, v5
	v_div_fixup_f32 v3, v2, v1, 1.0
	s_delay_alu instid0(VALU_DEP_1)
	v_xor_b32_e32 v5, 0x80000000, v3
	v_mul_f32_e64 v4, v4, -v3
.LBB111_17:
	s_wait_alu 0xfffe
	s_or_b32 exec_lo, exec_lo, s1
	scratch_store_b64 v8, v[3:4], off
	scratch_load_b64 v[2:3], off, off offset:8
	v_xor_b32_e32 v6, 0x80000000, v4
	v_add_nc_u32_e32 v1, 0x180, v7
	s_wait_loadcnt 0x0
	ds_store_2addr_b64 v7, v[5:6], v[2:3] offset1:48
	s_wait_storecnt_dscnt 0x0
	s_barrier_signal -1
	s_barrier_wait -1
	global_inv scope:SCOPE_SE
	s_and_saveexec_b32 s1, s0
	s_cbranch_execz .LBB111_19
; %bb.18:
	scratch_load_b64 v[2:3], v8, off
	ds_load_b64 v[4:5], v1
	v_mov_b32_e32 v6, 0
	ds_load_b64 v[9:10], v6 offset:8
	s_wait_loadcnt_dscnt 0x1
	v_mul_f32_e32 v6, v4, v3
	v_mul_f32_e32 v3, v5, v3
	s_delay_alu instid0(VALU_DEP_2) | instskip(NEXT) | instid1(VALU_DEP_2)
	v_fmac_f32_e32 v6, v5, v2
	v_fma_f32 v2, v4, v2, -v3
	s_delay_alu instid0(VALU_DEP_2) | instskip(NEXT) | instid1(VALU_DEP_2)
	v_add_f32_e32 v4, 0, v6
	v_add_f32_e32 v2, 0, v2
	s_wait_dscnt 0x0
	s_delay_alu instid0(VALU_DEP_2) | instskip(NEXT) | instid1(VALU_DEP_2)
	v_mul_f32_e32 v5, v4, v10
	v_mul_f32_e32 v3, v2, v10
	s_delay_alu instid0(VALU_DEP_2) | instskip(NEXT) | instid1(VALU_DEP_2)
	v_fma_f32 v2, v2, v9, -v5
	v_fmac_f32_e32 v3, v4, v9
	scratch_store_b64 off, v[2:3], off offset:8
.LBB111_19:
	s_wait_alu 0xfffe
	s_or_b32 exec_lo, exec_lo, s1
	s_wait_loadcnt 0x0
	s_wait_storecnt 0x0
	s_barrier_signal -1
	s_barrier_wait -1
	global_inv scope:SCOPE_SE
	scratch_load_b64 v[2:3], off, off offset:16
	s_mov_b32 s1, exec_lo
	s_wait_loadcnt 0x0
	ds_store_b64 v1, v[2:3]
	s_wait_dscnt 0x0
	s_barrier_signal -1
	s_barrier_wait -1
	global_inv scope:SCOPE_SE
	v_cmpx_gt_u32_e32 2, v0
	s_cbranch_execz .LBB111_23
; %bb.20:
	scratch_load_b64 v[2:3], v8, off
	ds_load_b64 v[4:5], v1
	s_wait_loadcnt_dscnt 0x0
	v_mul_f32_e32 v6, v5, v3
	v_mul_f32_e32 v9, v4, v3
	s_delay_alu instid0(VALU_DEP_2) | instskip(NEXT) | instid1(VALU_DEP_2)
	v_fma_f32 v3, v4, v2, -v6
	v_fmac_f32_e32 v9, v5, v2
	s_delay_alu instid0(VALU_DEP_1)
	v_dual_add_f32 v3, 0, v3 :: v_dual_add_f32 v2, 0, v9
	s_and_saveexec_b32 s4, s0
	s_cbranch_execz .LBB111_22
; %bb.21:
	scratch_load_b64 v[4:5], off, off offset:8
	v_mov_b32_e32 v6, 0
	ds_load_b64 v[9:10], v6 offset:392
	s_wait_loadcnt_dscnt 0x0
	v_mul_f32_e32 v6, v9, v5
	v_mul_f32_e32 v5, v10, v5
	s_delay_alu instid0(VALU_DEP_2) | instskip(NEXT) | instid1(VALU_DEP_2)
	v_fmac_f32_e32 v6, v10, v4
	v_fma_f32 v4, v9, v4, -v5
	s_delay_alu instid0(VALU_DEP_1)
	v_dual_add_f32 v2, v2, v6 :: v_dual_add_f32 v3, v3, v4
.LBB111_22:
	s_wait_alu 0xfffe
	s_or_b32 exec_lo, exec_lo, s4
	v_mov_b32_e32 v4, 0
	ds_load_b64 v[4:5], v4 offset:16
	s_wait_dscnt 0x0
	v_mul_f32_e32 v9, v2, v5
	v_mul_f32_e32 v6, v3, v5
	s_delay_alu instid0(VALU_DEP_2) | instskip(NEXT) | instid1(VALU_DEP_2)
	v_fma_f32 v5, v3, v4, -v9
	v_fmac_f32_e32 v6, v2, v4
	scratch_store_b64 off, v[5:6], off offset:16
.LBB111_23:
	s_wait_alu 0xfffe
	s_or_b32 exec_lo, exec_lo, s1
	s_wait_loadcnt 0x0
	s_wait_storecnt 0x0
	s_barrier_signal -1
	s_barrier_wait -1
	global_inv scope:SCOPE_SE
	scratch_load_b64 v[3:4], off, off offset:24
	v_add_nc_u32_e32 v2, -1, v0
	s_mov_b32 s0, exec_lo
	s_wait_loadcnt 0x0
	ds_store_b64 v1, v[3:4]
	s_wait_dscnt 0x0
	s_barrier_signal -1
	s_barrier_wait -1
	global_inv scope:SCOPE_SE
	v_cmpx_gt_u32_e32 3, v0
	s_cbranch_execz .LBB111_27
; %bb.24:
	v_dual_mov_b32 v3, 0 :: v_dual_add_nc_u32 v4, -1, v0
	v_dual_mov_b32 v6, v7 :: v_dual_add_nc_u32 v5, 0x180, v7
	v_mov_b32_e32 v9, 0
	s_mov_b32 s1, 0
.LBB111_25:                             ; =>This Inner Loop Header: Depth=1
	scratch_load_b64 v[10:11], v6, off
	ds_load_b64 v[12:13], v5
	v_add_nc_u32_e32 v4, 1, v4
	v_add_nc_u32_e32 v5, 8, v5
	s_delay_alu instid0(VALU_DEP_2)
	v_cmp_lt_u32_e32 vcc_lo, 1, v4
	s_wait_alu 0xfffe
	s_or_b32 s1, vcc_lo, s1
	s_wait_loadcnt_dscnt 0x0
	v_mul_f32_e32 v14, v13, v11
	v_mul_f32_e32 v11, v12, v11
	s_delay_alu instid0(VALU_DEP_2) | instskip(NEXT) | instid1(VALU_DEP_2)
	v_fma_f32 v12, v12, v10, -v14
	v_fmac_f32_e32 v11, v13, v10
	s_delay_alu instid0(VALU_DEP_2) | instskip(NEXT) | instid1(VALU_DEP_2)
	v_dual_add_f32 v9, v9, v12 :: v_dual_add_nc_u32 v6, 8, v6
	v_add_f32_e32 v3, v3, v11
	s_wait_alu 0xfffe
	s_and_not1_b32 exec_lo, exec_lo, s1
	s_cbranch_execnz .LBB111_25
; %bb.26:
	s_or_b32 exec_lo, exec_lo, s1
	v_mov_b32_e32 v4, 0
	ds_load_b64 v[4:5], v4 offset:24
	s_wait_dscnt 0x0
	v_mul_f32_e32 v10, v3, v5
	v_mul_f32_e32 v6, v9, v5
	s_delay_alu instid0(VALU_DEP_2) | instskip(NEXT) | instid1(VALU_DEP_2)
	v_fma_f32 v5, v9, v4, -v10
	v_fmac_f32_e32 v6, v3, v4
	scratch_store_b64 off, v[5:6], off offset:24
.LBB111_27:
	s_wait_alu 0xfffe
	s_or_b32 exec_lo, exec_lo, s0
	s_wait_loadcnt 0x0
	s_wait_storecnt 0x0
	s_barrier_signal -1
	s_barrier_wait -1
	global_inv scope:SCOPE_SE
	scratch_load_b64 v[3:4], off, off offset:32
	s_mov_b32 s0, exec_lo
	s_wait_loadcnt 0x0
	ds_store_b64 v1, v[3:4]
	s_wait_dscnt 0x0
	s_barrier_signal -1
	s_barrier_wait -1
	global_inv scope:SCOPE_SE
	v_cmpx_gt_u32_e32 4, v0
	s_cbranch_execz .LBB111_31
; %bb.28:
	v_dual_mov_b32 v3, 0 :: v_dual_add_nc_u32 v4, -1, v0
	v_dual_mov_b32 v6, v7 :: v_dual_add_nc_u32 v5, 0x180, v7
	v_mov_b32_e32 v9, 0
	s_mov_b32 s1, 0
.LBB111_29:                             ; =>This Inner Loop Header: Depth=1
	scratch_load_b64 v[10:11], v6, off
	ds_load_b64 v[12:13], v5
	v_add_nc_u32_e32 v4, 1, v4
	v_add_nc_u32_e32 v5, 8, v5
	s_delay_alu instid0(VALU_DEP_2)
	v_cmp_lt_u32_e32 vcc_lo, 2, v4
	s_wait_alu 0xfffe
	s_or_b32 s1, vcc_lo, s1
	s_wait_loadcnt_dscnt 0x0
	v_mul_f32_e32 v14, v13, v11
	v_mul_f32_e32 v11, v12, v11
	s_delay_alu instid0(VALU_DEP_2) | instskip(NEXT) | instid1(VALU_DEP_2)
	v_fma_f32 v12, v12, v10, -v14
	v_fmac_f32_e32 v11, v13, v10
	s_delay_alu instid0(VALU_DEP_2) | instskip(NEXT) | instid1(VALU_DEP_2)
	v_dual_add_f32 v9, v9, v12 :: v_dual_add_nc_u32 v6, 8, v6
	v_add_f32_e32 v3, v3, v11
	s_wait_alu 0xfffe
	s_and_not1_b32 exec_lo, exec_lo, s1
	s_cbranch_execnz .LBB111_29
; %bb.30:
	s_or_b32 exec_lo, exec_lo, s1
	v_mov_b32_e32 v4, 0
	ds_load_b64 v[4:5], v4 offset:32
	s_wait_dscnt 0x0
	v_mul_f32_e32 v10, v3, v5
	v_mul_f32_e32 v6, v9, v5
	s_delay_alu instid0(VALU_DEP_2) | instskip(NEXT) | instid1(VALU_DEP_2)
	v_fma_f32 v5, v9, v4, -v10
	v_fmac_f32_e32 v6, v3, v4
	scratch_store_b64 off, v[5:6], off offset:32
.LBB111_31:
	s_wait_alu 0xfffe
	s_or_b32 exec_lo, exec_lo, s0
	s_wait_loadcnt 0x0
	s_wait_storecnt 0x0
	s_barrier_signal -1
	s_barrier_wait -1
	global_inv scope:SCOPE_SE
	scratch_load_b64 v[3:4], off, off offset:40
	;; [unrolled: 55-line block ×19, first 2 shown]
	s_mov_b32 s0, exec_lo
	s_wait_loadcnt 0x0
	ds_store_b64 v1, v[3:4]
	s_wait_dscnt 0x0
	s_barrier_signal -1
	s_barrier_wait -1
	global_inv scope:SCOPE_SE
	v_cmpx_gt_u32_e32 22, v0
	s_cbranch_execz .LBB111_103
; %bb.100:
	v_dual_mov_b32 v3, 0 :: v_dual_add_nc_u32 v4, -1, v0
	v_dual_mov_b32 v6, v7 :: v_dual_add_nc_u32 v5, 0x180, v7
	v_mov_b32_e32 v9, 0
	s_mov_b32 s1, 0
.LBB111_101:                            ; =>This Inner Loop Header: Depth=1
	scratch_load_b64 v[10:11], v6, off
	ds_load_b64 v[12:13], v5
	v_add_nc_u32_e32 v4, 1, v4
	v_add_nc_u32_e32 v5, 8, v5
	s_delay_alu instid0(VALU_DEP_2)
	v_cmp_lt_u32_e32 vcc_lo, 20, v4
	s_wait_alu 0xfffe
	s_or_b32 s1, vcc_lo, s1
	s_wait_loadcnt_dscnt 0x0
	v_mul_f32_e32 v14, v13, v11
	v_mul_f32_e32 v11, v12, v11
	s_delay_alu instid0(VALU_DEP_2) | instskip(NEXT) | instid1(VALU_DEP_2)
	v_fma_f32 v12, v12, v10, -v14
	v_fmac_f32_e32 v11, v13, v10
	s_delay_alu instid0(VALU_DEP_2) | instskip(NEXT) | instid1(VALU_DEP_2)
	v_dual_add_f32 v9, v9, v12 :: v_dual_add_nc_u32 v6, 8, v6
	v_add_f32_e32 v3, v3, v11
	s_wait_alu 0xfffe
	s_and_not1_b32 exec_lo, exec_lo, s1
	s_cbranch_execnz .LBB111_101
; %bb.102:
	s_or_b32 exec_lo, exec_lo, s1
	v_mov_b32_e32 v4, 0
	ds_load_b64 v[4:5], v4 offset:176
	s_wait_dscnt 0x0
	v_mul_f32_e32 v10, v3, v5
	v_mul_f32_e32 v6, v9, v5
	s_delay_alu instid0(VALU_DEP_2) | instskip(NEXT) | instid1(VALU_DEP_2)
	v_fma_f32 v5, v9, v4, -v10
	v_fmac_f32_e32 v6, v3, v4
	scratch_store_b64 off, v[5:6], off offset:176
.LBB111_103:
	s_wait_alu 0xfffe
	s_or_b32 exec_lo, exec_lo, s0
	s_wait_loadcnt 0x0
	s_wait_storecnt 0x0
	s_barrier_signal -1
	s_barrier_wait -1
	global_inv scope:SCOPE_SE
	scratch_load_b64 v[3:4], off, off offset:184
	s_mov_b32 s0, exec_lo
	s_wait_loadcnt 0x0
	ds_store_b64 v1, v[3:4]
	s_wait_dscnt 0x0
	s_barrier_signal -1
	s_barrier_wait -1
	global_inv scope:SCOPE_SE
	v_cmpx_gt_u32_e32 23, v0
	s_cbranch_execz .LBB111_107
; %bb.104:
	v_dual_mov_b32 v3, 0 :: v_dual_add_nc_u32 v4, -1, v0
	v_dual_mov_b32 v6, v7 :: v_dual_add_nc_u32 v5, 0x180, v7
	v_mov_b32_e32 v9, 0
	s_mov_b32 s1, 0
.LBB111_105:                            ; =>This Inner Loop Header: Depth=1
	scratch_load_b64 v[10:11], v6, off
	ds_load_b64 v[12:13], v5
	v_add_nc_u32_e32 v4, 1, v4
	v_add_nc_u32_e32 v5, 8, v5
	s_delay_alu instid0(VALU_DEP_2)
	v_cmp_lt_u32_e32 vcc_lo, 21, v4
	s_wait_alu 0xfffe
	s_or_b32 s1, vcc_lo, s1
	s_wait_loadcnt_dscnt 0x0
	v_mul_f32_e32 v14, v13, v11
	v_mul_f32_e32 v11, v12, v11
	s_delay_alu instid0(VALU_DEP_2) | instskip(NEXT) | instid1(VALU_DEP_2)
	v_fma_f32 v12, v12, v10, -v14
	v_fmac_f32_e32 v11, v13, v10
	s_delay_alu instid0(VALU_DEP_2) | instskip(NEXT) | instid1(VALU_DEP_2)
	v_dual_add_f32 v9, v9, v12 :: v_dual_add_nc_u32 v6, 8, v6
	v_add_f32_e32 v3, v3, v11
	s_wait_alu 0xfffe
	s_and_not1_b32 exec_lo, exec_lo, s1
	s_cbranch_execnz .LBB111_105
; %bb.106:
	s_or_b32 exec_lo, exec_lo, s1
	v_mov_b32_e32 v4, 0
	ds_load_b64 v[4:5], v4 offset:184
	s_wait_dscnt 0x0
	v_mul_f32_e32 v10, v3, v5
	v_mul_f32_e32 v6, v9, v5
	s_delay_alu instid0(VALU_DEP_2) | instskip(NEXT) | instid1(VALU_DEP_2)
	v_fma_f32 v5, v9, v4, -v10
	v_fmac_f32_e32 v6, v3, v4
	scratch_store_b64 off, v[5:6], off offset:184
.LBB111_107:
	s_wait_alu 0xfffe
	s_or_b32 exec_lo, exec_lo, s0
	s_wait_loadcnt 0x0
	s_wait_storecnt 0x0
	s_barrier_signal -1
	s_barrier_wait -1
	global_inv scope:SCOPE_SE
	scratch_load_b64 v[3:4], off, off offset:192
	;; [unrolled: 55-line block ×24, first 2 shown]
	s_mov_b32 s0, exec_lo
	s_wait_loadcnt 0x0
	ds_store_b64 v1, v[3:4]
	s_wait_dscnt 0x0
	s_barrier_signal -1
	s_barrier_wait -1
	global_inv scope:SCOPE_SE
	v_cmpx_gt_u32_e32 46, v0
	s_cbranch_execz .LBB111_199
; %bb.196:
	v_dual_mov_b32 v3, 0 :: v_dual_add_nc_u32 v4, -1, v0
	v_dual_mov_b32 v6, v7 :: v_dual_add_nc_u32 v5, 0x180, v7
	v_mov_b32_e32 v7, 0
	s_mov_b32 s1, 0
.LBB111_197:                            ; =>This Inner Loop Header: Depth=1
	scratch_load_b64 v[9:10], v6, off
	ds_load_b64 v[11:12], v5
	v_add_nc_u32_e32 v6, 8, v6
	v_add_nc_u32_e32 v4, 1, v4
	;; [unrolled: 1-line block ×3, first 2 shown]
	s_delay_alu instid0(VALU_DEP_2)
	v_cmp_lt_u32_e32 vcc_lo, 44, v4
	s_wait_alu 0xfffe
	s_or_b32 s1, vcc_lo, s1
	s_wait_loadcnt_dscnt 0x0
	v_mul_f32_e32 v13, v12, v10
	v_mul_f32_e32 v10, v11, v10
	s_delay_alu instid0(VALU_DEP_2) | instskip(NEXT) | instid1(VALU_DEP_1)
	v_fma_f32 v11, v11, v9, -v13
	v_dual_fmac_f32 v10, v12, v9 :: v_dual_add_f32 v7, v7, v11
	s_delay_alu instid0(VALU_DEP_1)
	v_add_f32_e32 v3, v3, v10
	s_wait_alu 0xfffe
	s_and_not1_b32 exec_lo, exec_lo, s1
	s_cbranch_execnz .LBB111_197
; %bb.198:
	s_or_b32 exec_lo, exec_lo, s1
	v_mov_b32_e32 v4, 0
	ds_load_b64 v[4:5], v4 offset:368
	s_wait_dscnt 0x0
	v_mul_f32_e32 v9, v3, v5
	v_mul_f32_e32 v6, v7, v5
	s_delay_alu instid0(VALU_DEP_2) | instskip(NEXT) | instid1(VALU_DEP_2)
	v_fma_f32 v5, v7, v4, -v9
	v_fmac_f32_e32 v6, v3, v4
	scratch_store_b64 off, v[5:6], off offset:368
.LBB111_199:
	s_wait_alu 0xfffe
	s_or_b32 exec_lo, exec_lo, s0
	s_wait_loadcnt 0x0
	s_wait_storecnt 0x0
	s_barrier_signal -1
	s_barrier_wait -1
	global_inv scope:SCOPE_SE
	scratch_load_b64 v[3:4], off, off offset:376
	s_mov_b32 s0, exec_lo
	s_wait_loadcnt 0x0
	ds_store_b64 v1, v[3:4]
	s_wait_dscnt 0x0
	s_barrier_signal -1
	s_barrier_wait -1
	global_inv scope:SCOPE_SE
	v_cmpx_ne_u32_e32 47, v0
	s_cbranch_execz .LBB111_203
; %bb.200:
	v_dual_mov_b32 v3, 0 :: v_dual_mov_b32 v4, 0
	s_mov_b32 s1, 0
.LBB111_201:                            ; =>This Inner Loop Header: Depth=1
	scratch_load_b64 v[5:6], v8, off
	ds_load_b64 v[9:10], v1
	v_add_nc_u32_e32 v2, 1, v2
	v_add_nc_u32_e32 v1, 8, v1
	;; [unrolled: 1-line block ×3, first 2 shown]
	s_delay_alu instid0(VALU_DEP_3)
	v_cmp_lt_u32_e32 vcc_lo, 45, v2
	s_wait_alu 0xfffe
	s_or_b32 s1, vcc_lo, s1
	s_wait_loadcnt_dscnt 0x0
	v_mul_f32_e32 v7, v10, v6
	v_mul_f32_e32 v6, v9, v6
	s_delay_alu instid0(VALU_DEP_2) | instskip(NEXT) | instid1(VALU_DEP_2)
	v_fma_f32 v7, v9, v5, -v7
	v_fmac_f32_e32 v6, v10, v5
	s_delay_alu instid0(VALU_DEP_1)
	v_dual_add_f32 v4, v4, v7 :: v_dual_add_f32 v3, v3, v6
	s_wait_alu 0xfffe
	s_and_not1_b32 exec_lo, exec_lo, s1
	s_cbranch_execnz .LBB111_201
; %bb.202:
	s_or_b32 exec_lo, exec_lo, s1
	v_mov_b32_e32 v1, 0
	ds_load_b64 v[1:2], v1 offset:376
	s_wait_dscnt 0x0
	v_mul_f32_e32 v6, v3, v2
	v_mul_f32_e32 v5, v4, v2
	s_delay_alu instid0(VALU_DEP_2) | instskip(NEXT) | instid1(VALU_DEP_2)
	v_fma_f32 v4, v4, v1, -v6
	v_fmac_f32_e32 v5, v3, v1
	scratch_store_b64 off, v[4:5], off offset:376
.LBB111_203:
	s_wait_alu 0xfffe
	s_or_b32 exec_lo, exec_lo, s0
	s_mov_b32 s1, -1
	s_wait_loadcnt 0x0
	s_wait_storecnt 0x0
	s_barrier_signal -1
	s_barrier_wait -1
	global_inv scope:SCOPE_SE
.LBB111_204:
	s_wait_alu 0xfffe
	s_and_b32 vcc_lo, exec_lo, s1
	s_wait_alu 0xfffe
	s_cbranch_vccz .LBB111_206
; %bb.205:
	v_mov_b32_e32 v1, 0
	s_lshl_b64 s[0:1], s[8:9], 2
	s_wait_alu 0xfffe
	s_add_nc_u64 s[0:1], s[6:7], s[0:1]
	global_load_b32 v1, v1, s[0:1]
	s_wait_loadcnt 0x0
	v_cmp_ne_u32_e32 vcc_lo, 0, v1
	s_cbranch_vccz .LBB111_207
.LBB111_206:
	s_nop 0
	s_sendmsg sendmsg(MSG_DEALLOC_VGPRS)
	s_endpgm
.LBB111_207:
	v_lshl_add_u32 v23, v0, 3, 0x180
	s_mov_b32 s0, exec_lo
	v_cmpx_eq_u32_e32 47, v0
	s_cbranch_execz .LBB111_209
; %bb.208:
	scratch_load_b64 v[1:2], off, off offset:368
	v_mov_b32_e32 v3, 0
	s_delay_alu instid0(VALU_DEP_1)
	v_mov_b32_e32 v4, v3
	scratch_store_b64 off, v[3:4], off offset:368
	s_wait_loadcnt 0x0
	ds_store_b64 v23, v[1:2]
.LBB111_209:
	s_wait_alu 0xfffe
	s_or_b32 exec_lo, exec_lo, s0
	s_wait_storecnt_dscnt 0x0
	s_barrier_signal -1
	s_barrier_wait -1
	global_inv scope:SCOPE_SE
	s_clause 0x1
	scratch_load_b64 v[2:3], off, off offset:376
	scratch_load_b64 v[4:5], off, off offset:368
	v_mov_b32_e32 v1, 0
	s_mov_b32 s0, exec_lo
	ds_load_b64 v[6:7], v1 offset:760
	s_wait_loadcnt_dscnt 0x100
	v_mul_f32_e32 v8, v7, v3
	v_mul_f32_e32 v3, v6, v3
	s_delay_alu instid0(VALU_DEP_2) | instskip(NEXT) | instid1(VALU_DEP_2)
	v_fma_f32 v6, v6, v2, -v8
	v_fmac_f32_e32 v3, v7, v2
	s_delay_alu instid0(VALU_DEP_1) | instskip(SKIP_1) | instid1(VALU_DEP_1)
	v_dual_add_f32 v2, 0, v6 :: v_dual_add_f32 v3, 0, v3
	s_wait_loadcnt 0x0
	v_dual_sub_f32 v2, v4, v2 :: v_dual_sub_f32 v3, v5, v3
	scratch_store_b64 off, v[2:3], off offset:368
	v_cmpx_lt_u32_e32 45, v0
	s_cbranch_execz .LBB111_211
; %bb.210:
	scratch_load_b64 v[3:4], off, off offset:360
	v_mov_b32_e32 v2, v1
	scratch_store_b64 off, v[1:2], off offset:360
	s_wait_loadcnt 0x0
	ds_store_b64 v23, v[3:4]
.LBB111_211:
	s_wait_alu 0xfffe
	s_or_b32 exec_lo, exec_lo, s0
	s_wait_storecnt_dscnt 0x0
	s_barrier_signal -1
	s_barrier_wait -1
	global_inv scope:SCOPE_SE
	s_clause 0x1
	scratch_load_b128 v[2:5], off, off offset:368
	scratch_load_b64 v[10:11], off, off offset:360
	ds_load_b128 v[6:9], v1 offset:752
	s_mov_b32 s0, exec_lo
	s_wait_loadcnt_dscnt 0x100
	v_dual_mul_f32 v1, v7, v3 :: v_dual_mul_f32 v12, v8, v5
	v_mul_f32_e32 v3, v6, v3
	s_delay_alu instid0(VALU_DEP_2) | instskip(NEXT) | instid1(VALU_DEP_2)
	v_fma_f32 v1, v6, v2, -v1
	v_dual_fmac_f32 v12, v9, v4 :: v_dual_fmac_f32 v3, v7, v2
	s_delay_alu instid0(VALU_DEP_2) | instskip(NEXT) | instid1(VALU_DEP_2)
	v_add_f32_e32 v1, 0, v1
	v_add_f32_e32 v3, 0, v3
	v_mul_f32_e32 v5, v9, v5
	s_delay_alu instid0(VALU_DEP_1) | instskip(NEXT) | instid1(VALU_DEP_1)
	v_fma_f32 v2, v8, v4, -v5
	v_dual_add_f32 v1, v1, v2 :: v_dual_add_f32 v2, v3, v12
	s_wait_loadcnt 0x0
	s_delay_alu instid0(VALU_DEP_1)
	v_dual_sub_f32 v1, v10, v1 :: v_dual_sub_f32 v2, v11, v2
	scratch_store_b64 off, v[1:2], off offset:360
	v_cmpx_lt_u32_e32 44, v0
	s_cbranch_execz .LBB111_213
; %bb.212:
	scratch_load_b64 v[1:2], off, off offset:352
	v_mov_b32_e32 v3, 0
	s_delay_alu instid0(VALU_DEP_1)
	v_mov_b32_e32 v4, v3
	scratch_store_b64 off, v[3:4], off offset:352
	s_wait_loadcnt 0x0
	ds_store_b64 v23, v[1:2]
.LBB111_213:
	s_wait_alu 0xfffe
	s_or_b32 exec_lo, exec_lo, s0
	s_wait_storecnt_dscnt 0x0
	s_barrier_signal -1
	s_barrier_wait -1
	global_inv scope:SCOPE_SE
	s_clause 0x2
	scratch_load_b128 v[2:5], off, off offset:360
	scratch_load_b64 v[10:11], off, off offset:376
	scratch_load_b64 v[12:13], off, off offset:352
	v_mov_b32_e32 v1, 0
	ds_load_2addr_b64 v[6:9], v1 offset0:93 offset1:94
	ds_load_b64 v[14:15], v1 offset:760
	s_mov_b32 s0, exec_lo
	s_wait_loadcnt_dscnt 0x201
	v_dual_mul_f32 v16, v7, v3 :: v_dual_mul_f32 v17, v8, v5
	s_wait_loadcnt_dscnt 0x100
	v_mul_f32_e32 v18, v14, v11
	v_mul_f32_e32 v3, v6, v3
	;; [unrolled: 1-line block ×3, first 2 shown]
	v_fma_f32 v6, v6, v2, -v16
	s_delay_alu instid0(VALU_DEP_4) | instskip(NEXT) | instid1(VALU_DEP_4)
	v_fmac_f32_e32 v18, v15, v10
	v_fmac_f32_e32 v3, v7, v2
	v_mul_f32_e32 v2, v15, v11
	s_delay_alu instid0(VALU_DEP_1) | instskip(SKIP_3) | instid1(VALU_DEP_1)
	v_fma_f32 v2, v14, v10, -v2
	v_fmac_f32_e32 v17, v9, v4
	v_fma_f32 v4, v8, v4, -v5
	v_add_f32_e32 v5, 0, v6
	v_add_f32_e32 v4, v5, v4
	s_delay_alu instid0(VALU_DEP_1) | instskip(SKIP_1) | instid1(VALU_DEP_1)
	v_dual_add_f32 v2, v4, v2 :: v_dual_add_f32 v3, 0, v3
	s_wait_loadcnt 0x0
	v_dual_sub_f32 v2, v12, v2 :: v_dual_add_f32 v3, v3, v17
	s_delay_alu instid0(VALU_DEP_1) | instskip(NEXT) | instid1(VALU_DEP_1)
	v_add_f32_e32 v3, v3, v18
	v_sub_f32_e32 v3, v13, v3
	scratch_store_b64 off, v[2:3], off offset:352
	v_cmpx_lt_u32_e32 43, v0
	s_cbranch_execz .LBB111_215
; %bb.214:
	scratch_load_b64 v[3:4], off, off offset:344
	v_mov_b32_e32 v2, v1
	scratch_store_b64 off, v[1:2], off offset:344
	s_wait_loadcnt 0x0
	ds_store_b64 v23, v[3:4]
.LBB111_215:
	s_wait_alu 0xfffe
	s_or_b32 exec_lo, exec_lo, s0
	s_wait_storecnt_dscnt 0x0
	s_barrier_signal -1
	s_barrier_wait -1
	global_inv scope:SCOPE_SE
	s_clause 0x2
	scratch_load_b128 v[2:5], off, off offset:352
	scratch_load_b128 v[6:9], off, off offset:368
	scratch_load_b64 v[18:19], off, off offset:344
	ds_load_b128 v[10:13], v1 offset:736
	ds_load_b128 v[14:17], v1 offset:752
	s_mov_b32 s0, exec_lo
	s_wait_loadcnt_dscnt 0x201
	v_dual_mul_f32 v1, v10, v3 :: v_dual_mul_f32 v20, v12, v5
	s_wait_loadcnt_dscnt 0x100
	v_dual_mul_f32 v3, v11, v3 :: v_dual_mul_f32 v22, v16, v9
	v_mul_f32_e32 v5, v13, v5
	s_delay_alu instid0(VALU_DEP_3) | instskip(NEXT) | instid1(VALU_DEP_3)
	v_dual_mul_f32 v21, v14, v7 :: v_dual_fmac_f32 v20, v13, v4
	v_fma_f32 v3, v10, v2, -v3
	s_delay_alu instid0(VALU_DEP_4) | instskip(SKIP_2) | instid1(VALU_DEP_4)
	v_dual_fmac_f32 v1, v11, v2 :: v_dual_fmac_f32 v22, v17, v8
	v_mul_f32_e32 v2, v15, v7
	v_fma_f32 v4, v12, v4, -v5
	v_add_f32_e32 v3, 0, v3
	v_fmac_f32_e32 v21, v15, v6
	s_delay_alu instid0(VALU_DEP_4) | instskip(NEXT) | instid1(VALU_DEP_3)
	v_fma_f32 v2, v14, v6, -v2
	v_add_f32_e32 v3, v3, v4
	s_delay_alu instid0(VALU_DEP_1) | instskip(NEXT) | instid1(VALU_DEP_1)
	v_dual_add_f32 v1, 0, v1 :: v_dual_add_f32 v2, v3, v2
	v_add_f32_e32 v1, v1, v20
	s_delay_alu instid0(VALU_DEP_1) | instskip(NEXT) | instid1(VALU_DEP_1)
	v_add_f32_e32 v1, v1, v21
	v_add_f32_e32 v3, v1, v22
	v_mul_f32_e32 v5, v17, v9
	s_delay_alu instid0(VALU_DEP_1) | instskip(NEXT) | instid1(VALU_DEP_1)
	v_fma_f32 v4, v16, v8, -v5
	v_add_f32_e32 v2, v2, v4
	s_wait_loadcnt 0x0
	s_delay_alu instid0(VALU_DEP_1)
	v_dual_sub_f32 v1, v18, v2 :: v_dual_sub_f32 v2, v19, v3
	scratch_store_b64 off, v[1:2], off offset:344
	v_cmpx_lt_u32_e32 42, v0
	s_cbranch_execz .LBB111_217
; %bb.216:
	scratch_load_b64 v[1:2], off, off offset:336
	v_mov_b32_e32 v3, 0
	s_delay_alu instid0(VALU_DEP_1)
	v_mov_b32_e32 v4, v3
	scratch_store_b64 off, v[3:4], off offset:336
	s_wait_loadcnt 0x0
	ds_store_b64 v23, v[1:2]
.LBB111_217:
	s_wait_alu 0xfffe
	s_or_b32 exec_lo, exec_lo, s0
	s_wait_storecnt_dscnt 0x0
	s_barrier_signal -1
	s_barrier_wait -1
	global_inv scope:SCOPE_SE
	s_clause 0x3
	scratch_load_b128 v[2:5], off, off offset:344
	scratch_load_b128 v[6:9], off, off offset:360
	scratch_load_b64 v[18:19], off, off offset:376
	scratch_load_b64 v[20:21], off, off offset:336
	v_mov_b32_e32 v1, 0
	ds_load_2addr_b64 v[10:13], v1 offset0:91 offset1:92
	ds_load_2addr_b64 v[14:17], v1 offset0:93 offset1:94
	ds_load_b64 v[24:25], v1 offset:760
	s_mov_b32 s0, exec_lo
	s_wait_loadcnt_dscnt 0x302
	v_mul_f32_e32 v22, v10, v3
	v_dual_mul_f32 v26, v12, v5 :: v_dual_mul_f32 v3, v11, v3
	s_wait_loadcnt_dscnt 0x100
	v_mul_f32_e32 v125, v24, v19
	s_delay_alu instid0(VALU_DEP_3)
	v_dual_mul_f32 v5, v13, v5 :: v_dual_fmac_f32 v22, v11, v2
	v_dual_mul_f32 v27, v14, v7 :: v_dual_mul_f32 v124, v16, v9
	v_fma_f32 v3, v10, v2, -v3
	v_mul_f32_e32 v2, v15, v7
	v_fmac_f32_e32 v26, v13, v4
	v_fma_f32 v4, v12, v4, -v5
	v_dual_add_f32 v5, 0, v22 :: v_dual_fmac_f32 v124, v17, v8
	v_add_f32_e32 v3, 0, v3
	v_fma_f32 v2, v14, v6, -v2
	v_fmac_f32_e32 v27, v15, v6
	v_fmac_f32_e32 v125, v25, v18
	s_delay_alu instid0(VALU_DEP_4) | instskip(NEXT) | instid1(VALU_DEP_1)
	v_dual_add_f32 v3, v3, v4 :: v_dual_add_f32 v4, v5, v26
	v_dual_mul_f32 v7, v17, v9 :: v_dual_add_f32 v2, v3, v2
	s_delay_alu instid0(VALU_DEP_2) | instskip(NEXT) | instid1(VALU_DEP_2)
	v_add_f32_e32 v3, v4, v27
	v_fma_f32 v6, v16, v8, -v7
	s_delay_alu instid0(VALU_DEP_1) | instskip(NEXT) | instid1(VALU_DEP_1)
	v_dual_mul_f32 v5, v25, v19 :: v_dual_add_f32 v2, v2, v6
	v_fma_f32 v4, v24, v18, -v5
	s_delay_alu instid0(VALU_DEP_1) | instskip(SKIP_1) | instid1(VALU_DEP_1)
	v_add_f32_e32 v2, v2, v4
	s_wait_loadcnt 0x0
	v_dual_add_f32 v3, v3, v124 :: v_dual_sub_f32 v2, v20, v2
	s_delay_alu instid0(VALU_DEP_1) | instskip(NEXT) | instid1(VALU_DEP_1)
	v_add_f32_e32 v3, v3, v125
	v_sub_f32_e32 v3, v21, v3
	scratch_store_b64 off, v[2:3], off offset:336
	v_cmpx_lt_u32_e32 41, v0
	s_cbranch_execz .LBB111_219
; %bb.218:
	scratch_load_b64 v[3:4], off, off offset:328
	v_mov_b32_e32 v2, v1
	scratch_store_b64 off, v[1:2], off offset:328
	s_wait_loadcnt 0x0
	ds_store_b64 v23, v[3:4]
.LBB111_219:
	s_wait_alu 0xfffe
	s_or_b32 exec_lo, exec_lo, s0
	s_wait_storecnt_dscnt 0x0
	s_barrier_signal -1
	s_barrier_wait -1
	global_inv scope:SCOPE_SE
	s_clause 0x3
	scratch_load_b128 v[2:5], off, off offset:336
	scratch_load_b128 v[6:9], off, off offset:352
	;; [unrolled: 1-line block ×3, first 2 shown]
	scratch_load_b64 v[124:125], off, off offset:328
	ds_load_b128 v[14:17], v1 offset:720
	ds_load_b128 v[18:21], v1 offset:736
	;; [unrolled: 1-line block ×3, first 2 shown]
	s_mov_b32 s0, exec_lo
	s_wait_loadcnt_dscnt 0x302
	v_dual_mul_f32 v1, v14, v3 :: v_dual_mul_f32 v22, v16, v5
	v_mul_f32_e32 v3, v15, v3
	s_wait_loadcnt_dscnt 0x201
	v_dual_mul_f32 v5, v17, v5 :: v_dual_mul_f32 v126, v18, v7
	s_delay_alu instid0(VALU_DEP_3) | instskip(NEXT) | instid1(VALU_DEP_3)
	v_dual_mul_f32 v127, v20, v9 :: v_dual_fmac_f32 v22, v17, v4
	v_fma_f32 v3, v14, v2, -v3
	v_fmac_f32_e32 v1, v15, v2
	v_mul_f32_e32 v2, v19, v7
	v_fma_f32 v4, v16, v4, -v5
	s_wait_loadcnt_dscnt 0x100
	v_dual_mul_f32 v128, v24, v11 :: v_dual_mul_f32 v129, v26, v13
	v_dual_add_f32 v3, 0, v3 :: v_dual_fmac_f32 v126, v19, v6
	v_fma_f32 v2, v18, v6, -v2
	s_delay_alu instid0(VALU_DEP_3) | instskip(NEXT) | instid1(VALU_DEP_3)
	v_dual_fmac_f32 v128, v25, v10 :: v_dual_fmac_f32 v129, v27, v12
	v_dual_add_f32 v3, v3, v4 :: v_dual_mul_f32 v4, v25, v11
	s_delay_alu instid0(VALU_DEP_1) | instskip(NEXT) | instid1(VALU_DEP_2)
	v_dual_add_f32 v1, 0, v1 :: v_dual_add_f32 v2, v3, v2
	v_fma_f32 v4, v24, v10, -v4
	v_mul_f32_e32 v5, v21, v9
	v_mul_f32_e32 v3, v27, v13
	s_delay_alu instid0(VALU_DEP_2) | instskip(SKIP_1) | instid1(VALU_DEP_3)
	v_fma_f32 v5, v20, v8, -v5
	v_add_f32_e32 v1, v1, v22
	v_fma_f32 v3, v26, v12, -v3
	s_delay_alu instid0(VALU_DEP_2) | instskip(NEXT) | instid1(VALU_DEP_1)
	v_dual_add_f32 v2, v2, v5 :: v_dual_add_f32 v1, v1, v126
	v_add_f32_e32 v2, v2, v4
	s_delay_alu instid0(VALU_DEP_1) | instskip(NEXT) | instid1(VALU_DEP_1)
	v_dual_fmac_f32 v127, v21, v8 :: v_dual_add_f32 v2, v2, v3
	v_add_f32_e32 v1, v1, v127
	s_delay_alu instid0(VALU_DEP_1) | instskip(NEXT) | instid1(VALU_DEP_1)
	v_add_f32_e32 v1, v1, v128
	v_add_f32_e32 v3, v1, v129
	s_wait_loadcnt 0x0
	s_delay_alu instid0(VALU_DEP_1)
	v_dual_sub_f32 v1, v124, v2 :: v_dual_sub_f32 v2, v125, v3
	scratch_store_b64 off, v[1:2], off offset:328
	v_cmpx_lt_u32_e32 40, v0
	s_cbranch_execz .LBB111_221
; %bb.220:
	scratch_load_b64 v[1:2], off, off offset:320
	v_mov_b32_e32 v3, 0
	s_delay_alu instid0(VALU_DEP_1)
	v_mov_b32_e32 v4, v3
	scratch_store_b64 off, v[3:4], off offset:320
	s_wait_loadcnt 0x0
	ds_store_b64 v23, v[1:2]
.LBB111_221:
	s_wait_alu 0xfffe
	s_or_b32 exec_lo, exec_lo, s0
	s_wait_storecnt_dscnt 0x0
	s_barrier_signal -1
	s_barrier_wait -1
	global_inv scope:SCOPE_SE
	s_clause 0x4
	scratch_load_b128 v[2:5], off, off offset:328
	scratch_load_b128 v[6:9], off, off offset:344
	scratch_load_b128 v[10:13], off, off offset:360
	scratch_load_b64 v[124:125], off, off offset:376
	scratch_load_b64 v[126:127], off, off offset:320
	v_mov_b32_e32 v1, 0
	ds_load_2addr_b64 v[14:17], v1 offset0:89 offset1:90
	ds_load_2addr_b64 v[18:21], v1 offset0:91 offset1:92
	;; [unrolled: 1-line block ×3, first 2 shown]
	ds_load_b64 v[128:129], v1 offset:760
	s_mov_b32 s0, exec_lo
	s_wait_loadcnt_dscnt 0x403
	v_mul_f32_e32 v22, v14, v3
	s_wait_loadcnt_dscnt 0x302
	v_dual_mul_f32 v132, v20, v9 :: v_dual_mul_f32 v3, v15, v3
	v_dual_mul_f32 v130, v16, v5 :: v_dual_mul_f32 v131, v18, v7
	s_wait_loadcnt_dscnt 0x100
	v_dual_mul_f32 v135, v128, v125 :: v_dual_fmac_f32 v22, v15, v2
	v_mul_f32_e32 v5, v17, v5
	v_fma_f32 v3, v14, v2, -v3
	v_mul_f32_e32 v2, v19, v7
	v_fmac_f32_e32 v130, v17, v4
	v_fmac_f32_e32 v132, v21, v8
	v_fma_f32 v4, v16, v4, -v5
	v_add_f32_e32 v3, 0, v3
	v_add_f32_e32 v5, 0, v22
	v_fma_f32 v2, v18, v6, -v2
	v_fmac_f32_e32 v131, v19, v6
	v_dual_mul_f32 v133, v24, v11 :: v_dual_mul_f32 v134, v26, v13
	s_delay_alu instid0(VALU_DEP_4) | instskip(SKIP_1) | instid1(VALU_DEP_3)
	v_dual_add_f32 v3, v3, v4 :: v_dual_add_f32 v4, v5, v130
	v_mul_f32_e32 v7, v21, v9
	v_dual_mul_f32 v5, v25, v11 :: v_dual_fmac_f32 v134, v27, v12
	s_delay_alu instid0(VALU_DEP_3) | instskip(NEXT) | instid1(VALU_DEP_3)
	v_add_f32_e32 v2, v3, v2
	v_fma_f32 v6, v20, v8, -v7
	s_delay_alu instid0(VALU_DEP_1) | instskip(SKIP_3) | instid1(VALU_DEP_3)
	v_add_f32_e32 v2, v2, v6
	v_dual_mul_f32 v6, v129, v125 :: v_dual_add_f32 v3, v4, v131
	v_mul_f32_e32 v4, v27, v13
	v_fma_f32 v5, v24, v10, -v5
	v_add_f32_e32 v3, v3, v132
	s_delay_alu instid0(VALU_DEP_2) | instskip(NEXT) | instid1(VALU_DEP_4)
	v_dual_fmac_f32 v133, v25, v10 :: v_dual_add_f32 v2, v2, v5
	v_fma_f32 v4, v26, v12, -v4
	v_fma_f32 v5, v128, v124, -v6
	s_delay_alu instid0(VALU_DEP_2) | instskip(SKIP_1) | instid1(VALU_DEP_2)
	v_dual_add_f32 v3, v3, v133 :: v_dual_add_f32 v2, v2, v4
	v_fmac_f32_e32 v135, v129, v124
	v_dual_add_f32 v3, v3, v134 :: v_dual_add_f32 v2, v2, v5
	s_wait_loadcnt 0x0
	s_delay_alu instid0(VALU_DEP_1) | instskip(NEXT) | instid1(VALU_DEP_1)
	v_dual_add_f32 v3, v3, v135 :: v_dual_sub_f32 v2, v126, v2
	v_sub_f32_e32 v3, v127, v3
	scratch_store_b64 off, v[2:3], off offset:320
	v_cmpx_lt_u32_e32 39, v0
	s_cbranch_execz .LBB111_223
; %bb.222:
	scratch_load_b64 v[3:4], off, off offset:312
	v_mov_b32_e32 v2, v1
	scratch_store_b64 off, v[1:2], off offset:312
	s_wait_loadcnt 0x0
	ds_store_b64 v23, v[3:4]
.LBB111_223:
	s_wait_alu 0xfffe
	s_or_b32 exec_lo, exec_lo, s0
	s_wait_storecnt_dscnt 0x0
	s_barrier_signal -1
	s_barrier_wait -1
	global_inv scope:SCOPE_SE
	s_clause 0x4
	scratch_load_b128 v[2:5], off, off offset:320
	scratch_load_b128 v[6:9], off, off offset:336
	;; [unrolled: 1-line block ×4, first 2 shown]
	scratch_load_b64 v[132:133], off, off offset:312
	ds_load_b128 v[18:21], v1 offset:704
	ds_load_b128 v[24:27], v1 offset:720
	ds_load_b128 v[124:127], v1 offset:736
	ds_load_b128 v[128:131], v1 offset:752
	s_mov_b32 s0, exec_lo
	s_wait_loadcnt_dscnt 0x403
	v_dual_mul_f32 v1, v18, v3 :: v_dual_mul_f32 v22, v20, v5
	v_mul_f32_e32 v3, v19, v3
	s_wait_loadcnt_dscnt 0x302
	v_dual_mul_f32 v134, v24, v7 :: v_dual_mul_f32 v135, v26, v9
	s_delay_alu instid0(VALU_DEP_3) | instskip(NEXT) | instid1(VALU_DEP_3)
	v_dual_fmac_f32 v1, v19, v2 :: v_dual_fmac_f32 v22, v21, v4
	v_fma_f32 v3, v18, v2, -v3
	v_mul_f32_e32 v2, v25, v7
	s_wait_loadcnt_dscnt 0x201
	v_dual_mul_f32 v136, v124, v11 :: v_dual_mul_f32 v137, v126, v13
	s_delay_alu instid0(VALU_DEP_3) | instskip(NEXT) | instid1(VALU_DEP_3)
	v_dual_fmac_f32 v134, v25, v6 :: v_dual_add_f32 v3, 0, v3
	v_fma_f32 v2, v24, v6, -v2
	v_mul_f32_e32 v5, v21, v5
	s_delay_alu instid0(VALU_DEP_4) | instskip(SKIP_2) | instid1(VALU_DEP_3)
	v_dual_fmac_f32 v136, v125, v10 :: v_dual_add_f32 v1, 0, v1
	s_wait_loadcnt_dscnt 0x100
	v_dual_mul_f32 v138, v128, v15 :: v_dual_mul_f32 v139, v130, v17
	v_fma_f32 v4, v20, v4, -v5
	v_mul_f32_e32 v5, v27, v9
	s_delay_alu instid0(VALU_DEP_3) | instskip(NEXT) | instid1(VALU_DEP_4)
	v_dual_fmac_f32 v135, v27, v8 :: v_dual_fmac_f32 v138, v129, v14
	v_fmac_f32_e32 v139, v131, v16
	s_delay_alu instid0(VALU_DEP_3) | instskip(SKIP_1) | instid1(VALU_DEP_1)
	v_fma_f32 v5, v26, v8, -v5
	v_dual_add_f32 v3, v3, v4 :: v_dual_mul_f32 v4, v125, v11
	v_add_f32_e32 v2, v3, v2
	v_mul_f32_e32 v3, v127, v13
	s_delay_alu instid0(VALU_DEP_3) | instskip(NEXT) | instid1(VALU_DEP_3)
	v_fma_f32 v4, v124, v10, -v4
	v_dual_add_f32 v2, v2, v5 :: v_dual_add_f32 v1, v1, v22
	v_mul_f32_e32 v5, v129, v15
	s_delay_alu instid0(VALU_DEP_4) | instskip(NEXT) | instid1(VALU_DEP_3)
	v_fma_f32 v3, v126, v12, -v3
	v_dual_add_f32 v2, v2, v4 :: v_dual_add_f32 v1, v1, v134
	v_mul_f32_e32 v4, v131, v17
	v_fmac_f32_e32 v137, v127, v12
	v_fma_f32 v5, v128, v14, -v5
	s_delay_alu instid0(VALU_DEP_4) | instskip(SKIP_2) | instid1(VALU_DEP_2)
	v_add_f32_e32 v2, v2, v3
	v_add_f32_e32 v1, v1, v135
	v_fma_f32 v3, v130, v16, -v4
	v_dual_add_f32 v2, v2, v5 :: v_dual_add_f32 v1, v1, v136
	s_delay_alu instid0(VALU_DEP_1) | instskip(NEXT) | instid1(VALU_DEP_1)
	v_dual_add_f32 v2, v2, v3 :: v_dual_add_f32 v1, v1, v137
	v_add_f32_e32 v1, v1, v138
	s_delay_alu instid0(VALU_DEP_1) | instskip(SKIP_1) | instid1(VALU_DEP_1)
	v_add_f32_e32 v3, v1, v139
	s_wait_loadcnt 0x0
	v_dual_sub_f32 v1, v132, v2 :: v_dual_sub_f32 v2, v133, v3
	scratch_store_b64 off, v[1:2], off offset:312
	v_cmpx_lt_u32_e32 38, v0
	s_cbranch_execz .LBB111_225
; %bb.224:
	scratch_load_b64 v[1:2], off, off offset:304
	v_mov_b32_e32 v3, 0
	s_delay_alu instid0(VALU_DEP_1)
	v_mov_b32_e32 v4, v3
	scratch_store_b64 off, v[3:4], off offset:304
	s_wait_loadcnt 0x0
	ds_store_b64 v23, v[1:2]
.LBB111_225:
	s_wait_alu 0xfffe
	s_or_b32 exec_lo, exec_lo, s0
	s_wait_storecnt_dscnt 0x0
	s_barrier_signal -1
	s_barrier_wait -1
	global_inv scope:SCOPE_SE
	s_clause 0x5
	scratch_load_b128 v[2:5], off, off offset:312
	scratch_load_b128 v[6:9], off, off offset:328
	;; [unrolled: 1-line block ×4, first 2 shown]
	scratch_load_b64 v[132:133], off, off offset:376
	scratch_load_b64 v[134:135], off, off offset:304
	v_mov_b32_e32 v1, 0
	ds_load_2addr_b64 v[18:21], v1 offset0:87 offset1:88
	ds_load_2addr_b64 v[24:27], v1 offset0:89 offset1:90
	;; [unrolled: 1-line block ×4, first 2 shown]
	ds_load_b64 v[136:137], v1 offset:760
	s_mov_b32 s0, exec_lo
	s_wait_loadcnt_dscnt 0x504
	v_mul_f32_e32 v22, v18, v3
	v_dual_mul_f32 v138, v20, v5 :: v_dual_mul_f32 v3, v19, v3
	s_wait_loadcnt_dscnt 0x403
	v_dual_mul_f32 v139, v24, v7 :: v_dual_mul_f32 v140, v26, v9
	v_mul_f32_e32 v5, v21, v5
	s_wait_loadcnt_dscnt 0x100
	v_dual_mul_f32 v145, v136, v133 :: v_dual_fmac_f32 v22, v19, v2
	v_fma_f32 v3, v18, v2, -v3
	v_mul_f32_e32 v2, v25, v7
	v_fmac_f32_e32 v138, v21, v4
	v_fmac_f32_e32 v140, v27, v8
	v_fma_f32 v4, v20, v4, -v5
	v_add_f32_e32 v3, 0, v3
	v_add_f32_e32 v5, 0, v22
	v_mul_f32_e32 v7, v27, v9
	v_fma_f32 v2, v24, v6, -v2
	v_fmac_f32_e32 v139, v25, v6
	s_delay_alu instid0(VALU_DEP_4) | instskip(SKIP_3) | instid1(VALU_DEP_4)
	v_dual_add_f32 v3, v3, v4 :: v_dual_add_f32 v4, v5, v138
	v_mul_f32_e32 v5, v125, v11
	v_fma_f32 v6, v26, v8, -v7
	v_dual_mul_f32 v141, v124, v11 :: v_dual_mul_f32 v142, v126, v13
	v_dual_add_f32 v2, v3, v2 :: v_dual_add_f32 v3, v4, v139
	v_mul_f32_e32 v4, v127, v13
	v_fma_f32 v5, v124, v10, -v5
	s_delay_alu instid0(VALU_DEP_4) | instskip(NEXT) | instid1(VALU_DEP_4)
	v_fmac_f32_e32 v142, v127, v12
	v_add_f32_e32 v2, v2, v6
	v_fmac_f32_e32 v141, v125, v10
	v_dual_add_f32 v3, v3, v140 :: v_dual_mul_f32 v6, v129, v15
	v_fma_f32 v4, v126, v12, -v4
	s_delay_alu instid0(VALU_DEP_4) | instskip(SKIP_1) | instid1(VALU_DEP_4)
	v_dual_add_f32 v2, v2, v5 :: v_dual_mul_f32 v143, v128, v15
	v_mul_f32_e32 v144, v130, v17
	v_add_f32_e32 v3, v3, v141
	v_fma_f32 v6, v128, v14, -v6
	s_delay_alu instid0(VALU_DEP_4) | instskip(NEXT) | instid1(VALU_DEP_4)
	v_dual_add_f32 v2, v2, v4 :: v_dual_mul_f32 v5, v131, v17
	v_dual_fmac_f32 v143, v129, v14 :: v_dual_fmac_f32 v144, v131, v16
	s_delay_alu instid0(VALU_DEP_4) | instskip(NEXT) | instid1(VALU_DEP_3)
	v_dual_add_f32 v3, v3, v142 :: v_dual_mul_f32 v4, v137, v133
	v_add_f32_e32 v2, v2, v6
	s_delay_alu instid0(VALU_DEP_4) | instskip(NEXT) | instid1(VALU_DEP_3)
	v_fma_f32 v5, v130, v16, -v5
	v_add_f32_e32 v3, v3, v143
	s_delay_alu instid0(VALU_DEP_4) | instskip(NEXT) | instid1(VALU_DEP_2)
	v_fma_f32 v4, v136, v132, -v4
	v_dual_add_f32 v2, v2, v5 :: v_dual_add_f32 v3, v3, v144
	s_delay_alu instid0(VALU_DEP_1) | instskip(SKIP_1) | instid1(VALU_DEP_1)
	v_add_f32_e32 v2, v2, v4
	s_wait_loadcnt 0x0
	v_dual_fmac_f32 v145, v137, v132 :: v_dual_sub_f32 v2, v134, v2
	s_delay_alu instid0(VALU_DEP_1) | instskip(NEXT) | instid1(VALU_DEP_1)
	v_add_f32_e32 v3, v3, v145
	v_sub_f32_e32 v3, v135, v3
	scratch_store_b64 off, v[2:3], off offset:304
	v_cmpx_lt_u32_e32 37, v0
	s_cbranch_execz .LBB111_227
; %bb.226:
	scratch_load_b64 v[3:4], off, off offset:296
	v_mov_b32_e32 v2, v1
	scratch_store_b64 off, v[1:2], off offset:296
	s_wait_loadcnt 0x0
	ds_store_b64 v23, v[3:4]
.LBB111_227:
	s_wait_alu 0xfffe
	s_or_b32 exec_lo, exec_lo, s0
	s_wait_storecnt_dscnt 0x0
	s_barrier_signal -1
	s_barrier_wait -1
	global_inv scope:SCOPE_SE
	s_clause 0x5
	scratch_load_b128 v[2:5], off, off offset:304
	scratch_load_b128 v[6:9], off, off offset:320
	;; [unrolled: 1-line block ×5, first 2 shown]
	scratch_load_b64 v[140:141], off, off offset:296
	ds_load_b128 v[24:27], v1 offset:688
	ds_load_b128 v[124:127], v1 offset:704
	;; [unrolled: 1-line block ×5, first 2 shown]
	s_mov_b32 s0, exec_lo
	s_wait_loadcnt_dscnt 0x504
	v_dual_mul_f32 v1, v24, v3 :: v_dual_mul_f32 v22, v26, v5
	v_mul_f32_e32 v3, v25, v3
	s_wait_loadcnt_dscnt 0x403
	v_dual_mul_f32 v5, v27, v5 :: v_dual_mul_f32 v142, v124, v7
	s_delay_alu instid0(VALU_DEP_3) | instskip(NEXT) | instid1(VALU_DEP_3)
	v_dual_mul_f32 v143, v126, v9 :: v_dual_fmac_f32 v22, v27, v4
	v_fma_f32 v3, v24, v2, -v3
	v_fmac_f32_e32 v1, v25, v2
	v_mul_f32_e32 v2, v125, v7
	v_fma_f32 v4, v26, v4, -v5
	s_wait_loadcnt_dscnt 0x302
	v_dual_mul_f32 v144, v128, v11 :: v_dual_mul_f32 v145, v130, v13
	v_dual_add_f32 v3, 0, v3 :: v_dual_fmac_f32 v142, v125, v6
	s_wait_loadcnt_dscnt 0x201
	v_dual_mul_f32 v146, v132, v15 :: v_dual_mul_f32 v147, v134, v17
	s_delay_alu instid0(VALU_DEP_3) | instskip(SKIP_1) | instid1(VALU_DEP_3)
	v_dual_mul_f32 v5, v127, v9 :: v_dual_fmac_f32 v144, v129, v10
	v_fma_f32 v2, v124, v6, -v2
	v_dual_add_f32 v3, v3, v4 :: v_dual_fmac_f32 v146, v133, v14
	s_delay_alu instid0(VALU_DEP_3)
	v_fma_f32 v5, v126, v8, -v5
	v_mul_f32_e32 v4, v129, v11
	s_wait_loadcnt_dscnt 0x100
	v_dual_mul_f32 v148, v136, v19 :: v_dual_mul_f32 v149, v138, v21
	v_add_f32_e32 v2, v3, v2
	v_mul_f32_e32 v3, v131, v13
	v_fma_f32 v4, v128, v10, -v4
	s_delay_alu instid0(VALU_DEP_4) | instskip(NEXT) | instid1(VALU_DEP_4)
	v_dual_fmac_f32 v148, v137, v18 :: v_dual_fmac_f32 v147, v135, v16
	v_add_f32_e32 v2, v2, v5
	v_add_f32_e32 v1, 0, v1
	v_fma_f32 v3, v130, v12, -v3
	v_fmac_f32_e32 v149, v139, v20
	s_delay_alu instid0(VALU_DEP_3) | instskip(SKIP_1) | instid1(VALU_DEP_2)
	v_dual_add_f32 v2, v2, v4 :: v_dual_add_f32 v1, v1, v22
	v_mul_f32_e32 v4, v135, v17
	v_dual_fmac_f32 v143, v127, v8 :: v_dual_add_f32 v2, v2, v3
	s_delay_alu instid0(VALU_DEP_3) | instskip(NEXT) | instid1(VALU_DEP_3)
	v_add_f32_e32 v1, v1, v142
	v_fma_f32 v4, v134, v16, -v4
	v_mul_f32_e32 v5, v133, v15
	v_mul_f32_e32 v3, v137, v19
	s_delay_alu instid0(VALU_DEP_4) | instskip(NEXT) | instid1(VALU_DEP_3)
	v_add_f32_e32 v1, v1, v143
	v_fma_f32 v5, v132, v14, -v5
	v_fmac_f32_e32 v145, v131, v12
	s_delay_alu instid0(VALU_DEP_4) | instskip(NEXT) | instid1(VALU_DEP_3)
	v_fma_f32 v3, v136, v18, -v3
	v_add_f32_e32 v2, v2, v5
	s_delay_alu instid0(VALU_DEP_1) | instskip(SKIP_1) | instid1(VALU_DEP_2)
	v_dual_mul_f32 v5, v139, v21 :: v_dual_add_f32 v2, v2, v4
	v_add_f32_e32 v1, v1, v144
	v_fma_f32 v4, v138, v20, -v5
	s_delay_alu instid0(VALU_DEP_2) | instskip(NEXT) | instid1(VALU_DEP_1)
	v_dual_add_f32 v2, v2, v3 :: v_dual_add_f32 v1, v1, v145
	v_dual_add_f32 v2, v2, v4 :: v_dual_add_f32 v1, v1, v146
	s_delay_alu instid0(VALU_DEP_1) | instskip(NEXT) | instid1(VALU_DEP_1)
	v_add_f32_e32 v1, v1, v147
	v_add_f32_e32 v1, v1, v148
	s_delay_alu instid0(VALU_DEP_1) | instskip(SKIP_1) | instid1(VALU_DEP_1)
	v_add_f32_e32 v3, v1, v149
	s_wait_loadcnt 0x0
	v_dual_sub_f32 v1, v140, v2 :: v_dual_sub_f32 v2, v141, v3
	scratch_store_b64 off, v[1:2], off offset:296
	v_cmpx_lt_u32_e32 36, v0
	s_cbranch_execz .LBB111_229
; %bb.228:
	scratch_load_b64 v[1:2], off, off offset:288
	v_mov_b32_e32 v3, 0
	s_delay_alu instid0(VALU_DEP_1)
	v_mov_b32_e32 v4, v3
	scratch_store_b64 off, v[3:4], off offset:288
	s_wait_loadcnt 0x0
	ds_store_b64 v23, v[1:2]
.LBB111_229:
	s_wait_alu 0xfffe
	s_or_b32 exec_lo, exec_lo, s0
	s_wait_storecnt_dscnt 0x0
	s_barrier_signal -1
	s_barrier_wait -1
	global_inv scope:SCOPE_SE
	s_clause 0x6
	scratch_load_b128 v[2:5], off, off offset:296
	scratch_load_b128 v[6:9], off, off offset:312
	scratch_load_b128 v[10:13], off, off offset:328
	scratch_load_b128 v[14:17], off, off offset:344
	scratch_load_b128 v[18:21], off, off offset:360
	scratch_load_b64 v[140:141], off, off offset:376
	scratch_load_b64 v[142:143], off, off offset:288
	v_mov_b32_e32 v1, 0
	ds_load_2addr_b64 v[24:27], v1 offset0:85 offset1:86
	ds_load_2addr_b64 v[124:127], v1 offset0:87 offset1:88
	;; [unrolled: 1-line block ×5, first 2 shown]
	ds_load_b64 v[144:145], v1 offset:760
	s_mov_b32 s0, exec_lo
	s_wait_loadcnt_dscnt 0x605
	v_mul_f32_e32 v22, v24, v3
	v_dual_mul_f32 v3, v25, v3 :: v_dual_mul_f32 v146, v26, v5
	s_wait_loadcnt_dscnt 0x302
	v_dual_mul_f32 v147, v124, v7 :: v_dual_mul_f32 v152, v134, v17
	v_mul_f32_e32 v5, v27, v5
	s_delay_alu instid0(VALU_DEP_3)
	v_fma_f32 v3, v24, v2, -v3
	v_dual_mul_f32 v148, v126, v9 :: v_dual_mul_f32 v149, v128, v11
	s_wait_loadcnt_dscnt 0x100
	v_dual_mul_f32 v155, v144, v141 :: v_dual_fmac_f32 v22, v25, v2
	v_mul_f32_e32 v2, v125, v7
	v_dual_fmac_f32 v146, v27, v4 :: v_dual_add_f32 v3, 0, v3
	v_fma_f32 v4, v26, v4, -v5
	s_delay_alu instid0(VALU_DEP_4) | instskip(SKIP_2) | instid1(VALU_DEP_4)
	v_dual_add_f32 v5, 0, v22 :: v_dual_fmac_f32 v148, v127, v8
	v_mul_f32_e32 v7, v127, v9
	v_fma_f32 v2, v124, v6, -v2
	v_add_f32_e32 v3, v3, v4
	v_fmac_f32_e32 v147, v125, v6
	v_add_f32_e32 v4, v5, v146
	v_mul_f32_e32 v5, v129, v11
	v_fma_f32 v6, v126, v8, -v7
	v_add_f32_e32 v2, v3, v2
	v_dual_mul_f32 v150, v130, v13 :: v_dual_mul_f32 v151, v132, v15
	v_dual_add_f32 v3, v4, v147 :: v_dual_mul_f32 v4, v131, v13
	v_fma_f32 v5, v128, v10, -v5
	s_delay_alu instid0(VALU_DEP_4)
	v_add_f32_e32 v2, v2, v6
	v_fmac_f32_e32 v149, v129, v10
	v_mul_f32_e32 v6, v133, v15
	v_fmac_f32_e32 v150, v131, v12
	v_add_f32_e32 v3, v3, v148
	v_fma_f32 v4, v130, v12, -v4
	v_add_f32_e32 v2, v2, v5
	v_mul_f32_e32 v5, v135, v17
	v_fma_f32 v6, v132, v14, -v6
	v_add_f32_e32 v3, v3, v149
	v_dual_fmac_f32 v151, v133, v14 :: v_dual_fmac_f32 v152, v135, v16
	v_add_f32_e32 v2, v2, v4
	v_mul_f32_e32 v4, v137, v19
	v_fma_f32 v5, v134, v16, -v5
	v_dual_mul_f32 v153, v136, v19 :: v_dual_mul_f32 v154, v138, v21
	s_delay_alu instid0(VALU_DEP_4) | instskip(SKIP_1) | instid1(VALU_DEP_3)
	v_add_f32_e32 v2, v2, v6
	v_add_f32_e32 v3, v3, v150
	v_dual_mul_f32 v6, v139, v21 :: v_dual_fmac_f32 v153, v137, v18
	v_fma_f32 v4, v136, v18, -v4
	s_delay_alu instid0(VALU_DEP_3) | instskip(SKIP_1) | instid1(VALU_DEP_4)
	v_dual_add_f32 v2, v2, v5 :: v_dual_add_f32 v3, v3, v151
	v_dual_mul_f32 v5, v145, v141 :: v_dual_fmac_f32 v154, v139, v20
	v_fma_f32 v6, v138, v20, -v6
	s_delay_alu instid0(VALU_DEP_3) | instskip(NEXT) | instid1(VALU_DEP_4)
	v_add_f32_e32 v2, v2, v4
	v_add_f32_e32 v3, v3, v152
	s_delay_alu instid0(VALU_DEP_4) | instskip(NEXT) | instid1(VALU_DEP_2)
	v_fma_f32 v4, v144, v140, -v5
	v_dual_add_f32 v2, v2, v6 :: v_dual_add_f32 v3, v3, v153
	s_delay_alu instid0(VALU_DEP_1) | instskip(SKIP_1) | instid1(VALU_DEP_1)
	v_dual_add_f32 v2, v2, v4 :: v_dual_add_f32 v3, v3, v154
	s_wait_loadcnt 0x0
	v_dual_fmac_f32 v155, v145, v140 :: v_dual_sub_f32 v2, v142, v2
	s_delay_alu instid0(VALU_DEP_1) | instskip(NEXT) | instid1(VALU_DEP_1)
	v_add_f32_e32 v3, v3, v155
	v_sub_f32_e32 v3, v143, v3
	scratch_store_b64 off, v[2:3], off offset:288
	v_cmpx_lt_u32_e32 35, v0
	s_cbranch_execz .LBB111_231
; %bb.230:
	scratch_load_b64 v[3:4], off, off offset:280
	v_mov_b32_e32 v2, v1
	scratch_store_b64 off, v[1:2], off offset:280
	s_wait_loadcnt 0x0
	ds_store_b64 v23, v[3:4]
.LBB111_231:
	s_wait_alu 0xfffe
	s_or_b32 exec_lo, exec_lo, s0
	s_wait_storecnt_dscnt 0x0
	s_barrier_signal -1
	s_barrier_wait -1
	global_inv scope:SCOPE_SE
	s_clause 0x6
	scratch_load_b128 v[2:5], off, off offset:288
	scratch_load_b128 v[6:9], off, off offset:304
	scratch_load_b128 v[10:13], off, off offset:320
	scratch_load_b128 v[14:17], off, off offset:336
	scratch_load_b128 v[18:21], off, off offset:352
	scratch_load_b128 v[24:27], off, off offset:368
	scratch_load_b64 v[148:149], off, off offset:280
	ds_load_b128 v[124:127], v1 offset:672
	ds_load_b128 v[128:131], v1 offset:688
	;; [unrolled: 1-line block ×6, first 2 shown]
	s_mov_b32 s0, exec_lo
	s_wait_loadcnt_dscnt 0x605
	v_dual_mul_f32 v1, v124, v3 :: v_dual_mul_f32 v22, v126, v5
	v_mul_f32_e32 v3, v125, v3
	s_wait_loadcnt_dscnt 0x504
	v_dual_mul_f32 v5, v127, v5 :: v_dual_mul_f32 v150, v128, v7
	v_mul_f32_e32 v151, v130, v9
	s_wait_loadcnt_dscnt 0x100
	v_mul_f32_e32 v158, v144, v25
	v_fma_f32 v3, v124, v2, -v3
	v_dual_mul_f32 v159, v146, v27 :: v_dual_fmac_f32 v22, v127, v4
	v_fmac_f32_e32 v1, v125, v2
	v_mul_f32_e32 v2, v129, v7
	v_fma_f32 v4, v126, v4, -v5
	v_dual_add_f32 v3, 0, v3 :: v_dual_fmac_f32 v150, v129, v6
	v_dual_mul_f32 v152, v132, v11 :: v_dual_mul_f32 v153, v134, v13
	v_dual_mul_f32 v154, v136, v15 :: v_dual_mul_f32 v155, v138, v17
	s_delay_alu instid0(VALU_DEP_2) | instskip(SKIP_1) | instid1(VALU_DEP_3)
	v_dual_mul_f32 v5, v131, v9 :: v_dual_fmac_f32 v152, v133, v10
	v_fma_f32 v2, v128, v6, -v2
	v_dual_add_f32 v3, v3, v4 :: v_dual_fmac_f32 v154, v137, v14
	s_delay_alu instid0(VALU_DEP_3) | instskip(SKIP_2) | instid1(VALU_DEP_4)
	v_fma_f32 v5, v130, v8, -v5
	v_mul_f32_e32 v4, v133, v11
	v_dual_mul_f32 v156, v140, v19 :: v_dual_mul_f32 v157, v142, v21
	v_add_f32_e32 v2, v3, v2
	v_mul_f32_e32 v3, v135, v13
	s_delay_alu instid0(VALU_DEP_4) | instskip(NEXT) | instid1(VALU_DEP_4)
	v_fma_f32 v4, v132, v10, -v4
	v_dual_fmac_f32 v156, v141, v18 :: v_dual_fmac_f32 v155, v139, v16
	s_delay_alu instid0(VALU_DEP_4) | instskip(SKIP_3) | instid1(VALU_DEP_4)
	v_add_f32_e32 v2, v2, v5
	v_add_f32_e32 v1, 0, v1
	v_fma_f32 v3, v134, v12, -v3
	v_fmac_f32_e32 v157, v143, v20
	v_dual_fmac_f32 v159, v147, v26 :: v_dual_add_f32 v2, v2, v4
	s_delay_alu instid0(VALU_DEP_4) | instskip(SKIP_2) | instid1(VALU_DEP_3)
	v_dual_add_f32 v1, v1, v22 :: v_dual_mul_f32 v4, v139, v17
	v_fmac_f32_e32 v151, v131, v8
	v_fmac_f32_e32 v158, v145, v24
	v_dual_add_f32 v2, v2, v3 :: v_dual_add_f32 v1, v1, v150
	s_delay_alu instid0(VALU_DEP_4) | instskip(SKIP_1) | instid1(VALU_DEP_3)
	v_fma_f32 v4, v138, v16, -v4
	v_mul_f32_e32 v5, v137, v15
	v_add_f32_e32 v1, v1, v151
	s_delay_alu instid0(VALU_DEP_2) | instskip(NEXT) | instid1(VALU_DEP_1)
	v_fma_f32 v5, v136, v14, -v5
	v_dual_fmac_f32 v153, v135, v12 :: v_dual_add_f32 v2, v2, v5
	s_delay_alu instid0(VALU_DEP_1) | instskip(NEXT) | instid1(VALU_DEP_1)
	v_dual_mul_f32 v5, v143, v21 :: v_dual_add_f32 v2, v2, v4
	v_fma_f32 v5, v142, v20, -v5
	v_mul_f32_e32 v3, v141, v19
	v_mul_f32_e32 v4, v145, v25
	s_delay_alu instid0(VALU_DEP_2) | instskip(SKIP_1) | instid1(VALU_DEP_3)
	v_fma_f32 v3, v140, v18, -v3
	v_add_f32_e32 v1, v1, v152
	v_fma_f32 v4, v144, v24, -v4
	s_delay_alu instid0(VALU_DEP_3) | instskip(NEXT) | instid1(VALU_DEP_1)
	v_add_f32_e32 v2, v2, v3
	v_dual_mul_f32 v3, v147, v27 :: v_dual_add_f32 v2, v2, v5
	s_delay_alu instid0(VALU_DEP_4) | instskip(NEXT) | instid1(VALU_DEP_2)
	v_add_f32_e32 v1, v1, v153
	v_fma_f32 v3, v146, v26, -v3
	s_delay_alu instid0(VALU_DEP_2) | instskip(NEXT) | instid1(VALU_DEP_1)
	v_dual_add_f32 v2, v2, v4 :: v_dual_add_f32 v1, v1, v154
	v_add_f32_e32 v2, v2, v3
	s_delay_alu instid0(VALU_DEP_2) | instskip(NEXT) | instid1(VALU_DEP_1)
	v_add_f32_e32 v1, v1, v155
	v_add_f32_e32 v1, v1, v156
	s_delay_alu instid0(VALU_DEP_1) | instskip(NEXT) | instid1(VALU_DEP_1)
	v_add_f32_e32 v1, v1, v157
	v_add_f32_e32 v1, v1, v158
	s_delay_alu instid0(VALU_DEP_1) | instskip(SKIP_1) | instid1(VALU_DEP_1)
	v_add_f32_e32 v3, v1, v159
	s_wait_loadcnt 0x0
	v_dual_sub_f32 v1, v148, v2 :: v_dual_sub_f32 v2, v149, v3
	scratch_store_b64 off, v[1:2], off offset:280
	v_cmpx_lt_u32_e32 34, v0
	s_cbranch_execz .LBB111_233
; %bb.232:
	scratch_load_b64 v[1:2], off, off offset:272
	v_mov_b32_e32 v3, 0
	s_delay_alu instid0(VALU_DEP_1)
	v_mov_b32_e32 v4, v3
	scratch_store_b64 off, v[3:4], off offset:272
	s_wait_loadcnt 0x0
	ds_store_b64 v23, v[1:2]
.LBB111_233:
	s_wait_alu 0xfffe
	s_or_b32 exec_lo, exec_lo, s0
	s_wait_storecnt_dscnt 0x0
	s_barrier_signal -1
	s_barrier_wait -1
	global_inv scope:SCOPE_SE
	s_clause 0x7
	scratch_load_b128 v[2:5], off, off offset:280
	scratch_load_b128 v[6:9], off, off offset:296
	;; [unrolled: 1-line block ×6, first 2 shown]
	scratch_load_b64 v[148:149], off, off offset:376
	scratch_load_b64 v[150:151], off, off offset:272
	v_mov_b32_e32 v1, 0
	ds_load_2addr_b64 v[124:127], v1 offset0:83 offset1:84
	ds_load_2addr_b64 v[128:131], v1 offset0:85 offset1:86
	;; [unrolled: 1-line block ×6, first 2 shown]
	ds_load_b64 v[152:153], v1 offset:760
	s_mov_b32 s0, exec_lo
	s_wait_loadcnt_dscnt 0x706
	v_mul_f32_e32 v22, v124, v3
	v_dual_mul_f32 v3, v125, v3 :: v_dual_mul_f32 v154, v126, v5
	s_wait_loadcnt_dscnt 0x302
	v_dual_mul_f32 v155, v128, v7 :: v_dual_mul_f32 v162, v142, v21
	v_mul_f32_e32 v5, v127, v5
	s_delay_alu instid0(VALU_DEP_3)
	v_fma_f32 v3, v124, v2, -v3
	v_dual_mul_f32 v156, v130, v9 :: v_dual_mul_f32 v157, v132, v11
	s_wait_loadcnt_dscnt 0x100
	v_dual_mul_f32 v165, v152, v149 :: v_dual_fmac_f32 v22, v125, v2
	v_mul_f32_e32 v2, v129, v7
	v_dual_fmac_f32 v154, v127, v4 :: v_dual_add_f32 v3, 0, v3
	v_fma_f32 v4, v126, v4, -v5
	s_delay_alu instid0(VALU_DEP_4) | instskip(SKIP_2) | instid1(VALU_DEP_4)
	v_dual_add_f32 v5, 0, v22 :: v_dual_fmac_f32 v156, v131, v8
	v_mul_f32_e32 v7, v131, v9
	v_fma_f32 v2, v128, v6, -v2
	v_add_f32_e32 v3, v3, v4
	v_fmac_f32_e32 v155, v129, v6
	v_add_f32_e32 v4, v5, v154
	v_mul_f32_e32 v5, v133, v11
	v_fma_f32 v6, v130, v8, -v7
	v_add_f32_e32 v2, v3, v2
	v_dual_mul_f32 v158, v134, v13 :: v_dual_mul_f32 v159, v136, v15
	v_dual_add_f32 v3, v4, v155 :: v_dual_mul_f32 v4, v135, v13
	v_fma_f32 v5, v132, v10, -v5
	s_delay_alu instid0(VALU_DEP_4)
	v_add_f32_e32 v2, v2, v6
	v_fmac_f32_e32 v157, v133, v10
	v_mul_f32_e32 v6, v137, v15
	v_fmac_f32_e32 v158, v135, v12
	v_add_f32_e32 v3, v3, v156
	v_fma_f32 v4, v134, v12, -v4
	v_add_f32_e32 v2, v2, v5
	v_dual_mul_f32 v160, v138, v17 :: v_dual_mul_f32 v161, v140, v19
	s_delay_alu instid0(VALU_DEP_4)
	v_add_f32_e32 v3, v3, v157
	v_mul_f32_e32 v5, v139, v17
	v_fma_f32 v6, v136, v14, -v6
	v_dual_add_f32 v2, v2, v4 :: v_dual_fmac_f32 v159, v137, v14
	v_fmac_f32_e32 v160, v139, v16
	v_mul_f32_e32 v4, v141, v19
	v_fma_f32 v5, v138, v16, -v5
	s_delay_alu instid0(VALU_DEP_4) | instskip(SKIP_3) | instid1(VALU_DEP_3)
	v_add_f32_e32 v2, v2, v6
	v_add_f32_e32 v3, v3, v158
	v_dual_mul_f32 v6, v143, v21 :: v_dual_fmac_f32 v161, v141, v18
	v_fma_f32 v4, v140, v18, -v4
	v_dual_add_f32 v2, v2, v5 :: v_dual_add_f32 v3, v3, v159
	s_delay_alu instid0(VALU_DEP_3) | instskip(SKIP_1) | instid1(VALU_DEP_3)
	v_fma_f32 v6, v142, v20, -v6
	v_dual_mul_f32 v163, v144, v25 :: v_dual_mul_f32 v164, v146, v27
	v_add_f32_e32 v2, v2, v4
	s_delay_alu instid0(VALU_DEP_4) | instskip(SKIP_1) | instid1(VALU_DEP_4)
	v_add_f32_e32 v3, v3, v160
	v_dual_mul_f32 v5, v145, v25 :: v_dual_fmac_f32 v162, v143, v20
	v_dual_mul_f32 v4, v147, v27 :: v_dual_fmac_f32 v163, v145, v24
	s_delay_alu instid0(VALU_DEP_3) | instskip(NEXT) | instid1(VALU_DEP_3)
	v_dual_add_f32 v2, v2, v6 :: v_dual_add_f32 v3, v3, v161
	v_fma_f32 v5, v144, v24, -v5
	v_mul_f32_e32 v6, v153, v149
	v_dual_fmac_f32 v164, v147, v26 :: v_dual_fmac_f32 v165, v153, v148
	s_delay_alu instid0(VALU_DEP_4) | instskip(SKIP_3) | instid1(VALU_DEP_4)
	v_add_f32_e32 v3, v3, v162
	v_fma_f32 v4, v146, v26, -v4
	v_add_f32_e32 v2, v2, v5
	v_fma_f32 v5, v152, v148, -v6
	v_add_f32_e32 v3, v3, v163
	s_delay_alu instid0(VALU_DEP_1) | instskip(NEXT) | instid1(VALU_DEP_1)
	v_add_f32_e32 v3, v3, v164
	v_dual_add_f32 v2, v2, v4 :: v_dual_add_f32 v3, v3, v165
	s_wait_loadcnt 0x0
	s_delay_alu instid0(VALU_DEP_1) | instskip(NEXT) | instid1(VALU_DEP_1)
	v_dual_add_f32 v2, v2, v5 :: v_dual_sub_f32 v3, v151, v3
	v_sub_f32_e32 v2, v150, v2
	scratch_store_b64 off, v[2:3], off offset:272
	v_cmpx_lt_u32_e32 33, v0
	s_cbranch_execz .LBB111_235
; %bb.234:
	scratch_load_b64 v[3:4], off, off offset:264
	v_mov_b32_e32 v2, v1
	scratch_store_b64 off, v[1:2], off offset:264
	s_wait_loadcnt 0x0
	ds_store_b64 v23, v[3:4]
.LBB111_235:
	s_wait_alu 0xfffe
	s_or_b32 exec_lo, exec_lo, s0
	s_wait_storecnt_dscnt 0x0
	s_barrier_signal -1
	s_barrier_wait -1
	global_inv scope:SCOPE_SE
	s_clause 0x7
	scratch_load_b128 v[2:5], off, off offset:272
	scratch_load_b128 v[6:9], off, off offset:288
	scratch_load_b128 v[10:13], off, off offset:304
	scratch_load_b128 v[14:17], off, off offset:320
	scratch_load_b128 v[18:21], off, off offset:336
	scratch_load_b128 v[24:27], off, off offset:352
	scratch_load_b128 v[124:127], off, off offset:368
	scratch_load_b64 v[156:157], off, off offset:264
	ds_load_b128 v[128:131], v1 offset:656
	ds_load_b128 v[132:135], v1 offset:672
	;; [unrolled: 1-line block ×7, first 2 shown]
	s_mov_b32 s0, exec_lo
	s_wait_loadcnt_dscnt 0x706
	v_dual_mul_f32 v1, v128, v3 :: v_dual_mul_f32 v22, v130, v5
	v_mul_f32_e32 v3, v129, v3
	s_wait_loadcnt_dscnt 0x605
	v_dual_mul_f32 v5, v131, v5 :: v_dual_mul_f32 v158, v132, v7
	v_mul_f32_e32 v159, v134, v9
	s_wait_loadcnt_dscnt 0x201
	v_mul_f32_e32 v166, v148, v25
	v_fma_f32 v3, v128, v2, -v3
	s_wait_loadcnt_dscnt 0x100
	v_dual_mul_f32 v169, v154, v127 :: v_dual_fmac_f32 v22, v131, v4
	v_fmac_f32_e32 v1, v129, v2
	v_mul_f32_e32 v2, v133, v7
	v_fma_f32 v4, v130, v4, -v5
	v_dual_add_f32 v3, 0, v3 :: v_dual_fmac_f32 v158, v133, v6
	v_dual_mul_f32 v160, v136, v11 :: v_dual_mul_f32 v161, v138, v13
	v_dual_mul_f32 v162, v140, v15 :: v_dual_mul_f32 v163, v142, v17
	s_delay_alu instid0(VALU_DEP_2) | instskip(SKIP_1) | instid1(VALU_DEP_3)
	v_dual_mul_f32 v5, v135, v9 :: v_dual_fmac_f32 v160, v137, v10
	v_fma_f32 v2, v132, v6, -v2
	v_dual_add_f32 v3, v3, v4 :: v_dual_fmac_f32 v162, v141, v14
	s_delay_alu instid0(VALU_DEP_3) | instskip(SKIP_1) | instid1(VALU_DEP_3)
	v_fma_f32 v5, v134, v8, -v5
	v_dual_mul_f32 v164, v144, v19 :: v_dual_mul_f32 v165, v146, v21
	v_add_f32_e32 v2, v3, v2
	v_dual_mul_f32 v4, v137, v11 :: v_dual_mul_f32 v3, v139, v13
	s_delay_alu instid0(VALU_DEP_3) | instskip(NEXT) | instid1(VALU_DEP_3)
	v_dual_fmac_f32 v164, v145, v18 :: v_dual_fmac_f32 v163, v143, v16
	v_add_f32_e32 v2, v2, v5
	v_add_f32_e32 v1, 0, v1
	s_delay_alu instid0(VALU_DEP_4) | instskip(SKIP_2) | instid1(VALU_DEP_3)
	v_fma_f32 v4, v136, v10, -v4
	v_fma_f32 v3, v138, v12, -v3
	v_dual_mul_f32 v167, v150, v27 :: v_dual_mul_f32 v168, v152, v125
	v_dual_add_f32 v1, v1, v22 :: v_dual_add_f32 v2, v2, v4
	v_mul_f32_e32 v4, v143, v17
	v_fmac_f32_e32 v159, v135, v8
	s_delay_alu instid0(VALU_DEP_4) | instskip(NEXT) | instid1(VALU_DEP_4)
	v_fmac_f32_e32 v167, v151, v26
	v_dual_add_f32 v1, v1, v158 :: v_dual_add_f32 v2, v2, v3
	s_delay_alu instid0(VALU_DEP_4) | instskip(SKIP_2) | instid1(VALU_DEP_4)
	v_fma_f32 v4, v142, v16, -v4
	v_mul_f32_e32 v5, v141, v15
	v_fmac_f32_e32 v169, v155, v126
	v_add_f32_e32 v1, v1, v159
	v_fmac_f32_e32 v166, v149, v24
	v_fmac_f32_e32 v168, v153, v124
	v_fma_f32 v5, v140, v14, -v5
	s_delay_alu instid0(VALU_DEP_1) | instskip(NEXT) | instid1(VALU_DEP_1)
	v_dual_fmac_f32 v161, v139, v12 :: v_dual_add_f32 v2, v2, v5
	v_dual_mul_f32 v5, v147, v21 :: v_dual_add_f32 v2, v2, v4
	s_delay_alu instid0(VALU_DEP_1) | instskip(SKIP_2) | instid1(VALU_DEP_2)
	v_fma_f32 v5, v146, v20, -v5
	v_mul_f32_e32 v3, v145, v19
	v_mul_f32_e32 v4, v149, v25
	v_fma_f32 v3, v144, v18, -v3
	v_add_f32_e32 v1, v1, v160
	s_delay_alu instid0(VALU_DEP_3) | instskip(NEXT) | instid1(VALU_DEP_3)
	v_fma_f32 v4, v148, v24, -v4
	v_add_f32_e32 v2, v2, v3
	s_delay_alu instid0(VALU_DEP_1) | instskip(NEXT) | instid1(VALU_DEP_4)
	v_dual_mul_f32 v3, v151, v27 :: v_dual_add_f32 v2, v2, v5
	v_add_f32_e32 v1, v1, v161
	v_mul_f32_e32 v5, v153, v125
	s_delay_alu instid0(VALU_DEP_3) | instskip(NEXT) | instid1(VALU_DEP_3)
	v_fma_f32 v3, v150, v26, -v3
	v_dual_add_f32 v2, v2, v4 :: v_dual_add_f32 v1, v1, v162
	v_mul_f32_e32 v4, v155, v127
	v_fmac_f32_e32 v165, v147, v20
	v_fma_f32 v5, v152, v124, -v5
	s_delay_alu instid0(VALU_DEP_4) | instskip(SKIP_2) | instid1(VALU_DEP_2)
	v_add_f32_e32 v2, v2, v3
	v_add_f32_e32 v1, v1, v163
	v_fma_f32 v3, v154, v126, -v4
	v_dual_add_f32 v2, v2, v5 :: v_dual_add_f32 v1, v1, v164
	s_delay_alu instid0(VALU_DEP_1) | instskip(NEXT) | instid1(VALU_DEP_1)
	v_dual_add_f32 v2, v2, v3 :: v_dual_add_f32 v1, v1, v165
	v_add_f32_e32 v1, v1, v166
	s_delay_alu instid0(VALU_DEP_1) | instskip(NEXT) | instid1(VALU_DEP_1)
	v_add_f32_e32 v1, v1, v167
	v_add_f32_e32 v1, v1, v168
	s_delay_alu instid0(VALU_DEP_1) | instskip(SKIP_1) | instid1(VALU_DEP_1)
	v_add_f32_e32 v3, v1, v169
	s_wait_loadcnt 0x0
	v_dual_sub_f32 v1, v156, v2 :: v_dual_sub_f32 v2, v157, v3
	scratch_store_b64 off, v[1:2], off offset:264
	v_cmpx_lt_u32_e32 32, v0
	s_cbranch_execz .LBB111_237
; %bb.236:
	scratch_load_b64 v[1:2], off, off offset:256
	v_mov_b32_e32 v3, 0
	s_delay_alu instid0(VALU_DEP_1)
	v_mov_b32_e32 v4, v3
	scratch_store_b64 off, v[3:4], off offset:256
	s_wait_loadcnt 0x0
	ds_store_b64 v23, v[1:2]
.LBB111_237:
	s_wait_alu 0xfffe
	s_or_b32 exec_lo, exec_lo, s0
	s_wait_storecnt_dscnt 0x0
	s_barrier_signal -1
	s_barrier_wait -1
	global_inv scope:SCOPE_SE
	s_clause 0x8
	scratch_load_b128 v[2:5], off, off offset:264
	scratch_load_b128 v[6:9], off, off offset:280
	;; [unrolled: 1-line block ×7, first 2 shown]
	scratch_load_b64 v[156:157], off, off offset:376
	scratch_load_b64 v[158:159], off, off offset:256
	v_mov_b32_e32 v1, 0
	ds_load_2addr_b64 v[128:131], v1 offset0:81 offset1:82
	ds_load_2addr_b64 v[132:135], v1 offset0:83 offset1:84
	;; [unrolled: 1-line block ×7, first 2 shown]
	ds_load_b64 v[160:161], v1 offset:760
	s_mov_b32 s0, exec_lo
	s_wait_loadcnt_dscnt 0x807
	v_mul_f32_e32 v22, v128, v3
	v_dual_mul_f32 v3, v129, v3 :: v_dual_mul_f32 v162, v130, v5
	s_wait_loadcnt_dscnt 0x403
	v_dual_mul_f32 v163, v132, v7 :: v_dual_mul_f32 v170, v146, v21
	v_mul_f32_e32 v5, v131, v5
	s_delay_alu instid0(VALU_DEP_3)
	v_fma_f32 v3, v128, v2, -v3
	v_dual_mul_f32 v164, v134, v9 :: v_dual_mul_f32 v165, v136, v11
	s_wait_loadcnt_dscnt 0x100
	v_dual_mul_f32 v175, v160, v157 :: v_dual_fmac_f32 v22, v129, v2
	v_mul_f32_e32 v2, v133, v7
	v_dual_fmac_f32 v162, v131, v4 :: v_dual_add_f32 v3, 0, v3
	v_fma_f32 v4, v130, v4, -v5
	s_delay_alu instid0(VALU_DEP_4) | instskip(SKIP_2) | instid1(VALU_DEP_4)
	v_dual_add_f32 v5, 0, v22 :: v_dual_fmac_f32 v164, v135, v8
	v_mul_f32_e32 v7, v135, v9
	v_fma_f32 v2, v132, v6, -v2
	v_add_f32_e32 v3, v3, v4
	v_fmac_f32_e32 v163, v133, v6
	v_add_f32_e32 v4, v5, v162
	v_mul_f32_e32 v5, v137, v11
	v_fma_f32 v6, v134, v8, -v7
	v_add_f32_e32 v2, v3, v2
	v_dual_mul_f32 v166, v138, v13 :: v_dual_mul_f32 v167, v140, v15
	v_dual_add_f32 v3, v4, v163 :: v_dual_mul_f32 v4, v139, v13
	v_fma_f32 v5, v136, v10, -v5
	s_delay_alu instid0(VALU_DEP_4)
	v_add_f32_e32 v2, v2, v6
	v_fmac_f32_e32 v165, v137, v10
	v_mul_f32_e32 v6, v141, v15
	v_fmac_f32_e32 v166, v139, v12
	v_add_f32_e32 v3, v3, v164
	v_fma_f32 v4, v138, v12, -v4
	v_add_f32_e32 v2, v2, v5
	v_dual_mul_f32 v168, v142, v17 :: v_dual_mul_f32 v169, v144, v19
	s_delay_alu instid0(VALU_DEP_4)
	v_add_f32_e32 v3, v3, v165
	v_mul_f32_e32 v5, v143, v17
	v_fma_f32 v6, v140, v14, -v6
	v_dual_add_f32 v2, v2, v4 :: v_dual_fmac_f32 v167, v141, v14
	v_fmac_f32_e32 v168, v143, v16
	v_mul_f32_e32 v4, v145, v19
	v_fma_f32 v5, v142, v16, -v5
	s_delay_alu instid0(VALU_DEP_4) | instskip(SKIP_3) | instid1(VALU_DEP_3)
	v_add_f32_e32 v2, v2, v6
	v_add_f32_e32 v3, v3, v166
	v_dual_mul_f32 v6, v147, v21 :: v_dual_fmac_f32 v169, v145, v18
	v_fma_f32 v4, v144, v18, -v4
	v_dual_add_f32 v2, v2, v5 :: v_dual_add_f32 v3, v3, v167
	s_delay_alu instid0(VALU_DEP_3) | instskip(SKIP_1) | instid1(VALU_DEP_3)
	v_fma_f32 v6, v146, v20, -v6
	v_dual_mul_f32 v171, v148, v25 :: v_dual_mul_f32 v172, v150, v27
	v_add_f32_e32 v2, v2, v4
	s_delay_alu instid0(VALU_DEP_4) | instskip(SKIP_1) | instid1(VALU_DEP_4)
	v_add_f32_e32 v3, v3, v168
	v_dual_mul_f32 v5, v149, v25 :: v_dual_fmac_f32 v170, v147, v20
	v_dual_mul_f32 v4, v151, v27 :: v_dual_fmac_f32 v171, v149, v24
	s_delay_alu instid0(VALU_DEP_3) | instskip(NEXT) | instid1(VALU_DEP_3)
	v_dual_add_f32 v2, v2, v6 :: v_dual_add_f32 v3, v3, v169
	v_fma_f32 v5, v148, v24, -v5
	v_dual_mul_f32 v173, v152, v125 :: v_dual_mul_f32 v174, v154, v127
	s_delay_alu instid0(VALU_DEP_3) | instskip(NEXT) | instid1(VALU_DEP_2)
	v_dual_mul_f32 v6, v153, v125 :: v_dual_add_f32 v3, v3, v170
	v_dual_fmac_f32 v172, v151, v26 :: v_dual_fmac_f32 v173, v153, v124
	v_fma_f32 v4, v150, v26, -v4
	s_delay_alu instid0(VALU_DEP_3) | instskip(SKIP_3) | instid1(VALU_DEP_4)
	v_dual_add_f32 v2, v2, v5 :: v_dual_add_f32 v3, v3, v171
	v_mul_f32_e32 v5, v155, v127
	v_fma_f32 v6, v152, v124, -v6
	v_dual_fmac_f32 v174, v155, v126 :: v_dual_fmac_f32 v175, v161, v156
	v_add_f32_e32 v2, v2, v4
	v_dual_add_f32 v3, v3, v172 :: v_dual_mul_f32 v4, v161, v157
	v_fma_f32 v5, v154, v126, -v5
	s_delay_alu instid0(VALU_DEP_2) | instskip(NEXT) | instid1(VALU_DEP_3)
	v_dual_add_f32 v2, v2, v6 :: v_dual_add_f32 v3, v3, v173
	v_fma_f32 v4, v160, v156, -v4
	s_delay_alu instid0(VALU_DEP_2) | instskip(NEXT) | instid1(VALU_DEP_1)
	v_dual_add_f32 v2, v2, v5 :: v_dual_add_f32 v3, v3, v174
	v_dual_add_f32 v2, v2, v4 :: v_dual_add_f32 v3, v3, v175
	s_wait_loadcnt 0x0
	s_delay_alu instid0(VALU_DEP_1)
	v_dual_sub_f32 v2, v158, v2 :: v_dual_sub_f32 v3, v159, v3
	scratch_store_b64 off, v[2:3], off offset:256
	v_cmpx_lt_u32_e32 31, v0
	s_cbranch_execz .LBB111_239
; %bb.238:
	scratch_load_b64 v[3:4], off, off offset:248
	v_mov_b32_e32 v2, v1
	scratch_store_b64 off, v[1:2], off offset:248
	s_wait_loadcnt 0x0
	ds_store_b64 v23, v[3:4]
.LBB111_239:
	s_wait_alu 0xfffe
	s_or_b32 exec_lo, exec_lo, s0
	s_wait_storecnt_dscnt 0x0
	s_barrier_signal -1
	s_barrier_wait -1
	global_inv scope:SCOPE_SE
	s_clause 0x8
	scratch_load_b128 v[2:5], off, off offset:256
	scratch_load_b128 v[6:9], off, off offset:272
	;; [unrolled: 1-line block ×8, first 2 shown]
	scratch_load_b64 v[164:165], off, off offset:248
	ds_load_b128 v[132:135], v1 offset:640
	ds_load_b128 v[136:139], v1 offset:656
	;; [unrolled: 1-line block ×8, first 2 shown]
	s_mov_b32 s0, exec_lo
	s_wait_loadcnt_dscnt 0x807
	v_dual_mul_f32 v1, v132, v3 :: v_dual_mul_f32 v22, v134, v5
	v_mul_f32_e32 v3, v133, v3
	s_wait_loadcnt_dscnt 0x706
	v_dual_mul_f32 v5, v135, v5 :: v_dual_mul_f32 v166, v136, v7
	v_mul_f32_e32 v167, v138, v9
	s_wait_loadcnt_dscnt 0x201
	v_mul_f32_e32 v176, v156, v125
	v_fma_f32 v3, v132, v2, -v3
	s_wait_loadcnt_dscnt 0x100
	v_dual_mul_f32 v179, v162, v131 :: v_dual_fmac_f32 v22, v135, v4
	v_fmac_f32_e32 v1, v133, v2
	v_mul_f32_e32 v2, v137, v7
	v_fma_f32 v4, v134, v4, -v5
	v_dual_add_f32 v3, 0, v3 :: v_dual_fmac_f32 v166, v137, v6
	v_dual_mul_f32 v168, v140, v11 :: v_dual_mul_f32 v169, v142, v13
	v_dual_mul_f32 v170, v144, v15 :: v_dual_mul_f32 v171, v146, v17
	s_delay_alu instid0(VALU_DEP_2) | instskip(SKIP_1) | instid1(VALU_DEP_3)
	v_dual_mul_f32 v5, v139, v9 :: v_dual_fmac_f32 v168, v141, v10
	v_fma_f32 v2, v136, v6, -v2
	v_dual_add_f32 v3, v3, v4 :: v_dual_fmac_f32 v170, v145, v14
	s_delay_alu instid0(VALU_DEP_3) | instskip(SKIP_1) | instid1(VALU_DEP_3)
	v_fma_f32 v5, v138, v8, -v5
	v_dual_mul_f32 v172, v148, v19 :: v_dual_mul_f32 v173, v150, v21
	v_add_f32_e32 v2, v3, v2
	v_dual_mul_f32 v4, v141, v11 :: v_dual_mul_f32 v3, v143, v13
	s_delay_alu instid0(VALU_DEP_3) | instskip(SKIP_1) | instid1(VALU_DEP_4)
	v_fmac_f32_e32 v172, v149, v18
	v_dual_mul_f32 v174, v152, v25 :: v_dual_mul_f32 v175, v154, v27
	v_add_f32_e32 v2, v2, v5
	v_add_f32_e32 v1, 0, v1
	v_fma_f32 v4, v140, v10, -v4
	v_fma_f32 v3, v142, v12, -v3
	v_fmac_f32_e32 v171, v147, v16
	v_dual_mul_f32 v177, v158, v127 :: v_dual_mul_f32 v178, v160, v129
	s_delay_alu instid0(VALU_DEP_4) | instskip(SKIP_2) | instid1(VALU_DEP_4)
	v_dual_add_f32 v1, v1, v22 :: v_dual_add_f32 v2, v2, v4
	v_mul_f32_e32 v4, v147, v17
	v_fmac_f32_e32 v167, v139, v8
	v_dual_fmac_f32 v175, v155, v26 :: v_dual_fmac_f32 v178, v161, v128
	s_delay_alu instid0(VALU_DEP_4) | instskip(NEXT) | instid1(VALU_DEP_4)
	v_add_f32_e32 v1, v1, v166
	v_fma_f32 v4, v146, v16, -v4
	v_mul_f32_e32 v5, v145, v15
	v_dual_add_f32 v2, v2, v3 :: v_dual_fmac_f32 v177, v159, v126
	s_delay_alu instid0(VALU_DEP_4) | instskip(SKIP_1) | instid1(VALU_DEP_4)
	v_add_f32_e32 v1, v1, v167
	v_fmac_f32_e32 v174, v153, v24
	v_fma_f32 v5, v144, v14, -v5
	v_fmac_f32_e32 v169, v143, v12
	v_dual_fmac_f32 v179, v163, v130 :: v_dual_fmac_f32 v176, v157, v124
	s_delay_alu instid0(VALU_DEP_3) | instskip(NEXT) | instid1(VALU_DEP_1)
	v_add_f32_e32 v2, v2, v5
	v_dual_mul_f32 v5, v151, v21 :: v_dual_add_f32 v2, v2, v4
	s_delay_alu instid0(VALU_DEP_1) | instskip(SKIP_2) | instid1(VALU_DEP_2)
	v_fma_f32 v5, v150, v20, -v5
	v_mul_f32_e32 v3, v149, v19
	v_mul_f32_e32 v4, v153, v25
	v_fma_f32 v3, v148, v18, -v3
	v_add_f32_e32 v1, v1, v168
	s_delay_alu instid0(VALU_DEP_3) | instskip(NEXT) | instid1(VALU_DEP_3)
	v_fma_f32 v4, v152, v24, -v4
	v_add_f32_e32 v2, v2, v3
	s_delay_alu instid0(VALU_DEP_1) | instskip(NEXT) | instid1(VALU_DEP_4)
	v_dual_mul_f32 v3, v155, v27 :: v_dual_add_f32 v2, v2, v5
	v_add_f32_e32 v1, v1, v169
	s_delay_alu instid0(VALU_DEP_2) | instskip(NEXT) | instid1(VALU_DEP_2)
	v_fma_f32 v3, v154, v26, -v3
	v_dual_add_f32 v2, v2, v4 :: v_dual_add_f32 v1, v1, v170
	v_mul_f32_e32 v4, v159, v127
	s_delay_alu instid0(VALU_DEP_2) | instskip(SKIP_1) | instid1(VALU_DEP_3)
	v_dual_fmac_f32 v173, v151, v20 :: v_dual_add_f32 v2, v2, v3
	v_mul_f32_e32 v3, v161, v129
	v_fma_f32 v4, v158, v126, -v4
	v_mul_f32_e32 v5, v157, v125
	s_delay_alu instid0(VALU_DEP_3) | instskip(NEXT) | instid1(VALU_DEP_2)
	v_fma_f32 v3, v160, v128, -v3
	v_fma_f32 v5, v156, v124, -v5
	s_delay_alu instid0(VALU_DEP_1) | instskip(NEXT) | instid1(VALU_DEP_1)
	v_dual_add_f32 v1, v1, v171 :: v_dual_add_f32 v2, v2, v5
	v_dual_mul_f32 v5, v163, v131 :: v_dual_add_f32 v2, v2, v4
	s_delay_alu instid0(VALU_DEP_2) | instskip(NEXT) | instid1(VALU_DEP_2)
	v_add_f32_e32 v1, v1, v172
	v_fma_f32 v4, v162, v130, -v5
	s_delay_alu instid0(VALU_DEP_2) | instskip(NEXT) | instid1(VALU_DEP_1)
	v_dual_add_f32 v2, v2, v3 :: v_dual_add_f32 v1, v1, v173
	v_dual_add_f32 v2, v2, v4 :: v_dual_add_f32 v1, v1, v174
	s_delay_alu instid0(VALU_DEP_1) | instskip(NEXT) | instid1(VALU_DEP_1)
	v_add_f32_e32 v1, v1, v175
	v_add_f32_e32 v1, v1, v176
	s_delay_alu instid0(VALU_DEP_1) | instskip(NEXT) | instid1(VALU_DEP_1)
	v_add_f32_e32 v1, v1, v177
	v_add_f32_e32 v1, v1, v178
	s_delay_alu instid0(VALU_DEP_1) | instskip(SKIP_1) | instid1(VALU_DEP_1)
	v_add_f32_e32 v3, v1, v179
	s_wait_loadcnt 0x0
	v_dual_sub_f32 v1, v164, v2 :: v_dual_sub_f32 v2, v165, v3
	scratch_store_b64 off, v[1:2], off offset:248
	v_cmpx_lt_u32_e32 30, v0
	s_cbranch_execz .LBB111_241
; %bb.240:
	scratch_load_b64 v[1:2], off, off offset:240
	v_mov_b32_e32 v3, 0
	s_delay_alu instid0(VALU_DEP_1)
	v_mov_b32_e32 v4, v3
	scratch_store_b64 off, v[3:4], off offset:240
	s_wait_loadcnt 0x0
	ds_store_b64 v23, v[1:2]
.LBB111_241:
	s_wait_alu 0xfffe
	s_or_b32 exec_lo, exec_lo, s0
	s_wait_storecnt_dscnt 0x0
	s_barrier_signal -1
	s_barrier_wait -1
	global_inv scope:SCOPE_SE
	s_clause 0x9
	scratch_load_b128 v[2:5], off, off offset:248
	scratch_load_b128 v[6:9], off, off offset:264
	;; [unrolled: 1-line block ×8, first 2 shown]
	scratch_load_b64 v[164:165], off, off offset:376
	scratch_load_b64 v[166:167], off, off offset:240
	v_mov_b32_e32 v1, 0
	ds_load_2addr_b64 v[132:135], v1 offset0:79 offset1:80
	ds_load_2addr_b64 v[136:139], v1 offset0:81 offset1:82
	;; [unrolled: 1-line block ×8, first 2 shown]
	ds_load_b64 v[168:169], v1 offset:760
	s_mov_b32 s0, exec_lo
	s_wait_loadcnt_dscnt 0x908
	v_mul_f32_e32 v22, v132, v3
	v_dual_mul_f32 v3, v133, v3 :: v_dual_mul_f32 v170, v134, v5
	s_wait_loadcnt_dscnt 0x504
	v_dual_mul_f32 v171, v136, v7 :: v_dual_mul_f32 v178, v150, v21
	v_mul_f32_e32 v5, v135, v5
	s_delay_alu instid0(VALU_DEP_3)
	v_fma_f32 v3, v132, v2, -v3
	v_dual_mul_f32 v172, v138, v9 :: v_dual_mul_f32 v173, v140, v11
	s_wait_loadcnt_dscnt 0x100
	v_dual_mul_f32 v185, v168, v165 :: v_dual_fmac_f32 v22, v133, v2
	v_mul_f32_e32 v2, v137, v7
	v_dual_fmac_f32 v170, v135, v4 :: v_dual_add_f32 v3, 0, v3
	v_fma_f32 v4, v134, v4, -v5
	s_delay_alu instid0(VALU_DEP_4) | instskip(SKIP_2) | instid1(VALU_DEP_4)
	v_dual_add_f32 v5, 0, v22 :: v_dual_fmac_f32 v172, v139, v8
	v_mul_f32_e32 v7, v139, v9
	v_fma_f32 v2, v136, v6, -v2
	v_add_f32_e32 v3, v3, v4
	v_fmac_f32_e32 v171, v137, v6
	v_add_f32_e32 v4, v5, v170
	v_mul_f32_e32 v5, v141, v11
	v_fma_f32 v6, v138, v8, -v7
	v_add_f32_e32 v2, v3, v2
	v_dual_mul_f32 v174, v142, v13 :: v_dual_mul_f32 v175, v144, v15
	v_dual_add_f32 v3, v4, v171 :: v_dual_mul_f32 v4, v143, v13
	v_fma_f32 v5, v140, v10, -v5
	s_delay_alu instid0(VALU_DEP_4)
	v_add_f32_e32 v2, v2, v6
	v_fmac_f32_e32 v173, v141, v10
	v_mul_f32_e32 v6, v145, v15
	v_fmac_f32_e32 v174, v143, v12
	v_add_f32_e32 v3, v3, v172
	v_fma_f32 v4, v142, v12, -v4
	v_add_f32_e32 v2, v2, v5
	v_dual_mul_f32 v176, v146, v17 :: v_dual_mul_f32 v177, v148, v19
	s_delay_alu instid0(VALU_DEP_4)
	v_add_f32_e32 v3, v3, v173
	v_mul_f32_e32 v5, v147, v17
	v_fma_f32 v6, v144, v14, -v6
	v_dual_add_f32 v2, v2, v4 :: v_dual_fmac_f32 v175, v145, v14
	v_fmac_f32_e32 v176, v147, v16
	v_mul_f32_e32 v4, v149, v19
	v_fma_f32 v5, v146, v16, -v5
	s_delay_alu instid0(VALU_DEP_4) | instskip(SKIP_3) | instid1(VALU_DEP_3)
	v_add_f32_e32 v2, v2, v6
	v_add_f32_e32 v3, v3, v174
	v_dual_mul_f32 v6, v151, v21 :: v_dual_fmac_f32 v177, v149, v18
	v_fma_f32 v4, v148, v18, -v4
	v_dual_add_f32 v2, v2, v5 :: v_dual_add_f32 v3, v3, v175
	s_delay_alu instid0(VALU_DEP_3) | instskip(SKIP_1) | instid1(VALU_DEP_3)
	v_fma_f32 v6, v150, v20, -v6
	v_dual_mul_f32 v179, v152, v25 :: v_dual_mul_f32 v180, v154, v27
	v_add_f32_e32 v2, v2, v4
	s_delay_alu instid0(VALU_DEP_4) | instskip(SKIP_1) | instid1(VALU_DEP_4)
	v_add_f32_e32 v3, v3, v176
	v_dual_mul_f32 v5, v153, v25 :: v_dual_fmac_f32 v178, v151, v20
	v_dual_mul_f32 v4, v155, v27 :: v_dual_fmac_f32 v179, v153, v24
	s_delay_alu instid0(VALU_DEP_3) | instskip(NEXT) | instid1(VALU_DEP_3)
	v_dual_add_f32 v2, v2, v6 :: v_dual_add_f32 v3, v3, v177
	v_fma_f32 v5, v152, v24, -v5
	v_dual_mul_f32 v181, v156, v125 :: v_dual_mul_f32 v182, v158, v127
	s_delay_alu instid0(VALU_DEP_3) | instskip(NEXT) | instid1(VALU_DEP_2)
	v_dual_mul_f32 v6, v157, v125 :: v_dual_add_f32 v3, v3, v178
	v_dual_fmac_f32 v180, v155, v26 :: v_dual_fmac_f32 v181, v157, v124
	v_fma_f32 v4, v154, v26, -v4
	s_delay_alu instid0(VALU_DEP_3) | instskip(SKIP_3) | instid1(VALU_DEP_4)
	v_dual_add_f32 v2, v2, v5 :: v_dual_add_f32 v3, v3, v179
	v_mul_f32_e32 v5, v159, v127
	v_fma_f32 v6, v156, v124, -v6
	v_dual_mul_f32 v183, v160, v129 :: v_dual_mul_f32 v184, v162, v131
	v_add_f32_e32 v2, v2, v4
	v_dual_add_f32 v3, v3, v180 :: v_dual_mul_f32 v4, v161, v129
	s_delay_alu instid0(VALU_DEP_3) | instskip(SKIP_1) | instid1(VALU_DEP_3)
	v_dual_fmac_f32 v182, v159, v126 :: v_dual_fmac_f32 v183, v161, v128
	v_fma_f32 v5, v158, v126, -v5
	v_dual_add_f32 v2, v2, v6 :: v_dual_add_f32 v3, v3, v181
	v_mul_f32_e32 v6, v163, v131
	v_fma_f32 v4, v160, v128, -v4
	v_dual_fmac_f32 v184, v163, v130 :: v_dual_fmac_f32 v185, v169, v164
	s_delay_alu instid0(VALU_DEP_4) | instskip(SKIP_2) | instid1(VALU_DEP_3)
	v_dual_add_f32 v2, v2, v5 :: v_dual_add_f32 v3, v3, v182
	v_mul_f32_e32 v5, v169, v165
	v_fma_f32 v6, v162, v130, -v6
	v_dual_add_f32 v2, v2, v4 :: v_dual_add_f32 v3, v3, v183
	s_delay_alu instid0(VALU_DEP_3) | instskip(NEXT) | instid1(VALU_DEP_2)
	v_fma_f32 v4, v168, v164, -v5
	v_dual_add_f32 v2, v2, v6 :: v_dual_add_f32 v3, v3, v184
	s_delay_alu instid0(VALU_DEP_1) | instskip(SKIP_1) | instid1(VALU_DEP_1)
	v_dual_add_f32 v2, v2, v4 :: v_dual_add_f32 v3, v3, v185
	s_wait_loadcnt 0x0
	v_dual_sub_f32 v2, v166, v2 :: v_dual_sub_f32 v3, v167, v3
	scratch_store_b64 off, v[2:3], off offset:240
	v_cmpx_lt_u32_e32 29, v0
	s_cbranch_execz .LBB111_243
; %bb.242:
	scratch_load_b64 v[3:4], off, off offset:232
	v_mov_b32_e32 v2, v1
	scratch_store_b64 off, v[1:2], off offset:232
	s_wait_loadcnt 0x0
	ds_store_b64 v23, v[3:4]
.LBB111_243:
	s_wait_alu 0xfffe
	s_or_b32 exec_lo, exec_lo, s0
	s_wait_storecnt_dscnt 0x0
	s_barrier_signal -1
	s_barrier_wait -1
	global_inv scope:SCOPE_SE
	s_clause 0x9
	scratch_load_b128 v[2:5], off, off offset:240
	scratch_load_b128 v[6:9], off, off offset:256
	scratch_load_b128 v[10:13], off, off offset:272
	scratch_load_b128 v[14:17], off, off offset:288
	scratch_load_b128 v[18:21], off, off offset:304
	scratch_load_b128 v[24:27], off, off offset:320
	scratch_load_b128 v[124:127], off, off offset:336
	scratch_load_b128 v[128:131], off, off offset:352
	scratch_load_b128 v[132:135], off, off offset:368
	scratch_load_b64 v[172:173], off, off offset:232
	ds_load_b128 v[136:139], v1 offset:624
	ds_load_b128 v[140:143], v1 offset:640
	;; [unrolled: 1-line block ×9, first 2 shown]
	s_mov_b32 s0, exec_lo
	s_wait_loadcnt_dscnt 0x908
	v_dual_mul_f32 v1, v136, v3 :: v_dual_mul_f32 v22, v138, v5
	v_mul_f32_e32 v5, v139, v5
	v_mul_f32_e32 v3, v137, v3
	s_wait_loadcnt_dscnt 0x807
	v_dual_mul_f32 v174, v140, v7 :: v_dual_mul_f32 v175, v142, v9
	s_wait_loadcnt_dscnt 0x201
	v_dual_fmac_f32 v1, v137, v2 :: v_dual_mul_f32 v186, v164, v129
	v_fma_f32 v3, v136, v2, -v3
	s_wait_loadcnt_dscnt 0x100
	v_dual_mul_f32 v189, v170, v135 :: v_dual_fmac_f32 v22, v139, v4
	v_mul_f32_e32 v2, v141, v7
	v_fma_f32 v4, v138, v4, -v5
	v_dual_add_f32 v3, 0, v3 :: v_dual_fmac_f32 v174, v141, v6
	v_dual_mul_f32 v176, v144, v11 :: v_dual_mul_f32 v177, v146, v13
	v_dual_mul_f32 v178, v148, v15 :: v_dual_mul_f32 v179, v150, v17
	s_delay_alu instid0(VALU_DEP_2) | instskip(SKIP_1) | instid1(VALU_DEP_3)
	v_dual_mul_f32 v5, v143, v9 :: v_dual_fmac_f32 v176, v145, v10
	v_fma_f32 v2, v140, v6, -v2
	v_dual_add_f32 v3, v3, v4 :: v_dual_fmac_f32 v178, v149, v14
	s_delay_alu instid0(VALU_DEP_3) | instskip(SKIP_1) | instid1(VALU_DEP_3)
	v_fma_f32 v5, v142, v8, -v5
	v_dual_mul_f32 v180, v152, v19 :: v_dual_mul_f32 v181, v154, v21
	v_add_f32_e32 v2, v3, v2
	v_dual_mul_f32 v4, v145, v11 :: v_dual_mul_f32 v3, v147, v13
	s_delay_alu instid0(VALU_DEP_3) | instskip(SKIP_1) | instid1(VALU_DEP_4)
	v_fmac_f32_e32 v180, v153, v18
	v_dual_mul_f32 v182, v156, v25 :: v_dual_mul_f32 v183, v158, v27
	v_add_f32_e32 v2, v2, v5
	v_add_f32_e32 v1, 0, v1
	v_fma_f32 v4, v144, v10, -v4
	v_fma_f32 v3, v146, v12, -v3
	v_dual_fmac_f32 v179, v151, v16 :: v_dual_mul_f32 v184, v160, v125
	v_mul_f32_e32 v185, v162, v127
	s_delay_alu instid0(VALU_DEP_4) | instskip(SKIP_3) | instid1(VALU_DEP_4)
	v_dual_add_f32 v1, v1, v22 :: v_dual_add_f32 v2, v2, v4
	v_mul_f32_e32 v4, v151, v17
	v_fmac_f32_e32 v175, v143, v8
	v_dual_mul_f32 v187, v166, v131 :: v_dual_mul_f32 v188, v168, v133
	v_add_f32_e32 v1, v1, v174
	s_delay_alu instid0(VALU_DEP_4) | instskip(SKIP_2) | instid1(VALU_DEP_4)
	v_fma_f32 v4, v150, v16, -v4
	v_mul_f32_e32 v5, v149, v15
	v_dual_add_f32 v2, v2, v3 :: v_dual_fmac_f32 v185, v163, v126
	v_add_f32_e32 v1, v1, v175
	v_dual_fmac_f32 v183, v159, v26 :: v_dual_fmac_f32 v186, v165, v128
	s_delay_alu instid0(VALU_DEP_4) | instskip(SKIP_3) | instid1(VALU_DEP_4)
	v_fma_f32 v5, v148, v14, -v5
	v_fmac_f32_e32 v177, v147, v12
	v_dual_fmac_f32 v182, v157, v24 :: v_dual_fmac_f32 v189, v171, v134
	v_fmac_f32_e32 v184, v161, v124
	v_add_f32_e32 v2, v2, v5
	v_dual_mul_f32 v5, v155, v21 :: v_dual_fmac_f32 v188, v169, v132
	s_delay_alu instid0(VALU_DEP_2) | instskip(NEXT) | instid1(VALU_DEP_2)
	v_add_f32_e32 v2, v2, v4
	v_fma_f32 v5, v154, v20, -v5
	v_mul_f32_e32 v3, v153, v19
	v_mul_f32_e32 v4, v157, v25
	s_delay_alu instid0(VALU_DEP_2) | instskip(SKIP_1) | instid1(VALU_DEP_3)
	v_fma_f32 v3, v152, v18, -v3
	v_add_f32_e32 v1, v1, v176
	v_fma_f32 v4, v156, v24, -v4
	s_delay_alu instid0(VALU_DEP_3) | instskip(NEXT) | instid1(VALU_DEP_1)
	v_add_f32_e32 v2, v2, v3
	v_dual_mul_f32 v3, v159, v27 :: v_dual_add_f32 v2, v2, v5
	s_delay_alu instid0(VALU_DEP_4) | instskip(NEXT) | instid1(VALU_DEP_2)
	v_add_f32_e32 v1, v1, v177
	v_fma_f32 v3, v158, v26, -v3
	s_delay_alu instid0(VALU_DEP_2) | instskip(SKIP_1) | instid1(VALU_DEP_2)
	v_dual_add_f32 v2, v2, v4 :: v_dual_add_f32 v1, v1, v178
	v_mul_f32_e32 v4, v163, v127
	v_dual_fmac_f32 v181, v155, v20 :: v_dual_add_f32 v2, v2, v3
	v_mul_f32_e32 v3, v165, v129
	s_delay_alu instid0(VALU_DEP_3) | instskip(SKIP_1) | instid1(VALU_DEP_3)
	v_fma_f32 v4, v162, v126, -v4
	v_mul_f32_e32 v5, v161, v125
	v_fma_f32 v3, v164, v128, -v3
	s_delay_alu instid0(VALU_DEP_2) | instskip(NEXT) | instid1(VALU_DEP_1)
	v_fma_f32 v5, v160, v124, -v5
	v_dual_add_f32 v1, v1, v179 :: v_dual_add_f32 v2, v2, v5
	s_delay_alu instid0(VALU_DEP_1) | instskip(NEXT) | instid1(VALU_DEP_2)
	v_dual_mul_f32 v5, v167, v131 :: v_dual_add_f32 v2, v2, v4
	v_add_f32_e32 v1, v1, v180
	v_mul_f32_e32 v4, v169, v133
	s_delay_alu instid0(VALU_DEP_3) | instskip(NEXT) | instid1(VALU_DEP_4)
	v_fma_f32 v5, v166, v130, -v5
	v_dual_add_f32 v2, v2, v3 :: v_dual_fmac_f32 v187, v167, v130
	v_mul_f32_e32 v3, v171, v135
	s_delay_alu instid0(VALU_DEP_4) | instskip(NEXT) | instid1(VALU_DEP_3)
	v_fma_f32 v4, v168, v132, -v4
	v_add_f32_e32 v2, v2, v5
	v_add_f32_e32 v1, v1, v181
	s_delay_alu instid0(VALU_DEP_4) | instskip(NEXT) | instid1(VALU_DEP_2)
	v_fma_f32 v3, v170, v134, -v3
	v_dual_add_f32 v2, v2, v4 :: v_dual_add_f32 v1, v1, v182
	s_delay_alu instid0(VALU_DEP_1) | instskip(NEXT) | instid1(VALU_DEP_2)
	v_add_f32_e32 v2, v2, v3
	v_add_f32_e32 v1, v1, v183
	s_delay_alu instid0(VALU_DEP_1) | instskip(NEXT) | instid1(VALU_DEP_1)
	v_add_f32_e32 v1, v1, v184
	v_add_f32_e32 v1, v1, v185
	s_delay_alu instid0(VALU_DEP_1) | instskip(NEXT) | instid1(VALU_DEP_1)
	;; [unrolled: 3-line block ×3, first 2 shown]
	v_add_f32_e32 v1, v1, v188
	v_add_f32_e32 v3, v1, v189
	s_wait_loadcnt 0x0
	s_delay_alu instid0(VALU_DEP_1)
	v_dual_sub_f32 v1, v172, v2 :: v_dual_sub_f32 v2, v173, v3
	scratch_store_b64 off, v[1:2], off offset:232
	v_cmpx_lt_u32_e32 28, v0
	s_cbranch_execz .LBB111_245
; %bb.244:
	scratch_load_b64 v[1:2], off, off offset:224
	v_mov_b32_e32 v3, 0
	s_delay_alu instid0(VALU_DEP_1)
	v_mov_b32_e32 v4, v3
	scratch_store_b64 off, v[3:4], off offset:224
	s_wait_loadcnt 0x0
	ds_store_b64 v23, v[1:2]
.LBB111_245:
	s_wait_alu 0xfffe
	s_or_b32 exec_lo, exec_lo, s0
	s_wait_storecnt_dscnt 0x0
	s_barrier_signal -1
	s_barrier_wait -1
	global_inv scope:SCOPE_SE
	s_clause 0xa
	scratch_load_b128 v[2:5], off, off offset:232
	scratch_load_b128 v[6:9], off, off offset:248
	;; [unrolled: 1-line block ×9, first 2 shown]
	scratch_load_b64 v[172:173], off, off offset:376
	scratch_load_b64 v[174:175], off, off offset:224
	v_mov_b32_e32 v1, 0
	ds_load_2addr_b64 v[136:139], v1 offset0:77 offset1:78
	ds_load_2addr_b64 v[140:143], v1 offset0:79 offset1:80
	;; [unrolled: 1-line block ×9, first 2 shown]
	ds_load_b64 v[176:177], v1 offset:760
	s_mov_b32 s0, exec_lo
	s_wait_loadcnt_dscnt 0xa09
	v_mul_f32_e32 v22, v136, v3
	v_dual_mul_f32 v3, v137, v3 :: v_dual_mul_f32 v178, v138, v5
	s_wait_loadcnt_dscnt 0x605
	v_dual_mul_f32 v179, v140, v7 :: v_dual_mul_f32 v186, v154, v21
	v_mul_f32_e32 v5, v139, v5
	s_delay_alu instid0(VALU_DEP_3)
	v_fma_f32 v3, v136, v2, -v3
	v_dual_mul_f32 v180, v142, v9 :: v_dual_mul_f32 v181, v144, v11
	s_wait_loadcnt_dscnt 0x100
	v_dual_mul_f32 v195, v176, v173 :: v_dual_fmac_f32 v22, v137, v2
	v_mul_f32_e32 v2, v141, v7
	v_dual_fmac_f32 v178, v139, v4 :: v_dual_add_f32 v3, 0, v3
	v_fma_f32 v4, v138, v4, -v5
	s_delay_alu instid0(VALU_DEP_4) | instskip(SKIP_2) | instid1(VALU_DEP_4)
	v_dual_add_f32 v5, 0, v22 :: v_dual_fmac_f32 v180, v143, v8
	v_mul_f32_e32 v7, v143, v9
	v_fma_f32 v2, v140, v6, -v2
	v_add_f32_e32 v3, v3, v4
	v_fmac_f32_e32 v179, v141, v6
	v_add_f32_e32 v4, v5, v178
	v_mul_f32_e32 v5, v145, v11
	v_fma_f32 v6, v142, v8, -v7
	v_add_f32_e32 v2, v3, v2
	v_dual_mul_f32 v182, v146, v13 :: v_dual_mul_f32 v183, v148, v15
	v_dual_add_f32 v3, v4, v179 :: v_dual_mul_f32 v4, v147, v13
	v_fma_f32 v5, v144, v10, -v5
	s_delay_alu instid0(VALU_DEP_4)
	v_add_f32_e32 v2, v2, v6
	v_fmac_f32_e32 v181, v145, v10
	v_mul_f32_e32 v6, v149, v15
	v_fmac_f32_e32 v182, v147, v12
	v_add_f32_e32 v3, v3, v180
	v_fma_f32 v4, v146, v12, -v4
	v_add_f32_e32 v2, v2, v5
	v_dual_mul_f32 v184, v150, v17 :: v_dual_mul_f32 v185, v152, v19
	s_delay_alu instid0(VALU_DEP_4)
	v_add_f32_e32 v3, v3, v181
	v_mul_f32_e32 v5, v151, v17
	v_fma_f32 v6, v148, v14, -v6
	v_dual_add_f32 v2, v2, v4 :: v_dual_fmac_f32 v183, v149, v14
	v_fmac_f32_e32 v184, v151, v16
	v_mul_f32_e32 v4, v153, v19
	v_fma_f32 v5, v150, v16, -v5
	s_delay_alu instid0(VALU_DEP_4) | instskip(SKIP_3) | instid1(VALU_DEP_3)
	v_add_f32_e32 v2, v2, v6
	v_add_f32_e32 v3, v3, v182
	v_dual_mul_f32 v6, v155, v21 :: v_dual_fmac_f32 v185, v153, v18
	v_fma_f32 v4, v152, v18, -v4
	v_dual_add_f32 v2, v2, v5 :: v_dual_add_f32 v3, v3, v183
	s_delay_alu instid0(VALU_DEP_3) | instskip(SKIP_1) | instid1(VALU_DEP_3)
	v_fma_f32 v6, v154, v20, -v6
	v_dual_mul_f32 v187, v156, v25 :: v_dual_mul_f32 v188, v158, v27
	v_add_f32_e32 v2, v2, v4
	s_delay_alu instid0(VALU_DEP_4) | instskip(SKIP_1) | instid1(VALU_DEP_4)
	v_add_f32_e32 v3, v3, v184
	v_dual_mul_f32 v5, v157, v25 :: v_dual_fmac_f32 v186, v155, v20
	v_dual_mul_f32 v4, v159, v27 :: v_dual_fmac_f32 v187, v157, v24
	s_delay_alu instid0(VALU_DEP_3) | instskip(NEXT) | instid1(VALU_DEP_3)
	v_dual_add_f32 v2, v2, v6 :: v_dual_add_f32 v3, v3, v185
	v_fma_f32 v5, v156, v24, -v5
	v_dual_mul_f32 v189, v160, v125 :: v_dual_mul_f32 v190, v162, v127
	s_delay_alu instid0(VALU_DEP_3) | instskip(NEXT) | instid1(VALU_DEP_2)
	v_dual_mul_f32 v6, v161, v125 :: v_dual_add_f32 v3, v3, v186
	v_dual_fmac_f32 v188, v159, v26 :: v_dual_fmac_f32 v189, v161, v124
	v_fma_f32 v4, v158, v26, -v4
	s_delay_alu instid0(VALU_DEP_3) | instskip(SKIP_3) | instid1(VALU_DEP_4)
	v_dual_add_f32 v2, v2, v5 :: v_dual_add_f32 v3, v3, v187
	v_mul_f32_e32 v5, v163, v127
	v_fma_f32 v6, v160, v124, -v6
	v_dual_mul_f32 v191, v164, v129 :: v_dual_mul_f32 v192, v166, v131
	v_add_f32_e32 v2, v2, v4
	v_dual_add_f32 v3, v3, v188 :: v_dual_mul_f32 v4, v165, v129
	s_delay_alu instid0(VALU_DEP_3) | instskip(SKIP_1) | instid1(VALU_DEP_3)
	v_dual_fmac_f32 v190, v163, v126 :: v_dual_fmac_f32 v191, v165, v128
	v_fma_f32 v5, v162, v126, -v5
	v_dual_add_f32 v2, v2, v6 :: v_dual_add_f32 v3, v3, v189
	v_mul_f32_e32 v6, v167, v131
	v_fma_f32 v4, v164, v128, -v4
	v_dual_mul_f32 v193, v168, v133 :: v_dual_mul_f32 v194, v170, v135
	s_delay_alu instid0(VALU_DEP_4) | instskip(SKIP_1) | instid1(VALU_DEP_3)
	v_dual_add_f32 v2, v2, v5 :: v_dual_add_f32 v3, v3, v190
	v_dual_mul_f32 v5, v169, v133 :: v_dual_fmac_f32 v192, v167, v130
	v_fmac_f32_e32 v193, v169, v132
	v_fma_f32 v6, v166, v130, -v6
	s_delay_alu instid0(VALU_DEP_4) | instskip(SKIP_2) | instid1(VALU_DEP_3)
	v_dual_add_f32 v2, v2, v4 :: v_dual_add_f32 v3, v3, v191
	v_dual_mul_f32 v4, v171, v135 :: v_dual_fmac_f32 v195, v177, v172
	v_fma_f32 v5, v168, v132, -v5
	v_dual_add_f32 v2, v2, v6 :: v_dual_add_f32 v3, v3, v192
	v_fmac_f32_e32 v194, v171, v134
	s_delay_alu instid0(VALU_DEP_4) | instskip(NEXT) | instid1(VALU_DEP_3)
	v_fma_f32 v4, v170, v134, -v4
	v_add_f32_e32 v3, v3, v193
	s_delay_alu instid0(VALU_DEP_1) | instskip(SKIP_1) | instid1(VALU_DEP_2)
	v_dual_mul_f32 v6, v177, v173 :: v_dual_add_f32 v3, v3, v194
	v_add_f32_e32 v2, v2, v5
	v_fma_f32 v5, v176, v172, -v6
	s_delay_alu instid0(VALU_DEP_2) | instskip(SKIP_1) | instid1(VALU_DEP_1)
	v_dual_add_f32 v3, v3, v195 :: v_dual_add_f32 v2, v2, v4
	s_wait_loadcnt 0x0
	v_dual_sub_f32 v3, v175, v3 :: v_dual_add_f32 v2, v2, v5
	s_delay_alu instid0(VALU_DEP_1)
	v_sub_f32_e32 v2, v174, v2
	scratch_store_b64 off, v[2:3], off offset:224
	v_cmpx_lt_u32_e32 27, v0
	s_cbranch_execz .LBB111_247
; %bb.246:
	scratch_load_b64 v[3:4], off, off offset:216
	v_mov_b32_e32 v2, v1
	scratch_store_b64 off, v[1:2], off offset:216
	s_wait_loadcnt 0x0
	ds_store_b64 v23, v[3:4]
.LBB111_247:
	s_wait_alu 0xfffe
	s_or_b32 exec_lo, exec_lo, s0
	s_wait_storecnt_dscnt 0x0
	s_barrier_signal -1
	s_barrier_wait -1
	global_inv scope:SCOPE_SE
	s_clause 0xa
	scratch_load_b128 v[2:5], off, off offset:224
	scratch_load_b128 v[6:9], off, off offset:240
	;; [unrolled: 1-line block ×10, first 2 shown]
	scratch_load_b64 v[180:181], off, off offset:216
	ds_load_b128 v[140:143], v1 offset:608
	ds_load_b128 v[144:147], v1 offset:624
	ds_load_b128 v[148:151], v1 offset:640
	ds_load_b128 v[152:155], v1 offset:656
	ds_load_b128 v[156:159], v1 offset:672
	ds_load_b128 v[160:163], v1 offset:688
	ds_load_b128 v[164:167], v1 offset:704
	ds_load_b128 v[168:171], v1 offset:720
	ds_load_b128 v[172:175], v1 offset:736
	ds_load_b128 v[176:179], v1 offset:752
	s_mov_b32 s0, exec_lo
	s_wait_loadcnt_dscnt 0xa09
	v_dual_mul_f32 v1, v140, v3 :: v_dual_mul_f32 v22, v142, v5
	s_wait_loadcnt_dscnt 0x908
	v_dual_mul_f32 v5, v143, v5 :: v_dual_mul_f32 v182, v144, v7
	v_mul_f32_e32 v183, v146, v9
	v_mul_f32_e32 v3, v141, v3
	v_dual_fmac_f32 v1, v141, v2 :: v_dual_fmac_f32 v22, v143, v4
	s_wait_loadcnt_dscnt 0x100
	v_dual_mul_f32 v196, v172, v133 :: v_dual_mul_f32 v199, v178, v139
	s_delay_alu instid0(VALU_DEP_3) | instskip(SKIP_3) | instid1(VALU_DEP_4)
	v_fma_f32 v3, v140, v2, -v3
	v_mul_f32_e32 v2, v145, v7
	v_fma_f32 v4, v142, v4, -v5
	v_dual_mul_f32 v184, v148, v11 :: v_dual_mul_f32 v185, v150, v13
	v_dual_add_f32 v3, 0, v3 :: v_dual_fmac_f32 v182, v145, v6
	v_dual_mul_f32 v186, v152, v15 :: v_dual_mul_f32 v187, v154, v17
	s_delay_alu instid0(VALU_DEP_3) | instskip(SKIP_1) | instid1(VALU_DEP_3)
	v_dual_mul_f32 v5, v147, v9 :: v_dual_fmac_f32 v184, v149, v10
	v_fma_f32 v2, v144, v6, -v2
	v_dual_add_f32 v3, v3, v4 :: v_dual_fmac_f32 v186, v153, v14
	s_delay_alu instid0(VALU_DEP_3) | instskip(SKIP_1) | instid1(VALU_DEP_3)
	v_fma_f32 v5, v146, v8, -v5
	v_dual_mul_f32 v188, v156, v19 :: v_dual_mul_f32 v189, v158, v21
	v_add_f32_e32 v2, v3, v2
	v_dual_mul_f32 v3, v151, v13 :: v_dual_mul_f32 v4, v149, v11
	s_delay_alu instid0(VALU_DEP_3) | instskip(SKIP_1) | instid1(VALU_DEP_4)
	v_fmac_f32_e32 v188, v157, v18
	v_dual_mul_f32 v190, v160, v25 :: v_dual_mul_f32 v191, v162, v27
	v_add_f32_e32 v2, v2, v5
	v_add_f32_e32 v1, 0, v1
	v_fma_f32 v4, v148, v10, -v4
	v_fma_f32 v3, v150, v12, -v3
	v_dual_fmac_f32 v187, v155, v16 :: v_dual_mul_f32 v192, v164, v125
	v_mul_f32_e32 v193, v166, v127
	s_delay_alu instid0(VALU_DEP_4) | instskip(SKIP_3) | instid1(VALU_DEP_4)
	v_dual_add_f32 v1, v1, v22 :: v_dual_add_f32 v2, v2, v4
	v_mul_f32_e32 v4, v155, v17
	v_dual_fmac_f32 v183, v147, v8 :: v_dual_mul_f32 v194, v168, v129
	v_mul_f32_e32 v195, v170, v131
	v_add_f32_e32 v1, v1, v182
	s_delay_alu instid0(VALU_DEP_4) | instskip(SKIP_2) | instid1(VALU_DEP_4)
	v_fma_f32 v4, v154, v16, -v4
	v_mul_f32_e32 v5, v153, v15
	v_dual_add_f32 v2, v2, v3 :: v_dual_fmac_f32 v193, v167, v126
	v_add_f32_e32 v1, v1, v183
	v_dual_mul_f32 v197, v174, v135 :: v_dual_mul_f32 v198, v176, v137
	s_delay_alu instid0(VALU_DEP_4) | instskip(SKIP_3) | instid1(VALU_DEP_4)
	v_fma_f32 v5, v152, v14, -v5
	v_fmac_f32_e32 v185, v151, v12
	v_dual_fmac_f32 v190, v161, v24 :: v_dual_fmac_f32 v191, v163, v26
	v_fmac_f32_e32 v194, v169, v128
	v_add_f32_e32 v2, v2, v5
	v_mul_f32_e32 v5, v159, v21
	v_fmac_f32_e32 v197, v175, v134
	v_dual_fmac_f32 v199, v179, v138 :: v_dual_fmac_f32 v192, v165, v124
	s_delay_alu instid0(VALU_DEP_4) | instskip(NEXT) | instid1(VALU_DEP_4)
	v_add_f32_e32 v2, v2, v4
	v_fma_f32 v5, v158, v20, -v5
	v_mul_f32_e32 v3, v157, v19
	v_mul_f32_e32 v4, v161, v25
	v_fmac_f32_e32 v196, v173, v132
	v_fmac_f32_e32 v198, v177, v136
	s_delay_alu instid0(VALU_DEP_4) | instskip(SKIP_2) | instid1(VALU_DEP_3)
	v_fma_f32 v3, v156, v18, -v3
	v_add_f32_e32 v1, v1, v184
	v_fma_f32 v4, v160, v24, -v4
	v_add_f32_e32 v2, v2, v3
	s_delay_alu instid0(VALU_DEP_1) | instskip(NEXT) | instid1(VALU_DEP_4)
	v_dual_mul_f32 v3, v163, v27 :: v_dual_add_f32 v2, v2, v5
	v_add_f32_e32 v1, v1, v185
	s_delay_alu instid0(VALU_DEP_2) | instskip(NEXT) | instid1(VALU_DEP_2)
	v_fma_f32 v3, v162, v26, -v3
	v_dual_add_f32 v2, v2, v4 :: v_dual_add_f32 v1, v1, v186
	v_mul_f32_e32 v4, v167, v127
	s_delay_alu instid0(VALU_DEP_2) | instskip(SKIP_1) | instid1(VALU_DEP_3)
	v_dual_fmac_f32 v189, v159, v20 :: v_dual_add_f32 v2, v2, v3
	v_mul_f32_e32 v3, v169, v129
	v_fma_f32 v4, v166, v126, -v4
	v_mul_f32_e32 v5, v165, v125
	s_delay_alu instid0(VALU_DEP_3) | instskip(NEXT) | instid1(VALU_DEP_2)
	v_fma_f32 v3, v168, v128, -v3
	v_fma_f32 v5, v164, v124, -v5
	s_delay_alu instid0(VALU_DEP_1) | instskip(NEXT) | instid1(VALU_DEP_1)
	v_dual_add_f32 v1, v1, v187 :: v_dual_add_f32 v2, v2, v5
	v_dual_mul_f32 v5, v171, v131 :: v_dual_add_f32 v2, v2, v4
	s_delay_alu instid0(VALU_DEP_2) | instskip(SKIP_1) | instid1(VALU_DEP_3)
	v_add_f32_e32 v1, v1, v188
	v_mul_f32_e32 v4, v173, v133
	v_fma_f32 v5, v170, v130, -v5
	s_delay_alu instid0(VALU_DEP_4) | instskip(SKIP_1) | instid1(VALU_DEP_4)
	v_dual_add_f32 v2, v2, v3 :: v_dual_fmac_f32 v195, v171, v130
	v_mul_f32_e32 v3, v175, v135
	v_fma_f32 v4, v172, v132, -v4
	s_delay_alu instid0(VALU_DEP_3) | instskip(SKIP_1) | instid1(VALU_DEP_4)
	v_add_f32_e32 v2, v2, v5
	v_add_f32_e32 v1, v1, v189
	v_fma_f32 v3, v174, v134, -v3
	s_delay_alu instid0(VALU_DEP_2) | instskip(SKIP_1) | instid1(VALU_DEP_2)
	v_dual_add_f32 v2, v2, v4 :: v_dual_add_f32 v1, v1, v190
	v_dual_mul_f32 v4, v179, v139 :: v_dual_mul_f32 v5, v177, v137
	v_add_f32_e32 v2, v2, v3
	s_delay_alu instid0(VALU_DEP_2) | instskip(NEXT) | instid1(VALU_DEP_3)
	v_fma_f32 v3, v178, v138, -v4
	v_fma_f32 v5, v176, v136, -v5
	s_delay_alu instid0(VALU_DEP_1) | instskip(NEXT) | instid1(VALU_DEP_1)
	v_dual_add_f32 v1, v1, v191 :: v_dual_add_f32 v2, v2, v5
	v_dual_add_f32 v1, v1, v192 :: v_dual_add_f32 v2, v2, v3
	s_delay_alu instid0(VALU_DEP_1) | instskip(NEXT) | instid1(VALU_DEP_1)
	v_add_f32_e32 v1, v1, v193
	v_add_f32_e32 v1, v1, v194
	s_delay_alu instid0(VALU_DEP_1) | instskip(NEXT) | instid1(VALU_DEP_1)
	v_add_f32_e32 v1, v1, v195
	v_add_f32_e32 v1, v1, v196
	;; [unrolled: 3-line block ×3, first 2 shown]
	s_delay_alu instid0(VALU_DEP_1) | instskip(SKIP_1) | instid1(VALU_DEP_1)
	v_add_f32_e32 v3, v1, v199
	s_wait_loadcnt 0x0
	v_dual_sub_f32 v1, v180, v2 :: v_dual_sub_f32 v2, v181, v3
	scratch_store_b64 off, v[1:2], off offset:216
	v_cmpx_lt_u32_e32 26, v0
	s_cbranch_execz .LBB111_249
; %bb.248:
	scratch_load_b64 v[1:2], off, off offset:208
	v_mov_b32_e32 v3, 0
	s_delay_alu instid0(VALU_DEP_1)
	v_mov_b32_e32 v4, v3
	scratch_store_b64 off, v[3:4], off offset:208
	s_wait_loadcnt 0x0
	ds_store_b64 v23, v[1:2]
.LBB111_249:
	s_wait_alu 0xfffe
	s_or_b32 exec_lo, exec_lo, s0
	s_wait_storecnt_dscnt 0x0
	s_barrier_signal -1
	s_barrier_wait -1
	global_inv scope:SCOPE_SE
	s_clause 0xb
	scratch_load_b128 v[2:5], off, off offset:216
	scratch_load_b128 v[6:9], off, off offset:232
	scratch_load_b128 v[10:13], off, off offset:248
	scratch_load_b128 v[14:17], off, off offset:264
	scratch_load_b128 v[18:21], off, off offset:280
	scratch_load_b128 v[24:27], off, off offset:296
	scratch_load_b128 v[124:127], off, off offset:312
	scratch_load_b128 v[128:131], off, off offset:328
	scratch_load_b128 v[132:135], off, off offset:344
	scratch_load_b128 v[136:139], off, off offset:360
	scratch_load_b64 v[180:181], off, off offset:376
	scratch_load_b64 v[182:183], off, off offset:208
	v_mov_b32_e32 v1, 0
	ds_load_2addr_b64 v[140:143], v1 offset0:75 offset1:76
	ds_load_2addr_b64 v[144:147], v1 offset0:77 offset1:78
	;; [unrolled: 1-line block ×10, first 2 shown]
	ds_load_b64 v[184:185], v1 offset:760
	s_mov_b32 s0, exec_lo
	s_wait_loadcnt_dscnt 0xb0a
	v_mul_f32_e32 v22, v140, v3
	v_dual_mul_f32 v3, v141, v3 :: v_dual_mul_f32 v186, v142, v5
	s_wait_loadcnt_dscnt 0x706
	v_dual_mul_f32 v187, v144, v7 :: v_dual_mul_f32 v194, v158, v21
	v_mul_f32_e32 v5, v143, v5
	s_delay_alu instid0(VALU_DEP_3)
	v_fma_f32 v3, v140, v2, -v3
	v_dual_mul_f32 v188, v146, v9 :: v_dual_mul_f32 v189, v148, v11
	s_wait_loadcnt_dscnt 0x100
	v_dual_fmac_f32 v22, v141, v2 :: v_dual_mul_f32 v205, v184, v181
	v_mul_f32_e32 v2, v145, v7
	v_dual_fmac_f32 v186, v143, v4 :: v_dual_add_f32 v3, 0, v3
	v_fma_f32 v4, v142, v4, -v5
	s_delay_alu instid0(VALU_DEP_4) | instskip(SKIP_2) | instid1(VALU_DEP_4)
	v_dual_add_f32 v5, 0, v22 :: v_dual_fmac_f32 v188, v147, v8
	v_mul_f32_e32 v7, v147, v9
	v_fma_f32 v2, v144, v6, -v2
	v_add_f32_e32 v3, v3, v4
	v_fmac_f32_e32 v187, v145, v6
	v_add_f32_e32 v4, v5, v186
	v_mul_f32_e32 v5, v149, v11
	v_fma_f32 v6, v146, v8, -v7
	v_add_f32_e32 v2, v3, v2
	v_dual_mul_f32 v190, v150, v13 :: v_dual_mul_f32 v191, v152, v15
	v_dual_add_f32 v3, v4, v187 :: v_dual_mul_f32 v4, v151, v13
	v_fma_f32 v5, v148, v10, -v5
	s_delay_alu instid0(VALU_DEP_4)
	v_add_f32_e32 v2, v2, v6
	v_fmac_f32_e32 v189, v149, v10
	v_mul_f32_e32 v6, v153, v15
	v_fmac_f32_e32 v190, v151, v12
	v_add_f32_e32 v3, v3, v188
	v_fma_f32 v4, v150, v12, -v4
	v_add_f32_e32 v2, v2, v5
	v_dual_mul_f32 v192, v154, v17 :: v_dual_mul_f32 v193, v156, v19
	s_delay_alu instid0(VALU_DEP_4)
	v_add_f32_e32 v3, v3, v189
	v_mul_f32_e32 v5, v155, v17
	v_fma_f32 v6, v152, v14, -v6
	v_dual_add_f32 v2, v2, v4 :: v_dual_fmac_f32 v191, v153, v14
	v_fmac_f32_e32 v192, v155, v16
	v_mul_f32_e32 v4, v157, v19
	v_fma_f32 v5, v154, v16, -v5
	s_delay_alu instid0(VALU_DEP_4) | instskip(SKIP_3) | instid1(VALU_DEP_3)
	v_add_f32_e32 v2, v2, v6
	v_add_f32_e32 v3, v3, v190
	v_dual_mul_f32 v6, v159, v21 :: v_dual_fmac_f32 v193, v157, v18
	v_fma_f32 v4, v156, v18, -v4
	v_dual_add_f32 v2, v2, v5 :: v_dual_add_f32 v3, v3, v191
	s_delay_alu instid0(VALU_DEP_3) | instskip(SKIP_1) | instid1(VALU_DEP_3)
	v_fma_f32 v6, v158, v20, -v6
	v_dual_mul_f32 v195, v160, v25 :: v_dual_mul_f32 v196, v162, v27
	v_add_f32_e32 v2, v2, v4
	s_delay_alu instid0(VALU_DEP_4) | instskip(SKIP_1) | instid1(VALU_DEP_4)
	v_add_f32_e32 v3, v3, v192
	v_dual_mul_f32 v5, v161, v25 :: v_dual_fmac_f32 v194, v159, v20
	v_dual_mul_f32 v4, v163, v27 :: v_dual_fmac_f32 v195, v161, v24
	s_delay_alu instid0(VALU_DEP_3) | instskip(NEXT) | instid1(VALU_DEP_3)
	v_dual_add_f32 v2, v2, v6 :: v_dual_add_f32 v3, v3, v193
	v_fma_f32 v5, v160, v24, -v5
	v_dual_mul_f32 v197, v164, v125 :: v_dual_mul_f32 v198, v166, v127
	s_delay_alu instid0(VALU_DEP_3) | instskip(NEXT) | instid1(VALU_DEP_2)
	v_dual_mul_f32 v6, v165, v125 :: v_dual_add_f32 v3, v3, v194
	v_dual_fmac_f32 v196, v163, v26 :: v_dual_fmac_f32 v197, v165, v124
	v_fma_f32 v4, v162, v26, -v4
	s_delay_alu instid0(VALU_DEP_3) | instskip(SKIP_3) | instid1(VALU_DEP_4)
	v_dual_add_f32 v2, v2, v5 :: v_dual_add_f32 v3, v3, v195
	v_mul_f32_e32 v5, v167, v127
	v_fma_f32 v6, v164, v124, -v6
	v_dual_mul_f32 v199, v168, v129 :: v_dual_mul_f32 v200, v170, v131
	v_add_f32_e32 v2, v2, v4
	v_dual_add_f32 v3, v3, v196 :: v_dual_mul_f32 v4, v169, v129
	s_delay_alu instid0(VALU_DEP_3) | instskip(SKIP_1) | instid1(VALU_DEP_3)
	v_dual_fmac_f32 v198, v167, v126 :: v_dual_fmac_f32 v199, v169, v128
	v_fma_f32 v5, v166, v126, -v5
	v_dual_add_f32 v2, v2, v6 :: v_dual_add_f32 v3, v3, v197
	v_mul_f32_e32 v6, v171, v131
	v_fma_f32 v4, v168, v128, -v4
	v_dual_mul_f32 v201, v172, v133 :: v_dual_mul_f32 v202, v174, v135
	s_delay_alu instid0(VALU_DEP_4) | instskip(SKIP_1) | instid1(VALU_DEP_3)
	v_dual_add_f32 v2, v2, v5 :: v_dual_add_f32 v3, v3, v198
	v_dual_mul_f32 v5, v173, v133 :: v_dual_fmac_f32 v200, v171, v130
	v_fmac_f32_e32 v201, v173, v132
	v_fma_f32 v6, v170, v130, -v6
	s_delay_alu instid0(VALU_DEP_4) | instskip(SKIP_2) | instid1(VALU_DEP_3)
	v_dual_add_f32 v2, v2, v4 :: v_dual_add_f32 v3, v3, v199
	v_dual_mul_f32 v203, v176, v137 :: v_dual_mul_f32 v204, v178, v139
	v_mul_f32_e32 v4, v175, v135
	v_dual_add_f32 v2, v2, v6 :: v_dual_add_f32 v3, v3, v200
	v_fma_f32 v5, v172, v132, -v5
	v_dual_fmac_f32 v202, v175, v134 :: v_dual_fmac_f32 v205, v185, v180
	v_fmac_f32_e32 v203, v177, v136
	v_fma_f32 v4, v174, v134, -v4
	v_add_f32_e32 v3, v3, v201
	v_mul_f32_e32 v6, v177, v137
	v_dual_add_f32 v2, v2, v5 :: v_dual_mul_f32 v5, v179, v139
	v_fmac_f32_e32 v204, v179, v138
	s_delay_alu instid0(VALU_DEP_4) | instskip(NEXT) | instid1(VALU_DEP_4)
	v_add_f32_e32 v3, v3, v202
	v_fma_f32 v6, v176, v136, -v6
	s_delay_alu instid0(VALU_DEP_4) | instskip(SKIP_2) | instid1(VALU_DEP_3)
	v_add_f32_e32 v2, v2, v4
	v_mul_f32_e32 v4, v185, v181
	v_fma_f32 v5, v178, v138, -v5
	v_dual_add_f32 v3, v3, v203 :: v_dual_add_f32 v2, v2, v6
	s_delay_alu instid0(VALU_DEP_3) | instskip(NEXT) | instid1(VALU_DEP_2)
	v_fma_f32 v4, v184, v180, -v4
	v_add_f32_e32 v3, v3, v204
	s_delay_alu instid0(VALU_DEP_1) | instskip(SKIP_1) | instid1(VALU_DEP_1)
	v_add_f32_e32 v3, v3, v205
	s_wait_loadcnt 0x0
	v_dual_add_f32 v2, v2, v5 :: v_dual_sub_f32 v3, v183, v3
	s_delay_alu instid0(VALU_DEP_1) | instskip(NEXT) | instid1(VALU_DEP_1)
	v_add_f32_e32 v2, v2, v4
	v_sub_f32_e32 v2, v182, v2
	scratch_store_b64 off, v[2:3], off offset:208
	v_cmpx_lt_u32_e32 25, v0
	s_cbranch_execz .LBB111_251
; %bb.250:
	scratch_load_b64 v[3:4], off, off offset:200
	v_mov_b32_e32 v2, v1
	scratch_store_b64 off, v[1:2], off offset:200
	s_wait_loadcnt 0x0
	ds_store_b64 v23, v[3:4]
.LBB111_251:
	s_wait_alu 0xfffe
	s_or_b32 exec_lo, exec_lo, s0
	s_wait_storecnt_dscnt 0x0
	s_barrier_signal -1
	s_barrier_wait -1
	global_inv scope:SCOPE_SE
	s_clause 0xb
	scratch_load_b128 v[2:5], off, off offset:208
	scratch_load_b128 v[6:9], off, off offset:224
	;; [unrolled: 1-line block ×11, first 2 shown]
	scratch_load_b64 v[188:189], off, off offset:200
	ds_load_b128 v[144:147], v1 offset:592
	ds_load_b128 v[148:151], v1 offset:608
	ds_load_b128 v[152:155], v1 offset:624
	ds_load_b128 v[156:159], v1 offset:640
	ds_load_b128 v[160:163], v1 offset:656
	ds_load_b128 v[164:167], v1 offset:672
	ds_load_b128 v[168:171], v1 offset:688
	ds_load_b128 v[172:175], v1 offset:704
	ds_load_b128 v[176:179], v1 offset:720
	ds_load_b128 v[180:183], v1 offset:736
	ds_load_b128 v[184:187], v1 offset:752
	s_mov_b32 s0, exec_lo
	s_wait_loadcnt_dscnt 0xb0a
	v_dual_mul_f32 v1, v144, v3 :: v_dual_mul_f32 v22, v146, v5
	s_wait_loadcnt_dscnt 0xa09
	v_dual_mul_f32 v5, v147, v5 :: v_dual_mul_f32 v190, v148, v7
	v_mul_f32_e32 v191, v150, v9
	v_mul_f32_e32 v3, v145, v3
	v_dual_fmac_f32 v1, v145, v2 :: v_dual_fmac_f32 v22, v147, v4
	s_wait_loadcnt_dscnt 0x908
	v_dual_mul_f32 v192, v152, v11 :: v_dual_mul_f32 v193, v154, v13
	s_wait_loadcnt_dscnt 0x201
	v_mul_f32_e32 v206, v180, v137
	v_fma_f32 v3, v144, v2, -v3
	s_wait_loadcnt_dscnt 0x100
	v_mul_f32_e32 v209, v186, v143
	v_mul_f32_e32 v2, v149, v7
	v_fma_f32 v4, v146, v4, -v5
	v_dual_mul_f32 v194, v156, v15 :: v_dual_mul_f32 v195, v158, v17
	v_dual_add_f32 v3, 0, v3 :: v_dual_fmac_f32 v190, v149, v6
	v_dual_mul_f32 v5, v151, v9 :: v_dual_fmac_f32 v192, v153, v10
	v_fma_f32 v2, v148, v6, -v2
	s_delay_alu instid0(VALU_DEP_3) | instskip(NEXT) | instid1(VALU_DEP_3)
	v_dual_add_f32 v3, v3, v4 :: v_dual_fmac_f32 v194, v157, v14
	v_fma_f32 v5, v150, v8, -v5
	v_dual_mul_f32 v196, v160, v19 :: v_dual_mul_f32 v197, v162, v21
	s_delay_alu instid0(VALU_DEP_3) | instskip(SKIP_3) | instid1(VALU_DEP_4)
	v_add_f32_e32 v2, v3, v2
	v_mul_f32_e32 v3, v155, v13
	v_dual_mul_f32 v198, v164, v25 :: v_dual_mul_f32 v199, v166, v27
	v_mul_f32_e32 v4, v153, v11
	v_add_f32_e32 v2, v2, v5
	v_dual_add_f32 v1, 0, v1 :: v_dual_fmac_f32 v196, v161, v18
	v_fma_f32 v3, v154, v12, -v3
	s_delay_alu instid0(VALU_DEP_4) | instskip(SKIP_1) | instid1(VALU_DEP_4)
	v_fma_f32 v4, v152, v10, -v4
	v_fmac_f32_e32 v195, v159, v16
	v_dual_add_f32 v1, v1, v22 :: v_dual_mul_f32 v200, v168, v125
	v_mul_f32_e32 v201, v170, v127
	s_delay_alu instid0(VALU_DEP_4) | instskip(NEXT) | instid1(VALU_DEP_3)
	v_add_f32_e32 v2, v2, v4
	v_dual_mul_f32 v4, v159, v17 :: v_dual_add_f32 v1, v1, v190
	v_dual_fmac_f32 v191, v151, v8 :: v_dual_mul_f32 v204, v176, v133
	v_mul_f32_e32 v205, v178, v135
	s_delay_alu instid0(VALU_DEP_3) | instskip(SKIP_4) | instid1(VALU_DEP_4)
	v_fma_f32 v4, v158, v16, -v4
	v_mul_f32_e32 v5, v157, v15
	v_add_f32_e32 v2, v2, v3
	v_dual_add_f32 v1, v1, v191 :: v_dual_mul_f32 v202, v172, v129
	v_mul_f32_e32 v203, v174, v131
	v_fma_f32 v5, v156, v14, -v5
	v_fmac_f32_e32 v193, v155, v12
	v_dual_fmac_f32 v198, v165, v24 :: v_dual_fmac_f32 v201, v171, v126
	v_dual_fmac_f32 v199, v167, v26 :: v_dual_fmac_f32 v202, v173, v128
	s_delay_alu instid0(VALU_DEP_4) | instskip(SKIP_2) | instid1(VALU_DEP_3)
	v_add_f32_e32 v2, v2, v5
	v_mul_f32_e32 v5, v163, v21
	v_dual_mul_f32 v207, v182, v139 :: v_dual_mul_f32 v208, v184, v141
	v_dual_fmac_f32 v205, v179, v134 :: v_dual_add_f32 v2, v2, v4
	s_delay_alu instid0(VALU_DEP_3) | instskip(SKIP_4) | instid1(VALU_DEP_4)
	v_fma_f32 v5, v162, v20, -v5
	v_mul_f32_e32 v3, v161, v19
	v_mul_f32_e32 v4, v165, v25
	v_dual_fmac_f32 v208, v185, v140 :: v_dual_fmac_f32 v207, v183, v138
	v_fmac_f32_e32 v200, v169, v124
	v_fma_f32 v3, v160, v18, -v3
	v_add_f32_e32 v1, v1, v192
	v_fma_f32 v4, v164, v24, -v4
	v_dual_fmac_f32 v209, v187, v142 :: v_dual_fmac_f32 v204, v177, v132
	s_delay_alu instid0(VALU_DEP_4) | instskip(SKIP_1) | instid1(VALU_DEP_2)
	v_add_f32_e32 v2, v2, v3
	v_dual_mul_f32 v3, v167, v27 :: v_dual_fmac_f32 v206, v181, v136
	v_add_f32_e32 v2, v2, v5
	v_add_f32_e32 v1, v1, v193
	s_delay_alu instid0(VALU_DEP_3) | instskip(NEXT) | instid1(VALU_DEP_2)
	v_fma_f32 v3, v166, v26, -v3
	v_dual_add_f32 v2, v2, v4 :: v_dual_add_f32 v1, v1, v194
	v_mul_f32_e32 v4, v171, v127
	s_delay_alu instid0(VALU_DEP_2) | instskip(SKIP_1) | instid1(VALU_DEP_3)
	v_dual_fmac_f32 v197, v163, v20 :: v_dual_add_f32 v2, v2, v3
	v_mul_f32_e32 v3, v173, v129
	v_fma_f32 v4, v170, v126, -v4
	v_mul_f32_e32 v5, v169, v125
	s_delay_alu instid0(VALU_DEP_3) | instskip(NEXT) | instid1(VALU_DEP_2)
	v_fma_f32 v3, v172, v128, -v3
	v_fma_f32 v5, v168, v124, -v5
	s_delay_alu instid0(VALU_DEP_1) | instskip(NEXT) | instid1(VALU_DEP_1)
	v_dual_add_f32 v1, v1, v195 :: v_dual_add_f32 v2, v2, v5
	v_dual_mul_f32 v5, v175, v131 :: v_dual_add_f32 v2, v2, v4
	s_delay_alu instid0(VALU_DEP_2) | instskip(SKIP_1) | instid1(VALU_DEP_3)
	v_add_f32_e32 v1, v1, v196
	v_mul_f32_e32 v4, v177, v133
	v_fma_f32 v5, v174, v130, -v5
	s_delay_alu instid0(VALU_DEP_4) | instskip(SKIP_1) | instid1(VALU_DEP_4)
	v_dual_add_f32 v2, v2, v3 :: v_dual_fmac_f32 v203, v175, v130
	v_mul_f32_e32 v3, v179, v135
	v_fma_f32 v4, v176, v132, -v4
	s_delay_alu instid0(VALU_DEP_3) | instskip(SKIP_1) | instid1(VALU_DEP_4)
	v_add_f32_e32 v2, v2, v5
	v_add_f32_e32 v1, v1, v197
	v_fma_f32 v3, v178, v134, -v3
	s_delay_alu instid0(VALU_DEP_3) | instskip(NEXT) | instid1(VALU_DEP_3)
	v_dual_add_f32 v2, v2, v4 :: v_dual_mul_f32 v5, v181, v137
	v_dual_add_f32 v1, v1, v198 :: v_dual_mul_f32 v4, v183, v139
	s_delay_alu instid0(VALU_DEP_2) | instskip(NEXT) | instid1(VALU_DEP_3)
	v_add_f32_e32 v2, v2, v3
	v_fma_f32 v5, v180, v136, -v5
	s_delay_alu instid0(VALU_DEP_3) | instskip(SKIP_2) | instid1(VALU_DEP_4)
	v_add_f32_e32 v1, v1, v199
	v_mul_f32_e32 v3, v185, v141
	v_fma_f32 v4, v182, v138, -v4
	v_dual_add_f32 v2, v2, v5 :: v_dual_mul_f32 v5, v187, v143
	s_delay_alu instid0(VALU_DEP_3) | instskip(NEXT) | instid1(VALU_DEP_2)
	v_fma_f32 v3, v184, v140, -v3
	v_add_f32_e32 v2, v2, v4
	v_add_f32_e32 v1, v1, v200
	s_delay_alu instid0(VALU_DEP_4) | instskip(NEXT) | instid1(VALU_DEP_2)
	v_fma_f32 v4, v186, v142, -v5
	v_dual_add_f32 v2, v2, v3 :: v_dual_add_f32 v1, v1, v201
	s_delay_alu instid0(VALU_DEP_1) | instskip(NEXT) | instid1(VALU_DEP_1)
	v_dual_add_f32 v2, v2, v4 :: v_dual_add_f32 v1, v1, v202
	v_add_f32_e32 v1, v1, v203
	s_delay_alu instid0(VALU_DEP_1) | instskip(NEXT) | instid1(VALU_DEP_1)
	v_add_f32_e32 v1, v1, v204
	v_add_f32_e32 v1, v1, v205
	s_delay_alu instid0(VALU_DEP_1) | instskip(NEXT) | instid1(VALU_DEP_1)
	v_add_f32_e32 v1, v1, v206
	;; [unrolled: 3-line block ×3, first 2 shown]
	v_add_f32_e32 v3, v1, v209
	s_wait_loadcnt 0x0
	s_delay_alu instid0(VALU_DEP_1)
	v_dual_sub_f32 v1, v188, v2 :: v_dual_sub_f32 v2, v189, v3
	scratch_store_b64 off, v[1:2], off offset:200
	v_cmpx_lt_u32_e32 24, v0
	s_cbranch_execz .LBB111_253
; %bb.252:
	scratch_load_b64 v[1:2], off, off offset:192
	v_mov_b32_e32 v3, 0
	s_delay_alu instid0(VALU_DEP_1)
	v_mov_b32_e32 v4, v3
	scratch_store_b64 off, v[3:4], off offset:192
	s_wait_loadcnt 0x0
	ds_store_b64 v23, v[1:2]
.LBB111_253:
	s_wait_alu 0xfffe
	s_or_b32 exec_lo, exec_lo, s0
	s_wait_storecnt_dscnt 0x0
	s_barrier_signal -1
	s_barrier_wait -1
	global_inv scope:SCOPE_SE
	s_clause 0xc
	scratch_load_b128 v[2:5], off, off offset:200
	scratch_load_b128 v[6:9], off, off offset:216
	;; [unrolled: 1-line block ×11, first 2 shown]
	scratch_load_b64 v[188:189], off, off offset:376
	scratch_load_b64 v[190:191], off, off offset:192
	v_mov_b32_e32 v1, 0
	ds_load_2addr_b64 v[144:147], v1 offset0:73 offset1:74
	ds_load_2addr_b64 v[148:151], v1 offset0:75 offset1:76
	ds_load_2addr_b64 v[152:155], v1 offset0:77 offset1:78
	ds_load_2addr_b64 v[156:159], v1 offset0:79 offset1:80
	ds_load_2addr_b64 v[160:163], v1 offset0:81 offset1:82
	ds_load_2addr_b64 v[164:167], v1 offset0:83 offset1:84
	ds_load_2addr_b64 v[168:171], v1 offset0:85 offset1:86
	ds_load_2addr_b64 v[172:175], v1 offset0:87 offset1:88
	ds_load_2addr_b64 v[176:179], v1 offset0:89 offset1:90
	ds_load_2addr_b64 v[180:183], v1 offset0:91 offset1:92
	ds_load_2addr_b64 v[184:187], v1 offset0:93 offset1:94
	ds_load_b64 v[192:193], v1 offset:760
	s_mov_b32 s0, exec_lo
	s_wait_loadcnt_dscnt 0xc0b
	v_mul_f32_e32 v22, v144, v3
	v_dual_mul_f32 v3, v145, v3 :: v_dual_mul_f32 v194, v146, v5
	s_wait_loadcnt_dscnt 0x807
	v_dual_mul_f32 v195, v148, v7 :: v_dual_mul_f32 v202, v162, v21
	v_mul_f32_e32 v5, v147, v5
	s_delay_alu instid0(VALU_DEP_3)
	v_fma_f32 v3, v144, v2, -v3
	v_dual_mul_f32 v196, v150, v9 :: v_dual_mul_f32 v197, v152, v11
	v_fmac_f32_e32 v22, v145, v2
	s_wait_loadcnt_dscnt 0x100
	v_dual_mul_f32 v2, v149, v7 :: v_dual_mul_f32 v215, v192, v189
	v_dual_fmac_f32 v194, v147, v4 :: v_dual_add_f32 v3, 0, v3
	v_fma_f32 v4, v146, v4, -v5
	v_dual_add_f32 v5, 0, v22 :: v_dual_fmac_f32 v196, v151, v8
	v_mul_f32_e32 v7, v151, v9
	v_fma_f32 v2, v148, v6, -v2
	s_delay_alu instid0(VALU_DEP_4)
	v_add_f32_e32 v3, v3, v4
	v_fmac_f32_e32 v195, v149, v6
	v_add_f32_e32 v4, v5, v194
	v_mul_f32_e32 v5, v153, v11
	v_fma_f32 v6, v150, v8, -v7
	v_add_f32_e32 v2, v3, v2
	v_dual_mul_f32 v198, v154, v13 :: v_dual_mul_f32 v199, v156, v15
	v_dual_add_f32 v3, v4, v195 :: v_dual_mul_f32 v4, v155, v13
	v_fma_f32 v5, v152, v10, -v5
	s_delay_alu instid0(VALU_DEP_4)
	v_add_f32_e32 v2, v2, v6
	v_fmac_f32_e32 v197, v153, v10
	v_mul_f32_e32 v6, v157, v15
	v_fmac_f32_e32 v198, v155, v12
	v_add_f32_e32 v3, v3, v196
	v_fma_f32 v4, v154, v12, -v4
	v_add_f32_e32 v2, v2, v5
	v_dual_mul_f32 v200, v158, v17 :: v_dual_mul_f32 v201, v160, v19
	s_delay_alu instid0(VALU_DEP_4)
	v_add_f32_e32 v3, v3, v197
	v_mul_f32_e32 v5, v159, v17
	v_fma_f32 v6, v156, v14, -v6
	v_dual_add_f32 v2, v2, v4 :: v_dual_fmac_f32 v199, v157, v14
	v_fmac_f32_e32 v200, v159, v16
	v_mul_f32_e32 v4, v161, v19
	v_fma_f32 v5, v158, v16, -v5
	s_delay_alu instid0(VALU_DEP_4) | instskip(SKIP_3) | instid1(VALU_DEP_3)
	v_add_f32_e32 v2, v2, v6
	v_add_f32_e32 v3, v3, v198
	v_dual_mul_f32 v6, v163, v21 :: v_dual_fmac_f32 v201, v161, v18
	v_fma_f32 v4, v160, v18, -v4
	v_dual_add_f32 v2, v2, v5 :: v_dual_add_f32 v3, v3, v199
	s_delay_alu instid0(VALU_DEP_3) | instskip(SKIP_1) | instid1(VALU_DEP_3)
	v_fma_f32 v6, v162, v20, -v6
	v_dual_mul_f32 v203, v164, v25 :: v_dual_mul_f32 v204, v166, v27
	v_add_f32_e32 v2, v2, v4
	s_delay_alu instid0(VALU_DEP_4) | instskip(SKIP_1) | instid1(VALU_DEP_4)
	v_add_f32_e32 v3, v3, v200
	v_dual_mul_f32 v5, v165, v25 :: v_dual_fmac_f32 v202, v163, v20
	v_dual_mul_f32 v4, v167, v27 :: v_dual_fmac_f32 v203, v165, v24
	s_delay_alu instid0(VALU_DEP_3) | instskip(NEXT) | instid1(VALU_DEP_3)
	v_dual_add_f32 v2, v2, v6 :: v_dual_add_f32 v3, v3, v201
	v_fma_f32 v5, v164, v24, -v5
	v_dual_mul_f32 v205, v168, v125 :: v_dual_mul_f32 v206, v170, v127
	s_delay_alu instid0(VALU_DEP_3) | instskip(NEXT) | instid1(VALU_DEP_2)
	v_dual_mul_f32 v6, v169, v125 :: v_dual_add_f32 v3, v3, v202
	v_dual_fmac_f32 v204, v167, v26 :: v_dual_fmac_f32 v205, v169, v124
	v_fma_f32 v4, v166, v26, -v4
	s_delay_alu instid0(VALU_DEP_3) | instskip(SKIP_3) | instid1(VALU_DEP_4)
	v_dual_add_f32 v2, v2, v5 :: v_dual_add_f32 v3, v3, v203
	v_mul_f32_e32 v5, v171, v127
	v_fma_f32 v6, v168, v124, -v6
	v_dual_mul_f32 v207, v172, v129 :: v_dual_mul_f32 v208, v174, v131
	v_add_f32_e32 v2, v2, v4
	v_dual_add_f32 v3, v3, v204 :: v_dual_mul_f32 v4, v173, v129
	s_delay_alu instid0(VALU_DEP_3) | instskip(SKIP_1) | instid1(VALU_DEP_3)
	v_dual_fmac_f32 v206, v171, v126 :: v_dual_fmac_f32 v207, v173, v128
	v_fma_f32 v5, v170, v126, -v5
	v_dual_add_f32 v2, v2, v6 :: v_dual_add_f32 v3, v3, v205
	v_mul_f32_e32 v6, v175, v131
	v_fma_f32 v4, v172, v128, -v4
	v_dual_mul_f32 v209, v176, v133 :: v_dual_mul_f32 v210, v178, v135
	s_delay_alu instid0(VALU_DEP_4) | instskip(SKIP_1) | instid1(VALU_DEP_3)
	v_dual_add_f32 v2, v2, v5 :: v_dual_add_f32 v3, v3, v206
	v_dual_mul_f32 v5, v177, v133 :: v_dual_fmac_f32 v208, v175, v130
	v_fmac_f32_e32 v209, v177, v132
	v_fma_f32 v6, v174, v130, -v6
	s_delay_alu instid0(VALU_DEP_4) | instskip(SKIP_2) | instid1(VALU_DEP_2)
	v_dual_add_f32 v2, v2, v4 :: v_dual_add_f32 v3, v3, v207
	v_dual_mul_f32 v211, v180, v137 :: v_dual_mul_f32 v212, v182, v139
	v_dual_mul_f32 v213, v184, v141 :: v_dual_mul_f32 v214, v186, v143
	v_dual_mul_f32 v4, v179, v135 :: v_dual_fmac_f32 v211, v181, v136
	v_fma_f32 v5, v176, v132, -v5
	v_dual_add_f32 v2, v2, v6 :: v_dual_add_f32 v3, v3, v208
	v_mul_f32_e32 v6, v181, v137
	v_dual_fmac_f32 v210, v179, v134 :: v_dual_fmac_f32 v213, v185, v140
	v_fma_f32 v4, v178, v134, -v4
	s_delay_alu instid0(VALU_DEP_4) | instskip(SKIP_3) | instid1(VALU_DEP_3)
	v_add_f32_e32 v3, v3, v209
	v_dual_add_f32 v2, v2, v5 :: v_dual_mul_f32 v5, v183, v139
	v_fma_f32 v6, v180, v136, -v6
	v_fmac_f32_e32 v212, v183, v138
	v_dual_add_f32 v3, v3, v210 :: v_dual_add_f32 v2, v2, v4
	v_mul_f32_e32 v4, v185, v141
	v_fma_f32 v5, v182, v138, -v5
	v_fmac_f32_e32 v214, v187, v142
	s_delay_alu instid0(VALU_DEP_4) | instskip(SKIP_2) | instid1(VALU_DEP_3)
	v_dual_add_f32 v3, v3, v211 :: v_dual_add_f32 v2, v2, v6
	v_dual_mul_f32 v6, v187, v143 :: v_dual_fmac_f32 v215, v193, v188
	v_fma_f32 v4, v184, v140, -v4
	v_add_f32_e32 v2, v2, v5
	v_mul_f32_e32 v5, v193, v189
	v_add_f32_e32 v3, v3, v212
	v_fma_f32 v6, v186, v142, -v6
	s_delay_alu instid0(VALU_DEP_2) | instskip(NEXT) | instid1(VALU_DEP_1)
	v_add_f32_e32 v3, v3, v213
	v_dual_add_f32 v3, v3, v214 :: v_dual_add_f32 v2, v2, v4
	v_fma_f32 v4, v192, v188, -v5
	s_delay_alu instid0(VALU_DEP_2) | instskip(SKIP_1) | instid1(VALU_DEP_1)
	v_dual_add_f32 v3, v3, v215 :: v_dual_add_f32 v2, v2, v6
	s_wait_loadcnt 0x0
	v_dual_sub_f32 v3, v191, v3 :: v_dual_add_f32 v2, v2, v4
	s_delay_alu instid0(VALU_DEP_1)
	v_sub_f32_e32 v2, v190, v2
	scratch_store_b64 off, v[2:3], off offset:192
	v_cmpx_lt_u32_e32 23, v0
	s_cbranch_execz .LBB111_255
; %bb.254:
	scratch_load_b64 v[3:4], off, off offset:184
	v_mov_b32_e32 v2, v1
	scratch_store_b64 off, v[1:2], off offset:184
	s_wait_loadcnt 0x0
	ds_store_b64 v23, v[3:4]
.LBB111_255:
	s_wait_alu 0xfffe
	s_or_b32 exec_lo, exec_lo, s0
	s_wait_storecnt_dscnt 0x0
	s_barrier_signal -1
	s_barrier_wait -1
	global_inv scope:SCOPE_SE
	s_clause 0xc
	scratch_load_b128 v[2:5], off, off offset:192
	scratch_load_b128 v[6:9], off, off offset:208
	;; [unrolled: 1-line block ×12, first 2 shown]
	scratch_load_b64 v[196:197], off, off offset:184
	ds_load_b128 v[148:151], v1 offset:576
	ds_load_b128 v[152:155], v1 offset:592
	;; [unrolled: 1-line block ×12, first 2 shown]
	s_mov_b32 s0, exec_lo
	s_wait_loadcnt_dscnt 0xc0b
	v_dual_mul_f32 v1, v148, v3 :: v_dual_mul_f32 v22, v150, v5
	s_wait_loadcnt_dscnt 0xb0a
	v_dual_mul_f32 v5, v151, v5 :: v_dual_mul_f32 v198, v152, v7
	v_mul_f32_e32 v199, v154, v9
	s_delay_alu instid0(VALU_DEP_3)
	v_fmac_f32_e32 v1, v149, v2
	v_dual_mul_f32 v3, v149, v3 :: v_dual_fmac_f32 v22, v151, v4
	s_wait_loadcnt_dscnt 0xa09
	v_dual_mul_f32 v200, v156, v11 :: v_dual_mul_f32 v201, v158, v13
	s_wait_loadcnt_dscnt 0x201
	v_mul_f32_e32 v216, v188, v141
	v_fma_f32 v3, v148, v2, -v3
	s_wait_loadcnt_dscnt 0x100
	v_mul_f32_e32 v219, v194, v147
	v_mul_f32_e32 v2, v153, v7
	v_fma_f32 v4, v150, v4, -v5
	v_dual_mul_f32 v202, v160, v15 :: v_dual_mul_f32 v203, v162, v17
	v_dual_add_f32 v3, 0, v3 :: v_dual_fmac_f32 v198, v153, v6
	v_dual_mul_f32 v5, v155, v9 :: v_dual_fmac_f32 v200, v157, v10
	v_fma_f32 v2, v152, v6, -v2
	s_delay_alu instid0(VALU_DEP_3) | instskip(NEXT) | instid1(VALU_DEP_3)
	v_dual_add_f32 v3, v3, v4 :: v_dual_fmac_f32 v202, v161, v14
	v_fma_f32 v5, v154, v8, -v5
	v_dual_mul_f32 v204, v164, v19 :: v_dual_mul_f32 v205, v166, v21
	s_delay_alu instid0(VALU_DEP_3) | instskip(SKIP_3) | instid1(VALU_DEP_4)
	v_add_f32_e32 v2, v3, v2
	v_mul_f32_e32 v3, v159, v13
	v_dual_mul_f32 v206, v168, v25 :: v_dual_mul_f32 v207, v170, v27
	v_mul_f32_e32 v4, v157, v11
	v_add_f32_e32 v2, v2, v5
	v_dual_add_f32 v1, 0, v1 :: v_dual_fmac_f32 v204, v165, v18
	v_fma_f32 v3, v158, v12, -v3
	s_delay_alu instid0(VALU_DEP_4) | instskip(SKIP_1) | instid1(VALU_DEP_4)
	v_fma_f32 v4, v156, v10, -v4
	v_fmac_f32_e32 v203, v163, v16
	v_dual_add_f32 v1, v1, v22 :: v_dual_mul_f32 v208, v172, v125
	v_mul_f32_e32 v209, v174, v127
	s_delay_alu instid0(VALU_DEP_4) | instskip(NEXT) | instid1(VALU_DEP_3)
	v_add_f32_e32 v2, v2, v4
	v_dual_mul_f32 v4, v163, v17 :: v_dual_add_f32 v1, v1, v198
	v_dual_fmac_f32 v199, v155, v8 :: v_dual_mul_f32 v212, v180, v133
	v_mul_f32_e32 v213, v182, v135
	s_delay_alu instid0(VALU_DEP_3) | instskip(SKIP_4) | instid1(VALU_DEP_4)
	v_fma_f32 v4, v162, v16, -v4
	v_mul_f32_e32 v5, v161, v15
	v_add_f32_e32 v2, v2, v3
	v_dual_add_f32 v1, v1, v199 :: v_dual_mul_f32 v210, v176, v129
	v_mul_f32_e32 v211, v178, v131
	v_fma_f32 v5, v160, v14, -v5
	v_fmac_f32_e32 v201, v159, v12
	v_dual_fmac_f32 v209, v175, v126 :: v_dual_fmac_f32 v206, v169, v24
	v_dual_mul_f32 v214, v184, v137 :: v_dual_mul_f32 v215, v186, v139
	s_delay_alu instid0(VALU_DEP_4) | instskip(SKIP_3) | instid1(VALU_DEP_3)
	v_add_f32_e32 v2, v2, v5
	v_mul_f32_e32 v5, v167, v21
	v_dual_fmac_f32 v207, v171, v26 :: v_dual_fmac_f32 v210, v177, v128
	v_dual_mul_f32 v217, v190, v143 :: v_dual_mul_f32 v218, v192, v145
	v_fma_f32 v5, v166, v20, -v5
	v_dual_mul_f32 v3, v165, v19 :: v_dual_add_f32 v2, v2, v4
	v_dual_mul_f32 v4, v169, v25 :: v_dual_fmac_f32 v215, v187, v138
	v_dual_fmac_f32 v213, v183, v134 :: v_dual_fmac_f32 v216, v189, v140
	s_delay_alu instid0(VALU_DEP_3) | instskip(SKIP_1) | instid1(VALU_DEP_4)
	v_fma_f32 v3, v164, v18, -v3
	v_add_f32_e32 v1, v1, v200
	v_fma_f32 v4, v168, v24, -v4
	v_dual_fmac_f32 v208, v173, v124 :: v_dual_fmac_f32 v219, v195, v146
	s_delay_alu instid0(VALU_DEP_4) | instskip(SKIP_3) | instid1(VALU_DEP_4)
	v_add_f32_e32 v2, v2, v3
	v_dual_mul_f32 v3, v171, v27 :: v_dual_fmac_f32 v212, v181, v132
	v_fmac_f32_e32 v214, v185, v136
	v_fmac_f32_e32 v218, v193, v144
	v_add_f32_e32 v2, v2, v5
	v_add_f32_e32 v1, v1, v201
	v_fma_f32 v3, v170, v26, -v3
	s_delay_alu instid0(VALU_DEP_2) | instskip(SKIP_1) | instid1(VALU_DEP_2)
	v_dual_add_f32 v2, v2, v4 :: v_dual_add_f32 v1, v1, v202
	v_mul_f32_e32 v4, v175, v127
	v_dual_fmac_f32 v205, v167, v20 :: v_dual_add_f32 v2, v2, v3
	v_mul_f32_e32 v3, v177, v129
	s_delay_alu instid0(VALU_DEP_3) | instskip(SKIP_1) | instid1(VALU_DEP_3)
	v_fma_f32 v4, v174, v126, -v4
	v_mul_f32_e32 v5, v173, v125
	v_fma_f32 v3, v176, v128, -v3
	s_delay_alu instid0(VALU_DEP_2) | instskip(NEXT) | instid1(VALU_DEP_1)
	v_fma_f32 v5, v172, v124, -v5
	v_dual_add_f32 v1, v1, v203 :: v_dual_add_f32 v2, v2, v5
	s_delay_alu instid0(VALU_DEP_1) | instskip(NEXT) | instid1(VALU_DEP_2)
	v_dual_mul_f32 v5, v179, v131 :: v_dual_add_f32 v2, v2, v4
	v_add_f32_e32 v1, v1, v204
	v_mul_f32_e32 v4, v181, v133
	s_delay_alu instid0(VALU_DEP_3) | instskip(NEXT) | instid1(VALU_DEP_4)
	v_fma_f32 v5, v178, v130, -v5
	v_dual_add_f32 v2, v2, v3 :: v_dual_fmac_f32 v211, v179, v130
	v_mul_f32_e32 v3, v183, v135
	s_delay_alu instid0(VALU_DEP_4) | instskip(NEXT) | instid1(VALU_DEP_3)
	v_fma_f32 v4, v180, v132, -v4
	v_add_f32_e32 v2, v2, v5
	v_add_f32_e32 v1, v1, v205
	s_delay_alu instid0(VALU_DEP_4) | instskip(NEXT) | instid1(VALU_DEP_3)
	v_fma_f32 v3, v182, v134, -v3
	v_dual_add_f32 v2, v2, v4 :: v_dual_mul_f32 v5, v185, v137
	s_delay_alu instid0(VALU_DEP_3) | instskip(NEXT) | instid1(VALU_DEP_2)
	v_dual_add_f32 v1, v1, v206 :: v_dual_mul_f32 v4, v187, v139
	v_add_f32_e32 v2, v2, v3
	s_delay_alu instid0(VALU_DEP_3) | instskip(NEXT) | instid1(VALU_DEP_3)
	v_fma_f32 v5, v184, v136, -v5
	v_add_f32_e32 v1, v1, v207
	v_mul_f32_e32 v3, v189, v141
	v_fma_f32 v4, v186, v138, -v4
	s_delay_alu instid0(VALU_DEP_4) | instskip(NEXT) | instid1(VALU_DEP_3)
	v_dual_add_f32 v2, v2, v5 :: v_dual_mul_f32 v5, v191, v143
	v_fma_f32 v3, v188, v140, -v3
	s_delay_alu instid0(VALU_DEP_2) | instskip(SKIP_3) | instid1(VALU_DEP_4)
	v_add_f32_e32 v2, v2, v4
	v_add_f32_e32 v1, v1, v208
	v_mul_f32_e32 v4, v193, v145
	v_fma_f32 v5, v190, v142, -v5
	v_dual_add_f32 v2, v2, v3 :: v_dual_fmac_f32 v217, v191, v142
	v_mul_f32_e32 v3, v195, v147
	s_delay_alu instid0(VALU_DEP_4) | instskip(NEXT) | instid1(VALU_DEP_3)
	v_fma_f32 v4, v192, v144, -v4
	v_add_f32_e32 v2, v2, v5
	v_add_f32_e32 v1, v1, v209
	s_delay_alu instid0(VALU_DEP_4) | instskip(NEXT) | instid1(VALU_DEP_2)
	v_fma_f32 v3, v194, v146, -v3
	v_dual_add_f32 v2, v2, v4 :: v_dual_add_f32 v1, v1, v210
	s_delay_alu instid0(VALU_DEP_1) | instskip(NEXT) | instid1(VALU_DEP_2)
	v_add_f32_e32 v2, v2, v3
	v_add_f32_e32 v1, v1, v211
	s_delay_alu instid0(VALU_DEP_1) | instskip(NEXT) | instid1(VALU_DEP_1)
	v_add_f32_e32 v1, v1, v212
	v_add_f32_e32 v1, v1, v213
	s_delay_alu instid0(VALU_DEP_1) | instskip(NEXT) | instid1(VALU_DEP_1)
	;; [unrolled: 3-line block ×4, first 2 shown]
	v_add_f32_e32 v1, v1, v218
	v_add_f32_e32 v3, v1, v219
	s_wait_loadcnt 0x0
	s_delay_alu instid0(VALU_DEP_1)
	v_dual_sub_f32 v1, v196, v2 :: v_dual_sub_f32 v2, v197, v3
	scratch_store_b64 off, v[1:2], off offset:184
	v_cmpx_lt_u32_e32 22, v0
	s_cbranch_execz .LBB111_257
; %bb.256:
	scratch_load_b64 v[1:2], off, off offset:176
	v_mov_b32_e32 v3, 0
	s_delay_alu instid0(VALU_DEP_1)
	v_mov_b32_e32 v4, v3
	scratch_store_b64 off, v[3:4], off offset:176
	s_wait_loadcnt 0x0
	ds_store_b64 v23, v[1:2]
.LBB111_257:
	s_wait_alu 0xfffe
	s_or_b32 exec_lo, exec_lo, s0
	s_wait_storecnt_dscnt 0x0
	s_barrier_signal -1
	s_barrier_wait -1
	global_inv scope:SCOPE_SE
	s_clause 0xd
	scratch_load_b128 v[2:5], off, off offset:184
	scratch_load_b128 v[6:9], off, off offset:200
	;; [unrolled: 1-line block ×12, first 2 shown]
	scratch_load_b64 v[196:197], off, off offset:376
	scratch_load_b64 v[198:199], off, off offset:176
	v_mov_b32_e32 v1, 0
	ds_load_2addr_b64 v[148:151], v1 offset0:71 offset1:72
	ds_load_2addr_b64 v[152:155], v1 offset0:73 offset1:74
	;; [unrolled: 1-line block ×12, first 2 shown]
	ds_load_b64 v[200:201], v1 offset:760
	s_mov_b32 s0, exec_lo
	s_wait_loadcnt_dscnt 0xd0c
	v_mul_f32_e32 v22, v148, v3
	v_dual_mul_f32 v3, v149, v3 :: v_dual_mul_f32 v202, v150, v5
	s_wait_loadcnt_dscnt 0x908
	v_dual_mul_f32 v203, v152, v7 :: v_dual_mul_f32 v210, v166, v21
	v_mul_f32_e32 v5, v151, v5
	s_delay_alu instid0(VALU_DEP_3) | instskip(SKIP_3) | instid1(VALU_DEP_4)
	v_fma_f32 v3, v148, v2, -v3
	v_dual_mul_f32 v204, v154, v9 :: v_dual_mul_f32 v205, v156, v11
	v_fmac_f32_e32 v22, v149, v2
	v_mul_f32_e32 v2, v153, v7
	v_dual_fmac_f32 v202, v151, v4 :: v_dual_add_f32 v3, 0, v3
	s_wait_loadcnt_dscnt 0x100
	v_mul_f32_e32 v225, v200, v197
	v_fma_f32 v4, v150, v4, -v5
	v_dual_add_f32 v5, 0, v22 :: v_dual_fmac_f32 v204, v155, v8
	v_mul_f32_e32 v7, v155, v9
	v_fma_f32 v2, v152, v6, -v2
	s_delay_alu instid0(VALU_DEP_4)
	v_add_f32_e32 v3, v3, v4
	v_fmac_f32_e32 v203, v153, v6
	v_add_f32_e32 v4, v5, v202
	v_mul_f32_e32 v5, v157, v11
	v_fma_f32 v6, v154, v8, -v7
	v_add_f32_e32 v2, v3, v2
	v_dual_mul_f32 v206, v158, v13 :: v_dual_mul_f32 v207, v160, v15
	v_dual_add_f32 v3, v4, v203 :: v_dual_mul_f32 v4, v159, v13
	v_fma_f32 v5, v156, v10, -v5
	s_delay_alu instid0(VALU_DEP_4)
	v_add_f32_e32 v2, v2, v6
	v_fmac_f32_e32 v205, v157, v10
	v_mul_f32_e32 v6, v161, v15
	v_fmac_f32_e32 v206, v159, v12
	v_add_f32_e32 v3, v3, v204
	v_fma_f32 v4, v158, v12, -v4
	v_add_f32_e32 v2, v2, v5
	v_dual_mul_f32 v208, v162, v17 :: v_dual_mul_f32 v209, v164, v19
	s_delay_alu instid0(VALU_DEP_4)
	v_add_f32_e32 v3, v3, v205
	v_mul_f32_e32 v5, v163, v17
	v_fma_f32 v6, v160, v14, -v6
	v_dual_add_f32 v2, v2, v4 :: v_dual_fmac_f32 v207, v161, v14
	v_fmac_f32_e32 v208, v163, v16
	v_mul_f32_e32 v4, v165, v19
	v_fma_f32 v5, v162, v16, -v5
	s_delay_alu instid0(VALU_DEP_4) | instskip(SKIP_3) | instid1(VALU_DEP_3)
	v_add_f32_e32 v2, v2, v6
	v_add_f32_e32 v3, v3, v206
	v_dual_mul_f32 v6, v167, v21 :: v_dual_fmac_f32 v209, v165, v18
	v_fma_f32 v4, v164, v18, -v4
	v_dual_add_f32 v2, v2, v5 :: v_dual_add_f32 v3, v3, v207
	s_delay_alu instid0(VALU_DEP_3) | instskip(SKIP_1) | instid1(VALU_DEP_3)
	v_fma_f32 v6, v166, v20, -v6
	v_dual_mul_f32 v211, v168, v25 :: v_dual_mul_f32 v212, v170, v27
	v_add_f32_e32 v2, v2, v4
	s_delay_alu instid0(VALU_DEP_4) | instskip(SKIP_1) | instid1(VALU_DEP_4)
	v_add_f32_e32 v3, v3, v208
	v_dual_mul_f32 v5, v169, v25 :: v_dual_fmac_f32 v210, v167, v20
	v_dual_mul_f32 v4, v171, v27 :: v_dual_fmac_f32 v211, v169, v24
	s_delay_alu instid0(VALU_DEP_3) | instskip(NEXT) | instid1(VALU_DEP_3)
	v_dual_add_f32 v2, v2, v6 :: v_dual_add_f32 v3, v3, v209
	v_fma_f32 v5, v168, v24, -v5
	v_dual_mul_f32 v213, v172, v125 :: v_dual_mul_f32 v214, v174, v127
	s_delay_alu instid0(VALU_DEP_3) | instskip(NEXT) | instid1(VALU_DEP_2)
	v_dual_mul_f32 v6, v173, v125 :: v_dual_add_f32 v3, v3, v210
	v_dual_fmac_f32 v212, v171, v26 :: v_dual_fmac_f32 v213, v173, v124
	v_fma_f32 v4, v170, v26, -v4
	s_delay_alu instid0(VALU_DEP_3) | instskip(SKIP_3) | instid1(VALU_DEP_4)
	v_dual_add_f32 v2, v2, v5 :: v_dual_add_f32 v3, v3, v211
	v_mul_f32_e32 v5, v175, v127
	v_fma_f32 v6, v172, v124, -v6
	v_dual_mul_f32 v215, v176, v129 :: v_dual_mul_f32 v216, v178, v131
	v_add_f32_e32 v2, v2, v4
	v_dual_add_f32 v3, v3, v212 :: v_dual_mul_f32 v4, v177, v129
	s_delay_alu instid0(VALU_DEP_3) | instskip(SKIP_1) | instid1(VALU_DEP_3)
	v_dual_fmac_f32 v214, v175, v126 :: v_dual_fmac_f32 v215, v177, v128
	v_fma_f32 v5, v174, v126, -v5
	v_dual_add_f32 v2, v2, v6 :: v_dual_add_f32 v3, v3, v213
	v_mul_f32_e32 v6, v179, v131
	v_fma_f32 v4, v176, v128, -v4
	v_dual_mul_f32 v217, v180, v133 :: v_dual_mul_f32 v218, v182, v135
	s_delay_alu instid0(VALU_DEP_4) | instskip(SKIP_1) | instid1(VALU_DEP_3)
	v_dual_add_f32 v2, v2, v5 :: v_dual_add_f32 v3, v3, v214
	v_dual_mul_f32 v5, v181, v133 :: v_dual_fmac_f32 v216, v179, v130
	v_fmac_f32_e32 v217, v181, v132
	v_fma_f32 v6, v178, v130, -v6
	s_delay_alu instid0(VALU_DEP_4) | instskip(SKIP_2) | instid1(VALU_DEP_2)
	v_dual_add_f32 v2, v2, v4 :: v_dual_add_f32 v3, v3, v215
	v_dual_mul_f32 v219, v184, v137 :: v_dual_mul_f32 v220, v186, v139
	v_dual_mul_f32 v221, v188, v141 :: v_dual_mul_f32 v222, v190, v143
	v_dual_mul_f32 v4, v183, v135 :: v_dual_fmac_f32 v219, v185, v136
	v_fma_f32 v5, v180, v132, -v5
	v_dual_add_f32 v2, v2, v6 :: v_dual_add_f32 v3, v3, v216
	v_mul_f32_e32 v6, v185, v137
	v_dual_fmac_f32 v218, v183, v134 :: v_dual_fmac_f32 v221, v189, v140
	v_fma_f32 v4, v182, v134, -v4
	s_delay_alu instid0(VALU_DEP_4) | instskip(SKIP_3) | instid1(VALU_DEP_3)
	v_add_f32_e32 v3, v3, v217
	v_dual_add_f32 v2, v2, v5 :: v_dual_mul_f32 v5, v187, v139
	v_fma_f32 v6, v184, v136, -v6
	v_fmac_f32_e32 v220, v187, v138
	v_dual_add_f32 v3, v3, v218 :: v_dual_add_f32 v2, v2, v4
	v_mul_f32_e32 v4, v189, v141
	v_fma_f32 v5, v186, v138, -v5
	v_dual_mul_f32 v223, v192, v145 :: v_dual_mul_f32 v224, v194, v147
	s_delay_alu instid0(VALU_DEP_4) | instskip(NEXT) | instid1(VALU_DEP_2)
	v_dual_add_f32 v3, v3, v219 :: v_dual_add_f32 v2, v2, v6
	v_dual_mul_f32 v6, v191, v143 :: v_dual_fmac_f32 v223, v193, v144
	v_dual_fmac_f32 v222, v191, v142 :: v_dual_fmac_f32 v225, v201, v196
	s_delay_alu instid0(VALU_DEP_3)
	v_add_f32_e32 v2, v2, v5
	v_mul_f32_e32 v5, v193, v145
	v_add_f32_e32 v3, v3, v220
	v_fma_f32 v6, v190, v142, -v6
	v_fma_f32 v4, v188, v140, -v4
	v_fmac_f32_e32 v224, v195, v146
	v_fma_f32 v5, v192, v144, -v5
	v_add_f32_e32 v3, v3, v221
	s_delay_alu instid0(VALU_DEP_1) | instskip(SKIP_1) | instid1(VALU_DEP_2)
	v_dual_add_f32 v3, v3, v222 :: v_dual_add_f32 v2, v2, v4
	v_mul_f32_e32 v4, v195, v147
	v_dual_add_f32 v3, v3, v223 :: v_dual_add_f32 v2, v2, v6
	v_mul_f32_e32 v6, v201, v197
	s_delay_alu instid0(VALU_DEP_3) | instskip(NEXT) | instid1(VALU_DEP_3)
	v_fma_f32 v4, v194, v146, -v4
	v_add_f32_e32 v3, v3, v224
	s_delay_alu instid0(VALU_DEP_1) | instskip(SKIP_3) | instid1(VALU_DEP_2)
	v_add_f32_e32 v3, v3, v225
	v_add_f32_e32 v2, v2, v5
	v_fma_f32 v5, v200, v196, -v6
	s_wait_loadcnt 0x0
	v_dual_sub_f32 v3, v199, v3 :: v_dual_add_f32 v2, v2, v4
	s_delay_alu instid0(VALU_DEP_1) | instskip(NEXT) | instid1(VALU_DEP_1)
	v_add_f32_e32 v2, v2, v5
	v_sub_f32_e32 v2, v198, v2
	scratch_store_b64 off, v[2:3], off offset:176
	v_cmpx_lt_u32_e32 21, v0
	s_cbranch_execz .LBB111_259
; %bb.258:
	scratch_load_b64 v[3:4], off, off offset:168
	v_mov_b32_e32 v2, v1
	scratch_store_b64 off, v[1:2], off offset:168
	s_wait_loadcnt 0x0
	ds_store_b64 v23, v[3:4]
.LBB111_259:
	s_wait_alu 0xfffe
	s_or_b32 exec_lo, exec_lo, s0
	s_wait_storecnt_dscnt 0x0
	s_barrier_signal -1
	s_barrier_wait -1
	global_inv scope:SCOPE_SE
	s_clause 0xd
	scratch_load_b128 v[2:5], off, off offset:176
	scratch_load_b128 v[6:9], off, off offset:192
	;; [unrolled: 1-line block ×13, first 2 shown]
	scratch_load_b64 v[204:205], off, off offset:168
	ds_load_b128 v[152:155], v1 offset:560
	ds_load_b128 v[156:159], v1 offset:576
	;; [unrolled: 1-line block ×13, first 2 shown]
	s_mov_b32 s0, exec_lo
	s_wait_loadcnt_dscnt 0xd0c
	v_dual_mul_f32 v1, v152, v3 :: v_dual_mul_f32 v22, v154, v5
	s_wait_loadcnt_dscnt 0xc0b
	v_dual_mul_f32 v5, v155, v5 :: v_dual_mul_f32 v206, v156, v7
	v_mul_f32_e32 v207, v158, v9
	s_wait_loadcnt_dscnt 0xb0a
	v_dual_fmac_f32 v1, v153, v2 :: v_dual_mul_f32 v208, v160, v11
	v_mul_f32_e32 v209, v162, v13
	v_dual_mul_f32 v3, v153, v3 :: v_dual_fmac_f32 v22, v155, v4
	s_wait_loadcnt_dscnt 0xa09
	v_dual_mul_f32 v210, v164, v15 :: v_dual_mul_f32 v211, v166, v17
	s_wait_loadcnt_dscnt 0x201
	v_mul_f32_e32 v226, v196, v145
	v_fma_f32 v3, v152, v2, -v3
	s_wait_loadcnt_dscnt 0x100
	v_mul_f32_e32 v229, v202, v151
	v_mul_f32_e32 v2, v157, v7
	v_fma_f32 v4, v154, v4, -v5
	v_dual_mul_f32 v5, v159, v9 :: v_dual_fmac_f32 v208, v161, v10
	v_dual_add_f32 v3, 0, v3 :: v_dual_fmac_f32 v206, v157, v6
	s_delay_alu instid0(VALU_DEP_4) | instskip(NEXT) | instid1(VALU_DEP_3)
	v_fma_f32 v2, v156, v6, -v2
	v_fma_f32 v5, v158, v8, -v5
	s_delay_alu instid0(VALU_DEP_3) | instskip(SKIP_2) | instid1(VALU_DEP_3)
	v_dual_fmac_f32 v210, v165, v14 :: v_dual_add_f32 v3, v3, v4
	v_dual_mul_f32 v212, v168, v19 :: v_dual_mul_f32 v213, v170, v21
	v_dual_mul_f32 v214, v172, v25 :: v_dual_mul_f32 v215, v174, v27
	v_add_f32_e32 v2, v3, v2
	s_delay_alu instid0(VALU_DEP_3) | instskip(SKIP_1) | instid1(VALU_DEP_3)
	v_dual_mul_f32 v3, v163, v13 :: v_dual_fmac_f32 v212, v169, v18
	v_dual_mul_f32 v4, v161, v11 :: v_dual_fmac_f32 v211, v167, v16
	v_add_f32_e32 v2, v2, v5
	v_add_f32_e32 v1, 0, v1
	s_delay_alu instid0(VALU_DEP_4) | instskip(NEXT) | instid1(VALU_DEP_4)
	v_fma_f32 v3, v162, v12, -v3
	v_fma_f32 v4, v160, v10, -v4
	v_dual_mul_f32 v216, v176, v125 :: v_dual_mul_f32 v217, v178, v127
	s_delay_alu instid0(VALU_DEP_4) | instskip(SKIP_1) | instid1(VALU_DEP_4)
	v_dual_add_f32 v1, v1, v22 :: v_dual_mul_f32 v220, v184, v133
	v_mul_f32_e32 v221, v186, v135
	v_add_f32_e32 v2, v2, v4
	s_delay_alu instid0(VALU_DEP_3) | instskip(SKIP_2) | instid1(VALU_DEP_3)
	v_dual_mul_f32 v4, v167, v17 :: v_dual_add_f32 v1, v1, v206
	v_dual_fmac_f32 v207, v159, v8 :: v_dual_mul_f32 v218, v180, v129
	v_mul_f32_e32 v219, v182, v131
	v_fma_f32 v4, v166, v16, -v4
	v_mul_f32_e32 v5, v165, v15
	v_add_f32_e32 v2, v2, v3
	v_add_f32_e32 v1, v1, v207
	v_dual_fmac_f32 v217, v179, v126 :: v_dual_mul_f32 v222, v188, v137
	v_mul_f32_e32 v223, v190, v139
	v_fma_f32 v5, v164, v14, -v5
	v_fmac_f32_e32 v209, v163, v12
	v_dual_fmac_f32 v214, v173, v24 :: v_dual_fmac_f32 v215, v175, v26
	v_fmac_f32_e32 v218, v181, v128
	s_delay_alu instid0(VALU_DEP_4) | instskip(SKIP_2) | instid1(VALU_DEP_3)
	v_add_f32_e32 v2, v2, v5
	v_mul_f32_e32 v5, v171, v21
	v_dual_mul_f32 v224, v192, v141 :: v_dual_mul_f32 v225, v194, v143
	v_dual_fmac_f32 v223, v191, v138 :: v_dual_add_f32 v2, v2, v4
	s_delay_alu instid0(VALU_DEP_3) | instskip(SKIP_4) | instid1(VALU_DEP_4)
	v_fma_f32 v5, v170, v20, -v5
	v_mul_f32_e32 v3, v169, v19
	v_dual_mul_f32 v4, v173, v25 :: v_dual_mul_f32 v227, v198, v147
	v_mul_f32_e32 v228, v200, v149
	v_fmac_f32_e32 v216, v177, v124
	v_fma_f32 v3, v168, v18, -v3
	v_add_f32_e32 v1, v1, v208
	v_fma_f32 v4, v172, v24, -v4
	v_dual_fmac_f32 v221, v187, v134 :: v_dual_fmac_f32 v224, v193, v140
	s_delay_alu instid0(VALU_DEP_4) | instskip(SKIP_3) | instid1(VALU_DEP_4)
	v_add_f32_e32 v2, v2, v3
	v_mul_f32_e32 v3, v175, v27
	v_fmac_f32_e32 v227, v199, v146
	v_dual_fmac_f32 v229, v203, v150 :: v_dual_fmac_f32 v220, v185, v132
	v_add_f32_e32 v2, v2, v5
	v_add_f32_e32 v1, v1, v209
	v_fma_f32 v3, v174, v26, -v3
	v_fmac_f32_e32 v222, v189, v136
	v_fmac_f32_e32 v226, v197, v144
	s_delay_alu instid0(VALU_DEP_4) | instskip(SKIP_3) | instid1(VALU_DEP_4)
	v_dual_add_f32 v2, v2, v4 :: v_dual_add_f32 v1, v1, v210
	v_mul_f32_e32 v4, v179, v127
	v_fmac_f32_e32 v213, v171, v20
	v_fmac_f32_e32 v228, v201, v148
	v_dual_add_f32 v2, v2, v3 :: v_dual_mul_f32 v3, v181, v129
	s_delay_alu instid0(VALU_DEP_4) | instskip(SKIP_1) | instid1(VALU_DEP_3)
	v_fma_f32 v4, v178, v126, -v4
	v_mul_f32_e32 v5, v177, v125
	v_fma_f32 v3, v180, v128, -v3
	s_delay_alu instid0(VALU_DEP_2) | instskip(NEXT) | instid1(VALU_DEP_1)
	v_fma_f32 v5, v176, v124, -v5
	v_dual_add_f32 v1, v1, v211 :: v_dual_add_f32 v2, v2, v5
	s_delay_alu instid0(VALU_DEP_1) | instskip(NEXT) | instid1(VALU_DEP_2)
	v_dual_mul_f32 v5, v183, v131 :: v_dual_add_f32 v2, v2, v4
	v_add_f32_e32 v1, v1, v212
	v_mul_f32_e32 v4, v185, v133
	s_delay_alu instid0(VALU_DEP_3) | instskip(NEXT) | instid1(VALU_DEP_4)
	v_fma_f32 v5, v182, v130, -v5
	v_dual_add_f32 v2, v2, v3 :: v_dual_fmac_f32 v219, v183, v130
	v_mul_f32_e32 v3, v187, v135
	s_delay_alu instid0(VALU_DEP_4) | instskip(NEXT) | instid1(VALU_DEP_3)
	v_fma_f32 v4, v184, v132, -v4
	v_add_f32_e32 v2, v2, v5
	v_add_f32_e32 v1, v1, v213
	s_delay_alu instid0(VALU_DEP_4) | instskip(NEXT) | instid1(VALU_DEP_3)
	v_fma_f32 v3, v186, v134, -v3
	v_dual_add_f32 v2, v2, v4 :: v_dual_mul_f32 v5, v189, v137
	s_delay_alu instid0(VALU_DEP_3) | instskip(NEXT) | instid1(VALU_DEP_2)
	v_dual_add_f32 v1, v1, v214 :: v_dual_mul_f32 v4, v191, v139
	v_add_f32_e32 v2, v2, v3
	s_delay_alu instid0(VALU_DEP_3) | instskip(NEXT) | instid1(VALU_DEP_3)
	v_fma_f32 v5, v188, v136, -v5
	v_add_f32_e32 v1, v1, v215
	v_mul_f32_e32 v3, v193, v141
	v_fma_f32 v4, v190, v138, -v4
	s_delay_alu instid0(VALU_DEP_4) | instskip(NEXT) | instid1(VALU_DEP_3)
	v_dual_add_f32 v2, v2, v5 :: v_dual_mul_f32 v5, v195, v143
	v_fma_f32 v3, v192, v140, -v3
	s_delay_alu instid0(VALU_DEP_2) | instskip(SKIP_3) | instid1(VALU_DEP_4)
	v_add_f32_e32 v2, v2, v4
	v_add_f32_e32 v1, v1, v216
	v_mul_f32_e32 v4, v197, v145
	v_fma_f32 v5, v194, v142, -v5
	v_dual_add_f32 v2, v2, v3 :: v_dual_fmac_f32 v225, v195, v142
	v_mul_f32_e32 v3, v199, v147
	s_delay_alu instid0(VALU_DEP_4) | instskip(NEXT) | instid1(VALU_DEP_3)
	v_fma_f32 v4, v196, v144, -v4
	v_add_f32_e32 v2, v2, v5
	v_add_f32_e32 v1, v1, v217
	s_delay_alu instid0(VALU_DEP_4) | instskip(NEXT) | instid1(VALU_DEP_2)
	v_fma_f32 v3, v198, v146, -v3
	v_dual_add_f32 v2, v2, v4 :: v_dual_add_f32 v1, v1, v218
	v_dual_mul_f32 v4, v203, v151 :: v_dual_mul_f32 v5, v201, v149
	s_delay_alu instid0(VALU_DEP_2) | instskip(NEXT) | instid1(VALU_DEP_2)
	v_add_f32_e32 v2, v2, v3
	v_fma_f32 v3, v202, v150, -v4
	s_delay_alu instid0(VALU_DEP_3) | instskip(NEXT) | instid1(VALU_DEP_1)
	v_fma_f32 v5, v200, v148, -v5
	v_dual_add_f32 v1, v1, v219 :: v_dual_add_f32 v2, v2, v5
	s_delay_alu instid0(VALU_DEP_1) | instskip(NEXT) | instid1(VALU_DEP_1)
	v_dual_add_f32 v1, v1, v220 :: v_dual_add_f32 v2, v2, v3
	v_add_f32_e32 v1, v1, v221
	s_delay_alu instid0(VALU_DEP_1) | instskip(NEXT) | instid1(VALU_DEP_1)
	v_add_f32_e32 v1, v1, v222
	v_add_f32_e32 v1, v1, v223
	s_delay_alu instid0(VALU_DEP_1) | instskip(NEXT) | instid1(VALU_DEP_1)
	v_add_f32_e32 v1, v1, v224
	v_add_f32_e32 v1, v1, v225
	s_delay_alu instid0(VALU_DEP_1) | instskip(NEXT) | instid1(VALU_DEP_1)
	v_add_f32_e32 v1, v1, v226
	v_add_f32_e32 v1, v1, v227
	s_delay_alu instid0(VALU_DEP_1) | instskip(NEXT) | instid1(VALU_DEP_1)
	v_add_f32_e32 v1, v1, v228
	v_add_f32_e32 v3, v1, v229
	s_wait_loadcnt 0x0
	s_delay_alu instid0(VALU_DEP_1)
	v_dual_sub_f32 v1, v204, v2 :: v_dual_sub_f32 v2, v205, v3
	scratch_store_b64 off, v[1:2], off offset:168
	v_cmpx_lt_u32_e32 20, v0
	s_cbranch_execz .LBB111_261
; %bb.260:
	scratch_load_b64 v[1:2], off, off offset:160
	v_mov_b32_e32 v3, 0
	s_delay_alu instid0(VALU_DEP_1)
	v_mov_b32_e32 v4, v3
	scratch_store_b64 off, v[3:4], off offset:160
	s_wait_loadcnt 0x0
	ds_store_b64 v23, v[1:2]
.LBB111_261:
	s_wait_alu 0xfffe
	s_or_b32 exec_lo, exec_lo, s0
	s_wait_storecnt_dscnt 0x0
	s_barrier_signal -1
	s_barrier_wait -1
	global_inv scope:SCOPE_SE
	s_clause 0xe
	scratch_load_b128 v[2:5], off, off offset:168
	scratch_load_b128 v[6:9], off, off offset:184
	;; [unrolled: 1-line block ×13, first 2 shown]
	scratch_load_b64 v[204:205], off, off offset:376
	scratch_load_b64 v[206:207], off, off offset:160
	v_mov_b32_e32 v1, 0
	ds_load_2addr_b64 v[152:155], v1 offset0:69 offset1:70
	ds_load_2addr_b64 v[156:159], v1 offset0:71 offset1:72
	;; [unrolled: 1-line block ×13, first 2 shown]
	ds_load_b64 v[208:209], v1 offset:760
	s_mov_b32 s0, exec_lo
	s_wait_loadcnt_dscnt 0xe0d
	v_mul_f32_e32 v22, v152, v3
	v_dual_mul_f32 v3, v153, v3 :: v_dual_mul_f32 v210, v154, v5
	s_wait_loadcnt_dscnt 0xa09
	v_dual_mul_f32 v211, v156, v7 :: v_dual_mul_f32 v218, v170, v21
	v_mul_f32_e32 v5, v155, v5
	s_delay_alu instid0(VALU_DEP_3) | instskip(SKIP_3) | instid1(VALU_DEP_4)
	v_fma_f32 v3, v152, v2, -v3
	v_dual_mul_f32 v212, v158, v9 :: v_dual_mul_f32 v213, v160, v11
	v_fmac_f32_e32 v22, v153, v2
	v_mul_f32_e32 v2, v157, v7
	v_dual_fmac_f32 v210, v155, v4 :: v_dual_add_f32 v3, 0, v3
	s_wait_loadcnt_dscnt 0x100
	v_mul_f32_e32 v235, v208, v205
	v_fma_f32 v4, v154, v4, -v5
	v_dual_add_f32 v5, 0, v22 :: v_dual_fmac_f32 v212, v159, v8
	v_mul_f32_e32 v7, v159, v9
	v_fma_f32 v2, v156, v6, -v2
	s_delay_alu instid0(VALU_DEP_4)
	v_add_f32_e32 v3, v3, v4
	v_fmac_f32_e32 v211, v157, v6
	v_add_f32_e32 v4, v5, v210
	v_mul_f32_e32 v5, v161, v11
	v_fma_f32 v6, v158, v8, -v7
	v_add_f32_e32 v2, v3, v2
	v_dual_mul_f32 v214, v162, v13 :: v_dual_mul_f32 v215, v164, v15
	v_dual_add_f32 v3, v4, v211 :: v_dual_mul_f32 v4, v163, v13
	v_fma_f32 v5, v160, v10, -v5
	s_delay_alu instid0(VALU_DEP_4)
	v_add_f32_e32 v2, v2, v6
	v_fmac_f32_e32 v213, v161, v10
	v_mul_f32_e32 v6, v165, v15
	v_fmac_f32_e32 v214, v163, v12
	v_add_f32_e32 v3, v3, v212
	v_fma_f32 v4, v162, v12, -v4
	v_add_f32_e32 v2, v2, v5
	v_dual_mul_f32 v216, v166, v17 :: v_dual_mul_f32 v217, v168, v19
	s_delay_alu instid0(VALU_DEP_4)
	v_add_f32_e32 v3, v3, v213
	v_mul_f32_e32 v5, v167, v17
	v_fma_f32 v6, v164, v14, -v6
	v_dual_add_f32 v2, v2, v4 :: v_dual_fmac_f32 v215, v165, v14
	v_fmac_f32_e32 v216, v167, v16
	v_mul_f32_e32 v4, v169, v19
	v_fma_f32 v5, v166, v16, -v5
	s_delay_alu instid0(VALU_DEP_4) | instskip(SKIP_3) | instid1(VALU_DEP_3)
	v_add_f32_e32 v2, v2, v6
	v_add_f32_e32 v3, v3, v214
	v_dual_mul_f32 v6, v171, v21 :: v_dual_fmac_f32 v217, v169, v18
	v_fma_f32 v4, v168, v18, -v4
	v_dual_add_f32 v2, v2, v5 :: v_dual_add_f32 v3, v3, v215
	s_delay_alu instid0(VALU_DEP_3) | instskip(SKIP_1) | instid1(VALU_DEP_3)
	v_fma_f32 v6, v170, v20, -v6
	v_dual_mul_f32 v219, v172, v25 :: v_dual_mul_f32 v220, v174, v27
	v_add_f32_e32 v2, v2, v4
	s_delay_alu instid0(VALU_DEP_4) | instskip(SKIP_1) | instid1(VALU_DEP_4)
	v_add_f32_e32 v3, v3, v216
	v_dual_mul_f32 v5, v173, v25 :: v_dual_fmac_f32 v218, v171, v20
	v_dual_mul_f32 v4, v175, v27 :: v_dual_fmac_f32 v219, v173, v24
	s_delay_alu instid0(VALU_DEP_3) | instskip(NEXT) | instid1(VALU_DEP_3)
	v_dual_add_f32 v2, v2, v6 :: v_dual_add_f32 v3, v3, v217
	v_fma_f32 v5, v172, v24, -v5
	v_dual_mul_f32 v221, v176, v125 :: v_dual_mul_f32 v222, v178, v127
	s_delay_alu instid0(VALU_DEP_3) | instskip(NEXT) | instid1(VALU_DEP_2)
	v_dual_mul_f32 v6, v177, v125 :: v_dual_add_f32 v3, v3, v218
	v_dual_fmac_f32 v220, v175, v26 :: v_dual_fmac_f32 v221, v177, v124
	v_fma_f32 v4, v174, v26, -v4
	s_delay_alu instid0(VALU_DEP_3) | instskip(SKIP_3) | instid1(VALU_DEP_4)
	v_dual_add_f32 v2, v2, v5 :: v_dual_add_f32 v3, v3, v219
	v_mul_f32_e32 v5, v179, v127
	v_fma_f32 v6, v176, v124, -v6
	v_dual_mul_f32 v223, v180, v129 :: v_dual_mul_f32 v224, v182, v131
	v_add_f32_e32 v2, v2, v4
	v_dual_add_f32 v3, v3, v220 :: v_dual_mul_f32 v4, v181, v129
	s_delay_alu instid0(VALU_DEP_3) | instskip(SKIP_1) | instid1(VALU_DEP_3)
	v_dual_fmac_f32 v222, v179, v126 :: v_dual_fmac_f32 v223, v181, v128
	v_fma_f32 v5, v178, v126, -v5
	v_dual_add_f32 v2, v2, v6 :: v_dual_add_f32 v3, v3, v221
	v_mul_f32_e32 v6, v183, v131
	v_fma_f32 v4, v180, v128, -v4
	v_dual_mul_f32 v225, v184, v133 :: v_dual_mul_f32 v226, v186, v135
	s_delay_alu instid0(VALU_DEP_4) | instskip(SKIP_1) | instid1(VALU_DEP_3)
	v_dual_add_f32 v2, v2, v5 :: v_dual_add_f32 v3, v3, v222
	v_dual_mul_f32 v5, v185, v133 :: v_dual_fmac_f32 v224, v183, v130
	v_fmac_f32_e32 v225, v185, v132
	v_fma_f32 v6, v182, v130, -v6
	s_delay_alu instid0(VALU_DEP_4) | instskip(SKIP_2) | instid1(VALU_DEP_2)
	v_dual_add_f32 v2, v2, v4 :: v_dual_add_f32 v3, v3, v223
	v_dual_mul_f32 v227, v188, v137 :: v_dual_mul_f32 v228, v190, v139
	v_dual_mul_f32 v229, v192, v141 :: v_dual_mul_f32 v230, v194, v143
	v_dual_mul_f32 v4, v187, v135 :: v_dual_fmac_f32 v227, v189, v136
	v_fma_f32 v5, v184, v132, -v5
	v_dual_add_f32 v2, v2, v6 :: v_dual_add_f32 v3, v3, v224
	v_mul_f32_e32 v6, v189, v137
	v_dual_fmac_f32 v226, v187, v134 :: v_dual_fmac_f32 v229, v193, v140
	v_fma_f32 v4, v186, v134, -v4
	s_delay_alu instid0(VALU_DEP_4) | instskip(SKIP_3) | instid1(VALU_DEP_3)
	v_add_f32_e32 v3, v3, v225
	v_dual_add_f32 v2, v2, v5 :: v_dual_mul_f32 v5, v191, v139
	v_fma_f32 v6, v188, v136, -v6
	v_dual_mul_f32 v233, v200, v149 :: v_dual_mul_f32 v234, v202, v151
	v_dual_add_f32 v3, v3, v226 :: v_dual_add_f32 v2, v2, v4
	v_mul_f32_e32 v4, v193, v141
	v_fmac_f32_e32 v228, v191, v138
	v_fma_f32 v5, v190, v138, -v5
	s_delay_alu instid0(VALU_DEP_4) | instskip(SKIP_3) | instid1(VALU_DEP_4)
	v_dual_add_f32 v3, v3, v227 :: v_dual_add_f32 v2, v2, v6
	v_dual_mul_f32 v231, v196, v145 :: v_dual_mul_f32 v232, v198, v147
	v_mul_f32_e32 v6, v195, v143
	v_dual_fmac_f32 v230, v195, v142 :: v_dual_fmac_f32 v233, v201, v148
	v_add_f32_e32 v2, v2, v5
	v_mul_f32_e32 v5, v197, v145
	v_add_f32_e32 v3, v3, v228
	v_fma_f32 v4, v192, v140, -v4
	v_fmac_f32_e32 v231, v197, v144
	v_fma_f32 v6, v194, v142, -v6
	v_fma_f32 v5, v196, v144, -v5
	v_add_f32_e32 v3, v3, v229
	v_dual_fmac_f32 v232, v199, v146 :: v_dual_fmac_f32 v235, v209, v204
	v_fmac_f32_e32 v234, v203, v150
	s_delay_alu instid0(VALU_DEP_3) | instskip(SKIP_1) | instid1(VALU_DEP_2)
	v_dual_add_f32 v3, v3, v230 :: v_dual_add_f32 v2, v2, v4
	v_mul_f32_e32 v4, v199, v147
	v_dual_add_f32 v3, v3, v231 :: v_dual_add_f32 v2, v2, v6
	v_mul_f32_e32 v6, v201, v149
	s_delay_alu instid0(VALU_DEP_3) | instskip(NEXT) | instid1(VALU_DEP_3)
	v_fma_f32 v4, v198, v146, -v4
	v_dual_add_f32 v3, v3, v232 :: v_dual_add_f32 v2, v2, v5
	v_mul_f32_e32 v5, v203, v151
	s_delay_alu instid0(VALU_DEP_4) | instskip(NEXT) | instid1(VALU_DEP_3)
	v_fma_f32 v6, v200, v148, -v6
	v_dual_add_f32 v3, v3, v233 :: v_dual_add_f32 v2, v2, v4
	v_mul_f32_e32 v4, v209, v205
	s_delay_alu instid0(VALU_DEP_4) | instskip(NEXT) | instid1(VALU_DEP_3)
	v_fma_f32 v5, v202, v150, -v5
	v_add_f32_e32 v3, v3, v234
	s_delay_alu instid0(VALU_DEP_4) | instskip(NEXT) | instid1(VALU_DEP_4)
	v_add_f32_e32 v2, v2, v6
	v_fma_f32 v4, v208, v204, -v4
	s_delay_alu instid0(VALU_DEP_2) | instskip(SKIP_1) | instid1(VALU_DEP_1)
	v_dual_add_f32 v3, v3, v235 :: v_dual_add_f32 v2, v2, v5
	s_wait_loadcnt 0x0
	v_dual_sub_f32 v3, v207, v3 :: v_dual_add_f32 v2, v2, v4
	s_delay_alu instid0(VALU_DEP_1)
	v_sub_f32_e32 v2, v206, v2
	scratch_store_b64 off, v[2:3], off offset:160
	v_cmpx_lt_u32_e32 19, v0
	s_cbranch_execz .LBB111_263
; %bb.262:
	scratch_load_b64 v[3:4], off, off offset:152
	v_mov_b32_e32 v2, v1
	scratch_store_b64 off, v[1:2], off offset:152
	s_wait_loadcnt 0x0
	ds_store_b64 v23, v[3:4]
.LBB111_263:
	s_wait_alu 0xfffe
	s_or_b32 exec_lo, exec_lo, s0
	s_wait_storecnt_dscnt 0x0
	s_barrier_signal -1
	s_barrier_wait -1
	global_inv scope:SCOPE_SE
	s_clause 0xe
	scratch_load_b128 v[2:5], off, off offset:160
	scratch_load_b128 v[6:9], off, off offset:176
	;; [unrolled: 1-line block ×14, first 2 shown]
	scratch_load_b64 v[212:213], off, off offset:152
	ds_load_b128 v[156:159], v1 offset:544
	ds_load_b128 v[160:163], v1 offset:560
	;; [unrolled: 1-line block ×14, first 2 shown]
	s_mov_b32 s0, exec_lo
	s_wait_loadcnt_dscnt 0xe0d
	v_dual_mul_f32 v1, v156, v3 :: v_dual_mul_f32 v22, v158, v5
	s_wait_loadcnt_dscnt 0xd0c
	v_dual_mul_f32 v5, v159, v5 :: v_dual_mul_f32 v214, v160, v7
	v_mul_f32_e32 v215, v162, v9
	s_wait_loadcnt_dscnt 0xc0b
	v_dual_fmac_f32 v1, v157, v2 :: v_dual_mul_f32 v216, v164, v11
	v_mul_f32_e32 v217, v166, v13
	v_dual_mul_f32 v3, v157, v3 :: v_dual_fmac_f32 v22, v159, v4
	s_wait_loadcnt_dscnt 0xb0a
	v_dual_mul_f32 v218, v168, v15 :: v_dual_mul_f32 v219, v170, v17
	s_wait_loadcnt_dscnt 0x201
	v_mul_f32_e32 v236, v204, v149
	v_fma_f32 v3, v156, v2, -v3
	s_wait_loadcnt_dscnt 0x100
	v_mul_f32_e32 v239, v210, v155
	v_mul_f32_e32 v2, v161, v7
	v_fma_f32 v4, v158, v4, -v5
	v_dual_mul_f32 v5, v163, v9 :: v_dual_fmac_f32 v216, v165, v10
	v_dual_add_f32 v3, 0, v3 :: v_dual_fmac_f32 v214, v161, v6
	s_delay_alu instid0(VALU_DEP_4) | instskip(NEXT) | instid1(VALU_DEP_3)
	v_fma_f32 v2, v160, v6, -v2
	v_fma_f32 v5, v162, v8, -v5
	s_delay_alu instid0(VALU_DEP_3) | instskip(SKIP_2) | instid1(VALU_DEP_3)
	v_dual_fmac_f32 v218, v169, v14 :: v_dual_add_f32 v3, v3, v4
	v_dual_mul_f32 v220, v172, v19 :: v_dual_mul_f32 v221, v174, v21
	v_dual_mul_f32 v222, v176, v25 :: v_dual_mul_f32 v223, v178, v27
	v_add_f32_e32 v2, v3, v2
	s_delay_alu instid0(VALU_DEP_3) | instskip(SKIP_1) | instid1(VALU_DEP_3)
	v_dual_mul_f32 v3, v167, v13 :: v_dual_fmac_f32 v220, v173, v18
	v_dual_fmac_f32 v219, v171, v16 :: v_dual_mul_f32 v4, v165, v11
	v_add_f32_e32 v2, v2, v5
	v_add_f32_e32 v1, 0, v1
	s_delay_alu instid0(VALU_DEP_4) | instskip(SKIP_2) | instid1(VALU_DEP_4)
	v_fma_f32 v3, v166, v12, -v3
	v_dual_mul_f32 v224, v180, v125 :: v_dual_mul_f32 v225, v182, v127
	v_fma_f32 v4, v164, v10, -v4
	v_dual_add_f32 v1, v1, v22 :: v_dual_mul_f32 v228, v188, v133
	v_dual_mul_f32 v229, v190, v135 :: v_dual_mul_f32 v226, v184, v129
	v_mul_f32_e32 v227, v186, v131
	s_delay_alu instid0(VALU_DEP_3) | instskip(SKIP_2) | instid1(VALU_DEP_3)
	v_dual_add_f32 v2, v2, v4 :: v_dual_add_f32 v1, v1, v214
	v_mul_f32_e32 v4, v171, v17
	v_fmac_f32_e32 v215, v163, v8
	v_dual_fmac_f32 v225, v183, v126 :: v_dual_add_f32 v2, v2, v3
	v_dual_mul_f32 v230, v192, v137 :: v_dual_mul_f32 v231, v194, v139
	s_delay_alu instid0(VALU_DEP_4) | instskip(SKIP_4) | instid1(VALU_DEP_4)
	v_fma_f32 v4, v170, v16, -v4
	v_mul_f32_e32 v5, v169, v15
	v_add_f32_e32 v1, v1, v215
	v_dual_fmac_f32 v223, v179, v26 :: v_dual_fmac_f32 v226, v185, v128
	v_fmac_f32_e32 v222, v177, v24
	v_fma_f32 v5, v168, v14, -v5
	v_dual_fmac_f32 v217, v167, v12 :: v_dual_mul_f32 v234, v200, v145
	v_dual_mul_f32 v235, v202, v147 :: v_dual_mul_f32 v232, v196, v141
	v_mul_f32_e32 v233, v198, v143
	s_delay_alu instid0(VALU_DEP_4) | instskip(SKIP_3) | instid1(VALU_DEP_4)
	v_add_f32_e32 v2, v2, v5
	v_mul_f32_e32 v5, v175, v21
	v_fmac_f32_e32 v231, v195, v138
	v_dual_fmac_f32 v229, v191, v134 :: v_dual_fmac_f32 v232, v197, v140
	v_add_f32_e32 v2, v2, v4
	s_delay_alu instid0(VALU_DEP_4) | instskip(SKIP_4) | instid1(VALU_DEP_4)
	v_fma_f32 v5, v174, v20, -v5
	v_mul_f32_e32 v3, v173, v19
	v_mul_f32_e32 v4, v177, v25
	v_dual_fmac_f32 v224, v181, v124 :: v_dual_mul_f32 v237, v206, v151
	v_mul_f32_e32 v238, v208, v153
	v_fma_f32 v3, v172, v18, -v3
	v_add_f32_e32 v1, v1, v216
	v_fma_f32 v4, v176, v24, -v4
	s_delay_alu instid0(VALU_DEP_4) | instskip(NEXT) | instid1(VALU_DEP_4)
	v_dual_fmac_f32 v235, v203, v146 :: v_dual_fmac_f32 v238, v209, v152
	v_add_f32_e32 v2, v2, v3
	v_mul_f32_e32 v3, v179, v27
	v_fmac_f32_e32 v237, v207, v150
	v_dual_fmac_f32 v239, v211, v154 :: v_dual_fmac_f32 v228, v189, v132
	s_delay_alu instid0(VALU_DEP_4) | instskip(SKIP_4) | instid1(VALU_DEP_4)
	v_add_f32_e32 v2, v2, v5
	v_add_f32_e32 v1, v1, v217
	v_fma_f32 v3, v178, v26, -v3
	v_fmac_f32_e32 v230, v193, v136
	v_fmac_f32_e32 v234, v201, v144
	v_dual_add_f32 v2, v2, v4 :: v_dual_add_f32 v1, v1, v218
	v_mul_f32_e32 v4, v183, v127
	v_fmac_f32_e32 v221, v175, v20
	v_fmac_f32_e32 v236, v205, v148
	s_delay_alu instid0(VALU_DEP_4) | instskip(NEXT) | instid1(VALU_DEP_4)
	v_dual_add_f32 v2, v2, v3 :: v_dual_mul_f32 v3, v185, v129
	v_fma_f32 v4, v182, v126, -v4
	v_mul_f32_e32 v5, v181, v125
	s_delay_alu instid0(VALU_DEP_3) | instskip(NEXT) | instid1(VALU_DEP_2)
	v_fma_f32 v3, v184, v128, -v3
	v_fma_f32 v5, v180, v124, -v5
	s_delay_alu instid0(VALU_DEP_1) | instskip(NEXT) | instid1(VALU_DEP_1)
	v_dual_add_f32 v1, v1, v219 :: v_dual_add_f32 v2, v2, v5
	v_dual_mul_f32 v5, v187, v131 :: v_dual_add_f32 v2, v2, v4
	s_delay_alu instid0(VALU_DEP_2) | instskip(SKIP_1) | instid1(VALU_DEP_3)
	v_add_f32_e32 v1, v1, v220
	v_mul_f32_e32 v4, v189, v133
	v_fma_f32 v5, v186, v130, -v5
	s_delay_alu instid0(VALU_DEP_4) | instskip(SKIP_1) | instid1(VALU_DEP_4)
	v_dual_add_f32 v2, v2, v3 :: v_dual_fmac_f32 v227, v187, v130
	v_mul_f32_e32 v3, v191, v135
	v_fma_f32 v4, v188, v132, -v4
	s_delay_alu instid0(VALU_DEP_3) | instskip(SKIP_1) | instid1(VALU_DEP_4)
	v_add_f32_e32 v2, v2, v5
	v_add_f32_e32 v1, v1, v221
	v_fma_f32 v3, v190, v134, -v3
	s_delay_alu instid0(VALU_DEP_3) | instskip(NEXT) | instid1(VALU_DEP_3)
	v_dual_add_f32 v2, v2, v4 :: v_dual_mul_f32 v5, v193, v137
	v_dual_add_f32 v1, v1, v222 :: v_dual_mul_f32 v4, v195, v139
	s_delay_alu instid0(VALU_DEP_2) | instskip(NEXT) | instid1(VALU_DEP_3)
	v_add_f32_e32 v2, v2, v3
	v_fma_f32 v5, v192, v136, -v5
	s_delay_alu instid0(VALU_DEP_3) | instskip(SKIP_2) | instid1(VALU_DEP_4)
	v_add_f32_e32 v1, v1, v223
	v_mul_f32_e32 v3, v197, v141
	v_fma_f32 v4, v194, v138, -v4
	v_dual_add_f32 v2, v2, v5 :: v_dual_mul_f32 v5, v199, v143
	s_delay_alu instid0(VALU_DEP_3) | instskip(NEXT) | instid1(VALU_DEP_2)
	v_fma_f32 v3, v196, v140, -v3
	v_add_f32_e32 v2, v2, v4
	v_add_f32_e32 v1, v1, v224
	v_mul_f32_e32 v4, v201, v145
	v_fma_f32 v5, v198, v142, -v5
	s_delay_alu instid0(VALU_DEP_4) | instskip(SKIP_1) | instid1(VALU_DEP_4)
	v_dual_add_f32 v2, v2, v3 :: v_dual_fmac_f32 v233, v199, v142
	v_mul_f32_e32 v3, v203, v147
	v_fma_f32 v4, v200, v144, -v4
	s_delay_alu instid0(VALU_DEP_3) | instskip(SKIP_1) | instid1(VALU_DEP_4)
	v_add_f32_e32 v2, v2, v5
	v_add_f32_e32 v1, v1, v225
	v_fma_f32 v3, v202, v146, -v3
	s_delay_alu instid0(VALU_DEP_3) | instskip(NEXT) | instid1(VALU_DEP_3)
	v_dual_add_f32 v2, v2, v4 :: v_dual_mul_f32 v5, v205, v149
	v_dual_add_f32 v1, v1, v226 :: v_dual_mul_f32 v4, v207, v151
	s_delay_alu instid0(VALU_DEP_2) | instskip(NEXT) | instid1(VALU_DEP_3)
	v_add_f32_e32 v2, v2, v3
	v_fma_f32 v5, v204, v148, -v5
	s_delay_alu instid0(VALU_DEP_3) | instskip(SKIP_2) | instid1(VALU_DEP_4)
	v_add_f32_e32 v1, v1, v227
	v_mul_f32_e32 v3, v209, v153
	v_fma_f32 v4, v206, v150, -v4
	v_dual_add_f32 v2, v2, v5 :: v_dual_mul_f32 v5, v211, v155
	s_delay_alu instid0(VALU_DEP_3) | instskip(NEXT) | instid1(VALU_DEP_2)
	v_fma_f32 v3, v208, v152, -v3
	v_add_f32_e32 v2, v2, v4
	v_add_f32_e32 v1, v1, v228
	s_delay_alu instid0(VALU_DEP_4) | instskip(NEXT) | instid1(VALU_DEP_2)
	v_fma_f32 v4, v210, v154, -v5
	v_dual_add_f32 v2, v2, v3 :: v_dual_add_f32 v1, v1, v229
	s_delay_alu instid0(VALU_DEP_1) | instskip(NEXT) | instid1(VALU_DEP_1)
	v_dual_add_f32 v2, v2, v4 :: v_dual_add_f32 v1, v1, v230
	v_add_f32_e32 v1, v1, v231
	s_delay_alu instid0(VALU_DEP_1) | instskip(NEXT) | instid1(VALU_DEP_1)
	v_add_f32_e32 v1, v1, v232
	v_add_f32_e32 v1, v1, v233
	s_delay_alu instid0(VALU_DEP_1) | instskip(NEXT) | instid1(VALU_DEP_1)
	v_add_f32_e32 v1, v1, v234
	;; [unrolled: 3-line block ×4, first 2 shown]
	v_add_f32_e32 v3, v1, v239
	s_wait_loadcnt 0x0
	s_delay_alu instid0(VALU_DEP_1)
	v_dual_sub_f32 v1, v212, v2 :: v_dual_sub_f32 v2, v213, v3
	scratch_store_b64 off, v[1:2], off offset:152
	v_cmpx_lt_u32_e32 18, v0
	s_cbranch_execz .LBB111_265
; %bb.264:
	scratch_load_b64 v[1:2], off, off offset:144
	v_mov_b32_e32 v3, 0
	s_delay_alu instid0(VALU_DEP_1)
	v_mov_b32_e32 v4, v3
	scratch_store_b64 off, v[3:4], off offset:144
	s_wait_loadcnt 0x0
	ds_store_b64 v23, v[1:2]
.LBB111_265:
	s_wait_alu 0xfffe
	s_or_b32 exec_lo, exec_lo, s0
	s_wait_storecnt_dscnt 0x0
	s_barrier_signal -1
	s_barrier_wait -1
	global_inv scope:SCOPE_SE
	s_clause 0xf
	scratch_load_b128 v[2:5], off, off offset:152
	scratch_load_b128 v[6:9], off, off offset:168
	;; [unrolled: 1-line block ×14, first 2 shown]
	scratch_load_b64 v[212:213], off, off offset:376
	scratch_load_b64 v[214:215], off, off offset:144
	v_mov_b32_e32 v1, 0
	ds_load_2addr_b64 v[156:159], v1 offset0:67 offset1:68
	ds_load_2addr_b64 v[160:163], v1 offset0:69 offset1:70
	;; [unrolled: 1-line block ×14, first 2 shown]
	ds_load_b64 v[216:217], v1 offset:760
	s_mov_b32 s0, exec_lo
	s_wait_loadcnt_dscnt 0xf0e
	v_mul_f32_e32 v22, v156, v3
	v_dual_mul_f32 v3, v157, v3 :: v_dual_mul_f32 v218, v158, v5
	s_wait_loadcnt_dscnt 0xb0a
	v_dual_mul_f32 v219, v160, v7 :: v_dual_mul_f32 v226, v174, v21
	v_mul_f32_e32 v5, v159, v5
	s_delay_alu instid0(VALU_DEP_3)
	v_fma_f32 v3, v156, v2, -v3
	v_dual_mul_f32 v220, v162, v9 :: v_dual_mul_f32 v221, v164, v11
	v_fmac_f32_e32 v218, v159, v4
	v_fmac_f32_e32 v22, v157, v2
	v_mul_f32_e32 v2, v161, v7
	v_fma_f32 v4, v158, v4, -v5
	v_add_f32_e32 v3, 0, v3
	s_wait_loadcnt_dscnt 0x100
	v_mul_f32_e32 v245, v216, v213
	v_dual_add_f32 v5, 0, v22 :: v_dual_fmac_f32 v220, v163, v8
	v_mul_f32_e32 v7, v163, v9
	v_fma_f32 v2, v160, v6, -v2
	v_add_f32_e32 v3, v3, v4
	v_fmac_f32_e32 v219, v161, v6
	v_add_f32_e32 v4, v5, v218
	v_mul_f32_e32 v5, v165, v11
	v_fma_f32 v6, v162, v8, -v7
	v_add_f32_e32 v2, v3, v2
	v_dual_mul_f32 v222, v166, v13 :: v_dual_mul_f32 v223, v168, v15
	v_dual_add_f32 v3, v4, v219 :: v_dual_mul_f32 v4, v167, v13
	v_fma_f32 v5, v164, v10, -v5
	s_delay_alu instid0(VALU_DEP_4)
	v_add_f32_e32 v2, v2, v6
	v_fmac_f32_e32 v221, v165, v10
	v_mul_f32_e32 v6, v169, v15
	v_fmac_f32_e32 v222, v167, v12
	v_add_f32_e32 v3, v3, v220
	v_fma_f32 v4, v166, v12, -v4
	v_add_f32_e32 v2, v2, v5
	v_dual_mul_f32 v224, v170, v17 :: v_dual_mul_f32 v225, v172, v19
	s_delay_alu instid0(VALU_DEP_4)
	v_add_f32_e32 v3, v3, v221
	v_mul_f32_e32 v5, v171, v17
	v_fma_f32 v6, v168, v14, -v6
	v_dual_add_f32 v2, v2, v4 :: v_dual_fmac_f32 v223, v169, v14
	v_fmac_f32_e32 v224, v171, v16
	v_mul_f32_e32 v4, v173, v19
	v_fma_f32 v5, v170, v16, -v5
	s_delay_alu instid0(VALU_DEP_4) | instskip(SKIP_3) | instid1(VALU_DEP_3)
	v_add_f32_e32 v2, v2, v6
	v_add_f32_e32 v3, v3, v222
	v_dual_mul_f32 v6, v175, v21 :: v_dual_fmac_f32 v225, v173, v18
	v_fma_f32 v4, v172, v18, -v4
	v_dual_add_f32 v2, v2, v5 :: v_dual_add_f32 v3, v3, v223
	s_delay_alu instid0(VALU_DEP_3) | instskip(SKIP_1) | instid1(VALU_DEP_3)
	v_fma_f32 v6, v174, v20, -v6
	v_dual_mul_f32 v227, v176, v25 :: v_dual_mul_f32 v228, v178, v27
	v_add_f32_e32 v2, v2, v4
	s_delay_alu instid0(VALU_DEP_4) | instskip(SKIP_1) | instid1(VALU_DEP_4)
	v_add_f32_e32 v3, v3, v224
	v_dual_mul_f32 v5, v177, v25 :: v_dual_fmac_f32 v226, v175, v20
	v_dual_mul_f32 v4, v179, v27 :: v_dual_fmac_f32 v227, v177, v24
	s_delay_alu instid0(VALU_DEP_3) | instskip(NEXT) | instid1(VALU_DEP_3)
	v_dual_add_f32 v2, v2, v6 :: v_dual_add_f32 v3, v3, v225
	v_fma_f32 v5, v176, v24, -v5
	v_dual_mul_f32 v229, v180, v125 :: v_dual_mul_f32 v230, v182, v127
	s_delay_alu instid0(VALU_DEP_3) | instskip(NEXT) | instid1(VALU_DEP_2)
	v_dual_mul_f32 v6, v181, v125 :: v_dual_add_f32 v3, v3, v226
	v_dual_fmac_f32 v228, v179, v26 :: v_dual_fmac_f32 v229, v181, v124
	v_fma_f32 v4, v178, v26, -v4
	s_delay_alu instid0(VALU_DEP_3) | instskip(SKIP_3) | instid1(VALU_DEP_4)
	v_dual_add_f32 v2, v2, v5 :: v_dual_add_f32 v3, v3, v227
	v_mul_f32_e32 v5, v183, v127
	v_fma_f32 v6, v180, v124, -v6
	v_dual_mul_f32 v231, v184, v129 :: v_dual_mul_f32 v232, v186, v131
	v_add_f32_e32 v2, v2, v4
	v_dual_add_f32 v3, v3, v228 :: v_dual_mul_f32 v4, v185, v129
	s_delay_alu instid0(VALU_DEP_3) | instskip(SKIP_1) | instid1(VALU_DEP_3)
	v_dual_fmac_f32 v230, v183, v126 :: v_dual_fmac_f32 v231, v185, v128
	v_fma_f32 v5, v182, v126, -v5
	v_dual_add_f32 v2, v2, v6 :: v_dual_add_f32 v3, v3, v229
	v_mul_f32_e32 v6, v187, v131
	v_fma_f32 v4, v184, v128, -v4
	v_dual_mul_f32 v233, v188, v133 :: v_dual_mul_f32 v234, v190, v135
	s_delay_alu instid0(VALU_DEP_4) | instskip(SKIP_1) | instid1(VALU_DEP_3)
	v_dual_add_f32 v2, v2, v5 :: v_dual_add_f32 v3, v3, v230
	v_dual_mul_f32 v5, v189, v133 :: v_dual_fmac_f32 v232, v187, v130
	v_fmac_f32_e32 v233, v189, v132
	v_fma_f32 v6, v186, v130, -v6
	s_delay_alu instid0(VALU_DEP_4) | instskip(SKIP_2) | instid1(VALU_DEP_2)
	v_dual_add_f32 v2, v2, v4 :: v_dual_add_f32 v3, v3, v231
	v_dual_mul_f32 v235, v192, v137 :: v_dual_mul_f32 v236, v194, v139
	v_dual_mul_f32 v237, v196, v141 :: v_dual_mul_f32 v238, v198, v143
	v_dual_mul_f32 v4, v191, v135 :: v_dual_fmac_f32 v235, v193, v136
	v_fma_f32 v5, v188, v132, -v5
	v_dual_add_f32 v2, v2, v6 :: v_dual_add_f32 v3, v3, v232
	v_mul_f32_e32 v6, v193, v137
	v_dual_fmac_f32 v234, v191, v134 :: v_dual_fmac_f32 v237, v197, v140
	v_fma_f32 v4, v190, v134, -v4
	s_delay_alu instid0(VALU_DEP_4) | instskip(SKIP_3) | instid1(VALU_DEP_3)
	v_add_f32_e32 v3, v3, v233
	v_dual_add_f32 v2, v2, v5 :: v_dual_mul_f32 v5, v195, v139
	v_fma_f32 v6, v192, v136, -v6
	v_dual_mul_f32 v241, v204, v149 :: v_dual_mul_f32 v242, v206, v151
	v_dual_add_f32 v3, v3, v234 :: v_dual_add_f32 v2, v2, v4
	v_mul_f32_e32 v4, v197, v141
	v_fmac_f32_e32 v236, v195, v138
	v_fma_f32 v5, v194, v138, -v5
	s_delay_alu instid0(VALU_DEP_4) | instskip(SKIP_3) | instid1(VALU_DEP_4)
	v_dual_add_f32 v3, v3, v235 :: v_dual_add_f32 v2, v2, v6
	v_dual_mul_f32 v239, v200, v145 :: v_dual_mul_f32 v240, v202, v147
	v_mul_f32_e32 v6, v199, v143
	v_dual_fmac_f32 v238, v199, v142 :: v_dual_fmac_f32 v241, v205, v148
	v_add_f32_e32 v2, v2, v5
	v_mul_f32_e32 v5, v201, v145
	v_add_f32_e32 v3, v3, v236
	v_fma_f32 v4, v196, v140, -v4
	v_fmac_f32_e32 v239, v201, v144
	v_fma_f32 v6, v198, v142, -v6
	v_dual_mul_f32 v243, v208, v153 :: v_dual_mul_f32 v244, v210, v155
	v_add_f32_e32 v3, v3, v237
	v_fma_f32 v5, v200, v144, -v5
	s_delay_alu instid0(VALU_DEP_3) | instskip(NEXT) | instid1(VALU_DEP_4)
	v_dual_fmac_f32 v240, v203, v146 :: v_dual_fmac_f32 v243, v209, v152
	v_fmac_f32_e32 v244, v211, v154
	s_delay_alu instid0(VALU_DEP_4) | instskip(SKIP_2) | instid1(VALU_DEP_3)
	v_dual_add_f32 v3, v3, v238 :: v_dual_add_f32 v2, v2, v4
	v_mul_f32_e32 v4, v203, v147
	v_dual_fmac_f32 v242, v207, v150 :: v_dual_fmac_f32 v245, v217, v212
	v_dual_add_f32 v3, v3, v239 :: v_dual_add_f32 v2, v2, v6
	v_mul_f32_e32 v6, v205, v149
	s_delay_alu instid0(VALU_DEP_4) | instskip(NEXT) | instid1(VALU_DEP_3)
	v_fma_f32 v4, v202, v146, -v4
	v_dual_add_f32 v2, v2, v5 :: v_dual_mul_f32 v5, v207, v151
	s_delay_alu instid0(VALU_DEP_3) | instskip(NEXT) | instid1(VALU_DEP_2)
	v_fma_f32 v6, v204, v148, -v6
	v_add_f32_e32 v2, v2, v4
	s_delay_alu instid0(VALU_DEP_3) | instskip(NEXT) | instid1(VALU_DEP_2)
	v_fma_f32 v5, v206, v150, -v5
	v_add_f32_e32 v2, v2, v6
	v_mul_f32_e32 v6, v211, v155
	s_delay_alu instid0(VALU_DEP_2) | instskip(SKIP_2) | instid1(VALU_DEP_4)
	v_add_f32_e32 v2, v2, v5
	v_mul_f32_e32 v5, v217, v213
	v_add_f32_e32 v3, v3, v240
	v_fma_f32 v6, v210, v154, -v6
	s_delay_alu instid0(VALU_DEP_2) | instskip(NEXT) | instid1(VALU_DEP_1)
	v_add_f32_e32 v3, v3, v241
	v_dual_mul_f32 v4, v209, v153 :: v_dual_add_f32 v3, v3, v242
	s_delay_alu instid0(VALU_DEP_1) | instskip(NEXT) | instid1(VALU_DEP_2)
	v_fma_f32 v4, v208, v152, -v4
	v_add_f32_e32 v3, v3, v243
	s_delay_alu instid0(VALU_DEP_1) | instskip(NEXT) | instid1(VALU_DEP_3)
	v_add_f32_e32 v3, v3, v244
	v_add_f32_e32 v2, v2, v4
	v_fma_f32 v4, v216, v212, -v5
	s_delay_alu instid0(VALU_DEP_2) | instskip(SKIP_1) | instid1(VALU_DEP_1)
	v_dual_add_f32 v3, v3, v245 :: v_dual_add_f32 v2, v2, v6
	s_wait_loadcnt 0x0
	v_dual_sub_f32 v3, v215, v3 :: v_dual_add_f32 v2, v2, v4
	s_delay_alu instid0(VALU_DEP_1)
	v_sub_f32_e32 v2, v214, v2
	scratch_store_b64 off, v[2:3], off offset:144
	v_cmpx_lt_u32_e32 17, v0
	s_cbranch_execz .LBB111_267
; %bb.266:
	scratch_load_b64 v[3:4], off, off offset:136
	v_mov_b32_e32 v2, v1
	scratch_store_b64 off, v[1:2], off offset:136
	s_wait_loadcnt 0x0
	ds_store_b64 v23, v[3:4]
.LBB111_267:
	s_wait_alu 0xfffe
	s_or_b32 exec_lo, exec_lo, s0
	s_wait_storecnt_dscnt 0x0
	s_barrier_signal -1
	s_barrier_wait -1
	global_inv scope:SCOPE_SE
	s_clause 0xf
	scratch_load_b128 v[2:5], off, off offset:144
	scratch_load_b128 v[6:9], off, off offset:160
	scratch_load_b128 v[10:13], off, off offset:176
	scratch_load_b128 v[14:17], off, off offset:192
	scratch_load_b128 v[18:21], off, off offset:208
	scratch_load_b128 v[24:27], off, off offset:224
	scratch_load_b128 v[124:127], off, off offset:240
	scratch_load_b128 v[128:131], off, off offset:256
	scratch_load_b128 v[132:135], off, off offset:272
	scratch_load_b128 v[136:139], off, off offset:288
	scratch_load_b128 v[140:143], off, off offset:304
	scratch_load_b128 v[144:147], off, off offset:320
	scratch_load_b128 v[148:151], off, off offset:336
	scratch_load_b128 v[152:155], off, off offset:352
	scratch_load_b128 v[156:159], off, off offset:368
	scratch_load_b64 v[220:221], off, off offset:136
	ds_load_b128 v[160:163], v1 offset:528
	ds_load_b128 v[164:167], v1 offset:544
	;; [unrolled: 1-line block ×15, first 2 shown]
	s_mov_b32 s0, exec_lo
	s_wait_loadcnt_dscnt 0xf0e
	v_dual_mul_f32 v1, v160, v3 :: v_dual_mul_f32 v22, v162, v5
	s_wait_loadcnt_dscnt 0xe0d
	v_dual_mul_f32 v5, v163, v5 :: v_dual_mul_f32 v222, v164, v7
	v_mul_f32_e32 v223, v166, v9
	s_wait_loadcnt_dscnt 0xd0c
	v_dual_fmac_f32 v1, v161, v2 :: v_dual_mul_f32 v224, v168, v11
	s_wait_loadcnt_dscnt 0xc0b
	v_dual_mul_f32 v225, v170, v13 :: v_dual_mul_f32 v226, v172, v15
	v_mul_f32_e32 v227, v174, v17
	v_dual_mul_f32 v3, v161, v3 :: v_dual_fmac_f32 v22, v163, v4
	s_wait_loadcnt_dscnt 0xb0a
	v_dual_mul_f32 v228, v176, v19 :: v_dual_mul_f32 v229, v178, v21
	s_wait_loadcnt_dscnt 0x201
	v_mul_f32_e32 v246, v212, v153
	v_fma_f32 v3, v160, v2, -v3
	s_wait_loadcnt_dscnt 0x100
	v_mul_f32_e32 v249, v218, v159
	v_mul_f32_e32 v2, v165, v7
	v_fma_f32 v4, v162, v4, -v5
	v_dual_mul_f32 v5, v167, v9 :: v_dual_fmac_f32 v224, v169, v10
	v_dual_add_f32 v3, 0, v3 :: v_dual_fmac_f32 v222, v165, v6
	s_delay_alu instid0(VALU_DEP_4) | instskip(NEXT) | instid1(VALU_DEP_3)
	v_fma_f32 v2, v164, v6, -v2
	v_fma_f32 v5, v166, v8, -v5
	s_delay_alu instid0(VALU_DEP_3) | instskip(SKIP_2) | instid1(VALU_DEP_3)
	v_dual_fmac_f32 v226, v173, v14 :: v_dual_add_f32 v3, v3, v4
	v_dual_mul_f32 v230, v180, v25 :: v_dual_mul_f32 v231, v182, v27
	v_dual_fmac_f32 v228, v177, v18 :: v_dual_fmac_f32 v227, v175, v16
	v_add_f32_e32 v2, v3, v2
	v_mul_f32_e32 v3, v171, v13
	v_dual_mul_f32 v232, v184, v125 :: v_dual_mul_f32 v233, v186, v127
	v_mul_f32_e32 v4, v169, v11
	s_delay_alu instid0(VALU_DEP_4) | instskip(SKIP_4) | instid1(VALU_DEP_4)
	v_add_f32_e32 v2, v2, v5
	v_add_f32_e32 v1, 0, v1
	v_fma_f32 v3, v170, v12, -v3
	v_dual_mul_f32 v236, v192, v133 :: v_dual_mul_f32 v237, v194, v135
	v_fma_f32 v4, v168, v10, -v4
	v_dual_add_f32 v1, v1, v22 :: v_dual_mul_f32 v234, v188, v129
	v_mul_f32_e32 v235, v190, v131
	s_delay_alu instid0(VALU_DEP_3) | instskip(NEXT) | instid1(VALU_DEP_3)
	v_dual_fmac_f32 v233, v187, v126 :: v_dual_add_f32 v2, v2, v4
	v_dual_add_f32 v1, v1, v222 :: v_dual_mul_f32 v4, v175, v17
	v_dual_fmac_f32 v223, v167, v8 :: v_dual_mul_f32 v238, v196, v137
	v_mul_f32_e32 v239, v198, v139
	s_delay_alu instid0(VALU_DEP_4) | instskip(NEXT) | instid1(VALU_DEP_4)
	v_add_f32_e32 v2, v2, v3
	v_fma_f32 v4, v174, v16, -v4
	v_mul_f32_e32 v5, v173, v15
	v_add_f32_e32 v1, v1, v223
	v_dual_fmac_f32 v231, v183, v26 :: v_dual_fmac_f32 v234, v189, v128
	v_dual_mul_f32 v242, v204, v145 :: v_dual_mul_f32 v243, v206, v147
	s_delay_alu instid0(VALU_DEP_4) | instskip(SKIP_3) | instid1(VALU_DEP_4)
	v_fma_f32 v5, v172, v14, -v5
	v_fmac_f32_e32 v225, v171, v12
	v_fmac_f32_e32 v230, v181, v24
	v_dual_mul_f32 v240, v200, v141 :: v_dual_mul_f32 v241, v202, v143
	v_add_f32_e32 v2, v2, v5
	v_mul_f32_e32 v5, v179, v21
	v_dual_fmac_f32 v239, v199, v138 :: v_dual_mul_f32 v244, v208, v149
	v_mul_f32_e32 v245, v210, v151
	s_delay_alu instid0(VALU_DEP_4) | instskip(NEXT) | instid1(VALU_DEP_4)
	v_add_f32_e32 v2, v2, v4
	v_fma_f32 v5, v178, v20, -v5
	v_mul_f32_e32 v3, v177, v19
	v_mul_f32_e32 v4, v181, v25
	v_dual_fmac_f32 v232, v185, v124 :: v_dual_mul_f32 v247, v214, v155
	v_mul_f32_e32 v248, v216, v157
	s_delay_alu instid0(VALU_DEP_4) | instskip(SKIP_3) | instid1(VALU_DEP_4)
	v_fma_f32 v3, v176, v18, -v3
	v_add_f32_e32 v1, v1, v224
	v_fma_f32 v4, v180, v24, -v4
	v_dual_fmac_f32 v237, v195, v134 :: v_dual_fmac_f32 v240, v201, v140
	v_add_f32_e32 v2, v2, v3
	v_mul_f32_e32 v3, v183, v27
	v_fmac_f32_e32 v245, v211, v150
	v_dual_fmac_f32 v243, v207, v146 :: v_dual_fmac_f32 v246, v213, v152
	s_delay_alu instid0(VALU_DEP_4) | instskip(SKIP_3) | instid1(VALU_DEP_3)
	v_add_f32_e32 v2, v2, v5
	v_add_f32_e32 v1, v1, v225
	v_fma_f32 v3, v182, v26, -v3
	v_dual_fmac_f32 v249, v219, v158 :: v_dual_fmac_f32 v236, v193, v132
	v_dual_add_f32 v2, v2, v4 :: v_dual_add_f32 v1, v1, v226
	v_mul_f32_e32 v4, v187, v127
	v_fmac_f32_e32 v229, v179, v20
	v_fmac_f32_e32 v238, v197, v136
	s_delay_alu instid0(VALU_DEP_4) | instskip(NEXT) | instid1(VALU_DEP_4)
	v_dual_add_f32 v2, v2, v3 :: v_dual_mul_f32 v3, v189, v129
	v_fma_f32 v4, v186, v126, -v4
	v_mul_f32_e32 v5, v185, v125
	v_fmac_f32_e32 v242, v205, v144
	v_fmac_f32_e32 v244, v209, v148
	v_fma_f32 v3, v188, v128, -v3
	v_fmac_f32_e32 v248, v217, v156
	v_fma_f32 v5, v184, v124, -v5
	s_delay_alu instid0(VALU_DEP_1) | instskip(NEXT) | instid1(VALU_DEP_1)
	v_dual_add_f32 v1, v1, v227 :: v_dual_add_f32 v2, v2, v5
	v_dual_mul_f32 v5, v191, v131 :: v_dual_add_f32 v2, v2, v4
	s_delay_alu instid0(VALU_DEP_2) | instskip(SKIP_1) | instid1(VALU_DEP_3)
	v_add_f32_e32 v1, v1, v228
	v_mul_f32_e32 v4, v193, v133
	v_fma_f32 v5, v190, v130, -v5
	s_delay_alu instid0(VALU_DEP_4) | instskip(SKIP_1) | instid1(VALU_DEP_4)
	v_dual_add_f32 v2, v2, v3 :: v_dual_fmac_f32 v235, v191, v130
	v_mul_f32_e32 v3, v195, v135
	v_fma_f32 v4, v192, v132, -v4
	s_delay_alu instid0(VALU_DEP_3) | instskip(SKIP_1) | instid1(VALU_DEP_4)
	v_add_f32_e32 v2, v2, v5
	v_add_f32_e32 v1, v1, v229
	v_fma_f32 v3, v194, v134, -v3
	s_delay_alu instid0(VALU_DEP_3) | instskip(NEXT) | instid1(VALU_DEP_3)
	v_dual_add_f32 v2, v2, v4 :: v_dual_mul_f32 v5, v197, v137
	v_dual_add_f32 v1, v1, v230 :: v_dual_mul_f32 v4, v199, v139
	s_delay_alu instid0(VALU_DEP_2) | instskip(NEXT) | instid1(VALU_DEP_3)
	v_add_f32_e32 v2, v2, v3
	v_fma_f32 v5, v196, v136, -v5
	s_delay_alu instid0(VALU_DEP_3) | instskip(SKIP_2) | instid1(VALU_DEP_4)
	v_add_f32_e32 v1, v1, v231
	v_mul_f32_e32 v3, v201, v141
	v_fma_f32 v4, v198, v138, -v4
	v_dual_add_f32 v2, v2, v5 :: v_dual_mul_f32 v5, v203, v143
	s_delay_alu instid0(VALU_DEP_3) | instskip(NEXT) | instid1(VALU_DEP_2)
	v_fma_f32 v3, v200, v140, -v3
	v_add_f32_e32 v2, v2, v4
	v_add_f32_e32 v1, v1, v232
	v_mul_f32_e32 v4, v205, v145
	v_fma_f32 v5, v202, v142, -v5
	s_delay_alu instid0(VALU_DEP_4) | instskip(SKIP_1) | instid1(VALU_DEP_4)
	v_dual_add_f32 v2, v2, v3 :: v_dual_fmac_f32 v241, v203, v142
	v_mul_f32_e32 v3, v207, v147
	v_fma_f32 v4, v204, v144, -v4
	s_delay_alu instid0(VALU_DEP_3) | instskip(SKIP_1) | instid1(VALU_DEP_4)
	v_add_f32_e32 v2, v2, v5
	v_add_f32_e32 v1, v1, v233
	v_fma_f32 v3, v206, v146, -v3
	s_delay_alu instid0(VALU_DEP_3) | instskip(NEXT) | instid1(VALU_DEP_3)
	v_dual_add_f32 v2, v2, v4 :: v_dual_mul_f32 v5, v209, v149
	v_dual_add_f32 v1, v1, v234 :: v_dual_mul_f32 v4, v211, v151
	s_delay_alu instid0(VALU_DEP_2) | instskip(NEXT) | instid1(VALU_DEP_3)
	v_add_f32_e32 v2, v2, v3
	v_fma_f32 v5, v208, v148, -v5
	s_delay_alu instid0(VALU_DEP_3) | instskip(SKIP_2) | instid1(VALU_DEP_4)
	v_add_f32_e32 v1, v1, v235
	v_mul_f32_e32 v3, v213, v153
	v_fma_f32 v4, v210, v150, -v4
	v_dual_add_f32 v2, v2, v5 :: v_dual_mul_f32 v5, v215, v155
	s_delay_alu instid0(VALU_DEP_3) | instskip(NEXT) | instid1(VALU_DEP_2)
	v_fma_f32 v3, v212, v152, -v3
	v_add_f32_e32 v2, v2, v4
	v_add_f32_e32 v1, v1, v236
	v_mul_f32_e32 v4, v217, v157
	v_fma_f32 v5, v214, v154, -v5
	s_delay_alu instid0(VALU_DEP_4) | instskip(SKIP_1) | instid1(VALU_DEP_4)
	v_dual_add_f32 v2, v2, v3 :: v_dual_fmac_f32 v247, v215, v154
	v_mul_f32_e32 v3, v219, v159
	v_fma_f32 v4, v216, v156, -v4
	s_delay_alu instid0(VALU_DEP_3) | instskip(SKIP_1) | instid1(VALU_DEP_4)
	v_add_f32_e32 v2, v2, v5
	v_add_f32_e32 v1, v1, v237
	v_fma_f32 v3, v218, v158, -v3
	s_delay_alu instid0(VALU_DEP_2) | instskip(NEXT) | instid1(VALU_DEP_1)
	v_dual_add_f32 v2, v2, v4 :: v_dual_add_f32 v1, v1, v238
	v_add_f32_e32 v2, v2, v3
	s_delay_alu instid0(VALU_DEP_2) | instskip(NEXT) | instid1(VALU_DEP_1)
	v_add_f32_e32 v1, v1, v239
	v_add_f32_e32 v1, v1, v240
	s_delay_alu instid0(VALU_DEP_1) | instskip(NEXT) | instid1(VALU_DEP_1)
	v_add_f32_e32 v1, v1, v241
	v_add_f32_e32 v1, v1, v242
	s_delay_alu instid0(VALU_DEP_1) | instskip(NEXT) | instid1(VALU_DEP_1)
	;; [unrolled: 3-line block ×4, first 2 shown]
	v_add_f32_e32 v1, v1, v247
	v_add_f32_e32 v1, v1, v248
	s_delay_alu instid0(VALU_DEP_1) | instskip(SKIP_1) | instid1(VALU_DEP_1)
	v_add_f32_e32 v3, v1, v249
	s_wait_loadcnt 0x0
	v_dual_sub_f32 v1, v220, v2 :: v_dual_sub_f32 v2, v221, v3
	scratch_store_b64 off, v[1:2], off offset:136
	v_cmpx_lt_u32_e32 16, v0
	s_cbranch_execz .LBB111_269
; %bb.268:
	scratch_load_b64 v[1:2], off, off offset:128
	v_mov_b32_e32 v3, 0
	s_delay_alu instid0(VALU_DEP_1)
	v_mov_b32_e32 v4, v3
	scratch_store_b64 off, v[3:4], off offset:128
	s_wait_loadcnt 0x0
	ds_store_b64 v23, v[1:2]
.LBB111_269:
	s_wait_alu 0xfffe
	s_or_b32 exec_lo, exec_lo, s0
	s_wait_storecnt_dscnt 0x0
	s_barrier_signal -1
	s_barrier_wait -1
	global_inv scope:SCOPE_SE
	s_clause 0x4
	scratch_load_b128 v[5:8], off, off offset:136
	scratch_load_b128 v[1:4], off, off offset:152
	;; [unrolled: 1-line block ×5, first 2 shown]
	v_mov_b32_e32 v21, 0
	ds_load_2addr_b64 v[24:27], v21 offset0:65 offset1:66
	ds_load_2addr_b64 v[124:127], v21 offset0:67 offset1:68
	;; [unrolled: 1-line block ×3, first 2 shown]
	scratch_load_b64 v[132:133], off, off offset:128
	s_mov_b32 s0, exec_lo
	s_wait_loadcnt_dscnt 0x502
	v_mul_f32_e32 v22, v25, v6
	v_dual_mul_f32 v134, v24, v6 :: v_dual_mul_f32 v135, v26, v8
	v_mul_f32_e32 v6, v27, v8
	s_delay_alu instid0(VALU_DEP_3) | instskip(NEXT) | instid1(VALU_DEP_3)
	v_fma_f32 v22, v24, v5, -v22
	v_dual_fmac_f32 v134, v25, v5 :: v_dual_fmac_f32 v135, v27, v7
	s_wait_loadcnt_dscnt 0x401
	v_mul_f32_e32 v25, v124, v2
	v_fma_f32 v24, v26, v7, -v6
	ds_load_2addr_b64 v[5:8], v21 offset0:71 offset1:72
	s_wait_loadcnt_dscnt 0x301
	v_dual_mul_f32 v26, v126, v4 :: v_dual_mul_f32 v27, v128, v10
	v_dual_mul_f32 v4, v127, v4 :: v_dual_fmac_f32 v25, v125, v1
	v_mul_f32_e32 v10, v129, v10
	s_delay_alu instid0(VALU_DEP_3)
	v_dual_mul_f32 v136, v130, v12 :: v_dual_fmac_f32 v27, v129, v9
	v_mul_f32_e32 v12, v131, v12
	v_mul_f32_e32 v2, v125, v2
	v_fmac_f32_e32 v26, v127, v3
	v_fma_f32 v125, v126, v3, -v4
	v_fma_f32 v126, v128, v9, -v10
	v_fmac_f32_e32 v136, v131, v11
	v_fma_f32 v127, v130, v11, -v12
	ds_load_2addr_b64 v[9:12], v21 offset0:73 offset1:74
	s_wait_loadcnt_dscnt 0x201
	v_mul_f32_e32 v129, v7, v16
	v_fma_f32 v124, v124, v1, -v2
	scratch_load_b128 v[1:4], off, off offset:216
	v_mul_f32_e32 v128, v5, v14
	v_mul_f32_e32 v14, v6, v14
	;; [unrolled: 1-line block ×3, first 2 shown]
	s_delay_alu instid0(VALU_DEP_3) | instskip(NEXT) | instid1(VALU_DEP_3)
	v_dual_fmac_f32 v129, v8, v15 :: v_dual_fmac_f32 v128, v6, v13
	v_fma_f32 v13, v5, v13, -v14
	s_delay_alu instid0(VALU_DEP_3)
	v_fma_f32 v14, v7, v15, -v16
	ds_load_2addr_b64 v[5:8], v21 offset0:75 offset1:76
	s_wait_loadcnt_dscnt 0x201
	v_mul_f32_e32 v15, v9, v18
	v_mul_f32_e32 v16, v10, v18
	;; [unrolled: 1-line block ×3, first 2 shown]
	s_delay_alu instid0(VALU_DEP_3) | instskip(NEXT) | instid1(VALU_DEP_3)
	v_dual_mul_f32 v20, v12, v20 :: v_dual_fmac_f32 v15, v10, v17
	v_fma_f32 v16, v9, v17, -v16
	s_delay_alu instid0(VALU_DEP_3) | instskip(NEXT) | instid1(VALU_DEP_3)
	v_fmac_f32_e32 v18, v12, v19
	v_fma_f32 v17, v11, v19, -v20
	scratch_load_b128 v[9:12], off, off offset:232
	s_wait_loadcnt_dscnt 0x100
	v_mul_f32_e32 v19, v5, v2
	v_mul_f32_e32 v2, v6, v2
	;; [unrolled: 1-line block ×3, first 2 shown]
	s_delay_alu instid0(VALU_DEP_3) | instskip(NEXT) | instid1(VALU_DEP_3)
	v_dual_mul_f32 v4, v8, v4 :: v_dual_fmac_f32 v19, v6, v1
	v_fma_f32 v130, v5, v1, -v2
	s_delay_alu instid0(VALU_DEP_3) | instskip(NEXT) | instid1(VALU_DEP_3)
	v_fmac_f32_e32 v20, v8, v3
	v_fma_f32 v131, v7, v3, -v4
	ds_load_2addr_b64 v[1:4], v21 offset0:77 offset1:78
	ds_load_2addr_b64 v[5:8], v21 offset0:79 offset1:80
	s_wait_loadcnt_dscnt 0x1
	v_mul_f32_e32 v137, v1, v10
	v_mul_f32_e32 v10, v2, v10
	s_delay_alu instid0(VALU_DEP_2) | instskip(NEXT) | instid1(VALU_DEP_2)
	v_dual_mul_f32 v138, v3, v12 :: v_dual_fmac_f32 v137, v2, v9
	v_fma_f32 v139, v1, v9, -v10
	v_mul_f32_e32 v1, v4, v12
	s_delay_alu instid0(VALU_DEP_3) | instskip(NEXT) | instid1(VALU_DEP_2)
	v_fmac_f32_e32 v138, v4, v11
	v_fma_f32 v140, v3, v11, -v1
	s_clause 0x1
	scratch_load_b128 v[1:4], off, off offset:248
	scratch_load_b128 v[9:12], off, off offset:264
	s_wait_loadcnt_dscnt 0x100
	v_mul_f32_e32 v141, v5, v2
	v_dual_mul_f32 v2, v6, v2 :: v_dual_mul_f32 v143, v7, v4
	s_delay_alu instid0(VALU_DEP_2) | instskip(NEXT) | instid1(VALU_DEP_2)
	v_fmac_f32_e32 v141, v6, v1
	v_fma_f32 v142, v5, v1, -v2
	v_mul_f32_e32 v1, v8, v4
	s_delay_alu instid0(VALU_DEP_4) | instskip(NEXT) | instid1(VALU_DEP_2)
	v_fmac_f32_e32 v143, v8, v3
	v_fma_f32 v144, v7, v3, -v1
	ds_load_2addr_b64 v[1:4], v21 offset0:81 offset1:82
	ds_load_2addr_b64 v[5:8], v21 offset0:83 offset1:84
	s_wait_loadcnt_dscnt 0x1
	v_mul_f32_e32 v145, v1, v10
	v_mul_f32_e32 v147, v3, v12
	s_delay_alu instid0(VALU_DEP_2) | instskip(NEXT) | instid1(VALU_DEP_2)
	v_fmac_f32_e32 v145, v2, v9
	v_dual_mul_f32 v2, v2, v10 :: v_dual_fmac_f32 v147, v4, v11
	s_delay_alu instid0(VALU_DEP_1) | instskip(SKIP_1) | instid1(VALU_DEP_1)
	v_fma_f32 v146, v1, v9, -v2
	v_mul_f32_e32 v1, v4, v12
	v_fma_f32 v148, v3, v11, -v1
	s_clause 0x1
	scratch_load_b128 v[1:4], off, off offset:280
	scratch_load_b128 v[9:12], off, off offset:296
	s_wait_loadcnt_dscnt 0x100
	v_mul_f32_e32 v149, v5, v2
	v_dual_mul_f32 v151, v7, v4 :: v_dual_mul_f32 v2, v6, v2
	s_delay_alu instid0(VALU_DEP_2) | instskip(NEXT) | instid1(VALU_DEP_2)
	v_fmac_f32_e32 v149, v6, v1
	v_fmac_f32_e32 v151, v8, v3
	s_delay_alu instid0(VALU_DEP_3) | instskip(SKIP_1) | instid1(VALU_DEP_1)
	v_fma_f32 v150, v5, v1, -v2
	v_dual_mul_f32 v1, v8, v4 :: v_dual_add_f32 v2, 0, v134
	v_fma_f32 v152, v7, v3, -v1
	s_delay_alu instid0(VALU_DEP_2) | instskip(NEXT) | instid1(VALU_DEP_1)
	v_dual_add_f32 v1, 0, v22 :: v_dual_add_f32 v2, v2, v135
	v_dual_add_f32 v1, v1, v24 :: v_dual_add_f32 v2, v2, v25
	s_delay_alu instid0(VALU_DEP_1) | instskip(NEXT) | instid1(VALU_DEP_1)
	v_dual_add_f32 v1, v1, v124 :: v_dual_add_f32 v2, v2, v26
	v_dual_add_f32 v1, v1, v125 :: v_dual_add_f32 v2, v2, v27
	scratch_load_b64 v[124:125], off, off offset:376
	v_add_f32_e32 v1, v1, v126
	s_delay_alu instid0(VALU_DEP_1) | instskip(NEXT) | instid1(VALU_DEP_1)
	v_add_f32_e32 v1, v1, v127
	v_dual_add_f32 v5, v2, v136 :: v_dual_add_f32 v6, v1, v13
	scratch_load_b128 v[1:4], off, off offset:312
	v_dual_add_f32 v13, v5, v128 :: v_dual_add_f32 v14, v6, v14
	ds_load_2addr_b64 v[5:8], v21 offset0:85 offset1:86
	v_dual_add_f32 v13, v13, v129 :: v_dual_add_f32 v14, v14, v16
	s_delay_alu instid0(VALU_DEP_1) | instskip(NEXT) | instid1(VALU_DEP_1)
	v_add_f32_e32 v13, v13, v15
	v_dual_add_f32 v17, v14, v17 :: v_dual_add_f32 v18, v13, v18
	ds_load_2addr_b64 v[13:16], v21 offset0:87 offset1:88
	v_dual_add_f32 v17, v17, v130 :: v_dual_add_f32 v18, v18, v19
	s_wait_loadcnt_dscnt 0x201
	v_mul_f32_e32 v22, v5, v10
	v_mul_f32_e32 v10, v6, v10
	v_mul_f32_e32 v128, v7, v12
	v_dual_mul_f32 v12, v8, v12 :: v_dual_add_f32 v17, v17, v131
	s_delay_alu instid0(VALU_DEP_4) | instskip(NEXT) | instid1(VALU_DEP_4)
	v_fmac_f32_e32 v22, v6, v9
	v_fma_f32 v129, v5, v9, -v10
	v_add_f32_e32 v18, v18, v20
	s_delay_alu instid0(VALU_DEP_4)
	v_fma_f32 v130, v7, v11, -v12
	v_add_f32_e32 v17, v17, v139
	v_fmac_f32_e32 v128, v8, v11
	s_clause 0x1
	scratch_load_b128 v[5:8], off, off offset:328
	scratch_load_b128 v[9:12], off, off offset:344
	v_dual_add_f32 v25, v17, v140 :: v_dual_add_f32 v24, v18, v137
	scratch_load_b128 v[17:20], off, off offset:360
	v_add_f32_e32 v25, v25, v142
	s_delay_alu instid0(VALU_DEP_1) | instskip(NEXT) | instid1(VALU_DEP_1)
	v_dual_add_f32 v24, v24, v138 :: v_dual_add_f32 v25, v25, v144
	v_dual_add_f32 v24, v24, v141 :: v_dual_add_f32 v25, v25, v146
	s_wait_loadcnt_dscnt 0x300
	s_delay_alu instid0(VALU_DEP_1) | instskip(SKIP_1) | instid1(VALU_DEP_2)
	v_dual_mul_f32 v131, v13, v2 :: v_dual_add_f32 v24, v24, v143
	v_mul_f32_e32 v2, v14, v2
	v_dual_fmac_f32 v131, v14, v1 :: v_dual_add_f32 v14, v25, v148
	s_delay_alu instid0(VALU_DEP_2) | instskip(NEXT) | instid1(VALU_DEP_2)
	v_fma_f32 v135, v13, v1, -v2
	v_dual_add_f32 v13, v24, v145 :: v_dual_add_f32 v126, v14, v150
	s_delay_alu instid0(VALU_DEP_1) | instskip(SKIP_1) | instid1(VALU_DEP_3)
	v_add_f32_e32 v24, v13, v147
	v_mul_f32_e32 v134, v15, v4
	v_add_f32_e32 v137, v126, v152
	v_mul_f32_e32 v4, v16, v4
	s_delay_alu instid0(VALU_DEP_4) | instskip(NEXT) | instid1(VALU_DEP_4)
	v_add_f32_e32 v127, v24, v149
	v_fmac_f32_e32 v134, v16, v3
	ds_load_2addr_b64 v[24:27], v21 offset0:93 offset1:94
	v_add_f32_e32 v129, v137, v129
	v_fma_f32 v136, v15, v3, -v4
	ds_load_2addr_b64 v[1:4], v21 offset0:89 offset1:90
	ds_load_2addr_b64 v[13:16], v21 offset0:91 offset1:92
	v_dual_add_f32 v138, v127, v151 :: v_dual_add_f32 v129, v129, v130
	ds_load_b64 v[126:127], v21 offset:760
	v_add_f32_e32 v129, v129, v135
	s_delay_alu instid0(VALU_DEP_1)
	v_add_f32_e32 v129, v129, v136
	s_wait_loadcnt_dscnt 0x3
	v_mul_f32_e32 v135, v24, v18
	s_wait_dscnt 0x2
	v_mul_f32_e32 v137, v1, v6
	v_add_f32_e32 v22, v138, v22
	v_mul_f32_e32 v6, v2, v6
	s_wait_dscnt 0x1
	v_mul_f32_e32 v130, v13, v10
	v_fmac_f32_e32 v135, v25, v17
	v_fmac_f32_e32 v137, v2, v5
	v_add_f32_e32 v22, v22, v128
	v_mul_f32_e32 v128, v3, v8
	v_mul_f32_e32 v8, v4, v8
	v_fma_f32 v1, v1, v5, -v6
	v_mul_f32_e32 v5, v16, v12
	s_delay_alu instid0(VALU_DEP_4) | instskip(NEXT) | instid1(VALU_DEP_4)
	v_fmac_f32_e32 v128, v4, v7
	v_fma_f32 v2, v3, v7, -v8
	v_mul_f32_e32 v3, v14, v10
	v_dual_add_f32 v1, v129, v1 :: v_dual_add_f32 v22, v22, v131
	v_fma_f32 v5, v15, v11, -v5
	v_mul_f32_e32 v131, v15, v12
	s_delay_alu instid0(VALU_DEP_4) | instskip(NEXT) | instid1(VALU_DEP_4)
	v_fma_f32 v3, v13, v9, -v3
	v_add_f32_e32 v1, v1, v2
	v_add_f32_e32 v22, v22, v134
	s_wait_dscnt 0x0
	v_mul_f32_e32 v134, v126, v125
	v_dual_mul_f32 v136, v26, v20 :: v_dual_fmac_f32 v131, v16, v11
	v_add_f32_e32 v1, v1, v3
	v_mul_f32_e32 v3, v27, v20
	s_delay_alu instid0(VALU_DEP_4) | instskip(NEXT) | instid1(VALU_DEP_3)
	v_fmac_f32_e32 v134, v127, v124
	v_dual_fmac_f32 v136, v27, v19 :: v_dual_add_f32 v1, v1, v5
	s_delay_alu instid0(VALU_DEP_3) | instskip(SKIP_1) | instid1(VALU_DEP_1)
	v_fma_f32 v3, v26, v19, -v3
	v_add_f32_e32 v4, v22, v137
	v_dual_mul_f32 v5, v127, v125 :: v_dual_add_f32 v2, v4, v128
	v_mul_f32_e32 v4, v25, v18
	s_delay_alu instid0(VALU_DEP_1) | instskip(NEXT) | instid1(VALU_DEP_1)
	v_fma_f32 v4, v24, v17, -v4
	v_dual_fmac_f32 v130, v14, v9 :: v_dual_add_f32 v1, v1, v4
	s_delay_alu instid0(VALU_DEP_4) | instskip(NEXT) | instid1(VALU_DEP_2)
	v_fma_f32 v4, v126, v124, -v5
	v_dual_add_f32 v1, v1, v3 :: v_dual_add_f32 v2, v2, v130
	s_delay_alu instid0(VALU_DEP_1) | instskip(NEXT) | instid1(VALU_DEP_1)
	v_dual_add_f32 v1, v1, v4 :: v_dual_add_f32 v2, v2, v131
	v_dual_sub_f32 v1, v132, v1 :: v_dual_add_f32 v2, v2, v135
	s_delay_alu instid0(VALU_DEP_1) | instskip(NEXT) | instid1(VALU_DEP_1)
	v_add_f32_e32 v2, v2, v136
	v_add_f32_e32 v2, v2, v134
	s_delay_alu instid0(VALU_DEP_1)
	v_sub_f32_e32 v2, v133, v2
	scratch_store_b64 off, v[1:2], off offset:128
	v_cmpx_lt_u32_e32 15, v0
	s_cbranch_execz .LBB111_271
; %bb.270:
	scratch_load_b64 v[1:2], off, off offset:120
	v_mov_b32_e32 v22, v21
	scratch_store_b64 off, v[21:22], off offset:120
	s_wait_loadcnt 0x0
	ds_store_b64 v23, v[1:2]
.LBB111_271:
	s_wait_alu 0xfffe
	s_or_b32 exec_lo, exec_lo, s0
	s_wait_storecnt_dscnt 0x0
	s_barrier_signal -1
	s_barrier_wait -1
	global_inv scope:SCOPE_SE
	s_clause 0x4
	scratch_load_b128 v[5:8], off, off offset:128
	scratch_load_b128 v[1:4], off, off offset:144
	;; [unrolled: 1-line block ×5, first 2 shown]
	ds_load_b128 v[24:27], v21 offset:512
	ds_load_b128 v[124:127], v21 offset:528
	;; [unrolled: 1-line block ×3, first 2 shown]
	scratch_load_b64 v[132:133], off, off offset:120
	s_mov_b32 s0, exec_lo
	s_wait_loadcnt_dscnt 0x502
	v_dual_mul_f32 v22, v25, v6 :: v_dual_mul_f32 v135, v26, v8
	v_mul_f32_e32 v134, v24, v6
	v_mul_f32_e32 v6, v27, v8
	s_wait_loadcnt_dscnt 0x300
	v_mul_f32_e32 v136, v130, v12
	v_fma_f32 v22, v24, v5, -v22
	v_dual_fmac_f32 v135, v27, v7 :: v_dual_fmac_f32 v134, v25, v5
	v_mul_f32_e32 v27, v128, v10
	v_mul_f32_e32 v25, v124, v2
	v_fma_f32 v24, v26, v7, -v6
	ds_load_b128 v[5:8], v21 offset:560
	v_mul_f32_e32 v26, v126, v4
	v_dual_mul_f32 v4, v127, v4 :: v_dual_fmac_f32 v27, v129, v9
	v_mul_f32_e32 v10, v129, v10
	v_mul_f32_e32 v12, v131, v12
	;; [unrolled: 1-line block ×3, first 2 shown]
	v_dual_fmac_f32 v25, v125, v1 :: v_dual_fmac_f32 v26, v127, v3
	v_fma_f32 v125, v126, v3, -v4
	v_fma_f32 v126, v128, v9, -v10
	v_fmac_f32_e32 v136, v131, v11
	v_fma_f32 v127, v130, v11, -v12
	ds_load_b128 v[9:12], v21 offset:576
	s_wait_loadcnt_dscnt 0x201
	v_mul_f32_e32 v129, v7, v16
	v_fma_f32 v124, v124, v1, -v2
	scratch_load_b128 v[1:4], off, off offset:208
	v_mul_f32_e32 v128, v5, v14
	v_mul_f32_e32 v14, v6, v14
	;; [unrolled: 1-line block ×3, first 2 shown]
	s_delay_alu instid0(VALU_DEP_3) | instskip(NEXT) | instid1(VALU_DEP_3)
	v_dual_fmac_f32 v129, v8, v15 :: v_dual_fmac_f32 v128, v6, v13
	v_fma_f32 v13, v5, v13, -v14
	s_delay_alu instid0(VALU_DEP_3)
	v_fma_f32 v14, v7, v15, -v16
	ds_load_b128 v[5:8], v21 offset:592
	s_wait_loadcnt_dscnt 0x201
	v_mul_f32_e32 v15, v9, v18
	v_mul_f32_e32 v16, v10, v18
	;; [unrolled: 1-line block ×3, first 2 shown]
	s_delay_alu instid0(VALU_DEP_3) | instskip(NEXT) | instid1(VALU_DEP_3)
	v_dual_mul_f32 v20, v12, v20 :: v_dual_fmac_f32 v15, v10, v17
	v_fma_f32 v16, v9, v17, -v16
	s_delay_alu instid0(VALU_DEP_3) | instskip(NEXT) | instid1(VALU_DEP_3)
	v_fmac_f32_e32 v18, v12, v19
	v_fma_f32 v17, v11, v19, -v20
	scratch_load_b128 v[9:12], off, off offset:224
	s_wait_loadcnt_dscnt 0x100
	v_mul_f32_e32 v19, v5, v2
	v_mul_f32_e32 v2, v6, v2
	;; [unrolled: 1-line block ×3, first 2 shown]
	s_delay_alu instid0(VALU_DEP_3) | instskip(NEXT) | instid1(VALU_DEP_3)
	v_dual_mul_f32 v4, v8, v4 :: v_dual_fmac_f32 v19, v6, v1
	v_fma_f32 v130, v5, v1, -v2
	s_delay_alu instid0(VALU_DEP_3) | instskip(NEXT) | instid1(VALU_DEP_3)
	v_fmac_f32_e32 v20, v8, v3
	v_fma_f32 v131, v7, v3, -v4
	ds_load_b128 v[1:4], v21 offset:608
	ds_load_b128 v[5:8], v21 offset:624
	s_wait_loadcnt_dscnt 0x1
	v_mul_f32_e32 v137, v1, v10
	v_mul_f32_e32 v10, v2, v10
	s_delay_alu instid0(VALU_DEP_2) | instskip(NEXT) | instid1(VALU_DEP_2)
	v_dual_mul_f32 v138, v3, v12 :: v_dual_fmac_f32 v137, v2, v9
	v_fma_f32 v139, v1, v9, -v10
	v_mul_f32_e32 v1, v4, v12
	s_delay_alu instid0(VALU_DEP_3) | instskip(NEXT) | instid1(VALU_DEP_2)
	v_fmac_f32_e32 v138, v4, v11
	v_fma_f32 v140, v3, v11, -v1
	s_clause 0x1
	scratch_load_b128 v[1:4], off, off offset:240
	scratch_load_b128 v[9:12], off, off offset:256
	s_wait_loadcnt_dscnt 0x100
	v_mul_f32_e32 v141, v5, v2
	v_dual_mul_f32 v2, v6, v2 :: v_dual_mul_f32 v143, v7, v4
	s_delay_alu instid0(VALU_DEP_2) | instskip(NEXT) | instid1(VALU_DEP_2)
	v_fmac_f32_e32 v141, v6, v1
	v_fma_f32 v142, v5, v1, -v2
	v_mul_f32_e32 v1, v8, v4
	s_delay_alu instid0(VALU_DEP_4) | instskip(NEXT) | instid1(VALU_DEP_2)
	v_fmac_f32_e32 v143, v8, v3
	v_fma_f32 v144, v7, v3, -v1
	ds_load_b128 v[1:4], v21 offset:640
	ds_load_b128 v[5:8], v21 offset:656
	s_wait_loadcnt_dscnt 0x1
	v_mul_f32_e32 v145, v1, v10
	v_mul_f32_e32 v147, v3, v12
	s_delay_alu instid0(VALU_DEP_2) | instskip(NEXT) | instid1(VALU_DEP_2)
	v_fmac_f32_e32 v145, v2, v9
	v_dual_mul_f32 v2, v2, v10 :: v_dual_fmac_f32 v147, v4, v11
	s_delay_alu instid0(VALU_DEP_1) | instskip(SKIP_1) | instid1(VALU_DEP_1)
	v_fma_f32 v146, v1, v9, -v2
	v_mul_f32_e32 v1, v4, v12
	v_fma_f32 v148, v3, v11, -v1
	s_clause 0x1
	scratch_load_b128 v[1:4], off, off offset:272
	scratch_load_b128 v[9:12], off, off offset:288
	s_wait_loadcnt_dscnt 0x100
	v_mul_f32_e32 v149, v5, v2
	v_dual_mul_f32 v2, v6, v2 :: v_dual_mul_f32 v151, v7, v4
	s_delay_alu instid0(VALU_DEP_2) | instskip(NEXT) | instid1(VALU_DEP_2)
	v_fmac_f32_e32 v149, v6, v1
	v_fma_f32 v150, v5, v1, -v2
	v_mul_f32_e32 v1, v8, v4
	s_delay_alu instid0(VALU_DEP_4) | instskip(NEXT) | instid1(VALU_DEP_2)
	v_fmac_f32_e32 v151, v8, v3
	v_fma_f32 v152, v7, v3, -v1
	ds_load_b128 v[1:4], v21 offset:672
	ds_load_b128 v[5:8], v21 offset:688
	s_wait_loadcnt_dscnt 0x1
	v_mul_f32_e32 v153, v1, v10
	v_mul_f32_e32 v155, v3, v12
	s_delay_alu instid0(VALU_DEP_2) | instskip(NEXT) | instid1(VALU_DEP_2)
	v_fmac_f32_e32 v153, v2, v9
	v_dual_mul_f32 v2, v2, v10 :: v_dual_fmac_f32 v155, v4, v11
	s_delay_alu instid0(VALU_DEP_1) | instskip(SKIP_1) | instid1(VALU_DEP_1)
	v_fma_f32 v154, v1, v9, -v2
	v_mul_f32_e32 v1, v4, v12
	v_fma_f32 v156, v3, v11, -v1
	s_clause 0x1
	scratch_load_b128 v[1:4], off, off offset:304
	scratch_load_b128 v[9:12], off, off offset:320
	s_wait_loadcnt_dscnt 0x100
	v_mul_f32_e32 v157, v5, v2
	v_mul_f32_e32 v2, v6, v2
	s_delay_alu instid0(VALU_DEP_1) | instskip(SKIP_1) | instid1(VALU_DEP_1)
	v_fma_f32 v158, v5, v1, -v2
	v_add_f32_e32 v2, 0, v134
	v_add_f32_e32 v2, v2, v135
	s_delay_alu instid0(VALU_DEP_1) | instskip(NEXT) | instid1(VALU_DEP_1)
	v_dual_add_f32 v2, v2, v25 :: v_dual_mul_f32 v159, v7, v4
	v_add_f32_e32 v2, v2, v26
	s_delay_alu instid0(VALU_DEP_1) | instskip(NEXT) | instid1(VALU_DEP_1)
	v_add_f32_e32 v2, v2, v27
	v_dual_fmac_f32 v159, v8, v3 :: v_dual_add_f32 v2, v2, v136
	s_delay_alu instid0(VALU_DEP_1) | instskip(NEXT) | instid1(VALU_DEP_1)
	v_add_f32_e32 v2, v2, v128
	v_add_f32_e32 v2, v2, v129
	s_delay_alu instid0(VALU_DEP_1) | instskip(NEXT) | instid1(VALU_DEP_1)
	v_add_f32_e32 v5, v2, v15
	v_add_f32_e32 v5, v5, v18
	s_delay_alu instid0(VALU_DEP_1) | instskip(SKIP_2) | instid1(VALU_DEP_1)
	v_add_f32_e32 v5, v5, v19
	v_fmac_f32_e32 v157, v6, v1
	v_mul_f32_e32 v1, v8, v4
	v_fma_f32 v160, v7, v3, -v1
	v_add_f32_e32 v1, 0, v22
	s_delay_alu instid0(VALU_DEP_1) | instskip(NEXT) | instid1(VALU_DEP_1)
	v_add_f32_e32 v1, v1, v24
	v_add_f32_e32 v1, v1, v124
	s_delay_alu instid0(VALU_DEP_1) | instskip(NEXT) | instid1(VALU_DEP_1)
	v_add_f32_e32 v1, v1, v125
	;; [unrolled: 3-line block ×4, first 2 shown]
	v_add_f32_e32 v1, v1, v16
	s_delay_alu instid0(VALU_DEP_1) | instskip(SKIP_2) | instid1(VALU_DEP_1)
	v_add_f32_e32 v6, v1, v17
	ds_load_b128 v[1:4], v21 offset:704
	v_add_f32_e32 v6, v6, v130
	v_add_f32_e32 v13, v6, v131
	s_delay_alu instid0(VALU_DEP_1) | instskip(NEXT) | instid1(VALU_DEP_1)
	v_add_f32_e32 v13, v13, v139
	v_add_f32_e32 v13, v13, v140
	s_delay_alu instid0(VALU_DEP_1) | instskip(NEXT) | instid1(VALU_DEP_1)
	v_add_f32_e32 v13, v13, v142
	v_add_f32_e32 v18, v13, v144
	s_delay_alu instid0(VALU_DEP_1)
	v_add_f32_e32 v18, v18, v146
	v_add_f32_e32 v14, v5, v20
	ds_load_b128 v[5:8], v21 offset:720
	s_wait_loadcnt_dscnt 0x1
	v_mul_f32_e32 v22, v1, v10
	v_mul_f32_e32 v124, v3, v12
	;; [unrolled: 1-line block ×4, first 2 shown]
	v_add_f32_e32 v14, v14, v137
	v_fmac_f32_e32 v22, v2, v9
	v_fmac_f32_e32 v124, v4, v11
	v_fma_f32 v125, v1, v9, -v10
	v_fma_f32 v126, v3, v11, -v12
	s_clause 0x1
	scratch_load_b128 v[1:4], off, off offset:336
	scratch_load_b128 v[9:12], off, off offset:352
	v_add_f32_e32 v14, v14, v138
	v_add_f32_e32 v18, v18, v148
	s_delay_alu instid0(VALU_DEP_2) | instskip(SKIP_2) | instid1(VALU_DEP_1)
	v_add_f32_e32 v17, v14, v141
	scratch_load_b128 v[13:16], off, off offset:368
	v_dual_add_f32 v24, v18, v150 :: v_dual_add_f32 v17, v17, v143
	v_add_f32_e32 v127, v24, v152
	s_delay_alu instid0(VALU_DEP_2) | instskip(NEXT) | instid1(VALU_DEP_1)
	v_add_f32_e32 v17, v17, v145
	v_add_f32_e32 v17, v17, v147
	s_delay_alu instid0(VALU_DEP_1)
	v_add_f32_e32 v25, v17, v149
	ds_load_b128 v[17:20], v21 offset:736
	v_add_f32_e32 v128, v25, v151
	ds_load_b128 v[24:27], v21 offset:752
	v_add_f32_e32 v21, v127, v154
	s_wait_loadcnt_dscnt 0x202
	v_dual_add_f32 v127, v128, v153 :: v_dual_mul_f32 v128, v5, v2
	s_wait_loadcnt_dscnt 0x101
	v_mul_f32_e32 v130, v17, v10
	v_dual_add_f32 v21, v21, v156 :: v_dual_mul_f32 v2, v6, v2
	s_delay_alu instid0(VALU_DEP_3) | instskip(NEXT) | instid1(VALU_DEP_2)
	v_dual_fmac_f32 v128, v6, v1 :: v_dual_add_f32 v127, v127, v155
	v_dual_fmac_f32 v130, v18, v9 :: v_dual_add_f32 v21, v21, v158
	s_wait_loadcnt_dscnt 0x0
	v_dual_mul_f32 v134, v24, v14 :: v_dual_mul_f32 v129, v7, v4
	s_delay_alu instid0(VALU_DEP_3) | instskip(SKIP_1) | instid1(VALU_DEP_3)
	v_dual_add_f32 v127, v127, v157 :: v_dual_mul_f32 v4, v8, v4
	v_fma_f32 v2, v5, v1, -v2
	v_dual_fmac_f32 v134, v25, v13 :: v_dual_fmac_f32 v129, v8, v3
	s_delay_alu instid0(VALU_DEP_3) | instskip(NEXT) | instid1(VALU_DEP_4)
	v_add_f32_e32 v127, v127, v159
	v_fma_f32 v3, v7, v3, -v4
	v_mul_f32_e32 v4, v20, v12
	v_dual_add_f32 v21, v21, v160 :: v_dual_mul_f32 v6, v18, v10
	s_delay_alu instid0(VALU_DEP_4) | instskip(NEXT) | instid1(VALU_DEP_3)
	v_add_f32_e32 v22, v127, v22
	v_fma_f32 v4, v19, v11, -v4
	s_delay_alu instid0(VALU_DEP_3) | instskip(SKIP_1) | instid1(VALU_DEP_4)
	v_add_f32_e32 v21, v21, v125
	v_mul_f32_e32 v125, v26, v16
	v_add_f32_e32 v5, v22, v124
	s_delay_alu instid0(VALU_DEP_2) | instskip(NEXT) | instid1(VALU_DEP_4)
	v_fmac_f32_e32 v125, v27, v15
	v_add_f32_e32 v1, v21, v126
	s_delay_alu instid0(VALU_DEP_1) | instskip(NEXT) | instid1(VALU_DEP_4)
	v_add_f32_e32 v1, v1, v2
	v_add_f32_e32 v2, v5, v128
	v_mul_f32_e32 v131, v19, v12
	v_fma_f32 v5, v17, v9, -v6
	s_delay_alu instid0(VALU_DEP_3) | instskip(SKIP_1) | instid1(VALU_DEP_4)
	v_dual_add_f32 v1, v1, v3 :: v_dual_add_f32 v2, v2, v129
	v_mul_f32_e32 v3, v25, v14
	v_fmac_f32_e32 v131, v20, v11
	s_delay_alu instid0(VALU_DEP_3) | instskip(SKIP_1) | instid1(VALU_DEP_4)
	v_dual_add_f32 v1, v1, v5 :: v_dual_add_f32 v2, v2, v130
	v_mul_f32_e32 v5, v27, v16
	v_fma_f32 v3, v24, v13, -v3
	s_delay_alu instid0(VALU_DEP_3) | instskip(NEXT) | instid1(VALU_DEP_3)
	v_dual_add_f32 v1, v1, v4 :: v_dual_add_f32 v2, v2, v131
	v_fma_f32 v4, v26, v15, -v5
	s_delay_alu instid0(VALU_DEP_2) | instskip(NEXT) | instid1(VALU_DEP_1)
	v_dual_add_f32 v1, v1, v3 :: v_dual_add_f32 v2, v2, v134
	v_dual_add_f32 v1, v1, v4 :: v_dual_add_f32 v2, v2, v125
	s_delay_alu instid0(VALU_DEP_1)
	v_dual_sub_f32 v1, v132, v1 :: v_dual_sub_f32 v2, v133, v2
	scratch_store_b64 off, v[1:2], off offset:120
	v_cmpx_lt_u32_e32 14, v0
	s_cbranch_execz .LBB111_273
; %bb.272:
	scratch_load_b64 v[1:2], off, off offset:112
	v_mov_b32_e32 v3, 0
	s_delay_alu instid0(VALU_DEP_1)
	v_mov_b32_e32 v4, v3
	scratch_store_b64 off, v[3:4], off offset:112
	s_wait_loadcnt 0x0
	ds_store_b64 v23, v[1:2]
.LBB111_273:
	s_wait_alu 0xfffe
	s_or_b32 exec_lo, exec_lo, s0
	s_wait_storecnt_dscnt 0x0
	s_barrier_signal -1
	s_barrier_wait -1
	global_inv scope:SCOPE_SE
	s_clause 0x4
	scratch_load_b128 v[5:8], off, off offset:120
	scratch_load_b128 v[1:4], off, off offset:136
	;; [unrolled: 1-line block ×5, first 2 shown]
	v_mov_b32_e32 v21, 0
	ds_load_2addr_b64 v[24:27], v21 offset0:63 offset1:64
	ds_load_2addr_b64 v[124:127], v21 offset0:65 offset1:66
	;; [unrolled: 1-line block ×3, first 2 shown]
	scratch_load_b64 v[132:133], off, off offset:112
	s_mov_b32 s0, exec_lo
	s_wait_loadcnt_dscnt 0x502
	v_mul_f32_e32 v22, v25, v6
	v_dual_mul_f32 v134, v24, v6 :: v_dual_mul_f32 v135, v26, v8
	v_mul_f32_e32 v6, v27, v8
	s_delay_alu instid0(VALU_DEP_3) | instskip(NEXT) | instid1(VALU_DEP_3)
	v_fma_f32 v22, v24, v5, -v22
	v_dual_fmac_f32 v134, v25, v5 :: v_dual_fmac_f32 v135, v27, v7
	s_wait_loadcnt_dscnt 0x401
	v_mul_f32_e32 v25, v124, v2
	v_fma_f32 v24, v26, v7, -v6
	ds_load_2addr_b64 v[5:8], v21 offset0:69 offset1:70
	s_wait_loadcnt_dscnt 0x301
	v_dual_mul_f32 v26, v126, v4 :: v_dual_mul_f32 v27, v128, v10
	v_dual_mul_f32 v4, v127, v4 :: v_dual_fmac_f32 v25, v125, v1
	v_mul_f32_e32 v10, v129, v10
	s_delay_alu instid0(VALU_DEP_3)
	v_dual_mul_f32 v136, v130, v12 :: v_dual_fmac_f32 v27, v129, v9
	v_mul_f32_e32 v12, v131, v12
	v_mul_f32_e32 v2, v125, v2
	v_fmac_f32_e32 v26, v127, v3
	v_fma_f32 v125, v126, v3, -v4
	v_fma_f32 v126, v128, v9, -v10
	v_fmac_f32_e32 v136, v131, v11
	v_fma_f32 v127, v130, v11, -v12
	ds_load_2addr_b64 v[9:12], v21 offset0:71 offset1:72
	s_wait_loadcnt_dscnt 0x201
	v_mul_f32_e32 v129, v7, v16
	v_fma_f32 v124, v124, v1, -v2
	scratch_load_b128 v[1:4], off, off offset:200
	v_mul_f32_e32 v128, v5, v14
	v_mul_f32_e32 v14, v6, v14
	;; [unrolled: 1-line block ×3, first 2 shown]
	s_delay_alu instid0(VALU_DEP_3) | instskip(NEXT) | instid1(VALU_DEP_3)
	v_dual_fmac_f32 v129, v8, v15 :: v_dual_fmac_f32 v128, v6, v13
	v_fma_f32 v13, v5, v13, -v14
	s_delay_alu instid0(VALU_DEP_3)
	v_fma_f32 v14, v7, v15, -v16
	ds_load_2addr_b64 v[5:8], v21 offset0:73 offset1:74
	s_wait_loadcnt_dscnt 0x201
	v_mul_f32_e32 v15, v9, v18
	v_mul_f32_e32 v16, v10, v18
	;; [unrolled: 1-line block ×3, first 2 shown]
	s_delay_alu instid0(VALU_DEP_3) | instskip(NEXT) | instid1(VALU_DEP_3)
	v_dual_mul_f32 v20, v12, v20 :: v_dual_fmac_f32 v15, v10, v17
	v_fma_f32 v16, v9, v17, -v16
	s_delay_alu instid0(VALU_DEP_3) | instskip(NEXT) | instid1(VALU_DEP_3)
	v_fmac_f32_e32 v18, v12, v19
	v_fma_f32 v17, v11, v19, -v20
	scratch_load_b128 v[9:12], off, off offset:216
	s_wait_loadcnt_dscnt 0x100
	v_mul_f32_e32 v19, v5, v2
	v_mul_f32_e32 v2, v6, v2
	;; [unrolled: 1-line block ×3, first 2 shown]
	s_delay_alu instid0(VALU_DEP_3) | instskip(NEXT) | instid1(VALU_DEP_3)
	v_dual_mul_f32 v4, v8, v4 :: v_dual_fmac_f32 v19, v6, v1
	v_fma_f32 v130, v5, v1, -v2
	s_delay_alu instid0(VALU_DEP_3) | instskip(NEXT) | instid1(VALU_DEP_3)
	v_fmac_f32_e32 v20, v8, v3
	v_fma_f32 v131, v7, v3, -v4
	ds_load_2addr_b64 v[1:4], v21 offset0:75 offset1:76
	ds_load_2addr_b64 v[5:8], v21 offset0:77 offset1:78
	s_wait_loadcnt_dscnt 0x1
	v_mul_f32_e32 v137, v1, v10
	v_mul_f32_e32 v10, v2, v10
	s_delay_alu instid0(VALU_DEP_2) | instskip(NEXT) | instid1(VALU_DEP_2)
	v_dual_mul_f32 v138, v3, v12 :: v_dual_fmac_f32 v137, v2, v9
	v_fma_f32 v139, v1, v9, -v10
	v_mul_f32_e32 v1, v4, v12
	s_delay_alu instid0(VALU_DEP_3) | instskip(NEXT) | instid1(VALU_DEP_2)
	v_fmac_f32_e32 v138, v4, v11
	v_fma_f32 v140, v3, v11, -v1
	s_clause 0x1
	scratch_load_b128 v[1:4], off, off offset:232
	scratch_load_b128 v[9:12], off, off offset:248
	s_wait_loadcnt_dscnt 0x100
	v_mul_f32_e32 v141, v5, v2
	v_dual_mul_f32 v2, v6, v2 :: v_dual_mul_f32 v143, v7, v4
	s_delay_alu instid0(VALU_DEP_2) | instskip(NEXT) | instid1(VALU_DEP_2)
	v_fmac_f32_e32 v141, v6, v1
	v_fma_f32 v142, v5, v1, -v2
	v_mul_f32_e32 v1, v8, v4
	s_delay_alu instid0(VALU_DEP_4) | instskip(NEXT) | instid1(VALU_DEP_2)
	v_fmac_f32_e32 v143, v8, v3
	v_fma_f32 v144, v7, v3, -v1
	ds_load_2addr_b64 v[1:4], v21 offset0:79 offset1:80
	ds_load_2addr_b64 v[5:8], v21 offset0:81 offset1:82
	s_wait_loadcnt_dscnt 0x1
	v_mul_f32_e32 v145, v1, v10
	v_mul_f32_e32 v147, v3, v12
	s_delay_alu instid0(VALU_DEP_2) | instskip(NEXT) | instid1(VALU_DEP_2)
	v_fmac_f32_e32 v145, v2, v9
	v_dual_mul_f32 v2, v2, v10 :: v_dual_fmac_f32 v147, v4, v11
	s_delay_alu instid0(VALU_DEP_1) | instskip(SKIP_1) | instid1(VALU_DEP_1)
	v_fma_f32 v146, v1, v9, -v2
	v_mul_f32_e32 v1, v4, v12
	v_fma_f32 v148, v3, v11, -v1
	s_clause 0x1
	scratch_load_b128 v[1:4], off, off offset:264
	scratch_load_b128 v[9:12], off, off offset:280
	s_wait_loadcnt_dscnt 0x100
	v_mul_f32_e32 v149, v5, v2
	v_dual_mul_f32 v151, v7, v4 :: v_dual_mul_f32 v2, v6, v2
	s_delay_alu instid0(VALU_DEP_2) | instskip(NEXT) | instid1(VALU_DEP_2)
	v_fmac_f32_e32 v149, v6, v1
	v_fmac_f32_e32 v151, v8, v3
	s_delay_alu instid0(VALU_DEP_3) | instskip(SKIP_1) | instid1(VALU_DEP_1)
	v_fma_f32 v150, v5, v1, -v2
	v_mul_f32_e32 v1, v8, v4
	v_fma_f32 v152, v7, v3, -v1
	ds_load_2addr_b64 v[1:4], v21 offset0:83 offset1:84
	ds_load_2addr_b64 v[5:8], v21 offset0:85 offset1:86
	s_wait_loadcnt_dscnt 0x1
	v_mul_f32_e32 v153, v1, v10
	v_mul_f32_e32 v155, v3, v12
	s_delay_alu instid0(VALU_DEP_2) | instskip(NEXT) | instid1(VALU_DEP_2)
	v_fmac_f32_e32 v153, v2, v9
	v_dual_mul_f32 v2, v2, v10 :: v_dual_fmac_f32 v155, v4, v11
	s_delay_alu instid0(VALU_DEP_1) | instskip(SKIP_1) | instid1(VALU_DEP_1)
	v_fma_f32 v154, v1, v9, -v2
	v_mul_f32_e32 v1, v4, v12
	v_fma_f32 v156, v3, v11, -v1
	s_clause 0x1
	scratch_load_b128 v[1:4], off, off offset:296
	scratch_load_b128 v[9:12], off, off offset:312
	s_wait_loadcnt_dscnt 0x100
	v_mul_f32_e32 v157, v5, v2
	v_mul_f32_e32 v2, v6, v2
	s_delay_alu instid0(VALU_DEP_1) | instskip(SKIP_1) | instid1(VALU_DEP_1)
	v_fma_f32 v158, v5, v1, -v2
	v_add_f32_e32 v2, 0, v134
	v_add_f32_e32 v2, v2, v135
	s_delay_alu instid0(VALU_DEP_1) | instskip(NEXT) | instid1(VALU_DEP_1)
	v_add_f32_e32 v2, v2, v25
	v_add_f32_e32 v2, v2, v26
	s_delay_alu instid0(VALU_DEP_1) | instskip(NEXT) | instid1(VALU_DEP_1)
	;; [unrolled: 3-line block ×3, first 2 shown]
	v_add_f32_e32 v2, v2, v128
	v_dual_mul_f32 v159, v7, v4 :: v_dual_add_f32 v2, v2, v129
	s_delay_alu instid0(VALU_DEP_1) | instskip(NEXT) | instid1(VALU_DEP_1)
	v_add_f32_e32 v5, v2, v15
	v_add_f32_e32 v5, v5, v18
	s_delay_alu instid0(VALU_DEP_1) | instskip(SKIP_2) | instid1(VALU_DEP_1)
	v_add_f32_e32 v5, v5, v19
	v_fmac_f32_e32 v157, v6, v1
	v_mul_f32_e32 v1, v8, v4
	v_fma_f32 v160, v7, v3, -v1
	v_add_f32_e32 v1, 0, v22
	s_delay_alu instid0(VALU_DEP_1) | instskip(NEXT) | instid1(VALU_DEP_1)
	v_add_f32_e32 v1, v1, v24
	v_add_f32_e32 v1, v1, v124
	s_delay_alu instid0(VALU_DEP_1) | instskip(SKIP_2) | instid1(VALU_DEP_1)
	v_add_f32_e32 v1, v1, v125
	scratch_load_b64 v[124:125], off, off offset:376
	v_add_f32_e32 v1, v1, v126
	v_add_f32_e32 v1, v1, v127
	s_delay_alu instid0(VALU_DEP_1) | instskip(NEXT) | instid1(VALU_DEP_1)
	v_add_f32_e32 v1, v1, v13
	v_add_f32_e32 v1, v1, v14
	s_delay_alu instid0(VALU_DEP_1) | instskip(NEXT) | instid1(VALU_DEP_1)
	v_add_f32_e32 v1, v1, v16
	v_dual_fmac_f32 v159, v8, v3 :: v_dual_add_f32 v6, v1, v17
	ds_load_2addr_b64 v[1:4], v21 offset0:87 offset1:88
	v_add_f32_e32 v6, v6, v130
	s_delay_alu instid0(VALU_DEP_1) | instskip(NEXT) | instid1(VALU_DEP_1)
	v_add_f32_e32 v13, v6, v131
	v_add_f32_e32 v13, v13, v139
	s_delay_alu instid0(VALU_DEP_1) | instskip(NEXT) | instid1(VALU_DEP_1)
	v_add_f32_e32 v13, v13, v140
	;; [unrolled: 3-line block ×3, first 2 shown]
	v_add_f32_e32 v18, v18, v146
	v_add_f32_e32 v14, v5, v20
	ds_load_2addr_b64 v[5:8], v21 offset0:89 offset1:90
	s_wait_loadcnt_dscnt 0x101
	v_mul_f32_e32 v22, v1, v10
	v_mul_f32_e32 v10, v2, v10
	;; [unrolled: 1-line block ×4, first 2 shown]
	v_add_f32_e32 v14, v14, v137
	v_fmac_f32_e32 v22, v2, v9
	v_fma_f32 v129, v1, v9, -v10
	v_fmac_f32_e32 v128, v4, v11
	v_fma_f32 v130, v3, v11, -v12
	s_clause 0x1
	scratch_load_b128 v[1:4], off, off offset:328
	scratch_load_b128 v[9:12], off, off offset:344
	v_add_f32_e32 v14, v14, v138
	v_add_f32_e32 v18, v18, v148
	s_delay_alu instid0(VALU_DEP_2) | instskip(SKIP_2) | instid1(VALU_DEP_1)
	v_add_f32_e32 v17, v14, v141
	scratch_load_b128 v[13:16], off, off offset:360
	v_dual_add_f32 v18, v18, v150 :: v_dual_add_f32 v17, v17, v143
	v_dual_add_f32 v18, v18, v152 :: v_dual_add_f32 v17, v17, v145
	s_delay_alu instid0(VALU_DEP_1) | instskip(NEXT) | instid1(VALU_DEP_1)
	v_add_f32_e32 v126, v18, v154
	v_add_f32_e32 v131, v126, v156
	s_wait_loadcnt_dscnt 0x200
	v_mul_f32_e32 v135, v5, v2
	v_dual_mul_f32 v2, v6, v2 :: v_dual_add_f32 v17, v17, v147
	v_mul_f32_e32 v136, v7, v4
	v_mul_f32_e32 v4, v8, v4
	s_delay_alu instid0(VALU_DEP_3) | instskip(NEXT) | instid1(VALU_DEP_3)
	v_fma_f32 v2, v5, v1, -v2
	v_dual_add_f32 v17, v17, v149 :: v_dual_fmac_f32 v136, v8, v3
	s_delay_alu instid0(VALU_DEP_1)
	v_add_f32_e32 v24, v17, v151
	ds_load_2addr_b64 v[17:20], v21 offset0:91 offset1:92
	v_add_f32_e32 v127, v24, v153
	ds_load_2addr_b64 v[24:27], v21 offset0:93 offset1:94
	v_add_f32_e32 v131, v131, v158
	v_add_f32_e32 v134, v127, v155
	ds_load_b64 v[126:127], v21 offset:760
	v_add_f32_e32 v134, v134, v157
	s_delay_alu instid0(VALU_DEP_1) | instskip(SKIP_1) | instid1(VALU_DEP_1)
	v_dual_add_f32 v134, v134, v159 :: v_dual_add_f32 v131, v131, v160
	s_wait_loadcnt_dscnt 0x102
	v_dual_mul_f32 v5, v20, v12 :: v_dual_add_f32 v22, v134, v22
	s_delay_alu instid0(VALU_DEP_2) | instskip(SKIP_1) | instid1(VALU_DEP_2)
	v_add_f32_e32 v129, v131, v129
	v_dual_mul_f32 v134, v19, v12 :: v_dual_mul_f32 v131, v17, v10
	v_dual_add_f32 v22, v22, v128 :: v_dual_add_f32 v129, v129, v130
	v_fmac_f32_e32 v135, v6, v1
	v_fma_f32 v1, v7, v3, -v4
	s_wait_loadcnt_dscnt 0x1
	v_mul_f32_e32 v130, v26, v16
	s_wait_dscnt 0x0
	v_mul_f32_e32 v128, v126, v125
	v_add_f32_e32 v2, v129, v2
	v_dual_mul_f32 v137, v24, v14 :: v_dual_add_f32 v4, v22, v135
	v_mul_f32_e32 v3, v18, v10
	v_dual_fmac_f32 v131, v18, v9 :: v_dual_fmac_f32 v134, v20, v11
	s_delay_alu instid0(VALU_DEP_4) | instskip(NEXT) | instid1(VALU_DEP_4)
	v_dual_add_f32 v1, v2, v1 :: v_dual_fmac_f32 v130, v27, v15
	v_add_f32_e32 v2, v4, v136
	s_delay_alu instid0(VALU_DEP_4)
	v_fma_f32 v3, v17, v9, -v3
	v_mul_f32_e32 v4, v25, v14
	v_fma_f32 v5, v19, v11, -v5
	v_dual_fmac_f32 v137, v25, v13 :: v_dual_fmac_f32 v128, v127, v124
	v_add_f32_e32 v2, v2, v131
	v_add_f32_e32 v1, v1, v3
	v_mul_f32_e32 v3, v27, v16
	v_fma_f32 v4, v24, v13, -v4
	s_delay_alu instid0(VALU_DEP_4) | instskip(NEXT) | instid1(VALU_DEP_3)
	v_add_f32_e32 v2, v2, v134
	v_fma_f32 v3, v26, v15, -v3
	s_delay_alu instid0(VALU_DEP_2) | instskip(NEXT) | instid1(VALU_DEP_1)
	v_add_f32_e32 v2, v2, v137
	v_dual_add_f32 v1, v1, v5 :: v_dual_add_f32 v2, v2, v130
	v_mul_f32_e32 v5, v127, v125
	s_delay_alu instid0(VALU_DEP_2) | instskip(NEXT) | instid1(VALU_DEP_3)
	v_add_f32_e32 v1, v1, v4
	v_add_f32_e32 v2, v2, v128
	s_delay_alu instid0(VALU_DEP_3) | instskip(NEXT) | instid1(VALU_DEP_3)
	v_fma_f32 v4, v126, v124, -v5
	v_add_f32_e32 v1, v1, v3
	s_delay_alu instid0(VALU_DEP_3) | instskip(NEXT) | instid1(VALU_DEP_2)
	v_sub_f32_e32 v2, v133, v2
	v_add_f32_e32 v1, v1, v4
	s_delay_alu instid0(VALU_DEP_1)
	v_sub_f32_e32 v1, v132, v1
	scratch_store_b64 off, v[1:2], off offset:112
	v_cmpx_lt_u32_e32 13, v0
	s_cbranch_execz .LBB111_275
; %bb.274:
	scratch_load_b64 v[1:2], off, off offset:104
	v_mov_b32_e32 v22, v21
	scratch_store_b64 off, v[21:22], off offset:104
	s_wait_loadcnt 0x0
	ds_store_b64 v23, v[1:2]
.LBB111_275:
	s_wait_alu 0xfffe
	s_or_b32 exec_lo, exec_lo, s0
	s_wait_storecnt_dscnt 0x0
	s_barrier_signal -1
	s_barrier_wait -1
	global_inv scope:SCOPE_SE
	s_clause 0x4
	scratch_load_b128 v[5:8], off, off offset:112
	scratch_load_b128 v[1:4], off, off offset:128
	scratch_load_b128 v[9:12], off, off offset:144
	scratch_load_b128 v[13:16], off, off offset:160
	scratch_load_b128 v[17:20], off, off offset:176
	ds_load_b128 v[24:27], v21 offset:496
	ds_load_b128 v[124:127], v21 offset:512
	;; [unrolled: 1-line block ×3, first 2 shown]
	scratch_load_b64 v[132:133], off, off offset:104
	s_mov_b32 s0, exec_lo
	s_wait_loadcnt_dscnt 0x502
	v_dual_mul_f32 v22, v25, v6 :: v_dual_mul_f32 v135, v26, v8
	v_mul_f32_e32 v134, v24, v6
	v_mul_f32_e32 v6, v27, v8
	s_wait_loadcnt_dscnt 0x300
	v_mul_f32_e32 v136, v130, v12
	v_fma_f32 v22, v24, v5, -v22
	v_dual_fmac_f32 v135, v27, v7 :: v_dual_fmac_f32 v134, v25, v5
	v_mul_f32_e32 v27, v128, v10
	v_mul_f32_e32 v25, v124, v2
	v_fma_f32 v24, v26, v7, -v6
	ds_load_b128 v[5:8], v21 offset:544
	v_mul_f32_e32 v26, v126, v4
	v_dual_mul_f32 v4, v127, v4 :: v_dual_fmac_f32 v27, v129, v9
	v_mul_f32_e32 v10, v129, v10
	v_mul_f32_e32 v12, v131, v12
	;; [unrolled: 1-line block ×3, first 2 shown]
	v_dual_fmac_f32 v25, v125, v1 :: v_dual_fmac_f32 v26, v127, v3
	v_fma_f32 v125, v126, v3, -v4
	v_fma_f32 v126, v128, v9, -v10
	v_fmac_f32_e32 v136, v131, v11
	v_fma_f32 v127, v130, v11, -v12
	ds_load_b128 v[9:12], v21 offset:560
	s_wait_loadcnt_dscnt 0x201
	v_mul_f32_e32 v129, v7, v16
	v_fma_f32 v124, v124, v1, -v2
	scratch_load_b128 v[1:4], off, off offset:192
	v_mul_f32_e32 v128, v5, v14
	v_mul_f32_e32 v14, v6, v14
	;; [unrolled: 1-line block ×3, first 2 shown]
	s_delay_alu instid0(VALU_DEP_3) | instskip(NEXT) | instid1(VALU_DEP_3)
	v_dual_fmac_f32 v129, v8, v15 :: v_dual_fmac_f32 v128, v6, v13
	v_fma_f32 v13, v5, v13, -v14
	s_delay_alu instid0(VALU_DEP_3)
	v_fma_f32 v14, v7, v15, -v16
	ds_load_b128 v[5:8], v21 offset:576
	s_wait_loadcnt_dscnt 0x201
	v_mul_f32_e32 v15, v9, v18
	v_mul_f32_e32 v16, v10, v18
	v_mul_f32_e32 v18, v11, v20
	s_delay_alu instid0(VALU_DEP_3) | instskip(NEXT) | instid1(VALU_DEP_3)
	v_dual_mul_f32 v20, v12, v20 :: v_dual_fmac_f32 v15, v10, v17
	v_fma_f32 v16, v9, v17, -v16
	s_delay_alu instid0(VALU_DEP_3) | instskip(NEXT) | instid1(VALU_DEP_3)
	v_fmac_f32_e32 v18, v12, v19
	v_fma_f32 v17, v11, v19, -v20
	scratch_load_b128 v[9:12], off, off offset:208
	s_wait_loadcnt_dscnt 0x100
	v_mul_f32_e32 v19, v5, v2
	v_mul_f32_e32 v2, v6, v2
	;; [unrolled: 1-line block ×3, first 2 shown]
	s_delay_alu instid0(VALU_DEP_3) | instskip(NEXT) | instid1(VALU_DEP_3)
	v_dual_mul_f32 v4, v8, v4 :: v_dual_fmac_f32 v19, v6, v1
	v_fma_f32 v130, v5, v1, -v2
	s_delay_alu instid0(VALU_DEP_3) | instskip(NEXT) | instid1(VALU_DEP_3)
	v_fmac_f32_e32 v20, v8, v3
	v_fma_f32 v131, v7, v3, -v4
	ds_load_b128 v[1:4], v21 offset:592
	ds_load_b128 v[5:8], v21 offset:608
	s_wait_loadcnt_dscnt 0x1
	v_mul_f32_e32 v137, v1, v10
	v_mul_f32_e32 v10, v2, v10
	s_delay_alu instid0(VALU_DEP_2) | instskip(NEXT) | instid1(VALU_DEP_2)
	v_dual_mul_f32 v138, v3, v12 :: v_dual_fmac_f32 v137, v2, v9
	v_fma_f32 v139, v1, v9, -v10
	v_mul_f32_e32 v1, v4, v12
	s_delay_alu instid0(VALU_DEP_3) | instskip(NEXT) | instid1(VALU_DEP_2)
	v_fmac_f32_e32 v138, v4, v11
	v_fma_f32 v140, v3, v11, -v1
	s_clause 0x1
	scratch_load_b128 v[1:4], off, off offset:224
	scratch_load_b128 v[9:12], off, off offset:240
	s_wait_loadcnt_dscnt 0x100
	v_mul_f32_e32 v141, v5, v2
	v_dual_mul_f32 v2, v6, v2 :: v_dual_mul_f32 v143, v7, v4
	s_delay_alu instid0(VALU_DEP_2) | instskip(NEXT) | instid1(VALU_DEP_2)
	v_fmac_f32_e32 v141, v6, v1
	v_fma_f32 v142, v5, v1, -v2
	v_mul_f32_e32 v1, v8, v4
	s_delay_alu instid0(VALU_DEP_4) | instskip(NEXT) | instid1(VALU_DEP_2)
	v_fmac_f32_e32 v143, v8, v3
	v_fma_f32 v144, v7, v3, -v1
	ds_load_b128 v[1:4], v21 offset:624
	ds_load_b128 v[5:8], v21 offset:640
	s_wait_loadcnt_dscnt 0x1
	v_mul_f32_e32 v145, v1, v10
	v_mul_f32_e32 v147, v3, v12
	s_delay_alu instid0(VALU_DEP_2) | instskip(NEXT) | instid1(VALU_DEP_2)
	v_fmac_f32_e32 v145, v2, v9
	v_dual_mul_f32 v2, v2, v10 :: v_dual_fmac_f32 v147, v4, v11
	s_delay_alu instid0(VALU_DEP_1) | instskip(SKIP_1) | instid1(VALU_DEP_1)
	v_fma_f32 v146, v1, v9, -v2
	v_mul_f32_e32 v1, v4, v12
	v_fma_f32 v148, v3, v11, -v1
	s_clause 0x1
	scratch_load_b128 v[1:4], off, off offset:256
	scratch_load_b128 v[9:12], off, off offset:272
	s_wait_loadcnt_dscnt 0x100
	v_mul_f32_e32 v149, v5, v2
	v_dual_mul_f32 v2, v6, v2 :: v_dual_mul_f32 v151, v7, v4
	s_delay_alu instid0(VALU_DEP_2) | instskip(NEXT) | instid1(VALU_DEP_2)
	v_fmac_f32_e32 v149, v6, v1
	v_fma_f32 v150, v5, v1, -v2
	v_mul_f32_e32 v1, v8, v4
	s_delay_alu instid0(VALU_DEP_4) | instskip(NEXT) | instid1(VALU_DEP_2)
	v_fmac_f32_e32 v151, v8, v3
	v_fma_f32 v152, v7, v3, -v1
	ds_load_b128 v[1:4], v21 offset:656
	ds_load_b128 v[5:8], v21 offset:672
	s_wait_loadcnt_dscnt 0x1
	v_mul_f32_e32 v153, v1, v10
	v_mul_f32_e32 v155, v3, v12
	s_delay_alu instid0(VALU_DEP_2) | instskip(NEXT) | instid1(VALU_DEP_2)
	v_fmac_f32_e32 v153, v2, v9
	v_dual_mul_f32 v2, v2, v10 :: v_dual_fmac_f32 v155, v4, v11
	s_delay_alu instid0(VALU_DEP_1) | instskip(SKIP_1) | instid1(VALU_DEP_1)
	v_fma_f32 v154, v1, v9, -v2
	v_mul_f32_e32 v1, v4, v12
	v_fma_f32 v156, v3, v11, -v1
	s_clause 0x1
	scratch_load_b128 v[1:4], off, off offset:288
	scratch_load_b128 v[9:12], off, off offset:304
	s_wait_loadcnt_dscnt 0x100
	v_mul_f32_e32 v157, v5, v2
	v_mul_f32_e32 v2, v6, v2
	s_delay_alu instid0(VALU_DEP_1) | instskip(SKIP_1) | instid1(VALU_DEP_1)
	v_fma_f32 v158, v5, v1, -v2
	v_add_f32_e32 v2, 0, v134
	v_add_f32_e32 v2, v2, v135
	s_delay_alu instid0(VALU_DEP_1) | instskip(NEXT) | instid1(VALU_DEP_1)
	v_dual_add_f32 v2, v2, v25 :: v_dual_mul_f32 v159, v7, v4
	v_add_f32_e32 v2, v2, v26
	s_delay_alu instid0(VALU_DEP_1) | instskip(NEXT) | instid1(VALU_DEP_3)
	v_add_f32_e32 v2, v2, v27
	v_fmac_f32_e32 v159, v8, v3
	v_fmac_f32_e32 v157, v6, v1
	s_delay_alu instid0(VALU_DEP_3) | instskip(NEXT) | instid1(VALU_DEP_1)
	v_add_f32_e32 v2, v2, v136
	v_add_f32_e32 v2, v2, v128
	s_delay_alu instid0(VALU_DEP_1) | instskip(NEXT) | instid1(VALU_DEP_1)
	v_dual_mul_f32 v1, v8, v4 :: v_dual_add_f32 v2, v2, v129
	v_fma_f32 v160, v7, v3, -v1
	s_delay_alu instid0(VALU_DEP_2) | instskip(NEXT) | instid1(VALU_DEP_1)
	v_dual_add_f32 v1, 0, v22 :: v_dual_add_f32 v2, v2, v15
	v_add_f32_e32 v1, v1, v24
	s_delay_alu instid0(VALU_DEP_2) | instskip(NEXT) | instid1(VALU_DEP_2)
	v_add_f32_e32 v5, v2, v18
	v_add_f32_e32 v1, v1, v124
	s_delay_alu instid0(VALU_DEP_1) | instskip(NEXT) | instid1(VALU_DEP_1)
	v_add_f32_e32 v1, v1, v125
	v_add_f32_e32 v1, v1, v126
	s_delay_alu instid0(VALU_DEP_1) | instskip(NEXT) | instid1(VALU_DEP_1)
	v_add_f32_e32 v1, v1, v127
	v_add_f32_e32 v1, v1, v13
	;; [unrolled: 1-line block ×3, first 2 shown]
	s_delay_alu instid0(VALU_DEP_2) | instskip(NEXT) | instid1(VALU_DEP_2)
	v_add_f32_e32 v1, v1, v14
	v_add_f32_e32 v13, v13, v20
	s_delay_alu instid0(VALU_DEP_2) | instskip(NEXT) | instid1(VALU_DEP_1)
	v_add_f32_e32 v1, v1, v16
	v_add_f32_e32 v1, v1, v17
	s_delay_alu instid0(VALU_DEP_1) | instskip(SKIP_4) | instid1(VALU_DEP_1)
	v_add_f32_e32 v6, v1, v130
	ds_load_b128 v[1:4], v21 offset:688
	v_add_f32_e32 v14, v6, v131
	scratch_load_b128 v[5:8], off, off offset:320
	v_dual_add_f32 v13, v13, v137 :: v_dual_add_f32 v14, v14, v139
	v_dual_add_f32 v18, v13, v138 :: v_dual_add_f32 v17, v14, v140
	ds_load_b128 v[13:16], v21 offset:704
	v_add_f32_e32 v18, v18, v141
	s_wait_loadcnt_dscnt 0x101
	v_mul_f32_e32 v22, v1, v10
	s_delay_alu instid0(VALU_DEP_2)
	v_add_f32_e32 v18, v18, v143
	v_mul_f32_e32 v10, v2, v10
	v_mul_f32_e32 v124, v3, v12
	;; [unrolled: 1-line block ×3, first 2 shown]
	v_fmac_f32_e32 v22, v2, v9
	v_add_f32_e32 v24, v18, v145
	v_fma_f32 v125, v1, v9, -v10
	v_fmac_f32_e32 v124, v4, v11
	v_fma_f32 v126, v3, v11, -v12
	scratch_load_b128 v[1:4], off, off offset:336
	v_dual_add_f32 v24, v24, v147 :: v_dual_add_f32 v17, v17, v142
	scratch_load_b128 v[9:12], off, off offset:352
	s_wait_loadcnt_dscnt 0x200
	v_dual_add_f32 v24, v24, v149 :: v_dual_mul_f32 v127, v13, v6
	v_mul_f32_e32 v128, v15, v8
	v_add_f32_e32 v17, v17, v144
	v_mul_f32_e32 v8, v16, v8
	v_mul_f32_e32 v6, v14, v6
	s_delay_alu instid0(VALU_DEP_4) | instskip(NEXT) | instid1(VALU_DEP_4)
	v_dual_fmac_f32 v127, v14, v5 :: v_dual_fmac_f32 v128, v16, v7
	v_add_f32_e32 v17, v17, v146
	s_delay_alu instid0(VALU_DEP_4) | instskip(NEXT) | instid1(VALU_DEP_4)
	v_fma_f32 v130, v15, v7, -v8
	v_fma_f32 v129, v13, v5, -v6
	ds_load_b128 v[5:8], v21 offset:720
	v_add_f32_e32 v25, v17, v148
	scratch_load_b128 v[17:20], off, off offset:368
	v_add_f32_e32 v25, v25, v150
	s_delay_alu instid0(VALU_DEP_1) | instskip(NEXT) | instid1(VALU_DEP_1)
	v_add_f32_e32 v25, v25, v152
	v_dual_add_f32 v13, v24, v151 :: v_dual_add_f32 v24, v25, v154
	s_delay_alu instid0(VALU_DEP_1)
	v_add_f32_e32 v25, v13, v153
	ds_load_b128 v[13:16], v21 offset:736
	v_dual_add_f32 v131, v24, v156 :: v_dual_add_f32 v134, v25, v155
	ds_load_b128 v[24:27], v21 offset:752
	v_add_f32_e32 v21, v131, v158
	s_wait_loadcnt_dscnt 0x202
	v_dual_add_f32 v131, v134, v157 :: v_dual_mul_f32 v134, v5, v2
	s_delay_alu instid0(VALU_DEP_1) | instskip(NEXT) | instid1(VALU_DEP_2)
	v_dual_mul_f32 v2, v6, v2 :: v_dual_add_f32 v131, v131, v159
	v_fmac_f32_e32 v134, v6, v1
	s_delay_alu instid0(VALU_DEP_2) | instskip(NEXT) | instid1(VALU_DEP_3)
	v_fma_f32 v2, v5, v1, -v2
	v_add_f32_e32 v22, v131, v22
	s_wait_loadcnt_dscnt 0x101
	v_mul_f32_e32 v131, v13, v10
	v_mul_f32_e32 v6, v14, v10
	s_delay_alu instid0(VALU_DEP_3) | instskip(NEXT) | instid1(VALU_DEP_1)
	v_add_f32_e32 v22, v22, v124
	v_dual_add_f32 v21, v21, v160 :: v_dual_add_f32 v22, v22, v127
	s_delay_alu instid0(VALU_DEP_1) | instskip(SKIP_4) | instid1(VALU_DEP_1)
	v_add_f32_e32 v21, v21, v125
	v_mul_f32_e32 v125, v7, v4
	v_mul_f32_e32 v4, v8, v4
	s_wait_loadcnt_dscnt 0x0
	v_dual_mul_f32 v124, v24, v18 :: v_dual_add_f32 v5, v22, v128
	v_dual_fmac_f32 v124, v25, v17 :: v_dual_fmac_f32 v125, v8, v3
	v_add_f32_e32 v21, v21, v126
	v_fma_f32 v3, v7, v3, -v4
	v_dual_mul_f32 v4, v16, v12 :: v_dual_fmac_f32 v131, v14, v9
	v_mul_f32_e32 v135, v15, v12
	s_delay_alu instid0(VALU_DEP_4) | instskip(NEXT) | instid1(VALU_DEP_3)
	v_dual_add_f32 v21, v21, v129 :: v_dual_mul_f32 v126, v26, v20
	v_fma_f32 v4, v15, v11, -v4
	s_delay_alu instid0(VALU_DEP_2) | instskip(NEXT) | instid1(VALU_DEP_1)
	v_dual_add_f32 v1, v21, v130 :: v_dual_fmac_f32 v126, v27, v19
	v_add_f32_e32 v1, v1, v2
	v_dual_add_f32 v2, v5, v134 :: v_dual_fmac_f32 v135, v16, v11
	v_fma_f32 v5, v13, v9, -v6
	s_delay_alu instid0(VALU_DEP_2) | instskip(NEXT) | instid1(VALU_DEP_1)
	v_add_f32_e32 v2, v2, v125
	v_add_f32_e32 v2, v2, v131
	s_delay_alu instid0(VALU_DEP_1) | instskip(NEXT) | instid1(VALU_DEP_1)
	v_add_f32_e32 v2, v2, v135
	v_dual_add_f32 v2, v2, v124 :: v_dual_add_f32 v1, v1, v3
	v_mul_f32_e32 v3, v25, v18
	s_delay_alu instid0(VALU_DEP_2) | instskip(SKIP_1) | instid1(VALU_DEP_3)
	v_dual_add_f32 v2, v2, v126 :: v_dual_add_f32 v1, v1, v5
	v_mul_f32_e32 v5, v27, v20
	v_fma_f32 v3, v24, v17, -v3
	s_delay_alu instid0(VALU_DEP_3) | instskip(NEXT) | instid1(VALU_DEP_4)
	v_sub_f32_e32 v2, v133, v2
	v_add_f32_e32 v1, v1, v4
	s_delay_alu instid0(VALU_DEP_4) | instskip(NEXT) | instid1(VALU_DEP_2)
	v_fma_f32 v4, v26, v19, -v5
	v_add_f32_e32 v1, v1, v3
	s_delay_alu instid0(VALU_DEP_1) | instskip(NEXT) | instid1(VALU_DEP_1)
	v_add_f32_e32 v1, v1, v4
	v_sub_f32_e32 v1, v132, v1
	scratch_store_b64 off, v[1:2], off offset:104
	v_cmpx_lt_u32_e32 12, v0
	s_cbranch_execz .LBB111_277
; %bb.276:
	scratch_load_b64 v[1:2], off, off offset:96
	v_mov_b32_e32 v3, 0
	s_delay_alu instid0(VALU_DEP_1)
	v_mov_b32_e32 v4, v3
	scratch_store_b64 off, v[3:4], off offset:96
	s_wait_loadcnt 0x0
	ds_store_b64 v23, v[1:2]
.LBB111_277:
	s_wait_alu 0xfffe
	s_or_b32 exec_lo, exec_lo, s0
	s_wait_storecnt_dscnt 0x0
	s_barrier_signal -1
	s_barrier_wait -1
	global_inv scope:SCOPE_SE
	s_clause 0x4
	scratch_load_b128 v[5:8], off, off offset:104
	scratch_load_b128 v[1:4], off, off offset:120
	;; [unrolled: 1-line block ×5, first 2 shown]
	v_mov_b32_e32 v21, 0
	ds_load_2addr_b64 v[24:27], v21 offset0:61 offset1:62
	ds_load_2addr_b64 v[124:127], v21 offset0:63 offset1:64
	;; [unrolled: 1-line block ×3, first 2 shown]
	scratch_load_b64 v[132:133], off, off offset:96
	s_mov_b32 s0, exec_lo
	s_wait_loadcnt_dscnt 0x502
	v_mul_f32_e32 v22, v25, v6
	v_dual_mul_f32 v134, v24, v6 :: v_dual_mul_f32 v135, v26, v8
	v_mul_f32_e32 v6, v27, v8
	s_delay_alu instid0(VALU_DEP_3) | instskip(NEXT) | instid1(VALU_DEP_3)
	v_fma_f32 v22, v24, v5, -v22
	v_dual_fmac_f32 v134, v25, v5 :: v_dual_fmac_f32 v135, v27, v7
	s_wait_loadcnt_dscnt 0x401
	v_mul_f32_e32 v25, v124, v2
	v_fma_f32 v24, v26, v7, -v6
	ds_load_2addr_b64 v[5:8], v21 offset0:67 offset1:68
	s_wait_loadcnt_dscnt 0x301
	v_dual_mul_f32 v26, v126, v4 :: v_dual_mul_f32 v27, v128, v10
	v_dual_mul_f32 v4, v127, v4 :: v_dual_fmac_f32 v25, v125, v1
	v_mul_f32_e32 v10, v129, v10
	s_delay_alu instid0(VALU_DEP_3)
	v_dual_mul_f32 v136, v130, v12 :: v_dual_fmac_f32 v27, v129, v9
	v_mul_f32_e32 v12, v131, v12
	v_mul_f32_e32 v2, v125, v2
	v_fmac_f32_e32 v26, v127, v3
	v_fma_f32 v125, v126, v3, -v4
	v_fma_f32 v126, v128, v9, -v10
	v_fmac_f32_e32 v136, v131, v11
	v_fma_f32 v127, v130, v11, -v12
	ds_load_2addr_b64 v[9:12], v21 offset0:69 offset1:70
	s_wait_loadcnt_dscnt 0x201
	v_mul_f32_e32 v129, v7, v16
	v_fma_f32 v124, v124, v1, -v2
	scratch_load_b128 v[1:4], off, off offset:184
	v_mul_f32_e32 v128, v5, v14
	v_mul_f32_e32 v14, v6, v14
	;; [unrolled: 1-line block ×3, first 2 shown]
	s_delay_alu instid0(VALU_DEP_3) | instskip(NEXT) | instid1(VALU_DEP_3)
	v_dual_fmac_f32 v129, v8, v15 :: v_dual_fmac_f32 v128, v6, v13
	v_fma_f32 v13, v5, v13, -v14
	s_delay_alu instid0(VALU_DEP_3)
	v_fma_f32 v14, v7, v15, -v16
	ds_load_2addr_b64 v[5:8], v21 offset0:71 offset1:72
	s_wait_loadcnt_dscnt 0x201
	v_mul_f32_e32 v15, v9, v18
	v_mul_f32_e32 v16, v10, v18
	;; [unrolled: 1-line block ×3, first 2 shown]
	s_delay_alu instid0(VALU_DEP_3) | instskip(NEXT) | instid1(VALU_DEP_3)
	v_dual_mul_f32 v20, v12, v20 :: v_dual_fmac_f32 v15, v10, v17
	v_fma_f32 v16, v9, v17, -v16
	s_delay_alu instid0(VALU_DEP_3) | instskip(NEXT) | instid1(VALU_DEP_3)
	v_fmac_f32_e32 v18, v12, v19
	v_fma_f32 v17, v11, v19, -v20
	scratch_load_b128 v[9:12], off, off offset:200
	s_wait_loadcnt_dscnt 0x100
	v_mul_f32_e32 v19, v5, v2
	v_mul_f32_e32 v2, v6, v2
	v_mul_f32_e32 v20, v7, v4
	s_delay_alu instid0(VALU_DEP_3) | instskip(NEXT) | instid1(VALU_DEP_3)
	v_dual_mul_f32 v4, v8, v4 :: v_dual_fmac_f32 v19, v6, v1
	v_fma_f32 v130, v5, v1, -v2
	s_delay_alu instid0(VALU_DEP_3) | instskip(NEXT) | instid1(VALU_DEP_3)
	v_fmac_f32_e32 v20, v8, v3
	v_fma_f32 v131, v7, v3, -v4
	ds_load_2addr_b64 v[1:4], v21 offset0:73 offset1:74
	ds_load_2addr_b64 v[5:8], v21 offset0:75 offset1:76
	s_wait_loadcnt_dscnt 0x1
	v_mul_f32_e32 v137, v1, v10
	v_mul_f32_e32 v10, v2, v10
	s_delay_alu instid0(VALU_DEP_2) | instskip(NEXT) | instid1(VALU_DEP_2)
	v_dual_mul_f32 v138, v3, v12 :: v_dual_fmac_f32 v137, v2, v9
	v_fma_f32 v139, v1, v9, -v10
	v_mul_f32_e32 v1, v4, v12
	s_delay_alu instid0(VALU_DEP_3) | instskip(NEXT) | instid1(VALU_DEP_2)
	v_fmac_f32_e32 v138, v4, v11
	v_fma_f32 v140, v3, v11, -v1
	s_clause 0x1
	scratch_load_b128 v[1:4], off, off offset:216
	scratch_load_b128 v[9:12], off, off offset:232
	s_wait_loadcnt_dscnt 0x100
	v_mul_f32_e32 v141, v5, v2
	v_dual_mul_f32 v2, v6, v2 :: v_dual_mul_f32 v143, v7, v4
	s_delay_alu instid0(VALU_DEP_2) | instskip(NEXT) | instid1(VALU_DEP_2)
	v_fmac_f32_e32 v141, v6, v1
	v_fma_f32 v142, v5, v1, -v2
	v_mul_f32_e32 v1, v8, v4
	s_delay_alu instid0(VALU_DEP_4) | instskip(NEXT) | instid1(VALU_DEP_2)
	v_fmac_f32_e32 v143, v8, v3
	v_fma_f32 v144, v7, v3, -v1
	ds_load_2addr_b64 v[1:4], v21 offset0:77 offset1:78
	ds_load_2addr_b64 v[5:8], v21 offset0:79 offset1:80
	s_wait_loadcnt_dscnt 0x1
	v_mul_f32_e32 v145, v1, v10
	v_mul_f32_e32 v147, v3, v12
	s_delay_alu instid0(VALU_DEP_2) | instskip(NEXT) | instid1(VALU_DEP_2)
	v_fmac_f32_e32 v145, v2, v9
	v_dual_mul_f32 v2, v2, v10 :: v_dual_fmac_f32 v147, v4, v11
	s_delay_alu instid0(VALU_DEP_1) | instskip(SKIP_1) | instid1(VALU_DEP_1)
	v_fma_f32 v146, v1, v9, -v2
	v_mul_f32_e32 v1, v4, v12
	v_fma_f32 v148, v3, v11, -v1
	s_clause 0x1
	scratch_load_b128 v[1:4], off, off offset:248
	scratch_load_b128 v[9:12], off, off offset:264
	s_wait_loadcnt_dscnt 0x100
	v_mul_f32_e32 v149, v5, v2
	v_dual_mul_f32 v151, v7, v4 :: v_dual_mul_f32 v2, v6, v2
	s_delay_alu instid0(VALU_DEP_2) | instskip(NEXT) | instid1(VALU_DEP_2)
	v_fmac_f32_e32 v149, v6, v1
	v_fmac_f32_e32 v151, v8, v3
	s_delay_alu instid0(VALU_DEP_3) | instskip(SKIP_1) | instid1(VALU_DEP_1)
	v_fma_f32 v150, v5, v1, -v2
	v_mul_f32_e32 v1, v8, v4
	v_fma_f32 v152, v7, v3, -v1
	ds_load_2addr_b64 v[1:4], v21 offset0:81 offset1:82
	ds_load_2addr_b64 v[5:8], v21 offset0:83 offset1:84
	s_wait_loadcnt_dscnt 0x1
	v_mul_f32_e32 v153, v1, v10
	v_mul_f32_e32 v155, v3, v12
	s_delay_alu instid0(VALU_DEP_2) | instskip(NEXT) | instid1(VALU_DEP_2)
	v_fmac_f32_e32 v153, v2, v9
	v_dual_mul_f32 v2, v2, v10 :: v_dual_fmac_f32 v155, v4, v11
	s_delay_alu instid0(VALU_DEP_1) | instskip(SKIP_1) | instid1(VALU_DEP_1)
	v_fma_f32 v154, v1, v9, -v2
	v_mul_f32_e32 v1, v4, v12
	v_fma_f32 v156, v3, v11, -v1
	s_clause 0x1
	scratch_load_b128 v[1:4], off, off offset:280
	scratch_load_b128 v[9:12], off, off offset:296
	s_wait_loadcnt_dscnt 0x100
	v_mul_f32_e32 v157, v5, v2
	v_mul_f32_e32 v2, v6, v2
	s_delay_alu instid0(VALU_DEP_1) | instskip(SKIP_1) | instid1(VALU_DEP_1)
	v_fma_f32 v158, v5, v1, -v2
	v_add_f32_e32 v2, 0, v134
	v_add_f32_e32 v2, v2, v135
	s_delay_alu instid0(VALU_DEP_1) | instskip(NEXT) | instid1(VALU_DEP_1)
	v_add_f32_e32 v2, v2, v25
	v_add_f32_e32 v2, v2, v26
	s_delay_alu instid0(VALU_DEP_1) | instskip(SKIP_1) | instid1(VALU_DEP_2)
	v_add_f32_e32 v2, v2, v27
	v_fmac_f32_e32 v157, v6, v1
	v_add_f32_e32 v2, v2, v136
	s_delay_alu instid0(VALU_DEP_1) | instskip(NEXT) | instid1(VALU_DEP_1)
	v_add_f32_e32 v2, v2, v128
	v_dual_mul_f32 v159, v7, v4 :: v_dual_add_f32 v2, v2, v129
	s_delay_alu instid0(VALU_DEP_1) | instskip(NEXT) | instid1(VALU_DEP_1)
	v_dual_mul_f32 v1, v8, v4 :: v_dual_add_f32 v2, v2, v15
	v_fma_f32 v160, v7, v3, -v1
	v_add_f32_e32 v1, 0, v22
	s_delay_alu instid0(VALU_DEP_3) | instskip(NEXT) | instid1(VALU_DEP_2)
	v_add_f32_e32 v5, v2, v18
	v_add_f32_e32 v1, v1, v24
	s_delay_alu instid0(VALU_DEP_1) | instskip(NEXT) | instid1(VALU_DEP_1)
	v_add_f32_e32 v1, v1, v124
	v_add_f32_e32 v1, v1, v125
	scratch_load_b64 v[124:125], off, off offset:376
	v_add_f32_e32 v1, v1, v126
	s_delay_alu instid0(VALU_DEP_1) | instskip(NEXT) | instid1(VALU_DEP_1)
	v_add_f32_e32 v1, v1, v127
	v_add_f32_e32 v1, v1, v13
	;; [unrolled: 1-line block ×3, first 2 shown]
	s_delay_alu instid0(VALU_DEP_2) | instskip(NEXT) | instid1(VALU_DEP_2)
	v_add_f32_e32 v1, v1, v14
	v_add_f32_e32 v13, v13, v20
	s_delay_alu instid0(VALU_DEP_2) | instskip(NEXT) | instid1(VALU_DEP_2)
	v_add_f32_e32 v1, v1, v16
	v_add_f32_e32 v13, v13, v137
	v_fmac_f32_e32 v159, v8, v3
	s_delay_alu instid0(VALU_DEP_3) | instskip(NEXT) | instid1(VALU_DEP_3)
	v_add_f32_e32 v1, v1, v17
	v_add_f32_e32 v18, v13, v138
	s_delay_alu instid0(VALU_DEP_2)
	v_add_f32_e32 v6, v1, v130
	scratch_load_b128 v[1:4], off, off offset:312
	v_add_f32_e32 v18, v18, v141
	v_add_f32_e32 v14, v6, v131
	ds_load_2addr_b64 v[5:8], v21 offset0:85 offset1:86
	v_add_f32_e32 v18, v18, v143
	v_add_f32_e32 v14, v14, v139
	s_delay_alu instid0(VALU_DEP_2) | instskip(NEXT) | instid1(VALU_DEP_2)
	v_add_f32_e32 v24, v18, v145
	v_add_f32_e32 v17, v14, v140
	ds_load_2addr_b64 v[13:16], v21 offset0:87 offset1:88
	v_add_f32_e32 v24, v24, v147
	s_delay_alu instid0(VALU_DEP_1)
	v_add_f32_e32 v24, v24, v149
	s_wait_loadcnt_dscnt 0x201
	v_mul_f32_e32 v22, v5, v10
	v_mul_f32_e32 v10, v6, v10
	;; [unrolled: 1-line block ×3, first 2 shown]
	v_dual_mul_f32 v12, v8, v12 :: v_dual_add_f32 v17, v17, v142
	s_delay_alu instid0(VALU_DEP_4) | instskip(NEXT) | instid1(VALU_DEP_4)
	v_fmac_f32_e32 v22, v6, v9
	v_fma_f32 v129, v5, v9, -v10
	s_delay_alu instid0(VALU_DEP_4) | instskip(NEXT) | instid1(VALU_DEP_4)
	v_fmac_f32_e32 v128, v8, v11
	v_fma_f32 v130, v7, v11, -v12
	s_clause 0x1
	scratch_load_b128 v[5:8], off, off offset:328
	scratch_load_b128 v[9:12], off, off offset:344
	v_dual_add_f32 v17, v17, v144 :: v_dual_add_f32 v24, v24, v151
	s_wait_loadcnt_dscnt 0x200
	s_delay_alu instid0(VALU_DEP_1) | instskip(NEXT) | instid1(VALU_DEP_1)
	v_dual_add_f32 v17, v17, v146 :: v_dual_mul_f32 v134, v15, v4
	v_add_f32_e32 v25, v17, v148
	scratch_load_b128 v[17:20], off, off offset:360
	v_mul_f32_e32 v131, v13, v2
	v_mul_f32_e32 v2, v14, v2
	v_dual_fmac_f32 v134, v16, v3 :: v_dual_add_f32 v25, v25, v150
	v_mul_f32_e32 v4, v16, v4
	s_delay_alu instid0(VALU_DEP_3) | instskip(SKIP_1) | instid1(VALU_DEP_4)
	v_fma_f32 v135, v13, v1, -v2
	v_add_f32_e32 v13, v24, v153
	v_add_f32_e32 v25, v25, v152
	s_delay_alu instid0(VALU_DEP_4) | instskip(NEXT) | instid1(VALU_DEP_3)
	v_fma_f32 v136, v15, v3, -v4
	v_add_f32_e32 v24, v13, v155
	s_delay_alu instid0(VALU_DEP_1) | instskip(NEXT) | instid1(VALU_DEP_1)
	v_add_f32_e32 v127, v24, v157
	v_add_f32_e32 v138, v127, v159
	s_delay_alu instid0(VALU_DEP_1) | instskip(NEXT) | instid1(VALU_DEP_1)
	v_add_f32_e32 v22, v138, v22
	v_dual_add_f32 v25, v25, v154 :: v_dual_add_f32 v22, v22, v128
	s_delay_alu instid0(VALU_DEP_1)
	v_dual_fmac_f32 v131, v14, v1 :: v_dual_add_f32 v14, v25, v156
	ds_load_2addr_b64 v[1:4], v21 offset0:89 offset1:90
	ds_load_2addr_b64 v[24:27], v21 offset0:93 offset1:94
	v_add_f32_e32 v22, v22, v131
	v_add_f32_e32 v126, v14, v158
	ds_load_2addr_b64 v[13:16], v21 offset0:91 offset1:92
	v_add_f32_e32 v22, v22, v134
	v_add_f32_e32 v137, v126, v160
	ds_load_b64 v[126:127], v21 offset:760
	s_wait_loadcnt_dscnt 0x203
	v_dual_add_f32 v129, v137, v129 :: v_dual_mul_f32 v128, v3, v8
	s_delay_alu instid0(VALU_DEP_1)
	v_add_f32_e32 v129, v129, v130
	v_dual_mul_f32 v137, v1, v6 :: v_dual_mul_f32 v8, v4, v8
	v_mul_f32_e32 v6, v2, v6
	s_wait_loadcnt_dscnt 0x101
	v_dual_mul_f32 v130, v13, v10 :: v_dual_mul_f32 v131, v15, v12
	v_add_f32_e32 v129, v129, v135
	v_dual_fmac_f32 v137, v2, v5 :: v_dual_fmac_f32 v128, v4, v7
	v_fma_f32 v1, v1, v5, -v6
	v_fma_f32 v2, v3, v7, -v8
	s_delay_alu instid0(VALU_DEP_3) | instskip(SKIP_2) | instid1(VALU_DEP_3)
	v_dual_add_f32 v129, v129, v136 :: v_dual_add_f32 v4, v22, v137
	v_dual_mul_f32 v5, v16, v12 :: v_dual_fmac_f32 v130, v14, v9
	v_mul_f32_e32 v3, v14, v10
	v_add_f32_e32 v1, v129, v1
	s_wait_dscnt 0x0
	v_dual_fmac_f32 v131, v16, v11 :: v_dual_mul_f32 v134, v126, v125
	v_fma_f32 v5, v15, v11, -v5
	s_delay_alu instid0(VALU_DEP_3) | instskip(SKIP_1) | instid1(VALU_DEP_4)
	v_dual_add_f32 v1, v1, v2 :: v_dual_add_f32 v2, v4, v128
	v_fma_f32 v3, v13, v9, -v3
	v_fmac_f32_e32 v134, v127, v124
	s_delay_alu instid0(VALU_DEP_2) | instskip(SKIP_1) | instid1(VALU_DEP_1)
	v_dual_add_f32 v2, v2, v130 :: v_dual_add_f32 v1, v1, v3
	s_wait_loadcnt 0x0
	v_dual_add_f32 v2, v2, v131 :: v_dual_mul_f32 v3, v27, v20
	v_mul_f32_e32 v135, v24, v18
	v_mul_f32_e32 v4, v25, v18
	;; [unrolled: 1-line block ×3, first 2 shown]
	s_delay_alu instid0(VALU_DEP_4) | instskip(NEXT) | instid1(VALU_DEP_4)
	v_fma_f32 v3, v26, v19, -v3
	v_fmac_f32_e32 v135, v25, v17
	s_delay_alu instid0(VALU_DEP_4) | instskip(NEXT) | instid1(VALU_DEP_4)
	v_fma_f32 v4, v24, v17, -v4
	v_dual_fmac_f32 v136, v27, v19 :: v_dual_add_f32 v1, v1, v5
	s_delay_alu instid0(VALU_DEP_3) | instskip(NEXT) | instid1(VALU_DEP_1)
	v_dual_add_f32 v2, v2, v135 :: v_dual_mul_f32 v5, v127, v125
	v_add_f32_e32 v2, v2, v136
	s_delay_alu instid0(VALU_DEP_3) | instskip(NEXT) | instid1(VALU_DEP_3)
	v_add_f32_e32 v1, v1, v4
	v_fma_f32 v4, v126, v124, -v5
	s_delay_alu instid0(VALU_DEP_2) | instskip(NEXT) | instid1(VALU_DEP_1)
	v_dual_add_f32 v2, v2, v134 :: v_dual_add_f32 v1, v1, v3
	v_sub_f32_e32 v2, v133, v2
	s_delay_alu instid0(VALU_DEP_2) | instskip(NEXT) | instid1(VALU_DEP_1)
	v_add_f32_e32 v1, v1, v4
	v_sub_f32_e32 v1, v132, v1
	scratch_store_b64 off, v[1:2], off offset:96
	v_cmpx_lt_u32_e32 11, v0
	s_cbranch_execz .LBB111_279
; %bb.278:
	scratch_load_b64 v[1:2], off, off offset:88
	v_mov_b32_e32 v22, v21
	scratch_store_b64 off, v[21:22], off offset:88
	s_wait_loadcnt 0x0
	ds_store_b64 v23, v[1:2]
.LBB111_279:
	s_wait_alu 0xfffe
	s_or_b32 exec_lo, exec_lo, s0
	s_wait_storecnt_dscnt 0x0
	s_barrier_signal -1
	s_barrier_wait -1
	global_inv scope:SCOPE_SE
	s_clause 0x4
	scratch_load_b128 v[5:8], off, off offset:96
	scratch_load_b128 v[1:4], off, off offset:112
	scratch_load_b128 v[9:12], off, off offset:128
	scratch_load_b128 v[13:16], off, off offset:144
	scratch_load_b128 v[17:20], off, off offset:160
	ds_load_b128 v[24:27], v21 offset:480
	ds_load_b128 v[124:127], v21 offset:496
	;; [unrolled: 1-line block ×3, first 2 shown]
	scratch_load_b64 v[132:133], off, off offset:88
	s_mov_b32 s0, exec_lo
	s_wait_loadcnt_dscnt 0x502
	v_dual_mul_f32 v22, v25, v6 :: v_dual_mul_f32 v135, v26, v8
	v_mul_f32_e32 v134, v24, v6
	v_mul_f32_e32 v6, v27, v8
	s_wait_loadcnt_dscnt 0x300
	v_mul_f32_e32 v136, v130, v12
	v_fma_f32 v22, v24, v5, -v22
	v_dual_fmac_f32 v135, v27, v7 :: v_dual_fmac_f32 v134, v25, v5
	v_mul_f32_e32 v27, v128, v10
	v_mul_f32_e32 v25, v124, v2
	v_fma_f32 v24, v26, v7, -v6
	ds_load_b128 v[5:8], v21 offset:528
	v_mul_f32_e32 v26, v126, v4
	v_dual_mul_f32 v4, v127, v4 :: v_dual_fmac_f32 v27, v129, v9
	v_mul_f32_e32 v10, v129, v10
	v_mul_f32_e32 v12, v131, v12
	;; [unrolled: 1-line block ×3, first 2 shown]
	v_dual_fmac_f32 v25, v125, v1 :: v_dual_fmac_f32 v26, v127, v3
	v_fma_f32 v125, v126, v3, -v4
	v_fma_f32 v126, v128, v9, -v10
	v_fmac_f32_e32 v136, v131, v11
	v_fma_f32 v127, v130, v11, -v12
	ds_load_b128 v[9:12], v21 offset:544
	s_wait_loadcnt_dscnt 0x201
	v_mul_f32_e32 v129, v7, v16
	v_fma_f32 v124, v124, v1, -v2
	scratch_load_b128 v[1:4], off, off offset:176
	v_mul_f32_e32 v128, v5, v14
	v_mul_f32_e32 v14, v6, v14
	;; [unrolled: 1-line block ×3, first 2 shown]
	s_delay_alu instid0(VALU_DEP_3) | instskip(NEXT) | instid1(VALU_DEP_3)
	v_dual_fmac_f32 v129, v8, v15 :: v_dual_fmac_f32 v128, v6, v13
	v_fma_f32 v13, v5, v13, -v14
	s_delay_alu instid0(VALU_DEP_3)
	v_fma_f32 v14, v7, v15, -v16
	ds_load_b128 v[5:8], v21 offset:560
	s_wait_loadcnt_dscnt 0x201
	v_mul_f32_e32 v15, v9, v18
	v_mul_f32_e32 v16, v10, v18
	;; [unrolled: 1-line block ×3, first 2 shown]
	s_delay_alu instid0(VALU_DEP_3) | instskip(NEXT) | instid1(VALU_DEP_3)
	v_dual_mul_f32 v20, v12, v20 :: v_dual_fmac_f32 v15, v10, v17
	v_fma_f32 v16, v9, v17, -v16
	s_delay_alu instid0(VALU_DEP_3) | instskip(NEXT) | instid1(VALU_DEP_3)
	v_fmac_f32_e32 v18, v12, v19
	v_fma_f32 v17, v11, v19, -v20
	scratch_load_b128 v[9:12], off, off offset:192
	s_wait_loadcnt_dscnt 0x100
	v_mul_f32_e32 v19, v5, v2
	v_mul_f32_e32 v2, v6, v2
	;; [unrolled: 1-line block ×3, first 2 shown]
	s_delay_alu instid0(VALU_DEP_3) | instskip(NEXT) | instid1(VALU_DEP_3)
	v_dual_mul_f32 v4, v8, v4 :: v_dual_fmac_f32 v19, v6, v1
	v_fma_f32 v130, v5, v1, -v2
	s_delay_alu instid0(VALU_DEP_3) | instskip(NEXT) | instid1(VALU_DEP_3)
	v_fmac_f32_e32 v20, v8, v3
	v_fma_f32 v131, v7, v3, -v4
	ds_load_b128 v[1:4], v21 offset:576
	ds_load_b128 v[5:8], v21 offset:592
	s_wait_loadcnt_dscnt 0x1
	v_mul_f32_e32 v137, v1, v10
	v_mul_f32_e32 v10, v2, v10
	s_delay_alu instid0(VALU_DEP_2) | instskip(NEXT) | instid1(VALU_DEP_2)
	v_dual_mul_f32 v138, v3, v12 :: v_dual_fmac_f32 v137, v2, v9
	v_fma_f32 v139, v1, v9, -v10
	v_mul_f32_e32 v1, v4, v12
	s_delay_alu instid0(VALU_DEP_3) | instskip(NEXT) | instid1(VALU_DEP_2)
	v_fmac_f32_e32 v138, v4, v11
	v_fma_f32 v140, v3, v11, -v1
	s_clause 0x1
	scratch_load_b128 v[1:4], off, off offset:208
	scratch_load_b128 v[9:12], off, off offset:224
	s_wait_loadcnt_dscnt 0x100
	v_mul_f32_e32 v141, v5, v2
	v_dual_mul_f32 v2, v6, v2 :: v_dual_mul_f32 v143, v7, v4
	s_delay_alu instid0(VALU_DEP_2) | instskip(NEXT) | instid1(VALU_DEP_2)
	v_fmac_f32_e32 v141, v6, v1
	v_fma_f32 v142, v5, v1, -v2
	v_mul_f32_e32 v1, v8, v4
	s_delay_alu instid0(VALU_DEP_4) | instskip(NEXT) | instid1(VALU_DEP_2)
	v_fmac_f32_e32 v143, v8, v3
	v_fma_f32 v144, v7, v3, -v1
	ds_load_b128 v[1:4], v21 offset:608
	ds_load_b128 v[5:8], v21 offset:624
	s_wait_loadcnt_dscnt 0x1
	v_mul_f32_e32 v145, v1, v10
	v_mul_f32_e32 v147, v3, v12
	s_delay_alu instid0(VALU_DEP_2) | instskip(NEXT) | instid1(VALU_DEP_2)
	v_fmac_f32_e32 v145, v2, v9
	v_dual_mul_f32 v2, v2, v10 :: v_dual_fmac_f32 v147, v4, v11
	s_delay_alu instid0(VALU_DEP_1) | instskip(SKIP_1) | instid1(VALU_DEP_1)
	v_fma_f32 v146, v1, v9, -v2
	v_mul_f32_e32 v1, v4, v12
	v_fma_f32 v148, v3, v11, -v1
	s_clause 0x1
	scratch_load_b128 v[1:4], off, off offset:240
	scratch_load_b128 v[9:12], off, off offset:256
	s_wait_loadcnt_dscnt 0x100
	v_mul_f32_e32 v149, v5, v2
	v_dual_mul_f32 v2, v6, v2 :: v_dual_mul_f32 v151, v7, v4
	s_delay_alu instid0(VALU_DEP_2) | instskip(NEXT) | instid1(VALU_DEP_2)
	v_fmac_f32_e32 v149, v6, v1
	v_fma_f32 v150, v5, v1, -v2
	v_mul_f32_e32 v1, v8, v4
	s_delay_alu instid0(VALU_DEP_4) | instskip(NEXT) | instid1(VALU_DEP_2)
	v_fmac_f32_e32 v151, v8, v3
	v_fma_f32 v152, v7, v3, -v1
	ds_load_b128 v[1:4], v21 offset:640
	ds_load_b128 v[5:8], v21 offset:656
	s_wait_loadcnt_dscnt 0x1
	v_mul_f32_e32 v153, v1, v10
	v_mul_f32_e32 v155, v3, v12
	s_delay_alu instid0(VALU_DEP_2) | instskip(NEXT) | instid1(VALU_DEP_2)
	v_fmac_f32_e32 v153, v2, v9
	v_dual_mul_f32 v2, v2, v10 :: v_dual_fmac_f32 v155, v4, v11
	s_delay_alu instid0(VALU_DEP_1) | instskip(SKIP_1) | instid1(VALU_DEP_1)
	v_fma_f32 v154, v1, v9, -v2
	v_mul_f32_e32 v1, v4, v12
	;; [unrolled: 25-line block ×3, first 2 shown]
	v_fma_f32 v164, v3, v11, -v1
	s_clause 0x1
	scratch_load_b128 v[1:4], off, off offset:304
	scratch_load_b128 v[9:12], off, off offset:320
	s_wait_loadcnt_dscnt 0x100
	v_mul_f32_e32 v165, v5, v2
	v_mul_f32_e32 v2, v6, v2
	s_delay_alu instid0(VALU_DEP_1) | instskip(SKIP_1) | instid1(VALU_DEP_1)
	v_fma_f32 v166, v5, v1, -v2
	v_add_f32_e32 v2, 0, v134
	v_add_f32_e32 v2, v2, v135
	s_delay_alu instid0(VALU_DEP_1) | instskip(NEXT) | instid1(VALU_DEP_1)
	v_add_f32_e32 v2, v2, v25
	v_add_f32_e32 v2, v2, v26
	s_delay_alu instid0(VALU_DEP_1) | instskip(NEXT) | instid1(VALU_DEP_1)
	;; [unrolled: 3-line block ×4, first 2 shown]
	v_dual_add_f32 v2, v2, v15 :: v_dual_mul_f32 v167, v7, v4
	v_add_f32_e32 v2, v2, v18
	s_delay_alu instid0(VALU_DEP_1) | instskip(SKIP_2) | instid1(VALU_DEP_3)
	v_add_f32_e32 v2, v2, v19
	v_fmac_f32_e32 v165, v6, v1
	v_mul_f32_e32 v1, v8, v4
	v_dual_fmac_f32 v167, v8, v3 :: v_dual_add_f32 v2, v2, v20
	s_delay_alu instid0(VALU_DEP_2) | instskip(SKIP_1) | instid1(VALU_DEP_3)
	v_fma_f32 v168, v7, v3, -v1
	v_add_f32_e32 v1, 0, v22
	v_add_f32_e32 v5, v2, v137
	s_delay_alu instid0(VALU_DEP_2) | instskip(NEXT) | instid1(VALU_DEP_2)
	v_add_f32_e32 v1, v1, v24
	v_add_f32_e32 v5, v5, v138
	s_delay_alu instid0(VALU_DEP_2) | instskip(NEXT) | instid1(VALU_DEP_2)
	v_add_f32_e32 v1, v1, v124
	v_add_f32_e32 v5, v5, v141
	s_delay_alu instid0(VALU_DEP_2) | instskip(NEXT) | instid1(VALU_DEP_1)
	v_add_f32_e32 v1, v1, v125
	v_add_f32_e32 v1, v1, v126
	s_delay_alu instid0(VALU_DEP_1) | instskip(NEXT) | instid1(VALU_DEP_1)
	v_add_f32_e32 v1, v1, v127
	v_add_f32_e32 v1, v1, v13
	s_delay_alu instid0(VALU_DEP_1) | instskip(SKIP_1) | instid1(VALU_DEP_1)
	v_add_f32_e32 v1, v1, v14
	v_add_f32_e32 v14, v5, v143
	;; [unrolled: 1-line block ×3, first 2 shown]
	s_delay_alu instid0(VALU_DEP_1) | instskip(NEXT) | instid1(VALU_DEP_1)
	v_dual_add_f32 v14, v14, v147 :: v_dual_add_f32 v1, v1, v16
	v_add_f32_e32 v1, v1, v17
	s_delay_alu instid0(VALU_DEP_2) | instskip(NEXT) | instid1(VALU_DEP_2)
	v_add_f32_e32 v17, v14, v149
	v_add_f32_e32 v1, v1, v130
	s_delay_alu instid0(VALU_DEP_2) | instskip(NEXT) | instid1(VALU_DEP_2)
	v_add_f32_e32 v17, v17, v151
	;; [unrolled: 3-line block ×4, first 2 shown]
	v_add_f32_e32 v6, v1, v140
	ds_load_b128 v[1:4], v21 offset:704
	v_dual_add_f32 v25, v17, v157 :: v_dual_add_f32 v6, v6, v142
	s_delay_alu instid0(VALU_DEP_1)
	v_dual_add_f32 v128, v25, v159 :: v_dual_add_f32 v13, v6, v144
	ds_load_b128 v[5:8], v21 offset:720
	s_wait_loadcnt_dscnt 0x1
	v_mul_f32_e32 v22, v1, v10
	v_mul_f32_e32 v124, v3, v12
	;; [unrolled: 1-line block ×4, first 2 shown]
	s_delay_alu instid0(VALU_DEP_4) | instskip(NEXT) | instid1(VALU_DEP_4)
	v_fmac_f32_e32 v22, v2, v9
	v_fmac_f32_e32 v124, v4, v11
	s_delay_alu instid0(VALU_DEP_4) | instskip(NEXT) | instid1(VALU_DEP_4)
	v_fma_f32 v125, v1, v9, -v10
	v_fma_f32 v126, v3, v11, -v12
	s_clause 0x1
	scratch_load_b128 v[1:4], off, off offset:336
	scratch_load_b128 v[9:12], off, off offset:352
	v_add_f32_e32 v13, v13, v146
	s_delay_alu instid0(VALU_DEP_1) | instskip(NEXT) | instid1(VALU_DEP_1)
	v_add_f32_e32 v13, v13, v148
	v_add_f32_e32 v13, v13, v150
	s_delay_alu instid0(VALU_DEP_1) | instskip(SKIP_2) | instid1(VALU_DEP_1)
	v_add_f32_e32 v18, v13, v152
	scratch_load_b128 v[13:16], off, off offset:368
	v_add_f32_e32 v18, v18, v154
	v_add_f32_e32 v18, v18, v156
	s_delay_alu instid0(VALU_DEP_1)
	v_add_f32_e32 v24, v18, v158
	ds_load_b128 v[17:20], v21 offset:736
	v_add_f32_e32 v127, v24, v160
	ds_load_b128 v[24:27], v21 offset:752
	s_wait_loadcnt_dscnt 0x101
	v_dual_mul_f32 v129, v7, v4 :: v_dual_mul_f32 v130, v17, v10
	v_add_f32_e32 v21, v127, v162
	v_dual_add_f32 v127, v128, v161 :: v_dual_mul_f32 v128, v5, v2
	v_mul_f32_e32 v2, v6, v2
	v_mul_f32_e32 v4, v8, v4
	s_delay_alu instid0(VALU_DEP_4) | instskip(NEXT) | instid1(VALU_DEP_4)
	v_add_f32_e32 v21, v21, v164
	v_dual_fmac_f32 v129, v8, v3 :: v_dual_fmac_f32 v128, v6, v1
	s_delay_alu instid0(VALU_DEP_4) | instskip(SKIP_1) | instid1(VALU_DEP_4)
	v_fma_f32 v2, v5, v1, -v2
	v_mul_f32_e32 v6, v18, v10
	v_add_f32_e32 v21, v21, v166
	v_fma_f32 v3, v7, v3, -v4
	v_mul_f32_e32 v131, v19, v12
	v_mul_f32_e32 v4, v20, v12
	s_delay_alu instid0(VALU_DEP_4)
	v_dual_fmac_f32 v130, v18, v9 :: v_dual_add_f32 v21, v21, v168
	s_wait_loadcnt_dscnt 0x0
	v_dual_mul_f32 v134, v24, v14 :: v_dual_add_f32 v127, v127, v163
	v_fmac_f32_e32 v131, v20, v11
	v_fma_f32 v4, v19, v11, -v4
	v_add_f32_e32 v21, v21, v125
	s_delay_alu instid0(VALU_DEP_4) | instskip(SKIP_2) | instid1(VALU_DEP_4)
	v_fmac_f32_e32 v134, v25, v13
	v_add_f32_e32 v127, v127, v165
	v_mul_f32_e32 v125, v26, v16
	v_add_f32_e32 v1, v21, v126
	s_delay_alu instid0(VALU_DEP_3) | instskip(NEXT) | instid1(VALU_DEP_3)
	v_add_f32_e32 v127, v127, v167
	v_fmac_f32_e32 v125, v27, v15
	s_delay_alu instid0(VALU_DEP_3) | instskip(NEXT) | instid1(VALU_DEP_1)
	v_add_f32_e32 v1, v1, v2
	v_dual_add_f32 v22, v127, v22 :: v_dual_add_f32 v1, v1, v3
	v_mul_f32_e32 v3, v25, v14
	s_delay_alu instid0(VALU_DEP_2) | instskip(NEXT) | instid1(VALU_DEP_2)
	v_add_f32_e32 v5, v22, v124
	v_fma_f32 v3, v24, v13, -v3
	s_delay_alu instid0(VALU_DEP_2) | instskip(SKIP_1) | instid1(VALU_DEP_2)
	v_add_f32_e32 v2, v5, v128
	v_fma_f32 v5, v17, v9, -v6
	v_add_f32_e32 v2, v2, v129
	s_delay_alu instid0(VALU_DEP_2) | instskip(NEXT) | instid1(VALU_DEP_2)
	v_add_f32_e32 v1, v1, v5
	v_dual_mul_f32 v5, v27, v16 :: v_dual_add_f32 v2, v2, v130
	s_delay_alu instid0(VALU_DEP_2) | instskip(NEXT) | instid1(VALU_DEP_2)
	v_add_f32_e32 v1, v1, v4
	v_fma_f32 v4, v26, v15, -v5
	s_delay_alu instid0(VALU_DEP_3) | instskip(NEXT) | instid1(VALU_DEP_1)
	v_add_f32_e32 v2, v2, v131
	v_dual_add_f32 v1, v1, v3 :: v_dual_add_f32 v2, v2, v134
	s_delay_alu instid0(VALU_DEP_1) | instskip(NEXT) | instid1(VALU_DEP_1)
	v_dual_add_f32 v1, v1, v4 :: v_dual_add_f32 v2, v2, v125
	v_dual_sub_f32 v1, v132, v1 :: v_dual_sub_f32 v2, v133, v2
	scratch_store_b64 off, v[1:2], off offset:88
	v_cmpx_lt_u32_e32 10, v0
	s_cbranch_execz .LBB111_281
; %bb.280:
	scratch_load_b64 v[1:2], off, off offset:80
	v_mov_b32_e32 v3, 0
	s_delay_alu instid0(VALU_DEP_1)
	v_mov_b32_e32 v4, v3
	scratch_store_b64 off, v[3:4], off offset:80
	s_wait_loadcnt 0x0
	ds_store_b64 v23, v[1:2]
.LBB111_281:
	s_wait_alu 0xfffe
	s_or_b32 exec_lo, exec_lo, s0
	s_wait_storecnt_dscnt 0x0
	s_barrier_signal -1
	s_barrier_wait -1
	global_inv scope:SCOPE_SE
	s_clause 0x4
	scratch_load_b128 v[5:8], off, off offset:88
	scratch_load_b128 v[1:4], off, off offset:104
	;; [unrolled: 1-line block ×5, first 2 shown]
	v_mov_b32_e32 v21, 0
	ds_load_2addr_b64 v[24:27], v21 offset0:59 offset1:60
	ds_load_2addr_b64 v[124:127], v21 offset0:61 offset1:62
	;; [unrolled: 1-line block ×3, first 2 shown]
	scratch_load_b64 v[132:133], off, off offset:80
	s_mov_b32 s0, exec_lo
	s_wait_loadcnt_dscnt 0x502
	v_mul_f32_e32 v22, v25, v6
	v_dual_mul_f32 v134, v24, v6 :: v_dual_mul_f32 v135, v26, v8
	v_mul_f32_e32 v6, v27, v8
	s_delay_alu instid0(VALU_DEP_3) | instskip(NEXT) | instid1(VALU_DEP_3)
	v_fma_f32 v22, v24, v5, -v22
	v_dual_fmac_f32 v134, v25, v5 :: v_dual_fmac_f32 v135, v27, v7
	s_wait_loadcnt_dscnt 0x401
	v_mul_f32_e32 v25, v124, v2
	v_fma_f32 v24, v26, v7, -v6
	ds_load_2addr_b64 v[5:8], v21 offset0:65 offset1:66
	s_wait_loadcnt_dscnt 0x301
	v_dual_mul_f32 v26, v126, v4 :: v_dual_mul_f32 v27, v128, v10
	v_dual_mul_f32 v4, v127, v4 :: v_dual_fmac_f32 v25, v125, v1
	v_mul_f32_e32 v10, v129, v10
	s_delay_alu instid0(VALU_DEP_3)
	v_dual_mul_f32 v136, v130, v12 :: v_dual_fmac_f32 v27, v129, v9
	v_mul_f32_e32 v12, v131, v12
	v_mul_f32_e32 v2, v125, v2
	v_fmac_f32_e32 v26, v127, v3
	v_fma_f32 v125, v126, v3, -v4
	v_fma_f32 v126, v128, v9, -v10
	v_fmac_f32_e32 v136, v131, v11
	v_fma_f32 v127, v130, v11, -v12
	ds_load_2addr_b64 v[9:12], v21 offset0:67 offset1:68
	s_wait_loadcnt_dscnt 0x201
	v_mul_f32_e32 v129, v7, v16
	v_fma_f32 v124, v124, v1, -v2
	scratch_load_b128 v[1:4], off, off offset:168
	v_mul_f32_e32 v128, v5, v14
	v_mul_f32_e32 v14, v6, v14
	;; [unrolled: 1-line block ×3, first 2 shown]
	s_delay_alu instid0(VALU_DEP_3) | instskip(NEXT) | instid1(VALU_DEP_3)
	v_dual_fmac_f32 v129, v8, v15 :: v_dual_fmac_f32 v128, v6, v13
	v_fma_f32 v13, v5, v13, -v14
	s_delay_alu instid0(VALU_DEP_3)
	v_fma_f32 v14, v7, v15, -v16
	ds_load_2addr_b64 v[5:8], v21 offset0:69 offset1:70
	s_wait_loadcnt_dscnt 0x201
	v_mul_f32_e32 v15, v9, v18
	v_mul_f32_e32 v16, v10, v18
	;; [unrolled: 1-line block ×3, first 2 shown]
	s_delay_alu instid0(VALU_DEP_3) | instskip(NEXT) | instid1(VALU_DEP_3)
	v_dual_mul_f32 v20, v12, v20 :: v_dual_fmac_f32 v15, v10, v17
	v_fma_f32 v16, v9, v17, -v16
	s_delay_alu instid0(VALU_DEP_3) | instskip(NEXT) | instid1(VALU_DEP_3)
	v_fmac_f32_e32 v18, v12, v19
	v_fma_f32 v17, v11, v19, -v20
	scratch_load_b128 v[9:12], off, off offset:184
	s_wait_loadcnt_dscnt 0x100
	v_mul_f32_e32 v19, v5, v2
	v_mul_f32_e32 v2, v6, v2
	;; [unrolled: 1-line block ×3, first 2 shown]
	s_delay_alu instid0(VALU_DEP_3) | instskip(NEXT) | instid1(VALU_DEP_3)
	v_dual_mul_f32 v4, v8, v4 :: v_dual_fmac_f32 v19, v6, v1
	v_fma_f32 v130, v5, v1, -v2
	s_delay_alu instid0(VALU_DEP_3) | instskip(NEXT) | instid1(VALU_DEP_3)
	v_fmac_f32_e32 v20, v8, v3
	v_fma_f32 v131, v7, v3, -v4
	ds_load_2addr_b64 v[1:4], v21 offset0:71 offset1:72
	ds_load_2addr_b64 v[5:8], v21 offset0:73 offset1:74
	s_wait_loadcnt_dscnt 0x1
	v_mul_f32_e32 v137, v1, v10
	v_mul_f32_e32 v10, v2, v10
	s_delay_alu instid0(VALU_DEP_2) | instskip(NEXT) | instid1(VALU_DEP_2)
	v_dual_mul_f32 v138, v3, v12 :: v_dual_fmac_f32 v137, v2, v9
	v_fma_f32 v139, v1, v9, -v10
	v_mul_f32_e32 v1, v4, v12
	s_delay_alu instid0(VALU_DEP_3) | instskip(NEXT) | instid1(VALU_DEP_2)
	v_fmac_f32_e32 v138, v4, v11
	v_fma_f32 v140, v3, v11, -v1
	s_clause 0x1
	scratch_load_b128 v[1:4], off, off offset:200
	scratch_load_b128 v[9:12], off, off offset:216
	s_wait_loadcnt_dscnt 0x100
	v_mul_f32_e32 v141, v5, v2
	v_dual_mul_f32 v2, v6, v2 :: v_dual_mul_f32 v143, v7, v4
	s_delay_alu instid0(VALU_DEP_2) | instskip(NEXT) | instid1(VALU_DEP_2)
	v_fmac_f32_e32 v141, v6, v1
	v_fma_f32 v142, v5, v1, -v2
	v_mul_f32_e32 v1, v8, v4
	s_delay_alu instid0(VALU_DEP_4) | instskip(NEXT) | instid1(VALU_DEP_2)
	v_fmac_f32_e32 v143, v8, v3
	v_fma_f32 v144, v7, v3, -v1
	ds_load_2addr_b64 v[1:4], v21 offset0:75 offset1:76
	ds_load_2addr_b64 v[5:8], v21 offset0:77 offset1:78
	s_wait_loadcnt_dscnt 0x1
	v_mul_f32_e32 v145, v1, v10
	v_mul_f32_e32 v147, v3, v12
	s_delay_alu instid0(VALU_DEP_2) | instskip(NEXT) | instid1(VALU_DEP_2)
	v_fmac_f32_e32 v145, v2, v9
	v_dual_mul_f32 v2, v2, v10 :: v_dual_fmac_f32 v147, v4, v11
	s_delay_alu instid0(VALU_DEP_1) | instskip(SKIP_1) | instid1(VALU_DEP_1)
	v_fma_f32 v146, v1, v9, -v2
	v_mul_f32_e32 v1, v4, v12
	v_fma_f32 v148, v3, v11, -v1
	s_clause 0x1
	scratch_load_b128 v[1:4], off, off offset:232
	scratch_load_b128 v[9:12], off, off offset:248
	s_wait_loadcnt_dscnt 0x100
	v_mul_f32_e32 v149, v5, v2
	v_dual_mul_f32 v151, v7, v4 :: v_dual_mul_f32 v2, v6, v2
	s_delay_alu instid0(VALU_DEP_2) | instskip(NEXT) | instid1(VALU_DEP_2)
	v_fmac_f32_e32 v149, v6, v1
	v_fmac_f32_e32 v151, v8, v3
	s_delay_alu instid0(VALU_DEP_3) | instskip(SKIP_1) | instid1(VALU_DEP_1)
	v_fma_f32 v150, v5, v1, -v2
	v_mul_f32_e32 v1, v8, v4
	v_fma_f32 v152, v7, v3, -v1
	ds_load_2addr_b64 v[1:4], v21 offset0:79 offset1:80
	ds_load_2addr_b64 v[5:8], v21 offset0:81 offset1:82
	s_wait_loadcnt_dscnt 0x1
	v_mul_f32_e32 v153, v1, v10
	v_mul_f32_e32 v155, v3, v12
	s_delay_alu instid0(VALU_DEP_2) | instskip(NEXT) | instid1(VALU_DEP_2)
	v_fmac_f32_e32 v153, v2, v9
	v_dual_mul_f32 v2, v2, v10 :: v_dual_fmac_f32 v155, v4, v11
	s_delay_alu instid0(VALU_DEP_1) | instskip(SKIP_1) | instid1(VALU_DEP_1)
	v_fma_f32 v154, v1, v9, -v2
	v_mul_f32_e32 v1, v4, v12
	v_fma_f32 v156, v3, v11, -v1
	s_clause 0x1
	scratch_load_b128 v[1:4], off, off offset:264
	scratch_load_b128 v[9:12], off, off offset:280
	s_wait_loadcnt_dscnt 0x100
	v_mul_f32_e32 v157, v5, v2
	v_dual_mul_f32 v2, v6, v2 :: v_dual_mul_f32 v159, v7, v4
	s_delay_alu instid0(VALU_DEP_2) | instskip(NEXT) | instid1(VALU_DEP_2)
	v_fmac_f32_e32 v157, v6, v1
	v_fma_f32 v158, v5, v1, -v2
	v_mul_f32_e32 v1, v8, v4
	s_delay_alu instid0(VALU_DEP_4) | instskip(NEXT) | instid1(VALU_DEP_2)
	v_fmac_f32_e32 v159, v8, v3
	v_fma_f32 v160, v7, v3, -v1
	ds_load_2addr_b64 v[1:4], v21 offset0:83 offset1:84
	ds_load_2addr_b64 v[5:8], v21 offset0:85 offset1:86
	s_wait_loadcnt_dscnt 0x1
	v_mul_f32_e32 v161, v1, v10
	v_mul_f32_e32 v163, v3, v12
	s_delay_alu instid0(VALU_DEP_2) | instskip(NEXT) | instid1(VALU_DEP_2)
	v_fmac_f32_e32 v161, v2, v9
	v_dual_mul_f32 v2, v2, v10 :: v_dual_fmac_f32 v163, v4, v11
	s_delay_alu instid0(VALU_DEP_1) | instskip(SKIP_1) | instid1(VALU_DEP_1)
	v_fma_f32 v162, v1, v9, -v2
	v_mul_f32_e32 v1, v4, v12
	v_fma_f32 v164, v3, v11, -v1
	s_clause 0x1
	scratch_load_b128 v[1:4], off, off offset:296
	scratch_load_b128 v[9:12], off, off offset:312
	s_wait_loadcnt_dscnt 0x100
	v_mul_f32_e32 v165, v5, v2
	v_mul_f32_e32 v2, v6, v2
	s_delay_alu instid0(VALU_DEP_1) | instskip(SKIP_1) | instid1(VALU_DEP_1)
	v_fma_f32 v166, v5, v1, -v2
	v_add_f32_e32 v2, 0, v134
	v_add_f32_e32 v2, v2, v135
	s_delay_alu instid0(VALU_DEP_1) | instskip(NEXT) | instid1(VALU_DEP_1)
	v_add_f32_e32 v2, v2, v25
	v_add_f32_e32 v2, v2, v26
	s_delay_alu instid0(VALU_DEP_1) | instskip(NEXT) | instid1(VALU_DEP_1)
	;; [unrolled: 3-line block ×4, first 2 shown]
	v_add_f32_e32 v2, v2, v15
	v_add_f32_e32 v2, v2, v18
	s_delay_alu instid0(VALU_DEP_1) | instskip(SKIP_2) | instid1(VALU_DEP_3)
	v_add_f32_e32 v2, v2, v19
	v_fmac_f32_e32 v165, v6, v1
	v_mul_f32_e32 v1, v8, v4
	v_add_f32_e32 v2, v2, v20
	s_delay_alu instid0(VALU_DEP_2) | instskip(SKIP_1) | instid1(VALU_DEP_1)
	v_fma_f32 v168, v7, v3, -v1
	v_add_f32_e32 v1, 0, v22
	v_add_f32_e32 v1, v1, v24
	s_delay_alu instid0(VALU_DEP_1) | instskip(NEXT) | instid1(VALU_DEP_1)
	v_add_f32_e32 v1, v1, v124
	v_add_f32_e32 v1, v1, v125
	scratch_load_b64 v[124:125], off, off offset:376
	v_add_f32_e32 v1, v1, v126
	s_delay_alu instid0(VALU_DEP_1) | instskip(NEXT) | instid1(VALU_DEP_1)
	v_add_f32_e32 v1, v1, v127
	v_add_f32_e32 v1, v1, v13
	s_delay_alu instid0(VALU_DEP_1) | instskip(NEXT) | instid1(VALU_DEP_1)
	v_add_f32_e32 v1, v1, v14
	;; [unrolled: 3-line block ×5, first 2 shown]
	v_dual_mul_f32 v167, v7, v4 :: v_dual_add_f32 v6, v6, v142
	s_delay_alu instid0(VALU_DEP_1) | instskip(NEXT) | instid1(VALU_DEP_2)
	v_fmac_f32_e32 v167, v8, v3
	v_add_f32_e32 v13, v6, v144
	s_delay_alu instid0(VALU_DEP_1) | instskip(NEXT) | instid1(VALU_DEP_1)
	v_add_f32_e32 v13, v13, v146
	v_add_f32_e32 v13, v13, v148
	s_delay_alu instid0(VALU_DEP_1) | instskip(SKIP_4) | instid1(VALU_DEP_1)
	v_add_f32_e32 v13, v13, v150
	v_add_f32_e32 v5, v2, v137
	ds_load_2addr_b64 v[1:4], v21 offset0:87 offset1:88
	v_add_f32_e32 v18, v13, v152
	v_add_f32_e32 v5, v5, v138
	v_dual_add_f32 v18, v18, v154 :: v_dual_add_f32 v5, v5, v141
	s_delay_alu instid0(VALU_DEP_1) | instskip(NEXT) | instid1(VALU_DEP_2)
	v_add_f32_e32 v18, v18, v156
	v_add_f32_e32 v14, v5, v143
	ds_load_2addr_b64 v[5:8], v21 offset0:89 offset1:90
	v_add_f32_e32 v18, v18, v158
	v_add_f32_e32 v14, v14, v145
	s_wait_loadcnt_dscnt 0x101
	v_mul_f32_e32 v22, v1, v10
	v_mul_f32_e32 v10, v2, v10
	;; [unrolled: 1-line block ×4, first 2 shown]
	v_add_f32_e32 v14, v14, v147
	v_fmac_f32_e32 v22, v2, v9
	v_fma_f32 v129, v1, v9, -v10
	v_fmac_f32_e32 v128, v4, v11
	v_fma_f32 v130, v3, v11, -v12
	s_clause 0x1
	scratch_load_b128 v[1:4], off, off offset:328
	scratch_load_b128 v[9:12], off, off offset:344
	v_add_f32_e32 v17, v14, v149
	scratch_load_b128 v[13:16], off, off offset:360
	v_dual_add_f32 v18, v18, v160 :: v_dual_add_f32 v17, v17, v151
	s_delay_alu instid0(VALU_DEP_1) | instskip(NEXT) | instid1(VALU_DEP_1)
	v_dual_add_f32 v126, v18, v162 :: v_dual_add_f32 v17, v17, v153
	v_add_f32_e32 v131, v126, v164
	s_wait_loadcnt_dscnt 0x200
	s_delay_alu instid0(VALU_DEP_2) | instskip(NEXT) | instid1(VALU_DEP_1)
	v_dual_add_f32 v17, v17, v155 :: v_dual_mul_f32 v136, v7, v4
	v_dual_add_f32 v17, v17, v157 :: v_dual_mul_f32 v4, v8, v4
	s_delay_alu instid0(VALU_DEP_2) | instskip(NEXT) | instid1(VALU_DEP_2)
	v_dual_fmac_f32 v136, v8, v3 :: v_dual_mul_f32 v135, v5, v2
	v_add_f32_e32 v24, v17, v159
	ds_load_2addr_b64 v[17:20], v21 offset0:91 offset1:92
	v_mul_f32_e32 v2, v6, v2
	v_fmac_f32_e32 v135, v6, v1
	v_add_f32_e32 v131, v131, v166
	s_delay_alu instid0(VALU_DEP_3) | instskip(SKIP_1) | instid1(VALU_DEP_3)
	v_fma_f32 v2, v5, v1, -v2
	v_fma_f32 v1, v7, v3, -v4
	v_add_f32_e32 v131, v131, v168
	s_delay_alu instid0(VALU_DEP_1) | instskip(NEXT) | instid1(VALU_DEP_1)
	v_add_f32_e32 v129, v131, v129
	v_add_f32_e32 v129, v129, v130
	;; [unrolled: 1-line block ×3, first 2 shown]
	ds_load_2addr_b64 v[24:27], v21 offset0:93 offset1:94
	s_wait_loadcnt_dscnt 0x101
	v_mul_f32_e32 v3, v18, v10
	v_add_f32_e32 v2, v129, v2
	v_add_f32_e32 v134, v127, v163
	ds_load_b64 v[126:127], v21 offset:760
	v_fma_f32 v3, v17, v9, -v3
	v_add_f32_e32 v1, v2, v1
	v_add_f32_e32 v134, v134, v165
	s_delay_alu instid0(VALU_DEP_1) | instskip(NEXT) | instid1(VALU_DEP_1)
	v_add_f32_e32 v134, v134, v167
	v_add_f32_e32 v22, v134, v22
	s_wait_loadcnt_dscnt 0x1
	v_dual_mul_f32 v130, v26, v16 :: v_dual_mul_f32 v131, v17, v10
	v_mul_f32_e32 v134, v19, v12
	s_delay_alu instid0(VALU_DEP_3) | instskip(NEXT) | instid1(VALU_DEP_3)
	v_add_f32_e32 v22, v22, v128
	v_dual_fmac_f32 v130, v27, v15 :: v_dual_fmac_f32 v131, v18, v9
	s_wait_dscnt 0x0
	v_dual_mul_f32 v128, v126, v125 :: v_dual_mul_f32 v137, v24, v14
	s_delay_alu instid0(VALU_DEP_3) | instskip(SKIP_1) | instid1(VALU_DEP_3)
	v_add_f32_e32 v4, v22, v135
	v_fmac_f32_e32 v134, v20, v11
	v_dual_fmac_f32 v128, v127, v124 :: v_dual_fmac_f32 v137, v25, v13
	s_delay_alu instid0(VALU_DEP_3) | instskip(SKIP_1) | instid1(VALU_DEP_2)
	v_add_f32_e32 v2, v4, v136
	v_mul_f32_e32 v4, v25, v14
	v_dual_add_f32 v2, v2, v131 :: v_dual_mul_f32 v5, v20, v12
	s_delay_alu instid0(VALU_DEP_2) | instskip(NEXT) | instid1(VALU_DEP_2)
	v_fma_f32 v4, v24, v13, -v4
	v_add_f32_e32 v2, v2, v134
	s_delay_alu instid0(VALU_DEP_3) | instskip(NEXT) | instid1(VALU_DEP_2)
	v_fma_f32 v5, v19, v11, -v5
	v_dual_add_f32 v2, v2, v137 :: v_dual_add_f32 v1, v1, v3
	s_delay_alu instid0(VALU_DEP_1) | instskip(NEXT) | instid1(VALU_DEP_2)
	v_dual_mul_f32 v3, v27, v16 :: v_dual_add_f32 v2, v2, v130
	v_add_f32_e32 v1, v1, v5
	v_mul_f32_e32 v5, v127, v125
	s_delay_alu instid0(VALU_DEP_3) | instskip(NEXT) | instid1(VALU_DEP_4)
	v_fma_f32 v3, v26, v15, -v3
	v_add_f32_e32 v2, v2, v128
	s_delay_alu instid0(VALU_DEP_4) | instskip(NEXT) | instid1(VALU_DEP_4)
	v_add_f32_e32 v1, v1, v4
	v_fma_f32 v4, v126, v124, -v5
	s_delay_alu instid0(VALU_DEP_3) | instskip(NEXT) | instid1(VALU_DEP_3)
	v_sub_f32_e32 v2, v133, v2
	v_add_f32_e32 v1, v1, v3
	s_delay_alu instid0(VALU_DEP_1) | instskip(NEXT) | instid1(VALU_DEP_1)
	v_add_f32_e32 v1, v1, v4
	v_sub_f32_e32 v1, v132, v1
	scratch_store_b64 off, v[1:2], off offset:80
	v_cmpx_lt_u32_e32 9, v0
	s_cbranch_execz .LBB111_283
; %bb.282:
	scratch_load_b64 v[1:2], off, off offset:72
	v_mov_b32_e32 v22, v21
	scratch_store_b64 off, v[21:22], off offset:72
	s_wait_loadcnt 0x0
	ds_store_b64 v23, v[1:2]
.LBB111_283:
	s_wait_alu 0xfffe
	s_or_b32 exec_lo, exec_lo, s0
	s_wait_storecnt_dscnt 0x0
	s_barrier_signal -1
	s_barrier_wait -1
	global_inv scope:SCOPE_SE
	s_clause 0x4
	scratch_load_b128 v[5:8], off, off offset:80
	scratch_load_b128 v[1:4], off, off offset:96
	scratch_load_b128 v[9:12], off, off offset:112
	scratch_load_b128 v[13:16], off, off offset:128
	scratch_load_b128 v[17:20], off, off offset:144
	ds_load_b128 v[24:27], v21 offset:464
	ds_load_b128 v[124:127], v21 offset:480
	;; [unrolled: 1-line block ×3, first 2 shown]
	scratch_load_b64 v[132:133], off, off offset:72
	s_mov_b32 s0, exec_lo
	s_wait_loadcnt_dscnt 0x502
	v_dual_mul_f32 v22, v25, v6 :: v_dual_mul_f32 v135, v26, v8
	v_mul_f32_e32 v134, v24, v6
	v_mul_f32_e32 v6, v27, v8
	s_wait_loadcnt_dscnt 0x300
	v_mul_f32_e32 v136, v130, v12
	v_fma_f32 v22, v24, v5, -v22
	v_dual_fmac_f32 v135, v27, v7 :: v_dual_fmac_f32 v134, v25, v5
	v_mul_f32_e32 v27, v128, v10
	v_mul_f32_e32 v25, v124, v2
	v_fma_f32 v24, v26, v7, -v6
	ds_load_b128 v[5:8], v21 offset:512
	v_mul_f32_e32 v26, v126, v4
	v_dual_mul_f32 v4, v127, v4 :: v_dual_fmac_f32 v27, v129, v9
	v_mul_f32_e32 v10, v129, v10
	v_mul_f32_e32 v12, v131, v12
	;; [unrolled: 1-line block ×3, first 2 shown]
	v_dual_fmac_f32 v25, v125, v1 :: v_dual_fmac_f32 v26, v127, v3
	v_fma_f32 v125, v126, v3, -v4
	v_fma_f32 v126, v128, v9, -v10
	v_fmac_f32_e32 v136, v131, v11
	v_fma_f32 v127, v130, v11, -v12
	ds_load_b128 v[9:12], v21 offset:528
	s_wait_loadcnt_dscnt 0x201
	v_mul_f32_e32 v129, v7, v16
	v_fma_f32 v124, v124, v1, -v2
	scratch_load_b128 v[1:4], off, off offset:160
	v_mul_f32_e32 v128, v5, v14
	v_mul_f32_e32 v14, v6, v14
	;; [unrolled: 1-line block ×3, first 2 shown]
	s_delay_alu instid0(VALU_DEP_3) | instskip(NEXT) | instid1(VALU_DEP_3)
	v_dual_fmac_f32 v129, v8, v15 :: v_dual_fmac_f32 v128, v6, v13
	v_fma_f32 v13, v5, v13, -v14
	s_delay_alu instid0(VALU_DEP_3)
	v_fma_f32 v14, v7, v15, -v16
	ds_load_b128 v[5:8], v21 offset:544
	s_wait_loadcnt_dscnt 0x201
	v_mul_f32_e32 v15, v9, v18
	v_mul_f32_e32 v16, v10, v18
	;; [unrolled: 1-line block ×3, first 2 shown]
	s_delay_alu instid0(VALU_DEP_3) | instskip(NEXT) | instid1(VALU_DEP_3)
	v_dual_mul_f32 v20, v12, v20 :: v_dual_fmac_f32 v15, v10, v17
	v_fma_f32 v16, v9, v17, -v16
	s_delay_alu instid0(VALU_DEP_3) | instskip(NEXT) | instid1(VALU_DEP_3)
	v_fmac_f32_e32 v18, v12, v19
	v_fma_f32 v17, v11, v19, -v20
	scratch_load_b128 v[9:12], off, off offset:176
	s_wait_loadcnt_dscnt 0x100
	v_mul_f32_e32 v19, v5, v2
	v_mul_f32_e32 v2, v6, v2
	;; [unrolled: 1-line block ×3, first 2 shown]
	s_delay_alu instid0(VALU_DEP_3) | instskip(NEXT) | instid1(VALU_DEP_3)
	v_dual_mul_f32 v4, v8, v4 :: v_dual_fmac_f32 v19, v6, v1
	v_fma_f32 v130, v5, v1, -v2
	s_delay_alu instid0(VALU_DEP_3) | instskip(NEXT) | instid1(VALU_DEP_3)
	v_fmac_f32_e32 v20, v8, v3
	v_fma_f32 v131, v7, v3, -v4
	ds_load_b128 v[1:4], v21 offset:560
	ds_load_b128 v[5:8], v21 offset:576
	s_wait_loadcnt_dscnt 0x1
	v_mul_f32_e32 v137, v1, v10
	v_mul_f32_e32 v10, v2, v10
	s_delay_alu instid0(VALU_DEP_2) | instskip(NEXT) | instid1(VALU_DEP_2)
	v_dual_mul_f32 v138, v3, v12 :: v_dual_fmac_f32 v137, v2, v9
	v_fma_f32 v139, v1, v9, -v10
	v_mul_f32_e32 v1, v4, v12
	s_delay_alu instid0(VALU_DEP_3) | instskip(NEXT) | instid1(VALU_DEP_2)
	v_fmac_f32_e32 v138, v4, v11
	v_fma_f32 v140, v3, v11, -v1
	s_clause 0x1
	scratch_load_b128 v[1:4], off, off offset:192
	scratch_load_b128 v[9:12], off, off offset:208
	s_wait_loadcnt_dscnt 0x100
	v_mul_f32_e32 v141, v5, v2
	v_dual_mul_f32 v2, v6, v2 :: v_dual_mul_f32 v143, v7, v4
	s_delay_alu instid0(VALU_DEP_2) | instskip(NEXT) | instid1(VALU_DEP_2)
	v_fmac_f32_e32 v141, v6, v1
	v_fma_f32 v142, v5, v1, -v2
	v_mul_f32_e32 v1, v8, v4
	s_delay_alu instid0(VALU_DEP_4) | instskip(NEXT) | instid1(VALU_DEP_2)
	v_fmac_f32_e32 v143, v8, v3
	v_fma_f32 v144, v7, v3, -v1
	ds_load_b128 v[1:4], v21 offset:592
	ds_load_b128 v[5:8], v21 offset:608
	s_wait_loadcnt_dscnt 0x1
	v_mul_f32_e32 v145, v1, v10
	v_mul_f32_e32 v147, v3, v12
	s_delay_alu instid0(VALU_DEP_2) | instskip(NEXT) | instid1(VALU_DEP_2)
	v_fmac_f32_e32 v145, v2, v9
	v_dual_mul_f32 v2, v2, v10 :: v_dual_fmac_f32 v147, v4, v11
	s_delay_alu instid0(VALU_DEP_1) | instskip(SKIP_1) | instid1(VALU_DEP_1)
	v_fma_f32 v146, v1, v9, -v2
	v_mul_f32_e32 v1, v4, v12
	v_fma_f32 v148, v3, v11, -v1
	s_clause 0x1
	scratch_load_b128 v[1:4], off, off offset:224
	scratch_load_b128 v[9:12], off, off offset:240
	s_wait_loadcnt_dscnt 0x100
	v_mul_f32_e32 v149, v5, v2
	v_dual_mul_f32 v2, v6, v2 :: v_dual_mul_f32 v151, v7, v4
	s_delay_alu instid0(VALU_DEP_2) | instskip(NEXT) | instid1(VALU_DEP_2)
	v_fmac_f32_e32 v149, v6, v1
	v_fma_f32 v150, v5, v1, -v2
	v_mul_f32_e32 v1, v8, v4
	s_delay_alu instid0(VALU_DEP_4) | instskip(NEXT) | instid1(VALU_DEP_2)
	v_fmac_f32_e32 v151, v8, v3
	v_fma_f32 v152, v7, v3, -v1
	ds_load_b128 v[1:4], v21 offset:624
	ds_load_b128 v[5:8], v21 offset:640
	s_wait_loadcnt_dscnt 0x1
	v_mul_f32_e32 v153, v1, v10
	v_mul_f32_e32 v155, v3, v12
	s_delay_alu instid0(VALU_DEP_2) | instskip(NEXT) | instid1(VALU_DEP_2)
	v_fmac_f32_e32 v153, v2, v9
	v_dual_mul_f32 v2, v2, v10 :: v_dual_fmac_f32 v155, v4, v11
	s_delay_alu instid0(VALU_DEP_1) | instskip(SKIP_1) | instid1(VALU_DEP_1)
	v_fma_f32 v154, v1, v9, -v2
	v_mul_f32_e32 v1, v4, v12
	;; [unrolled: 25-line block ×3, first 2 shown]
	v_fma_f32 v164, v3, v11, -v1
	s_clause 0x1
	scratch_load_b128 v[1:4], off, off offset:288
	scratch_load_b128 v[9:12], off, off offset:304
	s_wait_loadcnt_dscnt 0x100
	v_mul_f32_e32 v165, v5, v2
	v_mul_f32_e32 v2, v6, v2
	s_delay_alu instid0(VALU_DEP_1) | instskip(SKIP_1) | instid1(VALU_DEP_1)
	v_fma_f32 v166, v5, v1, -v2
	v_add_f32_e32 v2, 0, v134
	v_add_f32_e32 v2, v2, v135
	s_delay_alu instid0(VALU_DEP_1) | instskip(NEXT) | instid1(VALU_DEP_1)
	v_add_f32_e32 v2, v2, v25
	v_add_f32_e32 v2, v2, v26
	s_delay_alu instid0(VALU_DEP_1) | instskip(NEXT) | instid1(VALU_DEP_1)
	;; [unrolled: 3-line block ×4, first 2 shown]
	v_dual_add_f32 v2, v2, v15 :: v_dual_mul_f32 v167, v7, v4
	v_add_f32_e32 v2, v2, v18
	s_delay_alu instid0(VALU_DEP_1) | instskip(SKIP_1) | instid1(VALU_DEP_2)
	v_add_f32_e32 v2, v2, v19
	v_fmac_f32_e32 v165, v6, v1
	v_dual_fmac_f32 v167, v8, v3 :: v_dual_add_f32 v2, v2, v20
	s_delay_alu instid0(VALU_DEP_1) | instskip(NEXT) | instid1(VALU_DEP_1)
	v_dual_mul_f32 v1, v8, v4 :: v_dual_add_f32 v2, v2, v137
	v_fma_f32 v168, v7, v3, -v1
	v_add_f32_e32 v1, 0, v22
	s_delay_alu instid0(VALU_DEP_3) | instskip(NEXT) | instid1(VALU_DEP_2)
	v_add_f32_e32 v5, v2, v138
	v_add_f32_e32 v1, v1, v24
	s_delay_alu instid0(VALU_DEP_1) | instskip(NEXT) | instid1(VALU_DEP_1)
	v_add_f32_e32 v1, v1, v124
	v_add_f32_e32 v1, v1, v125
	s_delay_alu instid0(VALU_DEP_1) | instskip(NEXT) | instid1(VALU_DEP_1)
	v_add_f32_e32 v1, v1, v126
	v_add_f32_e32 v1, v1, v127
	s_delay_alu instid0(VALU_DEP_1) | instskip(SKIP_1) | instid1(VALU_DEP_2)
	v_add_f32_e32 v1, v1, v13
	v_add_f32_e32 v13, v5, v141
	;; [unrolled: 1-line block ×3, first 2 shown]
	s_delay_alu instid0(VALU_DEP_2) | instskip(NEXT) | instid1(VALU_DEP_1)
	v_add_f32_e32 v13, v13, v143
	v_add_f32_e32 v13, v13, v145
	s_delay_alu instid0(VALU_DEP_1) | instskip(NEXT) | instid1(VALU_DEP_1)
	v_add_f32_e32 v18, v13, v147
	v_dual_add_f32 v18, v18, v149 :: v_dual_add_f32 v1, v1, v16
	s_delay_alu instid0(VALU_DEP_1) | instskip(NEXT) | instid1(VALU_DEP_1)
	v_add_f32_e32 v18, v18, v151
	v_add_f32_e32 v24, v18, v153
	s_delay_alu instid0(VALU_DEP_1) | instskip(NEXT) | instid1(VALU_DEP_1)
	v_dual_add_f32 v1, v1, v17 :: v_dual_add_f32 v24, v24, v155
	v_add_f32_e32 v1, v1, v130
	s_delay_alu instid0(VALU_DEP_1) | instskip(NEXT) | instid1(VALU_DEP_1)
	v_add_f32_e32 v1, v1, v131
	v_add_f32_e32 v1, v1, v139
	s_delay_alu instid0(VALU_DEP_1) | instskip(NEXT) | instid1(VALU_DEP_1)
	v_add_f32_e32 v1, v1, v140
	v_add_f32_e32 v6, v1, v142
	ds_load_b128 v[1:4], v21 offset:688
	v_add_f32_e32 v24, v24, v157
	v_add_f32_e32 v14, v6, v144
	scratch_load_b128 v[5:8], off, off offset:320
	v_add_f32_e32 v14, v14, v146
	s_delay_alu instid0(VALU_DEP_1)
	v_add_f32_e32 v17, v14, v148
	ds_load_b128 v[13:16], v21 offset:704
	s_wait_loadcnt_dscnt 0x101
	v_mul_f32_e32 v22, v1, v10
	v_mul_f32_e32 v10, v2, v10
	;; [unrolled: 1-line block ×4, first 2 shown]
	s_delay_alu instid0(VALU_DEP_4) | instskip(NEXT) | instid1(VALU_DEP_4)
	v_fmac_f32_e32 v22, v2, v9
	v_fma_f32 v125, v1, v9, -v10
	s_delay_alu instid0(VALU_DEP_4) | instskip(NEXT) | instid1(VALU_DEP_4)
	v_fmac_f32_e32 v124, v4, v11
	v_fma_f32 v126, v3, v11, -v12
	s_clause 0x1
	scratch_load_b128 v[1:4], off, off offset:336
	scratch_load_b128 v[9:12], off, off offset:352
	s_wait_loadcnt_dscnt 0x200
	v_mul_f32_e32 v127, v13, v6
	v_mul_f32_e32 v6, v14, v6
	;; [unrolled: 1-line block ×3, first 2 shown]
	s_delay_alu instid0(VALU_DEP_3) | instskip(NEXT) | instid1(VALU_DEP_3)
	v_dual_mul_f32 v8, v16, v8 :: v_dual_fmac_f32 v127, v14, v5
	v_fma_f32 v129, v13, v5, -v6
	s_delay_alu instid0(VALU_DEP_3) | instskip(NEXT) | instid1(VALU_DEP_3)
	v_fmac_f32_e32 v128, v16, v7
	v_fma_f32 v130, v15, v7, -v8
	ds_load_b128 v[5:8], v21 offset:720
	v_add_f32_e32 v17, v17, v150
	v_add_f32_e32 v13, v24, v159
	s_delay_alu instid0(VALU_DEP_2) | instskip(NEXT) | instid1(VALU_DEP_1)
	v_add_f32_e32 v17, v17, v152
	v_add_f32_e32 v17, v17, v154
	s_delay_alu instid0(VALU_DEP_1) | instskip(SKIP_2) | instid1(VALU_DEP_1)
	v_add_f32_e32 v25, v17, v156
	scratch_load_b128 v[17:20], off, off offset:368
	v_add_f32_e32 v25, v25, v158
	v_add_f32_e32 v25, v25, v160
	s_delay_alu instid0(VALU_DEP_1)
	v_add_f32_e32 v24, v25, v162
	v_add_f32_e32 v25, v13, v161
	ds_load_b128 v[13:16], v21 offset:736
	v_dual_add_f32 v131, v24, v164 :: v_dual_add_f32 v134, v25, v163
	ds_load_b128 v[24:27], v21 offset:752
	v_add_f32_e32 v21, v131, v166
	s_delay_alu instid0(VALU_DEP_1) | instskip(SKIP_2) | instid1(VALU_DEP_1)
	v_add_f32_e32 v21, v21, v168
	s_wait_loadcnt_dscnt 0x101
	v_mul_f32_e32 v135, v15, v12
	v_fmac_f32_e32 v135, v16, v11
	s_delay_alu instid0(VALU_DEP_3) | instskip(NEXT) | instid1(VALU_DEP_1)
	v_add_f32_e32 v21, v21, v125
	v_add_f32_e32 v21, v21, v126
	s_wait_loadcnt_dscnt 0x0
	s_delay_alu instid0(VALU_DEP_1) | instskip(SKIP_2) | instid1(VALU_DEP_3)
	v_dual_add_f32 v21, v21, v129 :: v_dual_mul_f32 v126, v26, v20
	v_dual_add_f32 v131, v134, v165 :: v_dual_mul_f32 v134, v5, v2
	v_mul_f32_e32 v2, v6, v2
	v_fmac_f32_e32 v126, v27, v19
	s_delay_alu instid0(VALU_DEP_3)
	v_add_f32_e32 v131, v131, v167
	v_mul_f32_e32 v125, v7, v4
	v_mul_f32_e32 v4, v8, v4
	v_fma_f32 v2, v5, v1, -v2
	v_fmac_f32_e32 v134, v6, v1
	v_add_f32_e32 v22, v131, v22
	v_add_f32_e32 v1, v21, v130
	v_dual_mul_f32 v6, v14, v10 :: v_dual_fmac_f32 v125, v8, v3
	v_fma_f32 v3, v7, v3, -v4
	s_delay_alu instid0(VALU_DEP_4) | instskip(SKIP_2) | instid1(VALU_DEP_3)
	v_add_f32_e32 v22, v22, v124
	v_mul_f32_e32 v124, v24, v18
	v_dual_add_f32 v1, v1, v2 :: v_dual_mul_f32 v4, v16, v12
	v_add_f32_e32 v22, v22, v127
	s_delay_alu instid0(VALU_DEP_3) | instskip(SKIP_1) | instid1(VALU_DEP_4)
	v_fmac_f32_e32 v124, v25, v17
	v_mul_f32_e32 v131, v13, v10
	v_add_f32_e32 v1, v1, v3
	v_mul_f32_e32 v3, v25, v18
	v_add_f32_e32 v5, v22, v128
	v_fma_f32 v4, v15, v11, -v4
	v_fmac_f32_e32 v131, v14, v9
	s_delay_alu instid0(VALU_DEP_4) | instskip(NEXT) | instid1(VALU_DEP_4)
	v_fma_f32 v3, v24, v17, -v3
	v_add_f32_e32 v2, v5, v134
	v_fma_f32 v5, v13, v9, -v6
	s_delay_alu instid0(VALU_DEP_2) | instskip(NEXT) | instid1(VALU_DEP_2)
	v_add_f32_e32 v2, v2, v125
	v_add_f32_e32 v1, v1, v5
	s_delay_alu instid0(VALU_DEP_2) | instskip(NEXT) | instid1(VALU_DEP_2)
	v_dual_mul_f32 v5, v27, v20 :: v_dual_add_f32 v2, v2, v131
	v_add_f32_e32 v1, v1, v4
	s_delay_alu instid0(VALU_DEP_2) | instskip(NEXT) | instid1(VALU_DEP_3)
	v_fma_f32 v4, v26, v19, -v5
	v_add_f32_e32 v2, v2, v135
	s_delay_alu instid0(VALU_DEP_1) | instskip(NEXT) | instid1(VALU_DEP_1)
	v_dual_add_f32 v1, v1, v3 :: v_dual_add_f32 v2, v2, v124
	v_dual_add_f32 v1, v1, v4 :: v_dual_add_f32 v2, v2, v126
	s_delay_alu instid0(VALU_DEP_1)
	v_dual_sub_f32 v1, v132, v1 :: v_dual_sub_f32 v2, v133, v2
	scratch_store_b64 off, v[1:2], off offset:72
	v_cmpx_lt_u32_e32 8, v0
	s_cbranch_execz .LBB111_285
; %bb.284:
	scratch_load_b64 v[1:2], off, off offset:64
	v_mov_b32_e32 v3, 0
	s_delay_alu instid0(VALU_DEP_1)
	v_mov_b32_e32 v4, v3
	scratch_store_b64 off, v[3:4], off offset:64
	s_wait_loadcnt 0x0
	ds_store_b64 v23, v[1:2]
.LBB111_285:
	s_wait_alu 0xfffe
	s_or_b32 exec_lo, exec_lo, s0
	s_wait_storecnt_dscnt 0x0
	s_barrier_signal -1
	s_barrier_wait -1
	global_inv scope:SCOPE_SE
	s_clause 0x4
	scratch_load_b128 v[5:8], off, off offset:72
	scratch_load_b128 v[1:4], off, off offset:88
	;; [unrolled: 1-line block ×5, first 2 shown]
	v_mov_b32_e32 v21, 0
	ds_load_2addr_b64 v[24:27], v21 offset0:57 offset1:58
	ds_load_2addr_b64 v[124:127], v21 offset0:59 offset1:60
	;; [unrolled: 1-line block ×3, first 2 shown]
	scratch_load_b64 v[132:133], off, off offset:64
	s_mov_b32 s0, exec_lo
	s_wait_loadcnt_dscnt 0x502
	v_mul_f32_e32 v22, v25, v6
	v_dual_mul_f32 v134, v24, v6 :: v_dual_mul_f32 v135, v26, v8
	v_mul_f32_e32 v6, v27, v8
	s_delay_alu instid0(VALU_DEP_3) | instskip(NEXT) | instid1(VALU_DEP_3)
	v_fma_f32 v22, v24, v5, -v22
	v_dual_fmac_f32 v134, v25, v5 :: v_dual_fmac_f32 v135, v27, v7
	s_wait_loadcnt_dscnt 0x401
	v_mul_f32_e32 v25, v124, v2
	v_fma_f32 v24, v26, v7, -v6
	ds_load_2addr_b64 v[5:8], v21 offset0:63 offset1:64
	s_wait_loadcnt_dscnt 0x301
	v_dual_mul_f32 v26, v126, v4 :: v_dual_mul_f32 v27, v128, v10
	v_dual_mul_f32 v4, v127, v4 :: v_dual_fmac_f32 v25, v125, v1
	v_mul_f32_e32 v10, v129, v10
	s_delay_alu instid0(VALU_DEP_3)
	v_dual_mul_f32 v136, v130, v12 :: v_dual_fmac_f32 v27, v129, v9
	v_mul_f32_e32 v12, v131, v12
	v_mul_f32_e32 v2, v125, v2
	v_fmac_f32_e32 v26, v127, v3
	v_fma_f32 v125, v126, v3, -v4
	v_fma_f32 v126, v128, v9, -v10
	v_fmac_f32_e32 v136, v131, v11
	v_fma_f32 v127, v130, v11, -v12
	ds_load_2addr_b64 v[9:12], v21 offset0:65 offset1:66
	s_wait_loadcnt_dscnt 0x201
	v_mul_f32_e32 v129, v7, v16
	v_fma_f32 v124, v124, v1, -v2
	scratch_load_b128 v[1:4], off, off offset:152
	v_mul_f32_e32 v128, v5, v14
	v_mul_f32_e32 v14, v6, v14
	;; [unrolled: 1-line block ×3, first 2 shown]
	s_delay_alu instid0(VALU_DEP_3) | instskip(NEXT) | instid1(VALU_DEP_3)
	v_dual_fmac_f32 v129, v8, v15 :: v_dual_fmac_f32 v128, v6, v13
	v_fma_f32 v13, v5, v13, -v14
	s_delay_alu instid0(VALU_DEP_3)
	v_fma_f32 v14, v7, v15, -v16
	ds_load_2addr_b64 v[5:8], v21 offset0:67 offset1:68
	s_wait_loadcnt_dscnt 0x201
	v_mul_f32_e32 v15, v9, v18
	v_mul_f32_e32 v16, v10, v18
	;; [unrolled: 1-line block ×3, first 2 shown]
	s_delay_alu instid0(VALU_DEP_3) | instskip(NEXT) | instid1(VALU_DEP_3)
	v_dual_mul_f32 v20, v12, v20 :: v_dual_fmac_f32 v15, v10, v17
	v_fma_f32 v16, v9, v17, -v16
	s_delay_alu instid0(VALU_DEP_3) | instskip(NEXT) | instid1(VALU_DEP_3)
	v_fmac_f32_e32 v18, v12, v19
	v_fma_f32 v17, v11, v19, -v20
	scratch_load_b128 v[9:12], off, off offset:168
	s_wait_loadcnt_dscnt 0x100
	v_mul_f32_e32 v19, v5, v2
	v_mul_f32_e32 v2, v6, v2
	;; [unrolled: 1-line block ×3, first 2 shown]
	s_delay_alu instid0(VALU_DEP_3) | instskip(NEXT) | instid1(VALU_DEP_3)
	v_dual_mul_f32 v4, v8, v4 :: v_dual_fmac_f32 v19, v6, v1
	v_fma_f32 v130, v5, v1, -v2
	s_delay_alu instid0(VALU_DEP_3) | instskip(NEXT) | instid1(VALU_DEP_3)
	v_fmac_f32_e32 v20, v8, v3
	v_fma_f32 v131, v7, v3, -v4
	ds_load_2addr_b64 v[1:4], v21 offset0:69 offset1:70
	ds_load_2addr_b64 v[5:8], v21 offset0:71 offset1:72
	s_wait_loadcnt_dscnt 0x1
	v_mul_f32_e32 v137, v1, v10
	v_mul_f32_e32 v10, v2, v10
	s_delay_alu instid0(VALU_DEP_2) | instskip(NEXT) | instid1(VALU_DEP_2)
	v_dual_mul_f32 v138, v3, v12 :: v_dual_fmac_f32 v137, v2, v9
	v_fma_f32 v139, v1, v9, -v10
	v_mul_f32_e32 v1, v4, v12
	s_delay_alu instid0(VALU_DEP_3) | instskip(NEXT) | instid1(VALU_DEP_2)
	v_fmac_f32_e32 v138, v4, v11
	v_fma_f32 v140, v3, v11, -v1
	s_clause 0x1
	scratch_load_b128 v[1:4], off, off offset:184
	scratch_load_b128 v[9:12], off, off offset:200
	s_wait_loadcnt_dscnt 0x100
	v_mul_f32_e32 v141, v5, v2
	v_dual_mul_f32 v2, v6, v2 :: v_dual_mul_f32 v143, v7, v4
	s_delay_alu instid0(VALU_DEP_2) | instskip(NEXT) | instid1(VALU_DEP_2)
	v_fmac_f32_e32 v141, v6, v1
	v_fma_f32 v142, v5, v1, -v2
	v_mul_f32_e32 v1, v8, v4
	s_delay_alu instid0(VALU_DEP_4) | instskip(NEXT) | instid1(VALU_DEP_2)
	v_fmac_f32_e32 v143, v8, v3
	v_fma_f32 v144, v7, v3, -v1
	ds_load_2addr_b64 v[1:4], v21 offset0:73 offset1:74
	ds_load_2addr_b64 v[5:8], v21 offset0:75 offset1:76
	s_wait_loadcnt_dscnt 0x1
	v_mul_f32_e32 v145, v1, v10
	v_mul_f32_e32 v147, v3, v12
	s_delay_alu instid0(VALU_DEP_2) | instskip(NEXT) | instid1(VALU_DEP_2)
	v_fmac_f32_e32 v145, v2, v9
	v_dual_mul_f32 v2, v2, v10 :: v_dual_fmac_f32 v147, v4, v11
	s_delay_alu instid0(VALU_DEP_1) | instskip(SKIP_1) | instid1(VALU_DEP_1)
	v_fma_f32 v146, v1, v9, -v2
	v_mul_f32_e32 v1, v4, v12
	v_fma_f32 v148, v3, v11, -v1
	s_clause 0x1
	scratch_load_b128 v[1:4], off, off offset:216
	scratch_load_b128 v[9:12], off, off offset:232
	s_wait_loadcnt_dscnt 0x100
	v_mul_f32_e32 v149, v5, v2
	v_dual_mul_f32 v151, v7, v4 :: v_dual_mul_f32 v2, v6, v2
	s_delay_alu instid0(VALU_DEP_2) | instskip(NEXT) | instid1(VALU_DEP_2)
	v_fmac_f32_e32 v149, v6, v1
	v_fmac_f32_e32 v151, v8, v3
	s_delay_alu instid0(VALU_DEP_3) | instskip(SKIP_1) | instid1(VALU_DEP_1)
	v_fma_f32 v150, v5, v1, -v2
	v_mul_f32_e32 v1, v8, v4
	v_fma_f32 v152, v7, v3, -v1
	ds_load_2addr_b64 v[1:4], v21 offset0:77 offset1:78
	ds_load_2addr_b64 v[5:8], v21 offset0:79 offset1:80
	s_wait_loadcnt_dscnt 0x1
	v_mul_f32_e32 v153, v1, v10
	v_mul_f32_e32 v155, v3, v12
	s_delay_alu instid0(VALU_DEP_2) | instskip(NEXT) | instid1(VALU_DEP_2)
	v_fmac_f32_e32 v153, v2, v9
	v_dual_mul_f32 v2, v2, v10 :: v_dual_fmac_f32 v155, v4, v11
	s_delay_alu instid0(VALU_DEP_1) | instskip(SKIP_1) | instid1(VALU_DEP_1)
	v_fma_f32 v154, v1, v9, -v2
	v_mul_f32_e32 v1, v4, v12
	v_fma_f32 v156, v3, v11, -v1
	s_clause 0x1
	scratch_load_b128 v[1:4], off, off offset:248
	scratch_load_b128 v[9:12], off, off offset:264
	s_wait_loadcnt_dscnt 0x100
	v_mul_f32_e32 v157, v5, v2
	v_dual_mul_f32 v2, v6, v2 :: v_dual_mul_f32 v159, v7, v4
	s_delay_alu instid0(VALU_DEP_2) | instskip(NEXT) | instid1(VALU_DEP_2)
	v_fmac_f32_e32 v157, v6, v1
	v_fma_f32 v158, v5, v1, -v2
	v_mul_f32_e32 v1, v8, v4
	s_delay_alu instid0(VALU_DEP_4) | instskip(NEXT) | instid1(VALU_DEP_2)
	v_fmac_f32_e32 v159, v8, v3
	v_fma_f32 v160, v7, v3, -v1
	ds_load_2addr_b64 v[1:4], v21 offset0:81 offset1:82
	ds_load_2addr_b64 v[5:8], v21 offset0:83 offset1:84
	s_wait_loadcnt_dscnt 0x1
	v_mul_f32_e32 v161, v1, v10
	v_mul_f32_e32 v163, v3, v12
	s_delay_alu instid0(VALU_DEP_2) | instskip(NEXT) | instid1(VALU_DEP_2)
	v_fmac_f32_e32 v161, v2, v9
	v_dual_mul_f32 v2, v2, v10 :: v_dual_fmac_f32 v163, v4, v11
	s_delay_alu instid0(VALU_DEP_1) | instskip(SKIP_1) | instid1(VALU_DEP_1)
	v_fma_f32 v162, v1, v9, -v2
	v_mul_f32_e32 v1, v4, v12
	v_fma_f32 v164, v3, v11, -v1
	s_clause 0x1
	scratch_load_b128 v[1:4], off, off offset:280
	scratch_load_b128 v[9:12], off, off offset:296
	s_wait_loadcnt_dscnt 0x100
	v_mul_f32_e32 v165, v5, v2
	v_mul_f32_e32 v2, v6, v2
	s_delay_alu instid0(VALU_DEP_1) | instskip(SKIP_1) | instid1(VALU_DEP_1)
	v_fma_f32 v166, v5, v1, -v2
	v_add_f32_e32 v2, 0, v134
	v_add_f32_e32 v2, v2, v135
	s_delay_alu instid0(VALU_DEP_1) | instskip(NEXT) | instid1(VALU_DEP_1)
	v_add_f32_e32 v2, v2, v25
	v_add_f32_e32 v2, v2, v26
	s_delay_alu instid0(VALU_DEP_1) | instskip(NEXT) | instid1(VALU_DEP_1)
	;; [unrolled: 3-line block ×4, first 2 shown]
	v_add_f32_e32 v2, v2, v15
	v_add_f32_e32 v2, v2, v18
	s_delay_alu instid0(VALU_DEP_1) | instskip(SKIP_2) | instid1(VALU_DEP_3)
	v_add_f32_e32 v2, v2, v19
	v_fmac_f32_e32 v165, v6, v1
	v_mul_f32_e32 v1, v8, v4
	v_add_f32_e32 v2, v2, v20
	v_mul_f32_e32 v167, v7, v4
	s_delay_alu instid0(VALU_DEP_3) | instskip(NEXT) | instid1(VALU_DEP_3)
	v_fma_f32 v168, v7, v3, -v1
	v_dual_add_f32 v1, 0, v22 :: v_dual_add_f32 v2, v2, v137
	s_delay_alu instid0(VALU_DEP_1) | instskip(NEXT) | instid1(VALU_DEP_2)
	v_add_f32_e32 v1, v1, v24
	v_add_f32_e32 v5, v2, v138
	s_delay_alu instid0(VALU_DEP_2) | instskip(NEXT) | instid1(VALU_DEP_1)
	v_add_f32_e32 v1, v1, v124
	v_add_f32_e32 v1, v1, v125
	scratch_load_b64 v[124:125], off, off offset:376
	v_add_f32_e32 v1, v1, v126
	s_delay_alu instid0(VALU_DEP_1) | instskip(NEXT) | instid1(VALU_DEP_1)
	v_add_f32_e32 v1, v1, v127
	v_add_f32_e32 v1, v1, v13
	;; [unrolled: 1-line block ×3, first 2 shown]
	s_delay_alu instid0(VALU_DEP_1) | instskip(NEXT) | instid1(VALU_DEP_1)
	v_add_f32_e32 v13, v13, v143
	v_add_f32_e32 v13, v13, v145
	s_delay_alu instid0(VALU_DEP_1) | instskip(NEXT) | instid1(VALU_DEP_1)
	v_add_f32_e32 v18, v13, v147
	v_dual_add_f32 v18, v18, v149 :: v_dual_add_f32 v1, v1, v14
	s_delay_alu instid0(VALU_DEP_1) | instskip(NEXT) | instid1(VALU_DEP_1)
	v_dual_add_f32 v18, v18, v151 :: v_dual_add_f32 v1, v1, v16
	v_add_f32_e32 v24, v18, v153
	s_delay_alu instid0(VALU_DEP_1) | instskip(NEXT) | instid1(VALU_DEP_1)
	v_dual_add_f32 v1, v1, v17 :: v_dual_add_f32 v24, v24, v155
	v_add_f32_e32 v1, v1, v130
	s_delay_alu instid0(VALU_DEP_1) | instskip(NEXT) | instid1(VALU_DEP_1)
	v_add_f32_e32 v1, v1, v131
	v_add_f32_e32 v1, v1, v139
	s_delay_alu instid0(VALU_DEP_1) | instskip(NEXT) | instid1(VALU_DEP_1)
	v_add_f32_e32 v1, v1, v140
	v_dual_add_f32 v6, v1, v142 :: v_dual_fmac_f32 v167, v8, v3
	scratch_load_b128 v[1:4], off, off offset:312
	v_add_f32_e32 v24, v24, v157
	v_add_f32_e32 v14, v6, v144
	ds_load_2addr_b64 v[5:8], v21 offset0:85 offset1:86
	v_add_f32_e32 v24, v24, v159
	v_add_f32_e32 v14, v14, v146
	s_delay_alu instid0(VALU_DEP_1)
	v_add_f32_e32 v17, v14, v148
	ds_load_2addr_b64 v[13:16], v21 offset0:87 offset1:88
	s_wait_loadcnt_dscnt 0x201
	v_mul_f32_e32 v22, v5, v10
	v_mul_f32_e32 v10, v6, v10
	;; [unrolled: 1-line block ×4, first 2 shown]
	s_delay_alu instid0(VALU_DEP_4) | instskip(NEXT) | instid1(VALU_DEP_4)
	v_fmac_f32_e32 v22, v6, v9
	v_fma_f32 v129, v5, v9, -v10
	s_delay_alu instid0(VALU_DEP_4) | instskip(NEXT) | instid1(VALU_DEP_4)
	v_fmac_f32_e32 v128, v8, v11
	v_fma_f32 v130, v7, v11, -v12
	s_clause 0x1
	scratch_load_b128 v[5:8], off, off offset:328
	scratch_load_b128 v[9:12], off, off offset:344
	s_wait_loadcnt_dscnt 0x200
	v_mul_f32_e32 v131, v13, v2
	v_mul_f32_e32 v2, v14, v2
	;; [unrolled: 1-line block ×3, first 2 shown]
	s_delay_alu instid0(VALU_DEP_3) | instskip(NEXT) | instid1(VALU_DEP_3)
	v_dual_mul_f32 v4, v16, v4 :: v_dual_fmac_f32 v131, v14, v1
	v_fma_f32 v135, v13, v1, -v2
	v_add_f32_e32 v13, v24, v161
	s_delay_alu instid0(VALU_DEP_4) | instskip(NEXT) | instid1(VALU_DEP_4)
	v_fmac_f32_e32 v134, v16, v3
	v_fma_f32 v136, v15, v3, -v4
	ds_load_2addr_b64 v[1:4], v21 offset0:89 offset1:90
	v_add_f32_e32 v24, v13, v163
	s_delay_alu instid0(VALU_DEP_1) | instskip(NEXT) | instid1(VALU_DEP_1)
	v_add_f32_e32 v127, v24, v165
	v_add_f32_e32 v138, v127, v167
	s_delay_alu instid0(VALU_DEP_1) | instskip(NEXT) | instid1(VALU_DEP_1)
	v_add_f32_e32 v22, v138, v22
	v_dual_add_f32 v17, v17, v150 :: v_dual_add_f32 v22, v22, v128
	s_delay_alu instid0(VALU_DEP_1) | instskip(NEXT) | instid1(VALU_DEP_1)
	v_dual_add_f32 v17, v17, v152 :: v_dual_add_f32 v22, v22, v131
	v_add_f32_e32 v17, v17, v154
	s_delay_alu instid0(VALU_DEP_1) | instskip(SKIP_2) | instid1(VALU_DEP_1)
	v_dual_add_f32 v22, v22, v134 :: v_dual_add_f32 v25, v17, v156
	scratch_load_b128 v[17:20], off, off offset:360
	v_add_f32_e32 v25, v25, v158
	v_add_f32_e32 v25, v25, v160
	s_delay_alu instid0(VALU_DEP_1) | instskip(NEXT) | instid1(VALU_DEP_1)
	v_add_f32_e32 v25, v25, v162
	v_add_f32_e32 v14, v25, v164
	ds_load_2addr_b64 v[24:27], v21 offset0:93 offset1:94
	v_add_f32_e32 v126, v14, v166
	ds_load_2addr_b64 v[13:16], v21 offset0:91 offset1:92
	s_wait_loadcnt_dscnt 0x202
	v_mul_f32_e32 v128, v3, v8
	v_mul_f32_e32 v8, v4, v8
	v_add_f32_e32 v137, v126, v168
	ds_load_b64 v[126:127], v21 offset:760
	v_dual_fmac_f32 v128, v4, v7 :: v_dual_add_f32 v129, v137, v129
	s_delay_alu instid0(VALU_DEP_1)
	v_add_f32_e32 v129, v129, v130
	s_wait_loadcnt_dscnt 0x101
	v_mul_f32_e32 v130, v13, v10
	v_mul_f32_e32 v137, v1, v6
	v_dual_mul_f32 v6, v2, v6 :: v_dual_mul_f32 v131, v15, v12
	s_wait_dscnt 0x0
	v_mul_f32_e32 v134, v126, v125
	v_fmac_f32_e32 v130, v14, v9
	v_fmac_f32_e32 v137, v2, v5
	v_fma_f32 v1, v1, v5, -v6
	v_fma_f32 v2, v3, v7, -v8
	v_dual_fmac_f32 v134, v127, v124 :: v_dual_mul_f32 v3, v14, v10
	s_delay_alu instid0(VALU_DEP_4) | instskip(NEXT) | instid1(VALU_DEP_2)
	v_dual_add_f32 v4, v22, v137 :: v_dual_add_f32 v129, v129, v135
	v_fma_f32 v3, v13, v9, -v3
	s_delay_alu instid0(VALU_DEP_2) | instskip(SKIP_2) | instid1(VALU_DEP_1)
	v_add_f32_e32 v129, v129, v136
	s_wait_loadcnt 0x0
	v_mul_f32_e32 v136, v26, v20
	v_dual_fmac_f32 v136, v27, v19 :: v_dual_add_f32 v1, v129, v1
	s_delay_alu instid0(VALU_DEP_1) | instskip(SKIP_1) | instid1(VALU_DEP_2)
	v_dual_add_f32 v1, v1, v2 :: v_dual_add_f32 v2, v4, v128
	v_dual_mul_f32 v4, v25, v18 :: v_dual_fmac_f32 v131, v16, v11
	v_add_f32_e32 v2, v2, v130
	v_mul_f32_e32 v135, v24, v18
	s_delay_alu instid0(VALU_DEP_3) | instskip(NEXT) | instid1(VALU_DEP_2)
	v_fma_f32 v4, v24, v17, -v4
	v_dual_add_f32 v2, v2, v131 :: v_dual_fmac_f32 v135, v25, v17
	s_delay_alu instid0(VALU_DEP_1) | instskip(NEXT) | instid1(VALU_DEP_1)
	v_add_f32_e32 v2, v2, v135
	v_add_f32_e32 v2, v2, v136
	v_mul_f32_e32 v5, v16, v12
	v_add_f32_e32 v1, v1, v3
	s_delay_alu instid0(VALU_DEP_3) | instskip(NEXT) | instid1(VALU_DEP_3)
	v_dual_mul_f32 v3, v27, v20 :: v_dual_add_f32 v2, v2, v134
	v_fma_f32 v5, v15, v11, -v5
	s_delay_alu instid0(VALU_DEP_2) | instskip(NEXT) | instid1(VALU_DEP_3)
	v_fma_f32 v3, v26, v19, -v3
	v_sub_f32_e32 v2, v133, v2
	s_delay_alu instid0(VALU_DEP_3) | instskip(SKIP_1) | instid1(VALU_DEP_2)
	v_add_f32_e32 v1, v1, v5
	v_mul_f32_e32 v5, v127, v125
	v_add_f32_e32 v1, v1, v4
	s_delay_alu instid0(VALU_DEP_2) | instskip(NEXT) | instid1(VALU_DEP_2)
	v_fma_f32 v4, v126, v124, -v5
	v_add_f32_e32 v1, v1, v3
	s_delay_alu instid0(VALU_DEP_1) | instskip(NEXT) | instid1(VALU_DEP_1)
	v_add_f32_e32 v1, v1, v4
	v_sub_f32_e32 v1, v132, v1
	scratch_store_b64 off, v[1:2], off offset:64
	v_cmpx_lt_u32_e32 7, v0
	s_cbranch_execz .LBB111_287
; %bb.286:
	scratch_load_b64 v[1:2], off, off offset:56
	v_mov_b32_e32 v22, v21
	scratch_store_b64 off, v[21:22], off offset:56
	s_wait_loadcnt 0x0
	ds_store_b64 v23, v[1:2]
.LBB111_287:
	s_wait_alu 0xfffe
	s_or_b32 exec_lo, exec_lo, s0
	s_wait_storecnt_dscnt 0x0
	s_barrier_signal -1
	s_barrier_wait -1
	global_inv scope:SCOPE_SE
	s_clause 0x4
	scratch_load_b128 v[5:8], off, off offset:64
	scratch_load_b128 v[1:4], off, off offset:80
	;; [unrolled: 1-line block ×5, first 2 shown]
	ds_load_b128 v[24:27], v21 offset:448
	ds_load_b128 v[124:127], v21 offset:464
	;; [unrolled: 1-line block ×3, first 2 shown]
	scratch_load_b64 v[132:133], off, off offset:56
	s_mov_b32 s0, exec_lo
	s_wait_loadcnt_dscnt 0x502
	v_dual_mul_f32 v22, v25, v6 :: v_dual_mul_f32 v135, v26, v8
	v_mul_f32_e32 v134, v24, v6
	v_mul_f32_e32 v6, v27, v8
	s_wait_loadcnt_dscnt 0x300
	v_mul_f32_e32 v136, v130, v12
	v_fma_f32 v22, v24, v5, -v22
	v_dual_fmac_f32 v135, v27, v7 :: v_dual_fmac_f32 v134, v25, v5
	v_mul_f32_e32 v27, v128, v10
	v_mul_f32_e32 v25, v124, v2
	v_fma_f32 v24, v26, v7, -v6
	ds_load_b128 v[5:8], v21 offset:496
	v_mul_f32_e32 v26, v126, v4
	v_dual_mul_f32 v4, v127, v4 :: v_dual_fmac_f32 v27, v129, v9
	v_mul_f32_e32 v10, v129, v10
	v_mul_f32_e32 v12, v131, v12
	;; [unrolled: 1-line block ×3, first 2 shown]
	v_dual_fmac_f32 v25, v125, v1 :: v_dual_fmac_f32 v26, v127, v3
	v_fma_f32 v125, v126, v3, -v4
	v_fma_f32 v126, v128, v9, -v10
	v_fmac_f32_e32 v136, v131, v11
	v_fma_f32 v127, v130, v11, -v12
	ds_load_b128 v[9:12], v21 offset:512
	s_wait_loadcnt_dscnt 0x201
	v_mul_f32_e32 v129, v7, v16
	v_fma_f32 v124, v124, v1, -v2
	scratch_load_b128 v[1:4], off, off offset:144
	v_mul_f32_e32 v128, v5, v14
	v_mul_f32_e32 v14, v6, v14
	;; [unrolled: 1-line block ×3, first 2 shown]
	s_delay_alu instid0(VALU_DEP_3) | instskip(NEXT) | instid1(VALU_DEP_3)
	v_dual_fmac_f32 v129, v8, v15 :: v_dual_fmac_f32 v128, v6, v13
	v_fma_f32 v13, v5, v13, -v14
	s_delay_alu instid0(VALU_DEP_3)
	v_fma_f32 v14, v7, v15, -v16
	ds_load_b128 v[5:8], v21 offset:528
	s_wait_loadcnt_dscnt 0x201
	v_mul_f32_e32 v15, v9, v18
	v_mul_f32_e32 v16, v10, v18
	;; [unrolled: 1-line block ×3, first 2 shown]
	s_delay_alu instid0(VALU_DEP_3) | instskip(NEXT) | instid1(VALU_DEP_3)
	v_dual_mul_f32 v20, v12, v20 :: v_dual_fmac_f32 v15, v10, v17
	v_fma_f32 v16, v9, v17, -v16
	s_delay_alu instid0(VALU_DEP_3) | instskip(NEXT) | instid1(VALU_DEP_3)
	v_fmac_f32_e32 v18, v12, v19
	v_fma_f32 v17, v11, v19, -v20
	scratch_load_b128 v[9:12], off, off offset:160
	s_wait_loadcnt_dscnt 0x100
	v_mul_f32_e32 v19, v5, v2
	v_mul_f32_e32 v2, v6, v2
	;; [unrolled: 1-line block ×3, first 2 shown]
	s_delay_alu instid0(VALU_DEP_3) | instskip(NEXT) | instid1(VALU_DEP_3)
	v_dual_mul_f32 v4, v8, v4 :: v_dual_fmac_f32 v19, v6, v1
	v_fma_f32 v130, v5, v1, -v2
	s_delay_alu instid0(VALU_DEP_3) | instskip(NEXT) | instid1(VALU_DEP_3)
	v_fmac_f32_e32 v20, v8, v3
	v_fma_f32 v131, v7, v3, -v4
	ds_load_b128 v[1:4], v21 offset:544
	ds_load_b128 v[5:8], v21 offset:560
	s_wait_loadcnt_dscnt 0x1
	v_mul_f32_e32 v137, v1, v10
	v_mul_f32_e32 v10, v2, v10
	s_delay_alu instid0(VALU_DEP_2) | instskip(NEXT) | instid1(VALU_DEP_2)
	v_dual_mul_f32 v138, v3, v12 :: v_dual_fmac_f32 v137, v2, v9
	v_fma_f32 v139, v1, v9, -v10
	v_mul_f32_e32 v1, v4, v12
	s_delay_alu instid0(VALU_DEP_3) | instskip(NEXT) | instid1(VALU_DEP_2)
	v_fmac_f32_e32 v138, v4, v11
	v_fma_f32 v140, v3, v11, -v1
	s_clause 0x1
	scratch_load_b128 v[1:4], off, off offset:176
	scratch_load_b128 v[9:12], off, off offset:192
	s_wait_loadcnt_dscnt 0x100
	v_mul_f32_e32 v141, v5, v2
	v_dual_mul_f32 v2, v6, v2 :: v_dual_mul_f32 v143, v7, v4
	s_delay_alu instid0(VALU_DEP_2) | instskip(NEXT) | instid1(VALU_DEP_2)
	v_fmac_f32_e32 v141, v6, v1
	v_fma_f32 v142, v5, v1, -v2
	v_mul_f32_e32 v1, v8, v4
	s_delay_alu instid0(VALU_DEP_4) | instskip(NEXT) | instid1(VALU_DEP_2)
	v_fmac_f32_e32 v143, v8, v3
	v_fma_f32 v144, v7, v3, -v1
	ds_load_b128 v[1:4], v21 offset:576
	ds_load_b128 v[5:8], v21 offset:592
	s_wait_loadcnt_dscnt 0x1
	v_mul_f32_e32 v145, v1, v10
	v_mul_f32_e32 v147, v3, v12
	s_delay_alu instid0(VALU_DEP_2) | instskip(NEXT) | instid1(VALU_DEP_2)
	v_fmac_f32_e32 v145, v2, v9
	v_dual_mul_f32 v2, v2, v10 :: v_dual_fmac_f32 v147, v4, v11
	s_delay_alu instid0(VALU_DEP_1) | instskip(SKIP_1) | instid1(VALU_DEP_1)
	v_fma_f32 v146, v1, v9, -v2
	v_mul_f32_e32 v1, v4, v12
	v_fma_f32 v148, v3, v11, -v1
	s_clause 0x1
	scratch_load_b128 v[1:4], off, off offset:208
	scratch_load_b128 v[9:12], off, off offset:224
	s_wait_loadcnt_dscnt 0x100
	v_mul_f32_e32 v149, v5, v2
	v_dual_mul_f32 v2, v6, v2 :: v_dual_mul_f32 v151, v7, v4
	s_delay_alu instid0(VALU_DEP_2) | instskip(NEXT) | instid1(VALU_DEP_2)
	v_fmac_f32_e32 v149, v6, v1
	v_fma_f32 v150, v5, v1, -v2
	v_mul_f32_e32 v1, v8, v4
	s_delay_alu instid0(VALU_DEP_4) | instskip(NEXT) | instid1(VALU_DEP_2)
	v_fmac_f32_e32 v151, v8, v3
	v_fma_f32 v152, v7, v3, -v1
	ds_load_b128 v[1:4], v21 offset:608
	ds_load_b128 v[5:8], v21 offset:624
	s_wait_loadcnt_dscnt 0x1
	v_mul_f32_e32 v153, v1, v10
	v_mul_f32_e32 v155, v3, v12
	s_delay_alu instid0(VALU_DEP_2) | instskip(NEXT) | instid1(VALU_DEP_2)
	v_fmac_f32_e32 v153, v2, v9
	v_dual_mul_f32 v2, v2, v10 :: v_dual_fmac_f32 v155, v4, v11
	s_delay_alu instid0(VALU_DEP_1) | instskip(SKIP_1) | instid1(VALU_DEP_1)
	v_fma_f32 v154, v1, v9, -v2
	v_mul_f32_e32 v1, v4, v12
	;; [unrolled: 25-line block ×4, first 2 shown]
	v_fma_f32 v172, v3, v11, -v1
	s_clause 0x1
	scratch_load_b128 v[1:4], off, off offset:304
	scratch_load_b128 v[9:12], off, off offset:320
	s_wait_loadcnt_dscnt 0x100
	v_mul_f32_e32 v173, v5, v2
	v_mul_f32_e32 v2, v6, v2
	s_delay_alu instid0(VALU_DEP_1) | instskip(SKIP_1) | instid1(VALU_DEP_1)
	v_fma_f32 v174, v5, v1, -v2
	v_add_f32_e32 v2, 0, v134
	v_add_f32_e32 v2, v2, v135
	s_delay_alu instid0(VALU_DEP_1) | instskip(NEXT) | instid1(VALU_DEP_1)
	v_add_f32_e32 v2, v2, v25
	v_add_f32_e32 v2, v2, v26
	s_delay_alu instid0(VALU_DEP_1) | instskip(NEXT) | instid1(VALU_DEP_1)
	;; [unrolled: 3-line block ×7, first 2 shown]
	v_add_f32_e32 v2, v2, v141
	v_add_f32_e32 v2, v2, v143
	v_fmac_f32_e32 v173, v6, v1
	v_mul_f32_e32 v1, v8, v4
	s_delay_alu instid0(VALU_DEP_1) | instskip(SKIP_1) | instid1(VALU_DEP_1)
	v_fma_f32 v176, v7, v3, -v1
	v_add_f32_e32 v1, 0, v22
	v_add_f32_e32 v1, v1, v24
	s_delay_alu instid0(VALU_DEP_1) | instskip(NEXT) | instid1(VALU_DEP_1)
	v_add_f32_e32 v1, v1, v124
	v_add_f32_e32 v1, v1, v125
	s_delay_alu instid0(VALU_DEP_1) | instskip(NEXT) | instid1(VALU_DEP_1)
	;; [unrolled: 3-line block ×9, first 2 shown]
	v_dual_mul_f32 v175, v7, v4 :: v_dual_add_f32 v6, v6, v150
	v_add_f32_e32 v13, v6, v152
	s_delay_alu instid0(VALU_DEP_1) | instskip(NEXT) | instid1(VALU_DEP_1)
	v_add_f32_e32 v13, v13, v154
	v_add_f32_e32 v13, v13, v156
	s_delay_alu instid0(VALU_DEP_1) | instskip(NEXT) | instid1(VALU_DEP_1)
	v_add_f32_e32 v13, v13, v158
	v_dual_add_f32 v5, v2, v145 :: v_dual_add_f32 v18, v13, v160
	s_delay_alu instid0(VALU_DEP_1) | instskip(NEXT) | instid1(VALU_DEP_1)
	v_dual_add_f32 v5, v5, v147 :: v_dual_add_f32 v18, v18, v162
	v_dual_add_f32 v5, v5, v149 :: v_dual_add_f32 v18, v18, v164
	s_delay_alu instid0(VALU_DEP_1)
	v_add_f32_e32 v14, v5, v151
	v_fmac_f32_e32 v175, v8, v3
	ds_load_b128 v[1:4], v21 offset:704
	ds_load_b128 v[5:8], v21 offset:720
	v_add_f32_e32 v24, v18, v166
	v_add_f32_e32 v14, v14, v153
	s_delay_alu instid0(VALU_DEP_1)
	v_add_f32_e32 v14, v14, v155
	s_wait_loadcnt_dscnt 0x1
	v_mul_f32_e32 v22, v1, v10
	v_mul_f32_e32 v124, v3, v12
	;; [unrolled: 1-line block ×4, first 2 shown]
	s_delay_alu instid0(VALU_DEP_4) | instskip(NEXT) | instid1(VALU_DEP_4)
	v_fmac_f32_e32 v22, v2, v9
	v_fmac_f32_e32 v124, v4, v11
	s_delay_alu instid0(VALU_DEP_4) | instskip(NEXT) | instid1(VALU_DEP_4)
	v_fma_f32 v125, v1, v9, -v10
	v_fma_f32 v126, v3, v11, -v12
	s_clause 0x1
	scratch_load_b128 v[1:4], off, off offset:336
	scratch_load_b128 v[9:12], off, off offset:352
	v_add_f32_e32 v17, v14, v157
	scratch_load_b128 v[13:16], off, off offset:368
	v_add_f32_e32 v17, v17, v159
	s_delay_alu instid0(VALU_DEP_1) | instskip(NEXT) | instid1(VALU_DEP_1)
	v_add_f32_e32 v17, v17, v161
	v_add_f32_e32 v17, v17, v163
	s_delay_alu instid0(VALU_DEP_1)
	v_add_f32_e32 v25, v17, v165
	ds_load_b128 v[17:20], v21 offset:736
	v_dual_add_f32 v127, v24, v168 :: v_dual_add_f32 v128, v25, v167
	ds_load_b128 v[24:27], v21 offset:752
	s_wait_loadcnt_dscnt 0x101
	v_dual_mul_f32 v129, v7, v4 :: v_dual_mul_f32 v130, v17, v10
	v_add_f32_e32 v21, v127, v170
	v_add_f32_e32 v127, v128, v169
	s_wait_loadcnt_dscnt 0x0
	v_mul_f32_e32 v134, v24, v14
	v_mul_f32_e32 v128, v5, v2
	v_dual_mul_f32 v2, v6, v2 :: v_dual_add_f32 v21, v21, v172
	s_delay_alu instid0(VALU_DEP_3) | instskip(SKIP_1) | instid1(VALU_DEP_3)
	v_dual_add_f32 v127, v127, v171 :: v_dual_fmac_f32 v134, v25, v13
	v_mul_f32_e32 v4, v8, v4
	v_fma_f32 v2, v5, v1, -v2
	s_delay_alu instid0(VALU_DEP_4) | instskip(NEXT) | instid1(VALU_DEP_4)
	v_add_f32_e32 v21, v21, v174
	v_add_f32_e32 v127, v127, v173
	v_fmac_f32_e32 v128, v6, v1
	v_dual_mul_f32 v6, v18, v10 :: v_dual_fmac_f32 v129, v8, v3
	s_delay_alu instid0(VALU_DEP_4) | instskip(NEXT) | instid1(VALU_DEP_4)
	v_add_f32_e32 v21, v21, v176
	v_add_f32_e32 v127, v127, v175
	v_fma_f32 v3, v7, v3, -v4
	v_mul_f32_e32 v131, v19, v12
	s_delay_alu instid0(VALU_DEP_4) | instskip(NEXT) | instid1(VALU_DEP_4)
	v_dual_mul_f32 v4, v20, v12 :: v_dual_add_f32 v21, v21, v125
	v_add_f32_e32 v22, v127, v22
	s_delay_alu instid0(VALU_DEP_3) | instskip(NEXT) | instid1(VALU_DEP_3)
	v_dual_fmac_f32 v130, v18, v9 :: v_dual_fmac_f32 v131, v20, v11
	v_fma_f32 v4, v19, v11, -v4
	s_delay_alu instid0(VALU_DEP_4) | instskip(NEXT) | instid1(VALU_DEP_4)
	v_add_f32_e32 v1, v21, v126
	v_add_f32_e32 v5, v22, v124
	v_mul_f32_e32 v125, v26, v16
	s_delay_alu instid0(VALU_DEP_3) | instskip(NEXT) | instid1(VALU_DEP_3)
	v_add_f32_e32 v1, v1, v2
	v_add_f32_e32 v2, v5, v128
	v_fma_f32 v5, v17, v9, -v6
	s_delay_alu instid0(VALU_DEP_4) | instskip(NEXT) | instid1(VALU_DEP_3)
	v_fmac_f32_e32 v125, v27, v15
	v_dual_add_f32 v1, v1, v3 :: v_dual_add_f32 v2, v2, v129
	v_mul_f32_e32 v3, v25, v14
	s_delay_alu instid0(VALU_DEP_2) | instskip(SKIP_1) | instid1(VALU_DEP_3)
	v_dual_add_f32 v1, v1, v5 :: v_dual_add_f32 v2, v2, v130
	v_mul_f32_e32 v5, v27, v16
	v_fma_f32 v3, v24, v13, -v3
	s_delay_alu instid0(VALU_DEP_3) | instskip(NEXT) | instid1(VALU_DEP_3)
	v_dual_add_f32 v1, v1, v4 :: v_dual_add_f32 v2, v2, v131
	v_fma_f32 v4, v26, v15, -v5
	s_delay_alu instid0(VALU_DEP_2) | instskip(NEXT) | instid1(VALU_DEP_1)
	v_dual_add_f32 v1, v1, v3 :: v_dual_add_f32 v2, v2, v134
	v_dual_add_f32 v1, v1, v4 :: v_dual_add_f32 v2, v2, v125
	s_delay_alu instid0(VALU_DEP_1)
	v_dual_sub_f32 v1, v132, v1 :: v_dual_sub_f32 v2, v133, v2
	scratch_store_b64 off, v[1:2], off offset:56
	v_cmpx_lt_u32_e32 6, v0
	s_cbranch_execz .LBB111_289
; %bb.288:
	scratch_load_b64 v[1:2], off, off offset:48
	v_mov_b32_e32 v3, 0
	s_delay_alu instid0(VALU_DEP_1)
	v_mov_b32_e32 v4, v3
	scratch_store_b64 off, v[3:4], off offset:48
	s_wait_loadcnt 0x0
	ds_store_b64 v23, v[1:2]
.LBB111_289:
	s_wait_alu 0xfffe
	s_or_b32 exec_lo, exec_lo, s0
	s_wait_storecnt_dscnt 0x0
	s_barrier_signal -1
	s_barrier_wait -1
	global_inv scope:SCOPE_SE
	s_clause 0x4
	scratch_load_b128 v[5:8], off, off offset:56
	scratch_load_b128 v[1:4], off, off offset:72
	;; [unrolled: 1-line block ×5, first 2 shown]
	v_mov_b32_e32 v21, 0
	ds_load_2addr_b64 v[24:27], v21 offset0:55 offset1:56
	ds_load_2addr_b64 v[124:127], v21 offset0:57 offset1:58
	;; [unrolled: 1-line block ×3, first 2 shown]
	scratch_load_b64 v[132:133], off, off offset:48
	s_mov_b32 s0, exec_lo
	s_wait_loadcnt_dscnt 0x502
	v_mul_f32_e32 v22, v25, v6
	v_dual_mul_f32 v134, v24, v6 :: v_dual_mul_f32 v135, v26, v8
	v_mul_f32_e32 v6, v27, v8
	s_delay_alu instid0(VALU_DEP_3) | instskip(NEXT) | instid1(VALU_DEP_3)
	v_fma_f32 v22, v24, v5, -v22
	v_dual_fmac_f32 v134, v25, v5 :: v_dual_fmac_f32 v135, v27, v7
	s_wait_loadcnt_dscnt 0x401
	v_mul_f32_e32 v25, v124, v2
	v_fma_f32 v24, v26, v7, -v6
	ds_load_2addr_b64 v[5:8], v21 offset0:61 offset1:62
	s_wait_loadcnt_dscnt 0x301
	v_dual_mul_f32 v26, v126, v4 :: v_dual_mul_f32 v27, v128, v10
	v_dual_mul_f32 v4, v127, v4 :: v_dual_fmac_f32 v25, v125, v1
	v_mul_f32_e32 v10, v129, v10
	s_delay_alu instid0(VALU_DEP_3)
	v_dual_mul_f32 v136, v130, v12 :: v_dual_fmac_f32 v27, v129, v9
	v_mul_f32_e32 v12, v131, v12
	v_mul_f32_e32 v2, v125, v2
	v_fmac_f32_e32 v26, v127, v3
	v_fma_f32 v125, v126, v3, -v4
	v_fma_f32 v126, v128, v9, -v10
	v_fmac_f32_e32 v136, v131, v11
	v_fma_f32 v127, v130, v11, -v12
	ds_load_2addr_b64 v[9:12], v21 offset0:63 offset1:64
	s_wait_loadcnt_dscnt 0x201
	v_mul_f32_e32 v129, v7, v16
	v_fma_f32 v124, v124, v1, -v2
	scratch_load_b128 v[1:4], off, off offset:136
	v_mul_f32_e32 v128, v5, v14
	v_mul_f32_e32 v14, v6, v14
	;; [unrolled: 1-line block ×3, first 2 shown]
	s_delay_alu instid0(VALU_DEP_3) | instskip(NEXT) | instid1(VALU_DEP_3)
	v_dual_fmac_f32 v129, v8, v15 :: v_dual_fmac_f32 v128, v6, v13
	v_fma_f32 v13, v5, v13, -v14
	s_delay_alu instid0(VALU_DEP_3)
	v_fma_f32 v14, v7, v15, -v16
	ds_load_2addr_b64 v[5:8], v21 offset0:65 offset1:66
	s_wait_loadcnt_dscnt 0x201
	v_mul_f32_e32 v15, v9, v18
	v_mul_f32_e32 v16, v10, v18
	;; [unrolled: 1-line block ×3, first 2 shown]
	s_delay_alu instid0(VALU_DEP_3) | instskip(NEXT) | instid1(VALU_DEP_3)
	v_dual_mul_f32 v20, v12, v20 :: v_dual_fmac_f32 v15, v10, v17
	v_fma_f32 v16, v9, v17, -v16
	s_delay_alu instid0(VALU_DEP_3) | instskip(NEXT) | instid1(VALU_DEP_3)
	v_fmac_f32_e32 v18, v12, v19
	v_fma_f32 v17, v11, v19, -v20
	scratch_load_b128 v[9:12], off, off offset:152
	s_wait_loadcnt_dscnt 0x100
	v_mul_f32_e32 v19, v5, v2
	v_mul_f32_e32 v2, v6, v2
	;; [unrolled: 1-line block ×3, first 2 shown]
	s_delay_alu instid0(VALU_DEP_3) | instskip(NEXT) | instid1(VALU_DEP_3)
	v_dual_mul_f32 v4, v8, v4 :: v_dual_fmac_f32 v19, v6, v1
	v_fma_f32 v130, v5, v1, -v2
	s_delay_alu instid0(VALU_DEP_3) | instskip(NEXT) | instid1(VALU_DEP_3)
	v_fmac_f32_e32 v20, v8, v3
	v_fma_f32 v131, v7, v3, -v4
	ds_load_2addr_b64 v[1:4], v21 offset0:67 offset1:68
	ds_load_2addr_b64 v[5:8], v21 offset0:69 offset1:70
	s_wait_loadcnt_dscnt 0x1
	v_mul_f32_e32 v137, v1, v10
	v_mul_f32_e32 v10, v2, v10
	s_delay_alu instid0(VALU_DEP_2) | instskip(NEXT) | instid1(VALU_DEP_2)
	v_dual_mul_f32 v138, v3, v12 :: v_dual_fmac_f32 v137, v2, v9
	v_fma_f32 v139, v1, v9, -v10
	v_mul_f32_e32 v1, v4, v12
	s_delay_alu instid0(VALU_DEP_3) | instskip(NEXT) | instid1(VALU_DEP_2)
	v_fmac_f32_e32 v138, v4, v11
	v_fma_f32 v140, v3, v11, -v1
	s_clause 0x1
	scratch_load_b128 v[1:4], off, off offset:168
	scratch_load_b128 v[9:12], off, off offset:184
	s_wait_loadcnt_dscnt 0x100
	v_mul_f32_e32 v141, v5, v2
	v_dual_mul_f32 v2, v6, v2 :: v_dual_mul_f32 v143, v7, v4
	s_delay_alu instid0(VALU_DEP_2) | instskip(NEXT) | instid1(VALU_DEP_2)
	v_fmac_f32_e32 v141, v6, v1
	v_fma_f32 v142, v5, v1, -v2
	v_mul_f32_e32 v1, v8, v4
	s_delay_alu instid0(VALU_DEP_4) | instskip(NEXT) | instid1(VALU_DEP_2)
	v_fmac_f32_e32 v143, v8, v3
	v_fma_f32 v144, v7, v3, -v1
	ds_load_2addr_b64 v[1:4], v21 offset0:71 offset1:72
	ds_load_2addr_b64 v[5:8], v21 offset0:73 offset1:74
	s_wait_loadcnt_dscnt 0x1
	v_mul_f32_e32 v145, v1, v10
	v_mul_f32_e32 v147, v3, v12
	s_delay_alu instid0(VALU_DEP_2) | instskip(NEXT) | instid1(VALU_DEP_2)
	v_fmac_f32_e32 v145, v2, v9
	v_dual_mul_f32 v2, v2, v10 :: v_dual_fmac_f32 v147, v4, v11
	s_delay_alu instid0(VALU_DEP_1) | instskip(SKIP_1) | instid1(VALU_DEP_1)
	v_fma_f32 v146, v1, v9, -v2
	v_mul_f32_e32 v1, v4, v12
	v_fma_f32 v148, v3, v11, -v1
	s_clause 0x1
	scratch_load_b128 v[1:4], off, off offset:200
	scratch_load_b128 v[9:12], off, off offset:216
	s_wait_loadcnt_dscnt 0x100
	v_mul_f32_e32 v149, v5, v2
	v_dual_mul_f32 v151, v7, v4 :: v_dual_mul_f32 v2, v6, v2
	s_delay_alu instid0(VALU_DEP_2) | instskip(NEXT) | instid1(VALU_DEP_2)
	v_fmac_f32_e32 v149, v6, v1
	v_fmac_f32_e32 v151, v8, v3
	s_delay_alu instid0(VALU_DEP_3) | instskip(SKIP_1) | instid1(VALU_DEP_1)
	v_fma_f32 v150, v5, v1, -v2
	v_mul_f32_e32 v1, v8, v4
	v_fma_f32 v152, v7, v3, -v1
	ds_load_2addr_b64 v[1:4], v21 offset0:75 offset1:76
	ds_load_2addr_b64 v[5:8], v21 offset0:77 offset1:78
	s_wait_loadcnt_dscnt 0x1
	v_mul_f32_e32 v153, v1, v10
	v_mul_f32_e32 v155, v3, v12
	s_delay_alu instid0(VALU_DEP_2) | instskip(NEXT) | instid1(VALU_DEP_2)
	v_fmac_f32_e32 v153, v2, v9
	v_dual_mul_f32 v2, v2, v10 :: v_dual_fmac_f32 v155, v4, v11
	s_delay_alu instid0(VALU_DEP_1) | instskip(SKIP_1) | instid1(VALU_DEP_1)
	v_fma_f32 v154, v1, v9, -v2
	v_mul_f32_e32 v1, v4, v12
	v_fma_f32 v156, v3, v11, -v1
	s_clause 0x1
	scratch_load_b128 v[1:4], off, off offset:232
	scratch_load_b128 v[9:12], off, off offset:248
	s_wait_loadcnt_dscnt 0x100
	v_mul_f32_e32 v157, v5, v2
	v_dual_mul_f32 v2, v6, v2 :: v_dual_mul_f32 v159, v7, v4
	s_delay_alu instid0(VALU_DEP_2) | instskip(NEXT) | instid1(VALU_DEP_2)
	v_fmac_f32_e32 v157, v6, v1
	v_fma_f32 v158, v5, v1, -v2
	v_mul_f32_e32 v1, v8, v4
	s_delay_alu instid0(VALU_DEP_4) | instskip(NEXT) | instid1(VALU_DEP_2)
	v_fmac_f32_e32 v159, v8, v3
	v_fma_f32 v160, v7, v3, -v1
	ds_load_2addr_b64 v[1:4], v21 offset0:79 offset1:80
	ds_load_2addr_b64 v[5:8], v21 offset0:81 offset1:82
	s_wait_loadcnt_dscnt 0x1
	v_mul_f32_e32 v161, v1, v10
	v_mul_f32_e32 v163, v3, v12
	s_delay_alu instid0(VALU_DEP_2) | instskip(NEXT) | instid1(VALU_DEP_2)
	v_fmac_f32_e32 v161, v2, v9
	v_dual_mul_f32 v2, v2, v10 :: v_dual_fmac_f32 v163, v4, v11
	s_delay_alu instid0(VALU_DEP_1) | instskip(SKIP_1) | instid1(VALU_DEP_1)
	v_fma_f32 v162, v1, v9, -v2
	v_mul_f32_e32 v1, v4, v12
	v_fma_f32 v164, v3, v11, -v1
	s_clause 0x1
	scratch_load_b128 v[1:4], off, off offset:264
	scratch_load_b128 v[9:12], off, off offset:280
	s_wait_loadcnt_dscnt 0x100
	v_mul_f32_e32 v165, v5, v2
	v_dual_mul_f32 v2, v6, v2 :: v_dual_mul_f32 v167, v7, v4
	s_delay_alu instid0(VALU_DEP_2) | instskip(NEXT) | instid1(VALU_DEP_2)
	v_fmac_f32_e32 v165, v6, v1
	v_fma_f32 v166, v5, v1, -v2
	v_mul_f32_e32 v1, v8, v4
	s_delay_alu instid0(VALU_DEP_4) | instskip(NEXT) | instid1(VALU_DEP_2)
	v_fmac_f32_e32 v167, v8, v3
	v_fma_f32 v168, v7, v3, -v1
	ds_load_2addr_b64 v[1:4], v21 offset0:83 offset1:84
	ds_load_2addr_b64 v[5:8], v21 offset0:85 offset1:86
	s_wait_loadcnt_dscnt 0x1
	v_mul_f32_e32 v169, v1, v10
	v_mul_f32_e32 v171, v3, v12
	s_delay_alu instid0(VALU_DEP_2) | instskip(NEXT) | instid1(VALU_DEP_2)
	v_fmac_f32_e32 v169, v2, v9
	v_dual_mul_f32 v2, v2, v10 :: v_dual_fmac_f32 v171, v4, v11
	s_delay_alu instid0(VALU_DEP_1) | instskip(SKIP_1) | instid1(VALU_DEP_1)
	v_fma_f32 v170, v1, v9, -v2
	v_mul_f32_e32 v1, v4, v12
	v_fma_f32 v172, v3, v11, -v1
	s_clause 0x1
	scratch_load_b128 v[1:4], off, off offset:296
	scratch_load_b128 v[9:12], off, off offset:312
	s_wait_loadcnt_dscnt 0x100
	v_mul_f32_e32 v173, v5, v2
	v_mul_f32_e32 v2, v6, v2
	s_delay_alu instid0(VALU_DEP_2) | instskip(NEXT) | instid1(VALU_DEP_2)
	v_fmac_f32_e32 v173, v6, v1
	v_fma_f32 v174, v5, v1, -v2
	v_dual_add_f32 v2, 0, v134 :: v_dual_mul_f32 v1, v8, v4
	s_delay_alu instid0(VALU_DEP_1) | instskip(NEXT) | instid1(VALU_DEP_2)
	v_add_f32_e32 v2, v2, v135
	v_fma_f32 v176, v7, v3, -v1
	s_delay_alu instid0(VALU_DEP_2) | instskip(NEXT) | instid1(VALU_DEP_1)
	v_dual_add_f32 v1, 0, v22 :: v_dual_add_f32 v2, v2, v25
	v_dual_add_f32 v1, v1, v24 :: v_dual_add_f32 v2, v2, v26
	s_delay_alu instid0(VALU_DEP_1) | instskip(NEXT) | instid1(VALU_DEP_1)
	v_dual_add_f32 v1, v1, v124 :: v_dual_add_f32 v2, v2, v27
	v_add_f32_e32 v1, v1, v125
	scratch_load_b64 v[124:125], off, off offset:376
	v_dual_add_f32 v2, v2, v136 :: v_dual_add_f32 v1, v1, v126
	s_delay_alu instid0(VALU_DEP_1) | instskip(NEXT) | instid1(VALU_DEP_1)
	v_dual_add_f32 v2, v2, v128 :: v_dual_add_f32 v1, v1, v127
	v_add_f32_e32 v2, v2, v129
	s_delay_alu instid0(VALU_DEP_1) | instskip(NEXT) | instid1(VALU_DEP_1)
	v_dual_add_f32 v1, v1, v13 :: v_dual_add_f32 v2, v2, v15
	v_add_f32_e32 v2, v2, v18
	s_delay_alu instid0(VALU_DEP_1) | instskip(NEXT) | instid1(VALU_DEP_1)
	v_add_f32_e32 v2, v2, v19
	v_add_f32_e32 v2, v2, v20
	s_delay_alu instid0(VALU_DEP_1) | instskip(NEXT) | instid1(VALU_DEP_1)
	v_add_f32_e32 v2, v2, v137
	v_add_f32_e32 v2, v2, v138
	s_delay_alu instid0(VALU_DEP_1) | instskip(NEXT) | instid1(VALU_DEP_1)
	v_dual_add_f32 v2, v2, v141 :: v_dual_add_f32 v1, v1, v14
	v_dual_add_f32 v2, v2, v143 :: v_dual_add_f32 v1, v1, v16
	s_delay_alu instid0(VALU_DEP_1) | instskip(NEXT) | instid1(VALU_DEP_1)
	v_add_f32_e32 v1, v1, v17
	v_add_f32_e32 v1, v1, v130
	s_delay_alu instid0(VALU_DEP_1) | instskip(NEXT) | instid1(VALU_DEP_1)
	v_add_f32_e32 v1, v1, v131
	v_add_f32_e32 v1, v1, v139
	;; [unrolled: 3-line block ×4, first 2 shown]
	s_delay_alu instid0(VALU_DEP_1) | instskip(NEXT) | instid1(VALU_DEP_1)
	v_add_f32_e32 v6, v1, v148
	v_dual_mul_f32 v175, v7, v4 :: v_dual_add_f32 v6, v6, v150
	s_delay_alu instid0(VALU_DEP_1) | instskip(NEXT) | instid1(VALU_DEP_2)
	v_fmac_f32_e32 v175, v8, v3
	v_add_f32_e32 v13, v6, v152
	s_delay_alu instid0(VALU_DEP_1) | instskip(NEXT) | instid1(VALU_DEP_1)
	v_add_f32_e32 v13, v13, v154
	v_add_f32_e32 v13, v13, v156
	s_delay_alu instid0(VALU_DEP_1) | instskip(SKIP_3) | instid1(VALU_DEP_1)
	v_add_f32_e32 v13, v13, v158
	v_add_f32_e32 v5, v2, v145
	ds_load_2addr_b64 v[1:4], v21 offset0:87 offset1:88
	v_add_f32_e32 v18, v13, v160
	v_dual_add_f32 v5, v5, v147 :: v_dual_add_f32 v18, v18, v162
	s_delay_alu instid0(VALU_DEP_1) | instskip(NEXT) | instid1(VALU_DEP_1)
	v_dual_add_f32 v5, v5, v149 :: v_dual_add_f32 v18, v18, v164
	v_add_f32_e32 v14, v5, v151
	ds_load_2addr_b64 v[5:8], v21 offset0:89 offset1:90
	v_add_f32_e32 v18, v18, v166
	v_add_f32_e32 v14, v14, v153
	s_wait_loadcnt_dscnt 0x101
	v_mul_f32_e32 v22, v1, v10
	v_mul_f32_e32 v10, v2, v10
	;; [unrolled: 1-line block ×4, first 2 shown]
	v_add_f32_e32 v18, v18, v168
	v_fmac_f32_e32 v22, v2, v9
	v_fma_f32 v129, v1, v9, -v10
	v_fmac_f32_e32 v128, v4, v11
	v_fma_f32 v130, v3, v11, -v12
	s_clause 0x1
	scratch_load_b128 v[1:4], off, off offset:328
	scratch_load_b128 v[9:12], off, off offset:344
	v_add_f32_e32 v126, v18, v170
	v_add_f32_e32 v14, v14, v155
	s_delay_alu instid0(VALU_DEP_2) | instskip(NEXT) | instid1(VALU_DEP_1)
	v_add_f32_e32 v131, v126, v172
	v_add_f32_e32 v131, v131, v174
	s_delay_alu instid0(VALU_DEP_1) | instskip(NEXT) | instid1(VALU_DEP_1)
	v_add_f32_e32 v131, v131, v176
	v_add_f32_e32 v129, v131, v129
	s_delay_alu instid0(VALU_DEP_1)
	v_add_f32_e32 v129, v129, v130
	s_wait_loadcnt_dscnt 0x100
	v_mul_f32_e32 v135, v5, v2
	v_mul_f32_e32 v2, v6, v2
	;; [unrolled: 1-line block ×4, first 2 shown]
	s_delay_alu instid0(VALU_DEP_3)
	v_fma_f32 v2, v5, v1, -v2
	v_add_f32_e32 v17, v14, v157
	scratch_load_b128 v[13:16], off, off offset:360
	v_fmac_f32_e32 v136, v8, v3
	v_add_f32_e32 v2, v129, v2
	v_add_f32_e32 v17, v17, v159
	s_delay_alu instid0(VALU_DEP_1) | instskip(NEXT) | instid1(VALU_DEP_1)
	v_add_f32_e32 v17, v17, v161
	v_add_f32_e32 v17, v17, v163
	s_delay_alu instid0(VALU_DEP_1) | instskip(NEXT) | instid1(VALU_DEP_1)
	v_add_f32_e32 v17, v17, v165
	v_add_f32_e32 v24, v17, v167
	ds_load_2addr_b64 v[17:20], v21 offset0:91 offset1:92
	v_add_f32_e32 v127, v24, v169
	ds_load_2addr_b64 v[24:27], v21 offset0:93 offset1:94
	v_add_f32_e32 v134, v127, v171
	ds_load_b64 v[126:127], v21 offset:760
	v_add_f32_e32 v134, v134, v173
	s_wait_loadcnt_dscnt 0x102
	s_delay_alu instid0(VALU_DEP_1) | instskip(NEXT) | instid1(VALU_DEP_1)
	v_dual_add_f32 v134, v134, v175 :: v_dual_mul_f32 v131, v17, v10
	v_dual_mul_f32 v5, v20, v12 :: v_dual_add_f32 v22, v134, v22
	s_delay_alu instid0(VALU_DEP_2) | instskip(NEXT) | instid1(VALU_DEP_2)
	v_dual_mul_f32 v134, v19, v12 :: v_dual_fmac_f32 v131, v18, v9
	v_fma_f32 v5, v19, v11, -v5
	s_delay_alu instid0(VALU_DEP_3) | instskip(NEXT) | instid1(VALU_DEP_3)
	v_add_f32_e32 v22, v22, v128
	v_fmac_f32_e32 v134, v20, v11
	s_wait_dscnt 0x0
	v_mul_f32_e32 v128, v126, v125
	s_delay_alu instid0(VALU_DEP_1) | instskip(SKIP_2) | instid1(VALU_DEP_3)
	v_dual_fmac_f32 v128, v127, v124 :: v_dual_fmac_f32 v135, v6, v1
	v_fma_f32 v1, v7, v3, -v4
	v_mul_f32_e32 v3, v18, v10
	v_add_f32_e32 v4, v22, v135
	s_delay_alu instid0(VALU_DEP_3) | instskip(NEXT) | instid1(VALU_DEP_3)
	v_add_f32_e32 v1, v2, v1
	v_fma_f32 v3, v17, v9, -v3
	s_delay_alu instid0(VALU_DEP_1) | instskip(NEXT) | instid1(VALU_DEP_1)
	v_dual_add_f32 v2, v4, v136 :: v_dual_add_f32 v1, v1, v3
	v_dual_add_f32 v2, v2, v131 :: v_dual_add_f32 v1, v1, v5
	s_delay_alu instid0(VALU_DEP_1)
	v_dual_mul_f32 v5, v127, v125 :: v_dual_add_f32 v2, v2, v134
	s_wait_loadcnt 0x0
	v_mul_f32_e32 v137, v24, v14
	v_mul_f32_e32 v4, v25, v14
	;; [unrolled: 1-line block ×4, first 2 shown]
	s_delay_alu instid0(VALU_DEP_4) | instskip(NEXT) | instid1(VALU_DEP_4)
	v_fmac_f32_e32 v137, v25, v13
	v_fma_f32 v4, v24, v13, -v4
	s_delay_alu instid0(VALU_DEP_4) | instskip(NEXT) | instid1(VALU_DEP_4)
	v_fmac_f32_e32 v130, v27, v15
	v_fma_f32 v3, v26, v15, -v3
	s_delay_alu instid0(VALU_DEP_3) | instskip(SKIP_1) | instid1(VALU_DEP_2)
	v_dual_add_f32 v2, v2, v137 :: v_dual_add_f32 v1, v1, v4
	v_fma_f32 v4, v126, v124, -v5
	v_dual_add_f32 v2, v2, v130 :: v_dual_add_f32 v1, v1, v3
	s_delay_alu instid0(VALU_DEP_1) | instskip(NEXT) | instid1(VALU_DEP_2)
	v_add_f32_e32 v2, v2, v128
	v_add_f32_e32 v1, v1, v4
	s_delay_alu instid0(VALU_DEP_1)
	v_dual_sub_f32 v2, v133, v2 :: v_dual_sub_f32 v1, v132, v1
	scratch_store_b64 off, v[1:2], off offset:48
	v_cmpx_lt_u32_e32 5, v0
	s_cbranch_execz .LBB111_291
; %bb.290:
	scratch_load_b64 v[1:2], off, off offset:40
	v_mov_b32_e32 v22, v21
	scratch_store_b64 off, v[21:22], off offset:40
	s_wait_loadcnt 0x0
	ds_store_b64 v23, v[1:2]
.LBB111_291:
	s_wait_alu 0xfffe
	s_or_b32 exec_lo, exec_lo, s0
	s_wait_storecnt_dscnt 0x0
	s_barrier_signal -1
	s_barrier_wait -1
	global_inv scope:SCOPE_SE
	s_clause 0x4
	scratch_load_b128 v[5:8], off, off offset:48
	scratch_load_b128 v[1:4], off, off offset:64
	;; [unrolled: 1-line block ×5, first 2 shown]
	ds_load_b128 v[24:27], v21 offset:432
	ds_load_b128 v[124:127], v21 offset:448
	;; [unrolled: 1-line block ×3, first 2 shown]
	scratch_load_b64 v[132:133], off, off offset:40
	s_mov_b32 s0, exec_lo
	s_wait_loadcnt_dscnt 0x502
	v_dual_mul_f32 v22, v25, v6 :: v_dual_mul_f32 v135, v26, v8
	v_mul_f32_e32 v134, v24, v6
	v_mul_f32_e32 v6, v27, v8
	s_wait_loadcnt_dscnt 0x300
	v_mul_f32_e32 v136, v130, v12
	v_fma_f32 v22, v24, v5, -v22
	v_dual_fmac_f32 v135, v27, v7 :: v_dual_fmac_f32 v134, v25, v5
	v_mul_f32_e32 v27, v128, v10
	v_mul_f32_e32 v25, v124, v2
	v_fma_f32 v24, v26, v7, -v6
	ds_load_b128 v[5:8], v21 offset:480
	v_mul_f32_e32 v26, v126, v4
	v_dual_mul_f32 v4, v127, v4 :: v_dual_fmac_f32 v27, v129, v9
	v_mul_f32_e32 v10, v129, v10
	v_mul_f32_e32 v12, v131, v12
	v_mul_f32_e32 v2, v125, v2
	v_dual_fmac_f32 v25, v125, v1 :: v_dual_fmac_f32 v26, v127, v3
	v_fma_f32 v125, v126, v3, -v4
	v_fma_f32 v126, v128, v9, -v10
	v_fmac_f32_e32 v136, v131, v11
	v_fma_f32 v127, v130, v11, -v12
	ds_load_b128 v[9:12], v21 offset:496
	s_wait_loadcnt_dscnt 0x201
	v_mul_f32_e32 v129, v7, v16
	v_fma_f32 v124, v124, v1, -v2
	scratch_load_b128 v[1:4], off, off offset:128
	v_mul_f32_e32 v128, v5, v14
	v_mul_f32_e32 v14, v6, v14
	;; [unrolled: 1-line block ×3, first 2 shown]
	s_delay_alu instid0(VALU_DEP_3) | instskip(NEXT) | instid1(VALU_DEP_3)
	v_dual_fmac_f32 v129, v8, v15 :: v_dual_fmac_f32 v128, v6, v13
	v_fma_f32 v13, v5, v13, -v14
	s_delay_alu instid0(VALU_DEP_3)
	v_fma_f32 v14, v7, v15, -v16
	ds_load_b128 v[5:8], v21 offset:512
	s_wait_loadcnt_dscnt 0x201
	v_mul_f32_e32 v15, v9, v18
	v_mul_f32_e32 v16, v10, v18
	;; [unrolled: 1-line block ×3, first 2 shown]
	s_delay_alu instid0(VALU_DEP_3) | instskip(NEXT) | instid1(VALU_DEP_3)
	v_dual_mul_f32 v20, v12, v20 :: v_dual_fmac_f32 v15, v10, v17
	v_fma_f32 v16, v9, v17, -v16
	s_delay_alu instid0(VALU_DEP_3) | instskip(NEXT) | instid1(VALU_DEP_3)
	v_fmac_f32_e32 v18, v12, v19
	v_fma_f32 v17, v11, v19, -v20
	scratch_load_b128 v[9:12], off, off offset:144
	s_wait_loadcnt_dscnt 0x100
	v_mul_f32_e32 v19, v5, v2
	v_mul_f32_e32 v2, v6, v2
	;; [unrolled: 1-line block ×3, first 2 shown]
	s_delay_alu instid0(VALU_DEP_3) | instskip(NEXT) | instid1(VALU_DEP_3)
	v_dual_mul_f32 v4, v8, v4 :: v_dual_fmac_f32 v19, v6, v1
	v_fma_f32 v130, v5, v1, -v2
	s_delay_alu instid0(VALU_DEP_3) | instskip(NEXT) | instid1(VALU_DEP_3)
	v_fmac_f32_e32 v20, v8, v3
	v_fma_f32 v131, v7, v3, -v4
	ds_load_b128 v[1:4], v21 offset:528
	ds_load_b128 v[5:8], v21 offset:544
	s_wait_loadcnt_dscnt 0x1
	v_mul_f32_e32 v137, v1, v10
	v_mul_f32_e32 v10, v2, v10
	s_delay_alu instid0(VALU_DEP_2) | instskip(NEXT) | instid1(VALU_DEP_2)
	v_dual_mul_f32 v138, v3, v12 :: v_dual_fmac_f32 v137, v2, v9
	v_fma_f32 v139, v1, v9, -v10
	v_mul_f32_e32 v1, v4, v12
	s_delay_alu instid0(VALU_DEP_3) | instskip(NEXT) | instid1(VALU_DEP_2)
	v_fmac_f32_e32 v138, v4, v11
	v_fma_f32 v140, v3, v11, -v1
	s_clause 0x1
	scratch_load_b128 v[1:4], off, off offset:160
	scratch_load_b128 v[9:12], off, off offset:176
	s_wait_loadcnt_dscnt 0x100
	v_mul_f32_e32 v141, v5, v2
	v_dual_mul_f32 v2, v6, v2 :: v_dual_mul_f32 v143, v7, v4
	s_delay_alu instid0(VALU_DEP_2) | instskip(NEXT) | instid1(VALU_DEP_2)
	v_fmac_f32_e32 v141, v6, v1
	v_fma_f32 v142, v5, v1, -v2
	v_mul_f32_e32 v1, v8, v4
	s_delay_alu instid0(VALU_DEP_4) | instskip(NEXT) | instid1(VALU_DEP_2)
	v_fmac_f32_e32 v143, v8, v3
	v_fma_f32 v144, v7, v3, -v1
	ds_load_b128 v[1:4], v21 offset:560
	ds_load_b128 v[5:8], v21 offset:576
	s_wait_loadcnt_dscnt 0x1
	v_mul_f32_e32 v145, v1, v10
	v_mul_f32_e32 v147, v3, v12
	s_delay_alu instid0(VALU_DEP_2) | instskip(NEXT) | instid1(VALU_DEP_2)
	v_fmac_f32_e32 v145, v2, v9
	v_dual_mul_f32 v2, v2, v10 :: v_dual_fmac_f32 v147, v4, v11
	s_delay_alu instid0(VALU_DEP_1) | instskip(SKIP_1) | instid1(VALU_DEP_1)
	v_fma_f32 v146, v1, v9, -v2
	v_mul_f32_e32 v1, v4, v12
	v_fma_f32 v148, v3, v11, -v1
	s_clause 0x1
	scratch_load_b128 v[1:4], off, off offset:192
	scratch_load_b128 v[9:12], off, off offset:208
	s_wait_loadcnt_dscnt 0x100
	v_mul_f32_e32 v149, v5, v2
	v_dual_mul_f32 v2, v6, v2 :: v_dual_mul_f32 v151, v7, v4
	s_delay_alu instid0(VALU_DEP_2) | instskip(NEXT) | instid1(VALU_DEP_2)
	v_fmac_f32_e32 v149, v6, v1
	v_fma_f32 v150, v5, v1, -v2
	v_mul_f32_e32 v1, v8, v4
	s_delay_alu instid0(VALU_DEP_4) | instskip(NEXT) | instid1(VALU_DEP_2)
	v_fmac_f32_e32 v151, v8, v3
	v_fma_f32 v152, v7, v3, -v1
	ds_load_b128 v[1:4], v21 offset:592
	ds_load_b128 v[5:8], v21 offset:608
	s_wait_loadcnt_dscnt 0x1
	v_mul_f32_e32 v153, v1, v10
	v_mul_f32_e32 v155, v3, v12
	s_delay_alu instid0(VALU_DEP_2) | instskip(NEXT) | instid1(VALU_DEP_2)
	v_fmac_f32_e32 v153, v2, v9
	v_dual_mul_f32 v2, v2, v10 :: v_dual_fmac_f32 v155, v4, v11
	s_delay_alu instid0(VALU_DEP_1) | instskip(SKIP_1) | instid1(VALU_DEP_1)
	v_fma_f32 v154, v1, v9, -v2
	v_mul_f32_e32 v1, v4, v12
	;; [unrolled: 25-line block ×4, first 2 shown]
	v_fma_f32 v172, v3, v11, -v1
	s_clause 0x1
	scratch_load_b128 v[1:4], off, off offset:288
	scratch_load_b128 v[9:12], off, off offset:304
	s_wait_loadcnt_dscnt 0x100
	v_mul_f32_e32 v173, v5, v2
	v_mul_f32_e32 v2, v6, v2
	s_delay_alu instid0(VALU_DEP_1) | instskip(SKIP_1) | instid1(VALU_DEP_1)
	v_fma_f32 v174, v5, v1, -v2
	v_add_f32_e32 v2, 0, v134
	v_add_f32_e32 v2, v2, v135
	s_delay_alu instid0(VALU_DEP_1) | instskip(NEXT) | instid1(VALU_DEP_1)
	v_add_f32_e32 v2, v2, v25
	v_add_f32_e32 v2, v2, v26
	s_delay_alu instid0(VALU_DEP_1) | instskip(NEXT) | instid1(VALU_DEP_1)
	;; [unrolled: 3-line block ×7, first 2 shown]
	v_add_f32_e32 v2, v2, v141
	v_add_f32_e32 v2, v2, v143
	v_fmac_f32_e32 v173, v6, v1
	v_mul_f32_e32 v1, v8, v4
	s_delay_alu instid0(VALU_DEP_3) | instskip(NEXT) | instid1(VALU_DEP_2)
	v_dual_mul_f32 v175, v7, v4 :: v_dual_add_f32 v2, v2, v145
	v_fma_f32 v176, v7, v3, -v1
	v_add_f32_e32 v1, 0, v22
	s_delay_alu instid0(VALU_DEP_1) | instskip(NEXT) | instid1(VALU_DEP_1)
	v_add_f32_e32 v1, v1, v24
	v_add_f32_e32 v1, v1, v124
	s_delay_alu instid0(VALU_DEP_1) | instskip(NEXT) | instid1(VALU_DEP_1)
	v_add_f32_e32 v1, v1, v125
	;; [unrolled: 3-line block ×9, first 2 shown]
	v_dual_add_f32 v6, v1, v150 :: v_dual_fmac_f32 v175, v8, v3
	s_delay_alu instid0(VALU_DEP_1) | instskip(NEXT) | instid1(VALU_DEP_1)
	v_add_f32_e32 v14, v6, v152
	v_add_f32_e32 v14, v14, v154
	s_delay_alu instid0(VALU_DEP_1) | instskip(NEXT) | instid1(VALU_DEP_1)
	v_add_f32_e32 v17, v14, v156
	v_add_f32_e32 v17, v17, v158
	;; [unrolled: 3-line block ×4, first 2 shown]
	s_delay_alu instid0(VALU_DEP_1)
	v_add_f32_e32 v25, v25, v168
	v_add_f32_e32 v5, v2, v147
	ds_load_b128 v[1:4], v21 offset:688
	v_add_f32_e32 v13, v5, v149
	scratch_load_b128 v[5:8], off, off offset:320
	v_add_f32_e32 v13, v13, v151
	s_delay_alu instid0(VALU_DEP_1) | instskip(NEXT) | instid1(VALU_DEP_1)
	v_add_f32_e32 v13, v13, v153
	v_add_f32_e32 v18, v13, v155
	ds_load_b128 v[13:16], v21 offset:704
	s_wait_loadcnt_dscnt 0x101
	v_mul_f32_e32 v22, v1, v10
	v_mul_f32_e32 v10, v2, v10
	;; [unrolled: 1-line block ×4, first 2 shown]
	v_add_f32_e32 v18, v18, v157
	v_fmac_f32_e32 v22, v2, v9
	v_fma_f32 v125, v1, v9, -v10
	v_fmac_f32_e32 v124, v4, v11
	v_fma_f32 v126, v3, v11, -v12
	s_clause 0x1
	scratch_load_b128 v[1:4], off, off offset:336
	scratch_load_b128 v[9:12], off, off offset:352
	v_add_f32_e32 v18, v18, v159
	s_delay_alu instid0(VALU_DEP_1) | instskip(SKIP_3) | instid1(VALU_DEP_1)
	v_add_f32_e32 v24, v18, v161
	scratch_load_b128 v[17:20], off, off offset:368
	v_add_f32_e32 v24, v24, v163
	s_wait_loadcnt_dscnt 0x300
	v_dual_add_f32 v24, v24, v165 :: v_dual_mul_f32 v127, v13, v6
	v_mul_f32_e32 v6, v14, v6
	v_mul_f32_e32 v128, v15, v8
	s_delay_alu instid0(VALU_DEP_3) | instskip(NEXT) | instid1(VALU_DEP_3)
	v_dual_mul_f32 v8, v16, v8 :: v_dual_fmac_f32 v127, v14, v5
	v_fma_f32 v129, v13, v5, -v6
	v_dual_add_f32 v13, v24, v167 :: v_dual_add_f32 v24, v25, v170
	s_delay_alu instid0(VALU_DEP_4) | instskip(NEXT) | instid1(VALU_DEP_4)
	v_fmac_f32_e32 v128, v16, v7
	v_fma_f32 v130, v15, v7, -v8
	ds_load_b128 v[5:8], v21 offset:720
	v_add_f32_e32 v25, v13, v169
	v_add_f32_e32 v131, v24, v172
	ds_load_b128 v[13:16], v21 offset:736
	v_add_f32_e32 v134, v25, v171
	ds_load_b128 v[24:27], v21 offset:752
	v_add_f32_e32 v21, v131, v174
	v_add_f32_e32 v131, v134, v173
	s_delay_alu instid0(VALU_DEP_2) | instskip(NEXT) | instid1(VALU_DEP_2)
	v_add_f32_e32 v21, v21, v176
	v_add_f32_e32 v131, v131, v175
	s_delay_alu instid0(VALU_DEP_2) | instskip(SKIP_2) | instid1(VALU_DEP_3)
	v_add_f32_e32 v21, v21, v125
	s_wait_loadcnt_dscnt 0x202
	v_mul_f32_e32 v134, v5, v2
	v_add_f32_e32 v22, v131, v22
	v_mul_f32_e32 v2, v6, v2
	v_add_f32_e32 v21, v21, v126
	v_mul_f32_e32 v125, v7, v4
	v_mul_f32_e32 v4, v8, v4
	v_add_f32_e32 v22, v22, v124
	v_fma_f32 v2, v5, v1, -v2
	v_add_f32_e32 v21, v21, v129
	s_wait_loadcnt_dscnt 0x101
	v_dual_fmac_f32 v134, v6, v1 :: v_dual_mul_f32 v131, v13, v10
	v_add_f32_e32 v22, v22, v127
	v_mul_f32_e32 v6, v14, v10
	v_add_f32_e32 v1, v21, v130
	v_fmac_f32_e32 v125, v8, v3
	v_fma_f32 v3, v7, v3, -v4
	v_add_f32_e32 v5, v22, v128
	v_mul_f32_e32 v135, v15, v12
	v_dual_add_f32 v1, v1, v2 :: v_dual_mul_f32 v4, v16, v12
	s_delay_alu instid0(VALU_DEP_3) | instskip(SKIP_2) | instid1(VALU_DEP_3)
	v_dual_fmac_f32 v131, v14, v9 :: v_dual_add_f32 v2, v5, v134
	v_fma_f32 v5, v13, v9, -v6
	s_wait_loadcnt_dscnt 0x0
	v_dual_add_f32 v1, v1, v3 :: v_dual_mul_f32 v124, v24, v18
	s_delay_alu instid0(VALU_DEP_3) | instskip(SKIP_2) | instid1(VALU_DEP_4)
	v_dual_mul_f32 v3, v25, v18 :: v_dual_add_f32 v2, v2, v125
	v_fmac_f32_e32 v135, v16, v11
	v_fma_f32 v4, v15, v11, -v4
	v_dual_add_f32 v1, v1, v5 :: v_dual_mul_f32 v126, v26, v20
	s_delay_alu instid0(VALU_DEP_4) | instskip(SKIP_2) | instid1(VALU_DEP_3)
	v_dual_add_f32 v2, v2, v131 :: v_dual_mul_f32 v5, v27, v20
	v_fmac_f32_e32 v124, v25, v17
	v_fma_f32 v3, v24, v17, -v3
	v_dual_add_f32 v1, v1, v4 :: v_dual_add_f32 v2, v2, v135
	v_fmac_f32_e32 v126, v27, v19
	v_fma_f32 v4, v26, v19, -v5
	s_delay_alu instid0(VALU_DEP_3) | instskip(NEXT) | instid1(VALU_DEP_1)
	v_dual_add_f32 v1, v1, v3 :: v_dual_add_f32 v2, v2, v124
	v_dual_add_f32 v1, v1, v4 :: v_dual_add_f32 v2, v2, v126
	s_delay_alu instid0(VALU_DEP_1)
	v_dual_sub_f32 v1, v132, v1 :: v_dual_sub_f32 v2, v133, v2
	scratch_store_b64 off, v[1:2], off offset:40
	v_cmpx_lt_u32_e32 4, v0
	s_cbranch_execz .LBB111_293
; %bb.292:
	scratch_load_b64 v[1:2], off, off offset:32
	v_mov_b32_e32 v3, 0
	s_delay_alu instid0(VALU_DEP_1)
	v_mov_b32_e32 v4, v3
	scratch_store_b64 off, v[3:4], off offset:32
	s_wait_loadcnt 0x0
	ds_store_b64 v23, v[1:2]
.LBB111_293:
	s_wait_alu 0xfffe
	s_or_b32 exec_lo, exec_lo, s0
	s_wait_storecnt_dscnt 0x0
	s_barrier_signal -1
	s_barrier_wait -1
	global_inv scope:SCOPE_SE
	s_clause 0x4
	scratch_load_b128 v[5:8], off, off offset:40
	scratch_load_b128 v[1:4], off, off offset:56
	;; [unrolled: 1-line block ×5, first 2 shown]
	v_mov_b32_e32 v21, 0
	ds_load_2addr_b64 v[24:27], v21 offset0:53 offset1:54
	ds_load_2addr_b64 v[124:127], v21 offset0:55 offset1:56
	ds_load_2addr_b64 v[128:131], v21 offset0:57 offset1:58
	scratch_load_b64 v[132:133], off, off offset:32
	s_mov_b32 s0, exec_lo
	s_wait_loadcnt_dscnt 0x502
	v_mul_f32_e32 v22, v25, v6
	v_dual_mul_f32 v134, v24, v6 :: v_dual_mul_f32 v135, v26, v8
	v_mul_f32_e32 v6, v27, v8
	s_delay_alu instid0(VALU_DEP_3) | instskip(NEXT) | instid1(VALU_DEP_3)
	v_fma_f32 v22, v24, v5, -v22
	v_dual_fmac_f32 v134, v25, v5 :: v_dual_fmac_f32 v135, v27, v7
	s_wait_loadcnt_dscnt 0x401
	v_mul_f32_e32 v25, v124, v2
	v_fma_f32 v24, v26, v7, -v6
	ds_load_2addr_b64 v[5:8], v21 offset0:59 offset1:60
	s_wait_loadcnt_dscnt 0x301
	v_dual_mul_f32 v26, v126, v4 :: v_dual_mul_f32 v27, v128, v10
	v_dual_mul_f32 v4, v127, v4 :: v_dual_fmac_f32 v25, v125, v1
	v_mul_f32_e32 v10, v129, v10
	s_delay_alu instid0(VALU_DEP_3)
	v_dual_mul_f32 v136, v130, v12 :: v_dual_fmac_f32 v27, v129, v9
	v_mul_f32_e32 v12, v131, v12
	v_mul_f32_e32 v2, v125, v2
	v_fmac_f32_e32 v26, v127, v3
	v_fma_f32 v125, v126, v3, -v4
	v_fma_f32 v126, v128, v9, -v10
	v_fmac_f32_e32 v136, v131, v11
	v_fma_f32 v127, v130, v11, -v12
	ds_load_2addr_b64 v[9:12], v21 offset0:61 offset1:62
	s_wait_loadcnt_dscnt 0x201
	v_mul_f32_e32 v129, v7, v16
	v_fma_f32 v124, v124, v1, -v2
	scratch_load_b128 v[1:4], off, off offset:120
	v_mul_f32_e32 v128, v5, v14
	v_mul_f32_e32 v14, v6, v14
	;; [unrolled: 1-line block ×3, first 2 shown]
	s_delay_alu instid0(VALU_DEP_3) | instskip(NEXT) | instid1(VALU_DEP_3)
	v_dual_fmac_f32 v129, v8, v15 :: v_dual_fmac_f32 v128, v6, v13
	v_fma_f32 v13, v5, v13, -v14
	s_delay_alu instid0(VALU_DEP_3)
	v_fma_f32 v14, v7, v15, -v16
	ds_load_2addr_b64 v[5:8], v21 offset0:63 offset1:64
	s_wait_loadcnt_dscnt 0x201
	v_mul_f32_e32 v15, v9, v18
	v_mul_f32_e32 v16, v10, v18
	;; [unrolled: 1-line block ×3, first 2 shown]
	s_delay_alu instid0(VALU_DEP_3) | instskip(NEXT) | instid1(VALU_DEP_3)
	v_dual_mul_f32 v20, v12, v20 :: v_dual_fmac_f32 v15, v10, v17
	v_fma_f32 v16, v9, v17, -v16
	s_delay_alu instid0(VALU_DEP_3) | instskip(NEXT) | instid1(VALU_DEP_3)
	v_fmac_f32_e32 v18, v12, v19
	v_fma_f32 v17, v11, v19, -v20
	scratch_load_b128 v[9:12], off, off offset:136
	s_wait_loadcnt_dscnt 0x100
	v_mul_f32_e32 v19, v5, v2
	v_mul_f32_e32 v2, v6, v2
	;; [unrolled: 1-line block ×3, first 2 shown]
	s_delay_alu instid0(VALU_DEP_3) | instskip(NEXT) | instid1(VALU_DEP_3)
	v_dual_mul_f32 v4, v8, v4 :: v_dual_fmac_f32 v19, v6, v1
	v_fma_f32 v130, v5, v1, -v2
	s_delay_alu instid0(VALU_DEP_3) | instskip(NEXT) | instid1(VALU_DEP_3)
	v_fmac_f32_e32 v20, v8, v3
	v_fma_f32 v131, v7, v3, -v4
	ds_load_2addr_b64 v[1:4], v21 offset0:65 offset1:66
	ds_load_2addr_b64 v[5:8], v21 offset0:67 offset1:68
	s_wait_loadcnt_dscnt 0x1
	v_mul_f32_e32 v137, v1, v10
	v_mul_f32_e32 v10, v2, v10
	s_delay_alu instid0(VALU_DEP_2) | instskip(NEXT) | instid1(VALU_DEP_2)
	v_dual_mul_f32 v138, v3, v12 :: v_dual_fmac_f32 v137, v2, v9
	v_fma_f32 v139, v1, v9, -v10
	v_mul_f32_e32 v1, v4, v12
	s_delay_alu instid0(VALU_DEP_3) | instskip(NEXT) | instid1(VALU_DEP_2)
	v_fmac_f32_e32 v138, v4, v11
	v_fma_f32 v140, v3, v11, -v1
	s_clause 0x1
	scratch_load_b128 v[1:4], off, off offset:152
	scratch_load_b128 v[9:12], off, off offset:168
	s_wait_loadcnt_dscnt 0x100
	v_mul_f32_e32 v141, v5, v2
	v_dual_mul_f32 v2, v6, v2 :: v_dual_mul_f32 v143, v7, v4
	s_delay_alu instid0(VALU_DEP_2) | instskip(NEXT) | instid1(VALU_DEP_2)
	v_fmac_f32_e32 v141, v6, v1
	v_fma_f32 v142, v5, v1, -v2
	v_mul_f32_e32 v1, v8, v4
	s_delay_alu instid0(VALU_DEP_4) | instskip(NEXT) | instid1(VALU_DEP_2)
	v_fmac_f32_e32 v143, v8, v3
	v_fma_f32 v144, v7, v3, -v1
	ds_load_2addr_b64 v[1:4], v21 offset0:69 offset1:70
	ds_load_2addr_b64 v[5:8], v21 offset0:71 offset1:72
	s_wait_loadcnt_dscnt 0x1
	v_mul_f32_e32 v145, v1, v10
	v_mul_f32_e32 v147, v3, v12
	s_delay_alu instid0(VALU_DEP_2) | instskip(NEXT) | instid1(VALU_DEP_2)
	v_fmac_f32_e32 v145, v2, v9
	v_dual_mul_f32 v2, v2, v10 :: v_dual_fmac_f32 v147, v4, v11
	s_delay_alu instid0(VALU_DEP_1) | instskip(SKIP_1) | instid1(VALU_DEP_1)
	v_fma_f32 v146, v1, v9, -v2
	v_mul_f32_e32 v1, v4, v12
	v_fma_f32 v148, v3, v11, -v1
	s_clause 0x1
	scratch_load_b128 v[1:4], off, off offset:184
	scratch_load_b128 v[9:12], off, off offset:200
	s_wait_loadcnt_dscnt 0x100
	v_mul_f32_e32 v149, v5, v2
	v_dual_mul_f32 v151, v7, v4 :: v_dual_mul_f32 v2, v6, v2
	s_delay_alu instid0(VALU_DEP_2) | instskip(NEXT) | instid1(VALU_DEP_2)
	v_fmac_f32_e32 v149, v6, v1
	v_fmac_f32_e32 v151, v8, v3
	s_delay_alu instid0(VALU_DEP_3) | instskip(SKIP_1) | instid1(VALU_DEP_1)
	v_fma_f32 v150, v5, v1, -v2
	v_mul_f32_e32 v1, v8, v4
	v_fma_f32 v152, v7, v3, -v1
	ds_load_2addr_b64 v[1:4], v21 offset0:73 offset1:74
	ds_load_2addr_b64 v[5:8], v21 offset0:75 offset1:76
	s_wait_loadcnt_dscnt 0x1
	v_mul_f32_e32 v153, v1, v10
	v_mul_f32_e32 v155, v3, v12
	s_delay_alu instid0(VALU_DEP_2) | instskip(NEXT) | instid1(VALU_DEP_2)
	v_fmac_f32_e32 v153, v2, v9
	v_dual_mul_f32 v2, v2, v10 :: v_dual_fmac_f32 v155, v4, v11
	s_delay_alu instid0(VALU_DEP_1) | instskip(SKIP_1) | instid1(VALU_DEP_1)
	v_fma_f32 v154, v1, v9, -v2
	v_mul_f32_e32 v1, v4, v12
	v_fma_f32 v156, v3, v11, -v1
	s_clause 0x1
	scratch_load_b128 v[1:4], off, off offset:216
	scratch_load_b128 v[9:12], off, off offset:232
	s_wait_loadcnt_dscnt 0x100
	v_mul_f32_e32 v157, v5, v2
	v_dual_mul_f32 v2, v6, v2 :: v_dual_mul_f32 v159, v7, v4
	s_delay_alu instid0(VALU_DEP_2) | instskip(NEXT) | instid1(VALU_DEP_2)
	v_fmac_f32_e32 v157, v6, v1
	v_fma_f32 v158, v5, v1, -v2
	v_mul_f32_e32 v1, v8, v4
	s_delay_alu instid0(VALU_DEP_4) | instskip(NEXT) | instid1(VALU_DEP_2)
	v_fmac_f32_e32 v159, v8, v3
	v_fma_f32 v160, v7, v3, -v1
	ds_load_2addr_b64 v[1:4], v21 offset0:77 offset1:78
	ds_load_2addr_b64 v[5:8], v21 offset0:79 offset1:80
	s_wait_loadcnt_dscnt 0x1
	v_mul_f32_e32 v161, v1, v10
	v_mul_f32_e32 v163, v3, v12
	s_delay_alu instid0(VALU_DEP_2) | instskip(NEXT) | instid1(VALU_DEP_2)
	v_fmac_f32_e32 v161, v2, v9
	v_dual_mul_f32 v2, v2, v10 :: v_dual_fmac_f32 v163, v4, v11
	s_delay_alu instid0(VALU_DEP_1) | instskip(SKIP_1) | instid1(VALU_DEP_1)
	v_fma_f32 v162, v1, v9, -v2
	v_mul_f32_e32 v1, v4, v12
	v_fma_f32 v164, v3, v11, -v1
	s_clause 0x1
	scratch_load_b128 v[1:4], off, off offset:248
	scratch_load_b128 v[9:12], off, off offset:264
	s_wait_loadcnt_dscnt 0x100
	v_mul_f32_e32 v165, v5, v2
	v_dual_mul_f32 v2, v6, v2 :: v_dual_mul_f32 v167, v7, v4
	s_delay_alu instid0(VALU_DEP_2) | instskip(NEXT) | instid1(VALU_DEP_2)
	v_fmac_f32_e32 v165, v6, v1
	v_fma_f32 v166, v5, v1, -v2
	v_mul_f32_e32 v1, v8, v4
	s_delay_alu instid0(VALU_DEP_4) | instskip(NEXT) | instid1(VALU_DEP_2)
	v_fmac_f32_e32 v167, v8, v3
	v_fma_f32 v168, v7, v3, -v1
	ds_load_2addr_b64 v[1:4], v21 offset0:81 offset1:82
	ds_load_2addr_b64 v[5:8], v21 offset0:83 offset1:84
	s_wait_loadcnt_dscnt 0x1
	v_mul_f32_e32 v169, v1, v10
	v_mul_f32_e32 v171, v3, v12
	s_delay_alu instid0(VALU_DEP_2) | instskip(NEXT) | instid1(VALU_DEP_2)
	v_fmac_f32_e32 v169, v2, v9
	v_dual_mul_f32 v2, v2, v10 :: v_dual_fmac_f32 v171, v4, v11
	s_delay_alu instid0(VALU_DEP_1) | instskip(SKIP_1) | instid1(VALU_DEP_1)
	v_fma_f32 v170, v1, v9, -v2
	v_mul_f32_e32 v1, v4, v12
	v_fma_f32 v172, v3, v11, -v1
	s_clause 0x1
	scratch_load_b128 v[1:4], off, off offset:280
	scratch_load_b128 v[9:12], off, off offset:296
	s_wait_loadcnt_dscnt 0x100
	v_mul_f32_e32 v173, v5, v2
	v_mul_f32_e32 v2, v6, v2
	s_delay_alu instid0(VALU_DEP_1) | instskip(SKIP_1) | instid1(VALU_DEP_1)
	v_fma_f32 v174, v5, v1, -v2
	v_add_f32_e32 v2, 0, v134
	v_add_f32_e32 v2, v2, v135
	s_delay_alu instid0(VALU_DEP_1) | instskip(NEXT) | instid1(VALU_DEP_1)
	v_add_f32_e32 v2, v2, v25
	v_add_f32_e32 v2, v2, v26
	s_delay_alu instid0(VALU_DEP_1) | instskip(NEXT) | instid1(VALU_DEP_1)
	;; [unrolled: 3-line block ×7, first 2 shown]
	v_add_f32_e32 v2, v2, v141
	v_add_f32_e32 v2, v2, v143
	s_delay_alu instid0(VALU_DEP_1) | instskip(SKIP_2) | instid1(VALU_DEP_1)
	v_add_f32_e32 v2, v2, v145
	v_fmac_f32_e32 v173, v6, v1
	v_mul_f32_e32 v1, v8, v4
	v_fma_f32 v176, v7, v3, -v1
	v_add_f32_e32 v1, 0, v22
	s_delay_alu instid0(VALU_DEP_1) | instskip(NEXT) | instid1(VALU_DEP_1)
	v_add_f32_e32 v1, v1, v24
	v_add_f32_e32 v1, v1, v124
	s_delay_alu instid0(VALU_DEP_1) | instskip(SKIP_2) | instid1(VALU_DEP_1)
	v_add_f32_e32 v1, v1, v125
	scratch_load_b64 v[124:125], off, off offset:376
	v_add_f32_e32 v1, v1, v126
	v_add_f32_e32 v1, v1, v127
	s_delay_alu instid0(VALU_DEP_1) | instskip(NEXT) | instid1(VALU_DEP_1)
	v_add_f32_e32 v1, v1, v13
	v_add_f32_e32 v1, v1, v14
	s_delay_alu instid0(VALU_DEP_1) | instskip(NEXT) | instid1(VALU_DEP_1)
	;; [unrolled: 3-line block ×8, first 2 shown]
	v_dual_mul_f32 v175, v7, v4 :: v_dual_add_f32 v14, v14, v154
	v_fmac_f32_e32 v175, v8, v3
	s_delay_alu instid0(VALU_DEP_2) | instskip(NEXT) | instid1(VALU_DEP_1)
	v_add_f32_e32 v17, v14, v156
	v_add_f32_e32 v17, v17, v158
	s_delay_alu instid0(VALU_DEP_1) | instskip(NEXT) | instid1(VALU_DEP_1)
	v_add_f32_e32 v17, v17, v160
	v_add_f32_e32 v17, v17, v162
	s_delay_alu instid0(VALU_DEP_1) | instskip(NEXT) | instid1(VALU_DEP_1)
	;; [unrolled: 3-line block ×3, first 2 shown]
	v_add_f32_e32 v25, v25, v168
	v_add_f32_e32 v25, v25, v170
	;; [unrolled: 1-line block ×3, first 2 shown]
	scratch_load_b128 v[1:4], off, off offset:312
	v_add_f32_e32 v13, v5, v149
	ds_load_2addr_b64 v[5:8], v21 offset0:85 offset1:86
	v_add_f32_e32 v13, v13, v151
	s_delay_alu instid0(VALU_DEP_1) | instskip(NEXT) | instid1(VALU_DEP_1)
	v_add_f32_e32 v13, v13, v153
	v_add_f32_e32 v18, v13, v155
	ds_load_2addr_b64 v[13:16], v21 offset0:87 offset1:88
	v_add_f32_e32 v18, v18, v157
	s_wait_loadcnt_dscnt 0x201
	v_mul_f32_e32 v22, v5, v10
	v_mul_f32_e32 v10, v6, v10
	;; [unrolled: 1-line block ×4, first 2 shown]
	v_add_f32_e32 v18, v18, v159
	v_fmac_f32_e32 v22, v6, v9
	v_fma_f32 v129, v5, v9, -v10
	v_fmac_f32_e32 v128, v8, v11
	v_fma_f32 v130, v7, v11, -v12
	s_clause 0x1
	scratch_load_b128 v[9:12], off, off offset:344
	scratch_load_b128 v[5:8], off, off offset:328
	v_add_f32_e32 v24, v18, v161
	scratch_load_b128 v[17:20], off, off offset:360
	v_add_f32_e32 v24, v24, v163
	s_delay_alu instid0(VALU_DEP_1) | instskip(SKIP_1) | instid1(VALU_DEP_1)
	v_add_f32_e32 v24, v24, v165
	s_wait_loadcnt_dscnt 0x300
	v_dual_add_f32 v24, v24, v167 :: v_dual_mul_f32 v131, v13, v2
	v_mul_f32_e32 v2, v14, v2
	v_mul_f32_e32 v134, v15, v4
	s_delay_alu instid0(VALU_DEP_3) | instskip(NEXT) | instid1(VALU_DEP_3)
	v_dual_mul_f32 v4, v16, v4 :: v_dual_fmac_f32 v131, v14, v1
	v_fma_f32 v135, v13, v1, -v2
	v_dual_add_f32 v13, v24, v169 :: v_dual_add_f32 v14, v25, v172
	s_delay_alu instid0(VALU_DEP_4) | instskip(NEXT) | instid1(VALU_DEP_4)
	v_fmac_f32_e32 v134, v16, v3
	v_fma_f32 v136, v15, v3, -v4
	ds_load_2addr_b64 v[1:4], v21 offset0:89 offset1:90
	v_add_f32_e32 v24, v13, v171
	v_add_f32_e32 v126, v14, v174
	ds_load_2addr_b64 v[13:16], v21 offset0:91 offset1:92
	v_add_f32_e32 v127, v24, v173
	ds_load_2addr_b64 v[24:27], v21 offset0:93 offset1:94
	v_dual_add_f32 v137, v126, v176 :: v_dual_add_f32 v138, v127, v175
	ds_load_b64 v[126:127], v21 offset:760
	v_dual_add_f32 v129, v137, v129 :: v_dual_add_f32 v22, v138, v22
	s_delay_alu instid0(VALU_DEP_1)
	v_dual_add_f32 v129, v129, v130 :: v_dual_add_f32 v22, v22, v128
	s_wait_loadcnt_dscnt 0x202
	v_mul_f32_e32 v130, v13, v10
	s_wait_loadcnt 0x1
	v_mul_f32_e32 v128, v3, v8
	v_mul_f32_e32 v8, v4, v8
	v_dual_add_f32 v22, v22, v131 :: v_dual_mul_f32 v131, v15, v12
	v_fmac_f32_e32 v130, v14, v9
	s_delay_alu instid0(VALU_DEP_4) | instskip(NEXT) | instid1(VALU_DEP_3)
	v_fmac_f32_e32 v128, v4, v7
	v_add_f32_e32 v22, v22, v134
	s_wait_dscnt 0x0
	v_dual_mul_f32 v134, v126, v125 :: v_dual_mul_f32 v137, v1, v6
	v_dual_mul_f32 v6, v2, v6 :: v_dual_fmac_f32 v131, v16, v11
	s_delay_alu instid0(VALU_DEP_2) | instskip(NEXT) | instid1(VALU_DEP_2)
	v_dual_fmac_f32 v134, v127, v124 :: v_dual_add_f32 v129, v129, v135
	v_fma_f32 v1, v1, v5, -v6
	s_delay_alu instid0(VALU_DEP_4) | instskip(SKIP_3) | instid1(VALU_DEP_4)
	v_fmac_f32_e32 v137, v2, v5
	v_fma_f32 v2, v3, v7, -v8
	v_mul_f32_e32 v3, v14, v10
	v_add_f32_e32 v129, v129, v136
	v_dual_mul_f32 v5, v16, v12 :: v_dual_add_f32 v4, v22, v137
	s_wait_loadcnt 0x0
	v_mul_f32_e32 v135, v24, v18
	v_fma_f32 v3, v13, v9, -v3
	v_add_f32_e32 v1, v129, v1
	v_fma_f32 v5, v15, v11, -v5
	s_delay_alu instid0(VALU_DEP_4) | instskip(NEXT) | instid1(VALU_DEP_3)
	v_dual_mul_f32 v136, v26, v20 :: v_dual_fmac_f32 v135, v25, v17
	v_dual_add_f32 v1, v1, v2 :: v_dual_add_f32 v2, v4, v128
	v_mul_f32_e32 v4, v25, v18
	s_delay_alu instid0(VALU_DEP_3) | instskip(NEXT) | instid1(VALU_DEP_3)
	v_fmac_f32_e32 v136, v27, v19
	v_dual_add_f32 v1, v1, v3 :: v_dual_add_f32 v2, v2, v130
	v_mul_f32_e32 v3, v27, v20
	s_delay_alu instid0(VALU_DEP_4) | instskip(NEXT) | instid1(VALU_DEP_3)
	v_fma_f32 v4, v24, v17, -v4
	v_dual_add_f32 v1, v1, v5 :: v_dual_add_f32 v2, v2, v131
	v_mul_f32_e32 v5, v127, v125
	s_delay_alu instid0(VALU_DEP_4) | instskip(NEXT) | instid1(VALU_DEP_3)
	v_fma_f32 v3, v26, v19, -v3
	v_dual_add_f32 v1, v1, v4 :: v_dual_add_f32 v2, v2, v135
	s_delay_alu instid0(VALU_DEP_3) | instskip(NEXT) | instid1(VALU_DEP_2)
	v_fma_f32 v4, v126, v124, -v5
	v_dual_add_f32 v1, v1, v3 :: v_dual_add_f32 v2, v2, v136
	s_delay_alu instid0(VALU_DEP_1) | instskip(NEXT) | instid1(VALU_DEP_1)
	v_dual_add_f32 v1, v1, v4 :: v_dual_add_f32 v2, v2, v134
	v_dual_sub_f32 v1, v132, v1 :: v_dual_sub_f32 v2, v133, v2
	scratch_store_b64 off, v[1:2], off offset:32
	v_cmpx_lt_u32_e32 3, v0
	s_cbranch_execz .LBB111_295
; %bb.294:
	scratch_load_b64 v[1:2], off, off offset:24
	v_mov_b32_e32 v22, v21
	scratch_store_b64 off, v[21:22], off offset:24
	s_wait_loadcnt 0x0
	ds_store_b64 v23, v[1:2]
.LBB111_295:
	s_wait_alu 0xfffe
	s_or_b32 exec_lo, exec_lo, s0
	s_wait_storecnt_dscnt 0x0
	s_barrier_signal -1
	s_barrier_wait -1
	global_inv scope:SCOPE_SE
	s_clause 0x4
	scratch_load_b128 v[5:8], off, off offset:32
	scratch_load_b128 v[1:4], off, off offset:48
	;; [unrolled: 1-line block ×5, first 2 shown]
	ds_load_b128 v[24:27], v21 offset:416
	ds_load_b128 v[124:127], v21 offset:432
	;; [unrolled: 1-line block ×3, first 2 shown]
	scratch_load_b64 v[132:133], off, off offset:24
	s_mov_b32 s0, exec_lo
	s_wait_loadcnt_dscnt 0x502
	v_dual_mul_f32 v22, v25, v6 :: v_dual_mul_f32 v135, v26, v8
	v_mul_f32_e32 v134, v24, v6
	v_mul_f32_e32 v6, v27, v8
	s_wait_loadcnt_dscnt 0x300
	v_mul_f32_e32 v136, v130, v12
	v_fma_f32 v22, v24, v5, -v22
	v_dual_fmac_f32 v135, v27, v7 :: v_dual_fmac_f32 v134, v25, v5
	v_mul_f32_e32 v27, v128, v10
	v_mul_f32_e32 v25, v124, v2
	v_fma_f32 v24, v26, v7, -v6
	ds_load_b128 v[5:8], v21 offset:464
	v_mul_f32_e32 v26, v126, v4
	v_dual_mul_f32 v4, v127, v4 :: v_dual_fmac_f32 v27, v129, v9
	v_mul_f32_e32 v10, v129, v10
	v_mul_f32_e32 v12, v131, v12
	;; [unrolled: 1-line block ×3, first 2 shown]
	v_dual_fmac_f32 v25, v125, v1 :: v_dual_fmac_f32 v26, v127, v3
	v_fma_f32 v125, v126, v3, -v4
	v_fma_f32 v126, v128, v9, -v10
	v_fmac_f32_e32 v136, v131, v11
	v_fma_f32 v127, v130, v11, -v12
	ds_load_b128 v[9:12], v21 offset:480
	s_wait_loadcnt_dscnt 0x201
	v_mul_f32_e32 v129, v7, v16
	v_fma_f32 v124, v124, v1, -v2
	scratch_load_b128 v[1:4], off, off offset:112
	v_mul_f32_e32 v128, v5, v14
	v_mul_f32_e32 v14, v6, v14
	;; [unrolled: 1-line block ×3, first 2 shown]
	s_delay_alu instid0(VALU_DEP_3) | instskip(NEXT) | instid1(VALU_DEP_3)
	v_dual_fmac_f32 v129, v8, v15 :: v_dual_fmac_f32 v128, v6, v13
	v_fma_f32 v13, v5, v13, -v14
	s_delay_alu instid0(VALU_DEP_3)
	v_fma_f32 v14, v7, v15, -v16
	ds_load_b128 v[5:8], v21 offset:496
	s_wait_loadcnt_dscnt 0x201
	v_mul_f32_e32 v15, v9, v18
	v_mul_f32_e32 v16, v10, v18
	;; [unrolled: 1-line block ×3, first 2 shown]
	s_delay_alu instid0(VALU_DEP_3) | instskip(NEXT) | instid1(VALU_DEP_3)
	v_dual_mul_f32 v20, v12, v20 :: v_dual_fmac_f32 v15, v10, v17
	v_fma_f32 v16, v9, v17, -v16
	s_delay_alu instid0(VALU_DEP_3) | instskip(NEXT) | instid1(VALU_DEP_3)
	v_fmac_f32_e32 v18, v12, v19
	v_fma_f32 v17, v11, v19, -v20
	scratch_load_b128 v[9:12], off, off offset:128
	s_wait_loadcnt_dscnt 0x100
	v_mul_f32_e32 v19, v5, v2
	v_mul_f32_e32 v2, v6, v2
	;; [unrolled: 1-line block ×3, first 2 shown]
	s_delay_alu instid0(VALU_DEP_3) | instskip(NEXT) | instid1(VALU_DEP_3)
	v_dual_mul_f32 v4, v8, v4 :: v_dual_fmac_f32 v19, v6, v1
	v_fma_f32 v130, v5, v1, -v2
	s_delay_alu instid0(VALU_DEP_3) | instskip(NEXT) | instid1(VALU_DEP_3)
	v_fmac_f32_e32 v20, v8, v3
	v_fma_f32 v131, v7, v3, -v4
	ds_load_b128 v[1:4], v21 offset:512
	ds_load_b128 v[5:8], v21 offset:528
	s_wait_loadcnt_dscnt 0x1
	v_mul_f32_e32 v137, v1, v10
	v_mul_f32_e32 v10, v2, v10
	s_delay_alu instid0(VALU_DEP_2) | instskip(NEXT) | instid1(VALU_DEP_2)
	v_dual_mul_f32 v138, v3, v12 :: v_dual_fmac_f32 v137, v2, v9
	v_fma_f32 v139, v1, v9, -v10
	v_mul_f32_e32 v1, v4, v12
	s_delay_alu instid0(VALU_DEP_3) | instskip(NEXT) | instid1(VALU_DEP_2)
	v_fmac_f32_e32 v138, v4, v11
	v_fma_f32 v140, v3, v11, -v1
	s_clause 0x1
	scratch_load_b128 v[1:4], off, off offset:144
	scratch_load_b128 v[9:12], off, off offset:160
	s_wait_loadcnt_dscnt 0x100
	v_mul_f32_e32 v141, v5, v2
	v_dual_mul_f32 v2, v6, v2 :: v_dual_mul_f32 v143, v7, v4
	s_delay_alu instid0(VALU_DEP_2) | instskip(NEXT) | instid1(VALU_DEP_2)
	v_fmac_f32_e32 v141, v6, v1
	v_fma_f32 v142, v5, v1, -v2
	v_mul_f32_e32 v1, v8, v4
	s_delay_alu instid0(VALU_DEP_4) | instskip(NEXT) | instid1(VALU_DEP_2)
	v_fmac_f32_e32 v143, v8, v3
	v_fma_f32 v144, v7, v3, -v1
	ds_load_b128 v[1:4], v21 offset:544
	ds_load_b128 v[5:8], v21 offset:560
	s_wait_loadcnt_dscnt 0x1
	v_mul_f32_e32 v145, v1, v10
	v_mul_f32_e32 v147, v3, v12
	s_delay_alu instid0(VALU_DEP_2) | instskip(NEXT) | instid1(VALU_DEP_2)
	v_fmac_f32_e32 v145, v2, v9
	v_dual_mul_f32 v2, v2, v10 :: v_dual_fmac_f32 v147, v4, v11
	s_delay_alu instid0(VALU_DEP_1) | instskip(SKIP_1) | instid1(VALU_DEP_1)
	v_fma_f32 v146, v1, v9, -v2
	v_mul_f32_e32 v1, v4, v12
	v_fma_f32 v148, v3, v11, -v1
	s_clause 0x1
	scratch_load_b128 v[1:4], off, off offset:176
	scratch_load_b128 v[9:12], off, off offset:192
	s_wait_loadcnt_dscnt 0x100
	v_mul_f32_e32 v149, v5, v2
	v_dual_mul_f32 v2, v6, v2 :: v_dual_mul_f32 v151, v7, v4
	s_delay_alu instid0(VALU_DEP_2) | instskip(NEXT) | instid1(VALU_DEP_2)
	v_fmac_f32_e32 v149, v6, v1
	v_fma_f32 v150, v5, v1, -v2
	v_mul_f32_e32 v1, v8, v4
	s_delay_alu instid0(VALU_DEP_4) | instskip(NEXT) | instid1(VALU_DEP_2)
	v_fmac_f32_e32 v151, v8, v3
	v_fma_f32 v152, v7, v3, -v1
	ds_load_b128 v[1:4], v21 offset:576
	ds_load_b128 v[5:8], v21 offset:592
	s_wait_loadcnt_dscnt 0x1
	v_mul_f32_e32 v153, v1, v10
	v_mul_f32_e32 v155, v3, v12
	s_delay_alu instid0(VALU_DEP_2) | instskip(NEXT) | instid1(VALU_DEP_2)
	v_fmac_f32_e32 v153, v2, v9
	v_dual_mul_f32 v2, v2, v10 :: v_dual_fmac_f32 v155, v4, v11
	s_delay_alu instid0(VALU_DEP_1) | instskip(SKIP_1) | instid1(VALU_DEP_1)
	v_fma_f32 v154, v1, v9, -v2
	v_mul_f32_e32 v1, v4, v12
	;; [unrolled: 25-line block ×5, first 2 shown]
	v_fma_f32 v180, v3, v11, -v1
	s_clause 0x1
	scratch_load_b128 v[1:4], off, off offset:304
	scratch_load_b128 v[9:12], off, off offset:320
	s_wait_loadcnt_dscnt 0x100
	v_mul_f32_e32 v181, v5, v2
	v_dual_mul_f32 v2, v6, v2 :: v_dual_mul_f32 v183, v7, v4
	s_delay_alu instid0(VALU_DEP_2) | instskip(NEXT) | instid1(VALU_DEP_2)
	v_fmac_f32_e32 v181, v6, v1
	v_fma_f32 v182, v5, v1, -v2
	v_dual_mul_f32 v1, v8, v4 :: v_dual_add_f32 v2, 0, v134
	s_delay_alu instid0(VALU_DEP_4) | instskip(NEXT) | instid1(VALU_DEP_2)
	v_fmac_f32_e32 v183, v8, v3
	v_fma_f32 v184, v7, v3, -v1
	s_delay_alu instid0(VALU_DEP_3) | instskip(NEXT) | instid1(VALU_DEP_1)
	v_dual_add_f32 v1, 0, v22 :: v_dual_add_f32 v2, v2, v135
	v_dual_add_f32 v1, v1, v24 :: v_dual_add_f32 v2, v2, v25
	s_delay_alu instid0(VALU_DEP_1) | instskip(NEXT) | instid1(VALU_DEP_1)
	v_dual_add_f32 v1, v1, v124 :: v_dual_add_f32 v2, v2, v26
	v_dual_add_f32 v1, v1, v125 :: v_dual_add_f32 v2, v2, v27
	s_delay_alu instid0(VALU_DEP_1) | instskip(NEXT) | instid1(VALU_DEP_1)
	;; [unrolled: 3-line block ×3, first 2 shown]
	v_add_f32_e32 v1, v1, v13
	v_dual_add_f32 v2, v2, v129 :: v_dual_add_f32 v1, v1, v14
	s_delay_alu instid0(VALU_DEP_1) | instskip(NEXT) | instid1(VALU_DEP_1)
	v_dual_add_f32 v2, v2, v15 :: v_dual_add_f32 v1, v1, v16
	v_dual_add_f32 v2, v2, v18 :: v_dual_add_f32 v1, v1, v17
	s_delay_alu instid0(VALU_DEP_1) | instskip(NEXT) | instid1(VALU_DEP_1)
	v_dual_add_f32 v2, v2, v19 :: v_dual_add_f32 v1, v1, v130
	;; [unrolled: 3-line block ×6, first 2 shown]
	v_dual_add_f32 v2, v2, v151 :: v_dual_add_f32 v1, v1, v152
	s_delay_alu instid0(VALU_DEP_1) | instskip(NEXT) | instid1(VALU_DEP_2)
	v_add_f32_e32 v5, v2, v153
	v_add_f32_e32 v1, v1, v154
	s_delay_alu instid0(VALU_DEP_2) | instskip(NEXT) | instid1(VALU_DEP_2)
	v_add_f32_e32 v5, v5, v155
	v_add_f32_e32 v6, v1, v156
	ds_load_b128 v[1:4], v21 offset:704
	v_dual_add_f32 v5, v5, v157 :: v_dual_add_f32 v6, v6, v158
	s_delay_alu instid0(VALU_DEP_1) | instskip(SKIP_2) | instid1(VALU_DEP_1)
	v_dual_add_f32 v14, v5, v159 :: v_dual_add_f32 v13, v6, v160
	ds_load_b128 v[5:8], v21 offset:720
	v_dual_add_f32 v14, v14, v161 :: v_dual_add_f32 v13, v13, v162
	v_dual_add_f32 v14, v14, v163 :: v_dual_add_f32 v13, v13, v164
	s_wait_loadcnt_dscnt 0x1
	v_mul_f32_e32 v22, v1, v10
	v_mul_f32_e32 v124, v3, v12
	v_mul_f32_e32 v10, v2, v10
	v_dual_mul_f32 v12, v4, v12 :: v_dual_add_f32 v13, v13, v166
	s_delay_alu instid0(VALU_DEP_4) | instskip(NEXT) | instid1(VALU_DEP_4)
	v_fmac_f32_e32 v22, v2, v9
	v_fmac_f32_e32 v124, v4, v11
	s_delay_alu instid0(VALU_DEP_4) | instskip(NEXT) | instid1(VALU_DEP_4)
	v_fma_f32 v125, v1, v9, -v10
	v_fma_f32 v126, v3, v11, -v12
	s_clause 0x1
	scratch_load_b128 v[1:4], off, off offset:336
	scratch_load_b128 v[9:12], off, off offset:352
	v_dual_add_f32 v17, v14, v165 :: v_dual_add_f32 v18, v13, v168
	scratch_load_b128 v[13:16], off, off offset:368
	v_dual_add_f32 v17, v17, v167 :: v_dual_add_f32 v18, v18, v170
	s_delay_alu instid0(VALU_DEP_1) | instskip(NEXT) | instid1(VALU_DEP_1)
	v_dual_add_f32 v17, v17, v169 :: v_dual_add_f32 v18, v18, v172
	v_dual_add_f32 v17, v17, v171 :: v_dual_add_f32 v24, v18, v174
	s_delay_alu instid0(VALU_DEP_1)
	v_add_f32_e32 v25, v17, v173
	ds_load_b128 v[17:20], v21 offset:736
	v_dual_add_f32 v127, v24, v176 :: v_dual_add_f32 v128, v25, v175
	ds_load_b128 v[24:27], v21 offset:752
	s_wait_loadcnt_dscnt 0x101
	v_dual_mul_f32 v129, v7, v4 :: v_dual_mul_f32 v130, v17, v10
	v_mul_f32_e32 v4, v8, v4
	s_wait_loadcnt_dscnt 0x0
	v_dual_mul_f32 v131, v19, v12 :: v_dual_mul_f32 v134, v24, v14
	v_add_f32_e32 v21, v127, v178
	v_dual_add_f32 v127, v128, v177 :: v_dual_mul_f32 v128, v5, v2
	v_mul_f32_e32 v2, v6, v2
	s_delay_alu instid0(VALU_DEP_4) | instskip(NEXT) | instid1(VALU_DEP_4)
	v_fmac_f32_e32 v134, v25, v13
	v_add_f32_e32 v21, v21, v180
	s_delay_alu instid0(VALU_DEP_4) | instskip(NEXT) | instid1(VALU_DEP_4)
	v_dual_add_f32 v127, v127, v179 :: v_dual_fmac_f32 v128, v6, v1
	v_fma_f32 v2, v5, v1, -v2
	v_mul_f32_e32 v6, v18, v10
	s_delay_alu instid0(VALU_DEP_4) | instskip(NEXT) | instid1(VALU_DEP_4)
	v_add_f32_e32 v21, v21, v182
	v_add_f32_e32 v127, v127, v181
	v_fmac_f32_e32 v129, v8, v3
	v_fma_f32 v3, v7, v3, -v4
	v_mul_f32_e32 v4, v20, v12
	v_add_f32_e32 v21, v21, v184
	v_dual_add_f32 v127, v127, v183 :: v_dual_fmac_f32 v130, v18, v9
	v_fmac_f32_e32 v131, v20, v11
	s_delay_alu instid0(VALU_DEP_4) | instskip(NEXT) | instid1(VALU_DEP_3)
	v_fma_f32 v4, v19, v11, -v4
	v_dual_add_f32 v21, v21, v125 :: v_dual_add_f32 v22, v127, v22
	v_mul_f32_e32 v125, v26, v16
	s_delay_alu instid0(VALU_DEP_2) | instskip(NEXT) | instid1(VALU_DEP_3)
	v_add_f32_e32 v1, v21, v126
	v_add_f32_e32 v5, v22, v124
	s_delay_alu instid0(VALU_DEP_3) | instskip(NEXT) | instid1(VALU_DEP_3)
	v_fmac_f32_e32 v125, v27, v15
	v_add_f32_e32 v1, v1, v2
	s_delay_alu instid0(VALU_DEP_3) | instskip(SKIP_1) | instid1(VALU_DEP_2)
	v_add_f32_e32 v2, v5, v128
	v_fma_f32 v5, v17, v9, -v6
	v_dual_add_f32 v1, v1, v3 :: v_dual_add_f32 v2, v2, v129
	v_mul_f32_e32 v3, v25, v14
	s_delay_alu instid0(VALU_DEP_2) | instskip(SKIP_1) | instid1(VALU_DEP_3)
	v_dual_add_f32 v1, v1, v5 :: v_dual_add_f32 v2, v2, v130
	v_mul_f32_e32 v5, v27, v16
	v_fma_f32 v3, v24, v13, -v3
	s_delay_alu instid0(VALU_DEP_3) | instskip(NEXT) | instid1(VALU_DEP_3)
	v_dual_add_f32 v1, v1, v4 :: v_dual_add_f32 v2, v2, v131
	v_fma_f32 v4, v26, v15, -v5
	s_delay_alu instid0(VALU_DEP_2) | instskip(NEXT) | instid1(VALU_DEP_1)
	v_dual_add_f32 v1, v1, v3 :: v_dual_add_f32 v2, v2, v134
	v_dual_add_f32 v1, v1, v4 :: v_dual_add_f32 v2, v2, v125
	s_delay_alu instid0(VALU_DEP_1)
	v_dual_sub_f32 v1, v132, v1 :: v_dual_sub_f32 v2, v133, v2
	scratch_store_b64 off, v[1:2], off offset:24
	v_cmpx_lt_u32_e32 2, v0
	s_cbranch_execz .LBB111_297
; %bb.296:
	scratch_load_b64 v[1:2], off, off offset:16
	v_mov_b32_e32 v3, 0
	s_delay_alu instid0(VALU_DEP_1)
	v_mov_b32_e32 v4, v3
	scratch_store_b64 off, v[3:4], off offset:16
	s_wait_loadcnt 0x0
	ds_store_b64 v23, v[1:2]
.LBB111_297:
	s_wait_alu 0xfffe
	s_or_b32 exec_lo, exec_lo, s0
	s_wait_storecnt_dscnt 0x0
	s_barrier_signal -1
	s_barrier_wait -1
	global_inv scope:SCOPE_SE
	s_clause 0x4
	scratch_load_b128 v[5:8], off, off offset:24
	scratch_load_b128 v[1:4], off, off offset:40
	scratch_load_b128 v[9:12], off, off offset:56
	scratch_load_b128 v[13:16], off, off offset:72
	scratch_load_b128 v[17:20], off, off offset:88
	v_mov_b32_e32 v21, 0
	ds_load_2addr_b64 v[24:27], v21 offset0:51 offset1:52
	ds_load_2addr_b64 v[124:127], v21 offset0:53 offset1:54
	;; [unrolled: 1-line block ×3, first 2 shown]
	scratch_load_b64 v[132:133], off, off offset:16
	s_mov_b32 s0, exec_lo
	s_wait_loadcnt_dscnt 0x502
	v_mul_f32_e32 v22, v25, v6
	v_dual_mul_f32 v134, v24, v6 :: v_dual_mul_f32 v135, v26, v8
	v_mul_f32_e32 v6, v27, v8
	s_delay_alu instid0(VALU_DEP_3) | instskip(NEXT) | instid1(VALU_DEP_3)
	v_fma_f32 v22, v24, v5, -v22
	v_dual_fmac_f32 v134, v25, v5 :: v_dual_fmac_f32 v135, v27, v7
	s_wait_loadcnt_dscnt 0x401
	v_mul_f32_e32 v25, v124, v2
	v_fma_f32 v24, v26, v7, -v6
	ds_load_2addr_b64 v[5:8], v21 offset0:57 offset1:58
	s_wait_loadcnt_dscnt 0x301
	v_dual_mul_f32 v26, v126, v4 :: v_dual_mul_f32 v27, v128, v10
	v_dual_mul_f32 v4, v127, v4 :: v_dual_fmac_f32 v25, v125, v1
	v_mul_f32_e32 v10, v129, v10
	s_delay_alu instid0(VALU_DEP_3)
	v_dual_mul_f32 v136, v130, v12 :: v_dual_fmac_f32 v27, v129, v9
	v_mul_f32_e32 v12, v131, v12
	v_mul_f32_e32 v2, v125, v2
	v_fmac_f32_e32 v26, v127, v3
	v_fma_f32 v125, v126, v3, -v4
	v_fma_f32 v126, v128, v9, -v10
	v_fmac_f32_e32 v136, v131, v11
	v_fma_f32 v127, v130, v11, -v12
	ds_load_2addr_b64 v[9:12], v21 offset0:59 offset1:60
	s_wait_loadcnt_dscnt 0x201
	v_mul_f32_e32 v129, v7, v16
	v_fma_f32 v124, v124, v1, -v2
	scratch_load_b128 v[1:4], off, off offset:104
	v_mul_f32_e32 v128, v5, v14
	v_mul_f32_e32 v14, v6, v14
	;; [unrolled: 1-line block ×3, first 2 shown]
	s_delay_alu instid0(VALU_DEP_3) | instskip(NEXT) | instid1(VALU_DEP_3)
	v_dual_fmac_f32 v129, v8, v15 :: v_dual_fmac_f32 v128, v6, v13
	v_fma_f32 v13, v5, v13, -v14
	s_delay_alu instid0(VALU_DEP_3)
	v_fma_f32 v14, v7, v15, -v16
	ds_load_2addr_b64 v[5:8], v21 offset0:61 offset1:62
	s_wait_loadcnt_dscnt 0x201
	v_mul_f32_e32 v15, v9, v18
	v_mul_f32_e32 v16, v10, v18
	;; [unrolled: 1-line block ×3, first 2 shown]
	s_delay_alu instid0(VALU_DEP_3) | instskip(NEXT) | instid1(VALU_DEP_3)
	v_dual_mul_f32 v20, v12, v20 :: v_dual_fmac_f32 v15, v10, v17
	v_fma_f32 v16, v9, v17, -v16
	s_delay_alu instid0(VALU_DEP_3) | instskip(NEXT) | instid1(VALU_DEP_3)
	v_fmac_f32_e32 v18, v12, v19
	v_fma_f32 v17, v11, v19, -v20
	scratch_load_b128 v[9:12], off, off offset:120
	s_wait_loadcnt_dscnt 0x100
	v_mul_f32_e32 v19, v5, v2
	v_mul_f32_e32 v2, v6, v2
	;; [unrolled: 1-line block ×3, first 2 shown]
	s_delay_alu instid0(VALU_DEP_3) | instskip(NEXT) | instid1(VALU_DEP_3)
	v_dual_mul_f32 v4, v8, v4 :: v_dual_fmac_f32 v19, v6, v1
	v_fma_f32 v130, v5, v1, -v2
	s_delay_alu instid0(VALU_DEP_3) | instskip(NEXT) | instid1(VALU_DEP_3)
	v_fmac_f32_e32 v20, v8, v3
	v_fma_f32 v131, v7, v3, -v4
	ds_load_2addr_b64 v[1:4], v21 offset0:63 offset1:64
	ds_load_2addr_b64 v[5:8], v21 offset0:65 offset1:66
	s_wait_loadcnt_dscnt 0x1
	v_mul_f32_e32 v137, v1, v10
	v_mul_f32_e32 v10, v2, v10
	s_delay_alu instid0(VALU_DEP_2) | instskip(NEXT) | instid1(VALU_DEP_2)
	v_dual_mul_f32 v138, v3, v12 :: v_dual_fmac_f32 v137, v2, v9
	v_fma_f32 v139, v1, v9, -v10
	v_mul_f32_e32 v1, v4, v12
	s_delay_alu instid0(VALU_DEP_3) | instskip(NEXT) | instid1(VALU_DEP_2)
	v_fmac_f32_e32 v138, v4, v11
	v_fma_f32 v140, v3, v11, -v1
	s_clause 0x1
	scratch_load_b128 v[1:4], off, off offset:136
	scratch_load_b128 v[9:12], off, off offset:152
	s_wait_loadcnt_dscnt 0x100
	v_mul_f32_e32 v141, v5, v2
	v_dual_mul_f32 v2, v6, v2 :: v_dual_mul_f32 v143, v7, v4
	s_delay_alu instid0(VALU_DEP_2) | instskip(NEXT) | instid1(VALU_DEP_2)
	v_fmac_f32_e32 v141, v6, v1
	v_fma_f32 v142, v5, v1, -v2
	v_mul_f32_e32 v1, v8, v4
	s_delay_alu instid0(VALU_DEP_4) | instskip(NEXT) | instid1(VALU_DEP_2)
	v_fmac_f32_e32 v143, v8, v3
	v_fma_f32 v144, v7, v3, -v1
	ds_load_2addr_b64 v[1:4], v21 offset0:67 offset1:68
	ds_load_2addr_b64 v[5:8], v21 offset0:69 offset1:70
	s_wait_loadcnt_dscnt 0x1
	v_mul_f32_e32 v145, v1, v10
	v_mul_f32_e32 v147, v3, v12
	s_delay_alu instid0(VALU_DEP_2) | instskip(NEXT) | instid1(VALU_DEP_2)
	v_fmac_f32_e32 v145, v2, v9
	v_dual_mul_f32 v2, v2, v10 :: v_dual_fmac_f32 v147, v4, v11
	s_delay_alu instid0(VALU_DEP_1) | instskip(SKIP_1) | instid1(VALU_DEP_1)
	v_fma_f32 v146, v1, v9, -v2
	v_mul_f32_e32 v1, v4, v12
	v_fma_f32 v148, v3, v11, -v1
	s_clause 0x1
	scratch_load_b128 v[1:4], off, off offset:168
	scratch_load_b128 v[9:12], off, off offset:184
	s_wait_loadcnt_dscnt 0x100
	v_mul_f32_e32 v149, v5, v2
	v_dual_mul_f32 v151, v7, v4 :: v_dual_mul_f32 v2, v6, v2
	s_delay_alu instid0(VALU_DEP_2) | instskip(NEXT) | instid1(VALU_DEP_2)
	v_fmac_f32_e32 v149, v6, v1
	v_fmac_f32_e32 v151, v8, v3
	s_delay_alu instid0(VALU_DEP_3) | instskip(SKIP_1) | instid1(VALU_DEP_1)
	v_fma_f32 v150, v5, v1, -v2
	v_mul_f32_e32 v1, v8, v4
	v_fma_f32 v152, v7, v3, -v1
	ds_load_2addr_b64 v[1:4], v21 offset0:71 offset1:72
	ds_load_2addr_b64 v[5:8], v21 offset0:73 offset1:74
	s_wait_loadcnt_dscnt 0x1
	v_mul_f32_e32 v153, v1, v10
	v_mul_f32_e32 v155, v3, v12
	s_delay_alu instid0(VALU_DEP_2) | instskip(NEXT) | instid1(VALU_DEP_2)
	v_fmac_f32_e32 v153, v2, v9
	v_dual_mul_f32 v2, v2, v10 :: v_dual_fmac_f32 v155, v4, v11
	s_delay_alu instid0(VALU_DEP_1) | instskip(SKIP_1) | instid1(VALU_DEP_1)
	v_fma_f32 v154, v1, v9, -v2
	v_mul_f32_e32 v1, v4, v12
	v_fma_f32 v156, v3, v11, -v1
	s_clause 0x1
	scratch_load_b128 v[1:4], off, off offset:200
	scratch_load_b128 v[9:12], off, off offset:216
	s_wait_loadcnt_dscnt 0x100
	v_mul_f32_e32 v157, v5, v2
	v_dual_mul_f32 v2, v6, v2 :: v_dual_mul_f32 v159, v7, v4
	s_delay_alu instid0(VALU_DEP_2) | instskip(NEXT) | instid1(VALU_DEP_2)
	v_fmac_f32_e32 v157, v6, v1
	v_fma_f32 v158, v5, v1, -v2
	v_mul_f32_e32 v1, v8, v4
	s_delay_alu instid0(VALU_DEP_4) | instskip(NEXT) | instid1(VALU_DEP_2)
	v_fmac_f32_e32 v159, v8, v3
	v_fma_f32 v160, v7, v3, -v1
	ds_load_2addr_b64 v[1:4], v21 offset0:75 offset1:76
	ds_load_2addr_b64 v[5:8], v21 offset0:77 offset1:78
	s_wait_loadcnt_dscnt 0x1
	v_mul_f32_e32 v161, v1, v10
	v_mul_f32_e32 v163, v3, v12
	s_delay_alu instid0(VALU_DEP_2) | instskip(NEXT) | instid1(VALU_DEP_2)
	v_fmac_f32_e32 v161, v2, v9
	v_dual_mul_f32 v2, v2, v10 :: v_dual_fmac_f32 v163, v4, v11
	s_delay_alu instid0(VALU_DEP_1) | instskip(SKIP_1) | instid1(VALU_DEP_1)
	v_fma_f32 v162, v1, v9, -v2
	v_mul_f32_e32 v1, v4, v12
	v_fma_f32 v164, v3, v11, -v1
	s_clause 0x1
	scratch_load_b128 v[1:4], off, off offset:232
	scratch_load_b128 v[9:12], off, off offset:248
	s_wait_loadcnt_dscnt 0x100
	v_mul_f32_e32 v165, v5, v2
	v_dual_mul_f32 v2, v6, v2 :: v_dual_mul_f32 v167, v7, v4
	s_delay_alu instid0(VALU_DEP_2) | instskip(NEXT) | instid1(VALU_DEP_2)
	v_fmac_f32_e32 v165, v6, v1
	v_fma_f32 v166, v5, v1, -v2
	v_mul_f32_e32 v1, v8, v4
	s_delay_alu instid0(VALU_DEP_4) | instskip(NEXT) | instid1(VALU_DEP_2)
	v_fmac_f32_e32 v167, v8, v3
	;; [unrolled: 25-line block ×3, first 2 shown]
	v_fma_f32 v176, v7, v3, -v1
	ds_load_2addr_b64 v[1:4], v21 offset0:83 offset1:84
	ds_load_2addr_b64 v[5:8], v21 offset0:85 offset1:86
	s_wait_loadcnt_dscnt 0x1
	v_mul_f32_e32 v177, v1, v10
	v_mul_f32_e32 v179, v3, v12
	s_delay_alu instid0(VALU_DEP_2) | instskip(NEXT) | instid1(VALU_DEP_2)
	v_fmac_f32_e32 v177, v2, v9
	v_dual_mul_f32 v2, v2, v10 :: v_dual_fmac_f32 v179, v4, v11
	s_delay_alu instid0(VALU_DEP_1) | instskip(SKIP_1) | instid1(VALU_DEP_1)
	v_fma_f32 v178, v1, v9, -v2
	v_mul_f32_e32 v1, v4, v12
	v_fma_f32 v180, v3, v11, -v1
	s_clause 0x1
	scratch_load_b128 v[1:4], off, off offset:296
	scratch_load_b128 v[9:12], off, off offset:312
	s_wait_loadcnt_dscnt 0x100
	v_mul_f32_e32 v181, v5, v2
	v_dual_mul_f32 v2, v6, v2 :: v_dual_mul_f32 v183, v7, v4
	s_delay_alu instid0(VALU_DEP_2) | instskip(NEXT) | instid1(VALU_DEP_2)
	v_fmac_f32_e32 v181, v6, v1
	v_fma_f32 v182, v5, v1, -v2
	v_add_f32_e32 v2, 0, v134
	s_delay_alu instid0(VALU_DEP_1) | instskip(NEXT) | instid1(VALU_DEP_1)
	v_add_f32_e32 v2, v2, v135
	v_add_f32_e32 v2, v2, v25
	s_delay_alu instid0(VALU_DEP_1) | instskip(NEXT) | instid1(VALU_DEP_1)
	v_dual_add_f32 v2, v2, v26 :: v_dual_mul_f32 v1, v8, v4
	v_add_f32_e32 v2, v2, v27
	s_delay_alu instid0(VALU_DEP_2) | instskip(NEXT) | instid1(VALU_DEP_2)
	v_fma_f32 v184, v7, v3, -v1
	v_dual_add_f32 v1, 0, v22 :: v_dual_add_f32 v2, v2, v136
	s_delay_alu instid0(VALU_DEP_1) | instskip(NEXT) | instid1(VALU_DEP_2)
	v_add_f32_e32 v1, v1, v24
	v_add_f32_e32 v2, v2, v128
	s_delay_alu instid0(VALU_DEP_1) | instskip(NEXT) | instid1(VALU_DEP_1)
	v_dual_add_f32 v1, v1, v124 :: v_dual_add_f32 v2, v2, v129
	v_add_f32_e32 v1, v1, v125
	scratch_load_b64 v[124:125], off, off offset:376
	v_dual_add_f32 v2, v2, v15 :: v_dual_add_f32 v1, v1, v126
	s_delay_alu instid0(VALU_DEP_1) | instskip(NEXT) | instid1(VALU_DEP_1)
	v_dual_add_f32 v2, v2, v18 :: v_dual_add_f32 v1, v1, v127
	v_dual_add_f32 v2, v2, v19 :: v_dual_add_f32 v1, v1, v13
	s_delay_alu instid0(VALU_DEP_1) | instskip(NEXT) | instid1(VALU_DEP_1)
	v_dual_add_f32 v2, v2, v20 :: v_dual_add_f32 v1, v1, v14
	;; [unrolled: 3-line block ×3, first 2 shown]
	v_dual_add_f32 v2, v2, v141 :: v_dual_add_f32 v1, v1, v130
	s_delay_alu instid0(VALU_DEP_1) | instskip(NEXT) | instid1(VALU_DEP_1)
	v_add_f32_e32 v2, v2, v143
	v_dual_add_f32 v1, v1, v131 :: v_dual_add_f32 v2, v2, v145
	s_delay_alu instid0(VALU_DEP_1) | instskip(NEXT) | instid1(VALU_DEP_1)
	v_add_f32_e32 v1, v1, v139
	v_dual_add_f32 v2, v2, v147 :: v_dual_add_f32 v1, v1, v140
	s_delay_alu instid0(VALU_DEP_1) | instskip(NEXT) | instid1(VALU_DEP_1)
	v_dual_add_f32 v2, v2, v149 :: v_dual_add_f32 v1, v1, v142
	v_dual_add_f32 v2, v2, v151 :: v_dual_add_f32 v1, v1, v144
	s_delay_alu instid0(VALU_DEP_1) | instskip(NEXT) | instid1(VALU_DEP_2)
	v_add_f32_e32 v5, v2, v153
	v_add_f32_e32 v1, v1, v146
	s_delay_alu instid0(VALU_DEP_2) | instskip(NEXT) | instid1(VALU_DEP_2)
	v_add_f32_e32 v5, v5, v155
	v_add_f32_e32 v1, v1, v148
	s_delay_alu instid0(VALU_DEP_1) | instskip(NEXT) | instid1(VALU_DEP_1)
	v_add_f32_e32 v1, v1, v150
	v_add_f32_e32 v1, v1, v152
	s_delay_alu instid0(VALU_DEP_1) | instskip(NEXT) | instid1(VALU_DEP_1)
	v_add_f32_e32 v1, v1, v154
	v_add_f32_e32 v6, v1, v156
	s_delay_alu instid0(VALU_DEP_1) | instskip(NEXT) | instid1(VALU_DEP_1)
	v_dual_add_f32 v5, v5, v157 :: v_dual_add_f32 v6, v6, v158
	v_dual_add_f32 v14, v5, v159 :: v_dual_add_f32 v13, v6, v160
	s_delay_alu instid0(VALU_DEP_1) | instskip(NEXT) | instid1(VALU_DEP_1)
	v_dual_add_f32 v14, v14, v161 :: v_dual_add_f32 v13, v13, v162
	v_dual_add_f32 v14, v14, v163 :: v_dual_add_f32 v13, v13, v164
	s_delay_alu instid0(VALU_DEP_1) | instskip(NEXT) | instid1(VALU_DEP_1)
	v_add_f32_e32 v13, v13, v166
	v_dual_add_f32 v18, v13, v168 :: v_dual_fmac_f32 v183, v8, v3
	ds_load_2addr_b64 v[1:4], v21 offset0:87 offset1:88
	ds_load_2addr_b64 v[5:8], v21 offset0:89 offset1:90
	v_add_f32_e32 v18, v18, v170
	s_delay_alu instid0(VALU_DEP_1) | instskip(NEXT) | instid1(VALU_DEP_1)
	v_add_f32_e32 v18, v18, v172
	v_add_f32_e32 v18, v18, v174
	s_delay_alu instid0(VALU_DEP_1)
	v_add_f32_e32 v18, v18, v176
	s_wait_loadcnt_dscnt 0x101
	v_mul_f32_e32 v22, v1, v10
	v_mul_f32_e32 v10, v2, v10
	;; [unrolled: 1-line block ×3, first 2 shown]
	v_dual_mul_f32 v12, v4, v12 :: v_dual_add_f32 v17, v14, v165
	s_delay_alu instid0(VALU_DEP_4) | instskip(NEXT) | instid1(VALU_DEP_4)
	v_fmac_f32_e32 v22, v2, v9
	v_fma_f32 v129, v1, v9, -v10
	s_delay_alu instid0(VALU_DEP_4) | instskip(NEXT) | instid1(VALU_DEP_4)
	v_fmac_f32_e32 v128, v4, v11
	v_fma_f32 v130, v3, v11, -v12
	s_clause 0x2
	scratch_load_b128 v[1:4], off, off offset:328
	scratch_load_b128 v[9:12], off, off offset:344
	;; [unrolled: 1-line block ×3, first 2 shown]
	v_dual_add_f32 v17, v17, v167 :: v_dual_add_f32 v126, v18, v178
	s_delay_alu instid0(VALU_DEP_1) | instskip(NEXT) | instid1(VALU_DEP_2)
	v_add_f32_e32 v17, v17, v169
	v_add_f32_e32 v131, v126, v180
	s_delay_alu instid0(VALU_DEP_2) | instskip(NEXT) | instid1(VALU_DEP_2)
	v_add_f32_e32 v17, v17, v171
	v_add_f32_e32 v131, v131, v182
	s_delay_alu instid0(VALU_DEP_2) | instskip(NEXT) | instid1(VALU_DEP_1)
	v_add_f32_e32 v17, v17, v173
	v_dual_add_f32 v131, v131, v184 :: v_dual_add_f32 v24, v17, v175
	ds_load_2addr_b64 v[17:20], v21 offset0:91 offset1:92
	v_add_f32_e32 v129, v131, v129
	v_add_f32_e32 v127, v24, v177
	ds_load_2addr_b64 v[24:27], v21 offset0:93 offset1:94
	v_dual_add_f32 v129, v129, v130 :: v_dual_add_f32 v134, v127, v179
	ds_load_b64 v[126:127], v21 offset:760
	v_add_f32_e32 v134, v134, v181
	s_delay_alu instid0(VALU_DEP_1) | instskip(NEXT) | instid1(VALU_DEP_1)
	v_add_f32_e32 v134, v134, v183
	v_add_f32_e32 v22, v134, v22
	s_delay_alu instid0(VALU_DEP_1) | instskip(SKIP_3) | instid1(VALU_DEP_1)
	v_add_f32_e32 v22, v22, v128
	s_wait_loadcnt_dscnt 0x300
	v_mul_f32_e32 v128, v126, v125
	s_wait_loadcnt 0x2
	v_dual_fmac_f32 v128, v127, v124 :: v_dual_mul_f32 v135, v5, v2
	v_mul_f32_e32 v2, v6, v2
	v_mul_f32_e32 v136, v7, v4
	s_wait_loadcnt 0x1
	v_dual_mul_f32 v4, v8, v4 :: v_dual_mul_f32 v131, v17, v10
	v_fmac_f32_e32 v135, v6, v1
	v_fma_f32 v2, v5, v1, -v2
	v_fmac_f32_e32 v136, v8, v3
	s_delay_alu instid0(VALU_DEP_4)
	v_fma_f32 v1, v7, v3, -v4
	v_mul_f32_e32 v3, v18, v10
	v_add_f32_e32 v4, v22, v135
	v_add_f32_e32 v2, v129, v2
	v_mul_f32_e32 v134, v19, v12
	v_mul_f32_e32 v5, v20, v12
	v_fmac_f32_e32 v131, v18, v9
	v_fma_f32 v3, v17, v9, -v3
	v_dual_add_f32 v1, v2, v1 :: v_dual_add_f32 v2, v4, v136
	s_wait_loadcnt 0x0
	v_mul_f32_e32 v137, v24, v14
	v_mul_f32_e32 v4, v25, v14
	v_fmac_f32_e32 v134, v20, v11
	v_fma_f32 v5, v19, v11, -v5
	v_add_f32_e32 v1, v1, v3
	v_add_f32_e32 v2, v2, v131
	v_mul_f32_e32 v130, v26, v16
	v_mul_f32_e32 v3, v27, v16
	v_fmac_f32_e32 v137, v25, v13
	v_fma_f32 v4, v24, v13, -v4
	v_dual_add_f32 v1, v1, v5 :: v_dual_add_f32 v2, v2, v134
	v_mul_f32_e32 v5, v127, v125
	v_fmac_f32_e32 v130, v27, v15
	v_fma_f32 v3, v26, v15, -v3
	s_delay_alu instid0(VALU_DEP_4) | instskip(NEXT) | instid1(VALU_DEP_4)
	v_dual_add_f32 v1, v1, v4 :: v_dual_add_f32 v2, v2, v137
	v_fma_f32 v4, v126, v124, -v5
	s_delay_alu instid0(VALU_DEP_2) | instskip(NEXT) | instid1(VALU_DEP_1)
	v_dual_add_f32 v1, v1, v3 :: v_dual_add_f32 v2, v2, v130
	v_add_f32_e32 v1, v1, v4
	s_delay_alu instid0(VALU_DEP_1) | instskip(NEXT) | instid1(VALU_DEP_1)
	v_dual_add_f32 v2, v2, v128 :: v_dual_sub_f32 v1, v132, v1
	v_sub_f32_e32 v2, v133, v2
	scratch_store_b64 off, v[1:2], off offset:16
	v_cmpx_lt_u32_e32 1, v0
	s_cbranch_execz .LBB111_299
; %bb.298:
	scratch_load_b64 v[1:2], off, off offset:8
	v_mov_b32_e32 v22, v21
	scratch_store_b64 off, v[21:22], off offset:8
	s_wait_loadcnt 0x0
	ds_store_b64 v23, v[1:2]
.LBB111_299:
	s_wait_alu 0xfffe
	s_or_b32 exec_lo, exec_lo, s0
	s_wait_storecnt_dscnt 0x0
	s_barrier_signal -1
	s_barrier_wait -1
	global_inv scope:SCOPE_SE
	s_clause 0x4
	scratch_load_b128 v[5:8], off, off offset:16
	scratch_load_b128 v[1:4], off, off offset:32
	;; [unrolled: 1-line block ×5, first 2 shown]
	ds_load_b128 v[24:27], v21 offset:400
	ds_load_b128 v[124:127], v21 offset:416
	ds_load_b128 v[128:131], v21 offset:432
	scratch_load_b64 v[132:133], off, off offset:8
	s_mov_b32 s0, exec_lo
	s_wait_loadcnt_dscnt 0x502
	v_dual_mul_f32 v22, v25, v6 :: v_dual_mul_f32 v135, v26, v8
	v_mul_f32_e32 v134, v24, v6
	v_mul_f32_e32 v6, v27, v8
	s_wait_loadcnt_dscnt 0x300
	v_mul_f32_e32 v136, v130, v12
	v_fma_f32 v22, v24, v5, -v22
	v_dual_fmac_f32 v135, v27, v7 :: v_dual_fmac_f32 v134, v25, v5
	v_mul_f32_e32 v27, v128, v10
	v_mul_f32_e32 v25, v124, v2
	v_fma_f32 v24, v26, v7, -v6
	ds_load_b128 v[5:8], v21 offset:448
	v_mul_f32_e32 v26, v126, v4
	v_dual_mul_f32 v4, v127, v4 :: v_dual_fmac_f32 v27, v129, v9
	v_mul_f32_e32 v10, v129, v10
	v_mul_f32_e32 v12, v131, v12
	;; [unrolled: 1-line block ×3, first 2 shown]
	v_dual_fmac_f32 v25, v125, v1 :: v_dual_fmac_f32 v26, v127, v3
	v_fma_f32 v125, v126, v3, -v4
	v_fma_f32 v126, v128, v9, -v10
	v_fmac_f32_e32 v136, v131, v11
	v_fma_f32 v127, v130, v11, -v12
	ds_load_b128 v[9:12], v21 offset:464
	s_wait_loadcnt_dscnt 0x201
	v_mul_f32_e32 v129, v7, v16
	v_fma_f32 v124, v124, v1, -v2
	scratch_load_b128 v[1:4], off, off offset:96
	v_mul_f32_e32 v128, v5, v14
	v_mul_f32_e32 v14, v6, v14
	;; [unrolled: 1-line block ×3, first 2 shown]
	s_delay_alu instid0(VALU_DEP_3) | instskip(NEXT) | instid1(VALU_DEP_3)
	v_dual_fmac_f32 v129, v8, v15 :: v_dual_fmac_f32 v128, v6, v13
	v_fma_f32 v13, v5, v13, -v14
	s_delay_alu instid0(VALU_DEP_3)
	v_fma_f32 v14, v7, v15, -v16
	ds_load_b128 v[5:8], v21 offset:480
	s_wait_loadcnt_dscnt 0x201
	v_mul_f32_e32 v15, v9, v18
	v_mul_f32_e32 v16, v10, v18
	;; [unrolled: 1-line block ×3, first 2 shown]
	s_delay_alu instid0(VALU_DEP_3) | instskip(NEXT) | instid1(VALU_DEP_3)
	v_dual_mul_f32 v20, v12, v20 :: v_dual_fmac_f32 v15, v10, v17
	v_fma_f32 v16, v9, v17, -v16
	s_delay_alu instid0(VALU_DEP_3) | instskip(NEXT) | instid1(VALU_DEP_3)
	v_fmac_f32_e32 v18, v12, v19
	v_fma_f32 v17, v11, v19, -v20
	scratch_load_b128 v[9:12], off, off offset:112
	s_wait_loadcnt_dscnt 0x100
	v_mul_f32_e32 v19, v5, v2
	v_mul_f32_e32 v2, v6, v2
	;; [unrolled: 1-line block ×3, first 2 shown]
	s_delay_alu instid0(VALU_DEP_3) | instskip(NEXT) | instid1(VALU_DEP_3)
	v_dual_mul_f32 v4, v8, v4 :: v_dual_fmac_f32 v19, v6, v1
	v_fma_f32 v130, v5, v1, -v2
	s_delay_alu instid0(VALU_DEP_3) | instskip(NEXT) | instid1(VALU_DEP_3)
	v_fmac_f32_e32 v20, v8, v3
	v_fma_f32 v131, v7, v3, -v4
	ds_load_b128 v[1:4], v21 offset:496
	ds_load_b128 v[5:8], v21 offset:512
	s_wait_loadcnt_dscnt 0x1
	v_mul_f32_e32 v137, v1, v10
	v_mul_f32_e32 v10, v2, v10
	s_delay_alu instid0(VALU_DEP_2) | instskip(NEXT) | instid1(VALU_DEP_2)
	v_dual_mul_f32 v138, v3, v12 :: v_dual_fmac_f32 v137, v2, v9
	v_fma_f32 v139, v1, v9, -v10
	v_mul_f32_e32 v1, v4, v12
	s_delay_alu instid0(VALU_DEP_3) | instskip(NEXT) | instid1(VALU_DEP_2)
	v_fmac_f32_e32 v138, v4, v11
	v_fma_f32 v140, v3, v11, -v1
	s_clause 0x1
	scratch_load_b128 v[1:4], off, off offset:128
	scratch_load_b128 v[9:12], off, off offset:144
	s_wait_loadcnt_dscnt 0x100
	v_mul_f32_e32 v141, v5, v2
	v_dual_mul_f32 v2, v6, v2 :: v_dual_mul_f32 v143, v7, v4
	s_delay_alu instid0(VALU_DEP_2) | instskip(NEXT) | instid1(VALU_DEP_2)
	v_fmac_f32_e32 v141, v6, v1
	v_fma_f32 v142, v5, v1, -v2
	v_mul_f32_e32 v1, v8, v4
	s_delay_alu instid0(VALU_DEP_4) | instskip(NEXT) | instid1(VALU_DEP_2)
	v_fmac_f32_e32 v143, v8, v3
	v_fma_f32 v144, v7, v3, -v1
	ds_load_b128 v[1:4], v21 offset:528
	ds_load_b128 v[5:8], v21 offset:544
	s_wait_loadcnt_dscnt 0x1
	v_mul_f32_e32 v145, v1, v10
	v_mul_f32_e32 v147, v3, v12
	s_delay_alu instid0(VALU_DEP_2) | instskip(NEXT) | instid1(VALU_DEP_2)
	v_fmac_f32_e32 v145, v2, v9
	v_dual_mul_f32 v2, v2, v10 :: v_dual_fmac_f32 v147, v4, v11
	s_delay_alu instid0(VALU_DEP_1) | instskip(SKIP_1) | instid1(VALU_DEP_1)
	v_fma_f32 v146, v1, v9, -v2
	v_mul_f32_e32 v1, v4, v12
	v_fma_f32 v148, v3, v11, -v1
	s_clause 0x1
	scratch_load_b128 v[1:4], off, off offset:160
	scratch_load_b128 v[9:12], off, off offset:176
	s_wait_loadcnt_dscnt 0x100
	v_mul_f32_e32 v149, v5, v2
	v_dual_mul_f32 v2, v6, v2 :: v_dual_mul_f32 v151, v7, v4
	s_delay_alu instid0(VALU_DEP_2) | instskip(NEXT) | instid1(VALU_DEP_2)
	v_fmac_f32_e32 v149, v6, v1
	v_fma_f32 v150, v5, v1, -v2
	v_mul_f32_e32 v1, v8, v4
	s_delay_alu instid0(VALU_DEP_4) | instskip(NEXT) | instid1(VALU_DEP_2)
	v_fmac_f32_e32 v151, v8, v3
	v_fma_f32 v152, v7, v3, -v1
	ds_load_b128 v[1:4], v21 offset:560
	ds_load_b128 v[5:8], v21 offset:576
	s_wait_loadcnt_dscnt 0x1
	v_mul_f32_e32 v153, v1, v10
	v_mul_f32_e32 v155, v3, v12
	s_delay_alu instid0(VALU_DEP_2) | instskip(NEXT) | instid1(VALU_DEP_2)
	v_fmac_f32_e32 v153, v2, v9
	v_dual_mul_f32 v2, v2, v10 :: v_dual_fmac_f32 v155, v4, v11
	s_delay_alu instid0(VALU_DEP_1) | instskip(SKIP_1) | instid1(VALU_DEP_1)
	v_fma_f32 v154, v1, v9, -v2
	v_mul_f32_e32 v1, v4, v12
	v_fma_f32 v156, v3, v11, -v1
	s_clause 0x1
	scratch_load_b128 v[1:4], off, off offset:192
	scratch_load_b128 v[9:12], off, off offset:208
	s_wait_loadcnt_dscnt 0x100
	v_mul_f32_e32 v157, v5, v2
	v_dual_mul_f32 v2, v6, v2 :: v_dual_mul_f32 v159, v7, v4
	s_delay_alu instid0(VALU_DEP_1) | instskip(NEXT) | instid1(VALU_DEP_3)
	v_fma_f32 v158, v5, v1, -v2
	v_fmac_f32_e32 v157, v6, v1
	v_mul_f32_e32 v1, v8, v4
	s_delay_alu instid0(VALU_DEP_4) | instskip(NEXT) | instid1(VALU_DEP_2)
	v_fmac_f32_e32 v159, v8, v3
	v_fma_f32 v160, v7, v3, -v1
	ds_load_b128 v[1:4], v21 offset:592
	ds_load_b128 v[5:8], v21 offset:608
	s_wait_loadcnt_dscnt 0x1
	v_mul_f32_e32 v161, v1, v10
	v_mul_f32_e32 v163, v3, v12
	s_delay_alu instid0(VALU_DEP_1) | instskip(NEXT) | instid1(VALU_DEP_3)
	v_fmac_f32_e32 v163, v4, v11
	v_fmac_f32_e32 v161, v2, v9
	v_mul_f32_e32 v2, v2, v10
	s_delay_alu instid0(VALU_DEP_1) | instskip(SKIP_1) | instid1(VALU_DEP_1)
	v_fma_f32 v162, v1, v9, -v2
	v_mul_f32_e32 v1, v4, v12
	v_fma_f32 v164, v3, v11, -v1
	s_clause 0x1
	scratch_load_b128 v[1:4], off, off offset:224
	scratch_load_b128 v[9:12], off, off offset:240
	s_wait_loadcnt_dscnt 0x100
	v_mul_f32_e32 v165, v5, v2
	v_dual_mul_f32 v2, v6, v2 :: v_dual_mul_f32 v167, v7, v4
	s_delay_alu instid0(VALU_DEP_2) | instskip(NEXT) | instid1(VALU_DEP_2)
	v_fmac_f32_e32 v165, v6, v1
	v_fma_f32 v166, v5, v1, -v2
	v_mul_f32_e32 v1, v8, v4
	s_delay_alu instid0(VALU_DEP_4) | instskip(NEXT) | instid1(VALU_DEP_2)
	v_fmac_f32_e32 v167, v8, v3
	v_fma_f32 v168, v7, v3, -v1
	ds_load_b128 v[1:4], v21 offset:624
	ds_load_b128 v[5:8], v21 offset:640
	s_wait_loadcnt_dscnt 0x1
	v_mul_f32_e32 v169, v1, v10
	v_mul_f32_e32 v171, v3, v12
	s_delay_alu instid0(VALU_DEP_2) | instskip(NEXT) | instid1(VALU_DEP_2)
	v_fmac_f32_e32 v169, v2, v9
	v_dual_mul_f32 v2, v2, v10 :: v_dual_fmac_f32 v171, v4, v11
	s_delay_alu instid0(VALU_DEP_1) | instskip(SKIP_1) | instid1(VALU_DEP_1)
	v_fma_f32 v170, v1, v9, -v2
	v_mul_f32_e32 v1, v4, v12
	v_fma_f32 v172, v3, v11, -v1
	s_clause 0x1
	scratch_load_b128 v[1:4], off, off offset:256
	scratch_load_b128 v[9:12], off, off offset:272
	s_wait_loadcnt_dscnt 0x100
	v_mul_f32_e32 v173, v5, v2
	v_dual_mul_f32 v2, v6, v2 :: v_dual_mul_f32 v175, v7, v4
	s_delay_alu instid0(VALU_DEP_2) | instskip(NEXT) | instid1(VALU_DEP_2)
	v_fmac_f32_e32 v173, v6, v1
	v_fma_f32 v174, v5, v1, -v2
	v_mul_f32_e32 v1, v8, v4
	s_delay_alu instid0(VALU_DEP_4) | instskip(NEXT) | instid1(VALU_DEP_2)
	v_fmac_f32_e32 v175, v8, v3
	v_fma_f32 v176, v7, v3, -v1
	ds_load_b128 v[1:4], v21 offset:656
	ds_load_b128 v[5:8], v21 offset:672
	s_wait_loadcnt_dscnt 0x1
	v_mul_f32_e32 v177, v1, v10
	v_mul_f32_e32 v179, v3, v12
	s_delay_alu instid0(VALU_DEP_2) | instskip(NEXT) | instid1(VALU_DEP_2)
	v_fmac_f32_e32 v177, v2, v9
	v_dual_mul_f32 v2, v2, v10 :: v_dual_fmac_f32 v179, v4, v11
	s_delay_alu instid0(VALU_DEP_1) | instskip(SKIP_1) | instid1(VALU_DEP_1)
	v_fma_f32 v178, v1, v9, -v2
	v_mul_f32_e32 v1, v4, v12
	v_fma_f32 v180, v3, v11, -v1
	s_clause 0x1
	scratch_load_b128 v[1:4], off, off offset:288
	scratch_load_b128 v[9:12], off, off offset:304
	s_wait_loadcnt_dscnt 0x100
	v_mul_f32_e32 v181, v5, v2
	v_mul_f32_e32 v2, v6, v2
	s_delay_alu instid0(VALU_DEP_1) | instskip(SKIP_1) | instid1(VALU_DEP_1)
	v_fma_f32 v182, v5, v1, -v2
	v_add_f32_e32 v2, 0, v134
	v_add_f32_e32 v2, v2, v135
	s_delay_alu instid0(VALU_DEP_1) | instskip(NEXT) | instid1(VALU_DEP_1)
	v_add_f32_e32 v2, v2, v25
	v_add_f32_e32 v2, v2, v26
	s_delay_alu instid0(VALU_DEP_1) | instskip(NEXT) | instid1(VALU_DEP_1)
	;; [unrolled: 3-line block ×5, first 2 shown]
	v_add_f32_e32 v2, v2, v19
	v_add_f32_e32 v2, v2, v20
	v_fmac_f32_e32 v181, v6, v1
	s_delay_alu instid0(VALU_DEP_2) | instskip(NEXT) | instid1(VALU_DEP_1)
	v_dual_mul_f32 v1, v8, v4 :: v_dual_add_f32 v2, v2, v137
	v_fma_f32 v184, v7, v3, -v1
	v_add_f32_e32 v1, 0, v22
	s_delay_alu instid0(VALU_DEP_1) | instskip(NEXT) | instid1(VALU_DEP_1)
	v_dual_add_f32 v2, v2, v138 :: v_dual_add_f32 v1, v1, v24
	v_dual_add_f32 v2, v2, v141 :: v_dual_add_f32 v1, v1, v124
	s_delay_alu instid0(VALU_DEP_1) | instskip(NEXT) | instid1(VALU_DEP_1)
	v_dual_add_f32 v2, v2, v143 :: v_dual_add_f32 v1, v1, v125
	v_dual_add_f32 v2, v2, v145 :: v_dual_add_f32 v1, v1, v126
	s_delay_alu instid0(VALU_DEP_1) | instskip(NEXT) | instid1(VALU_DEP_1)
	v_add_f32_e32 v2, v2, v147
	v_dual_add_f32 v1, v1, v127 :: v_dual_add_f32 v2, v2, v149
	s_delay_alu instid0(VALU_DEP_1) | instskip(NEXT) | instid1(VALU_DEP_1)
	v_dual_add_f32 v1, v1, v13 :: v_dual_add_f32 v2, v2, v151
	v_dual_add_f32 v1, v1, v14 :: v_dual_add_f32 v2, v2, v153
	s_delay_alu instid0(VALU_DEP_1) | instskip(NEXT) | instid1(VALU_DEP_1)
	v_add_f32_e32 v1, v1, v16
	v_add_f32_e32 v1, v1, v17
	s_delay_alu instid0(VALU_DEP_1) | instskip(NEXT) | instid1(VALU_DEP_1)
	v_add_f32_e32 v1, v1, v130
	v_add_f32_e32 v1, v1, v131
	;; [unrolled: 3-line block ×8, first 2 shown]
	s_delay_alu instid0(VALU_DEP_1) | instskip(NEXT) | instid1(VALU_DEP_1)
	v_dual_mul_f32 v183, v7, v4 :: v_dual_add_f32 v14, v14, v162
	v_fmac_f32_e32 v183, v8, v3
	s_delay_alu instid0(VALU_DEP_2) | instskip(NEXT) | instid1(VALU_DEP_1)
	v_add_f32_e32 v17, v14, v164
	v_add_f32_e32 v17, v17, v166
	s_delay_alu instid0(VALU_DEP_1) | instskip(NEXT) | instid1(VALU_DEP_1)
	v_add_f32_e32 v17, v17, v168
	v_add_f32_e32 v17, v17, v170
	s_delay_alu instid0(VALU_DEP_1) | instskip(NEXT) | instid1(VALU_DEP_1)
	v_add_f32_e32 v25, v17, v172
	v_add_f32_e32 v25, v25, v174
	s_delay_alu instid0(VALU_DEP_1)
	v_add_f32_e32 v25, v25, v176
	v_add_f32_e32 v5, v2, v155
	ds_load_b128 v[1:4], v21 offset:688
	v_add_f32_e32 v13, v5, v157
	scratch_load_b128 v[5:8], off, off offset:320
	v_add_f32_e32 v13, v13, v159
	s_delay_alu instid0(VALU_DEP_1) | instskip(NEXT) | instid1(VALU_DEP_1)
	v_add_f32_e32 v13, v13, v161
	v_add_f32_e32 v18, v13, v163
	ds_load_b128 v[13:16], v21 offset:704
	s_wait_loadcnt_dscnt 0x101
	v_mul_f32_e32 v22, v1, v10
	v_mul_f32_e32 v10, v2, v10
	;; [unrolled: 1-line block ×4, first 2 shown]
	v_add_f32_e32 v18, v18, v165
	v_fmac_f32_e32 v22, v2, v9
	v_fma_f32 v125, v1, v9, -v10
	v_fmac_f32_e32 v124, v4, v11
	v_fma_f32 v126, v3, v11, -v12
	s_clause 0x1
	scratch_load_b128 v[1:4], off, off offset:336
	scratch_load_b128 v[9:12], off, off offset:352
	v_add_f32_e32 v18, v18, v167
	s_delay_alu instid0(VALU_DEP_1) | instskip(SKIP_3) | instid1(VALU_DEP_1)
	v_add_f32_e32 v24, v18, v169
	scratch_load_b128 v[17:20], off, off offset:368
	v_add_f32_e32 v24, v24, v171
	s_wait_loadcnt_dscnt 0x300
	v_dual_add_f32 v24, v24, v173 :: v_dual_mul_f32 v127, v13, v6
	v_mul_f32_e32 v6, v14, v6
	v_mul_f32_e32 v128, v15, v8
	s_delay_alu instid0(VALU_DEP_3) | instskip(NEXT) | instid1(VALU_DEP_3)
	v_dual_mul_f32 v8, v16, v8 :: v_dual_fmac_f32 v127, v14, v5
	v_fma_f32 v129, v13, v5, -v6
	v_dual_add_f32 v13, v24, v175 :: v_dual_add_f32 v24, v25, v178
	s_delay_alu instid0(VALU_DEP_4) | instskip(NEXT) | instid1(VALU_DEP_4)
	v_fmac_f32_e32 v128, v16, v7
	v_fma_f32 v130, v15, v7, -v8
	ds_load_b128 v[5:8], v21 offset:720
	v_add_f32_e32 v25, v13, v177
	v_add_f32_e32 v131, v24, v180
	ds_load_b128 v[13:16], v21 offset:736
	v_add_f32_e32 v134, v25, v179
	ds_load_b128 v[24:27], v21 offset:752
	v_add_f32_e32 v21, v131, v182
	v_add_f32_e32 v131, v134, v181
	s_delay_alu instid0(VALU_DEP_2) | instskip(NEXT) | instid1(VALU_DEP_2)
	v_add_f32_e32 v21, v21, v184
	v_add_f32_e32 v131, v131, v183
	s_delay_alu instid0(VALU_DEP_2) | instskip(SKIP_2) | instid1(VALU_DEP_3)
	v_add_f32_e32 v21, v21, v125
	s_wait_loadcnt_dscnt 0x202
	v_mul_f32_e32 v134, v5, v2
	v_add_f32_e32 v22, v131, v22
	v_mul_f32_e32 v2, v6, v2
	v_add_f32_e32 v21, v21, v126
	v_mul_f32_e32 v125, v7, v4
	v_mul_f32_e32 v4, v8, v4
	v_add_f32_e32 v22, v22, v124
	v_fma_f32 v2, v5, v1, -v2
	v_add_f32_e32 v21, v21, v129
	s_wait_loadcnt_dscnt 0x101
	v_dual_fmac_f32 v134, v6, v1 :: v_dual_mul_f32 v131, v13, v10
	v_add_f32_e32 v22, v22, v127
	v_mul_f32_e32 v6, v14, v10
	v_add_f32_e32 v1, v21, v130
	v_fmac_f32_e32 v125, v8, v3
	v_fma_f32 v3, v7, v3, -v4
	v_add_f32_e32 v5, v22, v128
	v_mul_f32_e32 v135, v15, v12
	v_dual_add_f32 v1, v1, v2 :: v_dual_mul_f32 v4, v16, v12
	s_delay_alu instid0(VALU_DEP_3) | instskip(SKIP_2) | instid1(VALU_DEP_3)
	v_dual_fmac_f32 v131, v14, v9 :: v_dual_add_f32 v2, v5, v134
	v_fma_f32 v5, v13, v9, -v6
	s_wait_loadcnt_dscnt 0x0
	v_dual_add_f32 v1, v1, v3 :: v_dual_mul_f32 v124, v24, v18
	s_delay_alu instid0(VALU_DEP_3) | instskip(SKIP_2) | instid1(VALU_DEP_4)
	v_dual_mul_f32 v3, v25, v18 :: v_dual_add_f32 v2, v2, v125
	v_fmac_f32_e32 v135, v16, v11
	v_fma_f32 v4, v15, v11, -v4
	v_dual_add_f32 v1, v1, v5 :: v_dual_mul_f32 v126, v26, v20
	s_delay_alu instid0(VALU_DEP_4) | instskip(SKIP_2) | instid1(VALU_DEP_3)
	v_dual_add_f32 v2, v2, v131 :: v_dual_mul_f32 v5, v27, v20
	v_fmac_f32_e32 v124, v25, v17
	v_fma_f32 v3, v24, v17, -v3
	v_dual_add_f32 v1, v1, v4 :: v_dual_add_f32 v2, v2, v135
	v_fmac_f32_e32 v126, v27, v19
	v_fma_f32 v4, v26, v19, -v5
	s_delay_alu instid0(VALU_DEP_3) | instskip(NEXT) | instid1(VALU_DEP_1)
	v_dual_add_f32 v1, v1, v3 :: v_dual_add_f32 v2, v2, v124
	v_dual_add_f32 v1, v1, v4 :: v_dual_add_f32 v2, v2, v126
	s_delay_alu instid0(VALU_DEP_1)
	v_dual_sub_f32 v1, v132, v1 :: v_dual_sub_f32 v2, v133, v2
	scratch_store_b64 off, v[1:2], off offset:8
	v_cmpx_ne_u32_e32 0, v0
	s_cbranch_execz .LBB111_301
; %bb.300:
	scratch_load_b64 v[0:1], off, off
	v_mov_b32_e32 v2, 0
	s_delay_alu instid0(VALU_DEP_1)
	v_mov_b32_e32 v3, v2
	scratch_store_b64 off, v[2:3], off
	s_wait_loadcnt 0x0
	ds_store_b64 v23, v[0:1]
.LBB111_301:
	s_wait_alu 0xfffe
	s_or_b32 exec_lo, exec_lo, s0
	s_wait_storecnt_dscnt 0x0
	s_barrier_signal -1
	s_barrier_wait -1
	global_inv scope:SCOPE_SE
	s_clause 0x6
	scratch_load_b128 v[0:3], off, off offset:8
	scratch_load_b128 v[4:7], off, off offset:24
	;; [unrolled: 1-line block ×7, first 2 shown]
	v_mov_b32_e32 v124, 0
	scratch_load_b64 v[133:134], off, off
	s_and_b32 vcc_lo, exec_lo, s12
	ds_load_2addr_b64 v[125:128], v124 offset0:49 offset1:50
	ds_load_2addr_b64 v[129:132], v124 offset0:51 offset1:52
	s_wait_loadcnt_dscnt 0x701
	v_mul_f32_e32 v135, v126, v1
	v_dual_mul_f32 v136, v125, v1 :: v_dual_mul_f32 v137, v127, v3
	v_mul_f32_e32 v1, v128, v3
	s_delay_alu instid0(VALU_DEP_3) | instskip(NEXT) | instid1(VALU_DEP_3)
	v_fma_f32 v125, v125, v0, -v135
	v_dual_fmac_f32 v136, v126, v0 :: v_dual_fmac_f32 v137, v128, v2
	s_wait_loadcnt_dscnt 0x600
	v_mul_f32_e32 v128, v131, v7
	v_fma_f32 v126, v127, v2, -v1
	ds_load_2addr_b64 v[0:3], v124 offset0:53 offset1:54
	v_mul_f32_e32 v127, v129, v5
	v_mul_f32_e32 v5, v130, v5
	v_mul_f32_e32 v7, v132, v7
	s_delay_alu instid0(VALU_DEP_3) | instskip(NEXT) | instid1(VALU_DEP_3)
	v_dual_fmac_f32 v128, v132, v6 :: v_dual_fmac_f32 v127, v130, v4
	v_fma_f32 v129, v129, v4, -v5
	s_delay_alu instid0(VALU_DEP_3)
	v_fma_f32 v130, v131, v6, -v7
	ds_load_2addr_b64 v[4:7], v124 offset0:55 offset1:56
	s_wait_loadcnt_dscnt 0x501
	v_dual_mul_f32 v131, v0, v9 :: v_dual_mul_f32 v132, v2, v11
	v_mul_f32_e32 v9, v1, v9
	v_mul_f32_e32 v11, v3, v11
	s_delay_alu instid0(VALU_DEP_3) | instskip(NEXT) | instid1(VALU_DEP_3)
	v_dual_fmac_f32 v131, v1, v8 :: v_dual_fmac_f32 v132, v3, v10
	v_fma_f32 v135, v0, v8, -v9
	s_delay_alu instid0(VALU_DEP_3)
	v_fma_f32 v138, v2, v10, -v11
	ds_load_2addr_b64 v[0:3], v124 offset0:57 offset1:58
	s_wait_loadcnt_dscnt 0x401
	v_mul_f32_e32 v139, v4, v13
	v_dual_mul_f32 v8, v5, v13 :: v_dual_mul_f32 v13, v6, v15
	v_mul_f32_e32 v9, v7, v15
	s_delay_alu instid0(VALU_DEP_3) | instskip(NEXT) | instid1(VALU_DEP_3)
	v_fmac_f32_e32 v139, v5, v12
	v_fma_f32 v12, v4, v12, -v8
	s_delay_alu instid0(VALU_DEP_4) | instskip(NEXT) | instid1(VALU_DEP_4)
	v_fmac_f32_e32 v13, v7, v14
	v_fma_f32 v14, v6, v14, -v9
	ds_load_2addr_b64 v[4:7], v124 offset0:59 offset1:60
	s_wait_loadcnt_dscnt 0x301
	v_mul_f32_e32 v15, v0, v17
	v_dual_mul_f32 v8, v1, v17 :: v_dual_mul_f32 v17, v2, v19
	v_mul_f32_e32 v9, v3, v19
	s_delay_alu instid0(VALU_DEP_3) | instskip(NEXT) | instid1(VALU_DEP_3)
	v_fmac_f32_e32 v15, v1, v16
	v_fma_f32 v16, v0, v16, -v8
	s_delay_alu instid0(VALU_DEP_4) | instskip(NEXT) | instid1(VALU_DEP_4)
	v_fmac_f32_e32 v17, v3, v18
	v_fma_f32 v18, v2, v18, -v9
	ds_load_2addr_b64 v[0:3], v124 offset0:61 offset1:62
	s_wait_loadcnt_dscnt 0x201
	v_mul_f32_e32 v19, v4, v21
	v_dual_mul_f32 v8, v5, v21 :: v_dual_mul_f32 v21, v6, v23
	v_mul_f32_e32 v9, v7, v23
	s_delay_alu instid0(VALU_DEP_3) | instskip(NEXT) | instid1(VALU_DEP_3)
	v_fmac_f32_e32 v19, v5, v20
	v_fma_f32 v20, v4, v20, -v8
	s_delay_alu instid0(VALU_DEP_4) | instskip(NEXT) | instid1(VALU_DEP_4)
	v_fmac_f32_e32 v21, v7, v22
	v_fma_f32 v22, v6, v22, -v9
	ds_load_2addr_b64 v[4:7], v124 offset0:63 offset1:64
	s_wait_loadcnt_dscnt 0x101
	v_mul_f32_e32 v23, v0, v25
	v_dual_mul_f32 v8, v1, v25 :: v_dual_mul_f32 v25, v2, v27
	v_mul_f32_e32 v9, v3, v27
	s_delay_alu instid0(VALU_DEP_3) | instskip(NEXT) | instid1(VALU_DEP_3)
	v_fmac_f32_e32 v23, v1, v24
	v_fma_f32 v24, v0, v24, -v8
	s_delay_alu instid0(VALU_DEP_4) | instskip(NEXT) | instid1(VALU_DEP_4)
	v_fmac_f32_e32 v25, v3, v26
	v_fma_f32 v26, v2, v26, -v9
	s_clause 0x1
	scratch_load_b128 v[0:3], off, off offset:120
	scratch_load_b128 v[8:11], off, off offset:136
	s_wait_loadcnt_dscnt 0x100
	v_mul_f32_e32 v27, v4, v1
	v_mul_f32_e32 v1, v5, v1
	v_mul_f32_e32 v141, v6, v3
	s_delay_alu instid0(VALU_DEP_3) | instskip(NEXT) | instid1(VALU_DEP_3)
	v_fmac_f32_e32 v27, v5, v0
	v_fma_f32 v140, v4, v0, -v1
	v_mul_f32_e32 v0, v7, v3
	s_delay_alu instid0(VALU_DEP_4) | instskip(NEXT) | instid1(VALU_DEP_2)
	v_fmac_f32_e32 v141, v7, v2
	v_fma_f32 v142, v6, v2, -v0
	ds_load_2addr_b64 v[0:3], v124 offset0:65 offset1:66
	ds_load_2addr_b64 v[4:7], v124 offset0:67 offset1:68
	s_wait_loadcnt_dscnt 0x1
	v_mul_f32_e32 v143, v0, v9
	s_delay_alu instid0(VALU_DEP_1) | instskip(SKIP_1) | instid1(VALU_DEP_1)
	v_fmac_f32_e32 v143, v1, v8
	v_mul_f32_e32 v1, v1, v9
	v_fma_f32 v144, v0, v8, -v1
	v_mul_f32_e32 v0, v3, v11
	s_delay_alu instid0(VALU_DEP_1) | instskip(SKIP_1) | instid1(VALU_DEP_1)
	v_fma_f32 v146, v2, v10, -v0
	v_mul_f32_e32 v145, v2, v11
	v_fmac_f32_e32 v145, v3, v10
	s_clause 0x1
	scratch_load_b128 v[0:3], off, off offset:152
	scratch_load_b128 v[8:11], off, off offset:168
	s_wait_loadcnt_dscnt 0x100
	v_mul_f32_e32 v147, v4, v1
	v_mul_f32_e32 v1, v5, v1
	v_mul_f32_e32 v149, v6, v3
	s_delay_alu instid0(VALU_DEP_3) | instskip(NEXT) | instid1(VALU_DEP_3)
	v_fmac_f32_e32 v147, v5, v0
	v_fma_f32 v148, v4, v0, -v1
	v_mul_f32_e32 v0, v7, v3
	s_delay_alu instid0(VALU_DEP_4) | instskip(NEXT) | instid1(VALU_DEP_2)
	v_fmac_f32_e32 v149, v7, v2
	v_fma_f32 v150, v6, v2, -v0
	ds_load_2addr_b64 v[0:3], v124 offset0:69 offset1:70
	ds_load_2addr_b64 v[4:7], v124 offset0:71 offset1:72
	s_wait_loadcnt_dscnt 0x1
	v_mul_f32_e32 v151, v0, v9
	v_mul_f32_e32 v153, v2, v11
	s_delay_alu instid0(VALU_DEP_2) | instskip(SKIP_1) | instid1(VALU_DEP_3)
	v_fmac_f32_e32 v151, v1, v8
	v_mul_f32_e32 v1, v1, v9
	v_fmac_f32_e32 v153, v3, v10
	s_delay_alu instid0(VALU_DEP_2) | instskip(SKIP_1) | instid1(VALU_DEP_1)
	v_fma_f32 v152, v0, v8, -v1
	v_mul_f32_e32 v0, v3, v11
	v_fma_f32 v154, v2, v10, -v0
	s_clause 0x1
	scratch_load_b128 v[0:3], off, off offset:184
	scratch_load_b128 v[8:11], off, off offset:200
	s_wait_loadcnt_dscnt 0x100
	v_mul_f32_e32 v155, v4, v1
	v_mul_f32_e32 v1, v5, v1
	v_mul_f32_e32 v157, v6, v3
	s_delay_alu instid0(VALU_DEP_3) | instskip(NEXT) | instid1(VALU_DEP_3)
	v_fmac_f32_e32 v155, v5, v0
	v_fma_f32 v156, v4, v0, -v1
	v_mul_f32_e32 v0, v7, v3
	s_delay_alu instid0(VALU_DEP_4) | instskip(NEXT) | instid1(VALU_DEP_2)
	v_fmac_f32_e32 v157, v7, v2
	v_fma_f32 v158, v6, v2, -v0
	ds_load_2addr_b64 v[0:3], v124 offset0:73 offset1:74
	ds_load_2addr_b64 v[4:7], v124 offset0:75 offset1:76
	s_wait_loadcnt_dscnt 0x1
	v_mul_f32_e32 v159, v0, v9
	v_mul_f32_e32 v161, v2, v11
	s_delay_alu instid0(VALU_DEP_2) | instskip(SKIP_1) | instid1(VALU_DEP_3)
	v_fmac_f32_e32 v159, v1, v8
	v_mul_f32_e32 v1, v1, v9
	v_fmac_f32_e32 v161, v3, v10
	s_delay_alu instid0(VALU_DEP_2) | instskip(SKIP_1) | instid1(VALU_DEP_1)
	v_fma_f32 v160, v0, v8, -v1
	v_mul_f32_e32 v0, v3, v11
	v_fma_f32 v162, v2, v10, -v0
	;; [unrolled: 27-line block ×4, first 2 shown]
	s_clause 0x1
	scratch_load_b128 v[0:3], off, off offset:280
	scratch_load_b128 v[8:11], off, off offset:296
	s_wait_loadcnt_dscnt 0x100
	v_mul_f32_e32 v179, v4, v1
	v_mul_f32_e32 v1, v5, v1
	;; [unrolled: 1-line block ×3, first 2 shown]
	s_delay_alu instid0(VALU_DEP_3) | instskip(NEXT) | instid1(VALU_DEP_3)
	v_fmac_f32_e32 v179, v5, v0
	v_fma_f32 v180, v4, v0, -v1
	v_dual_mul_f32 v0, v7, v3 :: v_dual_add_f32 v1, 0, v136
	s_delay_alu instid0(VALU_DEP_4) | instskip(NEXT) | instid1(VALU_DEP_2)
	v_fmac_f32_e32 v181, v7, v2
	v_fma_f32 v182, v6, v2, -v0
	v_add_f32_e32 v0, 0, v125
	s_delay_alu instid0(VALU_DEP_1) | instskip(NEXT) | instid1(VALU_DEP_1)
	v_dual_add_f32 v1, v1, v137 :: v_dual_add_f32 v0, v0, v126
	v_dual_add_f32 v1, v1, v127 :: v_dual_add_f32 v0, v0, v129
	s_delay_alu instid0(VALU_DEP_1) | instskip(NEXT) | instid1(VALU_DEP_1)
	v_dual_add_f32 v1, v1, v128 :: v_dual_add_f32 v0, v0, v130
	v_add_f32_e32 v1, v1, v131
	s_delay_alu instid0(VALU_DEP_1) | instskip(NEXT) | instid1(VALU_DEP_1)
	v_dual_add_f32 v0, v0, v135 :: v_dual_add_f32 v1, v1, v132
	v_dual_add_f32 v0, v0, v138 :: v_dual_add_f32 v1, v1, v139
	s_delay_alu instid0(VALU_DEP_1) | instskip(NEXT) | instid1(VALU_DEP_1)
	v_dual_add_f32 v0, v0, v12 :: v_dual_add_f32 v1, v1, v13
	v_dual_add_f32 v0, v0, v14 :: v_dual_add_f32 v1, v1, v15
	s_delay_alu instid0(VALU_DEP_1) | instskip(NEXT) | instid1(VALU_DEP_1)
	v_dual_add_f32 v0, v0, v16 :: v_dual_add_f32 v1, v1, v17
	v_dual_add_f32 v0, v0, v18 :: v_dual_add_f32 v1, v1, v19
	s_delay_alu instid0(VALU_DEP_1) | instskip(NEXT) | instid1(VALU_DEP_1)
	v_dual_add_f32 v0, v0, v20 :: v_dual_add_f32 v1, v1, v21
	v_dual_add_f32 v0, v0, v22 :: v_dual_add_f32 v1, v1, v23
	s_delay_alu instid0(VALU_DEP_1) | instskip(SKIP_2) | instid1(VALU_DEP_1)
	v_dual_add_f32 v0, v0, v24 :: v_dual_add_f32 v1, v1, v25
	scratch_load_b64 v[24:25], off, off offset:376
	v_dual_add_f32 v0, v0, v26 :: v_dual_add_f32 v1, v1, v27
	v_dual_add_f32 v0, v0, v140 :: v_dual_add_f32 v1, v1, v141
	s_delay_alu instid0(VALU_DEP_1) | instskip(NEXT) | instid1(VALU_DEP_1)
	v_dual_add_f32 v0, v0, v142 :: v_dual_add_f32 v1, v1, v143
	v_add_f32_e32 v0, v0, v144
	s_delay_alu instid0(VALU_DEP_1) | instskip(NEXT) | instid1(VALU_DEP_1)
	v_add_f32_e32 v0, v0, v146
	v_dual_add_f32 v0, v0, v148 :: v_dual_add_f32 v1, v1, v145
	s_delay_alu instid0(VALU_DEP_1) | instskip(NEXT) | instid1(VALU_DEP_1)
	v_dual_add_f32 v0, v0, v150 :: v_dual_add_f32 v1, v1, v147
	v_dual_add_f32 v0, v0, v152 :: v_dual_add_f32 v1, v1, v149
	s_delay_alu instid0(VALU_DEP_1) | instskip(SKIP_4) | instid1(VALU_DEP_1)
	v_dual_add_f32 v5, v0, v154 :: v_dual_add_f32 v4, v1, v151
	scratch_load_b128 v[0:3], off, off offset:312
	v_dual_add_f32 v13, v5, v156 :: v_dual_add_f32 v12, v4, v153
	ds_load_2addr_b64 v[4:7], v124 offset0:85 offset1:86
	v_add_f32_e32 v13, v13, v158
	v_add_f32_e32 v16, v13, v160
	s_delay_alu instid0(VALU_DEP_1) | instskip(NEXT) | instid1(VALU_DEP_1)
	v_add_f32_e32 v16, v16, v162
	v_add_f32_e32 v16, v16, v164
	s_delay_alu instid0(VALU_DEP_1) | instskip(SKIP_1) | instid1(VALU_DEP_2)
	v_add_f32_e32 v16, v16, v166
	v_add_f32_e32 v12, v12, v155
	;; [unrolled: 1-line block ×3, first 2 shown]
	s_delay_alu instid0(VALU_DEP_1) | instskip(NEXT) | instid1(VALU_DEP_1)
	v_dual_add_f32 v12, v12, v157 :: v_dual_add_f32 v21, v21, v170
	v_add_f32_e32 v17, v12, v159
	ds_load_2addr_b64 v[12:15], v124 offset0:87 offset1:88
	s_wait_loadcnt_dscnt 0x201
	v_mul_f32_e32 v125, v4, v9
	v_dual_mul_f32 v9, v5, v9 :: v_dual_mul_f32 v126, v6, v11
	v_mul_f32_e32 v11, v7, v11
	v_add_f32_e32 v17, v17, v161
	s_delay_alu instid0(VALU_DEP_4) | instskip(NEXT) | instid1(VALU_DEP_4)
	v_fmac_f32_e32 v125, v5, v8
	v_fma_f32 v127, v4, v8, -v9
	v_fmac_f32_e32 v126, v7, v10
	v_fma_f32 v128, v6, v10, -v11
	s_clause 0x1
	scratch_load_b128 v[4:7], off, off offset:328
	scratch_load_b128 v[8:11], off, off offset:344
	v_add_f32_e32 v17, v17, v163
	v_add_f32_e32 v21, v21, v172
	s_delay_alu instid0(VALU_DEP_2) | instskip(SKIP_2) | instid1(VALU_DEP_1)
	v_add_f32_e32 v20, v17, v165
	scratch_load_b128 v[16:19], off, off offset:360
	v_dual_add_f32 v21, v21, v174 :: v_dual_add_f32 v20, v20, v167
	v_add_f32_e32 v20, v20, v169
	s_delay_alu instid0(VALU_DEP_1) | instskip(SKIP_4) | instid1(VALU_DEP_3)
	v_add_f32_e32 v20, v20, v171
	s_wait_loadcnt_dscnt 0x300
	v_mul_f32_e32 v129, v12, v1
	v_dual_mul_f32 v1, v13, v1 :: v_dual_mul_f32 v130, v14, v3
	v_mul_f32_e32 v3, v15, v3
	v_fmac_f32_e32 v129, v13, v0
	s_delay_alu instid0(VALU_DEP_3)
	v_fma_f32 v131, v12, v0, -v1
	v_dual_add_f32 v12, v20, v173 :: v_dual_add_f32 v13, v21, v176
	v_fmac_f32_e32 v130, v15, v2
	v_fma_f32 v132, v14, v2, -v3
	ds_load_2addr_b64 v[0:3], v124 offset0:89 offset1:90
	v_add_f32_e32 v20, v12, v175
	v_add_f32_e32 v26, v13, v178
	ds_load_2addr_b64 v[12:15], v124 offset0:91 offset1:92
	v_add_f32_e32 v27, v20, v177
	v_add_f32_e32 v135, v26, v180
	;; [unrolled: 3-line block ×3, first 2 shown]
	ds_load_b64 v[26:27], v124 offset:760
	v_dual_add_f32 v136, v136, v181 :: v_dual_add_f32 v127, v135, v127
	s_delay_alu instid0(VALU_DEP_1) | instskip(NEXT) | instid1(VALU_DEP_2)
	v_add_f32_e32 v125, v136, v125
	v_add_f32_e32 v127, v127, v128
	s_delay_alu instid0(VALU_DEP_2) | instskip(NEXT) | instid1(VALU_DEP_2)
	v_add_f32_e32 v125, v125, v126
	v_add_f32_e32 v127, v127, v131
	s_delay_alu instid0(VALU_DEP_2) | instskip(SKIP_2) | instid1(VALU_DEP_1)
	v_add_f32_e32 v125, v125, v129
	s_wait_dscnt 0x0
	v_mul_f32_e32 v129, v26, v25
	v_fmac_f32_e32 v129, v27, v24
	s_wait_loadcnt 0x2
	v_mul_f32_e32 v137, v0, v5
	v_mul_f32_e32 v5, v1, v5
	;; [unrolled: 1-line block ×3, first 2 shown]
	s_wait_loadcnt 0x1
	v_dual_mul_f32 v7, v3, v7 :: v_dual_mul_f32 v128, v12, v9
	v_fmac_f32_e32 v137, v1, v4
	v_fma_f32 v0, v0, v4, -v5
	v_dual_add_f32 v1, v127, v132 :: v_dual_add_f32 v4, v125, v130
	v_mul_f32_e32 v5, v13, v9
	v_fmac_f32_e32 v135, v3, v6
	v_fma_f32 v2, v2, v6, -v7
	s_delay_alu instid0(VALU_DEP_4) | instskip(SKIP_3) | instid1(VALU_DEP_4)
	v_dual_add_f32 v0, v1, v0 :: v_dual_add_f32 v1, v4, v137
	v_mul_f32_e32 v126, v14, v11
	v_dual_mul_f32 v3, v15, v11 :: v_dual_fmac_f32 v128, v13, v8
	v_fma_f32 v4, v12, v8, -v5
	v_dual_add_f32 v0, v0, v2 :: v_dual_add_f32 v1, v1, v135
	s_wait_loadcnt 0x0
	v_mul_f32_e32 v136, v20, v17
	v_mul_f32_e32 v2, v21, v17
	v_fmac_f32_e32 v126, v15, v10
	v_fma_f32 v3, v14, v10, -v3
	v_add_f32_e32 v0, v0, v4
	v_add_f32_e32 v1, v1, v128
	v_mul_f32_e32 v131, v22, v19
	v_mul_f32_e32 v4, v23, v19
	v_fmac_f32_e32 v136, v21, v16
	v_fma_f32 v2, v20, v16, -v2
	v_dual_add_f32 v0, v0, v3 :: v_dual_add_f32 v1, v1, v126
	v_mul_f32_e32 v3, v27, v25
	v_fmac_f32_e32 v131, v23, v18
	v_fma_f32 v4, v22, v18, -v4
	s_delay_alu instid0(VALU_DEP_4) | instskip(NEXT) | instid1(VALU_DEP_4)
	v_dual_add_f32 v0, v0, v2 :: v_dual_add_f32 v1, v1, v136
	v_fma_f32 v2, v26, v24, -v3
	s_delay_alu instid0(VALU_DEP_2) | instskip(NEXT) | instid1(VALU_DEP_1)
	v_dual_add_f32 v0, v0, v4 :: v_dual_add_f32 v1, v1, v131
	v_dual_add_f32 v0, v0, v2 :: v_dual_add_f32 v1, v1, v129
	s_delay_alu instid0(VALU_DEP_1)
	v_dual_sub_f32 v0, v133, v0 :: v_dual_sub_f32 v1, v134, v1
	scratch_store_b64 off, v[0:1], off
	s_wait_alu 0xfffe
	s_cbranch_vccz .LBB111_396
; %bb.302:
	global_load_b32 v0, v124, s[2:3] offset:184
	s_wait_loadcnt 0x0
	v_cmp_ne_u32_e32 vcc_lo, 47, v0
	s_cbranch_vccz .LBB111_304
; %bb.303:
	v_lshlrev_b32_e32 v0, 3, v0
	s_delay_alu instid0(VALU_DEP_1)
	v_mov_b32_e32 v4, v0
	scratch_load_b64 v[0:1], v4, off offset:-8
	scratch_load_b64 v[2:3], off, off offset:368
	s_wait_loadcnt 0x1
	scratch_store_b64 off, v[0:1], off offset:368
	s_wait_loadcnt 0x0
	scratch_store_b64 v4, v[2:3], off offset:-8
.LBB111_304:
	v_mov_b32_e32 v0, 0
	global_load_b32 v1, v0, s[2:3] offset:180
	s_wait_loadcnt 0x0
	v_cmp_eq_u32_e32 vcc_lo, 46, v1
	s_cbranch_vccnz .LBB111_306
; %bb.305:
	v_lshlrev_b32_e32 v1, 3, v1
	s_delay_alu instid0(VALU_DEP_1)
	v_mov_b32_e32 v5, v1
	scratch_load_b64 v[1:2], v5, off offset:-8
	scratch_load_b64 v[3:4], off, off offset:360
	s_wait_loadcnt 0x1
	scratch_store_b64 off, v[1:2], off offset:360
	s_wait_loadcnt 0x0
	scratch_store_b64 v5, v[3:4], off offset:-8
.LBB111_306:
	global_load_b32 v0, v0, s[2:3] offset:176
	s_wait_loadcnt 0x0
	v_cmp_eq_u32_e32 vcc_lo, 45, v0
	s_cbranch_vccnz .LBB111_308
; %bb.307:
	v_lshlrev_b32_e32 v0, 3, v0
	s_delay_alu instid0(VALU_DEP_1)
	v_mov_b32_e32 v4, v0
	scratch_load_b64 v[0:1], v4, off offset:-8
	scratch_load_b64 v[2:3], off, off offset:352
	s_wait_loadcnt 0x1
	scratch_store_b64 off, v[0:1], off offset:352
	s_wait_loadcnt 0x0
	scratch_store_b64 v4, v[2:3], off offset:-8
.LBB111_308:
	v_mov_b32_e32 v0, 0
	global_load_b32 v1, v0, s[2:3] offset:172
	s_wait_loadcnt 0x0
	v_cmp_eq_u32_e32 vcc_lo, 44, v1
	s_cbranch_vccnz .LBB111_310
; %bb.309:
	v_lshlrev_b32_e32 v1, 3, v1
	s_delay_alu instid0(VALU_DEP_1)
	v_mov_b32_e32 v5, v1
	scratch_load_b64 v[1:2], v5, off offset:-8
	scratch_load_b64 v[3:4], off, off offset:344
	s_wait_loadcnt 0x1
	scratch_store_b64 off, v[1:2], off offset:344
	s_wait_loadcnt 0x0
	scratch_store_b64 v5, v[3:4], off offset:-8
.LBB111_310:
	global_load_b32 v0, v0, s[2:3] offset:168
	s_wait_loadcnt 0x0
	v_cmp_eq_u32_e32 vcc_lo, 43, v0
	s_cbranch_vccnz .LBB111_312
; %bb.311:
	v_lshlrev_b32_e32 v0, 3, v0
	s_delay_alu instid0(VALU_DEP_1)
	v_mov_b32_e32 v4, v0
	scratch_load_b64 v[0:1], v4, off offset:-8
	scratch_load_b64 v[2:3], off, off offset:336
	s_wait_loadcnt 0x1
	scratch_store_b64 off, v[0:1], off offset:336
	s_wait_loadcnt 0x0
	scratch_store_b64 v4, v[2:3], off offset:-8
.LBB111_312:
	;; [unrolled: 31-line block ×22, first 2 shown]
	v_mov_b32_e32 v0, 0
	global_load_b32 v1, v0, s[2:3] offset:4
	s_wait_loadcnt 0x0
	v_cmp_eq_u32_e32 vcc_lo, 2, v1
	s_cbranch_vccnz .LBB111_394
; %bb.393:
	v_lshlrev_b32_e32 v1, 3, v1
	s_delay_alu instid0(VALU_DEP_1)
	v_mov_b32_e32 v5, v1
	scratch_load_b64 v[1:2], v5, off offset:-8
	scratch_load_b64 v[3:4], off, off offset:8
	s_wait_loadcnt 0x1
	scratch_store_b64 off, v[1:2], off offset:8
	s_wait_loadcnt 0x0
	scratch_store_b64 v5, v[3:4], off offset:-8
.LBB111_394:
	global_load_b32 v0, v0, s[2:3]
	s_wait_loadcnt 0x0
	v_cmp_eq_u32_e32 vcc_lo, 1, v0
	s_cbranch_vccnz .LBB111_396
; %bb.395:
	v_lshlrev_b32_e32 v0, 3, v0
	s_delay_alu instid0(VALU_DEP_1)
	v_mov_b32_e32 v4, v0
	scratch_load_b64 v[0:1], v4, off offset:-8
	scratch_load_b64 v[2:3], off, off
	s_wait_loadcnt 0x1
	scratch_store_b64 off, v[0:1], off
	s_wait_loadcnt 0x0
	scratch_store_b64 v4, v[2:3], off offset:-8
.LBB111_396:
	scratch_load_b64 v[0:1], off, off
	s_wait_loadcnt 0x0
	flat_store_b64 v[28:29], v[0:1]
	scratch_load_b64 v[0:1], off, off offset:8
	s_wait_loadcnt 0x0
	flat_store_b64 v[30:31], v[0:1]
	scratch_load_b64 v[0:1], off, off offset:16
	;; [unrolled: 3-line block ×47, first 2 shown]
	s_wait_loadcnt 0x0
	flat_store_b64 v[122:123], v[0:1]
	s_nop 0
	s_sendmsg sendmsg(MSG_DEALLOC_VGPRS)
	s_endpgm
	.section	.rodata,"a",@progbits
	.p2align	6, 0x0
	.amdhsa_kernel _ZN9rocsolver6v33100L18getri_kernel_smallILi48E19rocblas_complex_numIfEPKPS3_EEvT1_iilPiilS8_bb
		.amdhsa_group_segment_fixed_size 772
		.amdhsa_private_segment_fixed_size 400
		.amdhsa_kernarg_size 60
		.amdhsa_user_sgpr_count 2
		.amdhsa_user_sgpr_dispatch_ptr 0
		.amdhsa_user_sgpr_queue_ptr 0
		.amdhsa_user_sgpr_kernarg_segment_ptr 1
		.amdhsa_user_sgpr_dispatch_id 0
		.amdhsa_user_sgpr_private_segment_size 0
		.amdhsa_wavefront_size32 1
		.amdhsa_uses_dynamic_stack 0
		.amdhsa_enable_private_segment 1
		.amdhsa_system_sgpr_workgroup_id_x 1
		.amdhsa_system_sgpr_workgroup_id_y 0
		.amdhsa_system_sgpr_workgroup_id_z 0
		.amdhsa_system_sgpr_workgroup_info 0
		.amdhsa_system_vgpr_workitem_id 0
		.amdhsa_next_free_vgpr 250
		.amdhsa_next_free_sgpr 19
		.amdhsa_reserve_vcc 1
		.amdhsa_float_round_mode_32 0
		.amdhsa_float_round_mode_16_64 0
		.amdhsa_float_denorm_mode_32 3
		.amdhsa_float_denorm_mode_16_64 3
		.amdhsa_fp16_overflow 0
		.amdhsa_workgroup_processor_mode 1
		.amdhsa_memory_ordered 1
		.amdhsa_forward_progress 1
		.amdhsa_inst_pref_size 255
		.amdhsa_round_robin_scheduling 0
		.amdhsa_exception_fp_ieee_invalid_op 0
		.amdhsa_exception_fp_denorm_src 0
		.amdhsa_exception_fp_ieee_div_zero 0
		.amdhsa_exception_fp_ieee_overflow 0
		.amdhsa_exception_fp_ieee_underflow 0
		.amdhsa_exception_fp_ieee_inexact 0
		.amdhsa_exception_int_div_zero 0
	.end_amdhsa_kernel
	.section	.text._ZN9rocsolver6v33100L18getri_kernel_smallILi48E19rocblas_complex_numIfEPKPS3_EEvT1_iilPiilS8_bb,"axG",@progbits,_ZN9rocsolver6v33100L18getri_kernel_smallILi48E19rocblas_complex_numIfEPKPS3_EEvT1_iilPiilS8_bb,comdat
.Lfunc_end111:
	.size	_ZN9rocsolver6v33100L18getri_kernel_smallILi48E19rocblas_complex_numIfEPKPS3_EEvT1_iilPiilS8_bb, .Lfunc_end111-_ZN9rocsolver6v33100L18getri_kernel_smallILi48E19rocblas_complex_numIfEPKPS3_EEvT1_iilPiilS8_bb
                                        ; -- End function
	.set _ZN9rocsolver6v33100L18getri_kernel_smallILi48E19rocblas_complex_numIfEPKPS3_EEvT1_iilPiilS8_bb.num_vgpr, 250
	.set _ZN9rocsolver6v33100L18getri_kernel_smallILi48E19rocblas_complex_numIfEPKPS3_EEvT1_iilPiilS8_bb.num_agpr, 0
	.set _ZN9rocsolver6v33100L18getri_kernel_smallILi48E19rocblas_complex_numIfEPKPS3_EEvT1_iilPiilS8_bb.numbered_sgpr, 19
	.set _ZN9rocsolver6v33100L18getri_kernel_smallILi48E19rocblas_complex_numIfEPKPS3_EEvT1_iilPiilS8_bb.num_named_barrier, 0
	.set _ZN9rocsolver6v33100L18getri_kernel_smallILi48E19rocblas_complex_numIfEPKPS3_EEvT1_iilPiilS8_bb.private_seg_size, 400
	.set _ZN9rocsolver6v33100L18getri_kernel_smallILi48E19rocblas_complex_numIfEPKPS3_EEvT1_iilPiilS8_bb.uses_vcc, 1
	.set _ZN9rocsolver6v33100L18getri_kernel_smallILi48E19rocblas_complex_numIfEPKPS3_EEvT1_iilPiilS8_bb.uses_flat_scratch, 1
	.set _ZN9rocsolver6v33100L18getri_kernel_smallILi48E19rocblas_complex_numIfEPKPS3_EEvT1_iilPiilS8_bb.has_dyn_sized_stack, 0
	.set _ZN9rocsolver6v33100L18getri_kernel_smallILi48E19rocblas_complex_numIfEPKPS3_EEvT1_iilPiilS8_bb.has_recursion, 0
	.set _ZN9rocsolver6v33100L18getri_kernel_smallILi48E19rocblas_complex_numIfEPKPS3_EEvT1_iilPiilS8_bb.has_indirect_call, 0
	.section	.AMDGPU.csdata,"",@progbits
; Kernel info:
; codeLenInByte = 80128
; TotalNumSgprs: 21
; NumVgprs: 250
; ScratchSize: 400
; MemoryBound: 0
; FloatMode: 240
; IeeeMode: 1
; LDSByteSize: 772 bytes/workgroup (compile time only)
; SGPRBlocks: 0
; VGPRBlocks: 31
; NumSGPRsForWavesPerEU: 21
; NumVGPRsForWavesPerEU: 250
; Occupancy: 5
; WaveLimiterHint : 1
; COMPUTE_PGM_RSRC2:SCRATCH_EN: 1
; COMPUTE_PGM_RSRC2:USER_SGPR: 2
; COMPUTE_PGM_RSRC2:TRAP_HANDLER: 0
; COMPUTE_PGM_RSRC2:TGID_X_EN: 1
; COMPUTE_PGM_RSRC2:TGID_Y_EN: 0
; COMPUTE_PGM_RSRC2:TGID_Z_EN: 0
; COMPUTE_PGM_RSRC2:TIDIG_COMP_CNT: 0
	.section	.text._ZN9rocsolver6v33100L18getri_kernel_smallILi49E19rocblas_complex_numIfEPKPS3_EEvT1_iilPiilS8_bb,"axG",@progbits,_ZN9rocsolver6v33100L18getri_kernel_smallILi49E19rocblas_complex_numIfEPKPS3_EEvT1_iilPiilS8_bb,comdat
	.globl	_ZN9rocsolver6v33100L18getri_kernel_smallILi49E19rocblas_complex_numIfEPKPS3_EEvT1_iilPiilS8_bb ; -- Begin function _ZN9rocsolver6v33100L18getri_kernel_smallILi49E19rocblas_complex_numIfEPKPS3_EEvT1_iilPiilS8_bb
	.p2align	8
	.type	_ZN9rocsolver6v33100L18getri_kernel_smallILi49E19rocblas_complex_numIfEPKPS3_EEvT1_iilPiilS8_bb,@function
_ZN9rocsolver6v33100L18getri_kernel_smallILi49E19rocblas_complex_numIfEPKPS3_EEvT1_iilPiilS8_bb: ; @_ZN9rocsolver6v33100L18getri_kernel_smallILi49E19rocblas_complex_numIfEPKPS3_EEvT1_iilPiilS8_bb
; %bb.0:
	s_mov_b32 s2, exec_lo
	v_cmpx_gt_u32_e32 49, v0
	s_cbranch_execz .LBB112_210
; %bb.1:
	s_clause 0x1
	s_load_b32 s13, s[0:1], 0x38
	s_load_b64 s[2:3], s[0:1], 0x0
	s_mov_b32 s8, ttmp9
	s_load_b128 s[4:7], s[0:1], 0x28
	s_wait_kmcnt 0x0
	s_bitcmp1_b32 s13, 8
	s_cselect_b32 s12, -1, 0
	s_ashr_i32 s9, ttmp9, 31
	s_delay_alu instid0(SALU_CYCLE_1) | instskip(NEXT) | instid1(SALU_CYCLE_1)
	s_lshl_b64 s[10:11], s[8:9], 3
	s_add_nc_u64 s[2:3], s[2:3], s[10:11]
	s_load_b64 s[10:11], s[2:3], 0x0
	s_bfe_u32 s2, s13, 0x10008
	s_delay_alu instid0(SALU_CYCLE_1)
	s_cmp_eq_u32 s2, 0
                                        ; implicit-def: $sgpr2_sgpr3
	s_cbranch_scc1 .LBB112_3
; %bb.2:
	s_load_b96 s[16:18], s[0:1], 0x18
	s_mul_u64 s[2:3], s[4:5], s[8:9]
	s_delay_alu instid0(SALU_CYCLE_1)
	s_lshl_b64 s[2:3], s[2:3], 2
	s_wait_kmcnt 0x0
	s_ashr_i32 s5, s18, 31
	s_mov_b32 s4, s18
	s_add_nc_u64 s[2:3], s[16:17], s[2:3]
	s_lshl_b64 s[4:5], s[4:5], 2
	s_delay_alu instid0(SALU_CYCLE_1)
	s_add_nc_u64 s[2:3], s[2:3], s[4:5]
.LBB112_3:
	s_clause 0x1
	s_load_b64 s[4:5], s[0:1], 0x8
	s_load_b32 s13, s[0:1], 0x38
	v_lshlrev_b32_e32 v7, 3, v0
	s_wait_kmcnt 0x0
	s_ashr_i32 s1, s4, 31
	s_mov_b32 s0, s4
	v_add3_u32 v3, s5, s5, v0
	s_lshl_b64 s[0:1], s[0:1], 3
	s_delay_alu instid0(SALU_CYCLE_1)
	s_add_nc_u64 s[0:1], s[10:11], s[0:1]
	s_ashr_i32 s11, s5, 31
	v_add_co_u32 v24, s4, s0, v7
	s_wait_alu 0xf1ff
	v_add_co_ci_u32_e64 v25, null, s1, 0, s4
	s_mov_b32 s10, s5
	v_ashrrev_i32_e32 v4, 31, v3
	s_lshl_b64 s[10:11], s[10:11], 3
	flat_load_b64 v[1:2], v[24:25]
	v_add_co_u32 v26, vcc_lo, v24, s10
	s_delay_alu instid0(VALU_DEP_1) | instskip(SKIP_3) | instid1(VALU_DEP_2)
	v_add_co_ci_u32_e64 v27, null, s11, v25, vcc_lo
	v_lshlrev_b64_e32 v[4:5], 3, v[3:4]
	v_add_nc_u32_e32 v3, s5, v3
	s_bitcmp0_b32 s13, 0
	v_add_co_u32 v28, vcc_lo, s0, v4
	s_wait_alu 0xfffd
	s_delay_alu instid0(VALU_DEP_3) | instskip(SKIP_1) | instid1(VALU_DEP_1)
	v_add_co_ci_u32_e64 v29, null, s1, v5, vcc_lo
	v_ashrrev_i32_e32 v4, 31, v3
	v_lshlrev_b64_e32 v[4:5], 3, v[3:4]
	v_add_nc_u32_e32 v3, s5, v3
	s_delay_alu instid0(VALU_DEP_2) | instskip(SKIP_1) | instid1(VALU_DEP_3)
	v_add_co_u32 v30, vcc_lo, s0, v4
	s_wait_alu 0xfffd
	v_add_co_ci_u32_e64 v31, null, s1, v5, vcc_lo
	s_delay_alu instid0(VALU_DEP_3) | instskip(NEXT) | instid1(VALU_DEP_1)
	v_ashrrev_i32_e32 v4, 31, v3
	v_lshlrev_b64_e32 v[4:5], 3, v[3:4]
	v_add_nc_u32_e32 v3, s5, v3
	s_delay_alu instid0(VALU_DEP_2) | instskip(SKIP_1) | instid1(VALU_DEP_3)
	v_add_co_u32 v32, vcc_lo, s0, v4
	s_wait_alu 0xfffd
	v_add_co_ci_u32_e64 v33, null, s1, v5, vcc_lo
	s_delay_alu instid0(VALU_DEP_3) | instskip(NEXT) | instid1(VALU_DEP_1)
	v_ashrrev_i32_e32 v4, 31, v3
	v_lshlrev_b64_e32 v[4:5], 3, v[3:4]
	v_add_nc_u32_e32 v3, s5, v3
	s_delay_alu instid0(VALU_DEP_2) | instskip(SKIP_1) | instid1(VALU_DEP_3)
	v_add_co_u32 v34, vcc_lo, s0, v4
	s_wait_alu 0xfffd
	v_add_co_ci_u32_e64 v35, null, s1, v5, vcc_lo
	s_delay_alu instid0(VALU_DEP_3) | instskip(NEXT) | instid1(VALU_DEP_1)
	v_ashrrev_i32_e32 v4, 31, v3
	v_lshlrev_b64_e32 v[4:5], 3, v[3:4]
	v_add_nc_u32_e32 v3, s5, v3
	s_delay_alu instid0(VALU_DEP_2) | instskip(SKIP_1) | instid1(VALU_DEP_3)
	v_add_co_u32 v36, vcc_lo, s0, v4
	s_wait_alu 0xfffd
	v_add_co_ci_u32_e64 v37, null, s1, v5, vcc_lo
	s_delay_alu instid0(VALU_DEP_3) | instskip(NEXT) | instid1(VALU_DEP_1)
	v_ashrrev_i32_e32 v4, 31, v3
	v_lshlrev_b64_e32 v[4:5], 3, v[3:4]
	v_add_nc_u32_e32 v3, s5, v3
	s_delay_alu instid0(VALU_DEP_2) | instskip(SKIP_1) | instid1(VALU_DEP_3)
	v_add_co_u32 v38, vcc_lo, s0, v4
	s_wait_alu 0xfffd
	v_add_co_ci_u32_e64 v39, null, s1, v5, vcc_lo
	s_delay_alu instid0(VALU_DEP_3) | instskip(NEXT) | instid1(VALU_DEP_1)
	v_ashrrev_i32_e32 v4, 31, v3
	v_lshlrev_b64_e32 v[4:5], 3, v[3:4]
	v_add_nc_u32_e32 v3, s5, v3
	s_delay_alu instid0(VALU_DEP_2) | instskip(SKIP_1) | instid1(VALU_DEP_3)
	v_add_co_u32 v40, vcc_lo, s0, v4
	s_wait_alu 0xfffd
	v_add_co_ci_u32_e64 v41, null, s1, v5, vcc_lo
	s_delay_alu instid0(VALU_DEP_3) | instskip(NEXT) | instid1(VALU_DEP_1)
	v_ashrrev_i32_e32 v4, 31, v3
	v_lshlrev_b64_e32 v[4:5], 3, v[3:4]
	v_add_nc_u32_e32 v3, s5, v3
	s_delay_alu instid0(VALU_DEP_2) | instskip(SKIP_1) | instid1(VALU_DEP_3)
	v_add_co_u32 v42, vcc_lo, s0, v4
	s_wait_alu 0xfffd
	v_add_co_ci_u32_e64 v43, null, s1, v5, vcc_lo
	s_delay_alu instid0(VALU_DEP_3) | instskip(NEXT) | instid1(VALU_DEP_1)
	v_ashrrev_i32_e32 v4, 31, v3
	v_lshlrev_b64_e32 v[4:5], 3, v[3:4]
	v_add_nc_u32_e32 v3, s5, v3
	s_delay_alu instid0(VALU_DEP_2) | instskip(SKIP_1) | instid1(VALU_DEP_3)
	v_add_co_u32 v44, vcc_lo, s0, v4
	s_wait_alu 0xfffd
	v_add_co_ci_u32_e64 v45, null, s1, v5, vcc_lo
	s_delay_alu instid0(VALU_DEP_3) | instskip(NEXT) | instid1(VALU_DEP_1)
	v_ashrrev_i32_e32 v4, 31, v3
	v_lshlrev_b64_e32 v[4:5], 3, v[3:4]
	v_add_nc_u32_e32 v3, s5, v3
	s_delay_alu instid0(VALU_DEP_2) | instskip(SKIP_1) | instid1(VALU_DEP_3)
	v_add_co_u32 v46, vcc_lo, s0, v4
	s_wait_alu 0xfffd
	v_add_co_ci_u32_e64 v47, null, s1, v5, vcc_lo
	s_delay_alu instid0(VALU_DEP_3) | instskip(NEXT) | instid1(VALU_DEP_1)
	v_ashrrev_i32_e32 v4, 31, v3
	v_lshlrev_b64_e32 v[4:5], 3, v[3:4]
	v_add_nc_u32_e32 v3, s5, v3
	s_delay_alu instid0(VALU_DEP_2) | instskip(SKIP_1) | instid1(VALU_DEP_3)
	v_add_co_u32 v48, vcc_lo, s0, v4
	s_wait_alu 0xfffd
	v_add_co_ci_u32_e64 v49, null, s1, v5, vcc_lo
	s_delay_alu instid0(VALU_DEP_3) | instskip(NEXT) | instid1(VALU_DEP_1)
	v_ashrrev_i32_e32 v4, 31, v3
	v_lshlrev_b64_e32 v[4:5], 3, v[3:4]
	v_add_nc_u32_e32 v3, s5, v3
	s_delay_alu instid0(VALU_DEP_2) | instskip(SKIP_1) | instid1(VALU_DEP_3)
	v_add_co_u32 v50, vcc_lo, s0, v4
	s_wait_alu 0xfffd
	v_add_co_ci_u32_e64 v51, null, s1, v5, vcc_lo
	s_delay_alu instid0(VALU_DEP_3) | instskip(NEXT) | instid1(VALU_DEP_1)
	v_ashrrev_i32_e32 v4, 31, v3
	v_lshlrev_b64_e32 v[4:5], 3, v[3:4]
	v_add_nc_u32_e32 v3, s5, v3
	s_delay_alu instid0(VALU_DEP_2) | instskip(SKIP_1) | instid1(VALU_DEP_3)
	v_add_co_u32 v52, vcc_lo, s0, v4
	s_wait_alu 0xfffd
	v_add_co_ci_u32_e64 v53, null, s1, v5, vcc_lo
	s_delay_alu instid0(VALU_DEP_3) | instskip(NEXT) | instid1(VALU_DEP_1)
	v_ashrrev_i32_e32 v4, 31, v3
	v_lshlrev_b64_e32 v[4:5], 3, v[3:4]
	v_add_nc_u32_e32 v3, s5, v3
	s_delay_alu instid0(VALU_DEP_2) | instskip(SKIP_1) | instid1(VALU_DEP_3)
	v_add_co_u32 v54, vcc_lo, s0, v4
	s_wait_alu 0xfffd
	v_add_co_ci_u32_e64 v55, null, s1, v5, vcc_lo
	s_delay_alu instid0(VALU_DEP_3) | instskip(NEXT) | instid1(VALU_DEP_1)
	v_ashrrev_i32_e32 v4, 31, v3
	v_lshlrev_b64_e32 v[4:5], 3, v[3:4]
	v_add_nc_u32_e32 v3, s5, v3
	s_delay_alu instid0(VALU_DEP_2) | instskip(SKIP_1) | instid1(VALU_DEP_3)
	v_add_co_u32 v56, vcc_lo, s0, v4
	s_wait_alu 0xfffd
	v_add_co_ci_u32_e64 v57, null, s1, v5, vcc_lo
	s_delay_alu instid0(VALU_DEP_3) | instskip(NEXT) | instid1(VALU_DEP_1)
	v_ashrrev_i32_e32 v4, 31, v3
	v_lshlrev_b64_e32 v[4:5], 3, v[3:4]
	v_add_nc_u32_e32 v3, s5, v3
	s_delay_alu instid0(VALU_DEP_2) | instskip(SKIP_1) | instid1(VALU_DEP_3)
	v_add_co_u32 v58, vcc_lo, s0, v4
	s_wait_alu 0xfffd
	v_add_co_ci_u32_e64 v59, null, s1, v5, vcc_lo
	s_delay_alu instid0(VALU_DEP_3) | instskip(NEXT) | instid1(VALU_DEP_1)
	v_ashrrev_i32_e32 v4, 31, v3
	v_lshlrev_b64_e32 v[4:5], 3, v[3:4]
	v_add_nc_u32_e32 v3, s5, v3
	s_delay_alu instid0(VALU_DEP_2) | instskip(SKIP_1) | instid1(VALU_DEP_3)
	v_add_co_u32 v60, vcc_lo, s0, v4
	s_wait_alu 0xfffd
	v_add_co_ci_u32_e64 v61, null, s1, v5, vcc_lo
	s_delay_alu instid0(VALU_DEP_3) | instskip(NEXT) | instid1(VALU_DEP_1)
	v_ashrrev_i32_e32 v4, 31, v3
	v_lshlrev_b64_e32 v[4:5], 3, v[3:4]
	v_add_nc_u32_e32 v3, s5, v3
	s_delay_alu instid0(VALU_DEP_2) | instskip(SKIP_1) | instid1(VALU_DEP_3)
	v_add_co_u32 v62, vcc_lo, s0, v4
	s_wait_alu 0xfffd
	v_add_co_ci_u32_e64 v63, null, s1, v5, vcc_lo
	s_delay_alu instid0(VALU_DEP_3) | instskip(NEXT) | instid1(VALU_DEP_1)
	v_ashrrev_i32_e32 v4, 31, v3
	v_lshlrev_b64_e32 v[4:5], 3, v[3:4]
	v_add_nc_u32_e32 v3, s5, v3
	s_delay_alu instid0(VALU_DEP_2) | instskip(SKIP_1) | instid1(VALU_DEP_3)
	v_add_co_u32 v64, vcc_lo, s0, v4
	s_wait_alu 0xfffd
	v_add_co_ci_u32_e64 v65, null, s1, v5, vcc_lo
	s_delay_alu instid0(VALU_DEP_3) | instskip(NEXT) | instid1(VALU_DEP_1)
	v_ashrrev_i32_e32 v4, 31, v3
	v_lshlrev_b64_e32 v[4:5], 3, v[3:4]
	v_add_nc_u32_e32 v3, s5, v3
	s_delay_alu instid0(VALU_DEP_2) | instskip(SKIP_1) | instid1(VALU_DEP_3)
	v_add_co_u32 v66, vcc_lo, s0, v4
	s_wait_alu 0xfffd
	v_add_co_ci_u32_e64 v67, null, s1, v5, vcc_lo
	s_delay_alu instid0(VALU_DEP_3) | instskip(NEXT) | instid1(VALU_DEP_1)
	v_ashrrev_i32_e32 v4, 31, v3
	v_lshlrev_b64_e32 v[4:5], 3, v[3:4]
	v_add_nc_u32_e32 v3, s5, v3
	s_delay_alu instid0(VALU_DEP_2) | instskip(SKIP_1) | instid1(VALU_DEP_3)
	v_add_co_u32 v68, vcc_lo, s0, v4
	s_wait_alu 0xfffd
	v_add_co_ci_u32_e64 v69, null, s1, v5, vcc_lo
	s_delay_alu instid0(VALU_DEP_3) | instskip(NEXT) | instid1(VALU_DEP_1)
	v_ashrrev_i32_e32 v4, 31, v3
	v_lshlrev_b64_e32 v[4:5], 3, v[3:4]
	s_wait_loadcnt_dscnt 0x0
	scratch_store_b64 off, v[1:2], off
	flat_load_b64 v[1:2], v[26:27]
	v_add_nc_u32_e32 v3, s5, v3
	v_add_co_u32 v70, vcc_lo, s0, v4
	s_wait_alu 0xfffd
	v_add_co_ci_u32_e64 v71, null, s1, v5, vcc_lo
	s_delay_alu instid0(VALU_DEP_3) | instskip(NEXT) | instid1(VALU_DEP_1)
	v_ashrrev_i32_e32 v4, 31, v3
	v_lshlrev_b64_e32 v[4:5], 3, v[3:4]
	v_add_nc_u32_e32 v3, s5, v3
	s_delay_alu instid0(VALU_DEP_2) | instskip(SKIP_1) | instid1(VALU_DEP_3)
	v_add_co_u32 v72, vcc_lo, s0, v4
	s_wait_alu 0xfffd
	v_add_co_ci_u32_e64 v73, null, s1, v5, vcc_lo
	s_delay_alu instid0(VALU_DEP_3) | instskip(NEXT) | instid1(VALU_DEP_1)
	v_ashrrev_i32_e32 v4, 31, v3
	v_lshlrev_b64_e32 v[4:5], 3, v[3:4]
	v_add_nc_u32_e32 v3, s5, v3
	s_delay_alu instid0(VALU_DEP_2) | instskip(SKIP_1) | instid1(VALU_DEP_3)
	;; [unrolled: 8-line block ×20, first 2 shown]
	v_add_co_u32 v110, vcc_lo, s0, v4
	s_wait_alu 0xfffd
	v_add_co_ci_u32_e64 v111, null, s1, v5, vcc_lo
	s_delay_alu instid0(VALU_DEP_3) | instskip(NEXT) | instid1(VALU_DEP_1)
	v_ashrrev_i32_e32 v4, 31, v3
	v_lshlrev_b64_e32 v[4:5], 3, v[3:4]
	v_add_nc_u32_e32 v3, s5, v3
	s_delay_alu instid0(VALU_DEP_2)
	v_add_co_u32 v112, vcc_lo, s0, v4
	s_wait_loadcnt_dscnt 0x0
	scratch_store_b64 off, v[1:2], off offset:8
	flat_load_b64 v[1:2], v[28:29]
	s_wait_alu 0xfffd
	v_add_co_ci_u32_e64 v113, null, s1, v5, vcc_lo
	v_ashrrev_i32_e32 v4, 31, v3
	s_delay_alu instid0(VALU_DEP_1) | instskip(SKIP_1) | instid1(VALU_DEP_2)
	v_lshlrev_b64_e32 v[4:5], 3, v[3:4]
	v_add_nc_u32_e32 v3, s5, v3
	v_add_co_u32 v114, vcc_lo, s0, v4
	s_wait_alu 0xfffd
	s_delay_alu instid0(VALU_DEP_3) | instskip(NEXT) | instid1(VALU_DEP_3)
	v_add_co_ci_u32_e64 v115, null, s1, v5, vcc_lo
	v_ashrrev_i32_e32 v4, 31, v3
	s_delay_alu instid0(VALU_DEP_1) | instskip(SKIP_1) | instid1(VALU_DEP_2)
	v_lshlrev_b64_e32 v[4:5], 3, v[3:4]
	v_add_nc_u32_e32 v3, s5, v3
	v_add_co_u32 v116, vcc_lo, s0, v4
	s_wait_alu 0xfffd
	s_delay_alu instid0(VALU_DEP_3) | instskip(NEXT) | instid1(VALU_DEP_3)
	;; [unrolled: 8-line block ×3, first 2 shown]
	v_add_co_ci_u32_e64 v119, null, s1, v5, vcc_lo
	v_ashrrev_i32_e32 v4, 31, v3
	s_delay_alu instid0(VALU_DEP_1) | instskip(NEXT) | instid1(VALU_DEP_1)
	v_lshlrev_b64_e32 v[3:4], 3, v[3:4]
	v_add_co_u32 v120, vcc_lo, s0, v3
	s_wait_alu 0xfffd
	s_delay_alu instid0(VALU_DEP_2)
	v_add_co_ci_u32_e64 v121, null, s1, v4, vcc_lo
	s_mov_b32 s1, -1
	s_wait_loadcnt_dscnt 0x0
	scratch_store_b64 off, v[1:2], off offset:16
	flat_load_b64 v[1:2], v[30:31]
	s_wait_loadcnt_dscnt 0x0
	scratch_store_b64 off, v[1:2], off offset:24
	flat_load_b64 v[1:2], v[32:33]
	;; [unrolled: 3-line block ×46, first 2 shown]
	s_wait_loadcnt_dscnt 0x0
	scratch_store_b64 off, v[1:2], off offset:384
	s_cbranch_scc1 .LBB112_208
; %bb.4:
	v_cmp_eq_u32_e64 s0, 0, v0
	s_and_saveexec_b32 s1, s0
; %bb.5:
	v_mov_b32_e32 v1, 0
	ds_store_b32 v1, v1 offset:392
; %bb.6:
	s_wait_alu 0xfffe
	s_or_b32 exec_lo, exec_lo, s1
	s_wait_storecnt_dscnt 0x0
	s_barrier_signal -1
	s_barrier_wait -1
	global_inv scope:SCOPE_SE
	scratch_load_b64 v[1:2], v7, off
	s_wait_loadcnt 0x0
	v_cmp_eq_f32_e32 vcc_lo, 0, v1
	v_cmp_eq_f32_e64 s1, 0, v2
	s_and_b32 s1, vcc_lo, s1
	s_wait_alu 0xfffe
	s_and_saveexec_b32 s4, s1
	s_cbranch_execz .LBB112_10
; %bb.7:
	v_mov_b32_e32 v1, 0
	s_mov_b32 s5, 0
	ds_load_b32 v2, v1 offset:392
	s_wait_dscnt 0x0
	v_readfirstlane_b32 s1, v2
	v_add_nc_u32_e32 v2, 1, v0
	s_cmp_eq_u32 s1, 0
	s_delay_alu instid0(VALU_DEP_1)
	v_cmp_gt_i32_e32 vcc_lo, s1, v2
	s_cselect_b32 s10, -1, 0
	s_wait_alu 0xfffe
	s_or_b32 s10, s10, vcc_lo
	s_wait_alu 0xfffe
	s_and_b32 exec_lo, exec_lo, s10
	s_cbranch_execz .LBB112_10
; %bb.8:
	v_mov_b32_e32 v3, s1
.LBB112_9:                              ; =>This Inner Loop Header: Depth=1
	ds_cmpstore_rtn_b32 v3, v1, v2, v3 offset:392
	s_wait_dscnt 0x0
	v_cmp_ne_u32_e32 vcc_lo, 0, v3
	v_cmp_le_i32_e64 s1, v3, v2
	s_and_b32 s1, vcc_lo, s1
	s_wait_alu 0xfffe
	s_and_b32 s1, exec_lo, s1
	s_wait_alu 0xfffe
	s_or_b32 s5, s1, s5
	s_wait_alu 0xfffe
	s_and_not1_b32 exec_lo, exec_lo, s5
	s_cbranch_execnz .LBB112_9
.LBB112_10:
	s_wait_alu 0xfffe
	s_or_b32 exec_lo, exec_lo, s4
	v_mov_b32_e32 v1, 0
	s_barrier_signal -1
	s_barrier_wait -1
	global_inv scope:SCOPE_SE
	ds_load_b32 v2, v1 offset:392
	s_and_saveexec_b32 s1, s0
	s_cbranch_execz .LBB112_12
; %bb.11:
	s_lshl_b64 s[4:5], s[8:9], 2
	s_wait_alu 0xfffe
	s_add_nc_u64 s[4:5], s[6:7], s[4:5]
	s_wait_dscnt 0x0
	global_store_b32 v1, v2, s[4:5]
.LBB112_12:
	s_wait_alu 0xfffe
	s_or_b32 exec_lo, exec_lo, s1
	s_wait_dscnt 0x0
	v_cmp_ne_u32_e32 vcc_lo, 0, v2
	s_mov_b32 s1, 0
	s_cbranch_vccnz .LBB112_208
; %bb.13:
	v_mov_b32_e32 v8, v7
                                        ; implicit-def: $vgpr3
                                        ; implicit-def: $vgpr5
	scratch_load_b64 v[1:2], v8, off
	s_wait_loadcnt 0x0
	v_cmp_ngt_f32_e64 s1, |v1|, |v2|
	s_wait_alu 0xfffe
	s_and_saveexec_b32 s4, s1
	s_wait_alu 0xfffe
	s_xor_b32 s1, exec_lo, s4
	s_cbranch_execz .LBB112_15
; %bb.14:
	v_div_scale_f32 v3, null, v2, v2, v1
	v_div_scale_f32 v6, vcc_lo, v1, v2, v1
	s_delay_alu instid0(VALU_DEP_2) | instskip(NEXT) | instid1(TRANS32_DEP_1)
	v_rcp_f32_e32 v4, v3
	v_fma_f32 v5, -v3, v4, 1.0
	s_delay_alu instid0(VALU_DEP_1) | instskip(NEXT) | instid1(VALU_DEP_1)
	v_fmac_f32_e32 v4, v5, v4
	v_mul_f32_e32 v5, v6, v4
	s_delay_alu instid0(VALU_DEP_1) | instskip(NEXT) | instid1(VALU_DEP_1)
	v_fma_f32 v9, -v3, v5, v6
	v_fmac_f32_e32 v5, v9, v4
	s_delay_alu instid0(VALU_DEP_1) | instskip(SKIP_1) | instid1(VALU_DEP_1)
	v_fma_f32 v3, -v3, v5, v6
	s_wait_alu 0xfffd
	v_div_fmas_f32 v3, v3, v4, v5
	s_delay_alu instid0(VALU_DEP_1) | instskip(NEXT) | instid1(VALU_DEP_1)
	v_div_fixup_f32 v3, v3, v2, v1
	v_fmac_f32_e32 v2, v1, v3
	s_delay_alu instid0(VALU_DEP_1) | instskip(NEXT) | instid1(VALU_DEP_1)
	v_div_scale_f32 v1, null, v2, v2, 1.0
	v_rcp_f32_e32 v4, v1
	s_delay_alu instid0(TRANS32_DEP_1) | instskip(NEXT) | instid1(VALU_DEP_1)
	v_fma_f32 v5, -v1, v4, 1.0
	v_fmac_f32_e32 v4, v5, v4
	v_div_scale_f32 v5, vcc_lo, 1.0, v2, 1.0
	s_delay_alu instid0(VALU_DEP_1) | instskip(NEXT) | instid1(VALU_DEP_1)
	v_mul_f32_e32 v6, v5, v4
	v_fma_f32 v9, -v1, v6, v5
	s_delay_alu instid0(VALU_DEP_1) | instskip(NEXT) | instid1(VALU_DEP_1)
	v_fmac_f32_e32 v6, v9, v4
	v_fma_f32 v1, -v1, v6, v5
	s_wait_alu 0xfffd
	s_delay_alu instid0(VALU_DEP_1) | instskip(NEXT) | instid1(VALU_DEP_1)
	v_div_fmas_f32 v1, v1, v4, v6
	v_div_fixup_f32 v1, v1, v2, 1.0
	s_delay_alu instid0(VALU_DEP_1) | instskip(SKIP_1) | instid1(VALU_DEP_2)
	v_mul_f32_e32 v3, v3, v1
	v_xor_b32_e32 v4, 0x80000000, v1
                                        ; implicit-def: $vgpr1_vgpr2
	v_xor_b32_e32 v5, 0x80000000, v3
.LBB112_15:
	s_wait_alu 0xfffe
	s_and_not1_saveexec_b32 s1, s1
	s_cbranch_execz .LBB112_17
; %bb.16:
	v_div_scale_f32 v3, null, v1, v1, v2
	v_div_scale_f32 v6, vcc_lo, v2, v1, v2
	s_delay_alu instid0(VALU_DEP_2) | instskip(NEXT) | instid1(TRANS32_DEP_1)
	v_rcp_f32_e32 v4, v3
	v_fma_f32 v5, -v3, v4, 1.0
	s_delay_alu instid0(VALU_DEP_1) | instskip(NEXT) | instid1(VALU_DEP_1)
	v_fmac_f32_e32 v4, v5, v4
	v_mul_f32_e32 v5, v6, v4
	s_delay_alu instid0(VALU_DEP_1) | instskip(NEXT) | instid1(VALU_DEP_1)
	v_fma_f32 v9, -v3, v5, v6
	v_fmac_f32_e32 v5, v9, v4
	s_delay_alu instid0(VALU_DEP_1) | instskip(SKIP_1) | instid1(VALU_DEP_1)
	v_fma_f32 v3, -v3, v5, v6
	s_wait_alu 0xfffd
	v_div_fmas_f32 v3, v3, v4, v5
	s_delay_alu instid0(VALU_DEP_1) | instskip(NEXT) | instid1(VALU_DEP_1)
	v_div_fixup_f32 v4, v3, v1, v2
	v_fmac_f32_e32 v1, v2, v4
	s_delay_alu instid0(VALU_DEP_1) | instskip(SKIP_1) | instid1(VALU_DEP_2)
	v_div_scale_f32 v2, null, v1, v1, 1.0
	v_div_scale_f32 v6, vcc_lo, 1.0, v1, 1.0
	v_rcp_f32_e32 v3, v2
	s_delay_alu instid0(TRANS32_DEP_1) | instskip(NEXT) | instid1(VALU_DEP_1)
	v_fma_f32 v5, -v2, v3, 1.0
	v_fmac_f32_e32 v3, v5, v3
	s_delay_alu instid0(VALU_DEP_1) | instskip(NEXT) | instid1(VALU_DEP_1)
	v_mul_f32_e32 v5, v6, v3
	v_fma_f32 v9, -v2, v5, v6
	s_delay_alu instid0(VALU_DEP_1) | instskip(NEXT) | instid1(VALU_DEP_1)
	v_fmac_f32_e32 v5, v9, v3
	v_fma_f32 v2, -v2, v5, v6
	s_wait_alu 0xfffd
	s_delay_alu instid0(VALU_DEP_1) | instskip(NEXT) | instid1(VALU_DEP_1)
	v_div_fmas_f32 v2, v2, v3, v5
	v_div_fixup_f32 v3, v2, v1, 1.0
	s_delay_alu instid0(VALU_DEP_1)
	v_xor_b32_e32 v5, 0x80000000, v3
	v_mul_f32_e64 v4, v4, -v3
.LBB112_17:
	s_wait_alu 0xfffe
	s_or_b32 exec_lo, exec_lo, s1
	scratch_store_b64 v8, v[3:4], off
	scratch_load_b64 v[2:3], off, off offset:8
	v_xor_b32_e32 v6, 0x80000000, v4
	v_add_nc_u32_e32 v1, 0x190, v7
	s_wait_loadcnt 0x0
	ds_store_2addr_b64 v7, v[5:6], v[2:3] offset1:50
	s_wait_storecnt_dscnt 0x0
	s_barrier_signal -1
	s_barrier_wait -1
	global_inv scope:SCOPE_SE
	s_and_saveexec_b32 s1, s0
	s_cbranch_execz .LBB112_19
; %bb.18:
	scratch_load_b64 v[2:3], v8, off
	ds_load_b64 v[4:5], v1
	v_mov_b32_e32 v6, 0
	ds_load_b64 v[9:10], v6 offset:8
	s_wait_loadcnt_dscnt 0x1
	v_mul_f32_e32 v6, v4, v3
	v_mul_f32_e32 v3, v5, v3
	s_delay_alu instid0(VALU_DEP_2) | instskip(NEXT) | instid1(VALU_DEP_2)
	v_fmac_f32_e32 v6, v5, v2
	v_fma_f32 v2, v4, v2, -v3
	s_delay_alu instid0(VALU_DEP_2) | instskip(NEXT) | instid1(VALU_DEP_2)
	v_add_f32_e32 v4, 0, v6
	v_add_f32_e32 v2, 0, v2
	s_wait_dscnt 0x0
	s_delay_alu instid0(VALU_DEP_2) | instskip(NEXT) | instid1(VALU_DEP_2)
	v_mul_f32_e32 v5, v4, v10
	v_mul_f32_e32 v3, v2, v10
	s_delay_alu instid0(VALU_DEP_2) | instskip(NEXT) | instid1(VALU_DEP_2)
	v_fma_f32 v2, v2, v9, -v5
	v_fmac_f32_e32 v3, v4, v9
	scratch_store_b64 off, v[2:3], off offset:8
.LBB112_19:
	s_wait_alu 0xfffe
	s_or_b32 exec_lo, exec_lo, s1
	s_wait_loadcnt 0x0
	s_wait_storecnt 0x0
	s_barrier_signal -1
	s_barrier_wait -1
	global_inv scope:SCOPE_SE
	scratch_load_b64 v[2:3], off, off offset:16
	s_mov_b32 s1, exec_lo
	s_wait_loadcnt 0x0
	ds_store_b64 v1, v[2:3]
	s_wait_dscnt 0x0
	s_barrier_signal -1
	s_barrier_wait -1
	global_inv scope:SCOPE_SE
	v_cmpx_gt_u32_e32 2, v0
	s_cbranch_execz .LBB112_23
; %bb.20:
	scratch_load_b64 v[2:3], v8, off
	ds_load_b64 v[4:5], v1
	s_wait_loadcnt_dscnt 0x0
	v_mul_f32_e32 v6, v5, v3
	v_mul_f32_e32 v9, v4, v3
	s_delay_alu instid0(VALU_DEP_2) | instskip(NEXT) | instid1(VALU_DEP_2)
	v_fma_f32 v3, v4, v2, -v6
	v_fmac_f32_e32 v9, v5, v2
	s_delay_alu instid0(VALU_DEP_1)
	v_dual_add_f32 v3, 0, v3 :: v_dual_add_f32 v2, 0, v9
	s_and_saveexec_b32 s4, s0
	s_cbranch_execz .LBB112_22
; %bb.21:
	scratch_load_b64 v[4:5], off, off offset:8
	v_mov_b32_e32 v6, 0
	ds_load_b64 v[9:10], v6 offset:408
	s_wait_loadcnt_dscnt 0x0
	v_mul_f32_e32 v6, v9, v5
	v_mul_f32_e32 v5, v10, v5
	s_delay_alu instid0(VALU_DEP_2) | instskip(NEXT) | instid1(VALU_DEP_2)
	v_fmac_f32_e32 v6, v10, v4
	v_fma_f32 v4, v9, v4, -v5
	s_delay_alu instid0(VALU_DEP_1)
	v_dual_add_f32 v2, v2, v6 :: v_dual_add_f32 v3, v3, v4
.LBB112_22:
	s_wait_alu 0xfffe
	s_or_b32 exec_lo, exec_lo, s4
	v_mov_b32_e32 v4, 0
	ds_load_b64 v[4:5], v4 offset:16
	s_wait_dscnt 0x0
	v_mul_f32_e32 v9, v2, v5
	v_mul_f32_e32 v6, v3, v5
	s_delay_alu instid0(VALU_DEP_2) | instskip(NEXT) | instid1(VALU_DEP_2)
	v_fma_f32 v5, v3, v4, -v9
	v_fmac_f32_e32 v6, v2, v4
	scratch_store_b64 off, v[5:6], off offset:16
.LBB112_23:
	s_wait_alu 0xfffe
	s_or_b32 exec_lo, exec_lo, s1
	s_wait_loadcnt 0x0
	s_wait_storecnt 0x0
	s_barrier_signal -1
	s_barrier_wait -1
	global_inv scope:SCOPE_SE
	scratch_load_b64 v[3:4], off, off offset:24
	v_add_nc_u32_e32 v2, -1, v0
	s_mov_b32 s0, exec_lo
	s_wait_loadcnt 0x0
	ds_store_b64 v1, v[3:4]
	s_wait_dscnt 0x0
	s_barrier_signal -1
	s_barrier_wait -1
	global_inv scope:SCOPE_SE
	v_cmpx_gt_u32_e32 3, v0
	s_cbranch_execz .LBB112_27
; %bb.24:
	v_dual_mov_b32 v3, 0 :: v_dual_add_nc_u32 v4, -1, v0
	v_dual_mov_b32 v6, v7 :: v_dual_add_nc_u32 v5, 0x190, v7
	v_mov_b32_e32 v9, 0
	s_mov_b32 s1, 0
.LBB112_25:                             ; =>This Inner Loop Header: Depth=1
	scratch_load_b64 v[10:11], v6, off
	ds_load_b64 v[12:13], v5
	v_add_nc_u32_e32 v4, 1, v4
	v_add_nc_u32_e32 v5, 8, v5
	s_delay_alu instid0(VALU_DEP_2)
	v_cmp_lt_u32_e32 vcc_lo, 1, v4
	s_wait_alu 0xfffe
	s_or_b32 s1, vcc_lo, s1
	s_wait_loadcnt_dscnt 0x0
	v_mul_f32_e32 v14, v13, v11
	v_mul_f32_e32 v11, v12, v11
	s_delay_alu instid0(VALU_DEP_2) | instskip(NEXT) | instid1(VALU_DEP_2)
	v_fma_f32 v12, v12, v10, -v14
	v_fmac_f32_e32 v11, v13, v10
	s_delay_alu instid0(VALU_DEP_2) | instskip(NEXT) | instid1(VALU_DEP_2)
	v_dual_add_f32 v9, v9, v12 :: v_dual_add_nc_u32 v6, 8, v6
	v_add_f32_e32 v3, v3, v11
	s_wait_alu 0xfffe
	s_and_not1_b32 exec_lo, exec_lo, s1
	s_cbranch_execnz .LBB112_25
; %bb.26:
	s_or_b32 exec_lo, exec_lo, s1
	v_mov_b32_e32 v4, 0
	ds_load_b64 v[4:5], v4 offset:24
	s_wait_dscnt 0x0
	v_mul_f32_e32 v10, v3, v5
	v_mul_f32_e32 v6, v9, v5
	s_delay_alu instid0(VALU_DEP_2) | instskip(NEXT) | instid1(VALU_DEP_2)
	v_fma_f32 v5, v9, v4, -v10
	v_fmac_f32_e32 v6, v3, v4
	scratch_store_b64 off, v[5:6], off offset:24
.LBB112_27:
	s_wait_alu 0xfffe
	s_or_b32 exec_lo, exec_lo, s0
	s_wait_loadcnt 0x0
	s_wait_storecnt 0x0
	s_barrier_signal -1
	s_barrier_wait -1
	global_inv scope:SCOPE_SE
	scratch_load_b64 v[3:4], off, off offset:32
	s_mov_b32 s0, exec_lo
	s_wait_loadcnt 0x0
	ds_store_b64 v1, v[3:4]
	s_wait_dscnt 0x0
	s_barrier_signal -1
	s_barrier_wait -1
	global_inv scope:SCOPE_SE
	v_cmpx_gt_u32_e32 4, v0
	s_cbranch_execz .LBB112_31
; %bb.28:
	v_dual_mov_b32 v3, 0 :: v_dual_add_nc_u32 v4, -1, v0
	v_dual_mov_b32 v6, v7 :: v_dual_add_nc_u32 v5, 0x190, v7
	v_mov_b32_e32 v9, 0
	s_mov_b32 s1, 0
.LBB112_29:                             ; =>This Inner Loop Header: Depth=1
	scratch_load_b64 v[10:11], v6, off
	ds_load_b64 v[12:13], v5
	v_add_nc_u32_e32 v4, 1, v4
	v_add_nc_u32_e32 v5, 8, v5
	s_delay_alu instid0(VALU_DEP_2)
	v_cmp_lt_u32_e32 vcc_lo, 2, v4
	s_wait_alu 0xfffe
	s_or_b32 s1, vcc_lo, s1
	s_wait_loadcnt_dscnt 0x0
	v_mul_f32_e32 v14, v13, v11
	v_mul_f32_e32 v11, v12, v11
	s_delay_alu instid0(VALU_DEP_2) | instskip(NEXT) | instid1(VALU_DEP_2)
	v_fma_f32 v12, v12, v10, -v14
	v_fmac_f32_e32 v11, v13, v10
	s_delay_alu instid0(VALU_DEP_2) | instskip(NEXT) | instid1(VALU_DEP_2)
	v_dual_add_f32 v9, v9, v12 :: v_dual_add_nc_u32 v6, 8, v6
	v_add_f32_e32 v3, v3, v11
	s_wait_alu 0xfffe
	s_and_not1_b32 exec_lo, exec_lo, s1
	s_cbranch_execnz .LBB112_29
; %bb.30:
	s_or_b32 exec_lo, exec_lo, s1
	v_mov_b32_e32 v4, 0
	ds_load_b64 v[4:5], v4 offset:32
	s_wait_dscnt 0x0
	v_mul_f32_e32 v10, v3, v5
	v_mul_f32_e32 v6, v9, v5
	s_delay_alu instid0(VALU_DEP_2) | instskip(NEXT) | instid1(VALU_DEP_2)
	v_fma_f32 v5, v9, v4, -v10
	v_fmac_f32_e32 v6, v3, v4
	scratch_store_b64 off, v[5:6], off offset:32
.LBB112_31:
	s_wait_alu 0xfffe
	s_or_b32 exec_lo, exec_lo, s0
	s_wait_loadcnt 0x0
	s_wait_storecnt 0x0
	s_barrier_signal -1
	s_barrier_wait -1
	global_inv scope:SCOPE_SE
	scratch_load_b64 v[3:4], off, off offset:40
	;; [unrolled: 55-line block ×19, first 2 shown]
	s_mov_b32 s0, exec_lo
	s_wait_loadcnt 0x0
	ds_store_b64 v1, v[3:4]
	s_wait_dscnt 0x0
	s_barrier_signal -1
	s_barrier_wait -1
	global_inv scope:SCOPE_SE
	v_cmpx_gt_u32_e32 22, v0
	s_cbranch_execz .LBB112_103
; %bb.100:
	v_dual_mov_b32 v3, 0 :: v_dual_add_nc_u32 v4, -1, v0
	v_dual_mov_b32 v6, v7 :: v_dual_add_nc_u32 v5, 0x190, v7
	v_mov_b32_e32 v9, 0
	s_mov_b32 s1, 0
.LBB112_101:                            ; =>This Inner Loop Header: Depth=1
	scratch_load_b64 v[10:11], v6, off
	ds_load_b64 v[12:13], v5
	v_add_nc_u32_e32 v4, 1, v4
	v_add_nc_u32_e32 v5, 8, v5
	s_delay_alu instid0(VALU_DEP_2)
	v_cmp_lt_u32_e32 vcc_lo, 20, v4
	s_wait_alu 0xfffe
	s_or_b32 s1, vcc_lo, s1
	s_wait_loadcnt_dscnt 0x0
	v_mul_f32_e32 v14, v13, v11
	v_mul_f32_e32 v11, v12, v11
	s_delay_alu instid0(VALU_DEP_2) | instskip(NEXT) | instid1(VALU_DEP_2)
	v_fma_f32 v12, v12, v10, -v14
	v_fmac_f32_e32 v11, v13, v10
	s_delay_alu instid0(VALU_DEP_2) | instskip(NEXT) | instid1(VALU_DEP_2)
	v_dual_add_f32 v9, v9, v12 :: v_dual_add_nc_u32 v6, 8, v6
	v_add_f32_e32 v3, v3, v11
	s_wait_alu 0xfffe
	s_and_not1_b32 exec_lo, exec_lo, s1
	s_cbranch_execnz .LBB112_101
; %bb.102:
	s_or_b32 exec_lo, exec_lo, s1
	v_mov_b32_e32 v4, 0
	ds_load_b64 v[4:5], v4 offset:176
	s_wait_dscnt 0x0
	v_mul_f32_e32 v10, v3, v5
	v_mul_f32_e32 v6, v9, v5
	s_delay_alu instid0(VALU_DEP_2) | instskip(NEXT) | instid1(VALU_DEP_2)
	v_fma_f32 v5, v9, v4, -v10
	v_fmac_f32_e32 v6, v3, v4
	scratch_store_b64 off, v[5:6], off offset:176
.LBB112_103:
	s_wait_alu 0xfffe
	s_or_b32 exec_lo, exec_lo, s0
	s_wait_loadcnt 0x0
	s_wait_storecnt 0x0
	s_barrier_signal -1
	s_barrier_wait -1
	global_inv scope:SCOPE_SE
	scratch_load_b64 v[3:4], off, off offset:184
	s_mov_b32 s0, exec_lo
	s_wait_loadcnt 0x0
	ds_store_b64 v1, v[3:4]
	s_wait_dscnt 0x0
	s_barrier_signal -1
	s_barrier_wait -1
	global_inv scope:SCOPE_SE
	v_cmpx_gt_u32_e32 23, v0
	s_cbranch_execz .LBB112_107
; %bb.104:
	v_dual_mov_b32 v3, 0 :: v_dual_add_nc_u32 v4, -1, v0
	v_dual_mov_b32 v6, v7 :: v_dual_add_nc_u32 v5, 0x190, v7
	v_mov_b32_e32 v9, 0
	s_mov_b32 s1, 0
.LBB112_105:                            ; =>This Inner Loop Header: Depth=1
	scratch_load_b64 v[10:11], v6, off
	ds_load_b64 v[12:13], v5
	v_add_nc_u32_e32 v4, 1, v4
	v_add_nc_u32_e32 v5, 8, v5
	s_delay_alu instid0(VALU_DEP_2)
	v_cmp_lt_u32_e32 vcc_lo, 21, v4
	s_wait_alu 0xfffe
	s_or_b32 s1, vcc_lo, s1
	s_wait_loadcnt_dscnt 0x0
	v_mul_f32_e32 v14, v13, v11
	v_mul_f32_e32 v11, v12, v11
	s_delay_alu instid0(VALU_DEP_2) | instskip(NEXT) | instid1(VALU_DEP_2)
	v_fma_f32 v12, v12, v10, -v14
	v_fmac_f32_e32 v11, v13, v10
	s_delay_alu instid0(VALU_DEP_2) | instskip(NEXT) | instid1(VALU_DEP_2)
	v_dual_add_f32 v9, v9, v12 :: v_dual_add_nc_u32 v6, 8, v6
	v_add_f32_e32 v3, v3, v11
	s_wait_alu 0xfffe
	s_and_not1_b32 exec_lo, exec_lo, s1
	s_cbranch_execnz .LBB112_105
; %bb.106:
	s_or_b32 exec_lo, exec_lo, s1
	v_mov_b32_e32 v4, 0
	ds_load_b64 v[4:5], v4 offset:184
	s_wait_dscnt 0x0
	v_mul_f32_e32 v10, v3, v5
	v_mul_f32_e32 v6, v9, v5
	s_delay_alu instid0(VALU_DEP_2) | instskip(NEXT) | instid1(VALU_DEP_2)
	v_fma_f32 v5, v9, v4, -v10
	v_fmac_f32_e32 v6, v3, v4
	scratch_store_b64 off, v[5:6], off offset:184
.LBB112_107:
	s_wait_alu 0xfffe
	s_or_b32 exec_lo, exec_lo, s0
	s_wait_loadcnt 0x0
	s_wait_storecnt 0x0
	s_barrier_signal -1
	s_barrier_wait -1
	global_inv scope:SCOPE_SE
	scratch_load_b64 v[3:4], off, off offset:192
	;; [unrolled: 55-line block ×25, first 2 shown]
	s_mov_b32 s0, exec_lo
	s_wait_loadcnt 0x0
	ds_store_b64 v1, v[3:4]
	s_wait_dscnt 0x0
	s_barrier_signal -1
	s_barrier_wait -1
	global_inv scope:SCOPE_SE
	v_cmpx_gt_u32_e32 47, v0
	s_cbranch_execz .LBB112_203
; %bb.200:
	v_dual_mov_b32 v3, 0 :: v_dual_add_nc_u32 v4, -1, v0
	v_dual_mov_b32 v6, v7 :: v_dual_add_nc_u32 v5, 0x190, v7
	v_mov_b32_e32 v7, 0
	s_mov_b32 s1, 0
.LBB112_201:                            ; =>This Inner Loop Header: Depth=1
	scratch_load_b64 v[9:10], v6, off
	ds_load_b64 v[11:12], v5
	v_add_nc_u32_e32 v6, 8, v6
	v_add_nc_u32_e32 v4, 1, v4
	v_add_nc_u32_e32 v5, 8, v5
	s_delay_alu instid0(VALU_DEP_2)
	v_cmp_lt_u32_e32 vcc_lo, 45, v4
	s_wait_alu 0xfffe
	s_or_b32 s1, vcc_lo, s1
	s_wait_loadcnt_dscnt 0x0
	v_mul_f32_e32 v13, v12, v10
	v_mul_f32_e32 v10, v11, v10
	s_delay_alu instid0(VALU_DEP_2) | instskip(NEXT) | instid1(VALU_DEP_1)
	v_fma_f32 v11, v11, v9, -v13
	v_dual_fmac_f32 v10, v12, v9 :: v_dual_add_f32 v7, v7, v11
	s_delay_alu instid0(VALU_DEP_1)
	v_add_f32_e32 v3, v3, v10
	s_wait_alu 0xfffe
	s_and_not1_b32 exec_lo, exec_lo, s1
	s_cbranch_execnz .LBB112_201
; %bb.202:
	s_or_b32 exec_lo, exec_lo, s1
	v_mov_b32_e32 v4, 0
	ds_load_b64 v[4:5], v4 offset:376
	s_wait_dscnt 0x0
	v_mul_f32_e32 v9, v3, v5
	v_mul_f32_e32 v6, v7, v5
	s_delay_alu instid0(VALU_DEP_2) | instskip(NEXT) | instid1(VALU_DEP_2)
	v_fma_f32 v5, v7, v4, -v9
	v_fmac_f32_e32 v6, v3, v4
	scratch_store_b64 off, v[5:6], off offset:376
.LBB112_203:
	s_wait_alu 0xfffe
	s_or_b32 exec_lo, exec_lo, s0
	s_wait_loadcnt 0x0
	s_wait_storecnt 0x0
	s_barrier_signal -1
	s_barrier_wait -1
	global_inv scope:SCOPE_SE
	scratch_load_b64 v[3:4], off, off offset:384
	s_mov_b32 s0, exec_lo
	s_wait_loadcnt 0x0
	ds_store_b64 v1, v[3:4]
	s_wait_dscnt 0x0
	s_barrier_signal -1
	s_barrier_wait -1
	global_inv scope:SCOPE_SE
	v_cmpx_ne_u32_e32 48, v0
	s_cbranch_execz .LBB112_207
; %bb.204:
	v_dual_mov_b32 v3, 0 :: v_dual_mov_b32 v4, 0
	s_mov_b32 s1, 0
.LBB112_205:                            ; =>This Inner Loop Header: Depth=1
	scratch_load_b64 v[5:6], v8, off
	ds_load_b64 v[9:10], v1
	v_add_nc_u32_e32 v2, 1, v2
	v_add_nc_u32_e32 v1, 8, v1
	;; [unrolled: 1-line block ×3, first 2 shown]
	s_delay_alu instid0(VALU_DEP_3)
	v_cmp_lt_u32_e32 vcc_lo, 46, v2
	s_wait_alu 0xfffe
	s_or_b32 s1, vcc_lo, s1
	s_wait_loadcnt_dscnt 0x0
	v_mul_f32_e32 v7, v10, v6
	v_mul_f32_e32 v6, v9, v6
	s_delay_alu instid0(VALU_DEP_2) | instskip(NEXT) | instid1(VALU_DEP_2)
	v_fma_f32 v7, v9, v5, -v7
	v_fmac_f32_e32 v6, v10, v5
	s_delay_alu instid0(VALU_DEP_1)
	v_dual_add_f32 v4, v4, v7 :: v_dual_add_f32 v3, v3, v6
	s_wait_alu 0xfffe
	s_and_not1_b32 exec_lo, exec_lo, s1
	s_cbranch_execnz .LBB112_205
; %bb.206:
	s_or_b32 exec_lo, exec_lo, s1
	v_mov_b32_e32 v1, 0
	ds_load_b64 v[1:2], v1 offset:384
	s_wait_dscnt 0x0
	v_mul_f32_e32 v6, v3, v2
	v_mul_f32_e32 v5, v4, v2
	s_delay_alu instid0(VALU_DEP_2) | instskip(NEXT) | instid1(VALU_DEP_2)
	v_fma_f32 v4, v4, v1, -v6
	v_fmac_f32_e32 v5, v3, v1
	scratch_store_b64 off, v[4:5], off offset:384
.LBB112_207:
	s_wait_alu 0xfffe
	s_or_b32 exec_lo, exec_lo, s0
	s_mov_b32 s1, -1
	s_wait_loadcnt 0x0
	s_wait_storecnt 0x0
	s_barrier_signal -1
	s_barrier_wait -1
	global_inv scope:SCOPE_SE
.LBB112_208:
	s_wait_alu 0xfffe
	s_and_b32 vcc_lo, exec_lo, s1
	s_wait_alu 0xfffe
	s_cbranch_vccz .LBB112_210
; %bb.209:
	v_mov_b32_e32 v1, 0
	s_lshl_b64 s[0:1], s[8:9], 2
	s_wait_alu 0xfffe
	s_add_nc_u64 s[0:1], s[6:7], s[0:1]
	global_load_b32 v1, v1, s[0:1]
	s_wait_loadcnt 0x0
	v_cmp_ne_u32_e32 vcc_lo, 0, v1
	s_cbranch_vccz .LBB112_211
.LBB112_210:
	s_nop 0
	s_sendmsg sendmsg(MSG_DEALLOC_VGPRS)
	s_endpgm
.LBB112_211:
	v_lshl_add_u32 v23, v0, 3, 0x190
	s_mov_b32 s0, exec_lo
	v_cmpx_eq_u32_e32 48, v0
	s_cbranch_execz .LBB112_213
; %bb.212:
	scratch_load_b64 v[1:2], off, off offset:376
	v_mov_b32_e32 v3, 0
	s_delay_alu instid0(VALU_DEP_1)
	v_mov_b32_e32 v4, v3
	scratch_store_b64 off, v[3:4], off offset:376
	s_wait_loadcnt 0x0
	ds_store_b64 v23, v[1:2]
.LBB112_213:
	s_wait_alu 0xfffe
	s_or_b32 exec_lo, exec_lo, s0
	s_wait_storecnt_dscnt 0x0
	s_barrier_signal -1
	s_barrier_wait -1
	global_inv scope:SCOPE_SE
	s_clause 0x1
	scratch_load_b64 v[2:3], off, off offset:384
	scratch_load_b64 v[4:5], off, off offset:376
	v_mov_b32_e32 v1, 0
	s_mov_b32 s0, exec_lo
	ds_load_b64 v[6:7], v1 offset:784
	s_wait_loadcnt_dscnt 0x100
	v_mul_f32_e32 v8, v7, v3
	v_mul_f32_e32 v3, v6, v3
	s_delay_alu instid0(VALU_DEP_2) | instskip(NEXT) | instid1(VALU_DEP_2)
	v_fma_f32 v6, v6, v2, -v8
	v_fmac_f32_e32 v3, v7, v2
	s_delay_alu instid0(VALU_DEP_1) | instskip(SKIP_1) | instid1(VALU_DEP_1)
	v_dual_add_f32 v2, 0, v6 :: v_dual_add_f32 v3, 0, v3
	s_wait_loadcnt 0x0
	v_dual_sub_f32 v2, v4, v2 :: v_dual_sub_f32 v3, v5, v3
	scratch_store_b64 off, v[2:3], off offset:376
	v_cmpx_lt_u32_e32 46, v0
	s_cbranch_execz .LBB112_215
; %bb.214:
	scratch_load_b64 v[3:4], off, off offset:368
	v_mov_b32_e32 v2, v1
	scratch_store_b64 off, v[1:2], off offset:368
	s_wait_loadcnt 0x0
	ds_store_b64 v23, v[3:4]
.LBB112_215:
	s_wait_alu 0xfffe
	s_or_b32 exec_lo, exec_lo, s0
	s_wait_storecnt_dscnt 0x0
	s_barrier_signal -1
	s_barrier_wait -1
	global_inv scope:SCOPE_SE
	s_clause 0x1
	scratch_load_b128 v[2:5], off, off offset:376
	scratch_load_b64 v[10:11], off, off offset:368
	ds_load_2addr_b64 v[6:9], v1 offset0:97 offset1:98
	s_mov_b32 s0, exec_lo
	s_wait_loadcnt_dscnt 0x100
	v_dual_mul_f32 v1, v7, v3 :: v_dual_mul_f32 v12, v8, v5
	v_mul_f32_e32 v3, v6, v3
	s_delay_alu instid0(VALU_DEP_2) | instskip(NEXT) | instid1(VALU_DEP_2)
	v_fma_f32 v1, v6, v2, -v1
	v_dual_fmac_f32 v12, v9, v4 :: v_dual_fmac_f32 v3, v7, v2
	s_delay_alu instid0(VALU_DEP_2) | instskip(NEXT) | instid1(VALU_DEP_2)
	v_add_f32_e32 v1, 0, v1
	v_add_f32_e32 v3, 0, v3
	v_mul_f32_e32 v5, v9, v5
	s_delay_alu instid0(VALU_DEP_1) | instskip(NEXT) | instid1(VALU_DEP_1)
	v_fma_f32 v2, v8, v4, -v5
	v_dual_add_f32 v1, v1, v2 :: v_dual_add_f32 v2, v3, v12
	s_wait_loadcnt 0x0
	s_delay_alu instid0(VALU_DEP_1)
	v_dual_sub_f32 v1, v10, v1 :: v_dual_sub_f32 v2, v11, v2
	scratch_store_b64 off, v[1:2], off offset:368
	v_cmpx_lt_u32_e32 45, v0
	s_cbranch_execz .LBB112_217
; %bb.216:
	scratch_load_b64 v[1:2], off, off offset:360
	v_mov_b32_e32 v3, 0
	s_delay_alu instid0(VALU_DEP_1)
	v_mov_b32_e32 v4, v3
	scratch_store_b64 off, v[3:4], off offset:360
	s_wait_loadcnt 0x0
	ds_store_b64 v23, v[1:2]
.LBB112_217:
	s_wait_alu 0xfffe
	s_or_b32 exec_lo, exec_lo, s0
	s_wait_storecnt_dscnt 0x0
	s_barrier_signal -1
	s_barrier_wait -1
	global_inv scope:SCOPE_SE
	s_clause 0x2
	scratch_load_b128 v[2:5], off, off offset:368
	scratch_load_b64 v[10:11], off, off offset:384
	scratch_load_b64 v[12:13], off, off offset:360
	v_mov_b32_e32 v1, 0
	ds_load_b128 v[6:9], v1 offset:768
	ds_load_b64 v[14:15], v1 offset:784
	s_mov_b32 s0, exec_lo
	s_wait_loadcnt_dscnt 0x201
	v_dual_mul_f32 v16, v7, v3 :: v_dual_mul_f32 v17, v8, v5
	s_wait_loadcnt_dscnt 0x100
	v_mul_f32_e32 v18, v14, v11
	v_mul_f32_e32 v3, v6, v3
	;; [unrolled: 1-line block ×3, first 2 shown]
	v_fma_f32 v6, v6, v2, -v16
	s_delay_alu instid0(VALU_DEP_4) | instskip(NEXT) | instid1(VALU_DEP_4)
	v_fmac_f32_e32 v18, v15, v10
	v_fmac_f32_e32 v3, v7, v2
	v_mul_f32_e32 v2, v15, v11
	s_delay_alu instid0(VALU_DEP_1) | instskip(SKIP_3) | instid1(VALU_DEP_1)
	v_fma_f32 v2, v14, v10, -v2
	v_fmac_f32_e32 v17, v9, v4
	v_fma_f32 v4, v8, v4, -v5
	v_add_f32_e32 v5, 0, v6
	v_add_f32_e32 v4, v5, v4
	s_delay_alu instid0(VALU_DEP_1) | instskip(SKIP_1) | instid1(VALU_DEP_1)
	v_dual_add_f32 v2, v4, v2 :: v_dual_add_f32 v3, 0, v3
	s_wait_loadcnt 0x0
	v_dual_sub_f32 v2, v12, v2 :: v_dual_add_f32 v3, v3, v17
	s_delay_alu instid0(VALU_DEP_1) | instskip(NEXT) | instid1(VALU_DEP_1)
	v_add_f32_e32 v3, v3, v18
	v_sub_f32_e32 v3, v13, v3
	scratch_store_b64 off, v[2:3], off offset:360
	v_cmpx_lt_u32_e32 44, v0
	s_cbranch_execz .LBB112_219
; %bb.218:
	scratch_load_b64 v[3:4], off, off offset:352
	v_mov_b32_e32 v2, v1
	scratch_store_b64 off, v[1:2], off offset:352
	s_wait_loadcnt 0x0
	ds_store_b64 v23, v[3:4]
.LBB112_219:
	s_wait_alu 0xfffe
	s_or_b32 exec_lo, exec_lo, s0
	s_wait_storecnt_dscnt 0x0
	s_barrier_signal -1
	s_barrier_wait -1
	global_inv scope:SCOPE_SE
	s_clause 0x2
	scratch_load_b128 v[2:5], off, off offset:360
	scratch_load_b128 v[6:9], off, off offset:376
	scratch_load_b64 v[18:19], off, off offset:352
	ds_load_2addr_b64 v[10:13], v1 offset0:95 offset1:96
	ds_load_2addr_b64 v[14:17], v1 offset0:97 offset1:98
	s_mov_b32 s0, exec_lo
	s_wait_loadcnt_dscnt 0x201
	v_dual_mul_f32 v1, v10, v3 :: v_dual_mul_f32 v20, v12, v5
	s_wait_loadcnt_dscnt 0x100
	v_dual_mul_f32 v3, v11, v3 :: v_dual_mul_f32 v22, v16, v9
	v_mul_f32_e32 v5, v13, v5
	s_delay_alu instid0(VALU_DEP_3) | instskip(NEXT) | instid1(VALU_DEP_3)
	v_dual_mul_f32 v21, v14, v7 :: v_dual_fmac_f32 v20, v13, v4
	v_fma_f32 v3, v10, v2, -v3
	s_delay_alu instid0(VALU_DEP_4) | instskip(SKIP_2) | instid1(VALU_DEP_4)
	v_dual_fmac_f32 v1, v11, v2 :: v_dual_fmac_f32 v22, v17, v8
	v_mul_f32_e32 v2, v15, v7
	v_fma_f32 v4, v12, v4, -v5
	v_add_f32_e32 v3, 0, v3
	v_fmac_f32_e32 v21, v15, v6
	s_delay_alu instid0(VALU_DEP_4) | instskip(NEXT) | instid1(VALU_DEP_3)
	v_fma_f32 v2, v14, v6, -v2
	v_add_f32_e32 v3, v3, v4
	s_delay_alu instid0(VALU_DEP_1) | instskip(NEXT) | instid1(VALU_DEP_1)
	v_dual_add_f32 v1, 0, v1 :: v_dual_add_f32 v2, v3, v2
	v_add_f32_e32 v1, v1, v20
	s_delay_alu instid0(VALU_DEP_1) | instskip(NEXT) | instid1(VALU_DEP_1)
	v_add_f32_e32 v1, v1, v21
	v_add_f32_e32 v3, v1, v22
	v_mul_f32_e32 v5, v17, v9
	s_delay_alu instid0(VALU_DEP_1) | instskip(NEXT) | instid1(VALU_DEP_1)
	v_fma_f32 v4, v16, v8, -v5
	v_add_f32_e32 v2, v2, v4
	s_wait_loadcnt 0x0
	s_delay_alu instid0(VALU_DEP_1)
	v_dual_sub_f32 v1, v18, v2 :: v_dual_sub_f32 v2, v19, v3
	scratch_store_b64 off, v[1:2], off offset:352
	v_cmpx_lt_u32_e32 43, v0
	s_cbranch_execz .LBB112_221
; %bb.220:
	scratch_load_b64 v[1:2], off, off offset:344
	v_mov_b32_e32 v3, 0
	s_delay_alu instid0(VALU_DEP_1)
	v_mov_b32_e32 v4, v3
	scratch_store_b64 off, v[3:4], off offset:344
	s_wait_loadcnt 0x0
	ds_store_b64 v23, v[1:2]
.LBB112_221:
	s_wait_alu 0xfffe
	s_or_b32 exec_lo, exec_lo, s0
	s_wait_storecnt_dscnt 0x0
	s_barrier_signal -1
	s_barrier_wait -1
	global_inv scope:SCOPE_SE
	s_clause 0x3
	scratch_load_b128 v[2:5], off, off offset:352
	scratch_load_b128 v[6:9], off, off offset:368
	scratch_load_b64 v[18:19], off, off offset:384
	scratch_load_b64 v[20:21], off, off offset:344
	v_mov_b32_e32 v1, 0
	ds_load_b128 v[10:13], v1 offset:752
	ds_load_b128 v[14:17], v1 offset:768
	ds_load_b64 v[122:123], v1 offset:784
	s_mov_b32 s0, exec_lo
	s_wait_loadcnt_dscnt 0x302
	v_mul_f32_e32 v22, v10, v3
	v_dual_mul_f32 v124, v12, v5 :: v_dual_mul_f32 v3, v11, v3
	v_mul_f32_e32 v5, v13, v5
	s_wait_loadcnt_dscnt 0x100
	s_delay_alu instid0(VALU_DEP_3)
	v_dual_mul_f32 v127, v122, v19 :: v_dual_fmac_f32 v22, v11, v2
	v_dual_mul_f32 v125, v14, v7 :: v_dual_mul_f32 v126, v16, v9
	v_fma_f32 v3, v10, v2, -v3
	v_mul_f32_e32 v2, v15, v7
	v_fmac_f32_e32 v124, v13, v4
	v_fma_f32 v4, v12, v4, -v5
	v_dual_add_f32 v5, 0, v22 :: v_dual_fmac_f32 v126, v17, v8
	v_add_f32_e32 v3, 0, v3
	v_fma_f32 v2, v14, v6, -v2
	v_fmac_f32_e32 v125, v15, v6
	v_fmac_f32_e32 v127, v123, v18
	s_delay_alu instid0(VALU_DEP_4) | instskip(SKIP_2) | instid1(VALU_DEP_3)
	v_add_f32_e32 v3, v3, v4
	v_mul_f32_e32 v7, v17, v9
	v_add_f32_e32 v4, v5, v124
	v_add_f32_e32 v2, v3, v2
	s_delay_alu instid0(VALU_DEP_3) | instskip(NEXT) | instid1(VALU_DEP_1)
	v_fma_f32 v6, v16, v8, -v7
	v_dual_add_f32 v3, v4, v125 :: v_dual_add_f32 v2, v2, v6
	v_mul_f32_e32 v5, v123, v19
	s_delay_alu instid0(VALU_DEP_2) | instskip(NEXT) | instid1(VALU_DEP_2)
	v_add_f32_e32 v3, v3, v126
	v_fma_f32 v4, v122, v18, -v5
	s_delay_alu instid0(VALU_DEP_1) | instskip(SKIP_1) | instid1(VALU_DEP_1)
	v_dual_add_f32 v2, v2, v4 :: v_dual_add_f32 v3, v3, v127
	s_wait_loadcnt 0x0
	v_dual_sub_f32 v2, v20, v2 :: v_dual_sub_f32 v3, v21, v3
	scratch_store_b64 off, v[2:3], off offset:344
	v_cmpx_lt_u32_e32 42, v0
	s_cbranch_execz .LBB112_223
; %bb.222:
	scratch_load_b64 v[3:4], off, off offset:336
	v_mov_b32_e32 v2, v1
	scratch_store_b64 off, v[1:2], off offset:336
	s_wait_loadcnt 0x0
	ds_store_b64 v23, v[3:4]
.LBB112_223:
	s_wait_alu 0xfffe
	s_or_b32 exec_lo, exec_lo, s0
	s_wait_storecnt_dscnt 0x0
	s_barrier_signal -1
	s_barrier_wait -1
	global_inv scope:SCOPE_SE
	s_clause 0x3
	scratch_load_b128 v[2:5], off, off offset:344
	scratch_load_b128 v[6:9], off, off offset:360
	;; [unrolled: 1-line block ×3, first 2 shown]
	scratch_load_b64 v[126:127], off, off offset:336
	ds_load_2addr_b64 v[14:17], v1 offset0:93 offset1:94
	ds_load_2addr_b64 v[18:21], v1 offset0:95 offset1:96
	;; [unrolled: 1-line block ×3, first 2 shown]
	s_mov_b32 s0, exec_lo
	s_wait_loadcnt_dscnt 0x302
	v_dual_mul_f32 v1, v14, v3 :: v_dual_mul_f32 v22, v16, v5
	v_mul_f32_e32 v3, v15, v3
	s_wait_loadcnt_dscnt 0x201
	v_dual_mul_f32 v5, v17, v5 :: v_dual_mul_f32 v128, v18, v7
	s_delay_alu instid0(VALU_DEP_3) | instskip(NEXT) | instid1(VALU_DEP_3)
	v_dual_mul_f32 v129, v20, v9 :: v_dual_fmac_f32 v22, v17, v4
	v_fma_f32 v3, v14, v2, -v3
	v_fmac_f32_e32 v1, v15, v2
	v_mul_f32_e32 v2, v19, v7
	v_fma_f32 v4, v16, v4, -v5
	s_delay_alu instid0(VALU_DEP_4)
	v_dual_fmac_f32 v128, v19, v6 :: v_dual_add_f32 v3, 0, v3
	s_wait_loadcnt_dscnt 0x100
	v_dual_mul_f32 v130, v122, v11 :: v_dual_mul_f32 v131, v124, v13
	v_fma_f32 v2, v18, v6, -v2
	v_fmac_f32_e32 v129, v21, v8
	v_add_f32_e32 v3, v3, v4
	s_delay_alu instid0(VALU_DEP_4) | instskip(SKIP_1) | instid1(VALU_DEP_3)
	v_dual_mul_f32 v5, v21, v9 :: v_dual_fmac_f32 v130, v123, v10
	v_dual_fmac_f32 v131, v125, v12 :: v_dual_mul_f32 v4, v123, v11
	v_add_f32_e32 v2, v3, v2
	s_delay_alu instid0(VALU_DEP_3) | instskip(SKIP_1) | instid1(VALU_DEP_4)
	v_fma_f32 v5, v20, v8, -v5
	v_mul_f32_e32 v3, v125, v13
	v_fma_f32 v4, v122, v10, -v4
	s_delay_alu instid0(VALU_DEP_3) | instskip(SKIP_1) | instid1(VALU_DEP_4)
	v_add_f32_e32 v2, v2, v5
	v_add_f32_e32 v1, 0, v1
	v_fma_f32 v3, v124, v12, -v3
	s_delay_alu instid0(VALU_DEP_2) | instskip(NEXT) | instid1(VALU_DEP_1)
	v_dual_add_f32 v2, v2, v4 :: v_dual_add_f32 v1, v1, v22
	v_dual_add_f32 v2, v2, v3 :: v_dual_add_f32 v1, v1, v128
	s_delay_alu instid0(VALU_DEP_1) | instskip(NEXT) | instid1(VALU_DEP_1)
	v_add_f32_e32 v1, v1, v129
	v_add_f32_e32 v1, v1, v130
	s_delay_alu instid0(VALU_DEP_1) | instskip(SKIP_1) | instid1(VALU_DEP_1)
	v_add_f32_e32 v3, v1, v131
	s_wait_loadcnt 0x0
	v_dual_sub_f32 v1, v126, v2 :: v_dual_sub_f32 v2, v127, v3
	scratch_store_b64 off, v[1:2], off offset:336
	v_cmpx_lt_u32_e32 41, v0
	s_cbranch_execz .LBB112_225
; %bb.224:
	scratch_load_b64 v[1:2], off, off offset:328
	v_mov_b32_e32 v3, 0
	s_delay_alu instid0(VALU_DEP_1)
	v_mov_b32_e32 v4, v3
	scratch_store_b64 off, v[3:4], off offset:328
	s_wait_loadcnt 0x0
	ds_store_b64 v23, v[1:2]
.LBB112_225:
	s_wait_alu 0xfffe
	s_or_b32 exec_lo, exec_lo, s0
	s_wait_storecnt_dscnt 0x0
	s_barrier_signal -1
	s_barrier_wait -1
	global_inv scope:SCOPE_SE
	s_clause 0x4
	scratch_load_b128 v[2:5], off, off offset:336
	scratch_load_b128 v[6:9], off, off offset:352
	;; [unrolled: 1-line block ×3, first 2 shown]
	scratch_load_b64 v[126:127], off, off offset:384
	scratch_load_b64 v[128:129], off, off offset:328
	v_mov_b32_e32 v1, 0
	ds_load_b128 v[14:17], v1 offset:736
	ds_load_b128 v[18:21], v1 offset:752
	ds_load_b128 v[122:125], v1 offset:768
	ds_load_b64 v[130:131], v1 offset:784
	s_mov_b32 s0, exec_lo
	s_wait_loadcnt_dscnt 0x403
	v_mul_f32_e32 v22, v14, v3
	s_wait_loadcnt_dscnt 0x302
	v_dual_mul_f32 v134, v20, v9 :: v_dual_mul_f32 v3, v15, v3
	v_dual_mul_f32 v132, v16, v5 :: v_dual_mul_f32 v133, v18, v7
	v_mul_f32_e32 v5, v17, v5
	s_wait_loadcnt_dscnt 0x100
	v_dual_mul_f32 v137, v130, v127 :: v_dual_fmac_f32 v22, v15, v2
	v_fma_f32 v3, v14, v2, -v3
	v_mul_f32_e32 v2, v19, v7
	v_fmac_f32_e32 v132, v17, v4
	v_fma_f32 v4, v16, v4, -v5
	v_dual_add_f32 v5, 0, v22 :: v_dual_fmac_f32 v134, v21, v8
	v_add_f32_e32 v3, 0, v3
	v_fma_f32 v2, v18, v6, -v2
	v_fmac_f32_e32 v133, v19, v6
	v_dual_mul_f32 v135, v122, v11 :: v_dual_mul_f32 v136, v124, v13
	s_delay_alu instid0(VALU_DEP_4) | instskip(SKIP_1) | instid1(VALU_DEP_3)
	v_add_f32_e32 v3, v3, v4
	v_mul_f32_e32 v7, v21, v9
	v_dual_add_f32 v4, v5, v132 :: v_dual_fmac_f32 v135, v123, v10
	s_delay_alu instid0(VALU_DEP_4) | instskip(NEXT) | instid1(VALU_DEP_4)
	v_fmac_f32_e32 v136, v125, v12
	v_add_f32_e32 v2, v3, v2
	s_delay_alu instid0(VALU_DEP_4) | instskip(SKIP_3) | instid1(VALU_DEP_4)
	v_fma_f32 v6, v20, v8, -v7
	v_mul_f32_e32 v5, v123, v11
	v_add_f32_e32 v3, v4, v133
	v_mul_f32_e32 v4, v125, v13
	v_add_f32_e32 v2, v2, v6
	s_delay_alu instid0(VALU_DEP_4) | instskip(SKIP_3) | instid1(VALU_DEP_4)
	v_fma_f32 v5, v122, v10, -v5
	v_mul_f32_e32 v6, v131, v127
	v_add_f32_e32 v3, v3, v134
	v_fma_f32 v4, v124, v12, -v4
	v_add_f32_e32 v2, v2, v5
	s_delay_alu instid0(VALU_DEP_4) | instskip(NEXT) | instid1(VALU_DEP_2)
	v_fma_f32 v5, v130, v126, -v6
	v_dual_add_f32 v3, v3, v135 :: v_dual_add_f32 v2, v2, v4
	s_delay_alu instid0(VALU_DEP_1) | instskip(SKIP_1) | instid1(VALU_DEP_1)
	v_dual_fmac_f32 v137, v131, v126 :: v_dual_add_f32 v2, v2, v5
	s_wait_loadcnt 0x0
	v_dual_add_f32 v3, v3, v136 :: v_dual_sub_f32 v2, v128, v2
	s_delay_alu instid0(VALU_DEP_1) | instskip(NEXT) | instid1(VALU_DEP_1)
	v_add_f32_e32 v3, v3, v137
	v_sub_f32_e32 v3, v129, v3
	scratch_store_b64 off, v[2:3], off offset:328
	v_cmpx_lt_u32_e32 40, v0
	s_cbranch_execz .LBB112_227
; %bb.226:
	scratch_load_b64 v[3:4], off, off offset:320
	v_mov_b32_e32 v2, v1
	scratch_store_b64 off, v[1:2], off offset:320
	s_wait_loadcnt 0x0
	ds_store_b64 v23, v[3:4]
.LBB112_227:
	s_wait_alu 0xfffe
	s_or_b32 exec_lo, exec_lo, s0
	s_wait_storecnt_dscnt 0x0
	s_barrier_signal -1
	s_barrier_wait -1
	global_inv scope:SCOPE_SE
	s_clause 0x4
	scratch_load_b128 v[2:5], off, off offset:328
	scratch_load_b128 v[6:9], off, off offset:344
	;; [unrolled: 1-line block ×4, first 2 shown]
	scratch_load_b64 v[134:135], off, off offset:320
	ds_load_2addr_b64 v[18:21], v1 offset0:91 offset1:92
	ds_load_2addr_b64 v[122:125], v1 offset0:93 offset1:94
	;; [unrolled: 1-line block ×4, first 2 shown]
	s_mov_b32 s0, exec_lo
	s_wait_loadcnt_dscnt 0x403
	v_dual_mul_f32 v1, v18, v3 :: v_dual_mul_f32 v22, v20, v5
	v_mul_f32_e32 v3, v19, v3
	s_wait_loadcnt_dscnt 0x302
	v_dual_mul_f32 v5, v21, v5 :: v_dual_mul_f32 v136, v122, v7
	s_delay_alu instid0(VALU_DEP_3) | instskip(NEXT) | instid1(VALU_DEP_3)
	v_dual_mul_f32 v137, v124, v9 :: v_dual_fmac_f32 v22, v21, v4
	v_fma_f32 v3, v18, v2, -v3
	v_fmac_f32_e32 v1, v19, v2
	v_mul_f32_e32 v2, v123, v7
	v_fma_f32 v4, v20, v4, -v5
	s_delay_alu instid0(VALU_DEP_4)
	v_dual_fmac_f32 v136, v123, v6 :: v_dual_add_f32 v3, 0, v3
	s_wait_loadcnt_dscnt 0x201
	v_dual_mul_f32 v138, v126, v11 :: v_dual_mul_f32 v139, v128, v13
	v_fma_f32 v2, v122, v6, -v2
	s_wait_loadcnt_dscnt 0x100
	v_dual_mul_f32 v140, v130, v15 :: v_dual_mul_f32 v141, v132, v17
	v_add_f32_e32 v3, v3, v4
	v_mul_f32_e32 v5, v125, v9
	v_dual_fmac_f32 v137, v125, v8 :: v_dual_fmac_f32 v138, v127, v10
	v_mul_f32_e32 v4, v127, v11
	s_delay_alu instid0(VALU_DEP_4) | instskip(NEXT) | instid1(VALU_DEP_4)
	v_add_f32_e32 v2, v3, v2
	v_fma_f32 v5, v124, v8, -v5
	v_mul_f32_e32 v3, v129, v13
	v_fmac_f32_e32 v141, v133, v16
	v_fma_f32 v4, v126, v10, -v4
	v_fmac_f32_e32 v140, v131, v14
	v_add_f32_e32 v2, v2, v5
	v_add_f32_e32 v1, 0, v1
	v_mul_f32_e32 v5, v131, v15
	v_fma_f32 v3, v128, v12, -v3
	s_delay_alu instid0(VALU_DEP_3) | instskip(SKIP_1) | instid1(VALU_DEP_4)
	v_dual_add_f32 v2, v2, v4 :: v_dual_add_f32 v1, v1, v22
	v_mul_f32_e32 v4, v133, v17
	v_fma_f32 v5, v130, v14, -v5
	s_delay_alu instid0(VALU_DEP_3) | instskip(SKIP_1) | instid1(VALU_DEP_4)
	v_dual_add_f32 v2, v2, v3 :: v_dual_add_f32 v1, v1, v136
	v_fmac_f32_e32 v139, v129, v12
	v_fma_f32 v3, v132, v16, -v4
	s_delay_alu instid0(VALU_DEP_3) | instskip(NEXT) | instid1(VALU_DEP_1)
	v_add_f32_e32 v2, v2, v5
	v_dual_add_f32 v1, v1, v137 :: v_dual_add_f32 v2, v2, v3
	s_delay_alu instid0(VALU_DEP_1) | instskip(NEXT) | instid1(VALU_DEP_1)
	v_add_f32_e32 v1, v1, v138
	v_add_f32_e32 v1, v1, v139
	s_delay_alu instid0(VALU_DEP_1) | instskip(NEXT) | instid1(VALU_DEP_1)
	v_add_f32_e32 v1, v1, v140
	v_add_f32_e32 v3, v1, v141
	s_wait_loadcnt 0x0
	s_delay_alu instid0(VALU_DEP_1)
	v_dual_sub_f32 v1, v134, v2 :: v_dual_sub_f32 v2, v135, v3
	scratch_store_b64 off, v[1:2], off offset:320
	v_cmpx_lt_u32_e32 39, v0
	s_cbranch_execz .LBB112_229
; %bb.228:
	scratch_load_b64 v[1:2], off, off offset:312
	v_mov_b32_e32 v3, 0
	s_delay_alu instid0(VALU_DEP_1)
	v_mov_b32_e32 v4, v3
	scratch_store_b64 off, v[3:4], off offset:312
	s_wait_loadcnt 0x0
	ds_store_b64 v23, v[1:2]
.LBB112_229:
	s_wait_alu 0xfffe
	s_or_b32 exec_lo, exec_lo, s0
	s_wait_storecnt_dscnt 0x0
	s_barrier_signal -1
	s_barrier_wait -1
	global_inv scope:SCOPE_SE
	s_clause 0x5
	scratch_load_b128 v[2:5], off, off offset:320
	scratch_load_b128 v[6:9], off, off offset:336
	scratch_load_b128 v[10:13], off, off offset:352
	scratch_load_b128 v[14:17], off, off offset:368
	scratch_load_b64 v[134:135], off, off offset:384
	scratch_load_b64 v[136:137], off, off offset:312
	v_mov_b32_e32 v1, 0
	ds_load_b128 v[18:21], v1 offset:720
	ds_load_b128 v[122:125], v1 offset:736
	;; [unrolled: 1-line block ×4, first 2 shown]
	ds_load_b64 v[138:139], v1 offset:784
	s_mov_b32 s0, exec_lo
	s_wait_loadcnt_dscnt 0x504
	v_mul_f32_e32 v22, v18, v3
	s_wait_loadcnt_dscnt 0x302
	v_dual_mul_f32 v3, v19, v3 :: v_dual_mul_f32 v144, v128, v13
	v_dual_mul_f32 v140, v20, v5 :: v_dual_mul_f32 v141, v122, v7
	v_mul_f32_e32 v5, v21, v5
	s_delay_alu instid0(VALU_DEP_3) | instskip(SKIP_3) | instid1(VALU_DEP_3)
	v_fma_f32 v3, v18, v2, -v3
	s_wait_loadcnt_dscnt 0x100
	v_dual_mul_f32 v147, v138, v135 :: v_dual_fmac_f32 v22, v19, v2
	v_mul_f32_e32 v2, v123, v7
	v_dual_fmac_f32 v140, v21, v4 :: v_dual_add_f32 v3, 0, v3
	v_fma_f32 v4, v20, v4, -v5
	v_dual_mul_f32 v142, v124, v9 :: v_dual_mul_f32 v143, v126, v11
	v_add_f32_e32 v5, 0, v22
	v_fma_f32 v2, v122, v6, -v2
	s_delay_alu instid0(VALU_DEP_4) | instskip(SKIP_3) | instid1(VALU_DEP_4)
	v_add_f32_e32 v3, v3, v4
	v_mul_f32_e32 v7, v125, v9
	v_dual_fmac_f32 v142, v125, v8 :: v_dual_fmac_f32 v141, v123, v6
	v_add_f32_e32 v4, v5, v140
	v_add_f32_e32 v2, v3, v2
	s_delay_alu instid0(VALU_DEP_4)
	v_fma_f32 v6, v124, v8, -v7
	v_mul_f32_e32 v5, v127, v11
	v_dual_fmac_f32 v143, v127, v10 :: v_dual_fmac_f32 v144, v129, v12
	v_add_f32_e32 v3, v4, v141
	v_mul_f32_e32 v4, v129, v13
	v_add_f32_e32 v2, v2, v6
	v_fma_f32 v5, v126, v10, -v5
	v_mul_f32_e32 v6, v131, v15
	v_add_f32_e32 v3, v3, v142
	v_fma_f32 v4, v128, v12, -v4
	v_dual_mul_f32 v145, v130, v15 :: v_dual_mul_f32 v146, v132, v17
	s_delay_alu instid0(VALU_DEP_3) | instskip(SKIP_2) | instid1(VALU_DEP_4)
	v_dual_add_f32 v2, v2, v5 :: v_dual_add_f32 v3, v3, v143
	v_mul_f32_e32 v5, v133, v17
	v_fma_f32 v6, v130, v14, -v6
	v_dual_fmac_f32 v145, v131, v14 :: v_dual_fmac_f32 v146, v133, v16
	s_delay_alu instid0(VALU_DEP_4) | instskip(SKIP_3) | instid1(VALU_DEP_4)
	v_add_f32_e32 v2, v2, v4
	v_add_f32_e32 v3, v3, v144
	v_mul_f32_e32 v4, v139, v135
	v_fma_f32 v5, v132, v16, -v5
	v_add_f32_e32 v2, v2, v6
	v_fmac_f32_e32 v147, v139, v134
	s_delay_alu instid0(VALU_DEP_4) | instskip(NEXT) | instid1(VALU_DEP_3)
	v_fma_f32 v4, v138, v134, -v4
	v_add_f32_e32 v2, v2, v5
	s_delay_alu instid0(VALU_DEP_1) | instskip(NEXT) | instid1(VALU_DEP_1)
	v_dual_add_f32 v3, v3, v145 :: v_dual_add_f32 v2, v2, v4
	v_add_f32_e32 v3, v3, v146
	s_wait_loadcnt 0x0
	s_delay_alu instid0(VALU_DEP_1) | instskip(NEXT) | instid1(VALU_DEP_1)
	v_dual_sub_f32 v2, v136, v2 :: v_dual_add_f32 v3, v3, v147
	v_sub_f32_e32 v3, v137, v3
	scratch_store_b64 off, v[2:3], off offset:312
	v_cmpx_lt_u32_e32 38, v0
	s_cbranch_execz .LBB112_231
; %bb.230:
	scratch_load_b64 v[3:4], off, off offset:304
	v_mov_b32_e32 v2, v1
	scratch_store_b64 off, v[1:2], off offset:304
	s_wait_loadcnt 0x0
	ds_store_b64 v23, v[3:4]
.LBB112_231:
	s_wait_alu 0xfffe
	s_or_b32 exec_lo, exec_lo, s0
	s_wait_storecnt_dscnt 0x0
	s_barrier_signal -1
	s_barrier_wait -1
	global_inv scope:SCOPE_SE
	s_clause 0x5
	scratch_load_b128 v[2:5], off, off offset:312
	scratch_load_b128 v[6:9], off, off offset:328
	;; [unrolled: 1-line block ×5, first 2 shown]
	scratch_load_b64 v[142:143], off, off offset:304
	ds_load_2addr_b64 v[122:125], v1 offset0:89 offset1:90
	ds_load_2addr_b64 v[126:129], v1 offset0:91 offset1:92
	ds_load_2addr_b64 v[130:133], v1 offset0:93 offset1:94
	ds_load_2addr_b64 v[134:137], v1 offset0:95 offset1:96
	ds_load_2addr_b64 v[138:141], v1 offset0:97 offset1:98
	s_mov_b32 s0, exec_lo
	s_wait_loadcnt_dscnt 0x504
	v_dual_mul_f32 v1, v122, v3 :: v_dual_mul_f32 v22, v124, v5
	v_mul_f32_e32 v3, v123, v3
	s_wait_loadcnt_dscnt 0x403
	v_dual_mul_f32 v5, v125, v5 :: v_dual_mul_f32 v144, v126, v7
	s_delay_alu instid0(VALU_DEP_3) | instskip(NEXT) | instid1(VALU_DEP_3)
	v_dual_mul_f32 v145, v128, v9 :: v_dual_fmac_f32 v22, v125, v4
	v_fma_f32 v3, v122, v2, -v3
	v_fmac_f32_e32 v1, v123, v2
	v_mul_f32_e32 v2, v127, v7
	v_fma_f32 v4, v124, v4, -v5
	s_delay_alu instid0(VALU_DEP_4)
	v_dual_fmac_f32 v144, v127, v6 :: v_dual_add_f32 v3, 0, v3
	s_wait_loadcnt_dscnt 0x100
	v_dual_mul_f32 v150, v138, v19 :: v_dual_mul_f32 v151, v140, v21
	v_fma_f32 v2, v126, v6, -v2
	v_dual_mul_f32 v146, v130, v11 :: v_dual_mul_f32 v147, v132, v13
	v_add_f32_e32 v3, v3, v4
	v_dual_mul_f32 v5, v129, v9 :: v_dual_mul_f32 v148, v134, v15
	v_dual_mul_f32 v149, v136, v17 :: v_dual_mul_f32 v4, v131, v11
	s_delay_alu instid0(VALU_DEP_3) | instskip(NEXT) | instid1(VALU_DEP_3)
	v_add_f32_e32 v2, v3, v2
	v_fma_f32 v5, v128, v8, -v5
	v_dual_mul_f32 v3, v133, v13 :: v_dual_fmac_f32 v150, v139, v18
	s_delay_alu instid0(VALU_DEP_4) | instskip(SKIP_1) | instid1(VALU_DEP_4)
	v_fma_f32 v4, v130, v10, -v4
	v_dual_fmac_f32 v145, v129, v8 :: v_dual_fmac_f32 v146, v131, v10
	v_add_f32_e32 v2, v2, v5
	v_add_f32_e32 v1, 0, v1
	v_fma_f32 v3, v132, v12, -v3
	v_dual_fmac_f32 v148, v135, v14 :: v_dual_fmac_f32 v149, v137, v16
	s_delay_alu instid0(VALU_DEP_3) | instskip(SKIP_1) | instid1(VALU_DEP_2)
	v_dual_add_f32 v2, v2, v4 :: v_dual_add_f32 v1, v1, v22
	v_mul_f32_e32 v4, v137, v17
	v_dual_fmac_f32 v151, v141, v20 :: v_dual_add_f32 v2, v2, v3
	s_delay_alu instid0(VALU_DEP_3) | instskip(NEXT) | instid1(VALU_DEP_3)
	v_add_f32_e32 v1, v1, v144
	v_fma_f32 v4, v136, v16, -v4
	v_mul_f32_e32 v5, v135, v15
	v_mul_f32_e32 v3, v139, v19
	s_delay_alu instid0(VALU_DEP_4) | instskip(NEXT) | instid1(VALU_DEP_3)
	v_add_f32_e32 v1, v1, v145
	v_fma_f32 v5, v134, v14, -v5
	v_fmac_f32_e32 v147, v133, v12
	s_delay_alu instid0(VALU_DEP_4) | instskip(NEXT) | instid1(VALU_DEP_3)
	v_fma_f32 v3, v138, v18, -v3
	v_add_f32_e32 v2, v2, v5
	s_delay_alu instid0(VALU_DEP_1) | instskip(SKIP_1) | instid1(VALU_DEP_2)
	v_dual_mul_f32 v5, v141, v21 :: v_dual_add_f32 v2, v2, v4
	v_add_f32_e32 v1, v1, v146
	v_fma_f32 v4, v140, v20, -v5
	s_delay_alu instid0(VALU_DEP_3) | instskip(NEXT) | instid1(VALU_DEP_1)
	v_add_f32_e32 v2, v2, v3
	v_dual_add_f32 v1, v1, v147 :: v_dual_add_f32 v2, v2, v4
	s_delay_alu instid0(VALU_DEP_1) | instskip(NEXT) | instid1(VALU_DEP_1)
	v_add_f32_e32 v1, v1, v148
	v_add_f32_e32 v1, v1, v149
	s_delay_alu instid0(VALU_DEP_1) | instskip(NEXT) | instid1(VALU_DEP_1)
	v_add_f32_e32 v1, v1, v150
	v_add_f32_e32 v3, v1, v151
	s_wait_loadcnt 0x0
	s_delay_alu instid0(VALU_DEP_1)
	v_dual_sub_f32 v1, v142, v2 :: v_dual_sub_f32 v2, v143, v3
	scratch_store_b64 off, v[1:2], off offset:304
	v_cmpx_lt_u32_e32 37, v0
	s_cbranch_execz .LBB112_233
; %bb.232:
	scratch_load_b64 v[1:2], off, off offset:296
	v_mov_b32_e32 v3, 0
	s_delay_alu instid0(VALU_DEP_1)
	v_mov_b32_e32 v4, v3
	scratch_store_b64 off, v[3:4], off offset:296
	s_wait_loadcnt 0x0
	ds_store_b64 v23, v[1:2]
.LBB112_233:
	s_wait_alu 0xfffe
	s_or_b32 exec_lo, exec_lo, s0
	s_wait_storecnt_dscnt 0x0
	s_barrier_signal -1
	s_barrier_wait -1
	global_inv scope:SCOPE_SE
	s_clause 0x6
	scratch_load_b128 v[2:5], off, off offset:304
	scratch_load_b128 v[6:9], off, off offset:320
	;; [unrolled: 1-line block ×5, first 2 shown]
	scratch_load_b64 v[142:143], off, off offset:384
	scratch_load_b64 v[144:145], off, off offset:296
	v_mov_b32_e32 v1, 0
	ds_load_b128 v[122:125], v1 offset:704
	ds_load_b128 v[126:129], v1 offset:720
	;; [unrolled: 1-line block ×5, first 2 shown]
	ds_load_b64 v[146:147], v1 offset:784
	s_mov_b32 s0, exec_lo
	s_wait_loadcnt_dscnt 0x605
	v_mul_f32_e32 v22, v122, v3
	v_dual_mul_f32 v3, v123, v3 :: v_dual_mul_f32 v148, v124, v5
	s_wait_loadcnt_dscnt 0x302
	v_dual_mul_f32 v149, v126, v7 :: v_dual_mul_f32 v154, v136, v17
	v_mul_f32_e32 v5, v125, v5
	s_delay_alu instid0(VALU_DEP_3) | instskip(SKIP_3) | instid1(VALU_DEP_3)
	v_fma_f32 v3, v122, v2, -v3
	s_wait_loadcnt_dscnt 0x100
	v_dual_mul_f32 v157, v146, v143 :: v_dual_fmac_f32 v22, v123, v2
	v_mul_f32_e32 v2, v127, v7
	v_dual_fmac_f32 v148, v125, v4 :: v_dual_add_f32 v3, 0, v3
	v_fma_f32 v4, v124, v4, -v5
	v_dual_mul_f32 v150, v128, v9 :: v_dual_mul_f32 v151, v130, v11
	v_add_f32_e32 v5, 0, v22
	v_fma_f32 v2, v126, v6, -v2
	s_delay_alu instid0(VALU_DEP_4) | instskip(SKIP_3) | instid1(VALU_DEP_4)
	v_add_f32_e32 v3, v3, v4
	v_mul_f32_e32 v7, v129, v9
	v_dual_fmac_f32 v150, v129, v8 :: v_dual_fmac_f32 v149, v127, v6
	v_add_f32_e32 v4, v5, v148
	v_add_f32_e32 v2, v3, v2
	s_delay_alu instid0(VALU_DEP_4)
	v_fma_f32 v6, v128, v8, -v7
	v_dual_mul_f32 v5, v131, v11 :: v_dual_mul_f32 v152, v132, v13
	v_mul_f32_e32 v153, v134, v15
	v_add_f32_e32 v3, v4, v149
	v_mul_f32_e32 v4, v133, v13
	v_add_f32_e32 v2, v2, v6
	v_fma_f32 v5, v130, v10, -v5
	v_dual_fmac_f32 v151, v131, v10 :: v_dual_fmac_f32 v152, v133, v12
	v_mul_f32_e32 v6, v135, v15
	s_delay_alu instid0(VALU_DEP_3) | instskip(SKIP_2) | instid1(VALU_DEP_4)
	v_dual_add_f32 v3, v3, v150 :: v_dual_add_f32 v2, v2, v5
	v_fma_f32 v4, v132, v12, -v4
	v_mul_f32_e32 v5, v137, v17
	v_fma_f32 v6, v134, v14, -v6
	s_delay_alu instid0(VALU_DEP_4) | instskip(SKIP_3) | instid1(VALU_DEP_4)
	v_add_f32_e32 v3, v3, v151
	v_dual_mul_f32 v155, v138, v19 :: v_dual_mul_f32 v156, v140, v21
	v_dual_add_f32 v2, v2, v4 :: v_dual_fmac_f32 v153, v135, v14
	v_fmac_f32_e32 v154, v137, v16
	v_add_f32_e32 v3, v3, v152
	v_mul_f32_e32 v4, v139, v19
	v_fma_f32 v5, v136, v16, -v5
	v_add_f32_e32 v2, v2, v6
	v_dual_mul_f32 v6, v141, v21 :: v_dual_fmac_f32 v155, v139, v18
	v_dual_add_f32 v3, v3, v153 :: v_dual_fmac_f32 v156, v141, v20
	v_fma_f32 v4, v138, v18, -v4
	s_delay_alu instid0(VALU_DEP_4) | instskip(NEXT) | instid1(VALU_DEP_4)
	v_add_f32_e32 v2, v2, v5
	v_fma_f32 v6, v140, v20, -v6
	s_delay_alu instid0(VALU_DEP_4) | instskip(NEXT) | instid1(VALU_DEP_3)
	v_add_f32_e32 v3, v3, v154
	v_dual_mul_f32 v5, v147, v143 :: v_dual_add_f32 v2, v2, v4
	s_delay_alu instid0(VALU_DEP_2) | instskip(NEXT) | instid1(VALU_DEP_2)
	v_add_f32_e32 v3, v3, v155
	v_fma_f32 v4, v146, v142, -v5
	s_delay_alu instid0(VALU_DEP_3) | instskip(NEXT) | instid1(VALU_DEP_1)
	v_add_f32_e32 v2, v2, v6
	v_dual_fmac_f32 v157, v147, v142 :: v_dual_add_f32 v2, v2, v4
	s_wait_loadcnt 0x0
	s_delay_alu instid0(VALU_DEP_1) | instskip(NEXT) | instid1(VALU_DEP_1)
	v_dual_add_f32 v3, v3, v156 :: v_dual_sub_f32 v2, v144, v2
	v_add_f32_e32 v3, v3, v157
	s_delay_alu instid0(VALU_DEP_1)
	v_sub_f32_e32 v3, v145, v3
	scratch_store_b64 off, v[2:3], off offset:296
	v_cmpx_lt_u32_e32 36, v0
	s_cbranch_execz .LBB112_235
; %bb.234:
	scratch_load_b64 v[3:4], off, off offset:288
	v_mov_b32_e32 v2, v1
	scratch_store_b64 off, v[1:2], off offset:288
	s_wait_loadcnt 0x0
	ds_store_b64 v23, v[3:4]
.LBB112_235:
	s_wait_alu 0xfffe
	s_or_b32 exec_lo, exec_lo, s0
	s_wait_storecnt_dscnt 0x0
	s_barrier_signal -1
	s_barrier_wait -1
	global_inv scope:SCOPE_SE
	s_clause 0x6
	scratch_load_b128 v[2:5], off, off offset:296
	scratch_load_b128 v[6:9], off, off offset:312
	;; [unrolled: 1-line block ×6, first 2 shown]
	scratch_load_b64 v[150:151], off, off offset:288
	ds_load_2addr_b64 v[126:129], v1 offset0:87 offset1:88
	ds_load_2addr_b64 v[130:133], v1 offset0:89 offset1:90
	;; [unrolled: 1-line block ×6, first 2 shown]
	s_mov_b32 s0, exec_lo
	s_wait_loadcnt_dscnt 0x605
	v_dual_mul_f32 v1, v126, v3 :: v_dual_mul_f32 v22, v128, v5
	v_mul_f32_e32 v3, v127, v3
	s_wait_loadcnt_dscnt 0x504
	v_dual_mul_f32 v5, v129, v5 :: v_dual_mul_f32 v152, v130, v7
	s_delay_alu instid0(VALU_DEP_3) | instskip(NEXT) | instid1(VALU_DEP_3)
	v_dual_mul_f32 v153, v132, v9 :: v_dual_fmac_f32 v22, v129, v4
	v_fma_f32 v3, v126, v2, -v3
	v_fmac_f32_e32 v1, v127, v2
	v_mul_f32_e32 v2, v131, v7
	v_fma_f32 v4, v128, v4, -v5
	s_delay_alu instid0(VALU_DEP_4)
	v_dual_fmac_f32 v152, v131, v6 :: v_dual_add_f32 v3, 0, v3
	s_wait_loadcnt_dscnt 0x201
	v_dual_mul_f32 v158, v142, v19 :: v_dual_mul_f32 v159, v144, v21
	v_fma_f32 v2, v130, v6, -v2
	v_dual_mul_f32 v154, v134, v11 :: v_dual_mul_f32 v155, v136, v13
	v_add_f32_e32 v3, v3, v4
	v_dual_mul_f32 v5, v133, v9 :: v_dual_mul_f32 v156, v138, v15
	v_dual_mul_f32 v157, v140, v17 :: v_dual_mul_f32 v4, v135, v11
	s_delay_alu instid0(VALU_DEP_3) | instskip(NEXT) | instid1(VALU_DEP_3)
	v_add_f32_e32 v2, v3, v2
	v_fma_f32 v5, v132, v8, -v5
	v_dual_mul_f32 v3, v137, v13 :: v_dual_fmac_f32 v158, v143, v18
	s_delay_alu instid0(VALU_DEP_4) | instskip(SKIP_1) | instid1(VALU_DEP_4)
	v_fma_f32 v4, v134, v10, -v4
	v_dual_fmac_f32 v153, v133, v8 :: v_dual_fmac_f32 v154, v135, v10
	v_add_f32_e32 v2, v2, v5
	v_add_f32_e32 v1, 0, v1
	v_fma_f32 v3, v136, v12, -v3
	v_fmac_f32_e32 v156, v139, v14
	s_wait_loadcnt_dscnt 0x100
	v_dual_mul_f32 v160, v146, v123 :: v_dual_mul_f32 v161, v148, v125
	v_dual_add_f32 v1, v1, v22 :: v_dual_add_f32 v2, v2, v4
	v_mul_f32_e32 v4, v141, v17
	v_fmac_f32_e32 v159, v145, v20
	s_delay_alu instid0(VALU_DEP_4) | instskip(NEXT) | instid1(VALU_DEP_4)
	v_fmac_f32_e32 v161, v149, v124
	v_dual_add_f32 v1, v1, v152 :: v_dual_add_f32 v2, v2, v3
	s_delay_alu instid0(VALU_DEP_4) | instskip(SKIP_1) | instid1(VALU_DEP_3)
	v_fma_f32 v4, v140, v16, -v4
	v_mul_f32_e32 v5, v139, v15
	v_dual_fmac_f32 v160, v147, v122 :: v_dual_add_f32 v1, v1, v153
	s_delay_alu instid0(VALU_DEP_2) | instskip(SKIP_1) | instid1(VALU_DEP_2)
	v_fma_f32 v5, v138, v14, -v5
	v_fmac_f32_e32 v155, v137, v12
	v_dual_add_f32 v1, v1, v154 :: v_dual_add_f32 v2, v2, v5
	s_delay_alu instid0(VALU_DEP_1) | instskip(SKIP_1) | instid1(VALU_DEP_3)
	v_add_f32_e32 v2, v2, v4
	v_mul_f32_e32 v4, v147, v123
	v_add_f32_e32 v1, v1, v155
	s_delay_alu instid0(VALU_DEP_2) | instskip(SKIP_1) | instid1(VALU_DEP_1)
	v_fma_f32 v4, v146, v122, -v4
	v_mul_f32_e32 v5, v145, v21
	v_fma_f32 v5, v144, v20, -v5
	v_mul_f32_e32 v3, v143, v19
	s_delay_alu instid0(VALU_DEP_1) | instskip(NEXT) | instid1(VALU_DEP_1)
	v_fma_f32 v3, v142, v18, -v3
	v_dual_fmac_f32 v157, v141, v16 :: v_dual_add_f32 v2, v2, v3
	v_mul_f32_e32 v3, v149, v125
	s_delay_alu instid0(VALU_DEP_2) | instskip(NEXT) | instid1(VALU_DEP_2)
	v_add_f32_e32 v2, v2, v5
	v_fma_f32 v3, v148, v124, -v3
	s_delay_alu instid0(VALU_DEP_2) | instskip(NEXT) | instid1(VALU_DEP_1)
	v_add_f32_e32 v2, v2, v4
	v_dual_add_f32 v1, v1, v156 :: v_dual_add_f32 v2, v2, v3
	s_delay_alu instid0(VALU_DEP_1) | instskip(NEXT) | instid1(VALU_DEP_1)
	v_add_f32_e32 v1, v1, v157
	v_add_f32_e32 v1, v1, v158
	s_delay_alu instid0(VALU_DEP_1) | instskip(NEXT) | instid1(VALU_DEP_1)
	v_add_f32_e32 v1, v1, v159
	v_add_f32_e32 v1, v1, v160
	s_delay_alu instid0(VALU_DEP_1) | instskip(SKIP_1) | instid1(VALU_DEP_1)
	v_add_f32_e32 v3, v1, v161
	s_wait_loadcnt 0x0
	v_dual_sub_f32 v1, v150, v2 :: v_dual_sub_f32 v2, v151, v3
	scratch_store_b64 off, v[1:2], off offset:288
	v_cmpx_lt_u32_e32 35, v0
	s_cbranch_execz .LBB112_237
; %bb.236:
	scratch_load_b64 v[1:2], off, off offset:280
	v_mov_b32_e32 v3, 0
	s_delay_alu instid0(VALU_DEP_1)
	v_mov_b32_e32 v4, v3
	scratch_store_b64 off, v[3:4], off offset:280
	s_wait_loadcnt 0x0
	ds_store_b64 v23, v[1:2]
.LBB112_237:
	s_wait_alu 0xfffe
	s_or_b32 exec_lo, exec_lo, s0
	s_wait_storecnt_dscnt 0x0
	s_barrier_signal -1
	s_barrier_wait -1
	global_inv scope:SCOPE_SE
	s_clause 0x7
	scratch_load_b128 v[2:5], off, off offset:288
	scratch_load_b128 v[6:9], off, off offset:304
	;; [unrolled: 1-line block ×6, first 2 shown]
	scratch_load_b64 v[150:151], off, off offset:384
	scratch_load_b64 v[152:153], off, off offset:280
	v_mov_b32_e32 v1, 0
	ds_load_b128 v[126:129], v1 offset:688
	ds_load_b128 v[130:133], v1 offset:704
	;; [unrolled: 1-line block ×6, first 2 shown]
	ds_load_b64 v[154:155], v1 offset:784
	s_mov_b32 s0, exec_lo
	s_wait_loadcnt_dscnt 0x706
	v_mul_f32_e32 v22, v126, v3
	v_dual_mul_f32 v3, v127, v3 :: v_dual_mul_f32 v156, v128, v5
	s_wait_loadcnt_dscnt 0x302
	v_dual_mul_f32 v157, v130, v7 :: v_dual_mul_f32 v164, v144, v21
	v_mul_f32_e32 v5, v129, v5
	s_wait_loadcnt_dscnt 0x100
	v_dual_mul_f32 v167, v154, v151 :: v_dual_fmac_f32 v22, v127, v2
	v_fma_f32 v3, v126, v2, -v3
	v_dual_mul_f32 v158, v132, v9 :: v_dual_mul_f32 v159, v134, v11
	v_mul_f32_e32 v2, v131, v7
	s_delay_alu instid0(VALU_DEP_3) | instskip(SKIP_1) | instid1(VALU_DEP_4)
	v_dual_fmac_f32 v156, v129, v4 :: v_dual_add_f32 v3, 0, v3
	v_fma_f32 v4, v128, v4, -v5
	v_dual_add_f32 v5, 0, v22 :: v_dual_fmac_f32 v158, v133, v8
	v_fmac_f32_e32 v157, v131, v6
	v_fma_f32 v2, v130, v6, -v2
	s_delay_alu instid0(VALU_DEP_4) | instskip(SKIP_3) | instid1(VALU_DEP_4)
	v_add_f32_e32 v3, v3, v4
	v_mul_f32_e32 v7, v133, v9
	v_add_f32_e32 v4, v5, v156
	v_dual_mul_f32 v160, v136, v13 :: v_dual_mul_f32 v161, v138, v15
	v_add_f32_e32 v2, v3, v2
	s_delay_alu instid0(VALU_DEP_4)
	v_fma_f32 v6, v132, v8, -v7
	v_mul_f32_e32 v5, v135, v11
	v_add_f32_e32 v3, v4, v157
	v_dual_mul_f32 v4, v137, v13 :: v_dual_fmac_f32 v159, v135, v10
	v_fmac_f32_e32 v160, v137, v12
	v_add_f32_e32 v2, v2, v6
	v_fma_f32 v5, v134, v10, -v5
	v_mul_f32_e32 v6, v139, v15
	v_add_f32_e32 v3, v3, v158
	v_fma_f32 v4, v136, v12, -v4
	v_dual_mul_f32 v162, v140, v17 :: v_dual_mul_f32 v163, v142, v19
	s_delay_alu instid0(VALU_DEP_3) | instskip(SKIP_1) | instid1(VALU_DEP_3)
	v_dual_add_f32 v2, v2, v5 :: v_dual_add_f32 v3, v3, v159
	v_mul_f32_e32 v5, v141, v17
	v_dual_fmac_f32 v161, v139, v14 :: v_dual_fmac_f32 v162, v141, v16
	v_fma_f32 v6, v138, v14, -v6
	s_delay_alu instid0(VALU_DEP_4) | instskip(SKIP_4) | instid1(VALU_DEP_4)
	v_add_f32_e32 v2, v2, v4
	v_add_f32_e32 v3, v3, v160
	v_mul_f32_e32 v4, v143, v19
	v_fma_f32 v5, v140, v16, -v5
	v_fmac_f32_e32 v163, v143, v18
	v_dual_add_f32 v2, v2, v6 :: v_dual_add_f32 v3, v3, v161
	v_fmac_f32_e32 v164, v145, v20
	v_mul_f32_e32 v6, v145, v21
	v_fma_f32 v4, v142, v18, -v4
	s_delay_alu instid0(VALU_DEP_4) | instskip(SKIP_1) | instid1(VALU_DEP_2)
	v_dual_add_f32 v2, v2, v5 :: v_dual_add_f32 v3, v3, v162
	v_dual_mul_f32 v165, v146, v123 :: v_dual_mul_f32 v166, v148, v125
	v_dual_mul_f32 v5, v147, v123 :: v_dual_add_f32 v2, v2, v4
	v_fma_f32 v6, v144, v20, -v6
	s_delay_alu instid0(VALU_DEP_4) | instskip(NEXT) | instid1(VALU_DEP_4)
	v_dual_add_f32 v3, v3, v163 :: v_dual_mul_f32 v4, v149, v125
	v_dual_fmac_f32 v165, v147, v122 :: v_dual_fmac_f32 v166, v149, v124
	s_delay_alu instid0(VALU_DEP_4) | instskip(NEXT) | instid1(VALU_DEP_3)
	v_fma_f32 v5, v146, v122, -v5
	v_dual_add_f32 v2, v2, v6 :: v_dual_add_f32 v3, v3, v164
	v_mul_f32_e32 v6, v155, v151
	v_fma_f32 v4, v148, v124, -v4
	s_delay_alu instid0(VALU_DEP_3) | instskip(NEXT) | instid1(VALU_DEP_4)
	v_dual_fmac_f32 v167, v155, v150 :: v_dual_add_f32 v2, v2, v5
	v_add_f32_e32 v3, v3, v165
	s_delay_alu instid0(VALU_DEP_4) | instskip(NEXT) | instid1(VALU_DEP_2)
	v_fma_f32 v5, v154, v150, -v6
	v_dual_add_f32 v2, v2, v4 :: v_dual_add_f32 v3, v3, v166
	s_delay_alu instid0(VALU_DEP_1) | instskip(SKIP_1) | instid1(VALU_DEP_1)
	v_dual_add_f32 v2, v2, v5 :: v_dual_add_f32 v3, v3, v167
	s_wait_loadcnt 0x0
	v_dual_sub_f32 v2, v152, v2 :: v_dual_sub_f32 v3, v153, v3
	scratch_store_b64 off, v[2:3], off offset:280
	v_cmpx_lt_u32_e32 34, v0
	s_cbranch_execz .LBB112_239
; %bb.238:
	scratch_load_b64 v[3:4], off, off offset:272
	v_mov_b32_e32 v2, v1
	scratch_store_b64 off, v[1:2], off offset:272
	s_wait_loadcnt 0x0
	ds_store_b64 v23, v[3:4]
.LBB112_239:
	s_wait_alu 0xfffe
	s_or_b32 exec_lo, exec_lo, s0
	s_wait_storecnt_dscnt 0x0
	s_barrier_signal -1
	s_barrier_wait -1
	global_inv scope:SCOPE_SE
	s_clause 0x7
	scratch_load_b128 v[2:5], off, off offset:280
	scratch_load_b128 v[6:9], off, off offset:296
	;; [unrolled: 1-line block ×7, first 2 shown]
	scratch_load_b64 v[158:159], off, off offset:272
	ds_load_2addr_b64 v[130:133], v1 offset0:85 offset1:86
	ds_load_2addr_b64 v[134:137], v1 offset0:87 offset1:88
	;; [unrolled: 1-line block ×7, first 2 shown]
	s_mov_b32 s0, exec_lo
	s_wait_loadcnt_dscnt 0x706
	v_dual_mul_f32 v1, v130, v3 :: v_dual_mul_f32 v22, v132, v5
	v_mul_f32_e32 v3, v131, v3
	s_wait_loadcnt_dscnt 0x605
	v_dual_mul_f32 v5, v133, v5 :: v_dual_mul_f32 v160, v134, v7
	s_delay_alu instid0(VALU_DEP_3) | instskip(NEXT) | instid1(VALU_DEP_3)
	v_dual_mul_f32 v161, v136, v9 :: v_dual_fmac_f32 v22, v133, v4
	v_fma_f32 v3, v130, v2, -v3
	v_fmac_f32_e32 v1, v131, v2
	v_mul_f32_e32 v2, v135, v7
	v_fma_f32 v4, v132, v4, -v5
	s_delay_alu instid0(VALU_DEP_4)
	v_dual_fmac_f32 v160, v135, v6 :: v_dual_add_f32 v3, 0, v3
	s_wait_loadcnt_dscnt 0x302
	v_dual_mul_f32 v166, v146, v19 :: v_dual_mul_f32 v167, v148, v21
	v_fma_f32 v2, v134, v6, -v2
	v_dual_mul_f32 v162, v138, v11 :: v_dual_mul_f32 v163, v140, v13
	v_add_f32_e32 v3, v3, v4
	v_dual_mul_f32 v5, v137, v9 :: v_dual_mul_f32 v164, v142, v15
	v_dual_mul_f32 v165, v144, v17 :: v_dual_mul_f32 v4, v139, v11
	s_delay_alu instid0(VALU_DEP_3) | instskip(NEXT) | instid1(VALU_DEP_3)
	v_add_f32_e32 v2, v3, v2
	v_fma_f32 v5, v136, v8, -v5
	v_dual_mul_f32 v3, v141, v13 :: v_dual_fmac_f32 v166, v147, v18
	s_delay_alu instid0(VALU_DEP_4) | instskip(SKIP_1) | instid1(VALU_DEP_4)
	v_fma_f32 v4, v138, v10, -v4
	v_dual_fmac_f32 v161, v137, v8 :: v_dual_fmac_f32 v162, v139, v10
	v_add_f32_e32 v2, v2, v5
	v_add_f32_e32 v1, 0, v1
	v_fma_f32 v3, v140, v12, -v3
	v_fmac_f32_e32 v164, v143, v14
	s_wait_loadcnt_dscnt 0x201
	v_dual_mul_f32 v168, v150, v123 :: v_dual_mul_f32 v169, v152, v125
	v_dual_add_f32 v1, v1, v22 :: v_dual_add_f32 v2, v2, v4
	v_mul_f32_e32 v4, v145, v17
	s_wait_loadcnt_dscnt 0x100
	v_dual_mul_f32 v170, v154, v127 :: v_dual_mul_f32 v171, v156, v129
	s_delay_alu instid0(VALU_DEP_3) | instskip(NEXT) | instid1(VALU_DEP_3)
	v_dual_add_f32 v1, v1, v160 :: v_dual_add_f32 v2, v2, v3
	v_fma_f32 v4, v144, v16, -v4
	v_mul_f32_e32 v5, v143, v15
	v_fmac_f32_e32 v169, v153, v124
	s_delay_alu instid0(VALU_DEP_4) | instskip(SKIP_1) | instid1(VALU_DEP_4)
	v_add_f32_e32 v1, v1, v161
	v_dual_fmac_f32 v171, v157, v128 :: v_dual_fmac_f32 v168, v151, v122
	v_fma_f32 v5, v142, v14, -v5
	v_fmac_f32_e32 v163, v141, v12
	s_delay_alu instid0(VALU_DEP_4) | instskip(SKIP_1) | instid1(VALU_DEP_4)
	v_add_f32_e32 v1, v1, v162
	v_fmac_f32_e32 v170, v155, v126
	v_add_f32_e32 v2, v2, v5
	s_delay_alu instid0(VALU_DEP_1) | instskip(SKIP_2) | instid1(VALU_DEP_2)
	v_add_f32_e32 v2, v2, v4
	v_mul_f32_e32 v4, v151, v123
	v_add_f32_e32 v1, v1, v163
	v_fma_f32 v4, v150, v122, -v4
	v_mul_f32_e32 v5, v149, v21
	s_delay_alu instid0(VALU_DEP_3) | instskip(NEXT) | instid1(VALU_DEP_2)
	v_add_f32_e32 v1, v1, v164
	v_fma_f32 v5, v148, v20, -v5
	v_mul_f32_e32 v3, v147, v19
	s_delay_alu instid0(VALU_DEP_1) | instskip(NEXT) | instid1(VALU_DEP_1)
	v_fma_f32 v3, v146, v18, -v3
	v_dual_fmac_f32 v165, v145, v16 :: v_dual_add_f32 v2, v2, v3
	v_mul_f32_e32 v3, v153, v125
	s_delay_alu instid0(VALU_DEP_2) | instskip(NEXT) | instid1(VALU_DEP_2)
	v_dual_add_f32 v2, v2, v5 :: v_dual_mul_f32 v5, v155, v127
	v_fma_f32 v3, v152, v124, -v3
	s_delay_alu instid0(VALU_DEP_2) | instskip(SKIP_1) | instid1(VALU_DEP_4)
	v_dual_add_f32 v2, v2, v4 :: v_dual_add_f32 v1, v1, v165
	v_mul_f32_e32 v4, v157, v129
	v_fma_f32 v5, v154, v126, -v5
	s_delay_alu instid0(VALU_DEP_3) | instskip(NEXT) | instid1(VALU_DEP_3)
	v_dual_add_f32 v2, v2, v3 :: v_dual_fmac_f32 v167, v149, v20
	v_fma_f32 v3, v156, v128, -v4
	s_delay_alu instid0(VALU_DEP_2) | instskip(NEXT) | instid1(VALU_DEP_1)
	v_dual_add_f32 v2, v2, v5 :: v_dual_add_f32 v1, v1, v166
	v_add_f32_e32 v2, v2, v3
	s_delay_alu instid0(VALU_DEP_2) | instskip(NEXT) | instid1(VALU_DEP_1)
	v_add_f32_e32 v1, v1, v167
	v_add_f32_e32 v1, v1, v168
	s_delay_alu instid0(VALU_DEP_1) | instskip(NEXT) | instid1(VALU_DEP_1)
	v_add_f32_e32 v1, v1, v169
	v_add_f32_e32 v1, v1, v170
	s_delay_alu instid0(VALU_DEP_1) | instskip(SKIP_1) | instid1(VALU_DEP_1)
	v_add_f32_e32 v3, v1, v171
	s_wait_loadcnt 0x0
	v_dual_sub_f32 v1, v158, v2 :: v_dual_sub_f32 v2, v159, v3
	scratch_store_b64 off, v[1:2], off offset:272
	v_cmpx_lt_u32_e32 33, v0
	s_cbranch_execz .LBB112_241
; %bb.240:
	scratch_load_b64 v[1:2], off, off offset:264
	v_mov_b32_e32 v3, 0
	s_delay_alu instid0(VALU_DEP_1)
	v_mov_b32_e32 v4, v3
	scratch_store_b64 off, v[3:4], off offset:264
	s_wait_loadcnt 0x0
	ds_store_b64 v23, v[1:2]
.LBB112_241:
	s_wait_alu 0xfffe
	s_or_b32 exec_lo, exec_lo, s0
	s_wait_storecnt_dscnt 0x0
	s_barrier_signal -1
	s_barrier_wait -1
	global_inv scope:SCOPE_SE
	s_clause 0x8
	scratch_load_b128 v[2:5], off, off offset:272
	scratch_load_b128 v[6:9], off, off offset:288
	;; [unrolled: 1-line block ×7, first 2 shown]
	scratch_load_b64 v[158:159], off, off offset:384
	scratch_load_b64 v[160:161], off, off offset:264
	v_mov_b32_e32 v1, 0
	ds_load_b128 v[130:133], v1 offset:672
	ds_load_b128 v[134:137], v1 offset:688
	ds_load_b128 v[138:141], v1 offset:704
	ds_load_b128 v[142:145], v1 offset:720
	ds_load_b128 v[146:149], v1 offset:736
	ds_load_b128 v[150:153], v1 offset:752
	ds_load_b128 v[154:157], v1 offset:768
	ds_load_b64 v[162:163], v1 offset:784
	s_mov_b32 s0, exec_lo
	s_wait_loadcnt_dscnt 0x807
	v_mul_f32_e32 v22, v130, v3
	v_dual_mul_f32 v3, v131, v3 :: v_dual_mul_f32 v164, v132, v5
	s_wait_loadcnt_dscnt 0x706
	v_mul_f32_e32 v165, v134, v7
	v_mul_f32_e32 v5, v133, v5
	s_wait_loadcnt_dscnt 0x302
	v_mul_f32_e32 v174, v152, v125
	v_fma_f32 v3, v130, v2, -v3
	s_wait_loadcnt_dscnt 0x100
	v_dual_mul_f32 v177, v162, v159 :: v_dual_fmac_f32 v22, v131, v2
	v_mul_f32_e32 v2, v135, v7
	s_delay_alu instid0(VALU_DEP_3) | instskip(SKIP_4) | instid1(VALU_DEP_4)
	v_dual_fmac_f32 v164, v133, v4 :: v_dual_add_f32 v3, 0, v3
	v_fma_f32 v4, v132, v4, -v5
	v_dual_mul_f32 v166, v136, v9 :: v_dual_mul_f32 v167, v138, v11
	v_add_f32_e32 v5, 0, v22
	v_fma_f32 v2, v134, v6, -v2
	v_add_f32_e32 v3, v3, v4
	v_mul_f32_e32 v7, v137, v9
	v_dual_fmac_f32 v166, v137, v8 :: v_dual_fmac_f32 v165, v135, v6
	v_add_f32_e32 v4, v5, v164
	s_delay_alu instid0(VALU_DEP_4) | instskip(NEXT) | instid1(VALU_DEP_4)
	v_add_f32_e32 v2, v3, v2
	v_fma_f32 v6, v136, v8, -v7
	v_dual_mul_f32 v5, v139, v11 :: v_dual_mul_f32 v168, v140, v13
	v_mul_f32_e32 v169, v142, v15
	v_add_f32_e32 v3, v4, v165
	v_mul_f32_e32 v4, v141, v13
	v_add_f32_e32 v2, v2, v6
	v_fma_f32 v5, v138, v10, -v5
	v_dual_fmac_f32 v167, v139, v10 :: v_dual_fmac_f32 v168, v141, v12
	v_mul_f32_e32 v6, v143, v15
	s_delay_alu instid0(VALU_DEP_3) | instskip(SKIP_2) | instid1(VALU_DEP_4)
	v_dual_add_f32 v3, v3, v166 :: v_dual_add_f32 v2, v2, v5
	v_fma_f32 v4, v140, v12, -v4
	v_mul_f32_e32 v5, v145, v17
	v_fma_f32 v6, v142, v14, -v6
	s_delay_alu instid0(VALU_DEP_4) | instskip(SKIP_3) | instid1(VALU_DEP_4)
	v_dual_add_f32 v3, v3, v167 :: v_dual_mul_f32 v170, v144, v17
	v_mul_f32_e32 v171, v146, v19
	v_add_f32_e32 v2, v2, v4
	v_dual_mul_f32 v172, v148, v21 :: v_dual_mul_f32 v173, v150, v123
	v_dual_fmac_f32 v169, v143, v14 :: v_dual_fmac_f32 v170, v145, v16
	s_delay_alu instid0(VALU_DEP_3) | instskip(SKIP_3) | instid1(VALU_DEP_4)
	v_dual_add_f32 v3, v3, v168 :: v_dual_add_f32 v2, v2, v6
	v_mul_f32_e32 v4, v147, v19
	v_fma_f32 v5, v144, v16, -v5
	v_dual_mul_f32 v6, v149, v21 :: v_dual_fmac_f32 v171, v147, v18
	v_dual_add_f32 v3, v3, v169 :: v_dual_fmac_f32 v172, v149, v20
	s_delay_alu instid0(VALU_DEP_4) | instskip(NEXT) | instid1(VALU_DEP_4)
	v_fma_f32 v4, v146, v18, -v4
	v_add_f32_e32 v2, v2, v5
	s_delay_alu instid0(VALU_DEP_4) | instskip(NEXT) | instid1(VALU_DEP_4)
	v_fma_f32 v6, v148, v20, -v6
	v_add_f32_e32 v3, v3, v170
	v_mul_f32_e32 v5, v151, v123
	v_dual_mul_f32 v175, v154, v127 :: v_dual_mul_f32 v176, v156, v129
	s_delay_alu instid0(VALU_DEP_3) | instskip(SKIP_1) | instid1(VALU_DEP_4)
	v_dual_add_f32 v2, v2, v4 :: v_dual_add_f32 v3, v3, v171
	v_mul_f32_e32 v4, v153, v125
	v_fma_f32 v5, v150, v122, -v5
	v_dual_fmac_f32 v173, v151, v122 :: v_dual_fmac_f32 v174, v153, v124
	s_delay_alu instid0(VALU_DEP_4) | instskip(SKIP_2) | instid1(VALU_DEP_3)
	v_dual_add_f32 v2, v2, v6 :: v_dual_add_f32 v3, v3, v172
	v_mul_f32_e32 v6, v155, v127
	v_fma_f32 v4, v152, v124, -v4
	v_dual_fmac_f32 v175, v155, v126 :: v_dual_add_f32 v2, v2, v5
	s_delay_alu instid0(VALU_DEP_4) | instskip(SKIP_3) | instid1(VALU_DEP_4)
	v_add_f32_e32 v3, v3, v173
	v_mul_f32_e32 v5, v157, v129
	v_fma_f32 v6, v154, v126, -v6
	v_fmac_f32_e32 v176, v157, v128
	v_dual_add_f32 v2, v2, v4 :: v_dual_add_f32 v3, v3, v174
	v_mul_f32_e32 v4, v163, v159
	v_fma_f32 v5, v156, v128, -v5
	s_delay_alu instid0(VALU_DEP_3) | instskip(SKIP_1) | instid1(VALU_DEP_4)
	v_dual_add_f32 v2, v2, v6 :: v_dual_add_f32 v3, v3, v175
	v_fmac_f32_e32 v177, v163, v158
	v_fma_f32 v4, v162, v158, -v4
	s_delay_alu instid0(VALU_DEP_3) | instskip(NEXT) | instid1(VALU_DEP_1)
	v_add_f32_e32 v2, v2, v5
	v_add_f32_e32 v2, v2, v4
	s_wait_loadcnt 0x0
	s_delay_alu instid0(VALU_DEP_1) | instskip(NEXT) | instid1(VALU_DEP_1)
	v_dual_add_f32 v3, v3, v176 :: v_dual_sub_f32 v2, v160, v2
	v_add_f32_e32 v3, v3, v177
	s_delay_alu instid0(VALU_DEP_1)
	v_sub_f32_e32 v3, v161, v3
	scratch_store_b64 off, v[2:3], off offset:264
	v_cmpx_lt_u32_e32 32, v0
	s_cbranch_execz .LBB112_243
; %bb.242:
	scratch_load_b64 v[3:4], off, off offset:256
	v_mov_b32_e32 v2, v1
	scratch_store_b64 off, v[1:2], off offset:256
	s_wait_loadcnt 0x0
	ds_store_b64 v23, v[3:4]
.LBB112_243:
	s_wait_alu 0xfffe
	s_or_b32 exec_lo, exec_lo, s0
	s_wait_storecnt_dscnt 0x0
	s_barrier_signal -1
	s_barrier_wait -1
	global_inv scope:SCOPE_SE
	s_clause 0x8
	scratch_load_b128 v[2:5], off, off offset:264
	scratch_load_b128 v[6:9], off, off offset:280
	;; [unrolled: 1-line block ×8, first 2 shown]
	scratch_load_b64 v[166:167], off, off offset:256
	ds_load_2addr_b64 v[134:137], v1 offset0:83 offset1:84
	ds_load_2addr_b64 v[138:141], v1 offset0:85 offset1:86
	;; [unrolled: 1-line block ×8, first 2 shown]
	s_mov_b32 s0, exec_lo
	s_wait_loadcnt_dscnt 0x807
	v_dual_mul_f32 v1, v134, v3 :: v_dual_mul_f32 v22, v136, v5
	v_mul_f32_e32 v3, v135, v3
	s_wait_loadcnt_dscnt 0x706
	v_dual_mul_f32 v5, v137, v5 :: v_dual_mul_f32 v168, v138, v7
	s_delay_alu instid0(VALU_DEP_3) | instskip(NEXT) | instid1(VALU_DEP_3)
	v_dual_mul_f32 v169, v140, v9 :: v_dual_fmac_f32 v22, v137, v4
	v_fma_f32 v3, v134, v2, -v3
	v_fmac_f32_e32 v1, v135, v2
	v_mul_f32_e32 v2, v139, v7
	v_fma_f32 v4, v136, v4, -v5
	s_delay_alu instid0(VALU_DEP_4)
	v_dual_fmac_f32 v168, v139, v6 :: v_dual_add_f32 v3, 0, v3
	s_wait_loadcnt_dscnt 0x403
	v_dual_mul_f32 v174, v150, v19 :: v_dual_mul_f32 v175, v152, v21
	v_fma_f32 v2, v138, v6, -v2
	v_dual_mul_f32 v170, v142, v11 :: v_dual_mul_f32 v171, v144, v13
	v_add_f32_e32 v3, v3, v4
	v_dual_mul_f32 v5, v141, v9 :: v_dual_mul_f32 v172, v146, v15
	v_dual_mul_f32 v173, v148, v17 :: v_dual_mul_f32 v4, v143, v11
	s_delay_alu instid0(VALU_DEP_3) | instskip(NEXT) | instid1(VALU_DEP_3)
	v_add_f32_e32 v2, v3, v2
	v_fma_f32 v5, v140, v8, -v5
	v_dual_mul_f32 v3, v145, v13 :: v_dual_fmac_f32 v174, v151, v18
	s_delay_alu instid0(VALU_DEP_4) | instskip(SKIP_1) | instid1(VALU_DEP_4)
	v_fma_f32 v4, v142, v10, -v4
	v_dual_fmac_f32 v169, v141, v8 :: v_dual_fmac_f32 v170, v143, v10
	v_add_f32_e32 v2, v2, v5
	v_add_f32_e32 v1, 0, v1
	v_fma_f32 v3, v144, v12, -v3
	v_fmac_f32_e32 v172, v147, v14
	s_wait_loadcnt_dscnt 0x302
	v_dual_mul_f32 v176, v154, v123 :: v_dual_mul_f32 v177, v156, v125
	v_dual_add_f32 v1, v1, v22 :: v_dual_add_f32 v2, v2, v4
	v_mul_f32_e32 v4, v149, v17
	s_wait_loadcnt_dscnt 0x100
	v_dual_mul_f32 v180, v162, v131 :: v_dual_mul_f32 v181, v164, v133
	s_delay_alu instid0(VALU_DEP_3) | instskip(NEXT) | instid1(VALU_DEP_3)
	v_dual_add_f32 v1, v1, v168 :: v_dual_add_f32 v2, v2, v3
	v_fma_f32 v4, v148, v16, -v4
	v_mul_f32_e32 v5, v147, v15
	v_dual_mul_f32 v178, v158, v127 :: v_dual_mul_f32 v179, v160, v129
	s_delay_alu instid0(VALU_DEP_4) | instskip(SKIP_1) | instid1(VALU_DEP_4)
	v_add_f32_e32 v1, v1, v169
	v_fmac_f32_e32 v181, v165, v132
	v_fma_f32 v5, v146, v14, -v5
	v_dual_fmac_f32 v171, v145, v12 :: v_dual_fmac_f32 v176, v155, v122
	s_delay_alu instid0(VALU_DEP_4) | instskip(NEXT) | instid1(VALU_DEP_3)
	v_add_f32_e32 v1, v1, v170
	v_dual_fmac_f32 v179, v161, v128 :: v_dual_add_f32 v2, v2, v5
	v_fmac_f32_e32 v178, v159, v126
	v_fmac_f32_e32 v180, v163, v130
	s_delay_alu instid0(VALU_DEP_3) | instskip(SKIP_2) | instid1(VALU_DEP_2)
	v_add_f32_e32 v2, v2, v4
	v_mul_f32_e32 v4, v155, v123
	v_add_f32_e32 v1, v1, v171
	v_fma_f32 v4, v154, v122, -v4
	v_mul_f32_e32 v5, v153, v21
	s_delay_alu instid0(VALU_DEP_3) | instskip(NEXT) | instid1(VALU_DEP_2)
	v_add_f32_e32 v1, v1, v172
	v_fma_f32 v5, v152, v20, -v5
	v_mul_f32_e32 v3, v151, v19
	s_delay_alu instid0(VALU_DEP_1) | instskip(NEXT) | instid1(VALU_DEP_1)
	v_fma_f32 v3, v150, v18, -v3
	v_dual_fmac_f32 v173, v149, v16 :: v_dual_add_f32 v2, v2, v3
	v_mul_f32_e32 v3, v157, v125
	s_delay_alu instid0(VALU_DEP_2) | instskip(NEXT) | instid1(VALU_DEP_2)
	v_dual_add_f32 v2, v2, v5 :: v_dual_mul_f32 v5, v159, v127
	v_fma_f32 v3, v156, v124, -v3
	s_delay_alu instid0(VALU_DEP_2) | instskip(SKIP_1) | instid1(VALU_DEP_4)
	v_dual_add_f32 v2, v2, v4 :: v_dual_add_f32 v1, v1, v173
	v_mul_f32_e32 v4, v161, v129
	v_fma_f32 v5, v158, v126, -v5
	s_delay_alu instid0(VALU_DEP_3) | instskip(SKIP_1) | instid1(VALU_DEP_4)
	v_dual_add_f32 v2, v2, v3 :: v_dual_fmac_f32 v175, v153, v20
	v_mul_f32_e32 v3, v163, v131
	v_fma_f32 v4, v160, v128, -v4
	s_delay_alu instid0(VALU_DEP_3) | instskip(SKIP_1) | instid1(VALU_DEP_4)
	v_dual_add_f32 v2, v2, v5 :: v_dual_add_f32 v1, v1, v174
	v_mul_f32_e32 v5, v165, v133
	v_fma_f32 v3, v162, v130, -v3
	s_delay_alu instid0(VALU_DEP_3) | instskip(SKIP_1) | instid1(VALU_DEP_4)
	v_add_f32_e32 v2, v2, v4
	v_fmac_f32_e32 v177, v157, v124
	v_fma_f32 v4, v164, v132, -v5
	s_delay_alu instid0(VALU_DEP_3) | instskip(NEXT) | instid1(VALU_DEP_1)
	v_add_f32_e32 v2, v2, v3
	v_dual_add_f32 v1, v1, v175 :: v_dual_add_f32 v2, v2, v4
	s_delay_alu instid0(VALU_DEP_1) | instskip(NEXT) | instid1(VALU_DEP_1)
	v_add_f32_e32 v1, v1, v176
	v_add_f32_e32 v1, v1, v177
	s_delay_alu instid0(VALU_DEP_1) | instskip(NEXT) | instid1(VALU_DEP_1)
	v_add_f32_e32 v1, v1, v178
	v_add_f32_e32 v1, v1, v179
	;; [unrolled: 3-line block ×3, first 2 shown]
	s_wait_loadcnt 0x0
	s_delay_alu instid0(VALU_DEP_1)
	v_dual_sub_f32 v1, v166, v2 :: v_dual_sub_f32 v2, v167, v3
	scratch_store_b64 off, v[1:2], off offset:256
	v_cmpx_lt_u32_e32 31, v0
	s_cbranch_execz .LBB112_245
; %bb.244:
	scratch_load_b64 v[1:2], off, off offset:248
	v_mov_b32_e32 v3, 0
	s_delay_alu instid0(VALU_DEP_1)
	v_mov_b32_e32 v4, v3
	scratch_store_b64 off, v[3:4], off offset:248
	s_wait_loadcnt 0x0
	ds_store_b64 v23, v[1:2]
.LBB112_245:
	s_wait_alu 0xfffe
	s_or_b32 exec_lo, exec_lo, s0
	s_wait_storecnt_dscnt 0x0
	s_barrier_signal -1
	s_barrier_wait -1
	global_inv scope:SCOPE_SE
	s_clause 0x9
	scratch_load_b128 v[2:5], off, off offset:256
	scratch_load_b128 v[6:9], off, off offset:272
	;; [unrolled: 1-line block ×8, first 2 shown]
	scratch_load_b64 v[166:167], off, off offset:384
	scratch_load_b64 v[168:169], off, off offset:248
	v_mov_b32_e32 v1, 0
	ds_load_b128 v[134:137], v1 offset:656
	ds_load_b128 v[138:141], v1 offset:672
	;; [unrolled: 1-line block ×8, first 2 shown]
	ds_load_b64 v[170:171], v1 offset:784
	s_mov_b32 s0, exec_lo
	s_wait_loadcnt_dscnt 0x908
	v_mul_f32_e32 v22, v134, v3
	s_wait_loadcnt_dscnt 0x807
	v_dual_mul_f32 v172, v136, v5 :: v_dual_mul_f32 v173, v138, v7
	v_mul_f32_e32 v3, v135, v3
	s_delay_alu instid0(VALU_DEP_3)
	v_dual_mul_f32 v5, v137, v5 :: v_dual_fmac_f32 v22, v135, v2
	s_wait_loadcnt_dscnt 0x302
	v_mul_f32_e32 v184, v160, v129
	v_dual_mul_f32 v174, v140, v9 :: v_dual_mul_f32 v175, v142, v11
	s_wait_loadcnt_dscnt 0x100
	v_mul_f32_e32 v187, v170, v167
	v_fma_f32 v3, v134, v2, -v3
	v_mul_f32_e32 v2, v139, v7
	v_fmac_f32_e32 v172, v137, v4
	v_fma_f32 v4, v136, v4, -v5
	v_dual_add_f32 v5, 0, v22 :: v_dual_fmac_f32 v174, v141, v8
	v_add_f32_e32 v3, 0, v3
	v_fmac_f32_e32 v173, v139, v6
	v_fma_f32 v2, v138, v6, -v2
	v_dual_mul_f32 v176, v144, v13 :: v_dual_mul_f32 v177, v146, v15
	s_delay_alu instid0(VALU_DEP_4) | instskip(SKIP_2) | instid1(VALU_DEP_4)
	v_add_f32_e32 v3, v3, v4
	v_mul_f32_e32 v7, v141, v9
	v_dual_add_f32 v4, v5, v172 :: v_dual_fmac_f32 v175, v143, v10
	v_fmac_f32_e32 v176, v145, v12
	s_delay_alu instid0(VALU_DEP_4) | instskip(NEXT) | instid1(VALU_DEP_4)
	v_add_f32_e32 v2, v3, v2
	v_fma_f32 v6, v140, v8, -v7
	v_mul_f32_e32 v5, v143, v11
	v_add_f32_e32 v3, v4, v173
	v_mul_f32_e32 v4, v145, v13
	v_dual_mul_f32 v178, v148, v17 :: v_dual_mul_f32 v179, v150, v19
	v_add_f32_e32 v2, v2, v6
	v_fma_f32 v5, v142, v10, -v5
	v_mul_f32_e32 v6, v147, v15
	v_add_f32_e32 v3, v3, v174
	v_fma_f32 v4, v144, v12, -v4
	v_dual_fmac_f32 v177, v147, v14 :: v_dual_fmac_f32 v178, v149, v16
	s_delay_alu instid0(VALU_DEP_3) | instskip(SKIP_3) | instid1(VALU_DEP_4)
	v_dual_add_f32 v2, v2, v5 :: v_dual_add_f32 v3, v3, v175
	v_mul_f32_e32 v5, v149, v17
	v_fma_f32 v6, v146, v14, -v6
	v_dual_mul_f32 v180, v152, v21 :: v_dual_mul_f32 v181, v154, v123
	v_add_f32_e32 v2, v2, v4
	v_add_f32_e32 v3, v3, v176
	v_mul_f32_e32 v4, v151, v19
	v_fma_f32 v5, v148, v16, -v5
	v_fmac_f32_e32 v179, v151, v18
	s_delay_alu instid0(VALU_DEP_4) | instskip(SKIP_3) | instid1(VALU_DEP_4)
	v_dual_add_f32 v2, v2, v6 :: v_dual_add_f32 v3, v3, v177
	v_fmac_f32_e32 v180, v153, v20
	v_mul_f32_e32 v6, v153, v21
	v_fma_f32 v4, v150, v18, -v4
	v_dual_add_f32 v2, v2, v5 :: v_dual_add_f32 v3, v3, v178
	v_mul_f32_e32 v5, v155, v123
	s_delay_alu instid0(VALU_DEP_4) | instskip(SKIP_1) | instid1(VALU_DEP_4)
	v_fma_f32 v6, v152, v20, -v6
	v_dual_mul_f32 v182, v156, v125 :: v_dual_mul_f32 v183, v158, v127
	v_dual_add_f32 v2, v2, v4 :: v_dual_add_f32 v3, v3, v179
	v_dual_mul_f32 v4, v157, v125 :: v_dual_fmac_f32 v181, v155, v122
	s_delay_alu instid0(VALU_DEP_3) | instskip(SKIP_1) | instid1(VALU_DEP_4)
	v_fmac_f32_e32 v182, v157, v124
	v_fma_f32 v5, v154, v122, -v5
	v_dual_add_f32 v2, v2, v6 :: v_dual_add_f32 v3, v3, v180
	v_mul_f32_e32 v6, v159, v127
	v_fma_f32 v4, v156, v124, -v4
	s_delay_alu instid0(VALU_DEP_3) | instskip(NEXT) | instid1(VALU_DEP_4)
	v_dual_fmac_f32 v183, v159, v126 :: v_dual_add_f32 v2, v2, v5
	v_add_f32_e32 v3, v3, v181
	v_mul_f32_e32 v5, v161, v129
	v_fma_f32 v6, v158, v126, -v6
	v_dual_mul_f32 v185, v162, v131 :: v_dual_mul_f32 v186, v164, v133
	s_delay_alu instid0(VALU_DEP_4) | instskip(SKIP_3) | instid1(VALU_DEP_4)
	v_dual_add_f32 v2, v2, v4 :: v_dual_add_f32 v3, v3, v182
	v_fmac_f32_e32 v184, v161, v128
	v_mul_f32_e32 v4, v163, v131
	v_fma_f32 v5, v160, v128, -v5
	v_dual_add_f32 v2, v2, v6 :: v_dual_add_f32 v3, v3, v183
	v_dual_mul_f32 v6, v165, v133 :: v_dual_fmac_f32 v185, v163, v130
	s_delay_alu instid0(VALU_DEP_4) | instskip(NEXT) | instid1(VALU_DEP_3)
	v_fma_f32 v4, v162, v130, -v4
	v_dual_add_f32 v2, v2, v5 :: v_dual_add_f32 v3, v3, v184
	v_dual_mul_f32 v5, v171, v167 :: v_dual_fmac_f32 v186, v165, v132
	s_delay_alu instid0(VALU_DEP_4) | instskip(NEXT) | instid1(VALU_DEP_3)
	v_fma_f32 v6, v164, v132, -v6
	v_dual_add_f32 v2, v2, v4 :: v_dual_add_f32 v3, v3, v185
	s_delay_alu instid0(VALU_DEP_3) | instskip(NEXT) | instid1(VALU_DEP_2)
	v_fma_f32 v4, v170, v166, -v5
	v_add_f32_e32 v3, v3, v186
	s_delay_alu instid0(VALU_DEP_3) | instskip(NEXT) | instid1(VALU_DEP_1)
	v_add_f32_e32 v2, v2, v6
	v_dual_fmac_f32 v187, v171, v166 :: v_dual_add_f32 v2, v2, v4
	s_wait_loadcnt 0x0
	s_delay_alu instid0(VALU_DEP_1) | instskip(NEXT) | instid1(VALU_DEP_1)
	v_dual_add_f32 v3, v3, v187 :: v_dual_sub_f32 v2, v168, v2
	v_sub_f32_e32 v3, v169, v3
	scratch_store_b64 off, v[2:3], off offset:248
	v_cmpx_lt_u32_e32 30, v0
	s_cbranch_execz .LBB112_247
; %bb.246:
	scratch_load_b64 v[3:4], off, off offset:240
	v_mov_b32_e32 v2, v1
	scratch_store_b64 off, v[1:2], off offset:240
	s_wait_loadcnt 0x0
	ds_store_b64 v23, v[3:4]
.LBB112_247:
	s_wait_alu 0xfffe
	s_or_b32 exec_lo, exec_lo, s0
	s_wait_storecnt_dscnt 0x0
	s_barrier_signal -1
	s_barrier_wait -1
	global_inv scope:SCOPE_SE
	s_clause 0x9
	scratch_load_b128 v[2:5], off, off offset:248
	scratch_load_b128 v[6:9], off, off offset:264
	;; [unrolled: 1-line block ×9, first 2 shown]
	scratch_load_b64 v[174:175], off, off offset:240
	ds_load_2addr_b64 v[138:141], v1 offset0:81 offset1:82
	ds_load_2addr_b64 v[142:145], v1 offset0:83 offset1:84
	;; [unrolled: 1-line block ×9, first 2 shown]
	s_mov_b32 s0, exec_lo
	s_wait_loadcnt_dscnt 0x908
	v_dual_mul_f32 v1, v138, v3 :: v_dual_mul_f32 v22, v140, v5
	v_mul_f32_e32 v3, v139, v3
	s_wait_loadcnt_dscnt 0x807
	v_dual_mul_f32 v5, v141, v5 :: v_dual_mul_f32 v176, v142, v7
	s_delay_alu instid0(VALU_DEP_3) | instskip(NEXT) | instid1(VALU_DEP_3)
	v_dual_mul_f32 v177, v144, v9 :: v_dual_fmac_f32 v22, v141, v4
	v_fma_f32 v3, v138, v2, -v3
	v_fmac_f32_e32 v1, v139, v2
	v_mul_f32_e32 v2, v143, v7
	v_fma_f32 v4, v140, v4, -v5
	s_delay_alu instid0(VALU_DEP_4)
	v_dual_fmac_f32 v176, v143, v6 :: v_dual_add_f32 v3, 0, v3
	s_wait_loadcnt_dscnt 0x504
	v_dual_mul_f32 v182, v154, v19 :: v_dual_mul_f32 v183, v156, v21
	v_fma_f32 v2, v142, v6, -v2
	v_dual_mul_f32 v178, v146, v11 :: v_dual_mul_f32 v179, v148, v13
	v_add_f32_e32 v3, v3, v4
	v_dual_mul_f32 v5, v145, v9 :: v_dual_mul_f32 v180, v150, v15
	v_dual_mul_f32 v181, v152, v17 :: v_dual_mul_f32 v4, v147, v11
	s_delay_alu instid0(VALU_DEP_3) | instskip(NEXT) | instid1(VALU_DEP_3)
	v_add_f32_e32 v2, v3, v2
	v_fma_f32 v5, v144, v8, -v5
	v_dual_mul_f32 v3, v149, v13 :: v_dual_fmac_f32 v182, v155, v18
	s_delay_alu instid0(VALU_DEP_4) | instskip(SKIP_1) | instid1(VALU_DEP_4)
	v_fma_f32 v4, v146, v10, -v4
	v_dual_fmac_f32 v177, v145, v8 :: v_dual_fmac_f32 v178, v147, v10
	v_add_f32_e32 v2, v2, v5
	v_add_f32_e32 v1, 0, v1
	v_fma_f32 v3, v148, v12, -v3
	v_fmac_f32_e32 v180, v151, v14
	s_wait_loadcnt_dscnt 0x403
	v_dual_mul_f32 v184, v158, v123 :: v_dual_mul_f32 v185, v160, v125
	v_dual_add_f32 v1, v1, v22 :: v_dual_add_f32 v2, v2, v4
	v_mul_f32_e32 v4, v153, v17
	s_wait_loadcnt_dscnt 0x201
	v_dual_mul_f32 v188, v166, v131 :: v_dual_mul_f32 v189, v168, v133
	s_delay_alu instid0(VALU_DEP_3) | instskip(NEXT) | instid1(VALU_DEP_3)
	v_dual_add_f32 v1, v1, v176 :: v_dual_add_f32 v2, v2, v3
	v_fma_f32 v4, v152, v16, -v4
	v_mul_f32_e32 v5, v151, v15
	v_dual_mul_f32 v186, v162, v127 :: v_dual_mul_f32 v187, v164, v129
	s_wait_loadcnt_dscnt 0x100
	v_dual_add_f32 v1, v1, v177 :: v_dual_mul_f32 v190, v170, v135
	v_mul_f32_e32 v191, v172, v137
	v_fma_f32 v5, v150, v14, -v5
	v_fmac_f32_e32 v179, v149, v12
	s_delay_alu instid0(VALU_DEP_4) | instskip(SKIP_1) | instid1(VALU_DEP_4)
	v_add_f32_e32 v1, v1, v178
	v_dual_fmac_f32 v184, v159, v122 :: v_dual_fmac_f32 v185, v161, v124
	v_add_f32_e32 v2, v2, v5
	v_dual_fmac_f32 v186, v163, v126 :: v_dual_fmac_f32 v189, v169, v132
	v_dual_fmac_f32 v191, v173, v136 :: v_dual_fmac_f32 v188, v167, v130
	s_delay_alu instid0(VALU_DEP_3) | instskip(SKIP_2) | instid1(VALU_DEP_2)
	v_add_f32_e32 v2, v2, v4
	v_mul_f32_e32 v4, v159, v123
	v_dual_add_f32 v1, v1, v179 :: v_dual_fmac_f32 v190, v171, v134
	v_fma_f32 v4, v158, v122, -v4
	v_mul_f32_e32 v5, v157, v21
	s_delay_alu instid0(VALU_DEP_3) | instskip(NEXT) | instid1(VALU_DEP_2)
	v_add_f32_e32 v1, v1, v180
	v_fma_f32 v5, v156, v20, -v5
	v_mul_f32_e32 v3, v155, v19
	s_delay_alu instid0(VALU_DEP_1) | instskip(NEXT) | instid1(VALU_DEP_1)
	v_fma_f32 v3, v154, v18, -v3
	v_dual_fmac_f32 v181, v153, v16 :: v_dual_add_f32 v2, v2, v3
	v_mul_f32_e32 v3, v161, v125
	s_delay_alu instid0(VALU_DEP_2) | instskip(NEXT) | instid1(VALU_DEP_2)
	v_dual_add_f32 v2, v2, v5 :: v_dual_mul_f32 v5, v163, v127
	v_fma_f32 v3, v160, v124, -v3
	s_delay_alu instid0(VALU_DEP_2) | instskip(SKIP_1) | instid1(VALU_DEP_4)
	v_dual_add_f32 v2, v2, v4 :: v_dual_add_f32 v1, v1, v181
	v_mul_f32_e32 v4, v165, v129
	v_fma_f32 v5, v162, v126, -v5
	s_delay_alu instid0(VALU_DEP_3) | instskip(NEXT) | instid1(VALU_DEP_3)
	v_dual_add_f32 v2, v2, v3 :: v_dual_fmac_f32 v183, v157, v20
	v_fma_f32 v4, v164, v128, -v4
	s_delay_alu instid0(VALU_DEP_2) | instskip(SKIP_1) | instid1(VALU_DEP_2)
	v_add_f32_e32 v2, v2, v5
	v_mul_f32_e32 v5, v169, v133
	v_dual_add_f32 v1, v1, v182 :: v_dual_add_f32 v2, v2, v4
	s_delay_alu instid0(VALU_DEP_2) | instskip(SKIP_1) | instid1(VALU_DEP_3)
	v_fma_f32 v5, v168, v132, -v5
	v_mul_f32_e32 v3, v167, v131
	v_add_f32_e32 v1, v1, v183
	v_mul_f32_e32 v4, v171, v135
	s_delay_alu instid0(VALU_DEP_3) | instskip(NEXT) | instid1(VALU_DEP_3)
	v_fma_f32 v3, v166, v130, -v3
	v_add_f32_e32 v1, v1, v184
	s_delay_alu instid0(VALU_DEP_3) | instskip(NEXT) | instid1(VALU_DEP_3)
	v_fma_f32 v4, v170, v134, -v4
	v_dual_add_f32 v2, v2, v3 :: v_dual_mul_f32 v3, v173, v137
	s_delay_alu instid0(VALU_DEP_1) | instskip(NEXT) | instid1(VALU_DEP_4)
	v_add_f32_e32 v2, v2, v5
	v_add_f32_e32 v1, v1, v185
	s_delay_alu instid0(VALU_DEP_3) | instskip(NEXT) | instid1(VALU_DEP_3)
	v_fma_f32 v3, v172, v136, -v3
	v_add_f32_e32 v2, v2, v4
	v_fmac_f32_e32 v187, v165, v128
	s_delay_alu instid0(VALU_DEP_2) | instskip(NEXT) | instid1(VALU_DEP_1)
	v_dual_add_f32 v1, v1, v186 :: v_dual_add_f32 v2, v2, v3
	v_add_f32_e32 v1, v1, v187
	s_delay_alu instid0(VALU_DEP_1) | instskip(NEXT) | instid1(VALU_DEP_1)
	v_add_f32_e32 v1, v1, v188
	v_add_f32_e32 v1, v1, v189
	s_delay_alu instid0(VALU_DEP_1) | instskip(NEXT) | instid1(VALU_DEP_1)
	v_add_f32_e32 v1, v1, v190
	v_add_f32_e32 v3, v1, v191
	s_wait_loadcnt 0x0
	s_delay_alu instid0(VALU_DEP_1)
	v_dual_sub_f32 v1, v174, v2 :: v_dual_sub_f32 v2, v175, v3
	scratch_store_b64 off, v[1:2], off offset:240
	v_cmpx_lt_u32_e32 29, v0
	s_cbranch_execz .LBB112_249
; %bb.248:
	scratch_load_b64 v[1:2], off, off offset:232
	v_mov_b32_e32 v3, 0
	s_delay_alu instid0(VALU_DEP_1)
	v_mov_b32_e32 v4, v3
	scratch_store_b64 off, v[3:4], off offset:232
	s_wait_loadcnt 0x0
	ds_store_b64 v23, v[1:2]
.LBB112_249:
	s_wait_alu 0xfffe
	s_or_b32 exec_lo, exec_lo, s0
	s_wait_storecnt_dscnt 0x0
	s_barrier_signal -1
	s_barrier_wait -1
	global_inv scope:SCOPE_SE
	s_clause 0xa
	scratch_load_b128 v[2:5], off, off offset:240
	scratch_load_b128 v[6:9], off, off offset:256
	;; [unrolled: 1-line block ×9, first 2 shown]
	scratch_load_b64 v[174:175], off, off offset:384
	scratch_load_b64 v[176:177], off, off offset:232
	v_mov_b32_e32 v1, 0
	ds_load_b128 v[138:141], v1 offset:640
	ds_load_b128 v[142:145], v1 offset:656
	;; [unrolled: 1-line block ×9, first 2 shown]
	ds_load_b64 v[178:179], v1 offset:784
	s_mov_b32 s0, exec_lo
	s_wait_loadcnt_dscnt 0xa09
	v_mul_f32_e32 v22, v138, v3
	s_wait_loadcnt_dscnt 0x908
	v_dual_mul_f32 v180, v140, v5 :: v_dual_mul_f32 v181, v142, v7
	v_mul_f32_e32 v3, v139, v3
	s_delay_alu instid0(VALU_DEP_3)
	v_dual_mul_f32 v5, v141, v5 :: v_dual_fmac_f32 v22, v139, v2
	s_wait_loadcnt_dscnt 0x807
	v_dual_mul_f32 v182, v144, v9 :: v_dual_mul_f32 v183, v146, v11
	s_wait_loadcnt_dscnt 0x100
	v_dual_mul_f32 v194, v168, v133 :: v_dual_mul_f32 v197, v178, v175
	v_fma_f32 v3, v138, v2, -v3
	v_mul_f32_e32 v2, v143, v7
	v_fmac_f32_e32 v180, v141, v4
	v_fma_f32 v4, v140, v4, -v5
	v_dual_add_f32 v5, 0, v22 :: v_dual_fmac_f32 v182, v145, v8
	v_add_f32_e32 v3, 0, v3
	v_fmac_f32_e32 v181, v143, v6
	v_fma_f32 v2, v142, v6, -v2
	v_dual_mul_f32 v184, v148, v13 :: v_dual_mul_f32 v185, v150, v15
	s_delay_alu instid0(VALU_DEP_4) | instskip(SKIP_2) | instid1(VALU_DEP_4)
	v_add_f32_e32 v3, v3, v4
	v_mul_f32_e32 v7, v145, v9
	v_dual_add_f32 v4, v5, v180 :: v_dual_fmac_f32 v183, v147, v10
	v_fmac_f32_e32 v184, v149, v12
	s_delay_alu instid0(VALU_DEP_4) | instskip(NEXT) | instid1(VALU_DEP_4)
	v_add_f32_e32 v2, v3, v2
	v_fma_f32 v6, v144, v8, -v7
	v_mul_f32_e32 v5, v147, v11
	v_add_f32_e32 v3, v4, v181
	v_mul_f32_e32 v4, v149, v13
	v_dual_mul_f32 v186, v152, v17 :: v_dual_mul_f32 v187, v154, v19
	v_add_f32_e32 v2, v2, v6
	v_fma_f32 v5, v146, v10, -v5
	v_mul_f32_e32 v6, v151, v15
	v_add_f32_e32 v3, v3, v182
	v_fma_f32 v4, v148, v12, -v4
	v_dual_fmac_f32 v185, v151, v14 :: v_dual_fmac_f32 v186, v153, v16
	s_delay_alu instid0(VALU_DEP_3) | instskip(SKIP_3) | instid1(VALU_DEP_4)
	v_dual_add_f32 v2, v2, v5 :: v_dual_add_f32 v3, v3, v183
	v_mul_f32_e32 v5, v153, v17
	v_fma_f32 v6, v150, v14, -v6
	v_dual_mul_f32 v188, v156, v21 :: v_dual_mul_f32 v189, v158, v123
	v_add_f32_e32 v2, v2, v4
	v_add_f32_e32 v3, v3, v184
	v_mul_f32_e32 v4, v155, v19
	v_fma_f32 v5, v152, v16, -v5
	v_fmac_f32_e32 v187, v155, v18
	s_delay_alu instid0(VALU_DEP_4) | instskip(SKIP_3) | instid1(VALU_DEP_4)
	v_dual_add_f32 v2, v2, v6 :: v_dual_add_f32 v3, v3, v185
	v_fmac_f32_e32 v188, v157, v20
	v_mul_f32_e32 v6, v157, v21
	v_fma_f32 v4, v154, v18, -v4
	v_dual_add_f32 v2, v2, v5 :: v_dual_add_f32 v3, v3, v186
	v_mul_f32_e32 v5, v159, v123
	s_delay_alu instid0(VALU_DEP_4) | instskip(SKIP_1) | instid1(VALU_DEP_4)
	v_fma_f32 v6, v156, v20, -v6
	v_dual_mul_f32 v190, v160, v125 :: v_dual_mul_f32 v191, v162, v127
	v_dual_add_f32 v2, v2, v4 :: v_dual_add_f32 v3, v3, v187
	v_dual_mul_f32 v4, v161, v125 :: v_dual_fmac_f32 v189, v159, v122
	s_delay_alu instid0(VALU_DEP_3) | instskip(SKIP_1) | instid1(VALU_DEP_4)
	v_fmac_f32_e32 v190, v161, v124
	v_fma_f32 v5, v158, v122, -v5
	v_dual_add_f32 v2, v2, v6 :: v_dual_add_f32 v3, v3, v188
	v_mul_f32_e32 v6, v163, v127
	v_fma_f32 v4, v160, v124, -v4
	s_delay_alu instid0(VALU_DEP_3) | instskip(NEXT) | instid1(VALU_DEP_4)
	v_dual_fmac_f32 v191, v163, v126 :: v_dual_add_f32 v2, v2, v5
	v_add_f32_e32 v3, v3, v189
	v_dual_mul_f32 v192, v164, v129 :: v_dual_mul_f32 v193, v166, v131
	v_mul_f32_e32 v5, v165, v129
	v_fma_f32 v6, v162, v126, -v6
	s_delay_alu instid0(VALU_DEP_4) | instskip(NEXT) | instid1(VALU_DEP_4)
	v_dual_add_f32 v2, v2, v4 :: v_dual_add_f32 v3, v3, v190
	v_fmac_f32_e32 v192, v165, v128
	v_mul_f32_e32 v4, v167, v131
	v_fma_f32 v5, v164, v128, -v5
	s_delay_alu instid0(VALU_DEP_4) | instskip(SKIP_1) | instid1(VALU_DEP_4)
	v_dual_add_f32 v2, v2, v6 :: v_dual_add_f32 v3, v3, v191
	v_dual_mul_f32 v6, v169, v133 :: v_dual_fmac_f32 v193, v167, v130
	v_fma_f32 v4, v166, v130, -v4
	s_delay_alu instid0(VALU_DEP_3) | instskip(SKIP_3) | instid1(VALU_DEP_4)
	v_dual_add_f32 v2, v2, v5 :: v_dual_add_f32 v3, v3, v192
	v_dual_mul_f32 v195, v170, v135 :: v_dual_mul_f32 v196, v172, v137
	v_dual_mul_f32 v5, v171, v135 :: v_dual_fmac_f32 v194, v169, v132
	v_fma_f32 v6, v168, v132, -v6
	v_dual_add_f32 v2, v2, v4 :: v_dual_add_f32 v3, v3, v193
	s_delay_alu instid0(VALU_DEP_4) | instskip(NEXT) | instid1(VALU_DEP_4)
	v_dual_mul_f32 v4, v173, v137 :: v_dual_fmac_f32 v195, v171, v134
	v_fma_f32 v5, v170, v134, -v5
	s_delay_alu instid0(VALU_DEP_3) | instskip(NEXT) | instid1(VALU_DEP_4)
	v_dual_fmac_f32 v196, v173, v136 :: v_dual_add_f32 v3, v3, v194
	v_add_f32_e32 v2, v2, v6
	v_mul_f32_e32 v6, v179, v175
	v_fma_f32 v4, v172, v136, -v4
	v_fmac_f32_e32 v197, v179, v174
	s_delay_alu instid0(VALU_DEP_4) | instskip(NEXT) | instid1(VALU_DEP_4)
	v_dual_add_f32 v3, v3, v195 :: v_dual_add_f32 v2, v2, v5
	v_fma_f32 v5, v178, v174, -v6
	s_delay_alu instid0(VALU_DEP_2) | instskip(NEXT) | instid1(VALU_DEP_1)
	v_add_f32_e32 v3, v3, v196
	v_dual_add_f32 v2, v2, v4 :: v_dual_add_f32 v3, v3, v197
	s_wait_loadcnt 0x0
	s_delay_alu instid0(VALU_DEP_1) | instskip(NEXT) | instid1(VALU_DEP_1)
	v_dual_add_f32 v2, v2, v5 :: v_dual_sub_f32 v3, v177, v3
	v_sub_f32_e32 v2, v176, v2
	scratch_store_b64 off, v[2:3], off offset:232
	v_cmpx_lt_u32_e32 28, v0
	s_cbranch_execz .LBB112_251
; %bb.250:
	scratch_load_b64 v[3:4], off, off offset:224
	v_mov_b32_e32 v2, v1
	scratch_store_b64 off, v[1:2], off offset:224
	s_wait_loadcnt 0x0
	ds_store_b64 v23, v[3:4]
.LBB112_251:
	s_wait_alu 0xfffe
	s_or_b32 exec_lo, exec_lo, s0
	s_wait_storecnt_dscnt 0x0
	s_barrier_signal -1
	s_barrier_wait -1
	global_inv scope:SCOPE_SE
	s_clause 0xa
	scratch_load_b128 v[2:5], off, off offset:232
	scratch_load_b128 v[6:9], off, off offset:248
	;; [unrolled: 1-line block ×10, first 2 shown]
	scratch_load_b64 v[182:183], off, off offset:224
	ds_load_2addr_b64 v[142:145], v1 offset0:79 offset1:80
	ds_load_2addr_b64 v[146:149], v1 offset0:81 offset1:82
	;; [unrolled: 1-line block ×10, first 2 shown]
	s_mov_b32 s0, exec_lo
	s_wait_loadcnt_dscnt 0xa09
	v_dual_mul_f32 v1, v142, v3 :: v_dual_mul_f32 v22, v144, v5
	v_mul_f32_e32 v3, v143, v3
	s_wait_loadcnt_dscnt 0x908
	v_dual_mul_f32 v5, v145, v5 :: v_dual_mul_f32 v184, v146, v7
	s_delay_alu instid0(VALU_DEP_3) | instskip(NEXT) | instid1(VALU_DEP_3)
	v_dual_mul_f32 v185, v148, v9 :: v_dual_fmac_f32 v22, v145, v4
	v_fma_f32 v3, v142, v2, -v3
	v_fmac_f32_e32 v1, v143, v2
	v_mul_f32_e32 v2, v147, v7
	v_fma_f32 v4, v144, v4, -v5
	s_delay_alu instid0(VALU_DEP_4)
	v_dual_fmac_f32 v184, v147, v6 :: v_dual_add_f32 v3, 0, v3
	s_wait_loadcnt_dscnt 0x605
	v_dual_mul_f32 v190, v158, v19 :: v_dual_mul_f32 v191, v160, v21
	v_fma_f32 v2, v146, v6, -v2
	v_dual_mul_f32 v186, v150, v11 :: v_dual_mul_f32 v187, v152, v13
	v_add_f32_e32 v3, v3, v4
	v_dual_mul_f32 v5, v149, v9 :: v_dual_mul_f32 v188, v154, v15
	v_dual_mul_f32 v189, v156, v17 :: v_dual_mul_f32 v4, v151, v11
	s_delay_alu instid0(VALU_DEP_3) | instskip(NEXT) | instid1(VALU_DEP_3)
	v_add_f32_e32 v2, v3, v2
	v_fma_f32 v5, v148, v8, -v5
	v_dual_mul_f32 v3, v153, v13 :: v_dual_fmac_f32 v190, v159, v18
	s_delay_alu instid0(VALU_DEP_4) | instskip(SKIP_1) | instid1(VALU_DEP_4)
	v_fma_f32 v4, v150, v10, -v4
	v_dual_fmac_f32 v185, v149, v8 :: v_dual_fmac_f32 v186, v151, v10
	v_add_f32_e32 v2, v2, v5
	v_add_f32_e32 v1, 0, v1
	v_fma_f32 v3, v152, v12, -v3
	v_fmac_f32_e32 v188, v155, v14
	s_wait_loadcnt_dscnt 0x504
	v_dual_mul_f32 v192, v162, v123 :: v_dual_mul_f32 v193, v164, v125
	v_dual_add_f32 v1, v1, v22 :: v_dual_add_f32 v2, v2, v4
	v_mul_f32_e32 v4, v157, v17
	s_wait_loadcnt_dscnt 0x302
	v_dual_mul_f32 v196, v170, v131 :: v_dual_mul_f32 v197, v172, v133
	s_delay_alu instid0(VALU_DEP_3) | instskip(NEXT) | instid1(VALU_DEP_3)
	v_dual_add_f32 v1, v1, v184 :: v_dual_add_f32 v2, v2, v3
	v_fma_f32 v4, v156, v16, -v4
	v_mul_f32_e32 v5, v155, v15
	v_dual_mul_f32 v194, v166, v127 :: v_dual_mul_f32 v195, v168, v129
	s_wait_loadcnt_dscnt 0x201
	v_dual_add_f32 v1, v1, v185 :: v_dual_mul_f32 v198, v174, v135
	v_mul_f32_e32 v199, v176, v137
	v_fma_f32 v5, v154, v14, -v5
	v_fmac_f32_e32 v187, v153, v12
	s_delay_alu instid0(VALU_DEP_4) | instskip(SKIP_1) | instid1(VALU_DEP_4)
	v_add_f32_e32 v1, v1, v186
	v_dual_fmac_f32 v192, v163, v122 :: v_dual_fmac_f32 v193, v165, v124
	v_add_f32_e32 v2, v2, v5
	v_fmac_f32_e32 v194, v167, v126
	s_wait_loadcnt_dscnt 0x100
	v_dual_mul_f32 v200, v178, v139 :: v_dual_mul_f32 v201, v180, v141
	v_fmac_f32_e32 v195, v169, v128
	v_add_f32_e32 v2, v2, v4
	v_mul_f32_e32 v4, v163, v123
	s_delay_alu instid0(VALU_DEP_4) | instskip(SKIP_2) | instid1(VALU_DEP_4)
	v_dual_add_f32 v1, v1, v187 :: v_dual_fmac_f32 v200, v179, v138
	v_fmac_f32_e32 v197, v173, v132
	v_fmac_f32_e32 v199, v177, v136
	v_fma_f32 v4, v162, v122, -v4
	v_mul_f32_e32 v5, v161, v21
	v_add_f32_e32 v1, v1, v188
	v_dual_fmac_f32 v201, v181, v140 :: v_dual_fmac_f32 v196, v171, v130
	v_fmac_f32_e32 v198, v175, v134
	s_delay_alu instid0(VALU_DEP_4) | instskip(SKIP_1) | instid1(VALU_DEP_1)
	v_fma_f32 v5, v160, v20, -v5
	v_mul_f32_e32 v3, v159, v19
	v_fma_f32 v3, v158, v18, -v3
	s_delay_alu instid0(VALU_DEP_1) | instskip(SKIP_1) | instid1(VALU_DEP_2)
	v_dual_fmac_f32 v189, v157, v16 :: v_dual_add_f32 v2, v2, v3
	v_mul_f32_e32 v3, v165, v125
	v_dual_add_f32 v2, v2, v5 :: v_dual_mul_f32 v5, v167, v127
	s_delay_alu instid0(VALU_DEP_2) | instskip(NEXT) | instid1(VALU_DEP_2)
	v_fma_f32 v3, v164, v124, -v3
	v_dual_add_f32 v2, v2, v4 :: v_dual_add_f32 v1, v1, v189
	v_mul_f32_e32 v4, v169, v129
	s_delay_alu instid0(VALU_DEP_4) | instskip(NEXT) | instid1(VALU_DEP_3)
	v_fma_f32 v5, v166, v126, -v5
	v_dual_add_f32 v2, v2, v3 :: v_dual_fmac_f32 v191, v161, v20
	s_delay_alu instid0(VALU_DEP_3) | instskip(NEXT) | instid1(VALU_DEP_2)
	v_fma_f32 v4, v168, v128, -v4
	v_add_f32_e32 v2, v2, v5
	v_mul_f32_e32 v5, v173, v133
	s_delay_alu instid0(VALU_DEP_2) | instskip(NEXT) | instid1(VALU_DEP_2)
	v_dual_add_f32 v1, v1, v190 :: v_dual_add_f32 v2, v2, v4
	v_fma_f32 v5, v172, v132, -v5
	v_mul_f32_e32 v3, v171, v131
	s_delay_alu instid0(VALU_DEP_3) | instskip(SKIP_1) | instid1(VALU_DEP_3)
	v_add_f32_e32 v1, v1, v191
	v_mul_f32_e32 v4, v175, v135
	v_fma_f32 v3, v170, v130, -v3
	s_delay_alu instid0(VALU_DEP_3) | instskip(NEXT) | instid1(VALU_DEP_3)
	v_add_f32_e32 v1, v1, v192
	v_fma_f32 v4, v174, v134, -v4
	s_delay_alu instid0(VALU_DEP_3) | instskip(NEXT) | instid1(VALU_DEP_1)
	v_dual_add_f32 v2, v2, v3 :: v_dual_mul_f32 v3, v177, v137
	v_add_f32_e32 v2, v2, v5
	s_delay_alu instid0(VALU_DEP_4) | instskip(SKIP_1) | instid1(VALU_DEP_4)
	v_add_f32_e32 v1, v1, v193
	v_mul_f32_e32 v5, v179, v139
	v_fma_f32 v3, v176, v136, -v3
	s_delay_alu instid0(VALU_DEP_3) | instskip(SKIP_1) | instid1(VALU_DEP_4)
	v_dual_add_f32 v2, v2, v4 :: v_dual_add_f32 v1, v1, v194
	v_mul_f32_e32 v4, v181, v141
	v_fma_f32 v5, v178, v138, -v5
	s_delay_alu instid0(VALU_DEP_3) | instskip(NEXT) | instid1(VALU_DEP_4)
	v_add_f32_e32 v2, v2, v3
	v_add_f32_e32 v1, v1, v195
	s_delay_alu instid0(VALU_DEP_4) | instskip(NEXT) | instid1(VALU_DEP_2)
	v_fma_f32 v3, v180, v140, -v4
	v_dual_add_f32 v2, v2, v5 :: v_dual_add_f32 v1, v1, v196
	s_delay_alu instid0(VALU_DEP_1) | instskip(NEXT) | instid1(VALU_DEP_1)
	v_dual_add_f32 v2, v2, v3 :: v_dual_add_f32 v1, v1, v197
	v_add_f32_e32 v1, v1, v198
	s_delay_alu instid0(VALU_DEP_1) | instskip(NEXT) | instid1(VALU_DEP_1)
	v_add_f32_e32 v1, v1, v199
	v_add_f32_e32 v1, v1, v200
	s_delay_alu instid0(VALU_DEP_1) | instskip(SKIP_1) | instid1(VALU_DEP_1)
	v_add_f32_e32 v3, v1, v201
	s_wait_loadcnt 0x0
	v_dual_sub_f32 v1, v182, v2 :: v_dual_sub_f32 v2, v183, v3
	scratch_store_b64 off, v[1:2], off offset:224
	v_cmpx_lt_u32_e32 27, v0
	s_cbranch_execz .LBB112_253
; %bb.252:
	scratch_load_b64 v[1:2], off, off offset:216
	v_mov_b32_e32 v3, 0
	s_delay_alu instid0(VALU_DEP_1)
	v_mov_b32_e32 v4, v3
	scratch_store_b64 off, v[3:4], off offset:216
	s_wait_loadcnt 0x0
	ds_store_b64 v23, v[1:2]
.LBB112_253:
	s_wait_alu 0xfffe
	s_or_b32 exec_lo, exec_lo, s0
	s_wait_storecnt_dscnt 0x0
	s_barrier_signal -1
	s_barrier_wait -1
	global_inv scope:SCOPE_SE
	s_clause 0xb
	scratch_load_b128 v[2:5], off, off offset:224
	scratch_load_b128 v[6:9], off, off offset:240
	;; [unrolled: 1-line block ×10, first 2 shown]
	scratch_load_b64 v[182:183], off, off offset:384
	scratch_load_b64 v[184:185], off, off offset:216
	v_mov_b32_e32 v1, 0
	ds_load_b128 v[142:145], v1 offset:624
	ds_load_b128 v[146:149], v1 offset:640
	;; [unrolled: 1-line block ×10, first 2 shown]
	ds_load_b64 v[186:187], v1 offset:784
	s_mov_b32 s0, exec_lo
	s_wait_loadcnt_dscnt 0xb0a
	v_mul_f32_e32 v22, v142, v3
	s_wait_loadcnt_dscnt 0xa09
	v_dual_mul_f32 v188, v144, v5 :: v_dual_mul_f32 v189, v146, v7
	v_mul_f32_e32 v5, v145, v5
	v_dual_mul_f32 v3, v143, v3 :: v_dual_mul_f32 v190, v148, v9
	s_wait_loadcnt_dscnt 0x908
	v_dual_mul_f32 v191, v150, v11 :: v_dual_fmac_f32 v22, v143, v2
	s_wait_loadcnt_dscnt 0x302
	v_mul_f32_e32 v204, v176, v137
	v_fma_f32 v3, v142, v2, -v3
	s_wait_loadcnt_dscnt 0x100
	v_mul_f32_e32 v207, v186, v183
	v_mul_f32_e32 v2, v147, v7
	v_fmac_f32_e32 v188, v145, v4
	v_fma_f32 v4, v144, v4, -v5
	v_add_f32_e32 v3, 0, v3
	v_dual_add_f32 v5, 0, v22 :: v_dual_fmac_f32 v190, v149, v8
	v_fmac_f32_e32 v189, v147, v6
	v_fma_f32 v2, v146, v6, -v2
	s_delay_alu instid0(VALU_DEP_4) | instskip(SKIP_3) | instid1(VALU_DEP_4)
	v_add_f32_e32 v3, v3, v4
	v_mul_f32_e32 v7, v149, v9
	v_add_f32_e32 v4, v5, v188
	v_dual_mul_f32 v192, v152, v13 :: v_dual_mul_f32 v193, v154, v15
	v_add_f32_e32 v2, v3, v2
	s_delay_alu instid0(VALU_DEP_4)
	v_fma_f32 v6, v148, v8, -v7
	v_mul_f32_e32 v5, v151, v11
	v_add_f32_e32 v3, v4, v189
	v_dual_mul_f32 v4, v153, v13 :: v_dual_fmac_f32 v191, v151, v10
	v_fmac_f32_e32 v192, v153, v12
	v_add_f32_e32 v2, v2, v6
	v_fma_f32 v5, v150, v10, -v5
	v_mul_f32_e32 v6, v155, v15
	v_add_f32_e32 v3, v3, v190
	v_fma_f32 v4, v152, v12, -v4
	v_dual_mul_f32 v194, v156, v17 :: v_dual_mul_f32 v195, v158, v19
	s_delay_alu instid0(VALU_DEP_3) | instskip(SKIP_1) | instid1(VALU_DEP_3)
	v_dual_add_f32 v2, v2, v5 :: v_dual_add_f32 v3, v3, v191
	v_mul_f32_e32 v5, v157, v17
	v_dual_fmac_f32 v193, v155, v14 :: v_dual_fmac_f32 v194, v157, v16
	v_fma_f32 v6, v154, v14, -v6
	s_delay_alu instid0(VALU_DEP_4) | instskip(SKIP_4) | instid1(VALU_DEP_4)
	v_add_f32_e32 v2, v2, v4
	v_dual_add_f32 v3, v3, v192 :: v_dual_mul_f32 v196, v160, v21
	v_mul_f32_e32 v197, v162, v123
	v_mul_f32_e32 v4, v159, v19
	v_fma_f32 v5, v156, v16, -v5
	v_dual_add_f32 v2, v2, v6 :: v_dual_add_f32 v3, v3, v193
	v_fmac_f32_e32 v196, v161, v20
	v_dual_mul_f32 v6, v161, v21 :: v_dual_fmac_f32 v195, v159, v18
	v_fma_f32 v4, v158, v18, -v4
	s_delay_alu instid0(VALU_DEP_4) | instskip(SKIP_1) | instid1(VALU_DEP_4)
	v_dual_add_f32 v2, v2, v5 :: v_dual_add_f32 v3, v3, v194
	v_mul_f32_e32 v5, v163, v123
	v_fma_f32 v6, v160, v20, -v6
	v_dual_mul_f32 v198, v164, v125 :: v_dual_mul_f32 v199, v166, v127
	s_delay_alu instid0(VALU_DEP_4) | instskip(SKIP_1) | instid1(VALU_DEP_3)
	v_dual_add_f32 v2, v2, v4 :: v_dual_add_f32 v3, v3, v195
	v_dual_mul_f32 v4, v165, v125 :: v_dual_fmac_f32 v197, v163, v122
	v_fmac_f32_e32 v198, v165, v124
	v_fma_f32 v5, v162, v122, -v5
	s_delay_alu instid0(VALU_DEP_4) | instskip(SKIP_2) | instid1(VALU_DEP_3)
	v_dual_add_f32 v2, v2, v6 :: v_dual_add_f32 v3, v3, v196
	v_mul_f32_e32 v6, v167, v127
	v_fma_f32 v4, v164, v124, -v4
	v_dual_fmac_f32 v199, v167, v126 :: v_dual_add_f32 v2, v2, v5
	s_delay_alu instid0(VALU_DEP_4) | instskip(SKIP_3) | instid1(VALU_DEP_4)
	v_add_f32_e32 v3, v3, v197
	v_dual_mul_f32 v200, v168, v129 :: v_dual_mul_f32 v201, v170, v131
	v_mul_f32_e32 v5, v169, v129
	v_fma_f32 v6, v166, v126, -v6
	v_dual_add_f32 v2, v2, v4 :: v_dual_add_f32 v3, v3, v198
	s_delay_alu instid0(VALU_DEP_4) | instskip(SKIP_2) | instid1(VALU_DEP_4)
	v_fmac_f32_e32 v200, v169, v128
	v_mul_f32_e32 v4, v171, v131
	v_fma_f32 v5, v168, v128, -v5
	v_dual_add_f32 v2, v2, v6 :: v_dual_add_f32 v3, v3, v199
	v_dual_mul_f32 v202, v172, v133 :: v_dual_mul_f32 v203, v174, v135
	v_dual_mul_f32 v6, v173, v133 :: v_dual_fmac_f32 v201, v171, v130
	v_fma_f32 v4, v170, v130, -v4
	s_delay_alu instid0(VALU_DEP_4) | instskip(NEXT) | instid1(VALU_DEP_4)
	v_dual_add_f32 v2, v2, v5 :: v_dual_add_f32 v3, v3, v200
	v_dual_mul_f32 v5, v175, v135 :: v_dual_fmac_f32 v202, v173, v132
	s_delay_alu instid0(VALU_DEP_4) | instskip(NEXT) | instid1(VALU_DEP_3)
	v_fma_f32 v6, v172, v132, -v6
	v_dual_add_f32 v2, v2, v4 :: v_dual_add_f32 v3, v3, v201
	v_dual_mul_f32 v4, v177, v137 :: v_dual_fmac_f32 v203, v175, v134
	s_delay_alu instid0(VALU_DEP_4) | instskip(NEXT) | instid1(VALU_DEP_3)
	v_fma_f32 v5, v174, v134, -v5
	v_dual_fmac_f32 v204, v177, v136 :: v_dual_add_f32 v3, v3, v202
	s_delay_alu instid0(VALU_DEP_4) | instskip(SKIP_3) | instid1(VALU_DEP_4)
	v_add_f32_e32 v2, v2, v6
	v_dual_mul_f32 v205, v178, v139 :: v_dual_mul_f32 v206, v180, v141
	v_mul_f32_e32 v6, v179, v139
	v_fma_f32 v4, v176, v136, -v4
	v_dual_add_f32 v3, v3, v203 :: v_dual_add_f32 v2, v2, v5
	s_delay_alu instid0(VALU_DEP_4) | instskip(SKIP_2) | instid1(VALU_DEP_4)
	v_fmac_f32_e32 v205, v179, v138
	v_mul_f32_e32 v5, v181, v141
	v_fma_f32 v6, v178, v138, -v6
	v_add_f32_e32 v3, v3, v204
	v_add_f32_e32 v2, v2, v4
	v_mul_f32_e32 v4, v187, v183
	v_dual_fmac_f32 v206, v181, v140 :: v_dual_fmac_f32 v207, v187, v182
	v_fma_f32 v5, v180, v140, -v5
	s_delay_alu instid0(VALU_DEP_4) | instskip(NEXT) | instid1(VALU_DEP_4)
	v_dual_add_f32 v3, v3, v205 :: v_dual_add_f32 v2, v2, v6
	v_fma_f32 v4, v186, v182, -v4
	s_delay_alu instid0(VALU_DEP_2) | instskip(NEXT) | instid1(VALU_DEP_1)
	v_dual_add_f32 v3, v3, v206 :: v_dual_add_f32 v2, v2, v5
	v_dual_add_f32 v3, v3, v207 :: v_dual_add_f32 v2, v2, v4
	s_wait_loadcnt 0x0
	s_delay_alu instid0(VALU_DEP_1)
	v_dual_sub_f32 v3, v185, v3 :: v_dual_sub_f32 v2, v184, v2
	scratch_store_b64 off, v[2:3], off offset:216
	v_cmpx_lt_u32_e32 26, v0
	s_cbranch_execz .LBB112_255
; %bb.254:
	scratch_load_b64 v[3:4], off, off offset:208
	v_mov_b32_e32 v2, v1
	scratch_store_b64 off, v[1:2], off offset:208
	s_wait_loadcnt 0x0
	ds_store_b64 v23, v[3:4]
.LBB112_255:
	s_wait_alu 0xfffe
	s_or_b32 exec_lo, exec_lo, s0
	s_wait_storecnt_dscnt 0x0
	s_barrier_signal -1
	s_barrier_wait -1
	global_inv scope:SCOPE_SE
	s_clause 0xb
	scratch_load_b128 v[2:5], off, off offset:216
	scratch_load_b128 v[6:9], off, off offset:232
	;; [unrolled: 1-line block ×11, first 2 shown]
	scratch_load_b64 v[190:191], off, off offset:208
	ds_load_2addr_b64 v[146:149], v1 offset0:77 offset1:78
	ds_load_2addr_b64 v[150:153], v1 offset0:79 offset1:80
	ds_load_2addr_b64 v[154:157], v1 offset0:81 offset1:82
	ds_load_2addr_b64 v[158:161], v1 offset0:83 offset1:84
	ds_load_2addr_b64 v[162:165], v1 offset0:85 offset1:86
	ds_load_2addr_b64 v[166:169], v1 offset0:87 offset1:88
	ds_load_2addr_b64 v[170:173], v1 offset0:89 offset1:90
	ds_load_2addr_b64 v[174:177], v1 offset0:91 offset1:92
	ds_load_2addr_b64 v[178:181], v1 offset0:93 offset1:94
	ds_load_2addr_b64 v[182:185], v1 offset0:95 offset1:96
	ds_load_2addr_b64 v[186:189], v1 offset0:97 offset1:98
	s_mov_b32 s0, exec_lo
	s_wait_loadcnt_dscnt 0xb0a
	v_dual_mul_f32 v1, v146, v3 :: v_dual_mul_f32 v22, v148, v5
	v_mul_f32_e32 v3, v147, v3
	s_wait_loadcnt_dscnt 0xa09
	v_dual_mul_f32 v5, v149, v5 :: v_dual_mul_f32 v192, v150, v7
	s_delay_alu instid0(VALU_DEP_3) | instskip(NEXT) | instid1(VALU_DEP_3)
	v_dual_mul_f32 v193, v152, v9 :: v_dual_fmac_f32 v22, v149, v4
	v_fma_f32 v3, v146, v2, -v3
	v_fmac_f32_e32 v1, v147, v2
	v_mul_f32_e32 v2, v151, v7
	v_fma_f32 v4, v148, v4, -v5
	s_delay_alu instid0(VALU_DEP_4)
	v_dual_fmac_f32 v192, v151, v6 :: v_dual_add_f32 v3, 0, v3
	s_wait_loadcnt_dscnt 0x706
	v_dual_mul_f32 v198, v162, v19 :: v_dual_mul_f32 v199, v164, v21
	v_fma_f32 v2, v150, v6, -v2
	v_dual_mul_f32 v194, v154, v11 :: v_dual_mul_f32 v195, v156, v13
	v_add_f32_e32 v3, v3, v4
	v_dual_mul_f32 v5, v153, v9 :: v_dual_mul_f32 v196, v158, v15
	v_dual_mul_f32 v197, v160, v17 :: v_dual_mul_f32 v4, v155, v11
	s_delay_alu instid0(VALU_DEP_3) | instskip(NEXT) | instid1(VALU_DEP_3)
	v_add_f32_e32 v2, v3, v2
	v_fma_f32 v5, v152, v8, -v5
	v_dual_mul_f32 v3, v157, v13 :: v_dual_fmac_f32 v198, v163, v18
	s_delay_alu instid0(VALU_DEP_4) | instskip(SKIP_1) | instid1(VALU_DEP_4)
	v_fma_f32 v4, v154, v10, -v4
	v_dual_fmac_f32 v193, v153, v8 :: v_dual_fmac_f32 v194, v155, v10
	v_add_f32_e32 v2, v2, v5
	v_add_f32_e32 v1, 0, v1
	v_fma_f32 v3, v156, v12, -v3
	v_fmac_f32_e32 v196, v159, v14
	s_wait_loadcnt_dscnt 0x605
	v_dual_mul_f32 v200, v166, v123 :: v_dual_mul_f32 v201, v168, v125
	v_dual_add_f32 v1, v1, v22 :: v_dual_add_f32 v2, v2, v4
	v_mul_f32_e32 v4, v161, v17
	s_wait_loadcnt_dscnt 0x403
	v_dual_mul_f32 v204, v174, v131 :: v_dual_mul_f32 v205, v176, v133
	s_delay_alu instid0(VALU_DEP_3) | instskip(NEXT) | instid1(VALU_DEP_3)
	v_dual_add_f32 v1, v1, v192 :: v_dual_add_f32 v2, v2, v3
	v_fma_f32 v4, v160, v16, -v4
	v_mul_f32_e32 v5, v159, v15
	v_dual_mul_f32 v202, v170, v127 :: v_dual_mul_f32 v203, v172, v129
	s_wait_loadcnt_dscnt 0x100
	v_dual_add_f32 v1, v1, v193 :: v_dual_mul_f32 v210, v186, v143
	v_mul_f32_e32 v211, v188, v145
	v_fma_f32 v5, v158, v14, -v5
	v_fmac_f32_e32 v195, v157, v12
	s_delay_alu instid0(VALU_DEP_4)
	v_add_f32_e32 v1, v1, v194
	v_fmac_f32_e32 v200, v167, v122
	v_dual_mul_f32 v206, v178, v135 :: v_dual_mul_f32 v207, v180, v137
	v_add_f32_e32 v2, v2, v5
	v_dual_fmac_f32 v202, v171, v126 :: v_dual_fmac_f32 v201, v169, v124
	v_dual_mul_f32 v208, v182, v139 :: v_dual_mul_f32 v209, v184, v141
	s_delay_alu instid0(VALU_DEP_3) | instskip(SKIP_2) | instid1(VALU_DEP_4)
	v_add_f32_e32 v2, v2, v4
	v_mul_f32_e32 v4, v167, v123
	v_add_f32_e32 v1, v1, v195
	v_dual_fmac_f32 v203, v173, v128 :: v_dual_fmac_f32 v208, v183, v138
	v_fmac_f32_e32 v207, v181, v136
	s_delay_alu instid0(VALU_DEP_4) | instskip(SKIP_4) | instid1(VALU_DEP_4)
	v_fma_f32 v4, v166, v122, -v4
	v_mul_f32_e32 v5, v165, v21
	v_add_f32_e32 v1, v1, v196
	v_dual_fmac_f32 v209, v185, v140 :: v_dual_fmac_f32 v204, v175, v130
	v_fmac_f32_e32 v211, v189, v144
	v_fma_f32 v5, v164, v20, -v5
	v_mul_f32_e32 v3, v163, v19
	v_fmac_f32_e32 v210, v187, v142
	v_fmac_f32_e32 v206, v179, v134
	s_delay_alu instid0(VALU_DEP_3) | instskip(NEXT) | instid1(VALU_DEP_1)
	v_fma_f32 v3, v162, v18, -v3
	v_dual_fmac_f32 v197, v161, v16 :: v_dual_add_f32 v2, v2, v3
	v_mul_f32_e32 v3, v169, v125
	s_delay_alu instid0(VALU_DEP_2) | instskip(NEXT) | instid1(VALU_DEP_2)
	v_dual_add_f32 v2, v2, v5 :: v_dual_mul_f32 v5, v171, v127
	v_fma_f32 v3, v168, v124, -v3
	s_delay_alu instid0(VALU_DEP_2) | instskip(SKIP_1) | instid1(VALU_DEP_4)
	v_dual_add_f32 v2, v2, v4 :: v_dual_add_f32 v1, v1, v197
	v_mul_f32_e32 v4, v173, v129
	v_fma_f32 v5, v170, v126, -v5
	s_delay_alu instid0(VALU_DEP_3) | instskip(NEXT) | instid1(VALU_DEP_3)
	v_dual_add_f32 v2, v2, v3 :: v_dual_fmac_f32 v199, v165, v20
	v_fma_f32 v4, v172, v128, -v4
	s_delay_alu instid0(VALU_DEP_2) | instskip(SKIP_1) | instid1(VALU_DEP_2)
	v_add_f32_e32 v2, v2, v5
	v_mul_f32_e32 v5, v177, v133
	v_dual_add_f32 v1, v1, v198 :: v_dual_add_f32 v2, v2, v4
	s_delay_alu instid0(VALU_DEP_2) | instskip(SKIP_1) | instid1(VALU_DEP_3)
	v_fma_f32 v5, v176, v132, -v5
	v_mul_f32_e32 v3, v175, v131
	v_add_f32_e32 v1, v1, v199
	v_mul_f32_e32 v4, v179, v135
	s_delay_alu instid0(VALU_DEP_3) | instskip(NEXT) | instid1(VALU_DEP_3)
	v_fma_f32 v3, v174, v130, -v3
	v_add_f32_e32 v1, v1, v200
	s_delay_alu instid0(VALU_DEP_3) | instskip(NEXT) | instid1(VALU_DEP_3)
	v_fma_f32 v4, v178, v134, -v4
	v_add_f32_e32 v2, v2, v3
	s_delay_alu instid0(VALU_DEP_1) | instskip(NEXT) | instid1(VALU_DEP_4)
	v_add_f32_e32 v2, v2, v5
	v_add_f32_e32 v1, v1, v201
	s_delay_alu instid0(VALU_DEP_2) | instskip(SKIP_1) | instid1(VALU_DEP_2)
	v_dual_mul_f32 v5, v183, v139 :: v_dual_add_f32 v2, v2, v4
	v_mul_f32_e32 v4, v185, v141
	v_fma_f32 v5, v182, v138, -v5
	s_delay_alu instid0(VALU_DEP_2) | instskip(SKIP_1) | instid1(VALU_DEP_1)
	v_fma_f32 v4, v184, v140, -v4
	v_mul_f32_e32 v3, v181, v137
	v_fma_f32 v3, v180, v136, -v3
	s_delay_alu instid0(VALU_DEP_1) | instskip(NEXT) | instid1(VALU_DEP_1)
	v_dual_add_f32 v1, v1, v202 :: v_dual_add_f32 v2, v2, v3
	v_add_f32_e32 v1, v1, v203
	s_delay_alu instid0(VALU_DEP_2) | instskip(NEXT) | instid1(VALU_DEP_2)
	v_dual_mul_f32 v3, v187, v143 :: v_dual_add_f32 v2, v2, v5
	v_add_f32_e32 v1, v1, v204
	v_mul_f32_e32 v5, v189, v145
	s_delay_alu instid0(VALU_DEP_3) | instskip(NEXT) | instid1(VALU_DEP_4)
	v_fma_f32 v3, v186, v142, -v3
	v_add_f32_e32 v2, v2, v4
	v_fmac_f32_e32 v205, v177, v132
	s_delay_alu instid0(VALU_DEP_4) | instskip(NEXT) | instid1(VALU_DEP_2)
	v_fma_f32 v4, v188, v144, -v5
	v_dual_add_f32 v2, v2, v3 :: v_dual_add_f32 v1, v1, v205
	s_delay_alu instid0(VALU_DEP_1) | instskip(NEXT) | instid1(VALU_DEP_1)
	v_dual_add_f32 v2, v2, v4 :: v_dual_add_f32 v1, v1, v206
	v_add_f32_e32 v1, v1, v207
	s_delay_alu instid0(VALU_DEP_1) | instskip(NEXT) | instid1(VALU_DEP_1)
	v_add_f32_e32 v1, v1, v208
	v_add_f32_e32 v1, v1, v209
	s_delay_alu instid0(VALU_DEP_1) | instskip(NEXT) | instid1(VALU_DEP_1)
	v_add_f32_e32 v1, v1, v210
	v_add_f32_e32 v3, v1, v211
	s_wait_loadcnt 0x0
	s_delay_alu instid0(VALU_DEP_1)
	v_dual_sub_f32 v1, v190, v2 :: v_dual_sub_f32 v2, v191, v3
	scratch_store_b64 off, v[1:2], off offset:208
	v_cmpx_lt_u32_e32 25, v0
	s_cbranch_execz .LBB112_257
; %bb.256:
	scratch_load_b64 v[1:2], off, off offset:200
	v_mov_b32_e32 v3, 0
	s_delay_alu instid0(VALU_DEP_1)
	v_mov_b32_e32 v4, v3
	scratch_store_b64 off, v[3:4], off offset:200
	s_wait_loadcnt 0x0
	ds_store_b64 v23, v[1:2]
.LBB112_257:
	s_wait_alu 0xfffe
	s_or_b32 exec_lo, exec_lo, s0
	s_wait_storecnt_dscnt 0x0
	s_barrier_signal -1
	s_barrier_wait -1
	global_inv scope:SCOPE_SE
	s_clause 0xc
	scratch_load_b128 v[2:5], off, off offset:208
	scratch_load_b128 v[6:9], off, off offset:224
	;; [unrolled: 1-line block ×11, first 2 shown]
	scratch_load_b64 v[190:191], off, off offset:384
	scratch_load_b64 v[192:193], off, off offset:200
	v_mov_b32_e32 v1, 0
	ds_load_b128 v[146:149], v1 offset:608
	ds_load_b128 v[150:153], v1 offset:624
	;; [unrolled: 1-line block ×11, first 2 shown]
	ds_load_b64 v[194:195], v1 offset:784
	s_mov_b32 s0, exec_lo
	s_wait_loadcnt_dscnt 0xc0b
	v_mul_f32_e32 v22, v146, v3
	s_wait_loadcnt_dscnt 0xb0a
	v_dual_mul_f32 v196, v148, v5 :: v_dual_mul_f32 v197, v150, v7
	v_mul_f32_e32 v5, v149, v5
	s_wait_loadcnt_dscnt 0xa09
	v_dual_mul_f32 v198, v152, v9 :: v_dual_mul_f32 v199, v154, v11
	v_mul_f32_e32 v3, v147, v3
	v_fmac_f32_e32 v22, v147, v2
	s_wait_loadcnt_dscnt 0x908
	v_dual_mul_f32 v200, v156, v13 :: v_dual_mul_f32 v201, v158, v15
	s_wait_loadcnt_dscnt 0x100
	v_dual_mul_f32 v214, v184, v141 :: v_dual_mul_f32 v217, v194, v191
	v_fma_f32 v3, v146, v2, -v3
	v_mul_f32_e32 v2, v151, v7
	v_fmac_f32_e32 v196, v149, v4
	v_fma_f32 v4, v148, v4, -v5
	v_dual_add_f32 v5, 0, v22 :: v_dual_fmac_f32 v198, v153, v8
	v_add_f32_e32 v3, 0, v3
	v_fmac_f32_e32 v197, v151, v6
	v_fma_f32 v2, v150, v6, -v2
	v_dual_fmac_f32 v199, v155, v10 :: v_dual_fmac_f32 v200, v157, v12
	s_delay_alu instid0(VALU_DEP_4) | instskip(SKIP_3) | instid1(VALU_DEP_4)
	v_add_f32_e32 v3, v3, v4
	v_mul_f32_e32 v7, v153, v9
	v_add_f32_e32 v4, v5, v196
	v_dual_mul_f32 v202, v160, v17 :: v_dual_mul_f32 v203, v162, v19
	v_add_f32_e32 v2, v3, v2
	s_delay_alu instid0(VALU_DEP_4)
	v_fma_f32 v6, v152, v8, -v7
	v_mul_f32_e32 v5, v155, v11
	v_add_f32_e32 v3, v4, v197
	v_dual_mul_f32 v4, v157, v13 :: v_dual_fmac_f32 v201, v159, v14
	v_fmac_f32_e32 v202, v161, v16
	v_add_f32_e32 v2, v2, v6
	v_fma_f32 v5, v154, v10, -v5
	v_mul_f32_e32 v6, v159, v15
	v_add_f32_e32 v3, v3, v198
	v_fma_f32 v4, v156, v12, -v4
	v_dual_mul_f32 v204, v164, v21 :: v_dual_mul_f32 v205, v166, v123
	s_delay_alu instid0(VALU_DEP_3) | instskip(SKIP_2) | instid1(VALU_DEP_3)
	v_dual_add_f32 v2, v2, v5 :: v_dual_add_f32 v3, v3, v199
	v_mul_f32_e32 v5, v161, v17
	v_fma_f32 v6, v158, v14, -v6
	v_dual_fmac_f32 v203, v163, v18 :: v_dual_add_f32 v2, v2, v4
	s_delay_alu instid0(VALU_DEP_4) | instskip(SKIP_3) | instid1(VALU_DEP_4)
	v_add_f32_e32 v3, v3, v200
	v_mul_f32_e32 v4, v163, v19
	v_fma_f32 v5, v160, v16, -v5
	v_fmac_f32_e32 v204, v165, v20
	v_dual_add_f32 v2, v2, v6 :: v_dual_add_f32 v3, v3, v201
	v_mul_f32_e32 v6, v165, v21
	v_fma_f32 v4, v162, v18, -v4
	v_dual_mul_f32 v206, v168, v125 :: v_dual_mul_f32 v207, v170, v127
	s_delay_alu instid0(VALU_DEP_4) | instskip(SKIP_2) | instid1(VALU_DEP_4)
	v_dual_add_f32 v2, v2, v5 :: v_dual_add_f32 v3, v3, v202
	v_mul_f32_e32 v5, v167, v123
	v_fma_f32 v6, v164, v20, -v6
	v_dual_fmac_f32 v205, v167, v122 :: v_dual_fmac_f32 v206, v169, v124
	s_delay_alu instid0(VALU_DEP_4) | instskip(SKIP_3) | instid1(VALU_DEP_4)
	v_dual_add_f32 v2, v2, v4 :: v_dual_add_f32 v3, v3, v203
	v_mul_f32_e32 v4, v169, v125
	v_fma_f32 v5, v166, v122, -v5
	v_fmac_f32_e32 v207, v171, v126
	v_dual_add_f32 v2, v2, v6 :: v_dual_add_f32 v3, v3, v204
	v_mul_f32_e32 v6, v171, v127
	v_fma_f32 v4, v168, v124, -v4
	v_dual_mul_f32 v208, v172, v129 :: v_dual_mul_f32 v209, v174, v131
	s_delay_alu instid0(VALU_DEP_4) | instskip(SKIP_4) | instid1(VALU_DEP_4)
	v_add_f32_e32 v2, v2, v5
	v_add_f32_e32 v3, v3, v205
	v_mul_f32_e32 v5, v173, v129
	v_fma_f32 v6, v170, v126, -v6
	v_fmac_f32_e32 v208, v173, v128
	v_dual_add_f32 v2, v2, v4 :: v_dual_add_f32 v3, v3, v206
	v_mul_f32_e32 v4, v175, v131
	v_fma_f32 v5, v172, v128, -v5
	v_dual_mul_f32 v210, v176, v133 :: v_dual_mul_f32 v211, v178, v135
	s_delay_alu instid0(VALU_DEP_4) | instskip(SKIP_2) | instid1(VALU_DEP_3)
	v_dual_add_f32 v2, v2, v6 :: v_dual_add_f32 v3, v3, v207
	v_dual_mul_f32 v6, v177, v133 :: v_dual_fmac_f32 v209, v175, v130
	v_fma_f32 v4, v174, v130, -v4
	v_dual_add_f32 v2, v2, v5 :: v_dual_add_f32 v3, v3, v208
	v_dual_mul_f32 v212, v180, v137 :: v_dual_mul_f32 v213, v182, v139
	v_dual_mul_f32 v5, v179, v135 :: v_dual_fmac_f32 v210, v177, v132
	v_fma_f32 v6, v176, v132, -v6
	s_delay_alu instid0(VALU_DEP_4) | instskip(SKIP_1) | instid1(VALU_DEP_4)
	v_dual_add_f32 v2, v2, v4 :: v_dual_add_f32 v3, v3, v209
	v_dual_mul_f32 v4, v181, v137 :: v_dual_fmac_f32 v211, v179, v134
	v_fma_f32 v5, v178, v134, -v5
	s_delay_alu instid0(VALU_DEP_3) | instskip(NEXT) | instid1(VALU_DEP_4)
	v_dual_fmac_f32 v212, v181, v136 :: v_dual_add_f32 v3, v3, v210
	v_add_f32_e32 v2, v2, v6
	v_mul_f32_e32 v6, v183, v139
	v_fma_f32 v4, v180, v136, -v4
	v_fmac_f32_e32 v213, v183, v138
	s_delay_alu instid0(VALU_DEP_4) | instskip(SKIP_3) | instid1(VALU_DEP_4)
	v_dual_add_f32 v3, v3, v211 :: v_dual_add_f32 v2, v2, v5
	v_mul_f32_e32 v5, v185, v141
	v_fma_f32 v6, v182, v138, -v6
	v_dual_mul_f32 v215, v186, v143 :: v_dual_mul_f32 v216, v188, v145
	v_add_f32_e32 v3, v3, v212
	v_add_f32_e32 v2, v2, v4
	v_mul_f32_e32 v4, v187, v143
	s_delay_alu instid0(VALU_DEP_4) | instskip(SKIP_1) | instid1(VALU_DEP_4)
	v_dual_fmac_f32 v214, v185, v140 :: v_dual_fmac_f32 v215, v187, v142
	v_fma_f32 v5, v184, v140, -v5
	v_dual_add_f32 v3, v3, v213 :: v_dual_add_f32 v2, v2, v6
	v_mul_f32_e32 v6, v189, v145
	v_fma_f32 v4, v186, v142, -v4
	v_fmac_f32_e32 v217, v195, v190
	s_delay_alu instid0(VALU_DEP_4) | instskip(SKIP_2) | instid1(VALU_DEP_3)
	v_dual_add_f32 v3, v3, v214 :: v_dual_add_f32 v2, v2, v5
	v_dual_mul_f32 v5, v195, v191 :: v_dual_fmac_f32 v216, v189, v144
	v_fma_f32 v6, v188, v144, -v6
	v_dual_add_f32 v3, v3, v215 :: v_dual_add_f32 v2, v2, v4
	s_delay_alu instid0(VALU_DEP_3) | instskip(NEXT) | instid1(VALU_DEP_2)
	v_fma_f32 v4, v194, v190, -v5
	v_dual_add_f32 v3, v3, v216 :: v_dual_add_f32 v2, v2, v6
	s_delay_alu instid0(VALU_DEP_1) | instskip(SKIP_1) | instid1(VALU_DEP_1)
	v_dual_add_f32 v3, v3, v217 :: v_dual_add_f32 v2, v2, v4
	s_wait_loadcnt 0x0
	v_dual_sub_f32 v3, v193, v3 :: v_dual_sub_f32 v2, v192, v2
	scratch_store_b64 off, v[2:3], off offset:200
	v_cmpx_lt_u32_e32 24, v0
	s_cbranch_execz .LBB112_259
; %bb.258:
	scratch_load_b64 v[3:4], off, off offset:192
	v_mov_b32_e32 v2, v1
	scratch_store_b64 off, v[1:2], off offset:192
	s_wait_loadcnt 0x0
	ds_store_b64 v23, v[3:4]
.LBB112_259:
	s_wait_alu 0xfffe
	s_or_b32 exec_lo, exec_lo, s0
	s_wait_storecnt_dscnt 0x0
	s_barrier_signal -1
	s_barrier_wait -1
	global_inv scope:SCOPE_SE
	s_clause 0xc
	scratch_load_b128 v[2:5], off, off offset:200
	scratch_load_b128 v[6:9], off, off offset:216
	;; [unrolled: 1-line block ×12, first 2 shown]
	scratch_load_b64 v[198:199], off, off offset:192
	ds_load_2addr_b64 v[150:153], v1 offset0:75 offset1:76
	ds_load_2addr_b64 v[154:157], v1 offset0:77 offset1:78
	;; [unrolled: 1-line block ×12, first 2 shown]
	s_mov_b32 s0, exec_lo
	s_wait_loadcnt_dscnt 0xc0b
	v_dual_mul_f32 v1, v150, v3 :: v_dual_mul_f32 v22, v152, v5
	v_mul_f32_e32 v3, v151, v3
	s_wait_loadcnt_dscnt 0xb0a
	v_dual_mul_f32 v5, v153, v5 :: v_dual_mul_f32 v200, v154, v7
	s_delay_alu instid0(VALU_DEP_3) | instskip(NEXT) | instid1(VALU_DEP_3)
	v_dual_mul_f32 v201, v156, v9 :: v_dual_fmac_f32 v22, v153, v4
	v_fma_f32 v3, v150, v2, -v3
	v_fmac_f32_e32 v1, v151, v2
	v_mul_f32_e32 v2, v155, v7
	v_fma_f32 v4, v152, v4, -v5
	s_delay_alu instid0(VALU_DEP_4)
	v_dual_fmac_f32 v200, v155, v6 :: v_dual_add_f32 v3, 0, v3
	s_wait_loadcnt_dscnt 0x807
	v_dual_mul_f32 v206, v166, v19 :: v_dual_mul_f32 v207, v168, v21
	v_fma_f32 v2, v154, v6, -v2
	v_dual_mul_f32 v202, v158, v11 :: v_dual_mul_f32 v203, v160, v13
	v_add_f32_e32 v3, v3, v4
	v_dual_mul_f32 v5, v157, v9 :: v_dual_mul_f32 v204, v162, v15
	v_dual_mul_f32 v205, v164, v17 :: v_dual_mul_f32 v4, v159, v11
	s_delay_alu instid0(VALU_DEP_3) | instskip(NEXT) | instid1(VALU_DEP_3)
	v_add_f32_e32 v2, v3, v2
	v_fma_f32 v5, v156, v8, -v5
	v_dual_mul_f32 v3, v161, v13 :: v_dual_fmac_f32 v206, v167, v18
	s_delay_alu instid0(VALU_DEP_4) | instskip(SKIP_1) | instid1(VALU_DEP_4)
	v_fma_f32 v4, v158, v10, -v4
	v_dual_fmac_f32 v201, v157, v8 :: v_dual_fmac_f32 v202, v159, v10
	v_add_f32_e32 v2, v2, v5
	v_add_f32_e32 v1, 0, v1
	v_fma_f32 v3, v160, v12, -v3
	v_fmac_f32_e32 v204, v163, v14
	s_wait_loadcnt_dscnt 0x706
	v_dual_mul_f32 v208, v170, v123 :: v_dual_mul_f32 v209, v172, v125
	v_dual_add_f32 v1, v1, v22 :: v_dual_add_f32 v2, v2, v4
	v_mul_f32_e32 v4, v165, v17
	s_wait_loadcnt_dscnt 0x504
	v_dual_mul_f32 v212, v178, v131 :: v_dual_mul_f32 v213, v180, v133
	s_delay_alu instid0(VALU_DEP_3) | instskip(NEXT) | instid1(VALU_DEP_3)
	v_dual_add_f32 v1, v1, v200 :: v_dual_add_f32 v2, v2, v3
	v_fma_f32 v4, v164, v16, -v4
	v_mul_f32_e32 v5, v163, v15
	v_dual_mul_f32 v210, v174, v127 :: v_dual_mul_f32 v211, v176, v129
	s_wait_loadcnt_dscnt 0x201
	v_dual_add_f32 v1, v1, v201 :: v_dual_mul_f32 v218, v190, v143
	v_mul_f32_e32 v219, v192, v145
	v_fma_f32 v5, v162, v14, -v5
	v_fmac_f32_e32 v203, v161, v12
	s_delay_alu instid0(VALU_DEP_4)
	v_add_f32_e32 v1, v1, v202
	v_fmac_f32_e32 v208, v171, v122
	v_dual_mul_f32 v214, v182, v135 :: v_dual_mul_f32 v215, v184, v137
	v_add_f32_e32 v2, v2, v5
	v_dual_fmac_f32 v210, v175, v126 :: v_dual_fmac_f32 v209, v173, v124
	v_dual_mul_f32 v216, v186, v139 :: v_dual_mul_f32 v217, v188, v141
	s_delay_alu instid0(VALU_DEP_3) | instskip(SKIP_2) | instid1(VALU_DEP_4)
	v_add_f32_e32 v2, v2, v4
	v_mul_f32_e32 v4, v171, v123
	v_add_f32_e32 v1, v1, v203
	v_dual_fmac_f32 v211, v177, v128 :: v_dual_fmac_f32 v216, v187, v138
	v_fmac_f32_e32 v213, v181, v132
	s_delay_alu instid0(VALU_DEP_4) | instskip(SKIP_4) | instid1(VALU_DEP_3)
	v_fma_f32 v4, v170, v122, -v4
	v_mul_f32_e32 v5, v169, v21
	s_wait_loadcnt_dscnt 0x100
	v_dual_add_f32 v1, v1, v204 :: v_dual_mul_f32 v220, v194, v147
	v_dual_mul_f32 v221, v196, v149 :: v_dual_fmac_f32 v212, v179, v130
	v_fma_f32 v5, v168, v20, -v5
	v_mul_f32_e32 v3, v167, v19
	v_fmac_f32_e32 v219, v193, v144
	s_delay_alu instid0(VALU_DEP_4) | instskip(SKIP_1) | instid1(VALU_DEP_4)
	v_dual_fmac_f32 v221, v197, v148 :: v_dual_fmac_f32 v218, v191, v142
	v_fmac_f32_e32 v214, v183, v134
	v_fma_f32 v3, v166, v18, -v3
	v_dual_fmac_f32 v205, v165, v16 :: v_dual_fmac_f32 v220, v195, v146
	s_delay_alu instid0(VALU_DEP_2) | instskip(NEXT) | instid1(VALU_DEP_1)
	v_dual_add_f32 v2, v2, v3 :: v_dual_mul_f32 v3, v173, v125
	v_dual_add_f32 v2, v2, v5 :: v_dual_mul_f32 v5, v175, v127
	s_delay_alu instid0(VALU_DEP_2) | instskip(NEXT) | instid1(VALU_DEP_2)
	v_fma_f32 v3, v172, v124, -v3
	v_dual_add_f32 v2, v2, v4 :: v_dual_add_f32 v1, v1, v205
	v_mul_f32_e32 v4, v177, v129
	s_delay_alu instid0(VALU_DEP_4) | instskip(NEXT) | instid1(VALU_DEP_3)
	v_fma_f32 v5, v174, v126, -v5
	v_dual_add_f32 v2, v2, v3 :: v_dual_fmac_f32 v207, v169, v20
	s_delay_alu instid0(VALU_DEP_3) | instskip(NEXT) | instid1(VALU_DEP_2)
	v_fma_f32 v4, v176, v128, -v4
	v_add_f32_e32 v2, v2, v5
	v_mul_f32_e32 v5, v181, v133
	s_delay_alu instid0(VALU_DEP_2) | instskip(NEXT) | instid1(VALU_DEP_2)
	v_dual_add_f32 v1, v1, v206 :: v_dual_add_f32 v2, v2, v4
	v_fma_f32 v5, v180, v132, -v5
	v_mul_f32_e32 v3, v179, v131
	s_delay_alu instid0(VALU_DEP_3) | instskip(SKIP_1) | instid1(VALU_DEP_3)
	v_add_f32_e32 v1, v1, v207
	v_mul_f32_e32 v4, v183, v135
	v_fma_f32 v3, v178, v130, -v3
	s_delay_alu instid0(VALU_DEP_3) | instskip(NEXT) | instid1(VALU_DEP_3)
	v_add_f32_e32 v1, v1, v208
	v_fma_f32 v4, v182, v134, -v4
	s_delay_alu instid0(VALU_DEP_3) | instskip(NEXT) | instid1(VALU_DEP_1)
	v_add_f32_e32 v2, v2, v3
	v_add_f32_e32 v2, v2, v5
	s_delay_alu instid0(VALU_DEP_4) | instskip(NEXT) | instid1(VALU_DEP_2)
	v_add_f32_e32 v1, v1, v209
	v_dual_mul_f32 v5, v187, v139 :: v_dual_add_f32 v2, v2, v4
	v_mul_f32_e32 v4, v189, v141
	s_delay_alu instid0(VALU_DEP_2) | instskip(NEXT) | instid1(VALU_DEP_2)
	v_fma_f32 v5, v186, v138, -v5
	v_fma_f32 v4, v188, v140, -v4
	v_mul_f32_e32 v3, v185, v137
	s_delay_alu instid0(VALU_DEP_1) | instskip(NEXT) | instid1(VALU_DEP_1)
	v_fma_f32 v3, v184, v136, -v3
	v_dual_add_f32 v1, v1, v210 :: v_dual_add_f32 v2, v2, v3
	s_delay_alu instid0(VALU_DEP_1) | instskip(NEXT) | instid1(VALU_DEP_2)
	v_add_f32_e32 v1, v1, v211
	v_dual_mul_f32 v3, v191, v143 :: v_dual_add_f32 v2, v2, v5
	v_mul_f32_e32 v5, v193, v145
	s_delay_alu instid0(VALU_DEP_2) | instskip(NEXT) | instid1(VALU_DEP_3)
	v_fma_f32 v3, v190, v142, -v3
	v_add_f32_e32 v2, v2, v4
	v_dual_add_f32 v1, v1, v212 :: v_dual_mul_f32 v4, v195, v147
	s_delay_alu instid0(VALU_DEP_4) | instskip(NEXT) | instid1(VALU_DEP_2)
	v_fma_f32 v5, v192, v144, -v5
	v_dual_add_f32 v2, v2, v3 :: v_dual_add_f32 v1, v1, v213
	v_fmac_f32_e32 v215, v185, v136
	s_delay_alu instid0(VALU_DEP_4) | instskip(SKIP_1) | instid1(VALU_DEP_4)
	v_fma_f32 v4, v194, v146, -v4
	v_mul_f32_e32 v3, v197, v149
	v_dual_add_f32 v2, v2, v5 :: v_dual_add_f32 v1, v1, v214
	s_delay_alu instid0(VALU_DEP_2) | instskip(NEXT) | instid1(VALU_DEP_2)
	v_fma_f32 v3, v196, v148, -v3
	v_dual_add_f32 v2, v2, v4 :: v_dual_add_f32 v1, v1, v215
	s_delay_alu instid0(VALU_DEP_1) | instskip(NEXT) | instid1(VALU_DEP_2)
	v_dual_fmac_f32 v217, v189, v140 :: v_dual_add_f32 v2, v2, v3
	v_add_f32_e32 v1, v1, v216
	s_delay_alu instid0(VALU_DEP_1) | instskip(NEXT) | instid1(VALU_DEP_1)
	v_add_f32_e32 v1, v1, v217
	v_add_f32_e32 v1, v1, v218
	s_delay_alu instid0(VALU_DEP_1) | instskip(NEXT) | instid1(VALU_DEP_1)
	v_add_f32_e32 v1, v1, v219
	v_add_f32_e32 v1, v1, v220
	s_delay_alu instid0(VALU_DEP_1) | instskip(SKIP_1) | instid1(VALU_DEP_1)
	v_add_f32_e32 v3, v1, v221
	s_wait_loadcnt 0x0
	v_dual_sub_f32 v1, v198, v2 :: v_dual_sub_f32 v2, v199, v3
	scratch_store_b64 off, v[1:2], off offset:192
	v_cmpx_lt_u32_e32 23, v0
	s_cbranch_execz .LBB112_261
; %bb.260:
	scratch_load_b64 v[1:2], off, off offset:184
	v_mov_b32_e32 v3, 0
	s_delay_alu instid0(VALU_DEP_1)
	v_mov_b32_e32 v4, v3
	scratch_store_b64 off, v[3:4], off offset:184
	s_wait_loadcnt 0x0
	ds_store_b64 v23, v[1:2]
.LBB112_261:
	s_wait_alu 0xfffe
	s_or_b32 exec_lo, exec_lo, s0
	s_wait_storecnt_dscnt 0x0
	s_barrier_signal -1
	s_barrier_wait -1
	global_inv scope:SCOPE_SE
	s_clause 0xd
	scratch_load_b128 v[2:5], off, off offset:192
	scratch_load_b128 v[6:9], off, off offset:208
	;; [unrolled: 1-line block ×12, first 2 shown]
	scratch_load_b64 v[198:199], off, off offset:384
	scratch_load_b64 v[200:201], off, off offset:184
	v_mov_b32_e32 v1, 0
	ds_load_b128 v[150:153], v1 offset:592
	ds_load_b128 v[154:157], v1 offset:608
	;; [unrolled: 1-line block ×12, first 2 shown]
	ds_load_b64 v[202:203], v1 offset:784
	s_mov_b32 s0, exec_lo
	s_wait_loadcnt_dscnt 0xd0c
	v_mul_f32_e32 v22, v150, v3
	s_wait_loadcnt_dscnt 0xc0b
	v_dual_mul_f32 v204, v152, v5 :: v_dual_mul_f32 v205, v154, v7
	v_mul_f32_e32 v5, v153, v5
	s_wait_loadcnt_dscnt 0xb0a
	v_dual_mul_f32 v206, v156, v9 :: v_dual_mul_f32 v207, v158, v11
	v_dual_mul_f32 v3, v151, v3 :: v_dual_mul_f32 v208, v160, v13
	s_wait_loadcnt_dscnt 0xa09
	v_dual_mul_f32 v209, v162, v15 :: v_dual_fmac_f32 v22, v151, v2
	s_wait_loadcnt_dscnt 0x302
	v_mul_f32_e32 v224, v192, v145
	v_fma_f32 v3, v150, v2, -v3
	s_wait_loadcnt_dscnt 0x100
	v_mul_f32_e32 v227, v202, v199
	v_mul_f32_e32 v2, v155, v7
	v_fmac_f32_e32 v204, v153, v4
	v_fma_f32 v4, v152, v4, -v5
	v_add_f32_e32 v3, 0, v3
	v_dual_add_f32 v5, 0, v22 :: v_dual_fmac_f32 v206, v157, v8
	v_fmac_f32_e32 v205, v155, v6
	v_fma_f32 v2, v154, v6, -v2
	s_delay_alu instid0(VALU_DEP_4) | instskip(SKIP_3) | instid1(VALU_DEP_4)
	v_add_f32_e32 v3, v3, v4
	v_mul_f32_e32 v7, v157, v9
	v_dual_add_f32 v4, v5, v204 :: v_dual_fmac_f32 v207, v159, v10
	v_fmac_f32_e32 v208, v161, v12
	v_add_f32_e32 v2, v3, v2
	s_delay_alu instid0(VALU_DEP_4)
	v_fma_f32 v6, v156, v8, -v7
	v_mul_f32_e32 v5, v159, v11
	v_add_f32_e32 v3, v4, v205
	v_mul_f32_e32 v4, v161, v13
	v_dual_mul_f32 v210, v164, v17 :: v_dual_mul_f32 v211, v166, v19
	v_add_f32_e32 v2, v2, v6
	v_fma_f32 v5, v158, v10, -v5
	v_mul_f32_e32 v6, v163, v15
	v_add_f32_e32 v3, v3, v206
	v_fma_f32 v4, v160, v12, -v4
	v_dual_fmac_f32 v209, v163, v14 :: v_dual_fmac_f32 v210, v165, v16
	s_delay_alu instid0(VALU_DEP_3) | instskip(SKIP_3) | instid1(VALU_DEP_4)
	v_dual_add_f32 v2, v2, v5 :: v_dual_add_f32 v3, v3, v207
	v_mul_f32_e32 v5, v165, v17
	v_fma_f32 v6, v162, v14, -v6
	v_dual_mul_f32 v212, v168, v21 :: v_dual_mul_f32 v213, v170, v123
	v_add_f32_e32 v2, v2, v4
	v_add_f32_e32 v3, v3, v208
	v_mul_f32_e32 v4, v167, v19
	v_fma_f32 v5, v164, v16, -v5
	v_fmac_f32_e32 v211, v167, v18
	s_delay_alu instid0(VALU_DEP_4) | instskip(SKIP_3) | instid1(VALU_DEP_4)
	v_dual_add_f32 v2, v2, v6 :: v_dual_add_f32 v3, v3, v209
	v_fmac_f32_e32 v212, v169, v20
	v_mul_f32_e32 v6, v169, v21
	v_fma_f32 v4, v166, v18, -v4
	v_dual_add_f32 v2, v2, v5 :: v_dual_add_f32 v3, v3, v210
	v_mul_f32_e32 v5, v171, v123
	s_delay_alu instid0(VALU_DEP_4) | instskip(SKIP_1) | instid1(VALU_DEP_4)
	v_fma_f32 v6, v168, v20, -v6
	v_dual_mul_f32 v214, v172, v125 :: v_dual_mul_f32 v215, v174, v127
	v_dual_add_f32 v2, v2, v4 :: v_dual_add_f32 v3, v3, v211
	v_dual_mul_f32 v4, v173, v125 :: v_dual_fmac_f32 v213, v171, v122
	s_delay_alu instid0(VALU_DEP_3) | instskip(SKIP_1) | instid1(VALU_DEP_4)
	v_fmac_f32_e32 v214, v173, v124
	v_fma_f32 v5, v170, v122, -v5
	v_dual_add_f32 v2, v2, v6 :: v_dual_add_f32 v3, v3, v212
	v_mul_f32_e32 v6, v175, v127
	v_fma_f32 v4, v172, v124, -v4
	s_delay_alu instid0(VALU_DEP_3) | instskip(NEXT) | instid1(VALU_DEP_4)
	v_dual_fmac_f32 v215, v175, v126 :: v_dual_add_f32 v2, v2, v5
	v_add_f32_e32 v3, v3, v213
	v_dual_mul_f32 v216, v176, v129 :: v_dual_mul_f32 v217, v178, v131
	v_mul_f32_e32 v5, v177, v129
	v_fma_f32 v6, v174, v126, -v6
	s_delay_alu instid0(VALU_DEP_4) | instskip(NEXT) | instid1(VALU_DEP_4)
	v_dual_add_f32 v2, v2, v4 :: v_dual_add_f32 v3, v3, v214
	v_fmac_f32_e32 v216, v177, v128
	v_mul_f32_e32 v4, v179, v131
	v_fma_f32 v5, v176, v128, -v5
	s_delay_alu instid0(VALU_DEP_4) | instskip(SKIP_3) | instid1(VALU_DEP_4)
	v_dual_add_f32 v2, v2, v6 :: v_dual_add_f32 v3, v3, v215
	v_dual_mul_f32 v218, v180, v133 :: v_dual_mul_f32 v219, v182, v135
	v_dual_mul_f32 v6, v181, v133 :: v_dual_fmac_f32 v217, v179, v130
	v_fma_f32 v4, v178, v130, -v4
	v_dual_add_f32 v2, v2, v5 :: v_dual_add_f32 v3, v3, v216
	v_dual_mul_f32 v220, v184, v137 :: v_dual_mul_f32 v221, v186, v139
	v_dual_mul_f32 v5, v183, v135 :: v_dual_fmac_f32 v218, v181, v132
	v_fma_f32 v6, v180, v132, -v6
	s_delay_alu instid0(VALU_DEP_4) | instskip(SKIP_1) | instid1(VALU_DEP_4)
	v_dual_add_f32 v2, v2, v4 :: v_dual_add_f32 v3, v3, v217
	v_dual_mul_f32 v4, v185, v137 :: v_dual_fmac_f32 v219, v183, v134
	v_fma_f32 v5, v182, v134, -v5
	s_delay_alu instid0(VALU_DEP_3) | instskip(NEXT) | instid1(VALU_DEP_4)
	v_dual_fmac_f32 v220, v185, v136 :: v_dual_add_f32 v3, v3, v218
	v_add_f32_e32 v2, v2, v6
	v_mul_f32_e32 v6, v187, v139
	v_fma_f32 v4, v184, v136, -v4
	v_dual_mul_f32 v222, v188, v141 :: v_dual_mul_f32 v223, v190, v143
	s_delay_alu instid0(VALU_DEP_4) | instskip(SKIP_3) | instid1(VALU_DEP_4)
	v_dual_add_f32 v3, v3, v219 :: v_dual_add_f32 v2, v2, v5
	v_fmac_f32_e32 v221, v187, v138
	v_mul_f32_e32 v5, v189, v141
	v_fma_f32 v6, v186, v138, -v6
	v_add_f32_e32 v3, v3, v220
	v_add_f32_e32 v2, v2, v4
	v_mul_f32_e32 v4, v191, v143
	v_dual_fmac_f32 v222, v189, v140 :: v_dual_fmac_f32 v223, v191, v142
	v_fma_f32 v5, v188, v140, -v5
	s_delay_alu instid0(VALU_DEP_4) | instskip(SKIP_3) | instid1(VALU_DEP_4)
	v_dual_add_f32 v3, v3, v221 :: v_dual_add_f32 v2, v2, v6
	v_mul_f32_e32 v6, v193, v145
	v_fma_f32 v4, v190, v142, -v4
	v_dual_mul_f32 v225, v194, v147 :: v_dual_mul_f32 v226, v196, v149
	v_dual_add_f32 v2, v2, v5 :: v_dual_mul_f32 v5, v195, v147
	v_dual_add_f32 v3, v3, v222 :: v_dual_fmac_f32 v224, v193, v144
	v_fma_f32 v6, v192, v144, -v6
	s_delay_alu instid0(VALU_DEP_3) | instskip(NEXT) | instid1(VALU_DEP_3)
	v_dual_add_f32 v2, v2, v4 :: v_dual_fmac_f32 v225, v195, v146
	v_dual_add_f32 v3, v3, v223 :: v_dual_mul_f32 v4, v197, v149
	v_fma_f32 v5, v194, v146, -v5
	v_dual_fmac_f32 v226, v197, v148 :: v_dual_fmac_f32 v227, v203, v198
	s_delay_alu instid0(VALU_DEP_3) | instskip(SKIP_2) | instid1(VALU_DEP_3)
	v_dual_add_f32 v3, v3, v224 :: v_dual_add_f32 v2, v2, v6
	v_mul_f32_e32 v6, v203, v199
	v_fma_f32 v4, v196, v148, -v4
	v_add_f32_e32 v3, v3, v225
	s_delay_alu instid0(VALU_DEP_4) | instskip(NEXT) | instid1(VALU_DEP_4)
	v_add_f32_e32 v2, v2, v5
	v_fma_f32 v5, v202, v198, -v6
	s_delay_alu instid0(VALU_DEP_2) | instskip(NEXT) | instid1(VALU_DEP_1)
	v_dual_add_f32 v3, v3, v226 :: v_dual_add_f32 v2, v2, v4
	v_dual_add_f32 v3, v3, v227 :: v_dual_add_f32 v2, v2, v5
	s_wait_loadcnt 0x0
	s_delay_alu instid0(VALU_DEP_1)
	v_dual_sub_f32 v3, v201, v3 :: v_dual_sub_f32 v2, v200, v2
	scratch_store_b64 off, v[2:3], off offset:184
	v_cmpx_lt_u32_e32 22, v0
	s_cbranch_execz .LBB112_263
; %bb.262:
	scratch_load_b64 v[3:4], off, off offset:176
	v_mov_b32_e32 v2, v1
	scratch_store_b64 off, v[1:2], off offset:176
	s_wait_loadcnt 0x0
	ds_store_b64 v23, v[3:4]
.LBB112_263:
	s_wait_alu 0xfffe
	s_or_b32 exec_lo, exec_lo, s0
	s_wait_storecnt_dscnt 0x0
	s_barrier_signal -1
	s_barrier_wait -1
	global_inv scope:SCOPE_SE
	s_clause 0xd
	scratch_load_b128 v[2:5], off, off offset:184
	scratch_load_b128 v[6:9], off, off offset:200
	;; [unrolled: 1-line block ×13, first 2 shown]
	scratch_load_b64 v[206:207], off, off offset:176
	ds_load_2addr_b64 v[154:157], v1 offset0:73 offset1:74
	ds_load_2addr_b64 v[158:161], v1 offset0:75 offset1:76
	;; [unrolled: 1-line block ×13, first 2 shown]
	s_mov_b32 s0, exec_lo
	s_wait_loadcnt_dscnt 0xd0c
	v_dual_mul_f32 v1, v154, v3 :: v_dual_mul_f32 v22, v156, v5
	v_mul_f32_e32 v3, v155, v3
	s_wait_loadcnt_dscnt 0xc0b
	v_dual_mul_f32 v5, v157, v5 :: v_dual_mul_f32 v208, v158, v7
	s_delay_alu instid0(VALU_DEP_3) | instskip(NEXT) | instid1(VALU_DEP_3)
	v_dual_mul_f32 v209, v160, v9 :: v_dual_fmac_f32 v22, v157, v4
	v_fma_f32 v3, v154, v2, -v3
	v_fmac_f32_e32 v1, v155, v2
	v_mul_f32_e32 v2, v159, v7
	v_fma_f32 v4, v156, v4, -v5
	s_delay_alu instid0(VALU_DEP_4)
	v_dual_fmac_f32 v208, v159, v6 :: v_dual_add_f32 v3, 0, v3
	s_wait_loadcnt_dscnt 0x908
	v_dual_mul_f32 v214, v170, v19 :: v_dual_mul_f32 v215, v172, v21
	v_fma_f32 v2, v158, v6, -v2
	v_dual_mul_f32 v210, v162, v11 :: v_dual_mul_f32 v211, v164, v13
	v_add_f32_e32 v3, v3, v4
	v_dual_mul_f32 v5, v161, v9 :: v_dual_mul_f32 v212, v166, v15
	v_dual_mul_f32 v213, v168, v17 :: v_dual_mul_f32 v4, v163, v11
	s_delay_alu instid0(VALU_DEP_3) | instskip(NEXT) | instid1(VALU_DEP_3)
	v_add_f32_e32 v2, v3, v2
	v_fma_f32 v5, v160, v8, -v5
	v_dual_mul_f32 v3, v165, v13 :: v_dual_fmac_f32 v214, v171, v18
	s_delay_alu instid0(VALU_DEP_4) | instskip(SKIP_1) | instid1(VALU_DEP_4)
	v_fma_f32 v4, v162, v10, -v4
	v_dual_fmac_f32 v209, v161, v8 :: v_dual_fmac_f32 v210, v163, v10
	v_add_f32_e32 v2, v2, v5
	v_add_f32_e32 v1, 0, v1
	v_fma_f32 v3, v164, v12, -v3
	v_fmac_f32_e32 v212, v167, v14
	s_wait_loadcnt_dscnt 0x807
	v_dual_mul_f32 v216, v174, v123 :: v_dual_mul_f32 v217, v176, v125
	v_dual_add_f32 v1, v1, v22 :: v_dual_add_f32 v2, v2, v4
	v_mul_f32_e32 v4, v169, v17
	s_wait_loadcnt_dscnt 0x605
	v_dual_mul_f32 v220, v182, v131 :: v_dual_mul_f32 v221, v184, v133
	s_delay_alu instid0(VALU_DEP_3) | instskip(NEXT) | instid1(VALU_DEP_3)
	v_dual_add_f32 v1, v1, v208 :: v_dual_add_f32 v2, v2, v3
	v_fma_f32 v4, v168, v16, -v4
	v_mul_f32_e32 v5, v167, v15
	v_dual_mul_f32 v218, v178, v127 :: v_dual_mul_f32 v219, v180, v129
	s_wait_loadcnt_dscnt 0x302
	v_dual_add_f32 v1, v1, v209 :: v_dual_mul_f32 v226, v194, v143
	v_mul_f32_e32 v227, v196, v145
	v_fma_f32 v5, v166, v14, -v5
	v_fmac_f32_e32 v211, v165, v12
	s_delay_alu instid0(VALU_DEP_4)
	v_add_f32_e32 v1, v1, v210
	v_fmac_f32_e32 v216, v175, v122
	v_dual_mul_f32 v222, v186, v135 :: v_dual_mul_f32 v223, v188, v137
	v_add_f32_e32 v2, v2, v5
	v_dual_fmac_f32 v218, v179, v126 :: v_dual_fmac_f32 v217, v177, v124
	v_dual_mul_f32 v224, v190, v139 :: v_dual_mul_f32 v225, v192, v141
	s_delay_alu instid0(VALU_DEP_3) | instskip(SKIP_2) | instid1(VALU_DEP_4)
	v_add_f32_e32 v2, v2, v4
	v_mul_f32_e32 v4, v175, v123
	v_add_f32_e32 v1, v1, v211
	v_dual_fmac_f32 v219, v181, v128 :: v_dual_fmac_f32 v224, v191, v138
	v_fmac_f32_e32 v221, v185, v132
	s_delay_alu instid0(VALU_DEP_4) | instskip(SKIP_4) | instid1(VALU_DEP_3)
	v_fma_f32 v4, v174, v122, -v4
	v_mul_f32_e32 v5, v173, v21
	s_wait_loadcnt_dscnt 0x201
	v_dual_add_f32 v1, v1, v212 :: v_dual_mul_f32 v228, v198, v147
	v_dual_mul_f32 v229, v200, v149 :: v_dual_fmac_f32 v220, v183, v130
	v_fma_f32 v5, v172, v20, -v5
	v_mul_f32_e32 v3, v171, v19
	s_wait_loadcnt_dscnt 0x100
	v_dual_mul_f32 v230, v202, v151 :: v_dual_mul_f32 v231, v204, v153
	v_fmac_f32_e32 v227, v197, v144
	v_fmac_f32_e32 v229, v201, v148
	v_fma_f32 v3, v170, v18, -v3
	v_fmac_f32_e32 v213, v169, v16
	v_dual_fmac_f32 v231, v205, v152 :: v_dual_fmac_f32 v226, v195, v142
	v_fmac_f32_e32 v222, v187, v134
	s_delay_alu instid0(VALU_DEP_4) | instskip(SKIP_2) | instid1(VALU_DEP_3)
	v_dual_add_f32 v2, v2, v3 :: v_dual_mul_f32 v3, v177, v125
	v_fmac_f32_e32 v228, v199, v146
	v_fmac_f32_e32 v230, v203, v150
	v_dual_add_f32 v2, v2, v5 :: v_dual_mul_f32 v5, v179, v127
	s_delay_alu instid0(VALU_DEP_4) | instskip(NEXT) | instid1(VALU_DEP_2)
	v_fma_f32 v3, v176, v124, -v3
	v_dual_add_f32 v2, v2, v4 :: v_dual_add_f32 v1, v1, v213
	v_mul_f32_e32 v4, v181, v129
	s_delay_alu instid0(VALU_DEP_4) | instskip(NEXT) | instid1(VALU_DEP_3)
	v_fma_f32 v5, v178, v126, -v5
	v_dual_add_f32 v2, v2, v3 :: v_dual_fmac_f32 v215, v173, v20
	s_delay_alu instid0(VALU_DEP_3) | instskip(NEXT) | instid1(VALU_DEP_2)
	v_fma_f32 v4, v180, v128, -v4
	v_add_f32_e32 v2, v2, v5
	v_mul_f32_e32 v5, v185, v133
	s_delay_alu instid0(VALU_DEP_2) | instskip(NEXT) | instid1(VALU_DEP_2)
	v_dual_add_f32 v1, v1, v214 :: v_dual_add_f32 v2, v2, v4
	v_fma_f32 v5, v184, v132, -v5
	v_mul_f32_e32 v3, v183, v131
	s_delay_alu instid0(VALU_DEP_3) | instskip(SKIP_1) | instid1(VALU_DEP_3)
	v_add_f32_e32 v1, v1, v215
	v_mul_f32_e32 v4, v187, v135
	v_fma_f32 v3, v182, v130, -v3
	s_delay_alu instid0(VALU_DEP_3) | instskip(NEXT) | instid1(VALU_DEP_3)
	v_add_f32_e32 v1, v1, v216
	v_fma_f32 v4, v186, v134, -v4
	s_delay_alu instid0(VALU_DEP_3) | instskip(NEXT) | instid1(VALU_DEP_1)
	v_add_f32_e32 v2, v2, v3
	v_add_f32_e32 v2, v2, v5
	s_delay_alu instid0(VALU_DEP_4) | instskip(NEXT) | instid1(VALU_DEP_2)
	v_add_f32_e32 v1, v1, v217
	v_dual_mul_f32 v5, v191, v139 :: v_dual_add_f32 v2, v2, v4
	v_mul_f32_e32 v4, v193, v141
	s_delay_alu instid0(VALU_DEP_2) | instskip(NEXT) | instid1(VALU_DEP_2)
	v_fma_f32 v5, v190, v138, -v5
	v_fma_f32 v4, v192, v140, -v4
	v_mul_f32_e32 v3, v189, v137
	s_delay_alu instid0(VALU_DEP_1) | instskip(NEXT) | instid1(VALU_DEP_1)
	v_fma_f32 v3, v188, v136, -v3
	v_dual_add_f32 v1, v1, v218 :: v_dual_add_f32 v2, v2, v3
	s_delay_alu instid0(VALU_DEP_1) | instskip(NEXT) | instid1(VALU_DEP_2)
	v_add_f32_e32 v1, v1, v219
	v_dual_mul_f32 v3, v195, v143 :: v_dual_add_f32 v2, v2, v5
	v_mul_f32_e32 v5, v197, v145
	s_delay_alu instid0(VALU_DEP_2) | instskip(NEXT) | instid1(VALU_DEP_3)
	v_fma_f32 v3, v194, v142, -v3
	v_add_f32_e32 v2, v2, v4
	v_dual_add_f32 v1, v1, v220 :: v_dual_mul_f32 v4, v199, v147
	s_delay_alu instid0(VALU_DEP_4) | instskip(NEXT) | instid1(VALU_DEP_2)
	v_fma_f32 v5, v196, v144, -v5
	v_dual_add_f32 v2, v2, v3 :: v_dual_add_f32 v1, v1, v221
	v_fmac_f32_e32 v223, v189, v136
	v_mul_f32_e32 v3, v201, v149
	v_fma_f32 v4, v198, v146, -v4
	s_delay_alu instid0(VALU_DEP_4) | instskip(SKIP_1) | instid1(VALU_DEP_4)
	v_dual_add_f32 v2, v2, v5 :: v_dual_add_f32 v1, v1, v222
	v_mul_f32_e32 v5, v203, v151
	v_fma_f32 v3, v200, v148, -v3
	s_delay_alu instid0(VALU_DEP_3) | instskip(SKIP_1) | instid1(VALU_DEP_4)
	v_dual_add_f32 v2, v2, v4 :: v_dual_add_f32 v1, v1, v223
	v_fmac_f32_e32 v225, v193, v140
	v_fma_f32 v5, v202, v150, -v5
	v_mul_f32_e32 v4, v205, v153
	s_delay_alu instid0(VALU_DEP_4) | instskip(NEXT) | instid1(VALU_DEP_2)
	v_dual_add_f32 v2, v2, v3 :: v_dual_add_f32 v1, v1, v224
	v_fma_f32 v3, v204, v152, -v4
	s_delay_alu instid0(VALU_DEP_2) | instskip(NEXT) | instid1(VALU_DEP_1)
	v_add_f32_e32 v2, v2, v5
	v_dual_add_f32 v1, v1, v225 :: v_dual_add_f32 v2, v2, v3
	s_delay_alu instid0(VALU_DEP_1) | instskip(NEXT) | instid1(VALU_DEP_1)
	v_add_f32_e32 v1, v1, v226
	v_add_f32_e32 v1, v1, v227
	s_delay_alu instid0(VALU_DEP_1) | instskip(NEXT) | instid1(VALU_DEP_1)
	v_add_f32_e32 v1, v1, v228
	v_add_f32_e32 v1, v1, v229
	;; [unrolled: 3-line block ×3, first 2 shown]
	s_wait_loadcnt 0x0
	s_delay_alu instid0(VALU_DEP_1)
	v_dual_sub_f32 v1, v206, v2 :: v_dual_sub_f32 v2, v207, v3
	scratch_store_b64 off, v[1:2], off offset:176
	v_cmpx_lt_u32_e32 21, v0
	s_cbranch_execz .LBB112_265
; %bb.264:
	scratch_load_b64 v[1:2], off, off offset:168
	v_mov_b32_e32 v3, 0
	s_delay_alu instid0(VALU_DEP_1)
	v_mov_b32_e32 v4, v3
	scratch_store_b64 off, v[3:4], off offset:168
	s_wait_loadcnt 0x0
	ds_store_b64 v23, v[1:2]
.LBB112_265:
	s_wait_alu 0xfffe
	s_or_b32 exec_lo, exec_lo, s0
	s_wait_storecnt_dscnt 0x0
	s_barrier_signal -1
	s_barrier_wait -1
	global_inv scope:SCOPE_SE
	s_clause 0xe
	scratch_load_b128 v[2:5], off, off offset:176
	scratch_load_b128 v[6:9], off, off offset:192
	;; [unrolled: 1-line block ×13, first 2 shown]
	scratch_load_b64 v[206:207], off, off offset:384
	scratch_load_b64 v[208:209], off, off offset:168
	v_mov_b32_e32 v1, 0
	ds_load_b128 v[154:157], v1 offset:576
	ds_load_b128 v[158:161], v1 offset:592
	;; [unrolled: 1-line block ×13, first 2 shown]
	ds_load_b64 v[210:211], v1 offset:784
	s_mov_b32 s0, exec_lo
	s_wait_loadcnt_dscnt 0xe0d
	v_mul_f32_e32 v22, v154, v3
	s_wait_loadcnt_dscnt 0xd0c
	v_dual_mul_f32 v212, v156, v5 :: v_dual_mul_f32 v213, v158, v7
	v_mul_f32_e32 v5, v157, v5
	s_wait_loadcnt_dscnt 0xc0b
	v_dual_mul_f32 v214, v160, v9 :: v_dual_mul_f32 v215, v162, v11
	s_wait_loadcnt_dscnt 0xb0a
	v_dual_mul_f32 v216, v164, v13 :: v_dual_mul_f32 v217, v166, v15
	v_mul_f32_e32 v3, v155, v3
	v_fmac_f32_e32 v22, v155, v2
	s_delay_alu instid0(VALU_DEP_3)
	v_dual_fmac_f32 v215, v163, v10 :: v_dual_fmac_f32 v216, v165, v12
	s_wait_loadcnt_dscnt 0x100
	v_dual_mul_f32 v234, v200, v149 :: v_dual_mul_f32 v237, v210, v207
	v_fma_f32 v3, v154, v2, -v3
	v_mul_f32_e32 v2, v159, v7
	v_fmac_f32_e32 v212, v157, v4
	v_fma_f32 v4, v156, v4, -v5
	v_dual_add_f32 v5, 0, v22 :: v_dual_fmac_f32 v214, v161, v8
	v_add_f32_e32 v3, 0, v3
	v_fmac_f32_e32 v213, v159, v6
	v_fma_f32 v2, v158, v6, -v2
	v_dual_mul_f32 v218, v168, v17 :: v_dual_mul_f32 v219, v170, v19
	s_delay_alu instid0(VALU_DEP_4) | instskip(SKIP_2) | instid1(VALU_DEP_4)
	v_add_f32_e32 v3, v3, v4
	v_mul_f32_e32 v7, v161, v9
	v_dual_add_f32 v4, v5, v212 :: v_dual_fmac_f32 v217, v167, v14
	v_fmac_f32_e32 v218, v169, v16
	s_delay_alu instid0(VALU_DEP_4) | instskip(NEXT) | instid1(VALU_DEP_4)
	v_add_f32_e32 v2, v3, v2
	v_fma_f32 v6, v160, v8, -v7
	v_mul_f32_e32 v5, v163, v11
	v_add_f32_e32 v3, v4, v213
	v_mul_f32_e32 v4, v165, v13
	v_dual_mul_f32 v220, v172, v21 :: v_dual_mul_f32 v221, v174, v123
	v_add_f32_e32 v2, v2, v6
	v_fma_f32 v5, v162, v10, -v5
	v_mul_f32_e32 v6, v167, v15
	v_add_f32_e32 v3, v3, v214
	v_fma_f32 v4, v164, v12, -v4
	v_dual_mul_f32 v222, v176, v125 :: v_dual_mul_f32 v223, v178, v127
	s_delay_alu instid0(VALU_DEP_3) | instskip(SKIP_2) | instid1(VALU_DEP_3)
	v_dual_add_f32 v2, v2, v5 :: v_dual_add_f32 v3, v3, v215
	v_mul_f32_e32 v5, v169, v17
	v_fma_f32 v6, v166, v14, -v6
	v_dual_fmac_f32 v219, v171, v18 :: v_dual_add_f32 v2, v2, v4
	s_delay_alu instid0(VALU_DEP_4) | instskip(SKIP_3) | instid1(VALU_DEP_4)
	v_add_f32_e32 v3, v3, v216
	v_mul_f32_e32 v4, v171, v19
	v_fma_f32 v5, v168, v16, -v5
	v_fmac_f32_e32 v220, v173, v20
	v_dual_add_f32 v2, v2, v6 :: v_dual_add_f32 v3, v3, v217
	v_mul_f32_e32 v6, v173, v21
	v_fma_f32 v4, v170, v18, -v4
	v_dual_fmac_f32 v221, v175, v122 :: v_dual_fmac_f32 v222, v177, v124
	s_delay_alu instid0(VALU_DEP_4) | instskip(SKIP_3) | instid1(VALU_DEP_4)
	v_dual_add_f32 v2, v2, v5 :: v_dual_add_f32 v3, v3, v218
	v_mul_f32_e32 v5, v175, v123
	v_fma_f32 v6, v172, v20, -v6
	v_dual_mul_f32 v224, v180, v129 :: v_dual_mul_f32 v225, v182, v131
	v_dual_add_f32 v2, v2, v4 :: v_dual_add_f32 v3, v3, v219
	v_mul_f32_e32 v4, v177, v125
	v_fma_f32 v5, v174, v122, -v5
	v_fmac_f32_e32 v223, v179, v126
	s_delay_alu instid0(VALU_DEP_4) | instskip(SKIP_3) | instid1(VALU_DEP_4)
	v_dual_add_f32 v2, v2, v6 :: v_dual_add_f32 v3, v3, v220
	v_mul_f32_e32 v6, v179, v127
	v_fma_f32 v4, v176, v124, -v4
	v_fmac_f32_e32 v224, v181, v128
	v_add_f32_e32 v2, v2, v5
	v_add_f32_e32 v3, v3, v221
	v_mul_f32_e32 v5, v181, v129
	v_fma_f32 v6, v178, v126, -v6
	v_dual_mul_f32 v226, v184, v133 :: v_dual_mul_f32 v227, v186, v135
	s_delay_alu instid0(VALU_DEP_4) | instskip(SKIP_3) | instid1(VALU_DEP_4)
	v_dual_add_f32 v2, v2, v4 :: v_dual_add_f32 v3, v3, v222
	v_mul_f32_e32 v4, v183, v131
	v_fma_f32 v5, v180, v128, -v5
	v_fmac_f32_e32 v225, v183, v130
	v_dual_add_f32 v2, v2, v6 :: v_dual_add_f32 v3, v3, v223
	v_mul_f32_e32 v6, v185, v133
	v_fma_f32 v4, v182, v130, -v4
	v_fmac_f32_e32 v226, v185, v132
	s_delay_alu instid0(VALU_DEP_4) | instskip(SKIP_2) | instid1(VALU_DEP_3)
	v_dual_add_f32 v2, v2, v5 :: v_dual_add_f32 v3, v3, v224
	v_dual_mul_f32 v5, v187, v135 :: v_dual_mul_f32 v228, v188, v137
	v_mul_f32_e32 v229, v190, v139
	v_dual_add_f32 v2, v2, v4 :: v_dual_add_f32 v3, v3, v225
	v_fma_f32 v6, v184, v132, -v6
	v_dual_mul_f32 v4, v189, v137 :: v_dual_fmac_f32 v227, v187, v134
	v_fma_f32 v5, v186, v134, -v5
	s_delay_alu instid0(VALU_DEP_4) | instskip(NEXT) | instid1(VALU_DEP_4)
	v_dual_add_f32 v3, v3, v226 :: v_dual_fmac_f32 v228, v189, v136
	v_add_f32_e32 v2, v2, v6
	v_mul_f32_e32 v6, v191, v139
	v_dual_mul_f32 v230, v192, v141 :: v_dual_mul_f32 v231, v194, v143
	s_delay_alu instid0(VALU_DEP_4) | instskip(SKIP_3) | instid1(VALU_DEP_4)
	v_add_f32_e32 v3, v3, v227
	v_fma_f32 v4, v188, v136, -v4
	v_dual_add_f32 v2, v2, v5 :: v_dual_fmac_f32 v229, v191, v138
	v_fma_f32 v6, v190, v138, -v6
	v_add_f32_e32 v3, v3, v228
	s_delay_alu instid0(VALU_DEP_3) | instskip(SKIP_1) | instid1(VALU_DEP_3)
	v_dual_mul_f32 v5, v193, v141 :: v_dual_add_f32 v2, v2, v4
	v_dual_fmac_f32 v230, v193, v140 :: v_dual_fmac_f32 v231, v195, v142
	v_add_f32_e32 v3, v3, v229
	v_dual_mul_f32 v232, v196, v145 :: v_dual_mul_f32 v233, v198, v147
	v_mul_f32_e32 v4, v195, v143
	v_fma_f32 v5, v192, v140, -v5
	v_add_f32_e32 v2, v2, v6
	v_dual_mul_f32 v6, v197, v145 :: v_dual_add_f32 v3, v3, v230
	s_delay_alu instid0(VALU_DEP_4) | instskip(SKIP_1) | instid1(VALU_DEP_4)
	v_fma_f32 v4, v194, v142, -v4
	v_fmac_f32_e32 v232, v197, v144
	v_dual_add_f32 v2, v2, v5 :: v_dual_mul_f32 v5, v199, v147
	s_delay_alu instid0(VALU_DEP_4) | instskip(SKIP_1) | instid1(VALU_DEP_3)
	v_add_f32_e32 v3, v3, v231
	v_fma_f32 v6, v196, v144, -v6
	v_dual_fmac_f32 v233, v199, v146 :: v_dual_add_f32 v2, v2, v4
	s_delay_alu instid0(VALU_DEP_3) | instskip(SKIP_2) | instid1(VALU_DEP_3)
	v_dual_mul_f32 v4, v201, v149 :: v_dual_add_f32 v3, v3, v232
	v_dual_mul_f32 v235, v202, v151 :: v_dual_mul_f32 v236, v204, v153
	v_fma_f32 v5, v198, v146, -v5
	v_dual_add_f32 v2, v2, v6 :: v_dual_add_f32 v3, v3, v233
	s_delay_alu instid0(VALU_DEP_3) | instskip(SKIP_2) | instid1(VALU_DEP_3)
	v_dual_fmac_f32 v234, v201, v148 :: v_dual_fmac_f32 v235, v203, v150
	v_mul_f32_e32 v6, v203, v151
	v_fma_f32 v4, v200, v148, -v4
	v_dual_add_f32 v2, v2, v5 :: v_dual_add_f32 v3, v3, v234
	v_mul_f32_e32 v5, v205, v153
	s_delay_alu instid0(VALU_DEP_4) | instskip(SKIP_1) | instid1(VALU_DEP_4)
	v_fma_f32 v6, v202, v150, -v6
	v_dual_fmac_f32 v236, v205, v152 :: v_dual_fmac_f32 v237, v211, v206
	v_dual_add_f32 v2, v2, v4 :: v_dual_add_f32 v3, v3, v235
	v_mul_f32_e32 v4, v211, v207
	v_fma_f32 v5, v204, v152, -v5
	s_delay_alu instid0(VALU_DEP_3) | instskip(NEXT) | instid1(VALU_DEP_3)
	v_dual_add_f32 v2, v2, v6 :: v_dual_add_f32 v3, v3, v236
	v_fma_f32 v4, v210, v206, -v4
	s_delay_alu instid0(VALU_DEP_2) | instskip(SKIP_1) | instid1(VALU_DEP_1)
	v_add_f32_e32 v3, v3, v237
	s_wait_loadcnt 0x0
	v_dual_add_f32 v2, v2, v5 :: v_dual_sub_f32 v3, v209, v3
	s_delay_alu instid0(VALU_DEP_1) | instskip(NEXT) | instid1(VALU_DEP_1)
	v_add_f32_e32 v2, v2, v4
	v_sub_f32_e32 v2, v208, v2
	scratch_store_b64 off, v[2:3], off offset:168
	v_cmpx_lt_u32_e32 20, v0
	s_cbranch_execz .LBB112_267
; %bb.266:
	scratch_load_b64 v[3:4], off, off offset:160
	v_mov_b32_e32 v2, v1
	scratch_store_b64 off, v[1:2], off offset:160
	s_wait_loadcnt 0x0
	ds_store_b64 v23, v[3:4]
.LBB112_267:
	s_wait_alu 0xfffe
	s_or_b32 exec_lo, exec_lo, s0
	s_wait_storecnt_dscnt 0x0
	s_barrier_signal -1
	s_barrier_wait -1
	global_inv scope:SCOPE_SE
	s_clause 0xe
	scratch_load_b128 v[2:5], off, off offset:168
	scratch_load_b128 v[6:9], off, off offset:184
	;; [unrolled: 1-line block ×14, first 2 shown]
	scratch_load_b64 v[214:215], off, off offset:160
	ds_load_2addr_b64 v[158:161], v1 offset0:71 offset1:72
	ds_load_2addr_b64 v[162:165], v1 offset0:73 offset1:74
	;; [unrolled: 1-line block ×14, first 2 shown]
	s_mov_b32 s0, exec_lo
	s_wait_loadcnt_dscnt 0xe0d
	v_dual_mul_f32 v1, v158, v3 :: v_dual_mul_f32 v22, v160, v5
	v_mul_f32_e32 v3, v159, v3
	s_wait_loadcnt_dscnt 0xd0c
	v_dual_mul_f32 v5, v161, v5 :: v_dual_mul_f32 v216, v162, v7
	s_delay_alu instid0(VALU_DEP_3) | instskip(NEXT) | instid1(VALU_DEP_3)
	v_dual_mul_f32 v217, v164, v9 :: v_dual_fmac_f32 v22, v161, v4
	v_fma_f32 v3, v158, v2, -v3
	v_fmac_f32_e32 v1, v159, v2
	v_mul_f32_e32 v2, v163, v7
	v_fma_f32 v4, v160, v4, -v5
	s_delay_alu instid0(VALU_DEP_4)
	v_dual_fmac_f32 v216, v163, v6 :: v_dual_add_f32 v3, 0, v3
	s_wait_loadcnt_dscnt 0xa09
	v_dual_mul_f32 v222, v174, v19 :: v_dual_mul_f32 v223, v176, v21
	v_fma_f32 v2, v162, v6, -v2
	v_dual_mul_f32 v218, v166, v11 :: v_dual_mul_f32 v219, v168, v13
	v_add_f32_e32 v3, v3, v4
	v_dual_mul_f32 v5, v165, v9 :: v_dual_mul_f32 v220, v170, v15
	v_dual_mul_f32 v221, v172, v17 :: v_dual_mul_f32 v4, v167, v11
	s_delay_alu instid0(VALU_DEP_3) | instskip(NEXT) | instid1(VALU_DEP_3)
	v_add_f32_e32 v2, v3, v2
	v_fma_f32 v5, v164, v8, -v5
	v_dual_mul_f32 v3, v169, v13 :: v_dual_fmac_f32 v222, v175, v18
	s_delay_alu instid0(VALU_DEP_4) | instskip(SKIP_1) | instid1(VALU_DEP_4)
	v_fma_f32 v4, v166, v10, -v4
	v_dual_fmac_f32 v217, v165, v8 :: v_dual_fmac_f32 v218, v167, v10
	v_add_f32_e32 v2, v2, v5
	v_add_f32_e32 v1, 0, v1
	v_fma_f32 v3, v168, v12, -v3
	v_fmac_f32_e32 v220, v171, v14
	s_wait_loadcnt_dscnt 0x908
	v_dual_mul_f32 v224, v178, v123 :: v_dual_mul_f32 v225, v180, v125
	v_dual_add_f32 v1, v1, v22 :: v_dual_add_f32 v2, v2, v4
	v_mul_f32_e32 v4, v173, v17
	s_wait_loadcnt_dscnt 0x706
	v_dual_mul_f32 v228, v186, v131 :: v_dual_mul_f32 v229, v188, v133
	s_delay_alu instid0(VALU_DEP_3) | instskip(NEXT) | instid1(VALU_DEP_3)
	v_dual_add_f32 v1, v1, v216 :: v_dual_add_f32 v2, v2, v3
	v_fma_f32 v4, v172, v16, -v4
	v_mul_f32_e32 v5, v171, v15
	v_dual_mul_f32 v226, v182, v127 :: v_dual_mul_f32 v227, v184, v129
	s_wait_loadcnt_dscnt 0x403
	v_dual_add_f32 v1, v1, v217 :: v_dual_mul_f32 v234, v198, v143
	v_mul_f32_e32 v235, v200, v145
	v_fma_f32 v5, v170, v14, -v5
	v_fmac_f32_e32 v219, v169, v12
	s_delay_alu instid0(VALU_DEP_4)
	v_add_f32_e32 v1, v1, v218
	v_fmac_f32_e32 v224, v179, v122
	v_dual_mul_f32 v230, v190, v135 :: v_dual_mul_f32 v231, v192, v137
	v_add_f32_e32 v2, v2, v5
	v_dual_fmac_f32 v226, v183, v126 :: v_dual_fmac_f32 v225, v181, v124
	v_dual_mul_f32 v232, v194, v139 :: v_dual_mul_f32 v233, v196, v141
	s_delay_alu instid0(VALU_DEP_3) | instskip(SKIP_2) | instid1(VALU_DEP_4)
	v_add_f32_e32 v2, v2, v4
	v_mul_f32_e32 v4, v179, v123
	v_add_f32_e32 v1, v1, v219
	v_dual_fmac_f32 v227, v185, v128 :: v_dual_fmac_f32 v232, v195, v138
	s_wait_loadcnt_dscnt 0x100
	v_dual_mul_f32 v240, v210, v155 :: v_dual_mul_f32 v241, v212, v157
	v_fma_f32 v4, v178, v122, -v4
	v_mul_f32_e32 v5, v177, v21
	v_dual_add_f32 v1, v1, v220 :: v_dual_fmac_f32 v228, v187, v130
	v_dual_fmac_f32 v229, v189, v132 :: v_dual_mul_f32 v236, v202, v147
	v_mul_f32_e32 v237, v204, v149
	s_delay_alu instid0(VALU_DEP_4) | instskip(SKIP_2) | instid1(VALU_DEP_4)
	v_fma_f32 v5, v176, v20, -v5
	v_mul_f32_e32 v3, v175, v19
	v_dual_mul_f32 v238, v206, v151 :: v_dual_mul_f32 v239, v208, v153
	v_fmac_f32_e32 v237, v205, v148
	v_fmac_f32_e32 v241, v213, v156
	s_delay_alu instid0(VALU_DEP_4) | instskip(SKIP_3) | instid1(VALU_DEP_4)
	v_fma_f32 v3, v174, v18, -v3
	v_fmac_f32_e32 v221, v173, v16
	v_dual_fmac_f32 v239, v209, v152 :: v_dual_fmac_f32 v234, v199, v142
	v_fmac_f32_e32 v230, v191, v134
	v_dual_add_f32 v2, v2, v3 :: v_dual_mul_f32 v3, v181, v125
	v_fmac_f32_e32 v240, v211, v154
	v_fmac_f32_e32 v236, v203, v146
	;; [unrolled: 1-line block ×3, first 2 shown]
	s_delay_alu instid0(VALU_DEP_4) | instskip(SKIP_1) | instid1(VALU_DEP_2)
	v_dual_add_f32 v2, v2, v5 :: v_dual_mul_f32 v5, v183, v127
	v_fma_f32 v3, v180, v124, -v3
	v_dual_add_f32 v2, v2, v4 :: v_dual_add_f32 v1, v1, v221
	v_mul_f32_e32 v4, v185, v129
	s_delay_alu instid0(VALU_DEP_4) | instskip(NEXT) | instid1(VALU_DEP_3)
	v_fma_f32 v5, v182, v126, -v5
	v_dual_add_f32 v2, v2, v3 :: v_dual_fmac_f32 v223, v177, v20
	s_delay_alu instid0(VALU_DEP_3) | instskip(NEXT) | instid1(VALU_DEP_2)
	v_fma_f32 v4, v184, v128, -v4
	v_add_f32_e32 v2, v2, v5
	v_mul_f32_e32 v5, v189, v133
	s_delay_alu instid0(VALU_DEP_2) | instskip(NEXT) | instid1(VALU_DEP_2)
	v_dual_add_f32 v1, v1, v222 :: v_dual_add_f32 v2, v2, v4
	v_fma_f32 v5, v188, v132, -v5
	v_mul_f32_e32 v3, v187, v131
	s_delay_alu instid0(VALU_DEP_3) | instskip(SKIP_1) | instid1(VALU_DEP_3)
	v_add_f32_e32 v1, v1, v223
	v_mul_f32_e32 v4, v191, v135
	v_fma_f32 v3, v186, v130, -v3
	s_delay_alu instid0(VALU_DEP_3) | instskip(NEXT) | instid1(VALU_DEP_3)
	v_add_f32_e32 v1, v1, v224
	v_fma_f32 v4, v190, v134, -v4
	s_delay_alu instid0(VALU_DEP_3) | instskip(NEXT) | instid1(VALU_DEP_1)
	v_add_f32_e32 v2, v2, v3
	v_add_f32_e32 v2, v2, v5
	s_delay_alu instid0(VALU_DEP_4) | instskip(NEXT) | instid1(VALU_DEP_2)
	v_add_f32_e32 v1, v1, v225
	v_dual_mul_f32 v5, v195, v139 :: v_dual_add_f32 v2, v2, v4
	v_mul_f32_e32 v4, v197, v141
	s_delay_alu instid0(VALU_DEP_2) | instskip(NEXT) | instid1(VALU_DEP_2)
	v_fma_f32 v5, v194, v138, -v5
	v_fma_f32 v4, v196, v140, -v4
	v_mul_f32_e32 v3, v193, v137
	s_delay_alu instid0(VALU_DEP_1) | instskip(NEXT) | instid1(VALU_DEP_1)
	v_fma_f32 v3, v192, v136, -v3
	v_dual_add_f32 v1, v1, v226 :: v_dual_add_f32 v2, v2, v3
	s_delay_alu instid0(VALU_DEP_1) | instskip(NEXT) | instid1(VALU_DEP_2)
	v_add_f32_e32 v1, v1, v227
	v_dual_mul_f32 v3, v199, v143 :: v_dual_add_f32 v2, v2, v5
	v_mul_f32_e32 v5, v201, v145
	s_delay_alu instid0(VALU_DEP_2) | instskip(NEXT) | instid1(VALU_DEP_3)
	v_fma_f32 v3, v198, v142, -v3
	v_add_f32_e32 v2, v2, v4
	v_dual_add_f32 v1, v1, v228 :: v_dual_mul_f32 v4, v203, v147
	s_delay_alu instid0(VALU_DEP_4) | instskip(NEXT) | instid1(VALU_DEP_2)
	v_fma_f32 v5, v200, v144, -v5
	v_dual_add_f32 v2, v2, v3 :: v_dual_add_f32 v1, v1, v229
	v_fmac_f32_e32 v231, v193, v136
	v_mul_f32_e32 v3, v205, v149
	v_fma_f32 v4, v202, v146, -v4
	s_delay_alu instid0(VALU_DEP_4) | instskip(SKIP_1) | instid1(VALU_DEP_4)
	v_dual_add_f32 v2, v2, v5 :: v_dual_add_f32 v1, v1, v230
	v_mul_f32_e32 v5, v207, v151
	v_fma_f32 v3, v204, v148, -v3
	s_delay_alu instid0(VALU_DEP_3) | instskip(SKIP_3) | instid1(VALU_DEP_4)
	v_dual_add_f32 v2, v2, v4 :: v_dual_add_f32 v1, v1, v231
	v_fmac_f32_e32 v233, v197, v140
	v_mul_f32_e32 v4, v209, v153
	v_fma_f32 v5, v206, v150, -v5
	v_dual_add_f32 v2, v2, v3 :: v_dual_add_f32 v1, v1, v232
	v_mul_f32_e32 v3, v211, v155
	s_delay_alu instid0(VALU_DEP_4) | instskip(NEXT) | instid1(VALU_DEP_3)
	v_fma_f32 v4, v208, v152, -v4
	v_add_f32_e32 v2, v2, v5
	s_delay_alu instid0(VALU_DEP_4) | instskip(SKIP_2) | instid1(VALU_DEP_4)
	v_add_f32_e32 v1, v1, v233
	v_mul_f32_e32 v5, v213, v157
	v_fma_f32 v3, v210, v154, -v3
	v_add_f32_e32 v2, v2, v4
	v_fmac_f32_e32 v235, v201, v144
	s_delay_alu instid0(VALU_DEP_4) | instskip(NEXT) | instid1(VALU_DEP_3)
	v_fma_f32 v4, v212, v156, -v5
	v_dual_add_f32 v2, v2, v3 :: v_dual_add_f32 v1, v1, v234
	s_delay_alu instid0(VALU_DEP_1) | instskip(NEXT) | instid1(VALU_DEP_1)
	v_dual_add_f32 v2, v2, v4 :: v_dual_add_f32 v1, v1, v235
	v_add_f32_e32 v1, v1, v236
	s_delay_alu instid0(VALU_DEP_1) | instskip(NEXT) | instid1(VALU_DEP_1)
	v_add_f32_e32 v1, v1, v237
	v_add_f32_e32 v1, v1, v238
	s_delay_alu instid0(VALU_DEP_1) | instskip(NEXT) | instid1(VALU_DEP_1)
	v_add_f32_e32 v1, v1, v239
	v_add_f32_e32 v1, v1, v240
	s_delay_alu instid0(VALU_DEP_1) | instskip(SKIP_1) | instid1(VALU_DEP_1)
	v_add_f32_e32 v3, v1, v241
	s_wait_loadcnt 0x0
	v_dual_sub_f32 v1, v214, v2 :: v_dual_sub_f32 v2, v215, v3
	scratch_store_b64 off, v[1:2], off offset:160
	v_cmpx_lt_u32_e32 19, v0
	s_cbranch_execz .LBB112_269
; %bb.268:
	scratch_load_b64 v[1:2], off, off offset:152
	v_mov_b32_e32 v3, 0
	s_delay_alu instid0(VALU_DEP_1)
	v_mov_b32_e32 v4, v3
	scratch_store_b64 off, v[3:4], off offset:152
	s_wait_loadcnt 0x0
	ds_store_b64 v23, v[1:2]
.LBB112_269:
	s_wait_alu 0xfffe
	s_or_b32 exec_lo, exec_lo, s0
	s_wait_storecnt_dscnt 0x0
	s_barrier_signal -1
	s_barrier_wait -1
	global_inv scope:SCOPE_SE
	s_clause 0xf
	scratch_load_b128 v[2:5], off, off offset:160
	scratch_load_b128 v[6:9], off, off offset:176
	;; [unrolled: 1-line block ×14, first 2 shown]
	scratch_load_b64 v[214:215], off, off offset:384
	scratch_load_b64 v[216:217], off, off offset:152
	v_mov_b32_e32 v1, 0
	ds_load_b128 v[158:161], v1 offset:560
	ds_load_b128 v[162:165], v1 offset:576
	ds_load_b128 v[166:169], v1 offset:592
	ds_load_b128 v[170:173], v1 offset:608
	ds_load_b128 v[174:177], v1 offset:624
	ds_load_b128 v[178:181], v1 offset:640
	ds_load_b128 v[182:185], v1 offset:656
	ds_load_b128 v[186:189], v1 offset:672
	ds_load_b128 v[190:193], v1 offset:688
	ds_load_b128 v[194:197], v1 offset:704
	ds_load_b128 v[198:201], v1 offset:720
	ds_load_b128 v[202:205], v1 offset:736
	ds_load_b128 v[206:209], v1 offset:752
	ds_load_b128 v[210:213], v1 offset:768
	ds_load_b64 v[218:219], v1 offset:784
	s_mov_b32 s0, exec_lo
	s_wait_loadcnt_dscnt 0xf0e
	v_mul_f32_e32 v22, v158, v3
	s_wait_loadcnt_dscnt 0xe0d
	v_dual_mul_f32 v220, v160, v5 :: v_dual_mul_f32 v221, v162, v7
	v_mul_f32_e32 v5, v161, v5
	s_wait_loadcnt_dscnt 0xd0c
	v_dual_mul_f32 v222, v164, v9 :: v_dual_mul_f32 v223, v166, v11
	s_wait_loadcnt_dscnt 0xc0b
	v_dual_mul_f32 v224, v168, v13 :: v_dual_mul_f32 v225, v170, v15
	v_dual_mul_f32 v3, v159, v3 :: v_dual_mul_f32 v226, v172, v17
	s_wait_loadcnt_dscnt 0xb0a
	v_dual_mul_f32 v227, v174, v19 :: v_dual_fmac_f32 v22, v159, v2
	s_wait_loadcnt_dscnt 0x302
	v_mul_f32_e32 v244, v208, v153
	v_fma_f32 v3, v158, v2, -v3
	s_wait_loadcnt_dscnt 0x100
	v_mul_f32_e32 v247, v218, v215
	v_mul_f32_e32 v2, v163, v7
	v_fmac_f32_e32 v220, v161, v4
	v_fma_f32 v4, v160, v4, -v5
	v_add_f32_e32 v3, 0, v3
	v_dual_add_f32 v5, 0, v22 :: v_dual_fmac_f32 v222, v165, v8
	v_fmac_f32_e32 v221, v163, v6
	v_fma_f32 v2, v162, v6, -v2
	s_delay_alu instid0(VALU_DEP_4) | instskip(SKIP_3) | instid1(VALU_DEP_4)
	v_add_f32_e32 v3, v3, v4
	v_mul_f32_e32 v7, v165, v9
	v_dual_add_f32 v4, v5, v220 :: v_dual_fmac_f32 v223, v167, v10
	v_fmac_f32_e32 v224, v169, v12
	v_add_f32_e32 v2, v3, v2
	s_delay_alu instid0(VALU_DEP_4)
	v_fma_f32 v6, v164, v8, -v7
	v_mul_f32_e32 v5, v167, v11
	v_add_f32_e32 v3, v4, v221
	v_dual_mul_f32 v4, v169, v13 :: v_dual_fmac_f32 v225, v171, v14
	v_fmac_f32_e32 v226, v173, v16
	v_add_f32_e32 v2, v2, v6
	v_fma_f32 v5, v166, v10, -v5
	v_mul_f32_e32 v6, v171, v15
	v_add_f32_e32 v3, v3, v222
	v_fma_f32 v4, v168, v12, -v4
	v_dual_mul_f32 v228, v176, v21 :: v_dual_mul_f32 v229, v178, v123
	s_delay_alu instid0(VALU_DEP_3) | instskip(SKIP_3) | instid1(VALU_DEP_4)
	v_dual_add_f32 v2, v2, v5 :: v_dual_add_f32 v3, v3, v223
	v_mul_f32_e32 v5, v173, v17
	v_fma_f32 v6, v170, v14, -v6
	v_dual_mul_f32 v230, v180, v125 :: v_dual_mul_f32 v231, v182, v127
	v_add_f32_e32 v2, v2, v4
	v_add_f32_e32 v3, v3, v224
	v_mul_f32_e32 v4, v175, v19
	v_fma_f32 v5, v172, v16, -v5
	v_fmac_f32_e32 v227, v175, v18
	s_delay_alu instid0(VALU_DEP_4) | instskip(SKIP_3) | instid1(VALU_DEP_4)
	v_dual_add_f32 v2, v2, v6 :: v_dual_add_f32 v3, v3, v225
	v_fmac_f32_e32 v228, v177, v20
	v_mul_f32_e32 v6, v177, v21
	v_fma_f32 v4, v174, v18, -v4
	v_dual_add_f32 v2, v2, v5 :: v_dual_add_f32 v3, v3, v226
	v_mul_f32_e32 v5, v179, v123
	s_delay_alu instid0(VALU_DEP_4) | instskip(SKIP_1) | instid1(VALU_DEP_4)
	v_fma_f32 v6, v176, v20, -v6
	v_dual_fmac_f32 v229, v179, v122 :: v_dual_fmac_f32 v230, v181, v124
	v_dual_add_f32 v2, v2, v4 :: v_dual_add_f32 v3, v3, v227
	v_mul_f32_e32 v4, v181, v125
	v_fma_f32 v5, v178, v122, -v5
	v_fmac_f32_e32 v231, v183, v126
	s_delay_alu instid0(VALU_DEP_4) | instskip(SKIP_3) | instid1(VALU_DEP_4)
	v_dual_add_f32 v2, v2, v6 :: v_dual_add_f32 v3, v3, v228
	v_mul_f32_e32 v6, v183, v127
	v_fma_f32 v4, v180, v124, -v4
	v_dual_mul_f32 v232, v184, v129 :: v_dual_mul_f32 v233, v186, v131
	v_add_f32_e32 v2, v2, v5
	v_add_f32_e32 v3, v3, v229
	v_mul_f32_e32 v5, v185, v129
	v_fma_f32 v6, v182, v126, -v6
	v_fmac_f32_e32 v232, v185, v128
	s_delay_alu instid0(VALU_DEP_4) | instskip(SKIP_3) | instid1(VALU_DEP_4)
	v_dual_add_f32 v2, v2, v4 :: v_dual_add_f32 v3, v3, v230
	v_mul_f32_e32 v4, v187, v131
	v_fma_f32 v5, v184, v128, -v5
	v_dual_mul_f32 v234, v188, v133 :: v_dual_mul_f32 v235, v190, v135
	v_dual_add_f32 v2, v2, v6 :: v_dual_add_f32 v3, v3, v231
	v_dual_mul_f32 v6, v189, v133 :: v_dual_fmac_f32 v233, v187, v130
	v_fma_f32 v4, v186, v130, -v4
	s_delay_alu instid0(VALU_DEP_3) | instskip(SKIP_3) | instid1(VALU_DEP_4)
	v_dual_add_f32 v2, v2, v5 :: v_dual_add_f32 v3, v3, v232
	v_dual_mul_f32 v236, v192, v137 :: v_dual_mul_f32 v237, v194, v139
	v_dual_mul_f32 v5, v191, v135 :: v_dual_fmac_f32 v234, v189, v132
	v_fma_f32 v6, v188, v132, -v6
	v_dual_add_f32 v2, v2, v4 :: v_dual_add_f32 v3, v3, v233
	v_dual_mul_f32 v4, v193, v137 :: v_dual_fmac_f32 v235, v191, v134
	s_delay_alu instid0(VALU_DEP_4) | instskip(NEXT) | instid1(VALU_DEP_3)
	v_fma_f32 v5, v190, v134, -v5
	v_dual_fmac_f32 v236, v193, v136 :: v_dual_add_f32 v3, v3, v234
	s_delay_alu instid0(VALU_DEP_4) | instskip(SKIP_3) | instid1(VALU_DEP_4)
	v_add_f32_e32 v2, v2, v6
	v_mul_f32_e32 v6, v195, v139
	v_fma_f32 v4, v192, v136, -v4
	v_dual_mul_f32 v238, v196, v141 :: v_dual_mul_f32 v239, v198, v143
	v_dual_add_f32 v3, v3, v235 :: v_dual_add_f32 v2, v2, v5
	v_fmac_f32_e32 v237, v195, v138
	v_mul_f32_e32 v5, v197, v141
	v_fma_f32 v6, v194, v138, -v6
	s_delay_alu instid0(VALU_DEP_4) | instskip(SKIP_4) | instid1(VALU_DEP_4)
	v_add_f32_e32 v3, v3, v236
	v_add_f32_e32 v2, v2, v4
	v_mul_f32_e32 v4, v199, v143
	v_dual_fmac_f32 v238, v197, v140 :: v_dual_fmac_f32 v239, v199, v142
	v_fma_f32 v5, v196, v140, -v5
	v_dual_add_f32 v3, v3, v237 :: v_dual_add_f32 v2, v2, v6
	v_dual_mul_f32 v240, v200, v145 :: v_dual_mul_f32 v241, v202, v147
	s_delay_alu instid0(VALU_DEP_2) | instskip(SKIP_1) | instid1(VALU_DEP_4)
	v_dual_mul_f32 v6, v201, v145 :: v_dual_add_f32 v3, v3, v238
	v_fma_f32 v4, v198, v142, -v4
	v_dual_add_f32 v2, v2, v5 :: v_dual_mul_f32 v5, v203, v147
	s_delay_alu instid0(VALU_DEP_3) | instskip(NEXT) | instid1(VALU_DEP_4)
	v_dual_fmac_f32 v240, v201, v144 :: v_dual_add_f32 v3, v3, v239
	v_fma_f32 v6, v200, v144, -v6
	s_delay_alu instid0(VALU_DEP_3) | instskip(SKIP_1) | instid1(VALU_DEP_4)
	v_dual_add_f32 v2, v2, v4 :: v_dual_fmac_f32 v241, v203, v146
	v_dual_mul_f32 v242, v204, v149 :: v_dual_mul_f32 v243, v206, v151
	v_dual_mul_f32 v4, v205, v149 :: v_dual_add_f32 v3, v3, v240
	v_fma_f32 v5, v202, v146, -v5
	s_delay_alu instid0(VALU_DEP_4)
	v_add_f32_e32 v2, v2, v6
	v_mul_f32_e32 v6, v207, v151
	v_dual_fmac_f32 v242, v205, v148 :: v_dual_fmac_f32 v243, v207, v150
	v_fma_f32 v4, v204, v148, -v4
	v_add_f32_e32 v3, v3, v241
	v_add_f32_e32 v2, v2, v5
	v_dual_mul_f32 v245, v210, v155 :: v_dual_mul_f32 v246, v212, v157
	v_mul_f32_e32 v5, v209, v153
	v_fma_f32 v6, v206, v150, -v6
	s_delay_alu instid0(VALU_DEP_4) | instskip(SKIP_3) | instid1(VALU_DEP_4)
	v_dual_add_f32 v3, v3, v242 :: v_dual_add_f32 v2, v2, v4
	v_mul_f32_e32 v4, v211, v155
	v_dual_fmac_f32 v244, v209, v152 :: v_dual_fmac_f32 v245, v211, v154
	v_fma_f32 v5, v208, v152, -v5
	v_dual_add_f32 v3, v3, v243 :: v_dual_add_f32 v2, v2, v6
	v_mul_f32_e32 v6, v213, v157
	v_fma_f32 v4, v210, v154, -v4
	v_fmac_f32_e32 v247, v219, v214
	s_delay_alu instid0(VALU_DEP_4) | instskip(SKIP_2) | instid1(VALU_DEP_3)
	v_dual_add_f32 v3, v3, v244 :: v_dual_add_f32 v2, v2, v5
	v_dual_mul_f32 v5, v219, v215 :: v_dual_fmac_f32 v246, v213, v156
	v_fma_f32 v6, v212, v156, -v6
	v_dual_add_f32 v3, v3, v245 :: v_dual_add_f32 v2, v2, v4
	s_delay_alu instid0(VALU_DEP_3) | instskip(NEXT) | instid1(VALU_DEP_2)
	v_fma_f32 v4, v218, v214, -v5
	v_add_f32_e32 v3, v3, v246
	s_delay_alu instid0(VALU_DEP_1) | instskip(SKIP_1) | instid1(VALU_DEP_1)
	v_dual_add_f32 v2, v2, v6 :: v_dual_add_f32 v3, v3, v247
	s_wait_loadcnt 0x0
	v_dual_add_f32 v2, v2, v4 :: v_dual_sub_f32 v3, v217, v3
	s_delay_alu instid0(VALU_DEP_1)
	v_sub_f32_e32 v2, v216, v2
	scratch_store_b64 off, v[2:3], off offset:152
	v_cmpx_lt_u32_e32 18, v0
	s_cbranch_execz .LBB112_271
; %bb.270:
	scratch_load_b64 v[3:4], off, off offset:144
	v_mov_b32_e32 v2, v1
	scratch_store_b64 off, v[1:2], off offset:144
	s_wait_loadcnt 0x0
	ds_store_b64 v23, v[3:4]
.LBB112_271:
	s_wait_alu 0xfffe
	s_or_b32 exec_lo, exec_lo, s0
	s_wait_storecnt_dscnt 0x0
	s_barrier_signal -1
	s_barrier_wait -1
	global_inv scope:SCOPE_SE
	s_clause 0xf
	scratch_load_b128 v[2:5], off, off offset:152
	scratch_load_b128 v[6:9], off, off offset:168
	;; [unrolled: 1-line block ×15, first 2 shown]
	scratch_load_b64 v[222:223], off, off offset:144
	ds_load_2addr_b64 v[162:165], v1 offset0:69 offset1:70
	ds_load_2addr_b64 v[166:169], v1 offset0:71 offset1:72
	;; [unrolled: 1-line block ×15, first 2 shown]
	s_mov_b32 s0, exec_lo
	s_wait_loadcnt_dscnt 0xf0e
	v_dual_mul_f32 v1, v162, v3 :: v_dual_mul_f32 v22, v164, v5
	v_mul_f32_e32 v3, v163, v3
	s_wait_loadcnt_dscnt 0xe0d
	v_dual_mul_f32 v5, v165, v5 :: v_dual_mul_f32 v224, v166, v7
	s_delay_alu instid0(VALU_DEP_3) | instskip(NEXT) | instid1(VALU_DEP_3)
	v_dual_mul_f32 v225, v168, v9 :: v_dual_fmac_f32 v22, v165, v4
	v_fma_f32 v3, v162, v2, -v3
	v_fmac_f32_e32 v1, v163, v2
	v_mul_f32_e32 v2, v167, v7
	v_fma_f32 v4, v164, v4, -v5
	s_delay_alu instid0(VALU_DEP_4)
	v_dual_fmac_f32 v224, v167, v6 :: v_dual_add_f32 v3, 0, v3
	s_wait_loadcnt_dscnt 0xb0a
	v_dual_mul_f32 v230, v178, v19 :: v_dual_mul_f32 v231, v180, v21
	v_fma_f32 v2, v166, v6, -v2
	v_dual_mul_f32 v226, v170, v11 :: v_dual_mul_f32 v227, v172, v13
	v_add_f32_e32 v3, v3, v4
	v_dual_mul_f32 v5, v169, v9 :: v_dual_mul_f32 v228, v174, v15
	v_dual_mul_f32 v229, v176, v17 :: v_dual_mul_f32 v4, v171, v11
	s_delay_alu instid0(VALU_DEP_3) | instskip(NEXT) | instid1(VALU_DEP_3)
	v_add_f32_e32 v2, v3, v2
	v_fma_f32 v5, v168, v8, -v5
	v_dual_mul_f32 v3, v173, v13 :: v_dual_fmac_f32 v230, v179, v18
	s_delay_alu instid0(VALU_DEP_4) | instskip(SKIP_1) | instid1(VALU_DEP_4)
	v_fma_f32 v4, v170, v10, -v4
	v_dual_fmac_f32 v225, v169, v8 :: v_dual_fmac_f32 v226, v171, v10
	v_add_f32_e32 v2, v2, v5
	v_add_f32_e32 v1, 0, v1
	v_fma_f32 v3, v172, v12, -v3
	v_fmac_f32_e32 v228, v175, v14
	s_wait_loadcnt_dscnt 0xa09
	v_dual_mul_f32 v232, v182, v123 :: v_dual_mul_f32 v233, v184, v125
	v_dual_add_f32 v1, v1, v22 :: v_dual_add_f32 v2, v2, v4
	v_mul_f32_e32 v4, v177, v17
	s_wait_loadcnt_dscnt 0x807
	v_dual_mul_f32 v236, v190, v131 :: v_dual_mul_f32 v237, v192, v133
	s_delay_alu instid0(VALU_DEP_3) | instskip(NEXT) | instid1(VALU_DEP_3)
	v_dual_add_f32 v1, v1, v224 :: v_dual_add_f32 v2, v2, v3
	v_fma_f32 v4, v176, v16, -v4
	v_mul_f32_e32 v5, v175, v15
	v_dual_mul_f32 v234, v186, v127 :: v_dual_mul_f32 v235, v188, v129
	s_wait_loadcnt_dscnt 0x504
	v_dual_add_f32 v1, v1, v225 :: v_dual_mul_f32 v242, v202, v143
	v_mul_f32_e32 v243, v204, v145
	v_fma_f32 v5, v174, v14, -v5
	v_fmac_f32_e32 v227, v173, v12
	s_delay_alu instid0(VALU_DEP_4)
	v_add_f32_e32 v1, v1, v226
	v_fmac_f32_e32 v232, v183, v122
	v_dual_mul_f32 v238, v194, v135 :: v_dual_mul_f32 v239, v196, v137
	v_add_f32_e32 v2, v2, v5
	v_dual_fmac_f32 v234, v187, v126 :: v_dual_fmac_f32 v233, v185, v124
	v_dual_mul_f32 v240, v198, v139 :: v_dual_mul_f32 v241, v200, v141
	s_delay_alu instid0(VALU_DEP_3) | instskip(SKIP_2) | instid1(VALU_DEP_4)
	v_add_f32_e32 v2, v2, v4
	v_mul_f32_e32 v4, v183, v123
	v_add_f32_e32 v1, v1, v227
	v_dual_fmac_f32 v235, v189, v128 :: v_dual_fmac_f32 v240, v199, v138
	s_wait_loadcnt_dscnt 0x201
	v_dual_mul_f32 v248, v214, v155 :: v_dual_mul_f32 v249, v216, v157
	v_fma_f32 v4, v182, v122, -v4
	v_mul_f32_e32 v5, v181, v21
	v_dual_add_f32 v1, v1, v228 :: v_dual_fmac_f32 v236, v191, v130
	v_dual_fmac_f32 v237, v193, v132 :: v_dual_mul_f32 v244, v206, v147
	v_mul_f32_e32 v245, v208, v149
	s_delay_alu instid0(VALU_DEP_4) | instskip(SKIP_4) | instid1(VALU_DEP_3)
	v_fma_f32 v5, v180, v20, -v5
	v_mul_f32_e32 v3, v179, v19
	s_wait_loadcnt_dscnt 0x100
	v_dual_mul_f32 v250, v218, v159 :: v_dual_mul_f32 v251, v220, v161
	v_dual_mul_f32 v246, v210, v151 :: v_dual_mul_f32 v247, v212, v153
	v_fma_f32 v3, v178, v18, -v3
	v_fmac_f32_e32 v229, v177, v16
	v_fmac_f32_e32 v243, v205, v144
	;; [unrolled: 1-line block ×3, first 2 shown]
	s_delay_alu instid0(VALU_DEP_4) | instskip(SKIP_3) | instid1(VALU_DEP_4)
	v_dual_fmac_f32 v247, v213, v152 :: v_dual_add_f32 v2, v2, v3
	v_mul_f32_e32 v3, v185, v125
	v_dual_fmac_f32 v251, v221, v160 :: v_dual_fmac_f32 v242, v203, v142
	v_fmac_f32_e32 v238, v195, v134
	v_dual_add_f32 v2, v2, v5 :: v_dual_mul_f32 v5, v187, v127
	s_delay_alu instid0(VALU_DEP_4) | instskip(SKIP_2) | instid1(VALU_DEP_4)
	v_fma_f32 v3, v184, v124, -v3
	v_fmac_f32_e32 v248, v215, v154
	v_fmac_f32_e32 v244, v207, v146
	v_dual_add_f32 v2, v2, v4 :: v_dual_add_f32 v1, v1, v229
	v_mul_f32_e32 v4, v189, v129
	v_fma_f32 v5, v186, v126, -v5
	v_fmac_f32_e32 v250, v219, v158
	s_delay_alu instid0(VALU_DEP_4) | instskip(NEXT) | instid1(VALU_DEP_4)
	v_dual_add_f32 v2, v2, v3 :: v_dual_fmac_f32 v231, v181, v20
	v_fma_f32 v4, v188, v128, -v4
	v_fmac_f32_e32 v246, v211, v150
	s_delay_alu instid0(VALU_DEP_3) | instskip(SKIP_1) | instid1(VALU_DEP_2)
	v_add_f32_e32 v2, v2, v5
	v_mul_f32_e32 v5, v193, v133
	v_dual_add_f32 v1, v1, v230 :: v_dual_add_f32 v2, v2, v4
	s_delay_alu instid0(VALU_DEP_2) | instskip(SKIP_1) | instid1(VALU_DEP_3)
	v_fma_f32 v5, v192, v132, -v5
	v_mul_f32_e32 v3, v191, v131
	v_add_f32_e32 v1, v1, v231
	v_mul_f32_e32 v4, v195, v135
	s_delay_alu instid0(VALU_DEP_3) | instskip(NEXT) | instid1(VALU_DEP_3)
	v_fma_f32 v3, v190, v130, -v3
	v_add_f32_e32 v1, v1, v232
	s_delay_alu instid0(VALU_DEP_3) | instskip(NEXT) | instid1(VALU_DEP_3)
	v_fma_f32 v4, v194, v134, -v4
	v_add_f32_e32 v2, v2, v3
	s_delay_alu instid0(VALU_DEP_1) | instskip(NEXT) | instid1(VALU_DEP_4)
	v_add_f32_e32 v2, v2, v5
	v_add_f32_e32 v1, v1, v233
	s_delay_alu instid0(VALU_DEP_2) | instskip(SKIP_1) | instid1(VALU_DEP_2)
	v_dual_mul_f32 v5, v199, v139 :: v_dual_add_f32 v2, v2, v4
	v_mul_f32_e32 v4, v201, v141
	v_fma_f32 v5, v198, v138, -v5
	s_delay_alu instid0(VALU_DEP_2) | instskip(SKIP_1) | instid1(VALU_DEP_1)
	v_fma_f32 v4, v200, v140, -v4
	v_mul_f32_e32 v3, v197, v137
	v_fma_f32 v3, v196, v136, -v3
	s_delay_alu instid0(VALU_DEP_1) | instskip(NEXT) | instid1(VALU_DEP_1)
	v_dual_add_f32 v1, v1, v234 :: v_dual_add_f32 v2, v2, v3
	v_add_f32_e32 v1, v1, v235
	s_delay_alu instid0(VALU_DEP_2) | instskip(SKIP_1) | instid1(VALU_DEP_2)
	v_dual_mul_f32 v3, v203, v143 :: v_dual_add_f32 v2, v2, v5
	v_mul_f32_e32 v5, v205, v145
	v_fma_f32 v3, v202, v142, -v3
	s_delay_alu instid0(VALU_DEP_3) | instskip(SKIP_1) | instid1(VALU_DEP_4)
	v_add_f32_e32 v2, v2, v4
	v_dual_add_f32 v1, v1, v236 :: v_dual_mul_f32 v4, v207, v147
	v_fma_f32 v5, v204, v144, -v5
	s_delay_alu instid0(VALU_DEP_2) | instskip(SKIP_3) | instid1(VALU_DEP_4)
	v_dual_add_f32 v2, v2, v3 :: v_dual_add_f32 v1, v1, v237
	v_fmac_f32_e32 v239, v197, v136
	v_mul_f32_e32 v3, v209, v149
	v_fma_f32 v4, v206, v146, -v4
	v_dual_add_f32 v2, v2, v5 :: v_dual_add_f32 v1, v1, v238
	v_mul_f32_e32 v5, v211, v151
	s_delay_alu instid0(VALU_DEP_4) | instskip(NEXT) | instid1(VALU_DEP_3)
	v_fma_f32 v3, v208, v148, -v3
	v_dual_add_f32 v2, v2, v4 :: v_dual_add_f32 v1, v1, v239
	v_fmac_f32_e32 v241, v201, v140
	v_mul_f32_e32 v4, v213, v153
	v_fma_f32 v5, v210, v150, -v5
	s_delay_alu instid0(VALU_DEP_4) | instskip(SKIP_1) | instid1(VALU_DEP_4)
	v_dual_add_f32 v2, v2, v3 :: v_dual_add_f32 v1, v1, v240
	v_mul_f32_e32 v3, v215, v155
	v_fma_f32 v4, v212, v152, -v4
	s_delay_alu instid0(VALU_DEP_3) | instskip(NEXT) | instid1(VALU_DEP_4)
	v_add_f32_e32 v2, v2, v5
	v_add_f32_e32 v1, v1, v241
	v_mul_f32_e32 v5, v217, v157
	v_fma_f32 v3, v214, v154, -v3
	s_delay_alu instid0(VALU_DEP_3) | instskip(SKIP_1) | instid1(VALU_DEP_4)
	v_dual_add_f32 v2, v2, v4 :: v_dual_add_f32 v1, v1, v242
	v_mul_f32_e32 v4, v219, v159
	v_fma_f32 v5, v216, v156, -v5
	s_delay_alu instid0(VALU_DEP_3) | instskip(NEXT) | instid1(VALU_DEP_4)
	v_add_f32_e32 v2, v2, v3
	v_add_f32_e32 v1, v1, v243
	v_mul_f32_e32 v3, v221, v161
	v_fma_f32 v4, v218, v158, -v4
	s_delay_alu instid0(VALU_DEP_3) | instskip(NEXT) | instid1(VALU_DEP_3)
	v_dual_add_f32 v2, v2, v5 :: v_dual_add_f32 v1, v1, v244
	v_fma_f32 v3, v220, v160, -v3
	s_delay_alu instid0(VALU_DEP_2) | instskip(NEXT) | instid1(VALU_DEP_1)
	v_add_f32_e32 v2, v2, v4
	v_dual_fmac_f32 v245, v209, v148 :: v_dual_add_f32 v2, v2, v3
	s_delay_alu instid0(VALU_DEP_1) | instskip(NEXT) | instid1(VALU_DEP_1)
	v_add_f32_e32 v1, v1, v245
	v_add_f32_e32 v1, v1, v246
	s_delay_alu instid0(VALU_DEP_1) | instskip(NEXT) | instid1(VALU_DEP_1)
	v_add_f32_e32 v1, v1, v247
	v_add_f32_e32 v1, v1, v248
	;; [unrolled: 3-line block ×3, first 2 shown]
	s_delay_alu instid0(VALU_DEP_1) | instskip(SKIP_1) | instid1(VALU_DEP_1)
	v_add_f32_e32 v3, v1, v251
	s_wait_loadcnt 0x0
	v_dual_sub_f32 v1, v222, v2 :: v_dual_sub_f32 v2, v223, v3
	scratch_store_b64 off, v[1:2], off offset:144
	v_cmpx_lt_u32_e32 17, v0
	s_cbranch_execz .LBB112_273
; %bb.272:
	scratch_load_b64 v[1:2], off, off offset:136
	v_mov_b32_e32 v3, 0
	s_delay_alu instid0(VALU_DEP_1)
	v_mov_b32_e32 v4, v3
	scratch_store_b64 off, v[3:4], off offset:136
	s_wait_loadcnt 0x0
	ds_store_b64 v23, v[1:2]
.LBB112_273:
	s_wait_alu 0xfffe
	s_or_b32 exec_lo, exec_lo, s0
	s_wait_storecnt_dscnt 0x0
	s_barrier_signal -1
	s_barrier_wait -1
	global_inv scope:SCOPE_SE
	s_clause 0x4
	scratch_load_b128 v[5:8], off, off offset:144
	scratch_load_b128 v[1:4], off, off offset:160
	scratch_load_b128 v[9:12], off, off offset:176
	scratch_load_b128 v[13:16], off, off offset:192
	scratch_load_b128 v[17:20], off, off offset:208
	v_mov_b32_e32 v21, 0
	ds_load_b128 v[122:125], v21 offset:544
	ds_load_b128 v[126:129], v21 offset:560
	ds_load_b128 v[130:133], v21 offset:576
	scratch_load_b64 v[134:135], off, off offset:136
	s_mov_b32 s0, exec_lo
	s_wait_loadcnt_dscnt 0x502
	v_mul_f32_e32 v22, v123, v6
	v_dual_mul_f32 v136, v122, v6 :: v_dual_mul_f32 v137, v124, v8
	v_mul_f32_e32 v6, v125, v8
	s_delay_alu instid0(VALU_DEP_3) | instskip(NEXT) | instid1(VALU_DEP_3)
	v_fma_f32 v22, v122, v5, -v22
	v_dual_fmac_f32 v136, v123, v5 :: v_dual_fmac_f32 v137, v125, v7
	s_wait_loadcnt_dscnt 0x401
	v_mul_f32_e32 v123, v126, v2
	v_fma_f32 v122, v124, v7, -v6
	ds_load_b128 v[5:8], v21 offset:592
	s_wait_loadcnt_dscnt 0x301
	v_dual_mul_f32 v124, v128, v4 :: v_dual_mul_f32 v125, v130, v10
	v_dual_mul_f32 v4, v129, v4 :: v_dual_fmac_f32 v123, v127, v1
	v_mul_f32_e32 v10, v131, v10
	s_delay_alu instid0(VALU_DEP_3)
	v_dual_mul_f32 v138, v132, v12 :: v_dual_fmac_f32 v125, v131, v9
	v_mul_f32_e32 v12, v133, v12
	v_mul_f32_e32 v2, v127, v2
	v_fmac_f32_e32 v124, v129, v3
	v_fma_f32 v127, v128, v3, -v4
	v_fma_f32 v128, v130, v9, -v10
	v_fmac_f32_e32 v138, v133, v11
	v_fma_f32 v129, v132, v11, -v12
	ds_load_b128 v[9:12], v21 offset:608
	s_wait_loadcnt_dscnt 0x201
	v_dual_mul_f32 v131, v7, v16 :: v_dual_mul_f32 v130, v5, v14
	v_mul_f32_e32 v14, v6, v14
	v_mul_f32_e32 v16, v8, v16
	s_delay_alu instid0(VALU_DEP_3)
	v_fmac_f32_e32 v131, v8, v15
	v_fma_f32 v126, v126, v1, -v2
	scratch_load_b128 v[1:4], off, off offset:224
	v_fmac_f32_e32 v130, v6, v13
	v_fma_f32 v13, v5, v13, -v14
	v_fma_f32 v14, v7, v15, -v16
	ds_load_b128 v[5:8], v21 offset:624
	s_wait_loadcnt_dscnt 0x201
	v_mul_f32_e32 v15, v9, v18
	v_mul_f32_e32 v16, v10, v18
	;; [unrolled: 1-line block ×3, first 2 shown]
	s_delay_alu instid0(VALU_DEP_3) | instskip(NEXT) | instid1(VALU_DEP_3)
	v_dual_mul_f32 v20, v12, v20 :: v_dual_fmac_f32 v15, v10, v17
	v_fma_f32 v16, v9, v17, -v16
	s_delay_alu instid0(VALU_DEP_3) | instskip(NEXT) | instid1(VALU_DEP_3)
	v_fmac_f32_e32 v18, v12, v19
	v_fma_f32 v17, v11, v19, -v20
	scratch_load_b128 v[9:12], off, off offset:240
	s_wait_loadcnt_dscnt 0x100
	v_mul_f32_e32 v19, v5, v2
	v_mul_f32_e32 v2, v6, v2
	;; [unrolled: 1-line block ×3, first 2 shown]
	s_delay_alu instid0(VALU_DEP_3) | instskip(NEXT) | instid1(VALU_DEP_3)
	v_dual_mul_f32 v4, v8, v4 :: v_dual_fmac_f32 v19, v6, v1
	v_fma_f32 v132, v5, v1, -v2
	s_delay_alu instid0(VALU_DEP_3) | instskip(NEXT) | instid1(VALU_DEP_3)
	v_fmac_f32_e32 v20, v8, v3
	v_fma_f32 v133, v7, v3, -v4
	ds_load_b128 v[1:4], v21 offset:640
	ds_load_b128 v[5:8], v21 offset:656
	s_wait_loadcnt_dscnt 0x1
	v_mul_f32_e32 v139, v1, v10
	v_mul_f32_e32 v10, v2, v10
	s_delay_alu instid0(VALU_DEP_2) | instskip(NEXT) | instid1(VALU_DEP_2)
	v_dual_mul_f32 v140, v3, v12 :: v_dual_fmac_f32 v139, v2, v9
	v_fma_f32 v141, v1, v9, -v10
	v_mul_f32_e32 v1, v4, v12
	s_delay_alu instid0(VALU_DEP_3) | instskip(NEXT) | instid1(VALU_DEP_2)
	v_fmac_f32_e32 v140, v4, v11
	v_fma_f32 v142, v3, v11, -v1
	s_clause 0x1
	scratch_load_b128 v[1:4], off, off offset:256
	scratch_load_b128 v[9:12], off, off offset:272
	s_wait_loadcnt_dscnt 0x100
	v_mul_f32_e32 v143, v5, v2
	v_dual_mul_f32 v2, v6, v2 :: v_dual_mul_f32 v145, v7, v4
	s_delay_alu instid0(VALU_DEP_2) | instskip(NEXT) | instid1(VALU_DEP_2)
	v_fmac_f32_e32 v143, v6, v1
	v_fma_f32 v144, v5, v1, -v2
	v_mul_f32_e32 v1, v8, v4
	s_delay_alu instid0(VALU_DEP_4) | instskip(NEXT) | instid1(VALU_DEP_2)
	v_fmac_f32_e32 v145, v8, v3
	v_fma_f32 v146, v7, v3, -v1
	ds_load_b128 v[1:4], v21 offset:672
	ds_load_b128 v[5:8], v21 offset:688
	s_wait_loadcnt_dscnt 0x1
	v_mul_f32_e32 v147, v1, v10
	v_mul_f32_e32 v149, v3, v12
	s_delay_alu instid0(VALU_DEP_2) | instskip(NEXT) | instid1(VALU_DEP_2)
	v_fmac_f32_e32 v147, v2, v9
	v_dual_mul_f32 v2, v2, v10 :: v_dual_fmac_f32 v149, v4, v11
	s_delay_alu instid0(VALU_DEP_1) | instskip(SKIP_1) | instid1(VALU_DEP_1)
	v_fma_f32 v148, v1, v9, -v2
	v_mul_f32_e32 v1, v4, v12
	v_fma_f32 v150, v3, v11, -v1
	s_clause 0x1
	scratch_load_b128 v[1:4], off, off offset:288
	scratch_load_b128 v[9:12], off, off offset:304
	s_wait_loadcnt_dscnt 0x100
	v_mul_f32_e32 v151, v5, v2
	v_dual_mul_f32 v153, v7, v4 :: v_dual_mul_f32 v2, v6, v2
	s_delay_alu instid0(VALU_DEP_2) | instskip(NEXT) | instid1(VALU_DEP_2)
	v_fmac_f32_e32 v151, v6, v1
	v_fmac_f32_e32 v153, v8, v3
	s_delay_alu instid0(VALU_DEP_3) | instskip(SKIP_1) | instid1(VALU_DEP_1)
	v_fma_f32 v152, v5, v1, -v2
	v_add_f32_e32 v2, 0, v136
	v_dual_mul_f32 v1, v8, v4 :: v_dual_add_f32 v2, v2, v137
	s_delay_alu instid0(VALU_DEP_1) | instskip(NEXT) | instid1(VALU_DEP_2)
	v_fma_f32 v154, v7, v3, -v1
	v_dual_add_f32 v1, 0, v22 :: v_dual_add_f32 v2, v2, v123
	s_delay_alu instid0(VALU_DEP_1) | instskip(NEXT) | instid1(VALU_DEP_1)
	v_dual_add_f32 v1, v1, v122 :: v_dual_add_f32 v2, v2, v124
	v_dual_add_f32 v1, v1, v126 :: v_dual_add_f32 v2, v2, v125
	s_delay_alu instid0(VALU_DEP_1) | instskip(SKIP_2) | instid1(VALU_DEP_1)
	v_add_f32_e32 v1, v1, v127
	scratch_load_b64 v[126:127], off, off offset:384
	v_add_f32_e32 v1, v1, v128
	v_add_f32_e32 v1, v1, v129
	s_delay_alu instid0(VALU_DEP_1)
	v_dual_add_f32 v5, v2, v138 :: v_dual_add_f32 v6, v1, v13
	scratch_load_b128 v[1:4], off, off offset:320
	v_add_f32_e32 v13, v5, v130
	v_add_f32_e32 v14, v6, v14
	ds_load_b128 v[5:8], v21 offset:704
	v_dual_add_f32 v13, v13, v131 :: v_dual_add_f32 v14, v14, v16
	s_delay_alu instid0(VALU_DEP_1) | instskip(NEXT) | instid1(VALU_DEP_1)
	v_add_f32_e32 v13, v13, v15
	v_dual_add_f32 v17, v14, v17 :: v_dual_add_f32 v18, v13, v18
	ds_load_b128 v[13:16], v21 offset:720
	v_add_f32_e32 v18, v18, v19
	s_wait_loadcnt_dscnt 0x201
	v_mul_f32_e32 v22, v5, v10
	v_dual_add_f32 v17, v17, v132 :: v_dual_mul_f32 v10, v6, v10
	v_mul_f32_e32 v130, v7, v12
	v_mul_f32_e32 v12, v8, v12
	s_delay_alu instid0(VALU_DEP_4) | instskip(NEXT) | instid1(VALU_DEP_4)
	v_fmac_f32_e32 v22, v6, v9
	v_add_f32_e32 v17, v17, v133
	v_fma_f32 v131, v5, v9, -v10
	v_fmac_f32_e32 v130, v8, v11
	v_fma_f32 v132, v7, v11, -v12
	scratch_load_b128 v[5:8], off, off offset:336
	v_dual_add_f32 v17, v17, v141 :: v_dual_add_f32 v18, v18, v20
	scratch_load_b128 v[9:12], off, off offset:352
	v_add_f32_e32 v123, v17, v142
	s_delay_alu instid0(VALU_DEP_1) | instskip(SKIP_2) | instid1(VALU_DEP_1)
	v_dual_add_f32 v123, v123, v144 :: v_dual_add_f32 v122, v18, v139
	scratch_load_b128 v[17:20], off, off offset:368
	v_dual_add_f32 v123, v123, v146 :: v_dual_add_f32 v122, v122, v140
	v_add_f32_e32 v123, v123, v148
	s_wait_loadcnt_dscnt 0x300
	s_delay_alu instid0(VALU_DEP_2) | instskip(SKIP_1) | instid1(VALU_DEP_2)
	v_dual_mul_f32 v133, v13, v2 :: v_dual_add_f32 v122, v122, v143
	v_mul_f32_e32 v2, v14, v2
	v_dual_mul_f32 v136, v15, v4 :: v_dual_fmac_f32 v133, v14, v1
	v_add_f32_e32 v14, v123, v150
	s_delay_alu instid0(VALU_DEP_2) | instskip(NEXT) | instid1(VALU_DEP_2)
	v_fmac_f32_e32 v136, v16, v3
	v_add_f32_e32 v128, v14, v152
	s_delay_alu instid0(VALU_DEP_1) | instskip(NEXT) | instid1(VALU_DEP_1)
	v_dual_add_f32 v122, v122, v145 :: v_dual_add_f32 v139, v128, v154
	v_dual_mul_f32 v4, v16, v4 :: v_dual_add_f32 v131, v139, v131
	v_fma_f32 v137, v13, v1, -v2
	s_delay_alu instid0(VALU_DEP_3) | instskip(NEXT) | instid1(VALU_DEP_3)
	v_add_f32_e32 v13, v122, v147
	v_fma_f32 v138, v15, v3, -v4
	ds_load_b128 v[1:4], v21 offset:736
	v_dual_add_f32 v131, v131, v132 :: v_dual_add_f32 v122, v13, v149
	ds_load_b128 v[13:16], v21 offset:752
	v_add_f32_e32 v131, v131, v137
	v_add_f32_e32 v129, v122, v151
	ds_load_b128 v[122:125], v21 offset:768
	v_dual_add_f32 v131, v131, v138 :: v_dual_add_f32 v140, v129, v153
	ds_load_b64 v[128:129], v21 offset:784
	s_wait_loadcnt_dscnt 0x203
	v_mul_f32_e32 v139, v1, v6
	v_add_f32_e32 v22, v140, v22
	v_mul_f32_e32 v6, v2, v6
	s_delay_alu instid0(VALU_DEP_3) | instskip(NEXT) | instid1(VALU_DEP_3)
	v_fmac_f32_e32 v139, v2, v5
	v_add_f32_e32 v22, v22, v130
	v_mul_f32_e32 v130, v3, v8
	v_mul_f32_e32 v8, v4, v8
	v_fma_f32 v1, v1, v5, -v6
	s_wait_loadcnt_dscnt 0x1
	v_mul_f32_e32 v138, v124, v20
	v_mul_f32_e32 v5, v16, v12
	;; [unrolled: 1-line block ×3, first 2 shown]
	v_fma_f32 v2, v3, v7, -v8
	v_mul_f32_e32 v3, v14, v10
	v_add_f32_e32 v1, v131, v1
	v_add_f32_e32 v22, v22, v133
	v_dual_fmac_f32 v130, v4, v7 :: v_dual_fmac_f32 v137, v123, v17
	s_delay_alu instid0(VALU_DEP_4) | instskip(NEXT) | instid1(VALU_DEP_3)
	v_fma_f32 v3, v13, v9, -v3
	v_dual_add_f32 v1, v1, v2 :: v_dual_add_f32 v22, v22, v136
	s_wait_dscnt 0x0
	v_mul_f32_e32 v136, v128, v127
	v_fma_f32 v5, v15, v11, -v5
	v_mul_f32_e32 v133, v15, v12
	v_add_f32_e32 v1, v1, v3
	v_dual_add_f32 v4, v22, v139 :: v_dual_mul_f32 v3, v125, v20
	s_delay_alu instid0(VALU_DEP_3) | instskip(NEXT) | instid1(VALU_DEP_2)
	v_dual_mul_f32 v132, v13, v10 :: v_dual_fmac_f32 v133, v16, v11
	v_dual_add_f32 v1, v1, v5 :: v_dual_add_f32 v2, v4, v130
	s_delay_alu instid0(VALU_DEP_3) | instskip(SKIP_1) | instid1(VALU_DEP_4)
	v_fma_f32 v3, v124, v19, -v3
	v_mul_f32_e32 v4, v123, v18
	v_dual_fmac_f32 v132, v14, v9 :: v_dual_mul_f32 v5, v129, v127
	v_fmac_f32_e32 v136, v129, v126
	s_delay_alu instid0(VALU_DEP_3) | instskip(NEXT) | instid1(VALU_DEP_1)
	v_fma_f32 v4, v122, v17, -v4
	v_add_f32_e32 v1, v1, v4
	s_delay_alu instid0(VALU_DEP_4) | instskip(SKIP_1) | instid1(VALU_DEP_2)
	v_add_f32_e32 v2, v2, v132
	v_fma_f32 v4, v128, v126, -v5
	v_dual_add_f32 v1, v1, v3 :: v_dual_add_f32 v2, v2, v133
	s_delay_alu instid0(VALU_DEP_1) | instskip(SKIP_1) | instid1(VALU_DEP_3)
	v_add_f32_e32 v1, v1, v4
	v_fmac_f32_e32 v138, v125, v19
	v_add_f32_e32 v2, v2, v137
	s_delay_alu instid0(VALU_DEP_3) | instskip(NEXT) | instid1(VALU_DEP_2)
	v_sub_f32_e32 v1, v134, v1
	v_add_f32_e32 v2, v2, v138
	s_delay_alu instid0(VALU_DEP_1) | instskip(NEXT) | instid1(VALU_DEP_1)
	v_add_f32_e32 v2, v2, v136
	v_sub_f32_e32 v2, v135, v2
	scratch_store_b64 off, v[1:2], off offset:136
	v_cmpx_lt_u32_e32 16, v0
	s_cbranch_execz .LBB112_275
; %bb.274:
	scratch_load_b64 v[1:2], off, off offset:128
	v_mov_b32_e32 v22, v21
	scratch_store_b64 off, v[21:22], off offset:128
	s_wait_loadcnt 0x0
	ds_store_b64 v23, v[1:2]
.LBB112_275:
	s_wait_alu 0xfffe
	s_or_b32 exec_lo, exec_lo, s0
	s_wait_storecnt_dscnt 0x0
	s_barrier_signal -1
	s_barrier_wait -1
	global_inv scope:SCOPE_SE
	s_clause 0x4
	scratch_load_b128 v[5:8], off, off offset:136
	scratch_load_b128 v[1:4], off, off offset:152
	;; [unrolled: 1-line block ×5, first 2 shown]
	ds_load_2addr_b64 v[122:125], v21 offset0:67 offset1:68
	ds_load_2addr_b64 v[126:129], v21 offset0:69 offset1:70
	;; [unrolled: 1-line block ×3, first 2 shown]
	scratch_load_b64 v[134:135], off, off offset:128
	s_mov_b32 s0, exec_lo
	s_wait_loadcnt_dscnt 0x502
	v_dual_mul_f32 v22, v123, v6 :: v_dual_mul_f32 v137, v124, v8
	v_mul_f32_e32 v136, v122, v6
	v_mul_f32_e32 v6, v125, v8
	s_wait_loadcnt_dscnt 0x300
	v_mul_f32_e32 v138, v132, v12
	v_fma_f32 v22, v122, v5, -v22
	v_dual_fmac_f32 v137, v125, v7 :: v_dual_fmac_f32 v136, v123, v5
	v_mul_f32_e32 v125, v130, v10
	v_mul_f32_e32 v123, v126, v2
	v_fma_f32 v122, v124, v7, -v6
	ds_load_2addr_b64 v[5:8], v21 offset0:73 offset1:74
	v_mul_f32_e32 v124, v128, v4
	v_dual_mul_f32 v4, v129, v4 :: v_dual_fmac_f32 v125, v131, v9
	v_mul_f32_e32 v10, v131, v10
	v_mul_f32_e32 v12, v133, v12
	;; [unrolled: 1-line block ×3, first 2 shown]
	v_dual_fmac_f32 v123, v127, v1 :: v_dual_fmac_f32 v124, v129, v3
	v_fma_f32 v127, v128, v3, -v4
	v_fma_f32 v128, v130, v9, -v10
	v_fmac_f32_e32 v138, v133, v11
	v_fma_f32 v129, v132, v11, -v12
	ds_load_2addr_b64 v[9:12], v21 offset0:75 offset1:76
	s_wait_loadcnt_dscnt 0x201
	v_dual_mul_f32 v131, v7, v16 :: v_dual_mul_f32 v130, v5, v14
	s_delay_alu instid0(VALU_DEP_1)
	v_dual_mul_f32 v14, v6, v14 :: v_dual_fmac_f32 v131, v8, v15
	v_fma_f32 v126, v126, v1, -v2
	scratch_load_b128 v[1:4], off, off offset:216
	v_mul_f32_e32 v16, v8, v16
	v_fmac_f32_e32 v130, v6, v13
	v_fma_f32 v13, v5, v13, -v14
	s_delay_alu instid0(VALU_DEP_3)
	v_fma_f32 v14, v7, v15, -v16
	s_wait_loadcnt_dscnt 0x200
	v_mul_f32_e32 v15, v9, v18
	v_mul_f32_e32 v16, v10, v18
	;; [unrolled: 1-line block ×4, first 2 shown]
	ds_load_2addr_b64 v[5:8], v21 offset0:77 offset1:78
	v_fmac_f32_e32 v15, v10, v17
	v_fma_f32 v16, v9, v17, -v16
	v_fmac_f32_e32 v18, v12, v19
	v_fma_f32 v17, v11, v19, -v20
	scratch_load_b128 v[9:12], off, off offset:232
	s_wait_loadcnt_dscnt 0x100
	v_mul_f32_e32 v19, v5, v2
	v_mul_f32_e32 v2, v6, v2
	;; [unrolled: 1-line block ×3, first 2 shown]
	s_delay_alu instid0(VALU_DEP_3) | instskip(NEXT) | instid1(VALU_DEP_3)
	v_dual_mul_f32 v4, v8, v4 :: v_dual_fmac_f32 v19, v6, v1
	v_fma_f32 v132, v5, v1, -v2
	s_delay_alu instid0(VALU_DEP_3) | instskip(NEXT) | instid1(VALU_DEP_3)
	v_fmac_f32_e32 v20, v8, v3
	v_fma_f32 v133, v7, v3, -v4
	ds_load_2addr_b64 v[1:4], v21 offset0:79 offset1:80
	ds_load_2addr_b64 v[5:8], v21 offset0:81 offset1:82
	s_wait_loadcnt_dscnt 0x1
	v_mul_f32_e32 v139, v1, v10
	v_mul_f32_e32 v10, v2, v10
	s_delay_alu instid0(VALU_DEP_2) | instskip(NEXT) | instid1(VALU_DEP_2)
	v_dual_mul_f32 v140, v3, v12 :: v_dual_fmac_f32 v139, v2, v9
	v_fma_f32 v141, v1, v9, -v10
	v_mul_f32_e32 v1, v4, v12
	s_delay_alu instid0(VALU_DEP_3) | instskip(NEXT) | instid1(VALU_DEP_2)
	v_fmac_f32_e32 v140, v4, v11
	v_fma_f32 v142, v3, v11, -v1
	s_clause 0x1
	scratch_load_b128 v[1:4], off, off offset:248
	scratch_load_b128 v[9:12], off, off offset:264
	s_wait_loadcnt_dscnt 0x100
	v_mul_f32_e32 v143, v5, v2
	v_dual_mul_f32 v2, v6, v2 :: v_dual_mul_f32 v145, v7, v4
	s_delay_alu instid0(VALU_DEP_2) | instskip(NEXT) | instid1(VALU_DEP_2)
	v_fmac_f32_e32 v143, v6, v1
	v_fma_f32 v144, v5, v1, -v2
	v_mul_f32_e32 v1, v8, v4
	s_delay_alu instid0(VALU_DEP_4) | instskip(NEXT) | instid1(VALU_DEP_2)
	v_fmac_f32_e32 v145, v8, v3
	v_fma_f32 v146, v7, v3, -v1
	ds_load_2addr_b64 v[1:4], v21 offset0:83 offset1:84
	ds_load_2addr_b64 v[5:8], v21 offset0:85 offset1:86
	s_wait_loadcnt_dscnt 0x1
	v_mul_f32_e32 v147, v1, v10
	v_mul_f32_e32 v149, v3, v12
	s_delay_alu instid0(VALU_DEP_2) | instskip(NEXT) | instid1(VALU_DEP_2)
	v_fmac_f32_e32 v147, v2, v9
	v_dual_mul_f32 v2, v2, v10 :: v_dual_fmac_f32 v149, v4, v11
	s_delay_alu instid0(VALU_DEP_1) | instskip(SKIP_1) | instid1(VALU_DEP_1)
	v_fma_f32 v148, v1, v9, -v2
	v_mul_f32_e32 v1, v4, v12
	v_fma_f32 v150, v3, v11, -v1
	s_clause 0x1
	scratch_load_b128 v[1:4], off, off offset:280
	scratch_load_b128 v[9:12], off, off offset:296
	s_wait_loadcnt_dscnt 0x100
	v_mul_f32_e32 v151, v5, v2
	v_dual_mul_f32 v2, v6, v2 :: v_dual_mul_f32 v153, v7, v4
	s_delay_alu instid0(VALU_DEP_2) | instskip(NEXT) | instid1(VALU_DEP_2)
	v_fmac_f32_e32 v151, v6, v1
	v_fma_f32 v152, v5, v1, -v2
	v_mul_f32_e32 v1, v8, v4
	s_delay_alu instid0(VALU_DEP_4) | instskip(NEXT) | instid1(VALU_DEP_2)
	v_fmac_f32_e32 v153, v8, v3
	v_fma_f32 v154, v7, v3, -v1
	ds_load_2addr_b64 v[1:4], v21 offset0:87 offset1:88
	ds_load_2addr_b64 v[5:8], v21 offset0:89 offset1:90
	s_wait_loadcnt_dscnt 0x1
	v_mul_f32_e32 v155, v1, v10
	v_mul_f32_e32 v157, v3, v12
	s_delay_alu instid0(VALU_DEP_2) | instskip(NEXT) | instid1(VALU_DEP_2)
	v_fmac_f32_e32 v155, v2, v9
	v_dual_mul_f32 v2, v2, v10 :: v_dual_fmac_f32 v157, v4, v11
	s_delay_alu instid0(VALU_DEP_1) | instskip(SKIP_1) | instid1(VALU_DEP_1)
	v_fma_f32 v156, v1, v9, -v2
	v_mul_f32_e32 v1, v4, v12
	v_fma_f32 v158, v3, v11, -v1
	s_clause 0x1
	scratch_load_b128 v[1:4], off, off offset:312
	scratch_load_b128 v[9:12], off, off offset:328
	s_wait_loadcnt_dscnt 0x100
	v_mul_f32_e32 v159, v5, v2
	v_mul_f32_e32 v2, v6, v2
	s_delay_alu instid0(VALU_DEP_1) | instskip(SKIP_1) | instid1(VALU_DEP_1)
	v_fma_f32 v160, v5, v1, -v2
	v_add_f32_e32 v2, 0, v136
	v_add_f32_e32 v2, v2, v137
	s_delay_alu instid0(VALU_DEP_1) | instskip(SKIP_1) | instid1(VALU_DEP_2)
	v_add_f32_e32 v2, v2, v123
	v_fmac_f32_e32 v159, v6, v1
	v_add_f32_e32 v2, v2, v124
	s_delay_alu instid0(VALU_DEP_1) | instskip(NEXT) | instid1(VALU_DEP_1)
	v_dual_mul_f32 v161, v7, v4 :: v_dual_add_f32 v2, v2, v125
	v_dual_fmac_f32 v161, v8, v3 :: v_dual_add_f32 v2, v2, v138
	s_delay_alu instid0(VALU_DEP_1) | instskip(NEXT) | instid1(VALU_DEP_1)
	v_dual_mul_f32 v1, v8, v4 :: v_dual_add_f32 v2, v2, v130
	v_fma_f32 v162, v7, v3, -v1
	s_delay_alu instid0(VALU_DEP_2) | instskip(NEXT) | instid1(VALU_DEP_1)
	v_dual_add_f32 v1, 0, v22 :: v_dual_add_f32 v2, v2, v131
	v_add_f32_e32 v1, v1, v122
	s_delay_alu instid0(VALU_DEP_1) | instskip(NEXT) | instid1(VALU_DEP_1)
	v_add_f32_e32 v1, v1, v126
	v_add_f32_e32 v1, v1, v127
	s_delay_alu instid0(VALU_DEP_1) | instskip(NEXT) | instid1(VALU_DEP_1)
	v_add_f32_e32 v1, v1, v128
	;; [unrolled: 3-line block ×4, first 2 shown]
	v_dual_add_f32 v5, v2, v15 :: v_dual_add_f32 v6, v1, v17
	ds_load_2addr_b64 v[1:4], v21 offset0:91 offset1:92
	v_dual_add_f32 v5, v5, v18 :: v_dual_add_f32 v6, v6, v132
	s_delay_alu instid0(VALU_DEP_1) | instskip(NEXT) | instid1(VALU_DEP_1)
	v_add_f32_e32 v13, v6, v133
	v_add_f32_e32 v13, v13, v141
	s_delay_alu instid0(VALU_DEP_1) | instskip(NEXT) | instid1(VALU_DEP_1)
	v_add_f32_e32 v13, v13, v142
	v_add_f32_e32 v13, v13, v144
	s_delay_alu instid0(VALU_DEP_1) | instskip(NEXT) | instid1(VALU_DEP_1)
	v_add_f32_e32 v18, v13, v146
	v_dual_add_f32 v5, v5, v19 :: v_dual_add_f32 v18, v18, v148
	s_delay_alu instid0(VALU_DEP_1)
	v_add_f32_e32 v14, v5, v20
	ds_load_2addr_b64 v[5:8], v21 offset0:93 offset1:94
	s_wait_loadcnt_dscnt 0x1
	v_mul_f32_e32 v22, v1, v10
	v_mul_f32_e32 v126, v3, v12
	;; [unrolled: 1-line block ×4, first 2 shown]
	v_add_f32_e32 v14, v14, v139
	v_fmac_f32_e32 v22, v2, v9
	v_fmac_f32_e32 v126, v4, v11
	v_fma_f32 v127, v1, v9, -v10
	v_fma_f32 v128, v3, v11, -v12
	s_clause 0x1
	scratch_load_b128 v[1:4], off, off offset:344
	scratch_load_b128 v[9:12], off, off offset:360
	v_add_f32_e32 v14, v14, v140
	v_add_f32_e32 v18, v18, v150
	s_delay_alu instid0(VALU_DEP_2)
	v_add_f32_e32 v17, v14, v143
	scratch_load_b128 v[13:16], off, off offset:376
	v_add_f32_e32 v122, v18, v152
	s_wait_loadcnt_dscnt 0x200
	v_mul_f32_e32 v131, v7, v4
	v_dual_mul_f32 v4, v8, v4 :: v_dual_add_f32 v17, v17, v145
	s_delay_alu instid0(VALU_DEP_1) | instskip(NEXT) | instid1(VALU_DEP_1)
	v_add_f32_e32 v17, v17, v147
	v_add_f32_e32 v17, v17, v149
	s_delay_alu instid0(VALU_DEP_1)
	v_add_f32_e32 v123, v17, v151
	ds_load_2addr_b64 v[17:20], v21 offset0:95 offset1:96
	v_dual_add_f32 v129, v122, v154 :: v_dual_add_f32 v130, v123, v153
	ds_load_2addr_b64 v[122:125], v21 offset0:97 offset1:98
	s_wait_loadcnt_dscnt 0x101
	v_dual_mul_f32 v132, v17, v10 :: v_dual_fmac_f32 v131, v8, v3
	v_fma_f32 v3, v7, v3, -v4
	v_mul_f32_e32 v4, v20, v12
	s_delay_alu instid0(VALU_DEP_3)
	v_dual_add_f32 v21, v129, v156 :: v_dual_fmac_f32 v132, v18, v9
	v_add_f32_e32 v129, v130, v155
	s_wait_loadcnt_dscnt 0x0
	v_mul_f32_e32 v136, v122, v14
	v_mul_f32_e32 v130, v5, v2
	v_add_f32_e32 v21, v21, v158
	v_mul_f32_e32 v133, v19, v12
	v_add_f32_e32 v129, v129, v157
	v_fmac_f32_e32 v136, v123, v13
	s_delay_alu instid0(VALU_DEP_4) | instskip(NEXT) | instid1(VALU_DEP_4)
	v_dual_fmac_f32 v130, v6, v1 :: v_dual_add_f32 v21, v21, v160
	v_fmac_f32_e32 v133, v20, v11
	s_delay_alu instid0(VALU_DEP_4) | instskip(SKIP_1) | instid1(VALU_DEP_4)
	v_dual_add_f32 v129, v129, v159 :: v_dual_mul_f32 v2, v6, v2
	v_mul_f32_e32 v6, v18, v10
	v_add_f32_e32 v21, v21, v162
	v_fma_f32 v4, v19, v11, -v4
	s_delay_alu instid0(VALU_DEP_4) | instskip(NEXT) | instid1(VALU_DEP_3)
	v_fma_f32 v2, v5, v1, -v2
	v_add_f32_e32 v21, v21, v127
	v_mul_f32_e32 v127, v124, v16
	s_delay_alu instid0(VALU_DEP_2) | instskip(NEXT) | instid1(VALU_DEP_2)
	v_add_f32_e32 v1, v21, v128
	v_fmac_f32_e32 v127, v125, v15
	v_add_f32_e32 v129, v129, v161
	s_delay_alu instid0(VALU_DEP_3) | instskip(NEXT) | instid1(VALU_DEP_2)
	v_add_f32_e32 v1, v1, v2
	v_add_f32_e32 v22, v129, v22
	s_delay_alu instid0(VALU_DEP_2) | instskip(SKIP_1) | instid1(VALU_DEP_3)
	v_add_f32_e32 v1, v1, v3
	v_mul_f32_e32 v3, v123, v14
	v_add_f32_e32 v5, v22, v126
	s_delay_alu instid0(VALU_DEP_2) | instskip(NEXT) | instid1(VALU_DEP_2)
	v_fma_f32 v3, v122, v13, -v3
	v_add_f32_e32 v2, v5, v130
	v_fma_f32 v5, v17, v9, -v6
	s_delay_alu instid0(VALU_DEP_1) | instskip(SKIP_1) | instid1(VALU_DEP_2)
	v_dual_add_f32 v2, v2, v131 :: v_dual_add_f32 v1, v1, v5
	v_mul_f32_e32 v5, v125, v16
	v_add_f32_e32 v2, v2, v132
	s_delay_alu instid0(VALU_DEP_3) | instskip(NEXT) | instid1(VALU_DEP_3)
	v_add_f32_e32 v1, v1, v4
	v_fma_f32 v4, v124, v15, -v5
	s_delay_alu instid0(VALU_DEP_2) | instskip(NEXT) | instid1(VALU_DEP_1)
	v_dual_add_f32 v2, v2, v133 :: v_dual_add_f32 v1, v1, v3
	v_add_f32_e32 v2, v2, v136
	s_delay_alu instid0(VALU_DEP_1) | instskip(NEXT) | instid1(VALU_DEP_1)
	v_dual_add_f32 v1, v1, v4 :: v_dual_add_f32 v2, v2, v127
	v_dual_sub_f32 v1, v134, v1 :: v_dual_sub_f32 v2, v135, v2
	scratch_store_b64 off, v[1:2], off offset:128
	v_cmpx_lt_u32_e32 15, v0
	s_cbranch_execz .LBB112_277
; %bb.276:
	scratch_load_b64 v[1:2], off, off offset:120
	v_mov_b32_e32 v3, 0
	s_delay_alu instid0(VALU_DEP_1)
	v_mov_b32_e32 v4, v3
	scratch_store_b64 off, v[3:4], off offset:120
	s_wait_loadcnt 0x0
	ds_store_b64 v23, v[1:2]
.LBB112_277:
	s_wait_alu 0xfffe
	s_or_b32 exec_lo, exec_lo, s0
	s_wait_storecnt_dscnt 0x0
	s_barrier_signal -1
	s_barrier_wait -1
	global_inv scope:SCOPE_SE
	s_clause 0x4
	scratch_load_b128 v[5:8], off, off offset:128
	scratch_load_b128 v[1:4], off, off offset:144
	;; [unrolled: 1-line block ×5, first 2 shown]
	v_mov_b32_e32 v21, 0
	ds_load_b128 v[122:125], v21 offset:528
	ds_load_b128 v[126:129], v21 offset:544
	;; [unrolled: 1-line block ×3, first 2 shown]
	scratch_load_b64 v[134:135], off, off offset:120
	s_mov_b32 s0, exec_lo
	s_wait_loadcnt_dscnt 0x502
	v_mul_f32_e32 v22, v123, v6
	v_dual_mul_f32 v136, v122, v6 :: v_dual_mul_f32 v137, v124, v8
	v_mul_f32_e32 v6, v125, v8
	s_delay_alu instid0(VALU_DEP_3) | instskip(NEXT) | instid1(VALU_DEP_3)
	v_fma_f32 v22, v122, v5, -v22
	v_dual_fmac_f32 v136, v123, v5 :: v_dual_fmac_f32 v137, v125, v7
	s_wait_loadcnt_dscnt 0x401
	v_mul_f32_e32 v123, v126, v2
	v_fma_f32 v122, v124, v7, -v6
	ds_load_b128 v[5:8], v21 offset:576
	s_wait_loadcnt_dscnt 0x301
	v_dual_mul_f32 v124, v128, v4 :: v_dual_mul_f32 v125, v130, v10
	v_dual_mul_f32 v4, v129, v4 :: v_dual_fmac_f32 v123, v127, v1
	v_mul_f32_e32 v10, v131, v10
	s_delay_alu instid0(VALU_DEP_3)
	v_dual_mul_f32 v138, v132, v12 :: v_dual_fmac_f32 v125, v131, v9
	v_mul_f32_e32 v12, v133, v12
	v_mul_f32_e32 v2, v127, v2
	v_fmac_f32_e32 v124, v129, v3
	v_fma_f32 v127, v128, v3, -v4
	v_fma_f32 v128, v130, v9, -v10
	v_fmac_f32_e32 v138, v133, v11
	v_fma_f32 v129, v132, v11, -v12
	ds_load_b128 v[9:12], v21 offset:592
	s_wait_loadcnt_dscnt 0x201
	v_dual_mul_f32 v131, v7, v16 :: v_dual_mul_f32 v130, v5, v14
	v_mul_f32_e32 v14, v6, v14
	v_mul_f32_e32 v16, v8, v16
	s_delay_alu instid0(VALU_DEP_3)
	v_fmac_f32_e32 v131, v8, v15
	v_fma_f32 v126, v126, v1, -v2
	scratch_load_b128 v[1:4], off, off offset:208
	v_fmac_f32_e32 v130, v6, v13
	v_fma_f32 v13, v5, v13, -v14
	v_fma_f32 v14, v7, v15, -v16
	ds_load_b128 v[5:8], v21 offset:608
	s_wait_loadcnt_dscnt 0x201
	v_mul_f32_e32 v15, v9, v18
	v_mul_f32_e32 v16, v10, v18
	;; [unrolled: 1-line block ×3, first 2 shown]
	s_delay_alu instid0(VALU_DEP_3) | instskip(NEXT) | instid1(VALU_DEP_3)
	v_dual_mul_f32 v20, v12, v20 :: v_dual_fmac_f32 v15, v10, v17
	v_fma_f32 v16, v9, v17, -v16
	s_delay_alu instid0(VALU_DEP_3) | instskip(NEXT) | instid1(VALU_DEP_3)
	v_fmac_f32_e32 v18, v12, v19
	v_fma_f32 v17, v11, v19, -v20
	scratch_load_b128 v[9:12], off, off offset:224
	s_wait_loadcnt_dscnt 0x100
	v_mul_f32_e32 v19, v5, v2
	v_mul_f32_e32 v2, v6, v2
	;; [unrolled: 1-line block ×3, first 2 shown]
	s_delay_alu instid0(VALU_DEP_3) | instskip(NEXT) | instid1(VALU_DEP_3)
	v_dual_mul_f32 v4, v8, v4 :: v_dual_fmac_f32 v19, v6, v1
	v_fma_f32 v132, v5, v1, -v2
	s_delay_alu instid0(VALU_DEP_3) | instskip(NEXT) | instid1(VALU_DEP_3)
	v_fmac_f32_e32 v20, v8, v3
	v_fma_f32 v133, v7, v3, -v4
	ds_load_b128 v[1:4], v21 offset:624
	ds_load_b128 v[5:8], v21 offset:640
	s_wait_loadcnt_dscnt 0x1
	v_mul_f32_e32 v139, v1, v10
	v_mul_f32_e32 v10, v2, v10
	s_delay_alu instid0(VALU_DEP_2) | instskip(NEXT) | instid1(VALU_DEP_2)
	v_dual_mul_f32 v140, v3, v12 :: v_dual_fmac_f32 v139, v2, v9
	v_fma_f32 v141, v1, v9, -v10
	v_mul_f32_e32 v1, v4, v12
	s_delay_alu instid0(VALU_DEP_3) | instskip(NEXT) | instid1(VALU_DEP_2)
	v_fmac_f32_e32 v140, v4, v11
	v_fma_f32 v142, v3, v11, -v1
	s_clause 0x1
	scratch_load_b128 v[1:4], off, off offset:240
	scratch_load_b128 v[9:12], off, off offset:256
	s_wait_loadcnt_dscnt 0x100
	v_mul_f32_e32 v143, v5, v2
	v_dual_mul_f32 v2, v6, v2 :: v_dual_mul_f32 v145, v7, v4
	s_delay_alu instid0(VALU_DEP_2) | instskip(NEXT) | instid1(VALU_DEP_2)
	v_fmac_f32_e32 v143, v6, v1
	v_fma_f32 v144, v5, v1, -v2
	v_mul_f32_e32 v1, v8, v4
	s_delay_alu instid0(VALU_DEP_4) | instskip(NEXT) | instid1(VALU_DEP_2)
	v_fmac_f32_e32 v145, v8, v3
	v_fma_f32 v146, v7, v3, -v1
	ds_load_b128 v[1:4], v21 offset:656
	ds_load_b128 v[5:8], v21 offset:672
	s_wait_loadcnt_dscnt 0x1
	v_mul_f32_e32 v147, v1, v10
	v_mul_f32_e32 v149, v3, v12
	s_delay_alu instid0(VALU_DEP_2) | instskip(NEXT) | instid1(VALU_DEP_2)
	v_fmac_f32_e32 v147, v2, v9
	v_dual_mul_f32 v2, v2, v10 :: v_dual_fmac_f32 v149, v4, v11
	s_delay_alu instid0(VALU_DEP_1) | instskip(SKIP_1) | instid1(VALU_DEP_1)
	v_fma_f32 v148, v1, v9, -v2
	v_mul_f32_e32 v1, v4, v12
	v_fma_f32 v150, v3, v11, -v1
	s_clause 0x1
	scratch_load_b128 v[1:4], off, off offset:272
	scratch_load_b128 v[9:12], off, off offset:288
	s_wait_loadcnt_dscnt 0x100
	v_mul_f32_e32 v151, v5, v2
	v_dual_mul_f32 v153, v7, v4 :: v_dual_mul_f32 v2, v6, v2
	s_delay_alu instid0(VALU_DEP_2) | instskip(NEXT) | instid1(VALU_DEP_2)
	v_fmac_f32_e32 v151, v6, v1
	v_fmac_f32_e32 v153, v8, v3
	s_delay_alu instid0(VALU_DEP_3) | instskip(SKIP_1) | instid1(VALU_DEP_1)
	v_fma_f32 v152, v5, v1, -v2
	v_mul_f32_e32 v1, v8, v4
	v_fma_f32 v154, v7, v3, -v1
	ds_load_b128 v[1:4], v21 offset:688
	ds_load_b128 v[5:8], v21 offset:704
	s_wait_loadcnt_dscnt 0x1
	v_mul_f32_e32 v155, v1, v10
	v_mul_f32_e32 v157, v3, v12
	s_delay_alu instid0(VALU_DEP_2) | instskip(NEXT) | instid1(VALU_DEP_2)
	v_fmac_f32_e32 v155, v2, v9
	v_dual_mul_f32 v2, v2, v10 :: v_dual_fmac_f32 v157, v4, v11
	s_delay_alu instid0(VALU_DEP_1) | instskip(SKIP_1) | instid1(VALU_DEP_1)
	v_fma_f32 v156, v1, v9, -v2
	v_mul_f32_e32 v1, v4, v12
	v_fma_f32 v158, v3, v11, -v1
	s_clause 0x1
	scratch_load_b128 v[1:4], off, off offset:304
	scratch_load_b128 v[9:12], off, off offset:320
	s_wait_loadcnt_dscnt 0x100
	v_mul_f32_e32 v159, v5, v2
	v_mul_f32_e32 v2, v6, v2
	s_delay_alu instid0(VALU_DEP_1) | instskip(SKIP_1) | instid1(VALU_DEP_1)
	v_fma_f32 v160, v5, v1, -v2
	v_add_f32_e32 v2, 0, v136
	v_add_f32_e32 v2, v2, v137
	s_delay_alu instid0(VALU_DEP_1) | instskip(NEXT) | instid1(VALU_DEP_1)
	v_add_f32_e32 v2, v2, v123
	v_add_f32_e32 v2, v2, v124
	v_mul_f32_e32 v161, v7, v4
	v_fmac_f32_e32 v159, v6, v1
	s_delay_alu instid0(VALU_DEP_2) | instskip(NEXT) | instid1(VALU_DEP_1)
	v_dual_add_f32 v2, v2, v125 :: v_dual_fmac_f32 v161, v8, v3
	v_dual_add_f32 v2, v2, v138 :: v_dual_mul_f32 v1, v8, v4
	s_delay_alu instid0(VALU_DEP_1) | instskip(NEXT) | instid1(VALU_DEP_2)
	v_add_f32_e32 v2, v2, v130
	v_fma_f32 v162, v7, v3, -v1
	s_delay_alu instid0(VALU_DEP_2) | instskip(NEXT) | instid1(VALU_DEP_1)
	v_dual_add_f32 v1, 0, v22 :: v_dual_add_f32 v2, v2, v131
	v_add_f32_e32 v1, v1, v122
	s_delay_alu instid0(VALU_DEP_1) | instskip(NEXT) | instid1(VALU_DEP_1)
	v_add_f32_e32 v1, v1, v126
	v_add_f32_e32 v1, v1, v127
	scratch_load_b64 v[126:127], off, off offset:384
	v_add_f32_e32 v1, v1, v128
	s_delay_alu instid0(VALU_DEP_1) | instskip(NEXT) | instid1(VALU_DEP_1)
	v_add_f32_e32 v1, v1, v129
	v_add_f32_e32 v1, v1, v13
	s_delay_alu instid0(VALU_DEP_1) | instskip(NEXT) | instid1(VALU_DEP_1)
	v_add_f32_e32 v1, v1, v14
	v_add_f32_e32 v1, v1, v16
	s_delay_alu instid0(VALU_DEP_1) | instskip(SKIP_2) | instid1(VALU_DEP_1)
	v_dual_add_f32 v5, v2, v15 :: v_dual_add_f32 v6, v1, v17
	ds_load_b128 v[1:4], v21 offset:720
	v_dual_add_f32 v5, v5, v18 :: v_dual_add_f32 v6, v6, v132
	v_add_f32_e32 v13, v6, v133
	s_delay_alu instid0(VALU_DEP_1) | instskip(NEXT) | instid1(VALU_DEP_1)
	v_add_f32_e32 v13, v13, v141
	v_add_f32_e32 v13, v13, v142
	s_delay_alu instid0(VALU_DEP_1) | instskip(NEXT) | instid1(VALU_DEP_1)
	v_add_f32_e32 v13, v13, v144
	v_add_f32_e32 v18, v13, v146
	s_delay_alu instid0(VALU_DEP_1) | instskip(NEXT) | instid1(VALU_DEP_1)
	v_dual_add_f32 v5, v5, v19 :: v_dual_add_f32 v18, v18, v148
	v_add_f32_e32 v14, v5, v20
	ds_load_b128 v[5:8], v21 offset:736
	s_wait_loadcnt_dscnt 0x101
	v_mul_f32_e32 v22, v1, v10
	v_mul_f32_e32 v10, v2, v10
	v_mul_f32_e32 v130, v3, v12
	v_mul_f32_e32 v12, v4, v12
	v_add_f32_e32 v14, v14, v139
	v_fmac_f32_e32 v22, v2, v9
	v_fma_f32 v131, v1, v9, -v10
	v_fmac_f32_e32 v130, v4, v11
	v_fma_f32 v132, v3, v11, -v12
	s_clause 0x1
	scratch_load_b128 v[1:4], off, off offset:336
	scratch_load_b128 v[9:12], off, off offset:352
	v_add_f32_e32 v14, v14, v140
	v_add_f32_e32 v18, v18, v150
	s_delay_alu instid0(VALU_DEP_2) | instskip(SKIP_2) | instid1(VALU_DEP_1)
	v_add_f32_e32 v17, v14, v143
	scratch_load_b128 v[13:16], off, off offset:368
	v_dual_add_f32 v18, v18, v152 :: v_dual_add_f32 v17, v17, v145
	v_add_f32_e32 v18, v18, v154
	s_delay_alu instid0(VALU_DEP_1) | instskip(NEXT) | instid1(VALU_DEP_1)
	v_add_f32_e32 v128, v18, v156
	v_add_f32_e32 v133, v128, v158
	s_wait_loadcnt_dscnt 0x200
	v_mul_f32_e32 v137, v5, v2
	v_dual_mul_f32 v2, v6, v2 :: v_dual_add_f32 v17, v17, v147
	v_mul_f32_e32 v138, v7, v4
	v_mul_f32_e32 v4, v8, v4
	s_delay_alu instid0(VALU_DEP_3) | instskip(NEXT) | instid1(VALU_DEP_3)
	v_fma_f32 v2, v5, v1, -v2
	v_dual_add_f32 v17, v17, v149 :: v_dual_fmac_f32 v138, v8, v3
	s_delay_alu instid0(VALU_DEP_1) | instskip(NEXT) | instid1(VALU_DEP_1)
	v_add_f32_e32 v17, v17, v151
	v_add_f32_e32 v122, v17, v153
	ds_load_b128 v[17:20], v21 offset:752
	v_add_f32_e32 v129, v122, v155
	ds_load_b128 v[122:125], v21 offset:768
	v_add_f32_e32 v136, v129, v157
	ds_load_b64 v[128:129], v21 offset:784
	v_add_f32_e32 v136, v136, v159
	s_delay_alu instid0(VALU_DEP_1) | instskip(SKIP_2) | instid1(VALU_DEP_2)
	v_dual_add_f32 v136, v136, v161 :: v_dual_add_f32 v133, v133, v160
	s_wait_loadcnt_dscnt 0x102
	v_mul_f32_e32 v5, v20, v12
	v_add_f32_e32 v22, v136, v22
	s_delay_alu instid0(VALU_DEP_3) | instskip(SKIP_3) | instid1(VALU_DEP_3)
	v_dual_add_f32 v133, v133, v162 :: v_dual_mul_f32 v136, v19, v12
	v_fmac_f32_e32 v137, v6, v1
	s_wait_loadcnt_dscnt 0x1
	v_mul_f32_e32 v139, v122, v14
	v_dual_add_f32 v22, v22, v130 :: v_dual_add_f32 v131, v133, v131
	s_wait_dscnt 0x0
	v_dual_mul_f32 v133, v17, v10 :: v_dual_mul_f32 v130, v128, v127
	v_fma_f32 v1, v7, v3, -v4
	v_dual_mul_f32 v3, v18, v10 :: v_dual_fmac_f32 v136, v20, v11
	v_dual_add_f32 v131, v131, v132 :: v_dual_add_f32 v4, v22, v137
	s_delay_alu instid0(VALU_DEP_4) | instskip(NEXT) | instid1(VALU_DEP_3)
	v_dual_mul_f32 v132, v124, v16 :: v_dual_fmac_f32 v133, v18, v9
	v_fma_f32 v3, v17, v9, -v3
	s_delay_alu instid0(VALU_DEP_3) | instskip(SKIP_1) | instid1(VALU_DEP_2)
	v_add_f32_e32 v2, v131, v2
	v_fmac_f32_e32 v130, v129, v126
	v_dual_fmac_f32 v132, v125, v15 :: v_dual_add_f32 v1, v2, v1
	v_add_f32_e32 v2, v4, v138
	v_mul_f32_e32 v4, v123, v14
	v_fma_f32 v5, v19, v11, -v5
	s_delay_alu instid0(VALU_DEP_3) | instskip(SKIP_1) | instid1(VALU_DEP_4)
	v_dual_add_f32 v1, v1, v3 :: v_dual_add_f32 v2, v2, v133
	v_fmac_f32_e32 v139, v123, v13
	v_fma_f32 v4, v122, v13, -v4
	s_delay_alu instid0(VALU_DEP_3) | instskip(NEXT) | instid1(VALU_DEP_1)
	v_add_f32_e32 v2, v2, v136
	v_dual_mul_f32 v3, v125, v16 :: v_dual_add_f32 v2, v2, v139
	v_add_f32_e32 v1, v1, v5
	s_delay_alu instid0(VALU_DEP_2) | instskip(NEXT) | instid1(VALU_DEP_3)
	v_fma_f32 v3, v124, v15, -v3
	v_dual_add_f32 v2, v2, v132 :: v_dual_mul_f32 v5, v129, v127
	s_delay_alu instid0(VALU_DEP_1) | instskip(NEXT) | instid1(VALU_DEP_2)
	v_dual_add_f32 v2, v2, v130 :: v_dual_add_f32 v1, v1, v4
	v_fma_f32 v4, v128, v126, -v5
	s_delay_alu instid0(VALU_DEP_2) | instskip(NEXT) | instid1(VALU_DEP_1)
	v_dual_sub_f32 v2, v135, v2 :: v_dual_add_f32 v1, v1, v3
	v_add_f32_e32 v1, v1, v4
	s_delay_alu instid0(VALU_DEP_1)
	v_sub_f32_e32 v1, v134, v1
	scratch_store_b64 off, v[1:2], off offset:120
	v_cmpx_lt_u32_e32 14, v0
	s_cbranch_execz .LBB112_279
; %bb.278:
	scratch_load_b64 v[1:2], off, off offset:112
	v_mov_b32_e32 v22, v21
	scratch_store_b64 off, v[21:22], off offset:112
	s_wait_loadcnt 0x0
	ds_store_b64 v23, v[1:2]
.LBB112_279:
	s_wait_alu 0xfffe
	s_or_b32 exec_lo, exec_lo, s0
	s_wait_storecnt_dscnt 0x0
	s_barrier_signal -1
	s_barrier_wait -1
	global_inv scope:SCOPE_SE
	s_clause 0x4
	scratch_load_b128 v[5:8], off, off offset:120
	scratch_load_b128 v[1:4], off, off offset:136
	;; [unrolled: 1-line block ×5, first 2 shown]
	ds_load_2addr_b64 v[122:125], v21 offset0:65 offset1:66
	ds_load_2addr_b64 v[126:129], v21 offset0:67 offset1:68
	ds_load_2addr_b64 v[130:133], v21 offset0:69 offset1:70
	scratch_load_b64 v[134:135], off, off offset:112
	s_mov_b32 s0, exec_lo
	s_wait_loadcnt_dscnt 0x502
	v_dual_mul_f32 v22, v123, v6 :: v_dual_mul_f32 v137, v124, v8
	v_mul_f32_e32 v136, v122, v6
	v_mul_f32_e32 v6, v125, v8
	s_wait_loadcnt_dscnt 0x300
	v_mul_f32_e32 v138, v132, v12
	v_fma_f32 v22, v122, v5, -v22
	v_dual_fmac_f32 v137, v125, v7 :: v_dual_fmac_f32 v136, v123, v5
	v_mul_f32_e32 v125, v130, v10
	v_mul_f32_e32 v123, v126, v2
	v_fma_f32 v122, v124, v7, -v6
	ds_load_2addr_b64 v[5:8], v21 offset0:71 offset1:72
	v_mul_f32_e32 v124, v128, v4
	v_dual_mul_f32 v4, v129, v4 :: v_dual_fmac_f32 v125, v131, v9
	v_mul_f32_e32 v10, v131, v10
	v_mul_f32_e32 v12, v133, v12
	;; [unrolled: 1-line block ×3, first 2 shown]
	v_dual_fmac_f32 v123, v127, v1 :: v_dual_fmac_f32 v124, v129, v3
	v_fma_f32 v127, v128, v3, -v4
	v_fma_f32 v128, v130, v9, -v10
	v_fmac_f32_e32 v138, v133, v11
	v_fma_f32 v129, v132, v11, -v12
	ds_load_2addr_b64 v[9:12], v21 offset0:73 offset1:74
	s_wait_loadcnt_dscnt 0x201
	v_dual_mul_f32 v131, v7, v16 :: v_dual_mul_f32 v130, v5, v14
	s_delay_alu instid0(VALU_DEP_1)
	v_dual_mul_f32 v14, v6, v14 :: v_dual_fmac_f32 v131, v8, v15
	v_fma_f32 v126, v126, v1, -v2
	scratch_load_b128 v[1:4], off, off offset:200
	v_mul_f32_e32 v16, v8, v16
	v_fmac_f32_e32 v130, v6, v13
	v_fma_f32 v13, v5, v13, -v14
	s_delay_alu instid0(VALU_DEP_3)
	v_fma_f32 v14, v7, v15, -v16
	s_wait_loadcnt_dscnt 0x200
	v_mul_f32_e32 v15, v9, v18
	v_mul_f32_e32 v16, v10, v18
	;; [unrolled: 1-line block ×4, first 2 shown]
	ds_load_2addr_b64 v[5:8], v21 offset0:75 offset1:76
	v_fmac_f32_e32 v15, v10, v17
	v_fma_f32 v16, v9, v17, -v16
	v_fmac_f32_e32 v18, v12, v19
	v_fma_f32 v17, v11, v19, -v20
	scratch_load_b128 v[9:12], off, off offset:216
	s_wait_loadcnt_dscnt 0x100
	v_mul_f32_e32 v19, v5, v2
	v_mul_f32_e32 v2, v6, v2
	;; [unrolled: 1-line block ×3, first 2 shown]
	s_delay_alu instid0(VALU_DEP_3) | instskip(NEXT) | instid1(VALU_DEP_3)
	v_dual_mul_f32 v4, v8, v4 :: v_dual_fmac_f32 v19, v6, v1
	v_fma_f32 v132, v5, v1, -v2
	s_delay_alu instid0(VALU_DEP_3) | instskip(NEXT) | instid1(VALU_DEP_3)
	v_fmac_f32_e32 v20, v8, v3
	v_fma_f32 v133, v7, v3, -v4
	ds_load_2addr_b64 v[1:4], v21 offset0:77 offset1:78
	ds_load_2addr_b64 v[5:8], v21 offset0:79 offset1:80
	s_wait_loadcnt_dscnt 0x1
	v_mul_f32_e32 v139, v1, v10
	v_mul_f32_e32 v10, v2, v10
	s_delay_alu instid0(VALU_DEP_2) | instskip(NEXT) | instid1(VALU_DEP_2)
	v_dual_mul_f32 v140, v3, v12 :: v_dual_fmac_f32 v139, v2, v9
	v_fma_f32 v141, v1, v9, -v10
	v_mul_f32_e32 v1, v4, v12
	s_delay_alu instid0(VALU_DEP_3) | instskip(NEXT) | instid1(VALU_DEP_2)
	v_fmac_f32_e32 v140, v4, v11
	v_fma_f32 v142, v3, v11, -v1
	s_clause 0x1
	scratch_load_b128 v[1:4], off, off offset:232
	scratch_load_b128 v[9:12], off, off offset:248
	s_wait_loadcnt_dscnt 0x100
	v_mul_f32_e32 v143, v5, v2
	v_dual_mul_f32 v2, v6, v2 :: v_dual_mul_f32 v145, v7, v4
	s_delay_alu instid0(VALU_DEP_2) | instskip(NEXT) | instid1(VALU_DEP_2)
	v_fmac_f32_e32 v143, v6, v1
	v_fma_f32 v144, v5, v1, -v2
	v_mul_f32_e32 v1, v8, v4
	s_delay_alu instid0(VALU_DEP_4) | instskip(NEXT) | instid1(VALU_DEP_2)
	v_fmac_f32_e32 v145, v8, v3
	v_fma_f32 v146, v7, v3, -v1
	ds_load_2addr_b64 v[1:4], v21 offset0:81 offset1:82
	ds_load_2addr_b64 v[5:8], v21 offset0:83 offset1:84
	s_wait_loadcnt_dscnt 0x1
	v_mul_f32_e32 v147, v1, v10
	v_mul_f32_e32 v149, v3, v12
	s_delay_alu instid0(VALU_DEP_2) | instskip(NEXT) | instid1(VALU_DEP_2)
	v_fmac_f32_e32 v147, v2, v9
	v_dual_mul_f32 v2, v2, v10 :: v_dual_fmac_f32 v149, v4, v11
	s_delay_alu instid0(VALU_DEP_1) | instskip(SKIP_1) | instid1(VALU_DEP_1)
	v_fma_f32 v148, v1, v9, -v2
	v_mul_f32_e32 v1, v4, v12
	v_fma_f32 v150, v3, v11, -v1
	s_clause 0x1
	scratch_load_b128 v[1:4], off, off offset:264
	scratch_load_b128 v[9:12], off, off offset:280
	s_wait_loadcnt_dscnt 0x100
	v_mul_f32_e32 v151, v5, v2
	v_dual_mul_f32 v2, v6, v2 :: v_dual_mul_f32 v153, v7, v4
	s_delay_alu instid0(VALU_DEP_2) | instskip(NEXT) | instid1(VALU_DEP_2)
	v_fmac_f32_e32 v151, v6, v1
	v_fma_f32 v152, v5, v1, -v2
	v_mul_f32_e32 v1, v8, v4
	s_delay_alu instid0(VALU_DEP_4) | instskip(NEXT) | instid1(VALU_DEP_2)
	v_fmac_f32_e32 v153, v8, v3
	v_fma_f32 v154, v7, v3, -v1
	ds_load_2addr_b64 v[1:4], v21 offset0:85 offset1:86
	ds_load_2addr_b64 v[5:8], v21 offset0:87 offset1:88
	s_wait_loadcnt_dscnt 0x1
	v_mul_f32_e32 v155, v1, v10
	v_mul_f32_e32 v157, v3, v12
	s_delay_alu instid0(VALU_DEP_2) | instskip(NEXT) | instid1(VALU_DEP_2)
	v_fmac_f32_e32 v155, v2, v9
	v_dual_mul_f32 v2, v2, v10 :: v_dual_fmac_f32 v157, v4, v11
	s_delay_alu instid0(VALU_DEP_1) | instskip(SKIP_1) | instid1(VALU_DEP_1)
	v_fma_f32 v156, v1, v9, -v2
	v_mul_f32_e32 v1, v4, v12
	v_fma_f32 v158, v3, v11, -v1
	s_clause 0x1
	scratch_load_b128 v[1:4], off, off offset:296
	scratch_load_b128 v[9:12], off, off offset:312
	s_wait_loadcnt_dscnt 0x100
	v_mul_f32_e32 v159, v5, v2
	v_mul_f32_e32 v2, v6, v2
	s_delay_alu instid0(VALU_DEP_1) | instskip(SKIP_1) | instid1(VALU_DEP_1)
	v_fma_f32 v160, v5, v1, -v2
	v_add_f32_e32 v2, 0, v136
	v_add_f32_e32 v2, v2, v137
	s_delay_alu instid0(VALU_DEP_1) | instskip(SKIP_1) | instid1(VALU_DEP_2)
	v_add_f32_e32 v2, v2, v123
	v_fmac_f32_e32 v159, v6, v1
	v_add_f32_e32 v2, v2, v124
	s_delay_alu instid0(VALU_DEP_1) | instskip(NEXT) | instid1(VALU_DEP_1)
	v_dual_mul_f32 v161, v7, v4 :: v_dual_add_f32 v2, v2, v125
	v_dual_fmac_f32 v161, v8, v3 :: v_dual_add_f32 v2, v2, v138
	s_delay_alu instid0(VALU_DEP_1) | instskip(NEXT) | instid1(VALU_DEP_1)
	v_dual_mul_f32 v1, v8, v4 :: v_dual_add_f32 v2, v2, v130
	v_fma_f32 v162, v7, v3, -v1
	s_delay_alu instid0(VALU_DEP_2) | instskip(NEXT) | instid1(VALU_DEP_1)
	v_dual_add_f32 v1, 0, v22 :: v_dual_add_f32 v2, v2, v131
	v_dual_add_f32 v1, v1, v122 :: v_dual_add_f32 v2, v2, v15
	s_delay_alu instid0(VALU_DEP_1) | instskip(NEXT) | instid1(VALU_DEP_2)
	v_add_f32_e32 v1, v1, v126
	v_add_f32_e32 v5, v2, v18
	s_delay_alu instid0(VALU_DEP_2) | instskip(NEXT) | instid1(VALU_DEP_1)
	v_add_f32_e32 v1, v1, v127
	v_add_f32_e32 v1, v1, v128
	s_delay_alu instid0(VALU_DEP_1) | instskip(NEXT) | instid1(VALU_DEP_1)
	v_add_f32_e32 v1, v1, v129
	v_add_f32_e32 v1, v1, v13
	;; [unrolled: 1-line block ×3, first 2 shown]
	s_delay_alu instid0(VALU_DEP_1) | instskip(NEXT) | instid1(VALU_DEP_1)
	v_add_f32_e32 v13, v13, v20
	v_add_f32_e32 v13, v13, v139
	s_delay_alu instid0(VALU_DEP_1) | instskip(NEXT) | instid1(VALU_DEP_1)
	v_add_f32_e32 v18, v13, v140
	v_dual_add_f32 v18, v18, v143 :: v_dual_add_f32 v1, v1, v14
	s_delay_alu instid0(VALU_DEP_1) | instskip(NEXT) | instid1(VALU_DEP_1)
	v_dual_add_f32 v18, v18, v145 :: v_dual_add_f32 v1, v1, v16
	v_dual_add_f32 v122, v18, v147 :: v_dual_add_f32 v1, v1, v17
	s_delay_alu instid0(VALU_DEP_1) | instskip(NEXT) | instid1(VALU_DEP_2)
	v_add_f32_e32 v122, v122, v149
	v_add_f32_e32 v6, v1, v132
	ds_load_2addr_b64 v[1:4], v21 offset0:89 offset1:90
	v_add_f32_e32 v122, v122, v151
	v_add_f32_e32 v14, v6, v133
	scratch_load_b128 v[5:8], off, off offset:328
	v_add_f32_e32 v14, v14, v141
	s_delay_alu instid0(VALU_DEP_1)
	v_add_f32_e32 v17, v14, v142
	ds_load_2addr_b64 v[13:16], v21 offset0:91 offset1:92
	s_wait_loadcnt_dscnt 0x101
	v_mul_f32_e32 v22, v1, v10
	v_mul_f32_e32 v10, v2, v10
	;; [unrolled: 1-line block ×4, first 2 shown]
	s_delay_alu instid0(VALU_DEP_4) | instskip(NEXT) | instid1(VALU_DEP_4)
	v_fmac_f32_e32 v22, v2, v9
	v_fma_f32 v127, v1, v9, -v10
	s_delay_alu instid0(VALU_DEP_4) | instskip(NEXT) | instid1(VALU_DEP_4)
	v_fmac_f32_e32 v126, v4, v11
	v_fma_f32 v128, v3, v11, -v12
	s_clause 0x1
	scratch_load_b128 v[1:4], off, off offset:344
	scratch_load_b128 v[9:12], off, off offset:360
	s_wait_loadcnt_dscnt 0x200
	v_mul_f32_e32 v130, v15, v8
	v_add_f32_e32 v17, v17, v144
	v_mul_f32_e32 v129, v13, v6
	v_mul_f32_e32 v6, v14, v6
	;; [unrolled: 1-line block ×3, first 2 shown]
	s_delay_alu instid0(VALU_DEP_4) | instskip(NEXT) | instid1(VALU_DEP_3)
	v_dual_fmac_f32 v130, v16, v7 :: v_dual_add_f32 v17, v17, v146
	v_fma_f32 v131, v13, v5, -v6
	v_add_f32_e32 v13, v122, v153
	s_delay_alu instid0(VALU_DEP_4) | instskip(NEXT) | instid1(VALU_DEP_4)
	v_fma_f32 v132, v15, v7, -v8
	v_add_f32_e32 v17, v17, v148
	s_delay_alu instid0(VALU_DEP_1) | instskip(SKIP_2) | instid1(VALU_DEP_1)
	v_add_f32_e32 v123, v17, v150
	scratch_load_b128 v[17:20], off, off offset:376
	v_add_f32_e32 v123, v123, v152
	v_add_f32_e32 v123, v123, v154
	s_delay_alu instid0(VALU_DEP_1)
	v_dual_add_f32 v122, v123, v156 :: v_dual_fmac_f32 v129, v14, v5
	ds_load_2addr_b64 v[5:8], v21 offset0:93 offset1:94
	v_add_f32_e32 v123, v13, v155
	ds_load_2addr_b64 v[13:16], v21 offset0:95 offset1:96
	v_dual_add_f32 v133, v122, v158 :: v_dual_add_f32 v136, v123, v157
	ds_load_2addr_b64 v[122:125], v21 offset0:97 offset1:98
	v_add_f32_e32 v21, v133, v160
	s_wait_loadcnt_dscnt 0x202
	v_dual_add_f32 v133, v136, v159 :: v_dual_mul_f32 v136, v5, v2
	s_delay_alu instid0(VALU_DEP_1) | instskip(NEXT) | instid1(VALU_DEP_2)
	v_dual_mul_f32 v2, v6, v2 :: v_dual_add_f32 v133, v133, v161
	v_fmac_f32_e32 v136, v6, v1
	s_wait_loadcnt_dscnt 0x101
	v_mul_f32_e32 v6, v14, v10
	s_delay_alu instid0(VALU_DEP_3) | instskip(SKIP_2) | instid1(VALU_DEP_3)
	v_add_f32_e32 v22, v133, v22
	v_mul_f32_e32 v133, v13, v10
	v_fma_f32 v2, v5, v1, -v2
	v_add_f32_e32 v22, v22, v126
	s_delay_alu instid0(VALU_DEP_1) | instskip(SKIP_2) | instid1(VALU_DEP_1)
	v_add_f32_e32 v22, v22, v129
	s_wait_loadcnt_dscnt 0x0
	v_mul_f32_e32 v126, v122, v18
	v_dual_add_f32 v21, v21, v162 :: v_dual_fmac_f32 v126, v123, v17
	s_delay_alu instid0(VALU_DEP_1) | instskip(SKIP_2) | instid1(VALU_DEP_2)
	v_add_f32_e32 v21, v21, v127
	v_mul_f32_e32 v127, v7, v4
	v_mul_f32_e32 v4, v8, v4
	v_fmac_f32_e32 v127, v8, v3
	s_delay_alu instid0(VALU_DEP_2) | instskip(SKIP_3) | instid1(VALU_DEP_3)
	v_fma_f32 v3, v7, v3, -v4
	v_dual_mul_f32 v4, v16, v12 :: v_dual_fmac_f32 v133, v14, v9
	v_add_f32_e32 v21, v21, v128
	v_dual_mul_f32 v128, v124, v20 :: v_dual_add_f32 v5, v22, v130
	v_fma_f32 v4, v15, v11, -v4
	s_delay_alu instid0(VALU_DEP_3) | instskip(NEXT) | instid1(VALU_DEP_3)
	v_add_f32_e32 v21, v21, v131
	v_fmac_f32_e32 v128, v125, v19
	s_delay_alu instid0(VALU_DEP_2) | instskip(NEXT) | instid1(VALU_DEP_1)
	v_add_f32_e32 v1, v21, v132
	v_add_f32_e32 v1, v1, v2
	v_add_f32_e32 v2, v5, v136
	v_mul_f32_e32 v137, v15, v12
	v_fma_f32 v5, v13, v9, -v6
	s_delay_alu instid0(VALU_DEP_3) | instskip(NEXT) | instid1(VALU_DEP_1)
	v_add_f32_e32 v2, v2, v127
	v_dual_fmac_f32 v137, v16, v11 :: v_dual_add_f32 v2, v2, v133
	s_delay_alu instid0(VALU_DEP_1) | instskip(NEXT) | instid1(VALU_DEP_1)
	v_add_f32_e32 v2, v2, v137
	v_add_f32_e32 v2, v2, v126
	s_delay_alu instid0(VALU_DEP_1) | instskip(SKIP_1) | instid1(VALU_DEP_2)
	v_dual_add_f32 v2, v2, v128 :: v_dual_add_f32 v1, v1, v3
	v_mul_f32_e32 v3, v123, v18
	v_dual_sub_f32 v2, v135, v2 :: v_dual_add_f32 v1, v1, v5
	v_mul_f32_e32 v5, v125, v20
	s_delay_alu instid0(VALU_DEP_3) | instskip(NEXT) | instid1(VALU_DEP_3)
	v_fma_f32 v3, v122, v17, -v3
	v_add_f32_e32 v1, v1, v4
	s_delay_alu instid0(VALU_DEP_3) | instskip(NEXT) | instid1(VALU_DEP_2)
	v_fma_f32 v4, v124, v19, -v5
	v_add_f32_e32 v1, v1, v3
	s_delay_alu instid0(VALU_DEP_1) | instskip(NEXT) | instid1(VALU_DEP_1)
	v_add_f32_e32 v1, v1, v4
	v_sub_f32_e32 v1, v134, v1
	scratch_store_b64 off, v[1:2], off offset:112
	v_cmpx_lt_u32_e32 13, v0
	s_cbranch_execz .LBB112_281
; %bb.280:
	scratch_load_b64 v[1:2], off, off offset:104
	v_mov_b32_e32 v3, 0
	s_delay_alu instid0(VALU_DEP_1)
	v_mov_b32_e32 v4, v3
	scratch_store_b64 off, v[3:4], off offset:104
	s_wait_loadcnt 0x0
	ds_store_b64 v23, v[1:2]
.LBB112_281:
	s_wait_alu 0xfffe
	s_or_b32 exec_lo, exec_lo, s0
	s_wait_storecnt_dscnt 0x0
	s_barrier_signal -1
	s_barrier_wait -1
	global_inv scope:SCOPE_SE
	s_clause 0x4
	scratch_load_b128 v[5:8], off, off offset:112
	scratch_load_b128 v[1:4], off, off offset:128
	;; [unrolled: 1-line block ×5, first 2 shown]
	v_mov_b32_e32 v21, 0
	ds_load_b128 v[122:125], v21 offset:512
	ds_load_b128 v[126:129], v21 offset:528
	ds_load_b128 v[130:133], v21 offset:544
	scratch_load_b64 v[134:135], off, off offset:104
	s_mov_b32 s0, exec_lo
	s_wait_loadcnt_dscnt 0x502
	v_mul_f32_e32 v22, v123, v6
	v_dual_mul_f32 v136, v122, v6 :: v_dual_mul_f32 v137, v124, v8
	v_mul_f32_e32 v6, v125, v8
	s_delay_alu instid0(VALU_DEP_3) | instskip(NEXT) | instid1(VALU_DEP_3)
	v_fma_f32 v22, v122, v5, -v22
	v_dual_fmac_f32 v136, v123, v5 :: v_dual_fmac_f32 v137, v125, v7
	s_wait_loadcnt_dscnt 0x401
	v_mul_f32_e32 v123, v126, v2
	v_fma_f32 v122, v124, v7, -v6
	ds_load_b128 v[5:8], v21 offset:560
	s_wait_loadcnt_dscnt 0x301
	v_dual_mul_f32 v124, v128, v4 :: v_dual_mul_f32 v125, v130, v10
	v_dual_mul_f32 v4, v129, v4 :: v_dual_fmac_f32 v123, v127, v1
	v_mul_f32_e32 v10, v131, v10
	s_delay_alu instid0(VALU_DEP_3)
	v_dual_mul_f32 v138, v132, v12 :: v_dual_fmac_f32 v125, v131, v9
	v_mul_f32_e32 v12, v133, v12
	v_mul_f32_e32 v2, v127, v2
	v_fmac_f32_e32 v124, v129, v3
	v_fma_f32 v127, v128, v3, -v4
	v_fma_f32 v128, v130, v9, -v10
	v_fmac_f32_e32 v138, v133, v11
	v_fma_f32 v129, v132, v11, -v12
	ds_load_b128 v[9:12], v21 offset:576
	s_wait_loadcnt_dscnt 0x201
	v_dual_mul_f32 v131, v7, v16 :: v_dual_mul_f32 v130, v5, v14
	v_mul_f32_e32 v14, v6, v14
	v_mul_f32_e32 v16, v8, v16
	s_delay_alu instid0(VALU_DEP_3)
	v_fmac_f32_e32 v131, v8, v15
	v_fma_f32 v126, v126, v1, -v2
	scratch_load_b128 v[1:4], off, off offset:192
	v_fmac_f32_e32 v130, v6, v13
	v_fma_f32 v13, v5, v13, -v14
	v_fma_f32 v14, v7, v15, -v16
	ds_load_b128 v[5:8], v21 offset:592
	s_wait_loadcnt_dscnt 0x201
	v_mul_f32_e32 v15, v9, v18
	v_mul_f32_e32 v16, v10, v18
	v_mul_f32_e32 v18, v11, v20
	s_delay_alu instid0(VALU_DEP_3) | instskip(NEXT) | instid1(VALU_DEP_3)
	v_dual_mul_f32 v20, v12, v20 :: v_dual_fmac_f32 v15, v10, v17
	v_fma_f32 v16, v9, v17, -v16
	s_delay_alu instid0(VALU_DEP_3) | instskip(NEXT) | instid1(VALU_DEP_3)
	v_fmac_f32_e32 v18, v12, v19
	v_fma_f32 v17, v11, v19, -v20
	scratch_load_b128 v[9:12], off, off offset:208
	s_wait_loadcnt_dscnt 0x100
	v_mul_f32_e32 v19, v5, v2
	v_mul_f32_e32 v2, v6, v2
	;; [unrolled: 1-line block ×3, first 2 shown]
	s_delay_alu instid0(VALU_DEP_3) | instskip(NEXT) | instid1(VALU_DEP_3)
	v_dual_mul_f32 v4, v8, v4 :: v_dual_fmac_f32 v19, v6, v1
	v_fma_f32 v132, v5, v1, -v2
	s_delay_alu instid0(VALU_DEP_3) | instskip(NEXT) | instid1(VALU_DEP_3)
	v_fmac_f32_e32 v20, v8, v3
	v_fma_f32 v133, v7, v3, -v4
	ds_load_b128 v[1:4], v21 offset:608
	ds_load_b128 v[5:8], v21 offset:624
	s_wait_loadcnt_dscnt 0x1
	v_mul_f32_e32 v139, v1, v10
	v_mul_f32_e32 v10, v2, v10
	s_delay_alu instid0(VALU_DEP_2) | instskip(NEXT) | instid1(VALU_DEP_2)
	v_dual_mul_f32 v140, v3, v12 :: v_dual_fmac_f32 v139, v2, v9
	v_fma_f32 v141, v1, v9, -v10
	v_mul_f32_e32 v1, v4, v12
	s_delay_alu instid0(VALU_DEP_3) | instskip(NEXT) | instid1(VALU_DEP_2)
	v_fmac_f32_e32 v140, v4, v11
	v_fma_f32 v142, v3, v11, -v1
	s_clause 0x1
	scratch_load_b128 v[1:4], off, off offset:224
	scratch_load_b128 v[9:12], off, off offset:240
	s_wait_loadcnt_dscnt 0x100
	v_mul_f32_e32 v143, v5, v2
	v_dual_mul_f32 v2, v6, v2 :: v_dual_mul_f32 v145, v7, v4
	s_delay_alu instid0(VALU_DEP_2) | instskip(NEXT) | instid1(VALU_DEP_2)
	v_fmac_f32_e32 v143, v6, v1
	v_fma_f32 v144, v5, v1, -v2
	v_mul_f32_e32 v1, v8, v4
	s_delay_alu instid0(VALU_DEP_4) | instskip(NEXT) | instid1(VALU_DEP_2)
	v_fmac_f32_e32 v145, v8, v3
	v_fma_f32 v146, v7, v3, -v1
	ds_load_b128 v[1:4], v21 offset:640
	ds_load_b128 v[5:8], v21 offset:656
	s_wait_loadcnt_dscnt 0x1
	v_mul_f32_e32 v147, v1, v10
	v_mul_f32_e32 v149, v3, v12
	s_delay_alu instid0(VALU_DEP_2) | instskip(NEXT) | instid1(VALU_DEP_2)
	v_fmac_f32_e32 v147, v2, v9
	v_dual_mul_f32 v2, v2, v10 :: v_dual_fmac_f32 v149, v4, v11
	s_delay_alu instid0(VALU_DEP_1) | instskip(SKIP_1) | instid1(VALU_DEP_1)
	v_fma_f32 v148, v1, v9, -v2
	v_mul_f32_e32 v1, v4, v12
	v_fma_f32 v150, v3, v11, -v1
	s_clause 0x1
	scratch_load_b128 v[1:4], off, off offset:256
	scratch_load_b128 v[9:12], off, off offset:272
	s_wait_loadcnt_dscnt 0x100
	v_mul_f32_e32 v151, v5, v2
	v_dual_mul_f32 v153, v7, v4 :: v_dual_mul_f32 v2, v6, v2
	s_delay_alu instid0(VALU_DEP_2) | instskip(NEXT) | instid1(VALU_DEP_2)
	v_fmac_f32_e32 v151, v6, v1
	v_fmac_f32_e32 v153, v8, v3
	s_delay_alu instid0(VALU_DEP_3) | instskip(SKIP_1) | instid1(VALU_DEP_1)
	v_fma_f32 v152, v5, v1, -v2
	v_mul_f32_e32 v1, v8, v4
	v_fma_f32 v154, v7, v3, -v1
	ds_load_b128 v[1:4], v21 offset:672
	ds_load_b128 v[5:8], v21 offset:688
	s_wait_loadcnt_dscnt 0x1
	v_mul_f32_e32 v155, v1, v10
	v_mul_f32_e32 v157, v3, v12
	s_delay_alu instid0(VALU_DEP_2) | instskip(NEXT) | instid1(VALU_DEP_2)
	v_fmac_f32_e32 v155, v2, v9
	v_dual_mul_f32 v2, v2, v10 :: v_dual_fmac_f32 v157, v4, v11
	s_delay_alu instid0(VALU_DEP_1) | instskip(SKIP_1) | instid1(VALU_DEP_1)
	v_fma_f32 v156, v1, v9, -v2
	v_mul_f32_e32 v1, v4, v12
	v_fma_f32 v158, v3, v11, -v1
	s_clause 0x1
	scratch_load_b128 v[1:4], off, off offset:288
	scratch_load_b128 v[9:12], off, off offset:304
	s_wait_loadcnt_dscnt 0x100
	v_mul_f32_e32 v159, v5, v2
	v_mul_f32_e32 v2, v6, v2
	s_delay_alu instid0(VALU_DEP_1) | instskip(SKIP_1) | instid1(VALU_DEP_1)
	v_fma_f32 v160, v5, v1, -v2
	v_add_f32_e32 v2, 0, v136
	v_add_f32_e32 v2, v2, v137
	s_delay_alu instid0(VALU_DEP_1) | instskip(NEXT) | instid1(VALU_DEP_1)
	v_add_f32_e32 v2, v2, v123
	v_add_f32_e32 v2, v2, v124
	v_mul_f32_e32 v161, v7, v4
	v_fmac_f32_e32 v159, v6, v1
	s_delay_alu instid0(VALU_DEP_2) | instskip(NEXT) | instid1(VALU_DEP_1)
	v_dual_add_f32 v2, v2, v125 :: v_dual_fmac_f32 v161, v8, v3
	v_dual_add_f32 v2, v2, v138 :: v_dual_mul_f32 v1, v8, v4
	s_delay_alu instid0(VALU_DEP_1) | instskip(NEXT) | instid1(VALU_DEP_2)
	v_add_f32_e32 v2, v2, v130
	v_fma_f32 v162, v7, v3, -v1
	s_delay_alu instid0(VALU_DEP_2) | instskip(NEXT) | instid1(VALU_DEP_1)
	v_dual_add_f32 v1, 0, v22 :: v_dual_add_f32 v2, v2, v131
	v_dual_add_f32 v1, v1, v122 :: v_dual_add_f32 v2, v2, v15
	s_delay_alu instid0(VALU_DEP_1) | instskip(NEXT) | instid1(VALU_DEP_2)
	v_add_f32_e32 v1, v1, v126
	v_add_f32_e32 v5, v2, v18
	s_delay_alu instid0(VALU_DEP_2) | instskip(SKIP_2) | instid1(VALU_DEP_1)
	v_add_f32_e32 v1, v1, v127
	scratch_load_b64 v[126:127], off, off offset:384
	v_add_f32_e32 v1, v1, v128
	v_add_f32_e32 v1, v1, v129
	s_delay_alu instid0(VALU_DEP_1) | instskip(SKIP_1) | instid1(VALU_DEP_2)
	v_add_f32_e32 v1, v1, v13
	v_add_f32_e32 v13, v5, v19
	;; [unrolled: 1-line block ×3, first 2 shown]
	s_delay_alu instid0(VALU_DEP_2) | instskip(NEXT) | instid1(VALU_DEP_2)
	v_add_f32_e32 v13, v13, v20
	v_add_f32_e32 v1, v1, v16
	s_delay_alu instid0(VALU_DEP_2) | instskip(NEXT) | instid1(VALU_DEP_2)
	v_add_f32_e32 v13, v13, v139
	v_add_f32_e32 v1, v1, v17
	;; [unrolled: 3-line block ×3, first 2 shown]
	scratch_load_b128 v[1:4], off, off offset:320
	v_add_f32_e32 v18, v18, v143
	v_add_f32_e32 v14, v6, v133
	ds_load_b128 v[5:8], v21 offset:704
	v_add_f32_e32 v18, v18, v145
	v_add_f32_e32 v14, v14, v141
	s_delay_alu instid0(VALU_DEP_2) | instskip(NEXT) | instid1(VALU_DEP_2)
	v_add_f32_e32 v122, v18, v147
	v_add_f32_e32 v17, v14, v142
	ds_load_b128 v[13:16], v21 offset:720
	v_add_f32_e32 v122, v122, v149
	s_delay_alu instid0(VALU_DEP_1)
	v_add_f32_e32 v122, v122, v151
	s_wait_loadcnt_dscnt 0x201
	v_mul_f32_e32 v22, v5, v10
	v_mul_f32_e32 v10, v6, v10
	;; [unrolled: 1-line block ×4, first 2 shown]
	v_add_f32_e32 v122, v122, v153
	v_fmac_f32_e32 v22, v6, v9
	v_fma_f32 v131, v5, v9, -v10
	v_fmac_f32_e32 v130, v8, v11
	v_fma_f32 v132, v7, v11, -v12
	s_clause 0x1
	scratch_load_b128 v[5:8], off, off offset:336
	scratch_load_b128 v[9:12], off, off offset:352
	s_wait_loadcnt_dscnt 0x200
	v_mul_f32_e32 v136, v15, v4
	v_mul_f32_e32 v4, v16, v4
	v_add_f32_e32 v17, v17, v144
	v_mul_f32_e32 v133, v13, v2
	v_mul_f32_e32 v2, v14, v2
	v_fmac_f32_e32 v136, v16, v3
	v_fma_f32 v138, v15, v3, -v4
	v_add_f32_e32 v17, v17, v146
	s_delay_alu instid0(VALU_DEP_4) | instskip(SKIP_1) | instid1(VALU_DEP_3)
	v_fma_f32 v137, v13, v1, -v2
	v_add_f32_e32 v13, v122, v155
	v_add_f32_e32 v17, v17, v148
	s_delay_alu instid0(VALU_DEP_2) | instskip(NEXT) | instid1(VALU_DEP_2)
	v_add_f32_e32 v122, v13, v157
	v_add_f32_e32 v123, v17, v150
	scratch_load_b128 v[17:20], off, off offset:368
	v_add_f32_e32 v129, v122, v159
	s_delay_alu instid0(VALU_DEP_1) | instskip(NEXT) | instid1(VALU_DEP_1)
	v_dual_add_f32 v123, v123, v152 :: v_dual_add_f32 v140, v129, v161
	v_add_f32_e32 v123, v123, v154
	s_delay_alu instid0(VALU_DEP_1)
	v_dual_add_f32 v22, v140, v22 :: v_dual_add_f32 v123, v123, v156
	v_fmac_f32_e32 v133, v14, v1
	ds_load_b128 v[1:4], v21 offset:736
	v_add_f32_e32 v22, v22, v130
	v_add_f32_e32 v14, v123, v158
	ds_load_b128 v[122:125], v21 offset:768
	v_add_f32_e32 v22, v22, v133
	v_add_f32_e32 v128, v14, v160
	ds_load_b128 v[13:16], v21 offset:752
	v_dual_add_f32 v22, v22, v136 :: v_dual_add_f32 v139, v128, v162
	ds_load_b64 v[128:129], v21 offset:784
	v_add_f32_e32 v131, v139, v131
	s_wait_loadcnt_dscnt 0x203
	v_mul_f32_e32 v139, v1, v6
	v_mul_f32_e32 v6, v2, v6
	;; [unrolled: 1-line block ×3, first 2 shown]
	v_add_f32_e32 v131, v131, v132
	s_delay_alu instid0(VALU_DEP_4) | instskip(NEXT) | instid1(VALU_DEP_4)
	v_dual_mul_f32 v8, v4, v8 :: v_dual_fmac_f32 v139, v2, v5
	v_fma_f32 v1, v1, v5, -v6
	s_delay_alu instid0(VALU_DEP_4)
	v_fmac_f32_e32 v130, v4, v7
	s_wait_loadcnt_dscnt 0x101
	v_dual_mul_f32 v132, v13, v10 :: v_dual_add_f32 v131, v131, v137
	v_fma_f32 v2, v3, v7, -v8
	v_dual_add_f32 v4, v22, v139 :: v_dual_mul_f32 v133, v15, v12
	s_wait_dscnt 0x0
	s_delay_alu instid0(VALU_DEP_3) | instskip(SKIP_1) | instid1(VALU_DEP_2)
	v_dual_mul_f32 v136, v128, v127 :: v_dual_add_f32 v131, v131, v138
	v_dual_mul_f32 v5, v16, v12 :: v_dual_fmac_f32 v132, v14, v9
	v_dual_fmac_f32 v133, v16, v11 :: v_dual_fmac_f32 v136, v129, v126
	s_delay_alu instid0(VALU_DEP_3) | instskip(NEXT) | instid1(VALU_DEP_3)
	v_add_f32_e32 v1, v131, v1
	v_fma_f32 v5, v15, v11, -v5
	s_delay_alu instid0(VALU_DEP_2) | instskip(SKIP_3) | instid1(VALU_DEP_2)
	v_add_f32_e32 v1, v1, v2
	s_wait_loadcnt 0x0
	v_dual_mul_f32 v137, v122, v18 :: v_dual_mul_f32 v138, v124, v20
	v_mul_f32_e32 v3, v14, v10
	v_dual_fmac_f32 v137, v123, v17 :: v_dual_fmac_f32 v138, v125, v19
	s_delay_alu instid0(VALU_DEP_2) | instskip(SKIP_2) | instid1(VALU_DEP_2)
	v_fma_f32 v3, v13, v9, -v3
	v_add_f32_e32 v2, v4, v130
	v_mul_f32_e32 v4, v123, v18
	v_dual_add_f32 v2, v2, v132 :: v_dual_add_f32 v1, v1, v3
	v_mul_f32_e32 v3, v125, v20
	s_delay_alu instid0(VALU_DEP_3) | instskip(NEXT) | instid1(VALU_DEP_3)
	v_fma_f32 v4, v122, v17, -v4
	v_add_f32_e32 v2, v2, v133
	s_delay_alu instid0(VALU_DEP_3) | instskip(NEXT) | instid1(VALU_DEP_2)
	v_fma_f32 v3, v124, v19, -v3
	v_add_f32_e32 v2, v2, v137
	s_delay_alu instid0(VALU_DEP_1) | instskip(NEXT) | instid1(VALU_DEP_1)
	v_dual_add_f32 v1, v1, v5 :: v_dual_add_f32 v2, v2, v138
	v_dual_mul_f32 v5, v129, v127 :: v_dual_add_f32 v2, v2, v136
	s_delay_alu instid0(VALU_DEP_2) | instskip(NEXT) | instid1(VALU_DEP_2)
	v_add_f32_e32 v1, v1, v4
	v_fma_f32 v4, v128, v126, -v5
	s_delay_alu instid0(VALU_DEP_2) | instskip(NEXT) | instid1(VALU_DEP_1)
	v_dual_sub_f32 v2, v135, v2 :: v_dual_add_f32 v1, v1, v3
	v_add_f32_e32 v1, v1, v4
	s_delay_alu instid0(VALU_DEP_1)
	v_sub_f32_e32 v1, v134, v1
	scratch_store_b64 off, v[1:2], off offset:104
	v_cmpx_lt_u32_e32 12, v0
	s_cbranch_execz .LBB112_283
; %bb.282:
	scratch_load_b64 v[1:2], off, off offset:96
	v_mov_b32_e32 v22, v21
	scratch_store_b64 off, v[21:22], off offset:96
	s_wait_loadcnt 0x0
	ds_store_b64 v23, v[1:2]
.LBB112_283:
	s_wait_alu 0xfffe
	s_or_b32 exec_lo, exec_lo, s0
	s_wait_storecnt_dscnt 0x0
	s_barrier_signal -1
	s_barrier_wait -1
	global_inv scope:SCOPE_SE
	s_clause 0x4
	scratch_load_b128 v[5:8], off, off offset:104
	scratch_load_b128 v[1:4], off, off offset:120
	;; [unrolled: 1-line block ×5, first 2 shown]
	ds_load_2addr_b64 v[122:125], v21 offset0:63 offset1:64
	ds_load_2addr_b64 v[126:129], v21 offset0:65 offset1:66
	;; [unrolled: 1-line block ×3, first 2 shown]
	scratch_load_b64 v[134:135], off, off offset:96
	s_mov_b32 s0, exec_lo
	s_wait_loadcnt_dscnt 0x502
	v_dual_mul_f32 v22, v123, v6 :: v_dual_mul_f32 v137, v124, v8
	v_mul_f32_e32 v136, v122, v6
	v_mul_f32_e32 v6, v125, v8
	s_wait_loadcnt_dscnt 0x300
	v_mul_f32_e32 v138, v132, v12
	v_fma_f32 v22, v122, v5, -v22
	v_dual_fmac_f32 v137, v125, v7 :: v_dual_fmac_f32 v136, v123, v5
	v_mul_f32_e32 v125, v130, v10
	v_mul_f32_e32 v123, v126, v2
	v_fma_f32 v122, v124, v7, -v6
	ds_load_2addr_b64 v[5:8], v21 offset0:69 offset1:70
	v_mul_f32_e32 v124, v128, v4
	v_dual_mul_f32 v4, v129, v4 :: v_dual_fmac_f32 v125, v131, v9
	v_mul_f32_e32 v10, v131, v10
	v_mul_f32_e32 v12, v133, v12
	;; [unrolled: 1-line block ×3, first 2 shown]
	v_dual_fmac_f32 v123, v127, v1 :: v_dual_fmac_f32 v124, v129, v3
	v_fma_f32 v127, v128, v3, -v4
	v_fma_f32 v128, v130, v9, -v10
	v_fmac_f32_e32 v138, v133, v11
	v_fma_f32 v129, v132, v11, -v12
	ds_load_2addr_b64 v[9:12], v21 offset0:71 offset1:72
	s_wait_loadcnt_dscnt 0x201
	v_dual_mul_f32 v131, v7, v16 :: v_dual_mul_f32 v130, v5, v14
	s_delay_alu instid0(VALU_DEP_1)
	v_dual_mul_f32 v14, v6, v14 :: v_dual_fmac_f32 v131, v8, v15
	v_fma_f32 v126, v126, v1, -v2
	scratch_load_b128 v[1:4], off, off offset:184
	v_mul_f32_e32 v16, v8, v16
	v_fmac_f32_e32 v130, v6, v13
	v_fma_f32 v13, v5, v13, -v14
	s_delay_alu instid0(VALU_DEP_3)
	v_fma_f32 v14, v7, v15, -v16
	s_wait_loadcnt_dscnt 0x200
	v_mul_f32_e32 v15, v9, v18
	v_mul_f32_e32 v16, v10, v18
	;; [unrolled: 1-line block ×4, first 2 shown]
	ds_load_2addr_b64 v[5:8], v21 offset0:73 offset1:74
	v_fmac_f32_e32 v15, v10, v17
	v_fma_f32 v16, v9, v17, -v16
	v_fmac_f32_e32 v18, v12, v19
	v_fma_f32 v17, v11, v19, -v20
	scratch_load_b128 v[9:12], off, off offset:200
	s_wait_loadcnt_dscnt 0x100
	v_mul_f32_e32 v19, v5, v2
	v_mul_f32_e32 v2, v6, v2
	;; [unrolled: 1-line block ×3, first 2 shown]
	s_delay_alu instid0(VALU_DEP_3) | instskip(NEXT) | instid1(VALU_DEP_3)
	v_dual_mul_f32 v4, v8, v4 :: v_dual_fmac_f32 v19, v6, v1
	v_fma_f32 v132, v5, v1, -v2
	s_delay_alu instid0(VALU_DEP_3) | instskip(NEXT) | instid1(VALU_DEP_3)
	v_fmac_f32_e32 v20, v8, v3
	v_fma_f32 v133, v7, v3, -v4
	ds_load_2addr_b64 v[1:4], v21 offset0:75 offset1:76
	ds_load_2addr_b64 v[5:8], v21 offset0:77 offset1:78
	s_wait_loadcnt_dscnt 0x1
	v_mul_f32_e32 v139, v1, v10
	v_mul_f32_e32 v10, v2, v10
	s_delay_alu instid0(VALU_DEP_2) | instskip(NEXT) | instid1(VALU_DEP_2)
	v_dual_mul_f32 v140, v3, v12 :: v_dual_fmac_f32 v139, v2, v9
	v_fma_f32 v141, v1, v9, -v10
	v_mul_f32_e32 v1, v4, v12
	s_delay_alu instid0(VALU_DEP_3) | instskip(NEXT) | instid1(VALU_DEP_2)
	v_fmac_f32_e32 v140, v4, v11
	v_fma_f32 v142, v3, v11, -v1
	s_clause 0x1
	scratch_load_b128 v[1:4], off, off offset:216
	scratch_load_b128 v[9:12], off, off offset:232
	s_wait_loadcnt_dscnt 0x100
	v_mul_f32_e32 v143, v5, v2
	v_dual_mul_f32 v2, v6, v2 :: v_dual_mul_f32 v145, v7, v4
	s_delay_alu instid0(VALU_DEP_2) | instskip(NEXT) | instid1(VALU_DEP_2)
	v_fmac_f32_e32 v143, v6, v1
	v_fma_f32 v144, v5, v1, -v2
	v_mul_f32_e32 v1, v8, v4
	s_delay_alu instid0(VALU_DEP_4) | instskip(NEXT) | instid1(VALU_DEP_2)
	v_fmac_f32_e32 v145, v8, v3
	v_fma_f32 v146, v7, v3, -v1
	ds_load_2addr_b64 v[1:4], v21 offset0:79 offset1:80
	ds_load_2addr_b64 v[5:8], v21 offset0:81 offset1:82
	s_wait_loadcnt_dscnt 0x1
	v_mul_f32_e32 v147, v1, v10
	v_mul_f32_e32 v149, v3, v12
	s_delay_alu instid0(VALU_DEP_2) | instskip(NEXT) | instid1(VALU_DEP_2)
	v_fmac_f32_e32 v147, v2, v9
	v_dual_mul_f32 v2, v2, v10 :: v_dual_fmac_f32 v149, v4, v11
	s_delay_alu instid0(VALU_DEP_1) | instskip(SKIP_1) | instid1(VALU_DEP_1)
	v_fma_f32 v148, v1, v9, -v2
	v_mul_f32_e32 v1, v4, v12
	v_fma_f32 v150, v3, v11, -v1
	s_clause 0x1
	scratch_load_b128 v[1:4], off, off offset:248
	scratch_load_b128 v[9:12], off, off offset:264
	s_wait_loadcnt_dscnt 0x100
	v_mul_f32_e32 v151, v5, v2
	v_dual_mul_f32 v2, v6, v2 :: v_dual_mul_f32 v153, v7, v4
	s_delay_alu instid0(VALU_DEP_2) | instskip(NEXT) | instid1(VALU_DEP_2)
	v_fmac_f32_e32 v151, v6, v1
	v_fma_f32 v152, v5, v1, -v2
	v_mul_f32_e32 v1, v8, v4
	s_delay_alu instid0(VALU_DEP_4) | instskip(NEXT) | instid1(VALU_DEP_2)
	v_fmac_f32_e32 v153, v8, v3
	v_fma_f32 v154, v7, v3, -v1
	ds_load_2addr_b64 v[1:4], v21 offset0:83 offset1:84
	ds_load_2addr_b64 v[5:8], v21 offset0:85 offset1:86
	s_wait_loadcnt_dscnt 0x1
	v_mul_f32_e32 v155, v1, v10
	v_mul_f32_e32 v157, v3, v12
	s_delay_alu instid0(VALU_DEP_2) | instskip(NEXT) | instid1(VALU_DEP_2)
	v_fmac_f32_e32 v155, v2, v9
	v_dual_mul_f32 v2, v2, v10 :: v_dual_fmac_f32 v157, v4, v11
	s_delay_alu instid0(VALU_DEP_1) | instskip(SKIP_1) | instid1(VALU_DEP_1)
	v_fma_f32 v156, v1, v9, -v2
	v_mul_f32_e32 v1, v4, v12
	;; [unrolled: 25-line block ×3, first 2 shown]
	v_fma_f32 v166, v3, v11, -v1
	s_clause 0x1
	scratch_load_b128 v[1:4], off, off offset:312
	scratch_load_b128 v[9:12], off, off offset:328
	s_wait_loadcnt_dscnt 0x100
	v_mul_f32_e32 v167, v5, v2
	v_mul_f32_e32 v2, v6, v2
	s_delay_alu instid0(VALU_DEP_1) | instskip(SKIP_1) | instid1(VALU_DEP_1)
	v_fma_f32 v168, v5, v1, -v2
	v_add_f32_e32 v2, 0, v136
	v_add_f32_e32 v2, v2, v137
	s_delay_alu instid0(VALU_DEP_1) | instskip(NEXT) | instid1(VALU_DEP_1)
	v_add_f32_e32 v2, v2, v123
	v_add_f32_e32 v2, v2, v124
	s_delay_alu instid0(VALU_DEP_1) | instskip(NEXT) | instid1(VALU_DEP_1)
	;; [unrolled: 3-line block ×3, first 2 shown]
	v_add_f32_e32 v2, v2, v130
	v_add_f32_e32 v2, v2, v131
	s_delay_alu instid0(VALU_DEP_1) | instskip(SKIP_1) | instid1(VALU_DEP_2)
	v_add_f32_e32 v2, v2, v15
	v_fmac_f32_e32 v167, v6, v1
	v_dual_mul_f32 v169, v7, v4 :: v_dual_add_f32 v2, v2, v18
	s_delay_alu instid0(VALU_DEP_1) | instskip(NEXT) | instid1(VALU_DEP_1)
	v_dual_mul_f32 v1, v8, v4 :: v_dual_add_f32 v2, v2, v19
	v_fma_f32 v170, v7, v3, -v1
	v_add_f32_e32 v1, 0, v22
	s_delay_alu instid0(VALU_DEP_3) | instskip(NEXT) | instid1(VALU_DEP_2)
	v_dual_fmac_f32 v169, v8, v3 :: v_dual_add_f32 v2, v2, v20
	v_add_f32_e32 v1, v1, v122
	s_delay_alu instid0(VALU_DEP_2) | instskip(NEXT) | instid1(VALU_DEP_2)
	v_add_f32_e32 v5, v2, v139
	v_add_f32_e32 v1, v1, v126
	s_delay_alu instid0(VALU_DEP_2) | instskip(NEXT) | instid1(VALU_DEP_2)
	v_add_f32_e32 v5, v5, v140
	;; [unrolled: 3-line block ×3, first 2 shown]
	v_add_f32_e32 v1, v1, v128
	s_delay_alu instid0(VALU_DEP_1) | instskip(NEXT) | instid1(VALU_DEP_1)
	v_add_f32_e32 v1, v1, v129
	v_add_f32_e32 v1, v1, v13
	s_delay_alu instid0(VALU_DEP_1) | instskip(SKIP_1) | instid1(VALU_DEP_1)
	v_add_f32_e32 v1, v1, v14
	v_add_f32_e32 v14, v5, v145
	;; [unrolled: 1-line block ×3, first 2 shown]
	s_delay_alu instid0(VALU_DEP_1) | instskip(NEXT) | instid1(VALU_DEP_1)
	v_dual_add_f32 v14, v14, v149 :: v_dual_add_f32 v1, v1, v16
	v_add_f32_e32 v1, v1, v17
	s_delay_alu instid0(VALU_DEP_1) | instskip(NEXT) | instid1(VALU_DEP_1)
	v_add_f32_e32 v1, v1, v132
	v_add_f32_e32 v1, v1, v133
	s_delay_alu instid0(VALU_DEP_1) | instskip(NEXT) | instid1(VALU_DEP_1)
	v_add_f32_e32 v1, v1, v141
	v_add_f32_e32 v6, v1, v142
	ds_load_2addr_b64 v[1:4], v21 offset0:91 offset1:92
	v_add_f32_e32 v6, v6, v144
	s_delay_alu instid0(VALU_DEP_1)
	v_add_f32_e32 v13, v6, v146
	ds_load_2addr_b64 v[5:8], v21 offset0:93 offset1:94
	s_wait_loadcnt_dscnt 0x1
	v_mul_f32_e32 v22, v1, v10
	v_mul_f32_e32 v126, v3, v12
	;; [unrolled: 1-line block ×4, first 2 shown]
	s_delay_alu instid0(VALU_DEP_4) | instskip(NEXT) | instid1(VALU_DEP_4)
	v_fmac_f32_e32 v22, v2, v9
	v_fmac_f32_e32 v126, v4, v11
	s_delay_alu instid0(VALU_DEP_4) | instskip(NEXT) | instid1(VALU_DEP_4)
	v_fma_f32 v127, v1, v9, -v10
	v_fma_f32 v128, v3, v11, -v12
	s_clause 0x1
	scratch_load_b128 v[1:4], off, off offset:344
	scratch_load_b128 v[9:12], off, off offset:360
	v_add_f32_e32 v13, v13, v148
	v_add_f32_e32 v17, v14, v151
	s_delay_alu instid0(VALU_DEP_1) | instskip(SKIP_3) | instid1(VALU_DEP_2)
	v_add_f32_e32 v17, v17, v153
	s_wait_loadcnt_dscnt 0x100
	v_mul_f32_e32 v131, v7, v4
	v_mul_f32_e32 v4, v8, v4
	v_fmac_f32_e32 v131, v8, v3
	v_add_f32_e32 v13, v13, v150
	s_delay_alu instid0(VALU_DEP_3) | instskip(NEXT) | instid1(VALU_DEP_2)
	v_fma_f32 v3, v7, v3, -v4
	v_add_f32_e32 v13, v13, v152
	s_delay_alu instid0(VALU_DEP_1) | instskip(SKIP_2) | instid1(VALU_DEP_1)
	v_add_f32_e32 v18, v13, v154
	scratch_load_b128 v[13:16], off, off offset:376
	v_dual_add_f32 v17, v17, v155 :: v_dual_add_f32 v18, v18, v156
	v_dual_add_f32 v17, v17, v157 :: v_dual_add_f32 v18, v18, v158
	s_delay_alu instid0(VALU_DEP_1)
	v_dual_add_f32 v123, v17, v159 :: v_dual_add_f32 v122, v18, v160
	ds_load_2addr_b64 v[17:20], v21 offset0:95 offset1:96
	v_dual_add_f32 v130, v123, v161 :: v_dual_add_f32 v129, v122, v162
	ds_load_2addr_b64 v[122:125], v21 offset0:97 offset1:98
	v_add_f32_e32 v21, v129, v164
	v_dual_add_f32 v129, v130, v163 :: v_dual_mul_f32 v130, v5, v2
	v_mul_f32_e32 v2, v6, v2
	s_delay_alu instid0(VALU_DEP_2) | instskip(NEXT) | instid1(VALU_DEP_2)
	v_dual_add_f32 v21, v21, v166 :: v_dual_fmac_f32 v130, v6, v1
	v_fma_f32 v2, v5, v1, -v2
	s_delay_alu instid0(VALU_DEP_2) | instskip(SKIP_3) | instid1(VALU_DEP_3)
	v_add_f32_e32 v21, v21, v168
	s_wait_loadcnt_dscnt 0x101
	v_mul_f32_e32 v132, v17, v10
	v_dual_add_f32 v129, v129, v165 :: v_dual_mul_f32 v6, v18, v10
	v_dual_mul_f32 v4, v20, v12 :: v_dual_add_f32 v21, v21, v170
	s_delay_alu instid0(VALU_DEP_2) | instskip(NEXT) | instid1(VALU_DEP_2)
	v_dual_fmac_f32 v132, v18, v9 :: v_dual_add_f32 v129, v129, v167
	v_fma_f32 v4, v19, v11, -v4
	s_delay_alu instid0(VALU_DEP_3) | instskip(NEXT) | instid1(VALU_DEP_3)
	v_add_f32_e32 v21, v21, v127
	v_add_f32_e32 v129, v129, v169
	s_delay_alu instid0(VALU_DEP_2) | instskip(NEXT) | instid1(VALU_DEP_2)
	v_add_f32_e32 v1, v21, v128
	v_add_f32_e32 v22, v129, v22
	s_delay_alu instid0(VALU_DEP_2) | instskip(NEXT) | instid1(VALU_DEP_2)
	v_add_f32_e32 v1, v1, v2
	v_add_f32_e32 v5, v22, v126
	v_mul_f32_e32 v133, v19, v12
	s_delay_alu instid0(VALU_DEP_3) | instskip(NEXT) | instid1(VALU_DEP_3)
	v_add_f32_e32 v1, v1, v3
	v_add_f32_e32 v2, v5, v130
	v_fma_f32 v5, v17, v9, -v6
	s_delay_alu instid0(VALU_DEP_4) | instskip(NEXT) | instid1(VALU_DEP_2)
	v_fmac_f32_e32 v133, v20, v11
	v_dual_add_f32 v2, v2, v131 :: v_dual_add_f32 v1, v1, v5
	s_delay_alu instid0(VALU_DEP_1) | instskip(NEXT) | instid1(VALU_DEP_1)
	v_add_f32_e32 v2, v2, v132
	v_dual_add_f32 v1, v1, v4 :: v_dual_add_f32 v2, v2, v133
	s_wait_loadcnt_dscnt 0x0
	v_mul_f32_e32 v136, v122, v14
	v_mul_f32_e32 v3, v123, v14
	;; [unrolled: 1-line block ×3, first 2 shown]
	s_delay_alu instid0(VALU_DEP_3) | instskip(NEXT) | instid1(VALU_DEP_3)
	v_dual_mul_f32 v5, v125, v16 :: v_dual_fmac_f32 v136, v123, v13
	v_fma_f32 v3, v122, v13, -v3
	s_delay_alu instid0(VALU_DEP_3) | instskip(NEXT) | instid1(VALU_DEP_3)
	v_fmac_f32_e32 v127, v125, v15
	v_fma_f32 v4, v124, v15, -v5
	s_delay_alu instid0(VALU_DEP_3) | instskip(NEXT) | instid1(VALU_DEP_1)
	v_dual_add_f32 v2, v2, v136 :: v_dual_add_f32 v1, v1, v3
	v_dual_add_f32 v2, v2, v127 :: v_dual_add_f32 v1, v1, v4
	s_delay_alu instid0(VALU_DEP_1)
	v_dual_sub_f32 v2, v135, v2 :: v_dual_sub_f32 v1, v134, v1
	scratch_store_b64 off, v[1:2], off offset:96
	v_cmpx_lt_u32_e32 11, v0
	s_cbranch_execz .LBB112_285
; %bb.284:
	scratch_load_b64 v[1:2], off, off offset:88
	v_mov_b32_e32 v3, 0
	s_delay_alu instid0(VALU_DEP_1)
	v_mov_b32_e32 v4, v3
	scratch_store_b64 off, v[3:4], off offset:88
	s_wait_loadcnt 0x0
	ds_store_b64 v23, v[1:2]
.LBB112_285:
	s_wait_alu 0xfffe
	s_or_b32 exec_lo, exec_lo, s0
	s_wait_storecnt_dscnt 0x0
	s_barrier_signal -1
	s_barrier_wait -1
	global_inv scope:SCOPE_SE
	s_clause 0x4
	scratch_load_b128 v[5:8], off, off offset:96
	scratch_load_b128 v[1:4], off, off offset:112
	;; [unrolled: 1-line block ×5, first 2 shown]
	v_mov_b32_e32 v21, 0
	ds_load_b128 v[122:125], v21 offset:496
	ds_load_b128 v[126:129], v21 offset:512
	;; [unrolled: 1-line block ×3, first 2 shown]
	scratch_load_b64 v[134:135], off, off offset:88
	s_mov_b32 s0, exec_lo
	s_wait_loadcnt_dscnt 0x502
	v_mul_f32_e32 v22, v123, v6
	v_dual_mul_f32 v136, v122, v6 :: v_dual_mul_f32 v137, v124, v8
	v_mul_f32_e32 v6, v125, v8
	s_delay_alu instid0(VALU_DEP_3) | instskip(NEXT) | instid1(VALU_DEP_3)
	v_fma_f32 v22, v122, v5, -v22
	v_dual_fmac_f32 v136, v123, v5 :: v_dual_fmac_f32 v137, v125, v7
	s_wait_loadcnt_dscnt 0x401
	v_mul_f32_e32 v123, v126, v2
	v_fma_f32 v122, v124, v7, -v6
	ds_load_b128 v[5:8], v21 offset:544
	s_wait_loadcnt_dscnt 0x301
	v_dual_mul_f32 v124, v128, v4 :: v_dual_mul_f32 v125, v130, v10
	v_dual_mul_f32 v4, v129, v4 :: v_dual_fmac_f32 v123, v127, v1
	v_mul_f32_e32 v10, v131, v10
	s_delay_alu instid0(VALU_DEP_3)
	v_dual_mul_f32 v138, v132, v12 :: v_dual_fmac_f32 v125, v131, v9
	v_mul_f32_e32 v12, v133, v12
	v_mul_f32_e32 v2, v127, v2
	v_fmac_f32_e32 v124, v129, v3
	v_fma_f32 v127, v128, v3, -v4
	v_fma_f32 v128, v130, v9, -v10
	v_fmac_f32_e32 v138, v133, v11
	v_fma_f32 v129, v132, v11, -v12
	ds_load_b128 v[9:12], v21 offset:560
	s_wait_loadcnt_dscnt 0x201
	v_dual_mul_f32 v131, v7, v16 :: v_dual_mul_f32 v130, v5, v14
	v_mul_f32_e32 v14, v6, v14
	v_mul_f32_e32 v16, v8, v16
	s_delay_alu instid0(VALU_DEP_3)
	v_fmac_f32_e32 v131, v8, v15
	v_fma_f32 v126, v126, v1, -v2
	scratch_load_b128 v[1:4], off, off offset:176
	v_fmac_f32_e32 v130, v6, v13
	v_fma_f32 v13, v5, v13, -v14
	v_fma_f32 v14, v7, v15, -v16
	ds_load_b128 v[5:8], v21 offset:576
	s_wait_loadcnt_dscnt 0x201
	v_mul_f32_e32 v15, v9, v18
	v_mul_f32_e32 v16, v10, v18
	;; [unrolled: 1-line block ×3, first 2 shown]
	s_delay_alu instid0(VALU_DEP_3) | instskip(NEXT) | instid1(VALU_DEP_3)
	v_dual_mul_f32 v20, v12, v20 :: v_dual_fmac_f32 v15, v10, v17
	v_fma_f32 v16, v9, v17, -v16
	s_delay_alu instid0(VALU_DEP_3) | instskip(NEXT) | instid1(VALU_DEP_3)
	v_fmac_f32_e32 v18, v12, v19
	v_fma_f32 v17, v11, v19, -v20
	scratch_load_b128 v[9:12], off, off offset:192
	s_wait_loadcnt_dscnt 0x100
	v_mul_f32_e32 v19, v5, v2
	v_mul_f32_e32 v2, v6, v2
	;; [unrolled: 1-line block ×3, first 2 shown]
	s_delay_alu instid0(VALU_DEP_3) | instskip(NEXT) | instid1(VALU_DEP_3)
	v_dual_mul_f32 v4, v8, v4 :: v_dual_fmac_f32 v19, v6, v1
	v_fma_f32 v132, v5, v1, -v2
	s_delay_alu instid0(VALU_DEP_3) | instskip(NEXT) | instid1(VALU_DEP_3)
	v_fmac_f32_e32 v20, v8, v3
	v_fma_f32 v133, v7, v3, -v4
	ds_load_b128 v[1:4], v21 offset:592
	ds_load_b128 v[5:8], v21 offset:608
	s_wait_loadcnt_dscnt 0x1
	v_mul_f32_e32 v139, v1, v10
	v_mul_f32_e32 v10, v2, v10
	s_delay_alu instid0(VALU_DEP_2) | instskip(NEXT) | instid1(VALU_DEP_2)
	v_dual_mul_f32 v140, v3, v12 :: v_dual_fmac_f32 v139, v2, v9
	v_fma_f32 v141, v1, v9, -v10
	v_mul_f32_e32 v1, v4, v12
	s_delay_alu instid0(VALU_DEP_3) | instskip(NEXT) | instid1(VALU_DEP_2)
	v_fmac_f32_e32 v140, v4, v11
	v_fma_f32 v142, v3, v11, -v1
	s_clause 0x1
	scratch_load_b128 v[1:4], off, off offset:208
	scratch_load_b128 v[9:12], off, off offset:224
	s_wait_loadcnt_dscnt 0x100
	v_mul_f32_e32 v143, v5, v2
	v_dual_mul_f32 v2, v6, v2 :: v_dual_mul_f32 v145, v7, v4
	s_delay_alu instid0(VALU_DEP_2) | instskip(NEXT) | instid1(VALU_DEP_2)
	v_fmac_f32_e32 v143, v6, v1
	v_fma_f32 v144, v5, v1, -v2
	v_mul_f32_e32 v1, v8, v4
	s_delay_alu instid0(VALU_DEP_4) | instskip(NEXT) | instid1(VALU_DEP_2)
	v_fmac_f32_e32 v145, v8, v3
	v_fma_f32 v146, v7, v3, -v1
	ds_load_b128 v[1:4], v21 offset:624
	ds_load_b128 v[5:8], v21 offset:640
	s_wait_loadcnt_dscnt 0x1
	v_mul_f32_e32 v147, v1, v10
	v_mul_f32_e32 v149, v3, v12
	s_delay_alu instid0(VALU_DEP_2) | instskip(NEXT) | instid1(VALU_DEP_2)
	v_fmac_f32_e32 v147, v2, v9
	v_dual_mul_f32 v2, v2, v10 :: v_dual_fmac_f32 v149, v4, v11
	s_delay_alu instid0(VALU_DEP_1) | instskip(SKIP_1) | instid1(VALU_DEP_1)
	v_fma_f32 v148, v1, v9, -v2
	v_mul_f32_e32 v1, v4, v12
	v_fma_f32 v150, v3, v11, -v1
	s_clause 0x1
	scratch_load_b128 v[1:4], off, off offset:240
	scratch_load_b128 v[9:12], off, off offset:256
	s_wait_loadcnt_dscnt 0x100
	v_mul_f32_e32 v151, v5, v2
	v_dual_mul_f32 v153, v7, v4 :: v_dual_mul_f32 v2, v6, v2
	s_delay_alu instid0(VALU_DEP_2) | instskip(NEXT) | instid1(VALU_DEP_2)
	v_fmac_f32_e32 v151, v6, v1
	v_fmac_f32_e32 v153, v8, v3
	s_delay_alu instid0(VALU_DEP_3) | instskip(SKIP_1) | instid1(VALU_DEP_1)
	v_fma_f32 v152, v5, v1, -v2
	v_mul_f32_e32 v1, v8, v4
	v_fma_f32 v154, v7, v3, -v1
	ds_load_b128 v[1:4], v21 offset:656
	ds_load_b128 v[5:8], v21 offset:672
	s_wait_loadcnt_dscnt 0x1
	v_mul_f32_e32 v155, v1, v10
	v_mul_f32_e32 v157, v3, v12
	s_delay_alu instid0(VALU_DEP_2) | instskip(NEXT) | instid1(VALU_DEP_2)
	v_fmac_f32_e32 v155, v2, v9
	v_dual_mul_f32 v2, v2, v10 :: v_dual_fmac_f32 v157, v4, v11
	s_delay_alu instid0(VALU_DEP_1) | instskip(SKIP_1) | instid1(VALU_DEP_1)
	v_fma_f32 v156, v1, v9, -v2
	v_mul_f32_e32 v1, v4, v12
	v_fma_f32 v158, v3, v11, -v1
	s_clause 0x1
	scratch_load_b128 v[1:4], off, off offset:272
	scratch_load_b128 v[9:12], off, off offset:288
	s_wait_loadcnt_dscnt 0x100
	v_mul_f32_e32 v159, v5, v2
	v_dual_mul_f32 v2, v6, v2 :: v_dual_mul_f32 v161, v7, v4
	s_delay_alu instid0(VALU_DEP_2) | instskip(NEXT) | instid1(VALU_DEP_2)
	v_fmac_f32_e32 v159, v6, v1
	v_fma_f32 v160, v5, v1, -v2
	v_mul_f32_e32 v1, v8, v4
	s_delay_alu instid0(VALU_DEP_4) | instskip(NEXT) | instid1(VALU_DEP_2)
	v_fmac_f32_e32 v161, v8, v3
	v_fma_f32 v162, v7, v3, -v1
	ds_load_b128 v[1:4], v21 offset:688
	ds_load_b128 v[5:8], v21 offset:704
	s_wait_loadcnt_dscnt 0x1
	v_mul_f32_e32 v163, v1, v10
	v_mul_f32_e32 v165, v3, v12
	s_delay_alu instid0(VALU_DEP_2) | instskip(NEXT) | instid1(VALU_DEP_2)
	v_fmac_f32_e32 v163, v2, v9
	v_dual_mul_f32 v2, v2, v10 :: v_dual_fmac_f32 v165, v4, v11
	s_delay_alu instid0(VALU_DEP_1) | instskip(SKIP_1) | instid1(VALU_DEP_1)
	v_fma_f32 v164, v1, v9, -v2
	v_mul_f32_e32 v1, v4, v12
	v_fma_f32 v166, v3, v11, -v1
	s_clause 0x1
	scratch_load_b128 v[1:4], off, off offset:304
	scratch_load_b128 v[9:12], off, off offset:320
	s_wait_loadcnt_dscnt 0x100
	v_mul_f32_e32 v167, v5, v2
	v_mul_f32_e32 v2, v6, v2
	s_delay_alu instid0(VALU_DEP_1) | instskip(SKIP_1) | instid1(VALU_DEP_1)
	v_fma_f32 v168, v5, v1, -v2
	v_add_f32_e32 v2, 0, v136
	v_add_f32_e32 v2, v2, v137
	s_delay_alu instid0(VALU_DEP_1) | instskip(NEXT) | instid1(VALU_DEP_1)
	v_add_f32_e32 v2, v2, v123
	v_add_f32_e32 v2, v2, v124
	s_delay_alu instid0(VALU_DEP_1) | instskip(NEXT) | instid1(VALU_DEP_1)
	;; [unrolled: 3-line block ×4, first 2 shown]
	v_dual_add_f32 v2, v2, v15 :: v_dual_mul_f32 v169, v7, v4
	v_add_f32_e32 v2, v2, v18
	s_delay_alu instid0(VALU_DEP_1) | instskip(NEXT) | instid1(VALU_DEP_3)
	v_add_f32_e32 v2, v2, v19
	v_fmac_f32_e32 v169, v8, v3
	v_fmac_f32_e32 v167, v6, v1
	s_delay_alu instid0(VALU_DEP_3) | instskip(NEXT) | instid1(VALU_DEP_1)
	v_add_f32_e32 v2, v2, v20
	v_add_f32_e32 v5, v2, v139
	s_delay_alu instid0(VALU_DEP_1) | instskip(NEXT) | instid1(VALU_DEP_1)
	v_add_f32_e32 v5, v5, v140
	v_add_f32_e32 v5, v5, v143
	v_mul_f32_e32 v1, v8, v4
	s_delay_alu instid0(VALU_DEP_1) | instskip(SKIP_1) | instid1(VALU_DEP_1)
	v_fma_f32 v170, v7, v3, -v1
	v_add_f32_e32 v1, 0, v22
	v_add_f32_e32 v1, v1, v122
	s_delay_alu instid0(VALU_DEP_1) | instskip(NEXT) | instid1(VALU_DEP_1)
	v_add_f32_e32 v1, v1, v126
	v_add_f32_e32 v1, v1, v127
	scratch_load_b64 v[126:127], off, off offset:384
	v_add_f32_e32 v1, v1, v128
	s_delay_alu instid0(VALU_DEP_1) | instskip(NEXT) | instid1(VALU_DEP_1)
	v_add_f32_e32 v1, v1, v129
	v_add_f32_e32 v1, v1, v13
	s_delay_alu instid0(VALU_DEP_1) | instskip(SKIP_1) | instid1(VALU_DEP_1)
	v_add_f32_e32 v1, v1, v14
	v_add_f32_e32 v14, v5, v145
	;; [unrolled: 1-line block ×3, first 2 shown]
	s_delay_alu instid0(VALU_DEP_1) | instskip(NEXT) | instid1(VALU_DEP_1)
	v_dual_add_f32 v14, v14, v149 :: v_dual_add_f32 v1, v1, v16
	v_add_f32_e32 v1, v1, v17
	s_delay_alu instid0(VALU_DEP_2) | instskip(NEXT) | instid1(VALU_DEP_2)
	v_add_f32_e32 v17, v14, v151
	v_add_f32_e32 v1, v1, v132
	s_delay_alu instid0(VALU_DEP_1) | instskip(NEXT) | instid1(VALU_DEP_1)
	v_add_f32_e32 v1, v1, v133
	v_add_f32_e32 v1, v1, v141
	s_delay_alu instid0(VALU_DEP_1) | instskip(SKIP_2) | instid1(VALU_DEP_1)
	v_add_f32_e32 v6, v1, v142
	ds_load_b128 v[1:4], v21 offset:720
	v_add_f32_e32 v6, v6, v144
	v_add_f32_e32 v13, v6, v146
	ds_load_b128 v[5:8], v21 offset:736
	s_wait_loadcnt_dscnt 0x101
	v_mul_f32_e32 v22, v1, v10
	v_mul_f32_e32 v10, v2, v10
	;; [unrolled: 1-line block ×4, first 2 shown]
	s_delay_alu instid0(VALU_DEP_4) | instskip(NEXT) | instid1(VALU_DEP_4)
	v_fmac_f32_e32 v22, v2, v9
	v_fma_f32 v131, v1, v9, -v10
	s_delay_alu instid0(VALU_DEP_4) | instskip(NEXT) | instid1(VALU_DEP_4)
	v_fmac_f32_e32 v130, v4, v11
	v_fma_f32 v132, v3, v11, -v12
	s_clause 0x1
	scratch_load_b128 v[1:4], off, off offset:336
	scratch_load_b128 v[9:12], off, off offset:352
	v_add_f32_e32 v17, v17, v153
	s_delay_alu instid0(VALU_DEP_1) | instskip(SKIP_1) | instid1(VALU_DEP_1)
	v_add_f32_e32 v17, v17, v155
	s_wait_loadcnt_dscnt 0x100
	v_dual_add_f32 v17, v17, v157 :: v_dual_mul_f32 v138, v7, v4
	v_mul_f32_e32 v137, v5, v2
	v_mul_f32_e32 v2, v6, v2
	;; [unrolled: 1-line block ×3, first 2 shown]
	s_delay_alu instid0(VALU_DEP_3) | instskip(NEXT) | instid1(VALU_DEP_3)
	v_dual_fmac_f32 v138, v8, v3 :: v_dual_fmac_f32 v137, v6, v1
	v_fma_f32 v2, v5, v1, -v2
	v_add_f32_e32 v17, v17, v159
	s_delay_alu instid0(VALU_DEP_4) | instskip(NEXT) | instid1(VALU_DEP_2)
	v_fma_f32 v1, v7, v3, -v4
	v_add_f32_e32 v122, v17, v161
	s_delay_alu instid0(VALU_DEP_1) | instskip(SKIP_2) | instid1(VALU_DEP_1)
	v_add_f32_e32 v129, v122, v163
	ds_load_b128 v[122:125], v21 offset:768
	v_add_f32_e32 v136, v129, v165
	v_add_f32_e32 v136, v136, v167
	s_delay_alu instid0(VALU_DEP_1) | instskip(NEXT) | instid1(VALU_DEP_1)
	v_dual_add_f32 v136, v136, v169 :: v_dual_add_f32 v13, v13, v148
	v_add_f32_e32 v22, v136, v22
	s_delay_alu instid0(VALU_DEP_2) | instskip(NEXT) | instid1(VALU_DEP_1)
	v_add_f32_e32 v13, v13, v150
	v_dual_add_f32 v22, v22, v130 :: v_dual_add_f32 v13, v13, v152
	s_delay_alu instid0(VALU_DEP_1) | instskip(SKIP_2) | instid1(VALU_DEP_1)
	v_add_f32_e32 v18, v13, v154
	scratch_load_b128 v[13:16], off, off offset:368
	v_add_f32_e32 v18, v18, v156
	v_add_f32_e32 v18, v18, v158
	s_delay_alu instid0(VALU_DEP_1) | instskip(NEXT) | instid1(VALU_DEP_1)
	v_add_f32_e32 v18, v18, v160
	v_add_f32_e32 v18, v18, v162
	s_delay_alu instid0(VALU_DEP_1)
	v_add_f32_e32 v128, v18, v164
	ds_load_b128 v[17:20], v21 offset:752
	v_add_f32_e32 v133, v128, v166
	ds_load_b64 v[128:129], v21 offset:784
	s_wait_loadcnt_dscnt 0x101
	v_dual_mul_f32 v136, v19, v12 :: v_dual_mul_f32 v3, v18, v10
	s_wait_dscnt 0x0
	v_mul_f32_e32 v130, v128, v127
	s_delay_alu instid0(VALU_DEP_2) | instskip(NEXT) | instid1(VALU_DEP_3)
	v_fma_f32 v3, v17, v9, -v3
	v_fmac_f32_e32 v136, v20, v11
	s_delay_alu instid0(VALU_DEP_3) | instskip(SKIP_1) | instid1(VALU_DEP_1)
	v_fmac_f32_e32 v130, v129, v126
	v_dual_add_f32 v4, v22, v137 :: v_dual_add_f32 v133, v133, v168
	v_add_f32_e32 v133, v133, v170
	s_delay_alu instid0(VALU_DEP_1) | instskip(SKIP_1) | instid1(VALU_DEP_2)
	v_add_f32_e32 v131, v133, v131
	v_mul_f32_e32 v133, v17, v10
	v_add_f32_e32 v131, v131, v132
	s_delay_alu instid0(VALU_DEP_1) | instskip(NEXT) | instid1(VALU_DEP_1)
	v_dual_fmac_f32 v133, v18, v9 :: v_dual_add_f32 v2, v131, v2
	v_dual_add_f32 v1, v2, v1 :: v_dual_add_f32 v2, v4, v138
	s_delay_alu instid0(VALU_DEP_1) | instskip(NEXT) | instid1(VALU_DEP_1)
	v_add_f32_e32 v2, v2, v133
	v_add_f32_e32 v2, v2, v136
	s_wait_loadcnt 0x0
	v_dual_mul_f32 v132, v124, v16 :: v_dual_mul_f32 v139, v122, v14
	v_mul_f32_e32 v4, v123, v14
	s_delay_alu instid0(VALU_DEP_2) | instskip(NEXT) | instid1(VALU_DEP_2)
	v_dual_fmac_f32 v132, v125, v15 :: v_dual_fmac_f32 v139, v123, v13
	v_fma_f32 v4, v122, v13, -v4
	s_delay_alu instid0(VALU_DEP_2) | instskip(SKIP_2) | instid1(VALU_DEP_3)
	v_add_f32_e32 v2, v2, v139
	v_add_f32_e32 v1, v1, v3
	v_mul_f32_e32 v3, v125, v16
	v_add_f32_e32 v2, v2, v132
	v_mul_f32_e32 v5, v20, v12
	s_delay_alu instid0(VALU_DEP_3) | instskip(NEXT) | instid1(VALU_DEP_3)
	v_fma_f32 v3, v124, v15, -v3
	v_add_f32_e32 v2, v2, v130
	s_delay_alu instid0(VALU_DEP_3) | instskip(NEXT) | instid1(VALU_DEP_1)
	v_fma_f32 v5, v19, v11, -v5
	v_dual_sub_f32 v2, v135, v2 :: v_dual_add_f32 v1, v1, v5
	v_mul_f32_e32 v5, v129, v127
	s_delay_alu instid0(VALU_DEP_2) | instskip(NEXT) | instid1(VALU_DEP_2)
	v_add_f32_e32 v1, v1, v4
	v_fma_f32 v4, v128, v126, -v5
	s_delay_alu instid0(VALU_DEP_2) | instskip(NEXT) | instid1(VALU_DEP_1)
	v_add_f32_e32 v1, v1, v3
	v_add_f32_e32 v1, v1, v4
	s_delay_alu instid0(VALU_DEP_1)
	v_sub_f32_e32 v1, v134, v1
	scratch_store_b64 off, v[1:2], off offset:88
	v_cmpx_lt_u32_e32 10, v0
	s_cbranch_execz .LBB112_287
; %bb.286:
	scratch_load_b64 v[1:2], off, off offset:80
	v_mov_b32_e32 v22, v21
	scratch_store_b64 off, v[21:22], off offset:80
	s_wait_loadcnt 0x0
	ds_store_b64 v23, v[1:2]
.LBB112_287:
	s_wait_alu 0xfffe
	s_or_b32 exec_lo, exec_lo, s0
	s_wait_storecnt_dscnt 0x0
	s_barrier_signal -1
	s_barrier_wait -1
	global_inv scope:SCOPE_SE
	s_clause 0x4
	scratch_load_b128 v[5:8], off, off offset:88
	scratch_load_b128 v[1:4], off, off offset:104
	;; [unrolled: 1-line block ×5, first 2 shown]
	ds_load_2addr_b64 v[122:125], v21 offset0:61 offset1:62
	ds_load_2addr_b64 v[126:129], v21 offset0:63 offset1:64
	ds_load_2addr_b64 v[130:133], v21 offset0:65 offset1:66
	scratch_load_b64 v[134:135], off, off offset:80
	s_mov_b32 s0, exec_lo
	s_wait_loadcnt_dscnt 0x502
	v_dual_mul_f32 v22, v123, v6 :: v_dual_mul_f32 v137, v124, v8
	v_mul_f32_e32 v136, v122, v6
	v_mul_f32_e32 v6, v125, v8
	s_wait_loadcnt_dscnt 0x300
	v_mul_f32_e32 v138, v132, v12
	v_fma_f32 v22, v122, v5, -v22
	v_dual_fmac_f32 v137, v125, v7 :: v_dual_fmac_f32 v136, v123, v5
	v_mul_f32_e32 v125, v130, v10
	v_mul_f32_e32 v123, v126, v2
	v_fma_f32 v122, v124, v7, -v6
	ds_load_2addr_b64 v[5:8], v21 offset0:67 offset1:68
	v_mul_f32_e32 v124, v128, v4
	v_dual_mul_f32 v4, v129, v4 :: v_dual_fmac_f32 v125, v131, v9
	v_mul_f32_e32 v10, v131, v10
	v_mul_f32_e32 v12, v133, v12
	;; [unrolled: 1-line block ×3, first 2 shown]
	v_dual_fmac_f32 v123, v127, v1 :: v_dual_fmac_f32 v124, v129, v3
	v_fma_f32 v127, v128, v3, -v4
	v_fma_f32 v128, v130, v9, -v10
	v_fmac_f32_e32 v138, v133, v11
	v_fma_f32 v129, v132, v11, -v12
	ds_load_2addr_b64 v[9:12], v21 offset0:69 offset1:70
	s_wait_loadcnt_dscnt 0x201
	v_dual_mul_f32 v131, v7, v16 :: v_dual_mul_f32 v130, v5, v14
	s_delay_alu instid0(VALU_DEP_1)
	v_dual_mul_f32 v14, v6, v14 :: v_dual_fmac_f32 v131, v8, v15
	v_fma_f32 v126, v126, v1, -v2
	scratch_load_b128 v[1:4], off, off offset:168
	v_mul_f32_e32 v16, v8, v16
	v_fmac_f32_e32 v130, v6, v13
	v_fma_f32 v13, v5, v13, -v14
	s_delay_alu instid0(VALU_DEP_3)
	v_fma_f32 v14, v7, v15, -v16
	s_wait_loadcnt_dscnt 0x200
	v_mul_f32_e32 v15, v9, v18
	v_mul_f32_e32 v16, v10, v18
	;; [unrolled: 1-line block ×4, first 2 shown]
	ds_load_2addr_b64 v[5:8], v21 offset0:71 offset1:72
	v_fmac_f32_e32 v15, v10, v17
	v_fma_f32 v16, v9, v17, -v16
	v_fmac_f32_e32 v18, v12, v19
	v_fma_f32 v17, v11, v19, -v20
	scratch_load_b128 v[9:12], off, off offset:184
	s_wait_loadcnt_dscnt 0x100
	v_mul_f32_e32 v19, v5, v2
	v_mul_f32_e32 v2, v6, v2
	;; [unrolled: 1-line block ×3, first 2 shown]
	s_delay_alu instid0(VALU_DEP_3) | instskip(NEXT) | instid1(VALU_DEP_3)
	v_dual_mul_f32 v4, v8, v4 :: v_dual_fmac_f32 v19, v6, v1
	v_fma_f32 v132, v5, v1, -v2
	s_delay_alu instid0(VALU_DEP_3) | instskip(NEXT) | instid1(VALU_DEP_3)
	v_fmac_f32_e32 v20, v8, v3
	v_fma_f32 v133, v7, v3, -v4
	ds_load_2addr_b64 v[1:4], v21 offset0:73 offset1:74
	ds_load_2addr_b64 v[5:8], v21 offset0:75 offset1:76
	s_wait_loadcnt_dscnt 0x1
	v_mul_f32_e32 v139, v1, v10
	v_mul_f32_e32 v10, v2, v10
	s_delay_alu instid0(VALU_DEP_2) | instskip(NEXT) | instid1(VALU_DEP_2)
	v_dual_mul_f32 v140, v3, v12 :: v_dual_fmac_f32 v139, v2, v9
	v_fma_f32 v141, v1, v9, -v10
	v_mul_f32_e32 v1, v4, v12
	s_delay_alu instid0(VALU_DEP_3) | instskip(NEXT) | instid1(VALU_DEP_2)
	v_fmac_f32_e32 v140, v4, v11
	v_fma_f32 v142, v3, v11, -v1
	s_clause 0x1
	scratch_load_b128 v[1:4], off, off offset:200
	scratch_load_b128 v[9:12], off, off offset:216
	s_wait_loadcnt_dscnt 0x100
	v_mul_f32_e32 v143, v5, v2
	v_dual_mul_f32 v2, v6, v2 :: v_dual_mul_f32 v145, v7, v4
	s_delay_alu instid0(VALU_DEP_2) | instskip(NEXT) | instid1(VALU_DEP_2)
	v_fmac_f32_e32 v143, v6, v1
	v_fma_f32 v144, v5, v1, -v2
	v_mul_f32_e32 v1, v8, v4
	s_delay_alu instid0(VALU_DEP_4) | instskip(NEXT) | instid1(VALU_DEP_2)
	v_fmac_f32_e32 v145, v8, v3
	v_fma_f32 v146, v7, v3, -v1
	ds_load_2addr_b64 v[1:4], v21 offset0:77 offset1:78
	ds_load_2addr_b64 v[5:8], v21 offset0:79 offset1:80
	s_wait_loadcnt_dscnt 0x1
	v_mul_f32_e32 v147, v1, v10
	v_mul_f32_e32 v149, v3, v12
	s_delay_alu instid0(VALU_DEP_2) | instskip(NEXT) | instid1(VALU_DEP_2)
	v_fmac_f32_e32 v147, v2, v9
	v_dual_mul_f32 v2, v2, v10 :: v_dual_fmac_f32 v149, v4, v11
	s_delay_alu instid0(VALU_DEP_1) | instskip(SKIP_1) | instid1(VALU_DEP_1)
	v_fma_f32 v148, v1, v9, -v2
	v_mul_f32_e32 v1, v4, v12
	v_fma_f32 v150, v3, v11, -v1
	s_clause 0x1
	scratch_load_b128 v[1:4], off, off offset:232
	scratch_load_b128 v[9:12], off, off offset:248
	s_wait_loadcnt_dscnt 0x100
	v_mul_f32_e32 v151, v5, v2
	v_dual_mul_f32 v2, v6, v2 :: v_dual_mul_f32 v153, v7, v4
	s_delay_alu instid0(VALU_DEP_2) | instskip(NEXT) | instid1(VALU_DEP_2)
	v_fmac_f32_e32 v151, v6, v1
	v_fma_f32 v152, v5, v1, -v2
	v_mul_f32_e32 v1, v8, v4
	s_delay_alu instid0(VALU_DEP_4) | instskip(NEXT) | instid1(VALU_DEP_2)
	v_fmac_f32_e32 v153, v8, v3
	v_fma_f32 v154, v7, v3, -v1
	ds_load_2addr_b64 v[1:4], v21 offset0:81 offset1:82
	ds_load_2addr_b64 v[5:8], v21 offset0:83 offset1:84
	s_wait_loadcnt_dscnt 0x1
	v_mul_f32_e32 v155, v1, v10
	v_mul_f32_e32 v157, v3, v12
	s_delay_alu instid0(VALU_DEP_2) | instskip(NEXT) | instid1(VALU_DEP_2)
	v_fmac_f32_e32 v155, v2, v9
	v_dual_mul_f32 v2, v2, v10 :: v_dual_fmac_f32 v157, v4, v11
	s_delay_alu instid0(VALU_DEP_1) | instskip(SKIP_1) | instid1(VALU_DEP_1)
	v_fma_f32 v156, v1, v9, -v2
	v_mul_f32_e32 v1, v4, v12
	;; [unrolled: 25-line block ×3, first 2 shown]
	v_fma_f32 v166, v3, v11, -v1
	s_clause 0x1
	scratch_load_b128 v[1:4], off, off offset:296
	scratch_load_b128 v[9:12], off, off offset:312
	s_wait_loadcnt_dscnt 0x100
	v_mul_f32_e32 v167, v5, v2
	v_mul_f32_e32 v2, v6, v2
	s_delay_alu instid0(VALU_DEP_1) | instskip(SKIP_1) | instid1(VALU_DEP_1)
	v_fma_f32 v168, v5, v1, -v2
	v_add_f32_e32 v2, 0, v136
	v_add_f32_e32 v2, v2, v137
	s_delay_alu instid0(VALU_DEP_1) | instskip(NEXT) | instid1(VALU_DEP_1)
	v_add_f32_e32 v2, v2, v123
	v_add_f32_e32 v2, v2, v124
	s_delay_alu instid0(VALU_DEP_1) | instskip(NEXT) | instid1(VALU_DEP_1)
	;; [unrolled: 3-line block ×3, first 2 shown]
	v_add_f32_e32 v2, v2, v130
	v_add_f32_e32 v2, v2, v131
	s_delay_alu instid0(VALU_DEP_1) | instskip(SKIP_1) | instid1(VALU_DEP_2)
	v_dual_add_f32 v2, v2, v15 :: v_dual_mul_f32 v169, v7, v4
	v_fmac_f32_e32 v167, v6, v1
	v_dual_add_f32 v2, v2, v18 :: v_dual_mul_f32 v1, v8, v4
	s_delay_alu instid0(VALU_DEP_1) | instskip(NEXT) | instid1(VALU_DEP_4)
	v_add_f32_e32 v2, v2, v19
	v_fmac_f32_e32 v169, v8, v3
	s_delay_alu instid0(VALU_DEP_3) | instskip(NEXT) | instid1(VALU_DEP_3)
	v_fma_f32 v170, v7, v3, -v1
	v_dual_add_f32 v2, v2, v20 :: v_dual_add_f32 v1, 0, v22
	s_delay_alu instid0(VALU_DEP_1) | instskip(NEXT) | instid1(VALU_DEP_1)
	v_dual_add_f32 v2, v2, v139 :: v_dual_add_f32 v1, v1, v122
	v_add_f32_e32 v5, v2, v140
	s_delay_alu instid0(VALU_DEP_2) | instskip(NEXT) | instid1(VALU_DEP_1)
	v_add_f32_e32 v1, v1, v126
	v_add_f32_e32 v1, v1, v127
	s_delay_alu instid0(VALU_DEP_1) | instskip(NEXT) | instid1(VALU_DEP_1)
	v_add_f32_e32 v1, v1, v128
	v_add_f32_e32 v1, v1, v129
	s_delay_alu instid0(VALU_DEP_1) | instskip(SKIP_1) | instid1(VALU_DEP_2)
	v_add_f32_e32 v1, v1, v13
	v_add_f32_e32 v13, v5, v143
	;; [unrolled: 1-line block ×3, first 2 shown]
	s_delay_alu instid0(VALU_DEP_2) | instskip(NEXT) | instid1(VALU_DEP_1)
	v_add_f32_e32 v13, v13, v145
	v_add_f32_e32 v13, v13, v147
	s_delay_alu instid0(VALU_DEP_1) | instskip(NEXT) | instid1(VALU_DEP_1)
	v_add_f32_e32 v18, v13, v149
	v_dual_add_f32 v18, v18, v151 :: v_dual_add_f32 v1, v1, v16
	s_delay_alu instid0(VALU_DEP_1) | instskip(NEXT) | instid1(VALU_DEP_2)
	v_add_f32_e32 v18, v18, v153
	v_add_f32_e32 v1, v1, v17
	s_delay_alu instid0(VALU_DEP_1) | instskip(NEXT) | instid1(VALU_DEP_1)
	v_add_f32_e32 v1, v1, v132
	v_add_f32_e32 v1, v1, v133
	s_delay_alu instid0(VALU_DEP_1) | instskip(NEXT) | instid1(VALU_DEP_1)
	v_add_f32_e32 v1, v1, v141
	v_add_f32_e32 v1, v1, v142
	s_delay_alu instid0(VALU_DEP_1)
	v_add_f32_e32 v6, v1, v144
	ds_load_2addr_b64 v[1:4], v21 offset0:89 offset1:90
	v_add_f32_e32 v122, v18, v155
	v_add_f32_e32 v14, v6, v146
	scratch_load_b128 v[5:8], off, off offset:328
	v_add_f32_e32 v122, v122, v157
	v_add_f32_e32 v14, v14, v148
	s_delay_alu instid0(VALU_DEP_1)
	v_add_f32_e32 v17, v14, v150
	ds_load_2addr_b64 v[13:16], v21 offset0:91 offset1:92
	s_wait_loadcnt_dscnt 0x101
	v_mul_f32_e32 v22, v1, v10
	v_mul_f32_e32 v10, v2, v10
	v_mul_f32_e32 v126, v3, v12
	v_mul_f32_e32 v12, v4, v12
	v_add_f32_e32 v122, v122, v159
	v_fmac_f32_e32 v22, v2, v9
	v_fma_f32 v127, v1, v9, -v10
	v_fmac_f32_e32 v126, v4, v11
	v_fma_f32 v128, v3, v11, -v12
	s_clause 0x1
	scratch_load_b128 v[9:12], off, off offset:360
	scratch_load_b128 v[1:4], off, off offset:344
	v_add_f32_e32 v17, v17, v152
	s_wait_loadcnt_dscnt 0x200
	v_mul_f32_e32 v129, v13, v6
	v_mul_f32_e32 v6, v14, v6
	;; [unrolled: 1-line block ×3, first 2 shown]
	s_delay_alu instid0(VALU_DEP_3) | instskip(SKIP_1) | instid1(VALU_DEP_4)
	v_dual_mul_f32 v8, v16, v8 :: v_dual_fmac_f32 v129, v14, v5
	v_add_f32_e32 v17, v17, v154
	v_fma_f32 v131, v13, v5, -v6
	s_delay_alu instid0(VALU_DEP_4) | instskip(NEXT) | instid1(VALU_DEP_4)
	v_fmac_f32_e32 v130, v16, v7
	v_fma_f32 v132, v15, v7, -v8
	ds_load_2addr_b64 v[5:8], v21 offset0:93 offset1:94
	v_add_f32_e32 v17, v17, v156
	s_delay_alu instid0(VALU_DEP_1) | instskip(SKIP_3) | instid1(VALU_DEP_1)
	v_add_f32_e32 v123, v17, v158
	scratch_load_b128 v[17:20], off, off offset:376
	v_add_f32_e32 v13, v122, v161
	v_add_f32_e32 v123, v123, v160
	v_add_f32_e32 v123, v123, v162
	s_delay_alu instid0(VALU_DEP_1)
	v_dual_add_f32 v122, v123, v164 :: v_dual_add_f32 v123, v13, v163
	ds_load_2addr_b64 v[13:16], v21 offset0:95 offset1:96
	v_dual_add_f32 v133, v122, v166 :: v_dual_add_f32 v136, v123, v165
	ds_load_2addr_b64 v[122:125], v21 offset0:97 offset1:98
	v_add_f32_e32 v21, v133, v168
	s_wait_loadcnt_dscnt 0x201
	v_mul_f32_e32 v137, v15, v12
	s_delay_alu instid0(VALU_DEP_1) | instskip(SKIP_2) | instid1(VALU_DEP_1)
	v_fmac_f32_e32 v137, v16, v11
	s_wait_loadcnt 0x1
	v_dual_add_f32 v133, v136, v167 :: v_dual_mul_f32 v136, v5, v2
	v_dual_mul_f32 v2, v6, v2 :: v_dual_add_f32 v133, v133, v169
	s_delay_alu instid0(VALU_DEP_2) | instskip(SKIP_2) | instid1(VALU_DEP_4)
	v_fmac_f32_e32 v136, v6, v1
	v_mul_f32_e32 v6, v14, v10
	v_add_f32_e32 v21, v21, v170
	v_fma_f32 v2, v5, v1, -v2
	v_add_f32_e32 v22, v133, v22
	v_mul_f32_e32 v133, v13, v10
	s_delay_alu instid0(VALU_DEP_2) | instskip(NEXT) | instid1(VALU_DEP_2)
	v_add_f32_e32 v22, v22, v126
	v_fmac_f32_e32 v133, v14, v9
	s_delay_alu instid0(VALU_DEP_2) | instskip(NEXT) | instid1(VALU_DEP_1)
	v_dual_add_f32 v21, v21, v127 :: v_dual_add_f32 v22, v22, v129
	v_add_f32_e32 v21, v21, v128
	s_delay_alu instid0(VALU_DEP_2) | instskip(NEXT) | instid1(VALU_DEP_2)
	v_add_f32_e32 v5, v22, v130
	v_add_f32_e32 v21, v21, v131
	s_delay_alu instid0(VALU_DEP_1) | instskip(NEXT) | instid1(VALU_DEP_1)
	v_add_f32_e32 v1, v21, v132
	v_add_f32_e32 v1, v1, v2
	s_delay_alu instid0(VALU_DEP_4)
	v_add_f32_e32 v2, v5, v136
	v_fma_f32 v5, v13, v9, -v6
	s_wait_loadcnt_dscnt 0x0
	v_mul_f32_e32 v128, v124, v20
	v_mul_f32_e32 v127, v7, v4
	v_mul_f32_e32 v4, v8, v4
	v_mul_f32_e32 v126, v122, v18
	s_delay_alu instid0(VALU_DEP_4) | instskip(NEXT) | instid1(VALU_DEP_4)
	v_fmac_f32_e32 v128, v125, v19
	v_fmac_f32_e32 v127, v8, v3
	s_delay_alu instid0(VALU_DEP_4) | instskip(SKIP_2) | instid1(VALU_DEP_4)
	v_fma_f32 v3, v7, v3, -v4
	v_mul_f32_e32 v4, v16, v12
	v_fmac_f32_e32 v126, v123, v17
	v_add_f32_e32 v2, v2, v127
	s_delay_alu instid0(VALU_DEP_4) | instskip(SKIP_2) | instid1(VALU_DEP_4)
	v_add_f32_e32 v1, v1, v3
	v_mul_f32_e32 v3, v123, v18
	v_fma_f32 v4, v15, v11, -v4
	v_add_f32_e32 v2, v2, v133
	s_delay_alu instid0(VALU_DEP_4) | instskip(SKIP_2) | instid1(VALU_DEP_3)
	v_add_f32_e32 v1, v1, v5
	v_mul_f32_e32 v5, v125, v20
	v_fma_f32 v3, v122, v17, -v3
	v_dual_add_f32 v2, v2, v137 :: v_dual_add_f32 v1, v1, v4
	s_delay_alu instid0(VALU_DEP_3) | instskip(NEXT) | instid1(VALU_DEP_2)
	v_fma_f32 v4, v124, v19, -v5
	v_dual_add_f32 v2, v2, v126 :: v_dual_add_f32 v1, v1, v3
	s_delay_alu instid0(VALU_DEP_1) | instskip(NEXT) | instid1(VALU_DEP_1)
	v_add_f32_e32 v2, v2, v128
	v_dual_add_f32 v1, v1, v4 :: v_dual_sub_f32 v2, v135, v2
	s_delay_alu instid0(VALU_DEP_1)
	v_sub_f32_e32 v1, v134, v1
	scratch_store_b64 off, v[1:2], off offset:80
	v_cmpx_lt_u32_e32 9, v0
	s_cbranch_execz .LBB112_289
; %bb.288:
	scratch_load_b64 v[1:2], off, off offset:72
	v_mov_b32_e32 v3, 0
	s_delay_alu instid0(VALU_DEP_1)
	v_mov_b32_e32 v4, v3
	scratch_store_b64 off, v[3:4], off offset:72
	s_wait_loadcnt 0x0
	ds_store_b64 v23, v[1:2]
.LBB112_289:
	s_wait_alu 0xfffe
	s_or_b32 exec_lo, exec_lo, s0
	s_wait_storecnt_dscnt 0x0
	s_barrier_signal -1
	s_barrier_wait -1
	global_inv scope:SCOPE_SE
	s_clause 0x4
	scratch_load_b128 v[5:8], off, off offset:80
	scratch_load_b128 v[1:4], off, off offset:96
	;; [unrolled: 1-line block ×5, first 2 shown]
	v_mov_b32_e32 v21, 0
	ds_load_b128 v[122:125], v21 offset:480
	ds_load_b128 v[126:129], v21 offset:496
	;; [unrolled: 1-line block ×3, first 2 shown]
	scratch_load_b64 v[134:135], off, off offset:72
	s_mov_b32 s0, exec_lo
	s_wait_loadcnt_dscnt 0x502
	v_mul_f32_e32 v22, v123, v6
	v_dual_mul_f32 v136, v122, v6 :: v_dual_mul_f32 v137, v124, v8
	v_mul_f32_e32 v6, v125, v8
	s_delay_alu instid0(VALU_DEP_3) | instskip(NEXT) | instid1(VALU_DEP_3)
	v_fma_f32 v22, v122, v5, -v22
	v_dual_fmac_f32 v136, v123, v5 :: v_dual_fmac_f32 v137, v125, v7
	s_wait_loadcnt_dscnt 0x401
	v_mul_f32_e32 v123, v126, v2
	v_fma_f32 v122, v124, v7, -v6
	ds_load_b128 v[5:8], v21 offset:528
	s_wait_loadcnt_dscnt 0x301
	v_dual_mul_f32 v124, v128, v4 :: v_dual_mul_f32 v125, v130, v10
	v_dual_mul_f32 v4, v129, v4 :: v_dual_fmac_f32 v123, v127, v1
	v_mul_f32_e32 v10, v131, v10
	s_delay_alu instid0(VALU_DEP_3)
	v_dual_mul_f32 v138, v132, v12 :: v_dual_fmac_f32 v125, v131, v9
	v_mul_f32_e32 v12, v133, v12
	v_mul_f32_e32 v2, v127, v2
	v_fmac_f32_e32 v124, v129, v3
	v_fma_f32 v127, v128, v3, -v4
	v_fma_f32 v128, v130, v9, -v10
	v_fmac_f32_e32 v138, v133, v11
	v_fma_f32 v129, v132, v11, -v12
	ds_load_b128 v[9:12], v21 offset:544
	s_wait_loadcnt_dscnt 0x201
	v_dual_mul_f32 v131, v7, v16 :: v_dual_mul_f32 v130, v5, v14
	v_mul_f32_e32 v14, v6, v14
	v_mul_f32_e32 v16, v8, v16
	s_delay_alu instid0(VALU_DEP_3)
	v_fmac_f32_e32 v131, v8, v15
	v_fma_f32 v126, v126, v1, -v2
	scratch_load_b128 v[1:4], off, off offset:160
	v_fmac_f32_e32 v130, v6, v13
	v_fma_f32 v13, v5, v13, -v14
	v_fma_f32 v14, v7, v15, -v16
	ds_load_b128 v[5:8], v21 offset:560
	s_wait_loadcnt_dscnt 0x201
	v_mul_f32_e32 v15, v9, v18
	v_mul_f32_e32 v16, v10, v18
	;; [unrolled: 1-line block ×3, first 2 shown]
	s_delay_alu instid0(VALU_DEP_3) | instskip(NEXT) | instid1(VALU_DEP_3)
	v_dual_mul_f32 v20, v12, v20 :: v_dual_fmac_f32 v15, v10, v17
	v_fma_f32 v16, v9, v17, -v16
	s_delay_alu instid0(VALU_DEP_3) | instskip(NEXT) | instid1(VALU_DEP_3)
	v_fmac_f32_e32 v18, v12, v19
	v_fma_f32 v17, v11, v19, -v20
	scratch_load_b128 v[9:12], off, off offset:176
	s_wait_loadcnt_dscnt 0x100
	v_mul_f32_e32 v19, v5, v2
	v_mul_f32_e32 v2, v6, v2
	;; [unrolled: 1-line block ×3, first 2 shown]
	s_delay_alu instid0(VALU_DEP_3) | instskip(NEXT) | instid1(VALU_DEP_3)
	v_dual_mul_f32 v4, v8, v4 :: v_dual_fmac_f32 v19, v6, v1
	v_fma_f32 v132, v5, v1, -v2
	s_delay_alu instid0(VALU_DEP_3) | instskip(NEXT) | instid1(VALU_DEP_3)
	v_fmac_f32_e32 v20, v8, v3
	v_fma_f32 v133, v7, v3, -v4
	ds_load_b128 v[1:4], v21 offset:576
	ds_load_b128 v[5:8], v21 offset:592
	s_wait_loadcnt_dscnt 0x1
	v_mul_f32_e32 v139, v1, v10
	v_mul_f32_e32 v10, v2, v10
	s_delay_alu instid0(VALU_DEP_2) | instskip(NEXT) | instid1(VALU_DEP_2)
	v_dual_mul_f32 v140, v3, v12 :: v_dual_fmac_f32 v139, v2, v9
	v_fma_f32 v141, v1, v9, -v10
	v_mul_f32_e32 v1, v4, v12
	s_delay_alu instid0(VALU_DEP_3) | instskip(NEXT) | instid1(VALU_DEP_2)
	v_fmac_f32_e32 v140, v4, v11
	v_fma_f32 v142, v3, v11, -v1
	s_clause 0x1
	scratch_load_b128 v[1:4], off, off offset:192
	scratch_load_b128 v[9:12], off, off offset:208
	s_wait_loadcnt_dscnt 0x100
	v_mul_f32_e32 v143, v5, v2
	v_dual_mul_f32 v2, v6, v2 :: v_dual_mul_f32 v145, v7, v4
	s_delay_alu instid0(VALU_DEP_2) | instskip(NEXT) | instid1(VALU_DEP_2)
	v_fmac_f32_e32 v143, v6, v1
	v_fma_f32 v144, v5, v1, -v2
	v_mul_f32_e32 v1, v8, v4
	s_delay_alu instid0(VALU_DEP_4) | instskip(NEXT) | instid1(VALU_DEP_2)
	v_fmac_f32_e32 v145, v8, v3
	v_fma_f32 v146, v7, v3, -v1
	ds_load_b128 v[1:4], v21 offset:608
	ds_load_b128 v[5:8], v21 offset:624
	s_wait_loadcnt_dscnt 0x1
	v_mul_f32_e32 v147, v1, v10
	v_mul_f32_e32 v149, v3, v12
	s_delay_alu instid0(VALU_DEP_2) | instskip(NEXT) | instid1(VALU_DEP_2)
	v_fmac_f32_e32 v147, v2, v9
	v_dual_mul_f32 v2, v2, v10 :: v_dual_fmac_f32 v149, v4, v11
	s_delay_alu instid0(VALU_DEP_1) | instskip(SKIP_1) | instid1(VALU_DEP_1)
	v_fma_f32 v148, v1, v9, -v2
	v_mul_f32_e32 v1, v4, v12
	v_fma_f32 v150, v3, v11, -v1
	s_clause 0x1
	scratch_load_b128 v[1:4], off, off offset:224
	scratch_load_b128 v[9:12], off, off offset:240
	s_wait_loadcnt_dscnt 0x100
	v_mul_f32_e32 v151, v5, v2
	v_dual_mul_f32 v153, v7, v4 :: v_dual_mul_f32 v2, v6, v2
	s_delay_alu instid0(VALU_DEP_2) | instskip(NEXT) | instid1(VALU_DEP_2)
	v_fmac_f32_e32 v151, v6, v1
	v_fmac_f32_e32 v153, v8, v3
	s_delay_alu instid0(VALU_DEP_3) | instskip(SKIP_1) | instid1(VALU_DEP_1)
	v_fma_f32 v152, v5, v1, -v2
	v_mul_f32_e32 v1, v8, v4
	v_fma_f32 v154, v7, v3, -v1
	ds_load_b128 v[1:4], v21 offset:640
	ds_load_b128 v[5:8], v21 offset:656
	s_wait_loadcnt_dscnt 0x1
	v_mul_f32_e32 v155, v1, v10
	v_mul_f32_e32 v157, v3, v12
	s_delay_alu instid0(VALU_DEP_2) | instskip(NEXT) | instid1(VALU_DEP_2)
	v_fmac_f32_e32 v155, v2, v9
	v_dual_mul_f32 v2, v2, v10 :: v_dual_fmac_f32 v157, v4, v11
	s_delay_alu instid0(VALU_DEP_1) | instskip(SKIP_1) | instid1(VALU_DEP_1)
	v_fma_f32 v156, v1, v9, -v2
	v_mul_f32_e32 v1, v4, v12
	v_fma_f32 v158, v3, v11, -v1
	s_clause 0x1
	scratch_load_b128 v[1:4], off, off offset:256
	scratch_load_b128 v[9:12], off, off offset:272
	s_wait_loadcnt_dscnt 0x100
	v_mul_f32_e32 v159, v5, v2
	v_dual_mul_f32 v2, v6, v2 :: v_dual_mul_f32 v161, v7, v4
	s_delay_alu instid0(VALU_DEP_2) | instskip(NEXT) | instid1(VALU_DEP_2)
	v_fmac_f32_e32 v159, v6, v1
	v_fma_f32 v160, v5, v1, -v2
	v_mul_f32_e32 v1, v8, v4
	s_delay_alu instid0(VALU_DEP_4) | instskip(NEXT) | instid1(VALU_DEP_2)
	v_fmac_f32_e32 v161, v8, v3
	v_fma_f32 v162, v7, v3, -v1
	ds_load_b128 v[1:4], v21 offset:672
	ds_load_b128 v[5:8], v21 offset:688
	s_wait_loadcnt_dscnt 0x1
	v_mul_f32_e32 v163, v1, v10
	v_mul_f32_e32 v165, v3, v12
	s_delay_alu instid0(VALU_DEP_2) | instskip(NEXT) | instid1(VALU_DEP_2)
	v_fmac_f32_e32 v163, v2, v9
	v_dual_mul_f32 v2, v2, v10 :: v_dual_fmac_f32 v165, v4, v11
	s_delay_alu instid0(VALU_DEP_1) | instskip(SKIP_1) | instid1(VALU_DEP_1)
	v_fma_f32 v164, v1, v9, -v2
	v_mul_f32_e32 v1, v4, v12
	v_fma_f32 v166, v3, v11, -v1
	s_clause 0x1
	scratch_load_b128 v[1:4], off, off offset:288
	scratch_load_b128 v[9:12], off, off offset:304
	s_wait_loadcnt_dscnt 0x100
	v_mul_f32_e32 v167, v5, v2
	v_mul_f32_e32 v2, v6, v2
	s_delay_alu instid0(VALU_DEP_1) | instskip(SKIP_1) | instid1(VALU_DEP_1)
	v_fma_f32 v168, v5, v1, -v2
	v_add_f32_e32 v2, 0, v136
	v_add_f32_e32 v2, v2, v137
	s_delay_alu instid0(VALU_DEP_1) | instskip(NEXT) | instid1(VALU_DEP_1)
	v_add_f32_e32 v2, v2, v123
	v_add_f32_e32 v2, v2, v124
	s_delay_alu instid0(VALU_DEP_1) | instskip(NEXT) | instid1(VALU_DEP_1)
	;; [unrolled: 3-line block ×4, first 2 shown]
	v_dual_add_f32 v2, v2, v15 :: v_dual_mul_f32 v169, v7, v4
	v_add_f32_e32 v2, v2, v18
	s_delay_alu instid0(VALU_DEP_1) | instskip(SKIP_1) | instid1(VALU_DEP_2)
	v_add_f32_e32 v2, v2, v19
	v_fmac_f32_e32 v167, v6, v1
	v_dual_fmac_f32 v169, v8, v3 :: v_dual_add_f32 v2, v2, v20
	s_delay_alu instid0(VALU_DEP_1) | instskip(NEXT) | instid1(VALU_DEP_1)
	v_dual_mul_f32 v1, v8, v4 :: v_dual_add_f32 v2, v2, v139
	v_fma_f32 v170, v7, v3, -v1
	v_add_f32_e32 v1, 0, v22
	s_delay_alu instid0(VALU_DEP_3) | instskip(NEXT) | instid1(VALU_DEP_2)
	v_add_f32_e32 v5, v2, v140
	v_add_f32_e32 v1, v1, v122
	s_delay_alu instid0(VALU_DEP_1) | instskip(NEXT) | instid1(VALU_DEP_1)
	v_add_f32_e32 v1, v1, v126
	v_add_f32_e32 v1, v1, v127
	scratch_load_b64 v[126:127], off, off offset:384
	v_add_f32_e32 v1, v1, v128
	s_delay_alu instid0(VALU_DEP_1) | instskip(NEXT) | instid1(VALU_DEP_1)
	v_add_f32_e32 v1, v1, v129
	v_add_f32_e32 v1, v1, v13
	;; [unrolled: 1-line block ×3, first 2 shown]
	s_delay_alu instid0(VALU_DEP_1) | instskip(NEXT) | instid1(VALU_DEP_1)
	v_add_f32_e32 v13, v13, v145
	v_add_f32_e32 v13, v13, v147
	s_delay_alu instid0(VALU_DEP_1) | instskip(NEXT) | instid1(VALU_DEP_1)
	v_add_f32_e32 v18, v13, v149
	v_dual_add_f32 v18, v18, v151 :: v_dual_add_f32 v1, v1, v14
	s_delay_alu instid0(VALU_DEP_1) | instskip(NEXT) | instid1(VALU_DEP_1)
	v_dual_add_f32 v18, v18, v153 :: v_dual_add_f32 v1, v1, v16
	v_add_f32_e32 v1, v1, v17
	s_delay_alu instid0(VALU_DEP_1) | instskip(NEXT) | instid1(VALU_DEP_1)
	v_add_f32_e32 v1, v1, v132
	v_add_f32_e32 v1, v1, v133
	s_delay_alu instid0(VALU_DEP_1) | instskip(NEXT) | instid1(VALU_DEP_1)
	v_add_f32_e32 v1, v1, v141
	v_add_f32_e32 v1, v1, v142
	s_delay_alu instid0(VALU_DEP_1)
	v_add_f32_e32 v6, v1, v144
	scratch_load_b128 v[1:4], off, off offset:320
	v_add_f32_e32 v122, v18, v155
	v_add_f32_e32 v14, v6, v146
	ds_load_b128 v[5:8], v21 offset:704
	v_add_f32_e32 v122, v122, v157
	v_add_f32_e32 v14, v14, v148
	s_delay_alu instid0(VALU_DEP_1)
	v_add_f32_e32 v17, v14, v150
	ds_load_b128 v[13:16], v21 offset:720
	s_wait_loadcnt_dscnt 0x201
	v_mul_f32_e32 v22, v5, v10
	v_mul_f32_e32 v10, v6, v10
	;; [unrolled: 1-line block ×4, first 2 shown]
	v_add_f32_e32 v122, v122, v159
	v_fmac_f32_e32 v22, v6, v9
	v_fma_f32 v131, v5, v9, -v10
	v_fmac_f32_e32 v130, v8, v11
	v_fma_f32 v132, v7, v11, -v12
	scratch_load_b128 v[5:8], off, off offset:336
	v_add_f32_e32 v122, v122, v161
	scratch_load_b128 v[9:12], off, off offset:352
	s_wait_loadcnt_dscnt 0x200
	v_mul_f32_e32 v133, v13, v2
	v_mul_f32_e32 v2, v14, v2
	;; [unrolled: 1-line block ×3, first 2 shown]
	s_delay_alu instid0(VALU_DEP_3) | instskip(NEXT) | instid1(VALU_DEP_3)
	v_dual_mul_f32 v4, v16, v4 :: v_dual_fmac_f32 v133, v14, v1
	v_fma_f32 v137, v13, v1, -v2
	v_add_f32_e32 v13, v122, v163
	s_delay_alu instid0(VALU_DEP_4) | instskip(NEXT) | instid1(VALU_DEP_4)
	v_fmac_f32_e32 v136, v16, v3
	v_fma_f32 v138, v15, v3, -v4
	ds_load_b128 v[1:4], v21 offset:736
	v_add_f32_e32 v122, v13, v165
	s_delay_alu instid0(VALU_DEP_1) | instskip(NEXT) | instid1(VALU_DEP_1)
	v_add_f32_e32 v129, v122, v167
	v_add_f32_e32 v140, v129, v169
	s_delay_alu instid0(VALU_DEP_1) | instskip(NEXT) | instid1(VALU_DEP_1)
	v_dual_add_f32 v17, v17, v152 :: v_dual_add_f32 v22, v140, v22
	v_add_f32_e32 v17, v17, v154
	s_delay_alu instid0(VALU_DEP_1) | instskip(NEXT) | instid1(VALU_DEP_1)
	v_dual_add_f32 v22, v22, v130 :: v_dual_add_f32 v17, v17, v156
	v_dual_add_f32 v22, v22, v133 :: v_dual_add_f32 v123, v17, v158
	scratch_load_b128 v[17:20], off, off offset:368
	v_add_f32_e32 v22, v22, v136
	v_add_f32_e32 v123, v123, v160
	s_delay_alu instid0(VALU_DEP_1) | instskip(NEXT) | instid1(VALU_DEP_1)
	v_add_f32_e32 v123, v123, v162
	v_add_f32_e32 v123, v123, v164
	s_delay_alu instid0(VALU_DEP_1)
	v_add_f32_e32 v14, v123, v166
	ds_load_b128 v[122:125], v21 offset:768
	v_add_f32_e32 v128, v14, v168
	ds_load_b128 v[13:16], v21 offset:752
	s_wait_loadcnt_dscnt 0x202
	v_mul_f32_e32 v130, v3, v8
	v_mul_f32_e32 v8, v4, v8
	v_add_f32_e32 v139, v128, v170
	ds_load_b64 v[128:129], v21 offset:784
	v_fmac_f32_e32 v130, v4, v7
	v_add_f32_e32 v131, v139, v131
	v_mul_f32_e32 v139, v1, v6
	v_mul_f32_e32 v6, v2, v6
	s_delay_alu instid0(VALU_DEP_2) | instskip(NEXT) | instid1(VALU_DEP_4)
	v_fmac_f32_e32 v139, v2, v5
	v_add_f32_e32 v131, v131, v132
	s_delay_alu instid0(VALU_DEP_3)
	v_fma_f32 v1, v1, v5, -v6
	v_fma_f32 v2, v3, v7, -v8
	s_wait_loadcnt_dscnt 0x101
	v_mul_f32_e32 v132, v13, v10
	v_add_f32_e32 v4, v22, v139
	v_mul_f32_e32 v3, v14, v10
	s_delay_alu instid0(VALU_DEP_3) | instskip(SKIP_2) | instid1(VALU_DEP_3)
	v_fmac_f32_e32 v132, v14, v9
	s_wait_dscnt 0x0
	v_dual_add_f32 v131, v131, v137 :: v_dual_mul_f32 v136, v128, v127
	v_fma_f32 v3, v13, v9, -v3
	s_delay_alu instid0(VALU_DEP_2) | instskip(NEXT) | instid1(VALU_DEP_1)
	v_add_f32_e32 v131, v131, v138
	v_dual_fmac_f32 v136, v129, v126 :: v_dual_add_f32 v1, v131, v1
	s_delay_alu instid0(VALU_DEP_1) | instskip(SKIP_1) | instid1(VALU_DEP_1)
	v_add_f32_e32 v1, v1, v2
	v_add_f32_e32 v2, v4, v130
	;; [unrolled: 1-line block ×3, first 2 shown]
	s_wait_loadcnt 0x0
	v_mul_f32_e32 v138, v124, v20
	v_mul_f32_e32 v133, v15, v12
	;; [unrolled: 1-line block ×4, first 2 shown]
	s_delay_alu instid0(VALU_DEP_4) | instskip(NEXT) | instid1(VALU_DEP_4)
	v_fmac_f32_e32 v138, v125, v19
	v_fmac_f32_e32 v133, v16, v11
	s_delay_alu instid0(VALU_DEP_4) | instskip(NEXT) | instid1(VALU_DEP_4)
	v_fmac_f32_e32 v137, v123, v17
	v_fma_f32 v4, v122, v17, -v4
	s_delay_alu instid0(VALU_DEP_3) | instskip(NEXT) | instid1(VALU_DEP_1)
	v_dual_add_f32 v2, v2, v133 :: v_dual_mul_f32 v5, v16, v12
	v_add_f32_e32 v2, v2, v137
	s_delay_alu instid0(VALU_DEP_2) | instskip(NEXT) | instid1(VALU_DEP_2)
	v_fma_f32 v5, v15, v11, -v5
	v_add_f32_e32 v2, v2, v138
	s_delay_alu instid0(VALU_DEP_1) | instskip(NEXT) | instid1(VALU_DEP_1)
	v_dual_add_f32 v2, v2, v136 :: v_dual_add_f32 v1, v1, v3
	v_dual_mul_f32 v3, v125, v20 :: v_dual_sub_f32 v2, v135, v2
	s_delay_alu instid0(VALU_DEP_2) | instskip(SKIP_1) | instid1(VALU_DEP_3)
	v_add_f32_e32 v1, v1, v5
	v_mul_f32_e32 v5, v129, v127
	v_fma_f32 v3, v124, v19, -v3
	s_delay_alu instid0(VALU_DEP_3) | instskip(NEXT) | instid1(VALU_DEP_3)
	v_add_f32_e32 v1, v1, v4
	v_fma_f32 v4, v128, v126, -v5
	s_delay_alu instid0(VALU_DEP_2) | instskip(NEXT) | instid1(VALU_DEP_1)
	v_add_f32_e32 v1, v1, v3
	v_add_f32_e32 v1, v1, v4
	s_delay_alu instid0(VALU_DEP_1)
	v_sub_f32_e32 v1, v134, v1
	scratch_store_b64 off, v[1:2], off offset:72
	v_cmpx_lt_u32_e32 8, v0
	s_cbranch_execz .LBB112_291
; %bb.290:
	scratch_load_b64 v[1:2], off, off offset:64
	v_mov_b32_e32 v22, v21
	scratch_store_b64 off, v[21:22], off offset:64
	s_wait_loadcnt 0x0
	ds_store_b64 v23, v[1:2]
.LBB112_291:
	s_wait_alu 0xfffe
	s_or_b32 exec_lo, exec_lo, s0
	s_wait_storecnt_dscnt 0x0
	s_barrier_signal -1
	s_barrier_wait -1
	global_inv scope:SCOPE_SE
	s_clause 0x4
	scratch_load_b128 v[5:8], off, off offset:72
	scratch_load_b128 v[1:4], off, off offset:88
	;; [unrolled: 1-line block ×5, first 2 shown]
	ds_load_2addr_b64 v[122:125], v21 offset0:59 offset1:60
	ds_load_2addr_b64 v[126:129], v21 offset0:61 offset1:62
	;; [unrolled: 1-line block ×3, first 2 shown]
	scratch_load_b64 v[134:135], off, off offset:64
	s_mov_b32 s0, exec_lo
	s_wait_loadcnt_dscnt 0x502
	v_dual_mul_f32 v22, v123, v6 :: v_dual_mul_f32 v137, v124, v8
	v_mul_f32_e32 v136, v122, v6
	v_mul_f32_e32 v6, v125, v8
	s_wait_loadcnt_dscnt 0x300
	v_mul_f32_e32 v138, v132, v12
	v_fma_f32 v22, v122, v5, -v22
	v_dual_fmac_f32 v137, v125, v7 :: v_dual_fmac_f32 v136, v123, v5
	v_mul_f32_e32 v125, v130, v10
	v_mul_f32_e32 v123, v126, v2
	v_fma_f32 v122, v124, v7, -v6
	ds_load_2addr_b64 v[5:8], v21 offset0:65 offset1:66
	v_mul_f32_e32 v124, v128, v4
	v_dual_mul_f32 v4, v129, v4 :: v_dual_fmac_f32 v125, v131, v9
	v_mul_f32_e32 v10, v131, v10
	v_mul_f32_e32 v12, v133, v12
	;; [unrolled: 1-line block ×3, first 2 shown]
	v_dual_fmac_f32 v123, v127, v1 :: v_dual_fmac_f32 v124, v129, v3
	v_fma_f32 v127, v128, v3, -v4
	v_fma_f32 v128, v130, v9, -v10
	v_fmac_f32_e32 v138, v133, v11
	v_fma_f32 v129, v132, v11, -v12
	ds_load_2addr_b64 v[9:12], v21 offset0:67 offset1:68
	s_wait_loadcnt_dscnt 0x201
	v_dual_mul_f32 v131, v7, v16 :: v_dual_mul_f32 v130, v5, v14
	s_delay_alu instid0(VALU_DEP_1)
	v_dual_mul_f32 v14, v6, v14 :: v_dual_fmac_f32 v131, v8, v15
	v_fma_f32 v126, v126, v1, -v2
	scratch_load_b128 v[1:4], off, off offset:152
	v_mul_f32_e32 v16, v8, v16
	v_fmac_f32_e32 v130, v6, v13
	v_fma_f32 v13, v5, v13, -v14
	s_delay_alu instid0(VALU_DEP_3)
	v_fma_f32 v14, v7, v15, -v16
	s_wait_loadcnt_dscnt 0x200
	v_mul_f32_e32 v15, v9, v18
	v_mul_f32_e32 v16, v10, v18
	;; [unrolled: 1-line block ×4, first 2 shown]
	ds_load_2addr_b64 v[5:8], v21 offset0:69 offset1:70
	v_fmac_f32_e32 v15, v10, v17
	v_fma_f32 v16, v9, v17, -v16
	v_fmac_f32_e32 v18, v12, v19
	v_fma_f32 v17, v11, v19, -v20
	scratch_load_b128 v[9:12], off, off offset:168
	s_wait_loadcnt_dscnt 0x100
	v_mul_f32_e32 v19, v5, v2
	v_mul_f32_e32 v2, v6, v2
	;; [unrolled: 1-line block ×3, first 2 shown]
	s_delay_alu instid0(VALU_DEP_3) | instskip(NEXT) | instid1(VALU_DEP_3)
	v_dual_mul_f32 v4, v8, v4 :: v_dual_fmac_f32 v19, v6, v1
	v_fma_f32 v132, v5, v1, -v2
	s_delay_alu instid0(VALU_DEP_3) | instskip(NEXT) | instid1(VALU_DEP_3)
	v_fmac_f32_e32 v20, v8, v3
	v_fma_f32 v133, v7, v3, -v4
	ds_load_2addr_b64 v[1:4], v21 offset0:71 offset1:72
	ds_load_2addr_b64 v[5:8], v21 offset0:73 offset1:74
	s_wait_loadcnt_dscnt 0x1
	v_mul_f32_e32 v139, v1, v10
	v_mul_f32_e32 v10, v2, v10
	s_delay_alu instid0(VALU_DEP_2) | instskip(NEXT) | instid1(VALU_DEP_2)
	v_dual_mul_f32 v140, v3, v12 :: v_dual_fmac_f32 v139, v2, v9
	v_fma_f32 v141, v1, v9, -v10
	v_mul_f32_e32 v1, v4, v12
	s_delay_alu instid0(VALU_DEP_3) | instskip(NEXT) | instid1(VALU_DEP_2)
	v_fmac_f32_e32 v140, v4, v11
	v_fma_f32 v142, v3, v11, -v1
	s_clause 0x1
	scratch_load_b128 v[1:4], off, off offset:184
	scratch_load_b128 v[9:12], off, off offset:200
	s_wait_loadcnt_dscnt 0x100
	v_mul_f32_e32 v143, v5, v2
	v_dual_mul_f32 v2, v6, v2 :: v_dual_mul_f32 v145, v7, v4
	s_delay_alu instid0(VALU_DEP_2) | instskip(NEXT) | instid1(VALU_DEP_2)
	v_fmac_f32_e32 v143, v6, v1
	v_fma_f32 v144, v5, v1, -v2
	v_mul_f32_e32 v1, v8, v4
	s_delay_alu instid0(VALU_DEP_4) | instskip(NEXT) | instid1(VALU_DEP_2)
	v_fmac_f32_e32 v145, v8, v3
	v_fma_f32 v146, v7, v3, -v1
	ds_load_2addr_b64 v[1:4], v21 offset0:75 offset1:76
	ds_load_2addr_b64 v[5:8], v21 offset0:77 offset1:78
	s_wait_loadcnt_dscnt 0x1
	v_mul_f32_e32 v147, v1, v10
	v_mul_f32_e32 v149, v3, v12
	s_delay_alu instid0(VALU_DEP_2) | instskip(NEXT) | instid1(VALU_DEP_2)
	v_fmac_f32_e32 v147, v2, v9
	v_dual_mul_f32 v2, v2, v10 :: v_dual_fmac_f32 v149, v4, v11
	s_delay_alu instid0(VALU_DEP_1) | instskip(SKIP_1) | instid1(VALU_DEP_1)
	v_fma_f32 v148, v1, v9, -v2
	v_mul_f32_e32 v1, v4, v12
	v_fma_f32 v150, v3, v11, -v1
	s_clause 0x1
	scratch_load_b128 v[1:4], off, off offset:216
	scratch_load_b128 v[9:12], off, off offset:232
	s_wait_loadcnt_dscnt 0x100
	v_mul_f32_e32 v151, v5, v2
	v_dual_mul_f32 v2, v6, v2 :: v_dual_mul_f32 v153, v7, v4
	s_delay_alu instid0(VALU_DEP_2) | instskip(NEXT) | instid1(VALU_DEP_2)
	v_fmac_f32_e32 v151, v6, v1
	v_fma_f32 v152, v5, v1, -v2
	v_mul_f32_e32 v1, v8, v4
	s_delay_alu instid0(VALU_DEP_4) | instskip(NEXT) | instid1(VALU_DEP_2)
	v_fmac_f32_e32 v153, v8, v3
	v_fma_f32 v154, v7, v3, -v1
	ds_load_2addr_b64 v[1:4], v21 offset0:79 offset1:80
	ds_load_2addr_b64 v[5:8], v21 offset0:81 offset1:82
	s_wait_loadcnt_dscnt 0x1
	v_mul_f32_e32 v155, v1, v10
	v_mul_f32_e32 v157, v3, v12
	s_delay_alu instid0(VALU_DEP_2) | instskip(NEXT) | instid1(VALU_DEP_2)
	v_fmac_f32_e32 v155, v2, v9
	v_dual_mul_f32 v2, v2, v10 :: v_dual_fmac_f32 v157, v4, v11
	s_delay_alu instid0(VALU_DEP_1) | instskip(SKIP_1) | instid1(VALU_DEP_1)
	v_fma_f32 v156, v1, v9, -v2
	v_mul_f32_e32 v1, v4, v12
	;; [unrolled: 25-line block ×4, first 2 shown]
	v_fma_f32 v174, v3, v11, -v1
	s_clause 0x1
	scratch_load_b128 v[1:4], off, off offset:312
	scratch_load_b128 v[9:12], off, off offset:328
	s_wait_loadcnt_dscnt 0x100
	v_mul_f32_e32 v175, v5, v2
	v_mul_f32_e32 v2, v6, v2
	s_delay_alu instid0(VALU_DEP_1) | instskip(SKIP_1) | instid1(VALU_DEP_1)
	v_fma_f32 v176, v5, v1, -v2
	v_add_f32_e32 v2, 0, v136
	v_add_f32_e32 v2, v2, v137
	s_delay_alu instid0(VALU_DEP_1) | instskip(NEXT) | instid1(VALU_DEP_1)
	v_add_f32_e32 v2, v2, v123
	v_add_f32_e32 v2, v2, v124
	s_delay_alu instid0(VALU_DEP_1) | instskip(NEXT) | instid1(VALU_DEP_1)
	;; [unrolled: 3-line block ×6, first 2 shown]
	v_add_f32_e32 v2, v2, v139
	v_add_f32_e32 v2, v2, v140
	v_fmac_f32_e32 v175, v6, v1
	s_delay_alu instid0(VALU_DEP_2) | instskip(NEXT) | instid1(VALU_DEP_1)
	v_dual_add_f32 v2, v2, v143 :: v_dual_mul_f32 v177, v7, v4
	v_add_f32_e32 v2, v2, v145
	s_delay_alu instid0(VALU_DEP_1) | instskip(NEXT) | instid1(VALU_DEP_1)
	v_add_f32_e32 v5, v2, v147
	v_add_f32_e32 v5, v5, v149
	s_delay_alu instid0(VALU_DEP_1) | instskip(SKIP_1) | instid1(VALU_DEP_1)
	v_add_f32_e32 v5, v5, v151
	v_mul_f32_e32 v1, v8, v4
	v_fma_f32 v178, v7, v3, -v1
	v_add_f32_e32 v1, 0, v22
	s_delay_alu instid0(VALU_DEP_1) | instskip(NEXT) | instid1(VALU_DEP_1)
	v_add_f32_e32 v1, v1, v122
	v_add_f32_e32 v1, v1, v126
	s_delay_alu instid0(VALU_DEP_1) | instskip(NEXT) | instid1(VALU_DEP_1)
	v_add_f32_e32 v1, v1, v127
	v_add_f32_e32 v1, v1, v128
	s_delay_alu instid0(VALU_DEP_1) | instskip(NEXT) | instid1(VALU_DEP_1)
	v_add_f32_e32 v1, v1, v129
	v_add_f32_e32 v1, v1, v13
	s_delay_alu instid0(VALU_DEP_1) | instskip(SKIP_1) | instid1(VALU_DEP_2)
	v_add_f32_e32 v1, v1, v14
	v_add_f32_e32 v14, v5, v153
	v_add_f32_e32 v1, v1, v16
	s_delay_alu instid0(VALU_DEP_1) | instskip(NEXT) | instid1(VALU_DEP_1)
	v_add_f32_e32 v1, v1, v17
	v_add_f32_e32 v1, v1, v132
	s_delay_alu instid0(VALU_DEP_1) | instskip(NEXT) | instid1(VALU_DEP_1)
	v_add_f32_e32 v1, v1, v133
	v_add_f32_e32 v1, v1, v141
	;; [unrolled: 3-line block ×4, first 2 shown]
	s_delay_alu instid0(VALU_DEP_1) | instskip(SKIP_3) | instid1(VALU_DEP_2)
	v_dual_add_f32 v6, v1, v150 :: v_dual_fmac_f32 v177, v8, v3
	ds_load_2addr_b64 v[1:4], v21 offset0:91 offset1:92
	v_add_f32_e32 v14, v14, v155
	v_add_f32_e32 v6, v6, v152
	;; [unrolled: 1-line block ×3, first 2 shown]
	s_delay_alu instid0(VALU_DEP_2) | instskip(SKIP_2) | instid1(VALU_DEP_1)
	v_add_f32_e32 v13, v6, v154
	ds_load_2addr_b64 v[5:8], v21 offset0:93 offset1:94
	v_add_f32_e32 v13, v13, v156
	v_add_f32_e32 v13, v13, v158
	s_wait_loadcnt_dscnt 0x1
	v_mul_f32_e32 v22, v1, v10
	v_mul_f32_e32 v126, v3, v12
	;; [unrolled: 1-line block ×4, first 2 shown]
	s_delay_alu instid0(VALU_DEP_4) | instskip(NEXT) | instid1(VALU_DEP_4)
	v_dual_add_f32 v13, v13, v160 :: v_dual_fmac_f32 v22, v2, v9
	v_fmac_f32_e32 v126, v4, v11
	s_delay_alu instid0(VALU_DEP_4) | instskip(NEXT) | instid1(VALU_DEP_4)
	v_fma_f32 v127, v1, v9, -v10
	v_fma_f32 v128, v3, v11, -v12
	s_clause 0x1
	scratch_load_b128 v[1:4], off, off offset:344
	scratch_load_b128 v[9:12], off, off offset:360
	v_dual_add_f32 v17, v14, v159 :: v_dual_add_f32 v18, v13, v162
	scratch_load_b128 v[13:16], off, off offset:376
	v_dual_add_f32 v17, v17, v161 :: v_dual_add_f32 v18, v18, v164
	s_delay_alu instid0(VALU_DEP_1) | instskip(NEXT) | instid1(VALU_DEP_1)
	v_dual_add_f32 v17, v17, v163 :: v_dual_add_f32 v18, v18, v166
	v_dual_add_f32 v17, v17, v165 :: v_dual_add_f32 v122, v18, v168
	s_delay_alu instid0(VALU_DEP_1) | instskip(NEXT) | instid1(VALU_DEP_2)
	v_add_f32_e32 v123, v17, v167
	v_add_f32_e32 v129, v122, v170
	ds_load_2addr_b64 v[17:20], v21 offset0:95 offset1:96
	v_add_f32_e32 v130, v123, v169
	ds_load_2addr_b64 v[122:125], v21 offset0:97 offset1:98
	v_add_f32_e32 v21, v129, v172
	v_add_f32_e32 v129, v130, v171
	s_delay_alu instid0(VALU_DEP_2) | instskip(NEXT) | instid1(VALU_DEP_2)
	v_add_f32_e32 v21, v21, v174
	v_add_f32_e32 v129, v129, v173
	s_delay_alu instid0(VALU_DEP_2) | instskip(NEXT) | instid1(VALU_DEP_2)
	;; [unrolled: 3-line block ×3, first 2 shown]
	v_add_f32_e32 v21, v21, v178
	v_add_f32_e32 v129, v129, v177
	s_delay_alu instid0(VALU_DEP_2) | instskip(SKIP_1) | instid1(VALU_DEP_2)
	v_add_f32_e32 v21, v21, v127
	s_wait_loadcnt_dscnt 0x202
	v_dual_add_f32 v22, v129, v22 :: v_dual_mul_f32 v131, v7, v4
	v_mul_f32_e32 v130, v5, v2
	v_mul_f32_e32 v2, v6, v2
	;; [unrolled: 1-line block ×3, first 2 shown]
	s_wait_loadcnt_dscnt 0x101
	v_dual_mul_f32 v132, v17, v10 :: v_dual_fmac_f32 v131, v8, v3
	v_fmac_f32_e32 v130, v6, v1
	v_fma_f32 v2, v5, v1, -v2
	v_add_f32_e32 v1, v21, v128
	v_add_f32_e32 v5, v22, v126
	v_mul_f32_e32 v6, v18, v10
	v_fma_f32 v3, v7, v3, -v4
	v_mul_f32_e32 v133, v19, v12
	v_add_f32_e32 v1, v1, v2
	v_add_f32_e32 v2, v5, v130
	v_mul_f32_e32 v4, v20, v12
	v_fmac_f32_e32 v132, v18, v9
	v_fma_f32 v5, v17, v9, -v6
	v_add_f32_e32 v1, v1, v3
	v_add_f32_e32 v2, v2, v131
	s_wait_loadcnt_dscnt 0x0
	v_mul_f32_e32 v136, v122, v14
	v_mul_f32_e32 v3, v123, v14
	v_fmac_f32_e32 v133, v20, v11
	v_fma_f32 v4, v19, v11, -v4
	v_dual_add_f32 v1, v1, v5 :: v_dual_add_f32 v2, v2, v132
	v_mul_f32_e32 v127, v124, v16
	v_dual_mul_f32 v5, v125, v16 :: v_dual_fmac_f32 v136, v123, v13
	v_fma_f32 v3, v122, v13, -v3
	s_delay_alu instid0(VALU_DEP_4) | instskip(NEXT) | instid1(VALU_DEP_4)
	v_dual_add_f32 v1, v1, v4 :: v_dual_add_f32 v2, v2, v133
	v_fmac_f32_e32 v127, v125, v15
	s_delay_alu instid0(VALU_DEP_4) | instskip(NEXT) | instid1(VALU_DEP_3)
	v_fma_f32 v4, v124, v15, -v5
	v_dual_add_f32 v1, v1, v3 :: v_dual_add_f32 v2, v2, v136
	s_delay_alu instid0(VALU_DEP_1) | instskip(NEXT) | instid1(VALU_DEP_1)
	v_dual_add_f32 v1, v1, v4 :: v_dual_add_f32 v2, v2, v127
	v_dual_sub_f32 v1, v134, v1 :: v_dual_sub_f32 v2, v135, v2
	scratch_store_b64 off, v[1:2], off offset:64
	v_cmpx_lt_u32_e32 7, v0
	s_cbranch_execz .LBB112_293
; %bb.292:
	scratch_load_b64 v[1:2], off, off offset:56
	v_mov_b32_e32 v3, 0
	s_delay_alu instid0(VALU_DEP_1)
	v_mov_b32_e32 v4, v3
	scratch_store_b64 off, v[3:4], off offset:56
	s_wait_loadcnt 0x0
	ds_store_b64 v23, v[1:2]
.LBB112_293:
	s_wait_alu 0xfffe
	s_or_b32 exec_lo, exec_lo, s0
	s_wait_storecnt_dscnt 0x0
	s_barrier_signal -1
	s_barrier_wait -1
	global_inv scope:SCOPE_SE
	s_clause 0x4
	scratch_load_b128 v[5:8], off, off offset:64
	scratch_load_b128 v[1:4], off, off offset:80
	;; [unrolled: 1-line block ×5, first 2 shown]
	v_mov_b32_e32 v21, 0
	ds_load_b128 v[122:125], v21 offset:464
	ds_load_b128 v[126:129], v21 offset:480
	;; [unrolled: 1-line block ×3, first 2 shown]
	scratch_load_b64 v[134:135], off, off offset:56
	s_mov_b32 s0, exec_lo
	s_wait_loadcnt_dscnt 0x502
	v_mul_f32_e32 v22, v123, v6
	v_dual_mul_f32 v136, v122, v6 :: v_dual_mul_f32 v137, v124, v8
	v_mul_f32_e32 v6, v125, v8
	s_delay_alu instid0(VALU_DEP_3) | instskip(NEXT) | instid1(VALU_DEP_3)
	v_fma_f32 v22, v122, v5, -v22
	v_dual_fmac_f32 v136, v123, v5 :: v_dual_fmac_f32 v137, v125, v7
	s_wait_loadcnt_dscnt 0x401
	v_mul_f32_e32 v123, v126, v2
	v_fma_f32 v122, v124, v7, -v6
	ds_load_b128 v[5:8], v21 offset:512
	s_wait_loadcnt_dscnt 0x301
	v_dual_mul_f32 v124, v128, v4 :: v_dual_mul_f32 v125, v130, v10
	v_dual_mul_f32 v4, v129, v4 :: v_dual_fmac_f32 v123, v127, v1
	v_mul_f32_e32 v10, v131, v10
	s_delay_alu instid0(VALU_DEP_3)
	v_dual_mul_f32 v138, v132, v12 :: v_dual_fmac_f32 v125, v131, v9
	v_mul_f32_e32 v12, v133, v12
	v_mul_f32_e32 v2, v127, v2
	v_fmac_f32_e32 v124, v129, v3
	v_fma_f32 v127, v128, v3, -v4
	v_fma_f32 v128, v130, v9, -v10
	v_fmac_f32_e32 v138, v133, v11
	v_fma_f32 v129, v132, v11, -v12
	ds_load_b128 v[9:12], v21 offset:528
	s_wait_loadcnt_dscnt 0x201
	v_dual_mul_f32 v131, v7, v16 :: v_dual_mul_f32 v130, v5, v14
	v_mul_f32_e32 v14, v6, v14
	v_mul_f32_e32 v16, v8, v16
	s_delay_alu instid0(VALU_DEP_3)
	v_fmac_f32_e32 v131, v8, v15
	v_fma_f32 v126, v126, v1, -v2
	scratch_load_b128 v[1:4], off, off offset:144
	v_fmac_f32_e32 v130, v6, v13
	v_fma_f32 v13, v5, v13, -v14
	v_fma_f32 v14, v7, v15, -v16
	ds_load_b128 v[5:8], v21 offset:544
	s_wait_loadcnt_dscnt 0x201
	v_mul_f32_e32 v15, v9, v18
	v_mul_f32_e32 v16, v10, v18
	;; [unrolled: 1-line block ×3, first 2 shown]
	s_delay_alu instid0(VALU_DEP_3) | instskip(NEXT) | instid1(VALU_DEP_3)
	v_dual_mul_f32 v20, v12, v20 :: v_dual_fmac_f32 v15, v10, v17
	v_fma_f32 v16, v9, v17, -v16
	s_delay_alu instid0(VALU_DEP_3) | instskip(NEXT) | instid1(VALU_DEP_3)
	v_fmac_f32_e32 v18, v12, v19
	v_fma_f32 v17, v11, v19, -v20
	scratch_load_b128 v[9:12], off, off offset:160
	s_wait_loadcnt_dscnt 0x100
	v_mul_f32_e32 v19, v5, v2
	v_mul_f32_e32 v2, v6, v2
	;; [unrolled: 1-line block ×3, first 2 shown]
	s_delay_alu instid0(VALU_DEP_3) | instskip(NEXT) | instid1(VALU_DEP_3)
	v_dual_mul_f32 v4, v8, v4 :: v_dual_fmac_f32 v19, v6, v1
	v_fma_f32 v132, v5, v1, -v2
	s_delay_alu instid0(VALU_DEP_3) | instskip(NEXT) | instid1(VALU_DEP_3)
	v_fmac_f32_e32 v20, v8, v3
	v_fma_f32 v133, v7, v3, -v4
	ds_load_b128 v[1:4], v21 offset:560
	ds_load_b128 v[5:8], v21 offset:576
	s_wait_loadcnt_dscnt 0x1
	v_mul_f32_e32 v139, v1, v10
	v_mul_f32_e32 v10, v2, v10
	s_delay_alu instid0(VALU_DEP_2) | instskip(NEXT) | instid1(VALU_DEP_2)
	v_dual_mul_f32 v140, v3, v12 :: v_dual_fmac_f32 v139, v2, v9
	v_fma_f32 v141, v1, v9, -v10
	v_mul_f32_e32 v1, v4, v12
	s_delay_alu instid0(VALU_DEP_3) | instskip(NEXT) | instid1(VALU_DEP_2)
	v_fmac_f32_e32 v140, v4, v11
	v_fma_f32 v142, v3, v11, -v1
	s_clause 0x1
	scratch_load_b128 v[1:4], off, off offset:176
	scratch_load_b128 v[9:12], off, off offset:192
	s_wait_loadcnt_dscnt 0x100
	v_mul_f32_e32 v143, v5, v2
	v_dual_mul_f32 v2, v6, v2 :: v_dual_mul_f32 v145, v7, v4
	s_delay_alu instid0(VALU_DEP_2) | instskip(NEXT) | instid1(VALU_DEP_2)
	v_fmac_f32_e32 v143, v6, v1
	v_fma_f32 v144, v5, v1, -v2
	v_mul_f32_e32 v1, v8, v4
	s_delay_alu instid0(VALU_DEP_4) | instskip(NEXT) | instid1(VALU_DEP_2)
	v_fmac_f32_e32 v145, v8, v3
	v_fma_f32 v146, v7, v3, -v1
	ds_load_b128 v[1:4], v21 offset:592
	ds_load_b128 v[5:8], v21 offset:608
	s_wait_loadcnt_dscnt 0x1
	v_mul_f32_e32 v147, v1, v10
	v_mul_f32_e32 v149, v3, v12
	s_delay_alu instid0(VALU_DEP_2) | instskip(NEXT) | instid1(VALU_DEP_2)
	v_fmac_f32_e32 v147, v2, v9
	v_dual_mul_f32 v2, v2, v10 :: v_dual_fmac_f32 v149, v4, v11
	s_delay_alu instid0(VALU_DEP_1) | instskip(SKIP_1) | instid1(VALU_DEP_1)
	v_fma_f32 v148, v1, v9, -v2
	v_mul_f32_e32 v1, v4, v12
	v_fma_f32 v150, v3, v11, -v1
	s_clause 0x1
	scratch_load_b128 v[1:4], off, off offset:208
	scratch_load_b128 v[9:12], off, off offset:224
	s_wait_loadcnt_dscnt 0x100
	v_mul_f32_e32 v151, v5, v2
	v_dual_mul_f32 v153, v7, v4 :: v_dual_mul_f32 v2, v6, v2
	s_delay_alu instid0(VALU_DEP_2) | instskip(NEXT) | instid1(VALU_DEP_2)
	v_fmac_f32_e32 v151, v6, v1
	v_fmac_f32_e32 v153, v8, v3
	s_delay_alu instid0(VALU_DEP_3) | instskip(SKIP_1) | instid1(VALU_DEP_1)
	v_fma_f32 v152, v5, v1, -v2
	v_mul_f32_e32 v1, v8, v4
	v_fma_f32 v154, v7, v3, -v1
	ds_load_b128 v[1:4], v21 offset:624
	ds_load_b128 v[5:8], v21 offset:640
	s_wait_loadcnt_dscnt 0x1
	v_mul_f32_e32 v155, v1, v10
	v_mul_f32_e32 v157, v3, v12
	s_delay_alu instid0(VALU_DEP_2) | instskip(NEXT) | instid1(VALU_DEP_2)
	v_fmac_f32_e32 v155, v2, v9
	v_dual_mul_f32 v2, v2, v10 :: v_dual_fmac_f32 v157, v4, v11
	s_delay_alu instid0(VALU_DEP_1) | instskip(SKIP_1) | instid1(VALU_DEP_1)
	v_fma_f32 v156, v1, v9, -v2
	v_mul_f32_e32 v1, v4, v12
	v_fma_f32 v158, v3, v11, -v1
	s_clause 0x1
	scratch_load_b128 v[1:4], off, off offset:240
	scratch_load_b128 v[9:12], off, off offset:256
	s_wait_loadcnt_dscnt 0x100
	v_mul_f32_e32 v159, v5, v2
	v_dual_mul_f32 v2, v6, v2 :: v_dual_mul_f32 v161, v7, v4
	s_delay_alu instid0(VALU_DEP_2) | instskip(NEXT) | instid1(VALU_DEP_2)
	v_fmac_f32_e32 v159, v6, v1
	v_fma_f32 v160, v5, v1, -v2
	v_mul_f32_e32 v1, v8, v4
	s_delay_alu instid0(VALU_DEP_4) | instskip(NEXT) | instid1(VALU_DEP_2)
	v_fmac_f32_e32 v161, v8, v3
	v_fma_f32 v162, v7, v3, -v1
	ds_load_b128 v[1:4], v21 offset:656
	ds_load_b128 v[5:8], v21 offset:672
	s_wait_loadcnt_dscnt 0x1
	v_mul_f32_e32 v163, v1, v10
	v_mul_f32_e32 v165, v3, v12
	s_delay_alu instid0(VALU_DEP_2) | instskip(NEXT) | instid1(VALU_DEP_2)
	v_fmac_f32_e32 v163, v2, v9
	v_dual_mul_f32 v2, v2, v10 :: v_dual_fmac_f32 v165, v4, v11
	s_delay_alu instid0(VALU_DEP_1) | instskip(SKIP_1) | instid1(VALU_DEP_1)
	v_fma_f32 v164, v1, v9, -v2
	v_mul_f32_e32 v1, v4, v12
	v_fma_f32 v166, v3, v11, -v1
	s_clause 0x1
	scratch_load_b128 v[1:4], off, off offset:272
	scratch_load_b128 v[9:12], off, off offset:288
	s_wait_loadcnt_dscnt 0x100
	v_mul_f32_e32 v167, v5, v2
	v_dual_mul_f32 v2, v6, v2 :: v_dual_mul_f32 v169, v7, v4
	s_delay_alu instid0(VALU_DEP_2) | instskip(NEXT) | instid1(VALU_DEP_2)
	v_fmac_f32_e32 v167, v6, v1
	v_fma_f32 v168, v5, v1, -v2
	v_mul_f32_e32 v1, v8, v4
	s_delay_alu instid0(VALU_DEP_4) | instskip(NEXT) | instid1(VALU_DEP_2)
	v_fmac_f32_e32 v169, v8, v3
	v_fma_f32 v170, v7, v3, -v1
	ds_load_b128 v[1:4], v21 offset:688
	ds_load_b128 v[5:8], v21 offset:704
	s_wait_loadcnt_dscnt 0x1
	v_mul_f32_e32 v171, v1, v10
	v_mul_f32_e32 v173, v3, v12
	s_delay_alu instid0(VALU_DEP_2) | instskip(NEXT) | instid1(VALU_DEP_2)
	v_fmac_f32_e32 v171, v2, v9
	v_dual_mul_f32 v2, v2, v10 :: v_dual_fmac_f32 v173, v4, v11
	s_delay_alu instid0(VALU_DEP_1) | instskip(SKIP_1) | instid1(VALU_DEP_1)
	v_fma_f32 v172, v1, v9, -v2
	v_mul_f32_e32 v1, v4, v12
	v_fma_f32 v174, v3, v11, -v1
	s_clause 0x1
	scratch_load_b128 v[1:4], off, off offset:304
	scratch_load_b128 v[9:12], off, off offset:320
	s_wait_loadcnt_dscnt 0x100
	v_mul_f32_e32 v175, v5, v2
	v_mul_f32_e32 v2, v6, v2
	s_delay_alu instid0(VALU_DEP_1) | instskip(SKIP_1) | instid1(VALU_DEP_1)
	v_fma_f32 v176, v5, v1, -v2
	v_add_f32_e32 v2, 0, v136
	v_add_f32_e32 v2, v2, v137
	s_delay_alu instid0(VALU_DEP_1) | instskip(NEXT) | instid1(VALU_DEP_1)
	v_add_f32_e32 v2, v2, v123
	v_add_f32_e32 v2, v2, v124
	s_delay_alu instid0(VALU_DEP_1) | instskip(NEXT) | instid1(VALU_DEP_1)
	;; [unrolled: 3-line block ×7, first 2 shown]
	v_add_f32_e32 v2, v2, v143
	v_add_f32_e32 v2, v2, v145
	v_fmac_f32_e32 v175, v6, v1
	v_mul_f32_e32 v1, v8, v4
	s_delay_alu instid0(VALU_DEP_3) | instskip(NEXT) | instid1(VALU_DEP_2)
	v_add_f32_e32 v5, v2, v147
	v_fma_f32 v178, v7, v3, -v1
	v_add_f32_e32 v1, 0, v22
	s_delay_alu instid0(VALU_DEP_3) | instskip(NEXT) | instid1(VALU_DEP_2)
	v_add_f32_e32 v5, v5, v149
	v_add_f32_e32 v1, v1, v122
	s_delay_alu instid0(VALU_DEP_2) | instskip(SKIP_1) | instid1(VALU_DEP_3)
	v_add_f32_e32 v5, v5, v151
	v_mul_f32_e32 v177, v7, v4
	v_add_f32_e32 v1, v1, v126
	s_delay_alu instid0(VALU_DEP_1) | instskip(SKIP_2) | instid1(VALU_DEP_1)
	v_add_f32_e32 v1, v1, v127
	scratch_load_b64 v[126:127], off, off offset:384
	v_add_f32_e32 v1, v1, v128
	v_add_f32_e32 v1, v1, v129
	s_delay_alu instid0(VALU_DEP_1) | instskip(NEXT) | instid1(VALU_DEP_1)
	v_add_f32_e32 v1, v1, v13
	v_add_f32_e32 v1, v1, v14
	;; [unrolled: 1-line block ×3, first 2 shown]
	s_delay_alu instid0(VALU_DEP_2) | instskip(NEXT) | instid1(VALU_DEP_1)
	v_add_f32_e32 v1, v1, v16
	v_add_f32_e32 v1, v1, v17
	s_delay_alu instid0(VALU_DEP_1) | instskip(NEXT) | instid1(VALU_DEP_1)
	v_add_f32_e32 v1, v1, v132
	v_add_f32_e32 v1, v1, v133
	s_delay_alu instid0(VALU_DEP_1) | instskip(NEXT) | instid1(VALU_DEP_1)
	v_add_f32_e32 v1, v1, v141
	v_add_f32_e32 v1, v1, v142
	s_delay_alu instid0(VALU_DEP_1) | instskip(NEXT) | instid1(VALU_DEP_1)
	v_add_f32_e32 v1, v1, v144
	v_add_f32_e32 v1, v1, v146
	s_delay_alu instid0(VALU_DEP_1) | instskip(NEXT) | instid1(VALU_DEP_1)
	v_add_f32_e32 v1, v1, v148
	v_dual_add_f32 v6, v1, v150 :: v_dual_fmac_f32 v177, v8, v3
	ds_load_b128 v[1:4], v21 offset:720
	v_add_f32_e32 v14, v14, v155
	v_add_f32_e32 v6, v6, v152
	s_delay_alu instid0(VALU_DEP_2) | instskip(NEXT) | instid1(VALU_DEP_2)
	v_add_f32_e32 v14, v14, v157
	v_add_f32_e32 v13, v6, v154
	ds_load_b128 v[5:8], v21 offset:736
	s_wait_loadcnt_dscnt 0x101
	v_mul_f32_e32 v22, v1, v10
	v_mul_f32_e32 v10, v2, v10
	;; [unrolled: 1-line block ×3, first 2 shown]
	v_dual_mul_f32 v12, v4, v12 :: v_dual_add_f32 v17, v14, v159
	s_delay_alu instid0(VALU_DEP_4) | instskip(NEXT) | instid1(VALU_DEP_4)
	v_fmac_f32_e32 v22, v2, v9
	v_fma_f32 v131, v1, v9, -v10
	s_delay_alu instid0(VALU_DEP_4) | instskip(NEXT) | instid1(VALU_DEP_4)
	v_fmac_f32_e32 v130, v4, v11
	v_fma_f32 v132, v3, v11, -v12
	s_clause 0x1
	scratch_load_b128 v[1:4], off, off offset:336
	scratch_load_b128 v[9:12], off, off offset:352
	v_add_f32_e32 v17, v17, v161
	s_delay_alu instid0(VALU_DEP_1) | instskip(NEXT) | instid1(VALU_DEP_1)
	v_add_f32_e32 v17, v17, v163
	v_add_f32_e32 v17, v17, v165
	s_delay_alu instid0(VALU_DEP_1) | instskip(NEXT) | instid1(VALU_DEP_1)
	v_add_f32_e32 v17, v17, v167
	v_add_f32_e32 v122, v17, v169
	s_delay_alu instid0(VALU_DEP_1)
	v_add_f32_e32 v129, v122, v171
	ds_load_b128 v[122:125], v21 offset:768
	v_add_f32_e32 v136, v129, v173
	s_wait_loadcnt_dscnt 0x101
	v_dual_mul_f32 v137, v5, v2 :: v_dual_mul_f32 v138, v7, v4
	v_dual_add_f32 v13, v13, v156 :: v_dual_mul_f32 v2, v6, v2
	s_delay_alu instid0(VALU_DEP_2) | instskip(NEXT) | instid1(VALU_DEP_2)
	v_dual_mul_f32 v4, v8, v4 :: v_dual_fmac_f32 v137, v6, v1
	v_dual_fmac_f32 v138, v8, v3 :: v_dual_add_f32 v13, v13, v158
	s_delay_alu instid0(VALU_DEP_3) | instskip(NEXT) | instid1(VALU_DEP_3)
	v_fma_f32 v2, v5, v1, -v2
	v_fma_f32 v1, v7, v3, -v4
	s_delay_alu instid0(VALU_DEP_3) | instskip(NEXT) | instid1(VALU_DEP_1)
	v_add_f32_e32 v13, v13, v160
	v_add_f32_e32 v18, v13, v162
	scratch_load_b128 v[13:16], off, off offset:368
	v_add_f32_e32 v136, v136, v175
	v_add_f32_e32 v18, v18, v164
	s_delay_alu instid0(VALU_DEP_2) | instskip(NEXT) | instid1(VALU_DEP_2)
	v_add_f32_e32 v136, v136, v177
	v_add_f32_e32 v18, v18, v166
	s_delay_alu instid0(VALU_DEP_2) | instskip(NEXT) | instid1(VALU_DEP_2)
	;; [unrolled: 3-line block ×3, first 2 shown]
	v_add_f32_e32 v22, v22, v130
	v_add_f32_e32 v18, v18, v170
	s_delay_alu instid0(VALU_DEP_1)
	v_add_f32_e32 v128, v18, v172
	ds_load_b128 v[17:20], v21 offset:752
	v_add_f32_e32 v133, v128, v174
	ds_load_b64 v[128:129], v21 offset:784
	s_wait_loadcnt_dscnt 0x101
	v_dual_mul_f32 v3, v18, v10 :: v_dual_mul_f32 v136, v19, v12
	v_mul_f32_e32 v5, v20, v12
	s_delay_alu instid0(VALU_DEP_2) | instskip(NEXT) | instid1(VALU_DEP_3)
	v_fma_f32 v3, v17, v9, -v3
	v_fmac_f32_e32 v136, v20, v11
	s_delay_alu instid0(VALU_DEP_3) | instskip(SKIP_2) | instid1(VALU_DEP_1)
	v_fma_f32 v5, v19, v11, -v5
	s_wait_dscnt 0x0
	v_mul_f32_e32 v130, v128, v127
	v_fmac_f32_e32 v130, v129, v126
	v_add_f32_e32 v4, v22, v137
	s_wait_loadcnt 0x0
	v_mul_f32_e32 v139, v122, v14
	s_delay_alu instid0(VALU_DEP_1) | instskip(SKIP_1) | instid1(VALU_DEP_1)
	v_fmac_f32_e32 v139, v123, v13
	v_add_f32_e32 v133, v133, v176
	v_add_f32_e32 v133, v133, v178
	s_delay_alu instid0(VALU_DEP_1) | instskip(SKIP_1) | instid1(VALU_DEP_2)
	v_add_f32_e32 v131, v133, v131
	v_mul_f32_e32 v133, v17, v10
	v_add_f32_e32 v131, v131, v132
	s_delay_alu instid0(VALU_DEP_2) | instskip(NEXT) | instid1(VALU_DEP_2)
	v_dual_fmac_f32 v133, v18, v9 :: v_dual_mul_f32 v132, v124, v16
	v_add_f32_e32 v2, v131, v2
	s_delay_alu instid0(VALU_DEP_1) | instskip(SKIP_1) | instid1(VALU_DEP_2)
	v_dual_fmac_f32 v132, v125, v15 :: v_dual_add_f32 v1, v2, v1
	v_add_f32_e32 v2, v4, v138
	v_dual_mul_f32 v4, v123, v14 :: v_dual_add_f32 v1, v1, v3
	s_delay_alu instid0(VALU_DEP_2) | instskip(NEXT) | instid1(VALU_DEP_2)
	v_dual_add_f32 v2, v2, v133 :: v_dual_mul_f32 v3, v125, v16
	v_fma_f32 v4, v122, v13, -v4
	s_delay_alu instid0(VALU_DEP_2) | instskip(SKIP_1) | instid1(VALU_DEP_4)
	v_dual_add_f32 v1, v1, v5 :: v_dual_add_f32 v2, v2, v136
	v_mul_f32_e32 v5, v129, v127
	v_fma_f32 v3, v124, v15, -v3
	s_delay_alu instid0(VALU_DEP_3) | instskip(NEXT) | instid1(VALU_DEP_3)
	v_dual_add_f32 v1, v1, v4 :: v_dual_add_f32 v2, v2, v139
	v_fma_f32 v4, v128, v126, -v5
	s_delay_alu instid0(VALU_DEP_2) | instskip(NEXT) | instid1(VALU_DEP_1)
	v_dual_add_f32 v1, v1, v3 :: v_dual_add_f32 v2, v2, v132
	v_dual_add_f32 v1, v1, v4 :: v_dual_add_f32 v2, v2, v130
	s_delay_alu instid0(VALU_DEP_1)
	v_dual_sub_f32 v1, v134, v1 :: v_dual_sub_f32 v2, v135, v2
	scratch_store_b64 off, v[1:2], off offset:56
	v_cmpx_lt_u32_e32 6, v0
	s_cbranch_execz .LBB112_295
; %bb.294:
	scratch_load_b64 v[1:2], off, off offset:48
	v_mov_b32_e32 v22, v21
	scratch_store_b64 off, v[21:22], off offset:48
	s_wait_loadcnt 0x0
	ds_store_b64 v23, v[1:2]
.LBB112_295:
	s_wait_alu 0xfffe
	s_or_b32 exec_lo, exec_lo, s0
	s_wait_storecnt_dscnt 0x0
	s_barrier_signal -1
	s_barrier_wait -1
	global_inv scope:SCOPE_SE
	s_clause 0x4
	scratch_load_b128 v[5:8], off, off offset:56
	scratch_load_b128 v[1:4], off, off offset:72
	;; [unrolled: 1-line block ×5, first 2 shown]
	ds_load_2addr_b64 v[122:125], v21 offset0:57 offset1:58
	ds_load_2addr_b64 v[126:129], v21 offset0:59 offset1:60
	;; [unrolled: 1-line block ×3, first 2 shown]
	scratch_load_b64 v[134:135], off, off offset:48
	s_mov_b32 s0, exec_lo
	s_wait_loadcnt_dscnt 0x502
	v_dual_mul_f32 v22, v123, v6 :: v_dual_mul_f32 v137, v124, v8
	v_mul_f32_e32 v136, v122, v6
	v_mul_f32_e32 v6, v125, v8
	s_wait_loadcnt_dscnt 0x300
	v_mul_f32_e32 v138, v132, v12
	v_fma_f32 v22, v122, v5, -v22
	v_dual_fmac_f32 v137, v125, v7 :: v_dual_fmac_f32 v136, v123, v5
	v_mul_f32_e32 v125, v130, v10
	v_mul_f32_e32 v123, v126, v2
	v_fma_f32 v122, v124, v7, -v6
	ds_load_2addr_b64 v[5:8], v21 offset0:63 offset1:64
	v_mul_f32_e32 v124, v128, v4
	v_dual_mul_f32 v4, v129, v4 :: v_dual_fmac_f32 v125, v131, v9
	v_mul_f32_e32 v10, v131, v10
	v_mul_f32_e32 v12, v133, v12
	;; [unrolled: 1-line block ×3, first 2 shown]
	v_dual_fmac_f32 v123, v127, v1 :: v_dual_fmac_f32 v124, v129, v3
	v_fma_f32 v127, v128, v3, -v4
	v_fma_f32 v128, v130, v9, -v10
	v_fmac_f32_e32 v138, v133, v11
	v_fma_f32 v129, v132, v11, -v12
	ds_load_2addr_b64 v[9:12], v21 offset0:65 offset1:66
	s_wait_loadcnt_dscnt 0x201
	v_dual_mul_f32 v131, v7, v16 :: v_dual_mul_f32 v130, v5, v14
	s_delay_alu instid0(VALU_DEP_1)
	v_dual_mul_f32 v14, v6, v14 :: v_dual_fmac_f32 v131, v8, v15
	v_fma_f32 v126, v126, v1, -v2
	scratch_load_b128 v[1:4], off, off offset:136
	v_mul_f32_e32 v16, v8, v16
	v_fmac_f32_e32 v130, v6, v13
	v_fma_f32 v13, v5, v13, -v14
	s_delay_alu instid0(VALU_DEP_3)
	v_fma_f32 v14, v7, v15, -v16
	s_wait_loadcnt_dscnt 0x200
	v_mul_f32_e32 v15, v9, v18
	v_mul_f32_e32 v16, v10, v18
	;; [unrolled: 1-line block ×4, first 2 shown]
	ds_load_2addr_b64 v[5:8], v21 offset0:67 offset1:68
	v_fmac_f32_e32 v15, v10, v17
	v_fma_f32 v16, v9, v17, -v16
	v_fmac_f32_e32 v18, v12, v19
	v_fma_f32 v17, v11, v19, -v20
	scratch_load_b128 v[9:12], off, off offset:152
	s_wait_loadcnt_dscnt 0x100
	v_mul_f32_e32 v19, v5, v2
	v_mul_f32_e32 v2, v6, v2
	;; [unrolled: 1-line block ×3, first 2 shown]
	s_delay_alu instid0(VALU_DEP_3) | instskip(NEXT) | instid1(VALU_DEP_3)
	v_dual_mul_f32 v4, v8, v4 :: v_dual_fmac_f32 v19, v6, v1
	v_fma_f32 v132, v5, v1, -v2
	s_delay_alu instid0(VALU_DEP_3) | instskip(NEXT) | instid1(VALU_DEP_3)
	v_fmac_f32_e32 v20, v8, v3
	v_fma_f32 v133, v7, v3, -v4
	ds_load_2addr_b64 v[1:4], v21 offset0:69 offset1:70
	ds_load_2addr_b64 v[5:8], v21 offset0:71 offset1:72
	s_wait_loadcnt_dscnt 0x1
	v_mul_f32_e32 v139, v1, v10
	v_mul_f32_e32 v10, v2, v10
	s_delay_alu instid0(VALU_DEP_2) | instskip(NEXT) | instid1(VALU_DEP_2)
	v_dual_mul_f32 v140, v3, v12 :: v_dual_fmac_f32 v139, v2, v9
	v_fma_f32 v141, v1, v9, -v10
	v_mul_f32_e32 v1, v4, v12
	s_delay_alu instid0(VALU_DEP_3) | instskip(NEXT) | instid1(VALU_DEP_2)
	v_fmac_f32_e32 v140, v4, v11
	v_fma_f32 v142, v3, v11, -v1
	s_clause 0x1
	scratch_load_b128 v[1:4], off, off offset:168
	scratch_load_b128 v[9:12], off, off offset:184
	s_wait_loadcnt_dscnt 0x100
	v_mul_f32_e32 v143, v5, v2
	v_dual_mul_f32 v2, v6, v2 :: v_dual_mul_f32 v145, v7, v4
	s_delay_alu instid0(VALU_DEP_2) | instskip(NEXT) | instid1(VALU_DEP_2)
	v_fmac_f32_e32 v143, v6, v1
	v_fma_f32 v144, v5, v1, -v2
	v_mul_f32_e32 v1, v8, v4
	s_delay_alu instid0(VALU_DEP_4) | instskip(NEXT) | instid1(VALU_DEP_2)
	v_fmac_f32_e32 v145, v8, v3
	v_fma_f32 v146, v7, v3, -v1
	ds_load_2addr_b64 v[1:4], v21 offset0:73 offset1:74
	ds_load_2addr_b64 v[5:8], v21 offset0:75 offset1:76
	s_wait_loadcnt_dscnt 0x1
	v_mul_f32_e32 v147, v1, v10
	v_mul_f32_e32 v149, v3, v12
	s_delay_alu instid0(VALU_DEP_2) | instskip(NEXT) | instid1(VALU_DEP_2)
	v_fmac_f32_e32 v147, v2, v9
	v_dual_mul_f32 v2, v2, v10 :: v_dual_fmac_f32 v149, v4, v11
	s_delay_alu instid0(VALU_DEP_1) | instskip(SKIP_1) | instid1(VALU_DEP_1)
	v_fma_f32 v148, v1, v9, -v2
	v_mul_f32_e32 v1, v4, v12
	v_fma_f32 v150, v3, v11, -v1
	s_clause 0x1
	scratch_load_b128 v[1:4], off, off offset:200
	scratch_load_b128 v[9:12], off, off offset:216
	s_wait_loadcnt_dscnt 0x100
	v_mul_f32_e32 v151, v5, v2
	v_dual_mul_f32 v2, v6, v2 :: v_dual_mul_f32 v153, v7, v4
	s_delay_alu instid0(VALU_DEP_2) | instskip(NEXT) | instid1(VALU_DEP_2)
	v_fmac_f32_e32 v151, v6, v1
	v_fma_f32 v152, v5, v1, -v2
	v_mul_f32_e32 v1, v8, v4
	s_delay_alu instid0(VALU_DEP_4) | instskip(NEXT) | instid1(VALU_DEP_2)
	v_fmac_f32_e32 v153, v8, v3
	v_fma_f32 v154, v7, v3, -v1
	ds_load_2addr_b64 v[1:4], v21 offset0:77 offset1:78
	ds_load_2addr_b64 v[5:8], v21 offset0:79 offset1:80
	s_wait_loadcnt_dscnt 0x1
	v_mul_f32_e32 v155, v1, v10
	v_mul_f32_e32 v157, v3, v12
	s_delay_alu instid0(VALU_DEP_2) | instskip(NEXT) | instid1(VALU_DEP_2)
	v_fmac_f32_e32 v155, v2, v9
	v_dual_mul_f32 v2, v2, v10 :: v_dual_fmac_f32 v157, v4, v11
	s_delay_alu instid0(VALU_DEP_1) | instskip(SKIP_1) | instid1(VALU_DEP_1)
	v_fma_f32 v156, v1, v9, -v2
	v_mul_f32_e32 v1, v4, v12
	v_fma_f32 v158, v3, v11, -v1
	s_clause 0x1
	scratch_load_b128 v[1:4], off, off offset:232
	scratch_load_b128 v[9:12], off, off offset:248
	s_wait_loadcnt_dscnt 0x100
	v_mul_f32_e32 v159, v5, v2
	v_dual_mul_f32 v2, v6, v2 :: v_dual_mul_f32 v161, v7, v4
	s_delay_alu instid0(VALU_DEP_2) | instskip(NEXT) | instid1(VALU_DEP_2)
	v_fmac_f32_e32 v159, v6, v1
	v_fma_f32 v160, v5, v1, -v2
	v_mul_f32_e32 v1, v8, v4
	s_delay_alu instid0(VALU_DEP_4) | instskip(NEXT) | instid1(VALU_DEP_2)
	v_fmac_f32_e32 v161, v8, v3
	v_fma_f32 v162, v7, v3, -v1
	ds_load_2addr_b64 v[1:4], v21 offset0:81 offset1:82
	ds_load_2addr_b64 v[5:8], v21 offset0:83 offset1:84
	s_wait_loadcnt_dscnt 0x1
	v_mul_f32_e32 v163, v1, v10
	v_mul_f32_e32 v165, v3, v12
	s_delay_alu instid0(VALU_DEP_2) | instskip(NEXT) | instid1(VALU_DEP_2)
	v_fmac_f32_e32 v163, v2, v9
	v_dual_mul_f32 v2, v2, v10 :: v_dual_fmac_f32 v165, v4, v11
	s_delay_alu instid0(VALU_DEP_1) | instskip(SKIP_1) | instid1(VALU_DEP_1)
	v_fma_f32 v164, v1, v9, -v2
	v_mul_f32_e32 v1, v4, v12
	v_fma_f32 v166, v3, v11, -v1
	s_clause 0x1
	scratch_load_b128 v[1:4], off, off offset:264
	scratch_load_b128 v[9:12], off, off offset:280
	s_wait_loadcnt_dscnt 0x100
	v_mul_f32_e32 v167, v5, v2
	v_dual_mul_f32 v2, v6, v2 :: v_dual_mul_f32 v169, v7, v4
	s_delay_alu instid0(VALU_DEP_2) | instskip(NEXT) | instid1(VALU_DEP_2)
	v_fmac_f32_e32 v167, v6, v1
	v_fma_f32 v168, v5, v1, -v2
	v_mul_f32_e32 v1, v8, v4
	s_delay_alu instid0(VALU_DEP_4) | instskip(NEXT) | instid1(VALU_DEP_2)
	v_fmac_f32_e32 v169, v8, v3
	v_fma_f32 v170, v7, v3, -v1
	ds_load_2addr_b64 v[1:4], v21 offset0:85 offset1:86
	ds_load_2addr_b64 v[5:8], v21 offset0:87 offset1:88
	s_wait_loadcnt_dscnt 0x1
	v_mul_f32_e32 v171, v1, v10
	v_mul_f32_e32 v173, v3, v12
	s_delay_alu instid0(VALU_DEP_2) | instskip(NEXT) | instid1(VALU_DEP_2)
	v_fmac_f32_e32 v171, v2, v9
	v_dual_mul_f32 v2, v2, v10 :: v_dual_fmac_f32 v173, v4, v11
	s_delay_alu instid0(VALU_DEP_1) | instskip(SKIP_1) | instid1(VALU_DEP_1)
	v_fma_f32 v172, v1, v9, -v2
	v_mul_f32_e32 v1, v4, v12
	v_fma_f32 v174, v3, v11, -v1
	s_clause 0x1
	scratch_load_b128 v[1:4], off, off offset:296
	scratch_load_b128 v[9:12], off, off offset:312
	s_wait_loadcnt_dscnt 0x100
	v_mul_f32_e32 v175, v5, v2
	v_mul_f32_e32 v2, v6, v2
	s_delay_alu instid0(VALU_DEP_1) | instskip(SKIP_1) | instid1(VALU_DEP_1)
	v_fma_f32 v176, v5, v1, -v2
	v_add_f32_e32 v2, 0, v136
	v_add_f32_e32 v2, v2, v137
	s_delay_alu instid0(VALU_DEP_1) | instskip(NEXT) | instid1(VALU_DEP_1)
	v_add_f32_e32 v2, v2, v123
	v_add_f32_e32 v2, v2, v124
	s_delay_alu instid0(VALU_DEP_1) | instskip(NEXT) | instid1(VALU_DEP_1)
	;; [unrolled: 3-line block ×6, first 2 shown]
	v_add_f32_e32 v2, v2, v139
	v_add_f32_e32 v2, v2, v140
	v_fmac_f32_e32 v175, v6, v1
	s_delay_alu instid0(VALU_DEP_2) | instskip(NEXT) | instid1(VALU_DEP_1)
	v_dual_add_f32 v2, v2, v143 :: v_dual_mul_f32 v177, v7, v4
	v_dual_add_f32 v2, v2, v145 :: v_dual_mul_f32 v1, v8, v4
	s_delay_alu instid0(VALU_DEP_1) | instskip(NEXT) | instid1(VALU_DEP_2)
	v_add_f32_e32 v2, v2, v147
	v_fma_f32 v178, v7, v3, -v1
	v_add_f32_e32 v1, 0, v22
	s_delay_alu instid0(VALU_DEP_3) | instskip(NEXT) | instid1(VALU_DEP_2)
	v_add_f32_e32 v5, v2, v149
	v_add_f32_e32 v1, v1, v122
	s_delay_alu instid0(VALU_DEP_1) | instskip(NEXT) | instid1(VALU_DEP_1)
	v_add_f32_e32 v1, v1, v126
	v_add_f32_e32 v1, v1, v127
	s_delay_alu instid0(VALU_DEP_1) | instskip(NEXT) | instid1(VALU_DEP_1)
	v_add_f32_e32 v1, v1, v128
	v_add_f32_e32 v1, v1, v129
	s_delay_alu instid0(VALU_DEP_1) | instskip(SKIP_1) | instid1(VALU_DEP_2)
	v_add_f32_e32 v1, v1, v13
	v_add_f32_e32 v13, v5, v151
	;; [unrolled: 1-line block ×3, first 2 shown]
	s_delay_alu instid0(VALU_DEP_2) | instskip(NEXT) | instid1(VALU_DEP_2)
	v_add_f32_e32 v13, v13, v153
	v_add_f32_e32 v1, v1, v16
	s_delay_alu instid0(VALU_DEP_1) | instskip(NEXT) | instid1(VALU_DEP_1)
	v_add_f32_e32 v1, v1, v17
	v_add_f32_e32 v1, v1, v132
	s_delay_alu instid0(VALU_DEP_1) | instskip(NEXT) | instid1(VALU_DEP_1)
	;; [unrolled: 3-line block ×5, first 2 shown]
	v_add_f32_e32 v1, v1, v150
	v_dual_add_f32 v6, v1, v152 :: v_dual_fmac_f32 v177, v8, v3
	ds_load_2addr_b64 v[1:4], v21 offset0:89 offset1:90
	v_dual_add_f32 v13, v13, v155 :: v_dual_add_f32 v14, v6, v154
	scratch_load_b128 v[5:8], off, off offset:328
	v_add_f32_e32 v18, v13, v157
	v_add_f32_e32 v14, v14, v156
	s_delay_alu instid0(VALU_DEP_1)
	v_add_f32_e32 v17, v14, v158
	ds_load_2addr_b64 v[13:16], v21 offset0:91 offset1:92
	v_add_f32_e32 v17, v17, v160
	s_wait_loadcnt_dscnt 0x101
	v_mul_f32_e32 v22, v1, v10
	v_mul_f32_e32 v10, v2, v10
	;; [unrolled: 1-line block ×4, first 2 shown]
	v_add_f32_e32 v18, v18, v159
	v_fmac_f32_e32 v22, v2, v9
	v_fma_f32 v127, v1, v9, -v10
	v_fmac_f32_e32 v126, v4, v11
	v_fma_f32 v128, v3, v11, -v12
	scratch_load_b128 v[9:12], off, off offset:360
	v_dual_add_f32 v17, v17, v162 :: v_dual_add_f32 v18, v18, v161
	scratch_load_b128 v[1:4], off, off offset:344
	v_dual_add_f32 v17, v17, v164 :: v_dual_add_f32 v122, v18, v163
	s_delay_alu instid0(VALU_DEP_1) | instskip(SKIP_3) | instid1(VALU_DEP_1)
	v_add_f32_e32 v123, v17, v166
	scratch_load_b128 v[17:20], off, off offset:376
	v_add_f32_e32 v122, v122, v165
	s_wait_loadcnt_dscnt 0x300
	v_dual_add_f32 v122, v122, v167 :: v_dual_mul_f32 v129, v13, v6
	v_mul_f32_e32 v6, v14, v6
	v_mul_f32_e32 v130, v15, v8
	s_delay_alu instid0(VALU_DEP_3) | instskip(NEXT) | instid1(VALU_DEP_3)
	v_dual_mul_f32 v8, v16, v8 :: v_dual_fmac_f32 v129, v14, v5
	v_fma_f32 v131, v13, v5, -v6
	s_delay_alu instid0(VALU_DEP_3) | instskip(NEXT) | instid1(VALU_DEP_3)
	v_fmac_f32_e32 v130, v16, v7
	v_fma_f32 v132, v15, v7, -v8
	ds_load_2addr_b64 v[5:8], v21 offset0:93 offset1:94
	v_add_f32_e32 v123, v123, v168
	v_add_f32_e32 v13, v122, v169
	s_delay_alu instid0(VALU_DEP_2) | instskip(NEXT) | instid1(VALU_DEP_1)
	v_add_f32_e32 v123, v123, v170
	v_dual_add_f32 v122, v123, v172 :: v_dual_add_f32 v123, v13, v171
	ds_load_2addr_b64 v[13:16], v21 offset0:95 offset1:96
	v_dual_add_f32 v133, v122, v174 :: v_dual_add_f32 v136, v123, v173
	ds_load_2addr_b64 v[122:125], v21 offset0:97 offset1:98
	v_add_f32_e32 v21, v133, v176
	s_delay_alu instid0(VALU_DEP_1) | instskip(NEXT) | instid1(VALU_DEP_1)
	v_add_f32_e32 v21, v21, v178
	v_add_f32_e32 v21, v21, v127
	s_wait_loadcnt_dscnt 0x102
	v_mul_f32_e32 v127, v7, v4
	v_mul_f32_e32 v4, v8, v4
	s_wait_dscnt 0x1
	v_mul_f32_e32 v137, v15, v12
	v_add_f32_e32 v21, v21, v128
	v_fmac_f32_e32 v127, v8, v3
	s_wait_loadcnt_dscnt 0x0
	v_mul_f32_e32 v128, v124, v20
	v_fma_f32 v3, v7, v3, -v4
	v_dual_mul_f32 v4, v16, v12 :: v_dual_add_f32 v21, v21, v131
	v_fmac_f32_e32 v137, v16, v11
	s_delay_alu instid0(VALU_DEP_4) | instskip(SKIP_3) | instid1(VALU_DEP_3)
	v_fmac_f32_e32 v128, v125, v19
	v_dual_add_f32 v133, v136, v175 :: v_dual_mul_f32 v136, v5, v2
	v_mul_f32_e32 v2, v6, v2
	v_fma_f32 v4, v15, v11, -v4
	v_add_f32_e32 v133, v133, v177
	s_delay_alu instid0(VALU_DEP_4) | instskip(NEXT) | instid1(VALU_DEP_4)
	v_fmac_f32_e32 v136, v6, v1
	v_fma_f32 v2, v5, v1, -v2
	v_dual_add_f32 v1, v21, v132 :: v_dual_mul_f32 v6, v14, v10
	s_delay_alu instid0(VALU_DEP_4) | instskip(SKIP_1) | instid1(VALU_DEP_3)
	v_add_f32_e32 v22, v133, v22
	v_mul_f32_e32 v133, v13, v10
	v_add_f32_e32 v1, v1, v2
	s_delay_alu instid0(VALU_DEP_3) | instskip(NEXT) | instid1(VALU_DEP_3)
	v_add_f32_e32 v22, v22, v126
	v_fmac_f32_e32 v133, v14, v9
	s_delay_alu instid0(VALU_DEP_3) | instskip(NEXT) | instid1(VALU_DEP_3)
	v_dual_mul_f32 v126, v122, v18 :: v_dual_add_f32 v1, v1, v3
	v_dual_mul_f32 v3, v123, v18 :: v_dual_add_f32 v22, v22, v129
	s_delay_alu instid0(VALU_DEP_2) | instskip(NEXT) | instid1(VALU_DEP_2)
	v_fmac_f32_e32 v126, v123, v17
	v_fma_f32 v3, v122, v17, -v3
	s_delay_alu instid0(VALU_DEP_3) | instskip(NEXT) | instid1(VALU_DEP_1)
	v_add_f32_e32 v5, v22, v130
	v_add_f32_e32 v2, v5, v136
	v_fma_f32 v5, v13, v9, -v6
	s_delay_alu instid0(VALU_DEP_1) | instskip(NEXT) | instid1(VALU_DEP_1)
	v_dual_add_f32 v2, v2, v127 :: v_dual_add_f32 v1, v1, v5
	v_dual_mul_f32 v5, v125, v20 :: v_dual_add_f32 v2, v2, v133
	s_delay_alu instid0(VALU_DEP_2) | instskip(NEXT) | instid1(VALU_DEP_2)
	v_add_f32_e32 v1, v1, v4
	v_fma_f32 v4, v124, v19, -v5
	s_delay_alu instid0(VALU_DEP_2) | instskip(NEXT) | instid1(VALU_DEP_1)
	v_dual_add_f32 v2, v2, v137 :: v_dual_add_f32 v1, v1, v3
	v_dual_add_f32 v2, v2, v126 :: v_dual_add_f32 v1, v1, v4
	s_delay_alu instid0(VALU_DEP_1) | instskip(NEXT) | instid1(VALU_DEP_1)
	v_add_f32_e32 v2, v2, v128
	v_dual_sub_f32 v1, v134, v1 :: v_dual_sub_f32 v2, v135, v2
	scratch_store_b64 off, v[1:2], off offset:48
	v_cmpx_lt_u32_e32 5, v0
	s_cbranch_execz .LBB112_297
; %bb.296:
	scratch_load_b64 v[1:2], off, off offset:40
	v_mov_b32_e32 v3, 0
	s_delay_alu instid0(VALU_DEP_1)
	v_mov_b32_e32 v4, v3
	scratch_store_b64 off, v[3:4], off offset:40
	s_wait_loadcnt 0x0
	ds_store_b64 v23, v[1:2]
.LBB112_297:
	s_wait_alu 0xfffe
	s_or_b32 exec_lo, exec_lo, s0
	s_wait_storecnt_dscnt 0x0
	s_barrier_signal -1
	s_barrier_wait -1
	global_inv scope:SCOPE_SE
	s_clause 0x4
	scratch_load_b128 v[5:8], off, off offset:48
	scratch_load_b128 v[1:4], off, off offset:64
	;; [unrolled: 1-line block ×5, first 2 shown]
	v_mov_b32_e32 v21, 0
	ds_load_b128 v[122:125], v21 offset:448
	ds_load_b128 v[126:129], v21 offset:464
	;; [unrolled: 1-line block ×3, first 2 shown]
	scratch_load_b64 v[134:135], off, off offset:40
	s_mov_b32 s0, exec_lo
	s_wait_loadcnt_dscnt 0x502
	v_mul_f32_e32 v22, v123, v6
	v_dual_mul_f32 v136, v122, v6 :: v_dual_mul_f32 v137, v124, v8
	v_mul_f32_e32 v6, v125, v8
	s_delay_alu instid0(VALU_DEP_3) | instskip(NEXT) | instid1(VALU_DEP_3)
	v_fma_f32 v22, v122, v5, -v22
	v_dual_fmac_f32 v136, v123, v5 :: v_dual_fmac_f32 v137, v125, v7
	s_wait_loadcnt_dscnt 0x401
	v_mul_f32_e32 v123, v126, v2
	v_fma_f32 v122, v124, v7, -v6
	ds_load_b128 v[5:8], v21 offset:496
	s_wait_loadcnt_dscnt 0x301
	v_dual_mul_f32 v124, v128, v4 :: v_dual_mul_f32 v125, v130, v10
	v_dual_mul_f32 v4, v129, v4 :: v_dual_fmac_f32 v123, v127, v1
	v_mul_f32_e32 v10, v131, v10
	s_delay_alu instid0(VALU_DEP_3)
	v_dual_mul_f32 v138, v132, v12 :: v_dual_fmac_f32 v125, v131, v9
	v_mul_f32_e32 v12, v133, v12
	v_mul_f32_e32 v2, v127, v2
	v_fmac_f32_e32 v124, v129, v3
	v_fma_f32 v127, v128, v3, -v4
	v_fma_f32 v128, v130, v9, -v10
	v_fmac_f32_e32 v138, v133, v11
	v_fma_f32 v129, v132, v11, -v12
	ds_load_b128 v[9:12], v21 offset:512
	s_wait_loadcnt_dscnt 0x201
	v_dual_mul_f32 v131, v7, v16 :: v_dual_mul_f32 v130, v5, v14
	v_mul_f32_e32 v14, v6, v14
	v_mul_f32_e32 v16, v8, v16
	s_delay_alu instid0(VALU_DEP_3)
	v_fmac_f32_e32 v131, v8, v15
	v_fma_f32 v126, v126, v1, -v2
	scratch_load_b128 v[1:4], off, off offset:128
	v_fmac_f32_e32 v130, v6, v13
	v_fma_f32 v13, v5, v13, -v14
	v_fma_f32 v14, v7, v15, -v16
	ds_load_b128 v[5:8], v21 offset:528
	s_wait_loadcnt_dscnt 0x201
	v_mul_f32_e32 v15, v9, v18
	v_mul_f32_e32 v16, v10, v18
	;; [unrolled: 1-line block ×3, first 2 shown]
	s_delay_alu instid0(VALU_DEP_3) | instskip(NEXT) | instid1(VALU_DEP_3)
	v_dual_mul_f32 v20, v12, v20 :: v_dual_fmac_f32 v15, v10, v17
	v_fma_f32 v16, v9, v17, -v16
	s_delay_alu instid0(VALU_DEP_3) | instskip(NEXT) | instid1(VALU_DEP_3)
	v_fmac_f32_e32 v18, v12, v19
	v_fma_f32 v17, v11, v19, -v20
	scratch_load_b128 v[9:12], off, off offset:144
	s_wait_loadcnt_dscnt 0x100
	v_mul_f32_e32 v19, v5, v2
	v_mul_f32_e32 v2, v6, v2
	;; [unrolled: 1-line block ×3, first 2 shown]
	s_delay_alu instid0(VALU_DEP_3) | instskip(NEXT) | instid1(VALU_DEP_3)
	v_dual_mul_f32 v4, v8, v4 :: v_dual_fmac_f32 v19, v6, v1
	v_fma_f32 v132, v5, v1, -v2
	s_delay_alu instid0(VALU_DEP_3) | instskip(NEXT) | instid1(VALU_DEP_3)
	v_fmac_f32_e32 v20, v8, v3
	v_fma_f32 v133, v7, v3, -v4
	ds_load_b128 v[1:4], v21 offset:544
	ds_load_b128 v[5:8], v21 offset:560
	s_wait_loadcnt_dscnt 0x1
	v_mul_f32_e32 v139, v1, v10
	v_mul_f32_e32 v10, v2, v10
	s_delay_alu instid0(VALU_DEP_2) | instskip(NEXT) | instid1(VALU_DEP_2)
	v_dual_mul_f32 v140, v3, v12 :: v_dual_fmac_f32 v139, v2, v9
	v_fma_f32 v141, v1, v9, -v10
	v_mul_f32_e32 v1, v4, v12
	s_delay_alu instid0(VALU_DEP_3) | instskip(NEXT) | instid1(VALU_DEP_2)
	v_fmac_f32_e32 v140, v4, v11
	v_fma_f32 v142, v3, v11, -v1
	s_clause 0x1
	scratch_load_b128 v[1:4], off, off offset:160
	scratch_load_b128 v[9:12], off, off offset:176
	s_wait_loadcnt_dscnt 0x100
	v_mul_f32_e32 v143, v5, v2
	v_dual_mul_f32 v2, v6, v2 :: v_dual_mul_f32 v145, v7, v4
	s_delay_alu instid0(VALU_DEP_2) | instskip(NEXT) | instid1(VALU_DEP_2)
	v_fmac_f32_e32 v143, v6, v1
	v_fma_f32 v144, v5, v1, -v2
	v_mul_f32_e32 v1, v8, v4
	s_delay_alu instid0(VALU_DEP_4) | instskip(NEXT) | instid1(VALU_DEP_2)
	v_fmac_f32_e32 v145, v8, v3
	v_fma_f32 v146, v7, v3, -v1
	ds_load_b128 v[1:4], v21 offset:576
	ds_load_b128 v[5:8], v21 offset:592
	s_wait_loadcnt_dscnt 0x1
	v_mul_f32_e32 v147, v1, v10
	v_mul_f32_e32 v149, v3, v12
	s_delay_alu instid0(VALU_DEP_2) | instskip(NEXT) | instid1(VALU_DEP_2)
	v_fmac_f32_e32 v147, v2, v9
	v_dual_mul_f32 v2, v2, v10 :: v_dual_fmac_f32 v149, v4, v11
	s_delay_alu instid0(VALU_DEP_1) | instskip(SKIP_1) | instid1(VALU_DEP_1)
	v_fma_f32 v148, v1, v9, -v2
	v_mul_f32_e32 v1, v4, v12
	v_fma_f32 v150, v3, v11, -v1
	s_clause 0x1
	scratch_load_b128 v[1:4], off, off offset:192
	scratch_load_b128 v[9:12], off, off offset:208
	s_wait_loadcnt_dscnt 0x100
	v_mul_f32_e32 v151, v5, v2
	v_dual_mul_f32 v153, v7, v4 :: v_dual_mul_f32 v2, v6, v2
	s_delay_alu instid0(VALU_DEP_2) | instskip(NEXT) | instid1(VALU_DEP_2)
	v_fmac_f32_e32 v151, v6, v1
	v_fmac_f32_e32 v153, v8, v3
	s_delay_alu instid0(VALU_DEP_3) | instskip(SKIP_1) | instid1(VALU_DEP_1)
	v_fma_f32 v152, v5, v1, -v2
	v_mul_f32_e32 v1, v8, v4
	v_fma_f32 v154, v7, v3, -v1
	ds_load_b128 v[1:4], v21 offset:608
	ds_load_b128 v[5:8], v21 offset:624
	s_wait_loadcnt_dscnt 0x1
	v_mul_f32_e32 v155, v1, v10
	v_mul_f32_e32 v157, v3, v12
	s_delay_alu instid0(VALU_DEP_2) | instskip(NEXT) | instid1(VALU_DEP_2)
	v_fmac_f32_e32 v155, v2, v9
	v_dual_mul_f32 v2, v2, v10 :: v_dual_fmac_f32 v157, v4, v11
	s_delay_alu instid0(VALU_DEP_1) | instskip(SKIP_1) | instid1(VALU_DEP_1)
	v_fma_f32 v156, v1, v9, -v2
	v_mul_f32_e32 v1, v4, v12
	v_fma_f32 v158, v3, v11, -v1
	s_clause 0x1
	scratch_load_b128 v[1:4], off, off offset:224
	scratch_load_b128 v[9:12], off, off offset:240
	s_wait_loadcnt_dscnt 0x100
	v_mul_f32_e32 v159, v5, v2
	v_dual_mul_f32 v2, v6, v2 :: v_dual_mul_f32 v161, v7, v4
	s_delay_alu instid0(VALU_DEP_2) | instskip(NEXT) | instid1(VALU_DEP_2)
	v_fmac_f32_e32 v159, v6, v1
	v_fma_f32 v160, v5, v1, -v2
	v_mul_f32_e32 v1, v8, v4
	s_delay_alu instid0(VALU_DEP_4) | instskip(NEXT) | instid1(VALU_DEP_2)
	v_fmac_f32_e32 v161, v8, v3
	v_fma_f32 v162, v7, v3, -v1
	ds_load_b128 v[1:4], v21 offset:640
	ds_load_b128 v[5:8], v21 offset:656
	s_wait_loadcnt_dscnt 0x1
	v_mul_f32_e32 v163, v1, v10
	v_mul_f32_e32 v165, v3, v12
	s_delay_alu instid0(VALU_DEP_2) | instskip(NEXT) | instid1(VALU_DEP_2)
	v_fmac_f32_e32 v163, v2, v9
	v_dual_mul_f32 v2, v2, v10 :: v_dual_fmac_f32 v165, v4, v11
	s_delay_alu instid0(VALU_DEP_1) | instskip(SKIP_1) | instid1(VALU_DEP_1)
	v_fma_f32 v164, v1, v9, -v2
	v_mul_f32_e32 v1, v4, v12
	v_fma_f32 v166, v3, v11, -v1
	s_clause 0x1
	scratch_load_b128 v[1:4], off, off offset:256
	scratch_load_b128 v[9:12], off, off offset:272
	s_wait_loadcnt_dscnt 0x100
	v_mul_f32_e32 v167, v5, v2
	v_dual_mul_f32 v2, v6, v2 :: v_dual_mul_f32 v169, v7, v4
	s_delay_alu instid0(VALU_DEP_2) | instskip(NEXT) | instid1(VALU_DEP_2)
	v_fmac_f32_e32 v167, v6, v1
	v_fma_f32 v168, v5, v1, -v2
	v_mul_f32_e32 v1, v8, v4
	s_delay_alu instid0(VALU_DEP_4) | instskip(NEXT) | instid1(VALU_DEP_2)
	v_fmac_f32_e32 v169, v8, v3
	v_fma_f32 v170, v7, v3, -v1
	ds_load_b128 v[1:4], v21 offset:672
	ds_load_b128 v[5:8], v21 offset:688
	s_wait_loadcnt_dscnt 0x1
	v_mul_f32_e32 v171, v1, v10
	v_mul_f32_e32 v173, v3, v12
	s_delay_alu instid0(VALU_DEP_2) | instskip(NEXT) | instid1(VALU_DEP_2)
	v_fmac_f32_e32 v171, v2, v9
	v_dual_mul_f32 v2, v2, v10 :: v_dual_fmac_f32 v173, v4, v11
	s_delay_alu instid0(VALU_DEP_1) | instskip(SKIP_1) | instid1(VALU_DEP_1)
	v_fma_f32 v172, v1, v9, -v2
	v_mul_f32_e32 v1, v4, v12
	v_fma_f32 v174, v3, v11, -v1
	s_clause 0x1
	scratch_load_b128 v[1:4], off, off offset:288
	scratch_load_b128 v[9:12], off, off offset:304
	s_wait_loadcnt_dscnt 0x100
	v_mul_f32_e32 v175, v5, v2
	v_mul_f32_e32 v2, v6, v2
	s_delay_alu instid0(VALU_DEP_1) | instskip(SKIP_1) | instid1(VALU_DEP_1)
	v_fma_f32 v176, v5, v1, -v2
	v_add_f32_e32 v2, 0, v136
	v_add_f32_e32 v2, v2, v137
	s_delay_alu instid0(VALU_DEP_1) | instskip(NEXT) | instid1(VALU_DEP_1)
	v_add_f32_e32 v2, v2, v123
	v_add_f32_e32 v2, v2, v124
	s_delay_alu instid0(VALU_DEP_1) | instskip(NEXT) | instid1(VALU_DEP_1)
	;; [unrolled: 3-line block ×7, first 2 shown]
	v_add_f32_e32 v2, v2, v143
	v_add_f32_e32 v2, v2, v145
	v_fmac_f32_e32 v175, v6, v1
	v_mul_f32_e32 v1, v8, v4
	s_delay_alu instid0(VALU_DEP_3) | instskip(NEXT) | instid1(VALU_DEP_2)
	v_dual_mul_f32 v177, v7, v4 :: v_dual_add_f32 v2, v2, v147
	v_fma_f32 v178, v7, v3, -v1
	v_add_f32_e32 v1, 0, v22
	s_delay_alu instid0(VALU_DEP_3) | instskip(NEXT) | instid1(VALU_DEP_2)
	v_add_f32_e32 v5, v2, v149
	v_add_f32_e32 v1, v1, v122
	s_delay_alu instid0(VALU_DEP_1) | instskip(NEXT) | instid1(VALU_DEP_1)
	v_add_f32_e32 v1, v1, v126
	v_add_f32_e32 v1, v1, v127
	scratch_load_b64 v[126:127], off, off offset:384
	v_add_f32_e32 v1, v1, v128
	s_delay_alu instid0(VALU_DEP_1) | instskip(NEXT) | instid1(VALU_DEP_1)
	v_add_f32_e32 v1, v1, v129
	v_add_f32_e32 v1, v1, v13
	;; [unrolled: 1-line block ×3, first 2 shown]
	s_delay_alu instid0(VALU_DEP_2) | instskip(NEXT) | instid1(VALU_DEP_2)
	v_add_f32_e32 v1, v1, v14
	v_add_f32_e32 v13, v13, v153
	s_delay_alu instid0(VALU_DEP_2) | instskip(NEXT) | instid1(VALU_DEP_1)
	v_add_f32_e32 v1, v1, v16
	v_add_f32_e32 v1, v1, v17
	s_delay_alu instid0(VALU_DEP_1) | instskip(NEXT) | instid1(VALU_DEP_1)
	v_add_f32_e32 v1, v1, v132
	v_add_f32_e32 v1, v1, v133
	s_delay_alu instid0(VALU_DEP_1) | instskip(NEXT) | instid1(VALU_DEP_1)
	;; [unrolled: 3-line block ×4, first 2 shown]
	v_add_f32_e32 v1, v1, v148
	v_add_f32_e32 v1, v1, v150
	s_delay_alu instid0(VALU_DEP_1)
	v_dual_add_f32 v6, v1, v152 :: v_dual_fmac_f32 v177, v8, v3
	scratch_load_b128 v[1:4], off, off offset:320
	v_dual_add_f32 v13, v13, v155 :: v_dual_add_f32 v14, v6, v154
	ds_load_b128 v[5:8], v21 offset:704
	v_add_f32_e32 v18, v13, v157
	v_add_f32_e32 v14, v14, v156
	s_delay_alu instid0(VALU_DEP_1)
	v_add_f32_e32 v17, v14, v158
	ds_load_b128 v[13:16], v21 offset:720
	s_wait_loadcnt_dscnt 0x201
	v_mul_f32_e32 v22, v5, v10
	v_add_f32_e32 v18, v18, v159
	v_mul_f32_e32 v10, v6, v10
	v_mul_f32_e32 v130, v7, v12
	;; [unrolled: 1-line block ×3, first 2 shown]
	v_fmac_f32_e32 v22, v6, v9
	v_add_f32_e32 v18, v18, v161
	v_fma_f32 v131, v5, v9, -v10
	v_fmac_f32_e32 v130, v8, v11
	v_fma_f32 v132, v7, v11, -v12
	scratch_load_b128 v[9:12], off, off offset:352
	v_add_f32_e32 v122, v18, v163
	scratch_load_b128 v[5:8], off, off offset:336
	v_add_f32_e32 v122, v122, v165
	s_delay_alu instid0(VALU_DEP_1) | instskip(SKIP_1) | instid1(VALU_DEP_1)
	v_add_f32_e32 v122, v122, v167
	s_wait_loadcnt_dscnt 0x200
	v_dual_add_f32 v122, v122, v169 :: v_dual_mul_f32 v133, v13, v2
	v_mul_f32_e32 v2, v14, v2
	v_mul_f32_e32 v136, v15, v4
	s_delay_alu instid0(VALU_DEP_3) | instskip(NEXT) | instid1(VALU_DEP_3)
	v_dual_mul_f32 v4, v16, v4 :: v_dual_fmac_f32 v133, v14, v1
	v_fma_f32 v137, v13, v1, -v2
	v_add_f32_e32 v13, v122, v171
	s_delay_alu instid0(VALU_DEP_4) | instskip(NEXT) | instid1(VALU_DEP_4)
	v_fmac_f32_e32 v136, v16, v3
	v_fma_f32 v138, v15, v3, -v4
	ds_load_b128 v[1:4], v21 offset:736
	v_add_f32_e32 v122, v13, v173
	v_add_f32_e32 v17, v17, v160
	s_delay_alu instid0(VALU_DEP_2) | instskip(NEXT) | instid1(VALU_DEP_1)
	v_add_f32_e32 v129, v122, v175
	v_add_f32_e32 v140, v129, v177
	s_delay_alu instid0(VALU_DEP_1) | instskip(NEXT) | instid1(VALU_DEP_1)
	v_add_f32_e32 v22, v140, v22
	v_add_f32_e32 v22, v22, v130
	s_delay_alu instid0(VALU_DEP_1) | instskip(NEXT) | instid1(VALU_DEP_1)
	v_dual_add_f32 v22, v22, v133 :: v_dual_add_f32 v17, v17, v162
	v_add_f32_e32 v22, v22, v136
	s_delay_alu instid0(VALU_DEP_2) | instskip(NEXT) | instid1(VALU_DEP_1)
	v_add_f32_e32 v17, v17, v164
	v_add_f32_e32 v123, v17, v166
	scratch_load_b128 v[17:20], off, off offset:368
	v_add_f32_e32 v123, v123, v168
	s_delay_alu instid0(VALU_DEP_1) | instskip(NEXT) | instid1(VALU_DEP_1)
	v_add_f32_e32 v123, v123, v170
	v_add_f32_e32 v123, v123, v172
	s_delay_alu instid0(VALU_DEP_1)
	v_add_f32_e32 v14, v123, v174
	ds_load_b128 v[122:125], v21 offset:768
	v_add_f32_e32 v128, v14, v176
	ds_load_b128 v[13:16], v21 offset:752
	s_wait_loadcnt_dscnt 0x102
	v_mul_f32_e32 v130, v3, v8
	v_mul_f32_e32 v8, v4, v8
	s_wait_dscnt 0x0
	s_delay_alu instid0(VALU_DEP_2) | instskip(NEXT) | instid1(VALU_DEP_1)
	v_dual_fmac_f32 v130, v4, v7 :: v_dual_mul_f32 v133, v15, v12
	v_fmac_f32_e32 v133, v16, v11
	v_add_f32_e32 v139, v128, v178
	ds_load_b64 v[128:129], v21 offset:784
	s_wait_dscnt 0x0
	v_mul_f32_e32 v136, v128, v127
	s_delay_alu instid0(VALU_DEP_1) | instskip(NEXT) | instid1(VALU_DEP_1)
	v_dual_add_f32 v131, v139, v131 :: v_dual_fmac_f32 v136, v129, v126
	v_add_f32_e32 v131, v131, v132
	v_mul_f32_e32 v139, v1, v6
	v_mul_f32_e32 v6, v2, v6
	s_delay_alu instid0(VALU_DEP_3) | instskip(NEXT) | instid1(VALU_DEP_3)
	v_dual_mul_f32 v132, v13, v10 :: v_dual_add_f32 v131, v131, v137
	v_fmac_f32_e32 v139, v2, v5
	s_delay_alu instid0(VALU_DEP_3) | instskip(SKIP_2) | instid1(VALU_DEP_4)
	v_fma_f32 v1, v1, v5, -v6
	v_fma_f32 v2, v3, v7, -v8
	v_mul_f32_e32 v3, v14, v10
	v_dual_add_f32 v131, v131, v138 :: v_dual_add_f32 v4, v22, v139
	v_dual_mul_f32 v5, v16, v12 :: v_dual_fmac_f32 v132, v14, v9
	s_delay_alu instid0(VALU_DEP_3) | instskip(NEXT) | instid1(VALU_DEP_3)
	v_fma_f32 v3, v13, v9, -v3
	v_add_f32_e32 v1, v131, v1
	s_delay_alu instid0(VALU_DEP_3) | instskip(NEXT) | instid1(VALU_DEP_2)
	v_fma_f32 v5, v15, v11, -v5
	v_add_f32_e32 v1, v1, v2
	s_delay_alu instid0(VALU_DEP_1) | instskip(NEXT) | instid1(VALU_DEP_1)
	v_dual_add_f32 v2, v4, v130 :: v_dual_add_f32 v1, v1, v3
	v_dual_add_f32 v2, v2, v132 :: v_dual_add_f32 v1, v1, v5
	s_delay_alu instid0(VALU_DEP_1)
	v_dual_add_f32 v2, v2, v133 :: v_dual_mul_f32 v5, v129, v127
	s_wait_loadcnt 0x0
	v_mul_f32_e32 v137, v122, v18
	v_mul_f32_e32 v4, v123, v18
	;; [unrolled: 1-line block ×4, first 2 shown]
	s_delay_alu instid0(VALU_DEP_4) | instskip(NEXT) | instid1(VALU_DEP_4)
	v_fmac_f32_e32 v137, v123, v17
	v_fma_f32 v4, v122, v17, -v4
	s_delay_alu instid0(VALU_DEP_4) | instskip(NEXT) | instid1(VALU_DEP_4)
	v_fmac_f32_e32 v138, v125, v19
	v_fma_f32 v3, v124, v19, -v3
	s_delay_alu instid0(VALU_DEP_3) | instskip(SKIP_1) | instid1(VALU_DEP_2)
	v_dual_add_f32 v2, v2, v137 :: v_dual_add_f32 v1, v1, v4
	v_fma_f32 v4, v128, v126, -v5
	v_dual_add_f32 v2, v2, v138 :: v_dual_add_f32 v1, v1, v3
	s_delay_alu instid0(VALU_DEP_1) | instskip(NEXT) | instid1(VALU_DEP_1)
	v_add_f32_e32 v2, v2, v136
	v_dual_add_f32 v1, v1, v4 :: v_dual_sub_f32 v2, v135, v2
	s_delay_alu instid0(VALU_DEP_1)
	v_sub_f32_e32 v1, v134, v1
	scratch_store_b64 off, v[1:2], off offset:40
	v_cmpx_lt_u32_e32 4, v0
	s_cbranch_execz .LBB112_299
; %bb.298:
	scratch_load_b64 v[1:2], off, off offset:32
	v_mov_b32_e32 v22, v21
	scratch_store_b64 off, v[21:22], off offset:32
	s_wait_loadcnt 0x0
	ds_store_b64 v23, v[1:2]
.LBB112_299:
	s_wait_alu 0xfffe
	s_or_b32 exec_lo, exec_lo, s0
	s_wait_storecnt_dscnt 0x0
	s_barrier_signal -1
	s_barrier_wait -1
	global_inv scope:SCOPE_SE
	s_clause 0x4
	scratch_load_b128 v[5:8], off, off offset:40
	scratch_load_b128 v[1:4], off, off offset:56
	;; [unrolled: 1-line block ×5, first 2 shown]
	ds_load_2addr_b64 v[122:125], v21 offset0:55 offset1:56
	ds_load_2addr_b64 v[126:129], v21 offset0:57 offset1:58
	ds_load_2addr_b64 v[130:133], v21 offset0:59 offset1:60
	scratch_load_b64 v[134:135], off, off offset:32
	s_mov_b32 s0, exec_lo
	s_wait_loadcnt_dscnt 0x502
	v_dual_mul_f32 v22, v123, v6 :: v_dual_mul_f32 v137, v124, v8
	v_mul_f32_e32 v136, v122, v6
	v_mul_f32_e32 v6, v125, v8
	s_wait_loadcnt_dscnt 0x300
	v_mul_f32_e32 v138, v132, v12
	v_fma_f32 v22, v122, v5, -v22
	v_dual_fmac_f32 v137, v125, v7 :: v_dual_fmac_f32 v136, v123, v5
	v_mul_f32_e32 v125, v130, v10
	v_mul_f32_e32 v123, v126, v2
	v_fma_f32 v122, v124, v7, -v6
	ds_load_2addr_b64 v[5:8], v21 offset0:61 offset1:62
	v_mul_f32_e32 v124, v128, v4
	v_dual_mul_f32 v4, v129, v4 :: v_dual_fmac_f32 v125, v131, v9
	v_mul_f32_e32 v10, v131, v10
	v_mul_f32_e32 v12, v133, v12
	;; [unrolled: 1-line block ×3, first 2 shown]
	v_dual_fmac_f32 v123, v127, v1 :: v_dual_fmac_f32 v124, v129, v3
	v_fma_f32 v127, v128, v3, -v4
	v_fma_f32 v128, v130, v9, -v10
	v_fmac_f32_e32 v138, v133, v11
	v_fma_f32 v129, v132, v11, -v12
	ds_load_2addr_b64 v[9:12], v21 offset0:63 offset1:64
	s_wait_loadcnt_dscnt 0x201
	v_dual_mul_f32 v131, v7, v16 :: v_dual_mul_f32 v130, v5, v14
	s_delay_alu instid0(VALU_DEP_1)
	v_dual_mul_f32 v14, v6, v14 :: v_dual_fmac_f32 v131, v8, v15
	v_fma_f32 v126, v126, v1, -v2
	scratch_load_b128 v[1:4], off, off offset:120
	v_mul_f32_e32 v16, v8, v16
	v_fmac_f32_e32 v130, v6, v13
	v_fma_f32 v13, v5, v13, -v14
	s_delay_alu instid0(VALU_DEP_3)
	v_fma_f32 v14, v7, v15, -v16
	s_wait_loadcnt_dscnt 0x200
	v_mul_f32_e32 v15, v9, v18
	v_mul_f32_e32 v16, v10, v18
	;; [unrolled: 1-line block ×4, first 2 shown]
	ds_load_2addr_b64 v[5:8], v21 offset0:65 offset1:66
	v_fmac_f32_e32 v15, v10, v17
	v_fma_f32 v16, v9, v17, -v16
	v_fmac_f32_e32 v18, v12, v19
	v_fma_f32 v17, v11, v19, -v20
	scratch_load_b128 v[9:12], off, off offset:136
	s_wait_loadcnt_dscnt 0x100
	v_mul_f32_e32 v19, v5, v2
	v_mul_f32_e32 v2, v6, v2
	;; [unrolled: 1-line block ×3, first 2 shown]
	s_delay_alu instid0(VALU_DEP_3) | instskip(NEXT) | instid1(VALU_DEP_3)
	v_dual_mul_f32 v4, v8, v4 :: v_dual_fmac_f32 v19, v6, v1
	v_fma_f32 v132, v5, v1, -v2
	s_delay_alu instid0(VALU_DEP_3) | instskip(NEXT) | instid1(VALU_DEP_3)
	v_fmac_f32_e32 v20, v8, v3
	v_fma_f32 v133, v7, v3, -v4
	ds_load_2addr_b64 v[1:4], v21 offset0:67 offset1:68
	ds_load_2addr_b64 v[5:8], v21 offset0:69 offset1:70
	s_wait_loadcnt_dscnt 0x1
	v_mul_f32_e32 v139, v1, v10
	v_mul_f32_e32 v10, v2, v10
	s_delay_alu instid0(VALU_DEP_2) | instskip(NEXT) | instid1(VALU_DEP_2)
	v_dual_mul_f32 v140, v3, v12 :: v_dual_fmac_f32 v139, v2, v9
	v_fma_f32 v141, v1, v9, -v10
	v_mul_f32_e32 v1, v4, v12
	s_delay_alu instid0(VALU_DEP_3) | instskip(NEXT) | instid1(VALU_DEP_2)
	v_fmac_f32_e32 v140, v4, v11
	v_fma_f32 v142, v3, v11, -v1
	s_clause 0x1
	scratch_load_b128 v[1:4], off, off offset:152
	scratch_load_b128 v[9:12], off, off offset:168
	s_wait_loadcnt_dscnt 0x100
	v_mul_f32_e32 v143, v5, v2
	v_dual_mul_f32 v2, v6, v2 :: v_dual_mul_f32 v145, v7, v4
	s_delay_alu instid0(VALU_DEP_2) | instskip(NEXT) | instid1(VALU_DEP_2)
	v_fmac_f32_e32 v143, v6, v1
	v_fma_f32 v144, v5, v1, -v2
	v_mul_f32_e32 v1, v8, v4
	s_delay_alu instid0(VALU_DEP_4) | instskip(NEXT) | instid1(VALU_DEP_2)
	v_fmac_f32_e32 v145, v8, v3
	v_fma_f32 v146, v7, v3, -v1
	ds_load_2addr_b64 v[1:4], v21 offset0:71 offset1:72
	ds_load_2addr_b64 v[5:8], v21 offset0:73 offset1:74
	s_wait_loadcnt_dscnt 0x1
	v_mul_f32_e32 v147, v1, v10
	v_mul_f32_e32 v149, v3, v12
	s_delay_alu instid0(VALU_DEP_2) | instskip(NEXT) | instid1(VALU_DEP_2)
	v_fmac_f32_e32 v147, v2, v9
	v_dual_mul_f32 v2, v2, v10 :: v_dual_fmac_f32 v149, v4, v11
	s_delay_alu instid0(VALU_DEP_1) | instskip(SKIP_1) | instid1(VALU_DEP_1)
	v_fma_f32 v148, v1, v9, -v2
	v_mul_f32_e32 v1, v4, v12
	v_fma_f32 v150, v3, v11, -v1
	s_clause 0x1
	scratch_load_b128 v[1:4], off, off offset:184
	scratch_load_b128 v[9:12], off, off offset:200
	s_wait_loadcnt_dscnt 0x100
	v_mul_f32_e32 v151, v5, v2
	v_dual_mul_f32 v2, v6, v2 :: v_dual_mul_f32 v153, v7, v4
	s_delay_alu instid0(VALU_DEP_2) | instskip(NEXT) | instid1(VALU_DEP_2)
	v_fmac_f32_e32 v151, v6, v1
	v_fma_f32 v152, v5, v1, -v2
	v_mul_f32_e32 v1, v8, v4
	s_delay_alu instid0(VALU_DEP_4) | instskip(NEXT) | instid1(VALU_DEP_2)
	v_fmac_f32_e32 v153, v8, v3
	v_fma_f32 v154, v7, v3, -v1
	ds_load_2addr_b64 v[1:4], v21 offset0:75 offset1:76
	ds_load_2addr_b64 v[5:8], v21 offset0:77 offset1:78
	s_wait_loadcnt_dscnt 0x1
	v_mul_f32_e32 v155, v1, v10
	v_mul_f32_e32 v157, v3, v12
	s_delay_alu instid0(VALU_DEP_2) | instskip(NEXT) | instid1(VALU_DEP_2)
	v_fmac_f32_e32 v155, v2, v9
	v_dual_mul_f32 v2, v2, v10 :: v_dual_fmac_f32 v157, v4, v11
	s_delay_alu instid0(VALU_DEP_1) | instskip(SKIP_1) | instid1(VALU_DEP_1)
	v_fma_f32 v156, v1, v9, -v2
	v_mul_f32_e32 v1, v4, v12
	;; [unrolled: 25-line block ×5, first 2 shown]
	v_fma_f32 v182, v3, v11, -v1
	s_clause 0x1
	scratch_load_b128 v[1:4], off, off offset:312
	scratch_load_b128 v[9:12], off, off offset:328
	s_wait_loadcnt_dscnt 0x100
	v_mul_f32_e32 v183, v5, v2
	v_mul_f32_e32 v2, v6, v2
	s_delay_alu instid0(VALU_DEP_2) | instskip(NEXT) | instid1(VALU_DEP_2)
	v_fmac_f32_e32 v183, v6, v1
	v_fma_f32 v184, v5, v1, -v2
	v_add_f32_e32 v2, 0, v136
	s_delay_alu instid0(VALU_DEP_1) | instskip(NEXT) | instid1(VALU_DEP_1)
	v_dual_mul_f32 v1, v8, v4 :: v_dual_add_f32 v2, v2, v137
	v_fma_f32 v186, v7, v3, -v1
	s_delay_alu instid0(VALU_DEP_2) | instskip(NEXT) | instid1(VALU_DEP_1)
	v_dual_add_f32 v1, 0, v22 :: v_dual_add_f32 v2, v2, v123
	v_dual_add_f32 v1, v1, v122 :: v_dual_add_f32 v2, v2, v124
	s_delay_alu instid0(VALU_DEP_1) | instskip(NEXT) | instid1(VALU_DEP_1)
	v_dual_add_f32 v1, v1, v126 :: v_dual_add_f32 v2, v2, v125
	v_dual_add_f32 v1, v1, v127 :: v_dual_add_f32 v2, v2, v138
	s_delay_alu instid0(VALU_DEP_1) | instskip(NEXT) | instid1(VALU_DEP_1)
	v_add_f32_e32 v2, v2, v130
	v_add_f32_e32 v2, v2, v131
	s_delay_alu instid0(VALU_DEP_1) | instskip(NEXT) | instid1(VALU_DEP_1)
	v_add_f32_e32 v2, v2, v15
	v_add_f32_e32 v2, v2, v18
	s_delay_alu instid0(VALU_DEP_1) | instskip(NEXT) | instid1(VALU_DEP_1)
	v_add_f32_e32 v2, v2, v19
	v_add_f32_e32 v2, v2, v20
	s_delay_alu instid0(VALU_DEP_1) | instskip(NEXT) | instid1(VALU_DEP_1)
	v_add_f32_e32 v2, v2, v139
	v_add_f32_e32 v2, v2, v140
	s_delay_alu instid0(VALU_DEP_1) | instskip(NEXT) | instid1(VALU_DEP_1)
	v_dual_add_f32 v1, v1, v128 :: v_dual_add_f32 v2, v2, v143
	v_add_f32_e32 v1, v1, v129
	s_delay_alu instid0(VALU_DEP_2) | instskip(NEXT) | instid1(VALU_DEP_1)
	v_add_f32_e32 v2, v2, v145
	v_dual_add_f32 v1, v1, v13 :: v_dual_add_f32 v2, v2, v147
	s_delay_alu instid0(VALU_DEP_1) | instskip(NEXT) | instid1(VALU_DEP_1)
	v_dual_add_f32 v1, v1, v14 :: v_dual_add_f32 v2, v2, v149
	v_dual_add_f32 v1, v1, v16 :: v_dual_add_f32 v2, v2, v151
	s_delay_alu instid0(VALU_DEP_1) | instskip(NEXT) | instid1(VALU_DEP_1)
	v_add_f32_e32 v1, v1, v17
	v_dual_add_f32 v2, v2, v153 :: v_dual_add_f32 v1, v1, v132
	s_delay_alu instid0(VALU_DEP_1) | instskip(NEXT) | instid1(VALU_DEP_1)
	v_add_f32_e32 v1, v1, v133
	v_add_f32_e32 v1, v1, v141
	s_delay_alu instid0(VALU_DEP_1) | instskip(NEXT) | instid1(VALU_DEP_1)
	v_add_f32_e32 v1, v1, v142
	v_add_f32_e32 v1, v1, v144
	;; [unrolled: 3-line block ×5, first 2 shown]
	s_delay_alu instid0(VALU_DEP_1) | instskip(NEXT) | instid1(VALU_DEP_1)
	v_dual_add_f32 v6, v1, v158 :: v_dual_add_f32 v5, v2, v155
	v_dual_add_f32 v6, v6, v160 :: v_dual_add_f32 v5, v5, v157
	s_delay_alu instid0(VALU_DEP_1) | instskip(NEXT) | instid1(VALU_DEP_2)
	v_add_f32_e32 v13, v6, v162
	v_add_f32_e32 v5, v5, v159
	v_mul_f32_e32 v185, v7, v4
	s_delay_alu instid0(VALU_DEP_3) | instskip(NEXT) | instid1(VALU_DEP_2)
	v_add_f32_e32 v13, v13, v164
	v_dual_add_f32 v14, v5, v161 :: v_dual_fmac_f32 v185, v8, v3
	ds_load_2addr_b64 v[1:4], v21 offset0:91 offset1:92
	ds_load_2addr_b64 v[5:8], v21 offset0:93 offset1:94
	v_add_f32_e32 v13, v13, v166
	s_delay_alu instid0(VALU_DEP_1) | instskip(NEXT) | instid1(VALU_DEP_1)
	v_add_f32_e32 v13, v13, v168
	v_add_f32_e32 v18, v13, v170
	s_delay_alu instid0(VALU_DEP_1)
	v_add_f32_e32 v18, v18, v172
	s_wait_loadcnt_dscnt 0x1
	v_mul_f32_e32 v22, v1, v10
	v_mul_f32_e32 v126, v3, v12
	;; [unrolled: 1-line block ×4, first 2 shown]
	v_add_f32_e32 v14, v14, v163
	v_fmac_f32_e32 v22, v2, v9
	v_fmac_f32_e32 v126, v4, v11
	v_fma_f32 v127, v1, v9, -v10
	v_fma_f32 v128, v3, v11, -v12
	s_clause 0x1
	scratch_load_b128 v[1:4], off, off offset:344
	scratch_load_b128 v[9:12], off, off offset:360
	v_add_f32_e32 v14, v14, v165
	v_add_f32_e32 v18, v18, v174
	s_delay_alu instid0(VALU_DEP_2) | instskip(SKIP_2) | instid1(VALU_DEP_1)
	v_add_f32_e32 v17, v14, v167
	scratch_load_b128 v[13:16], off, off offset:376
	v_dual_add_f32 v122, v18, v176 :: v_dual_add_f32 v17, v17, v169
	v_add_f32_e32 v129, v122, v178
	s_delay_alu instid0(VALU_DEP_2) | instskip(NEXT) | instid1(VALU_DEP_1)
	v_add_f32_e32 v17, v17, v171
	v_add_f32_e32 v17, v17, v173
	s_delay_alu instid0(VALU_DEP_1)
	v_add_f32_e32 v123, v17, v175
	ds_load_2addr_b64 v[17:20], v21 offset0:95 offset1:96
	v_add_f32_e32 v130, v123, v177
	ds_load_2addr_b64 v[122:125], v21 offset0:97 offset1:98
	v_add_f32_e32 v21, v129, v180
	v_add_f32_e32 v129, v130, v179
	s_delay_alu instid0(VALU_DEP_2) | instskip(NEXT) | instid1(VALU_DEP_2)
	v_add_f32_e32 v21, v21, v182
	v_add_f32_e32 v129, v129, v181
	s_delay_alu instid0(VALU_DEP_2) | instskip(NEXT) | instid1(VALU_DEP_1)
	v_add_f32_e32 v21, v21, v184
	v_add_f32_e32 v21, v21, v186
	s_delay_alu instid0(VALU_DEP_1)
	v_add_f32_e32 v21, v21, v127
	s_wait_loadcnt_dscnt 0x202
	v_mul_f32_e32 v130, v5, v2
	s_wait_loadcnt_dscnt 0x101
	v_mul_f32_e32 v132, v17, v10
	v_dual_add_f32 v129, v129, v183 :: v_dual_mul_f32 v2, v6, v2
	v_mul_f32_e32 v131, v7, v4
	v_mul_f32_e32 v4, v8, v4
	v_fmac_f32_e32 v130, v6, v1
	s_delay_alu instid0(VALU_DEP_4) | instskip(SKIP_2) | instid1(VALU_DEP_3)
	v_add_f32_e32 v129, v129, v185
	v_fma_f32 v2, v5, v1, -v2
	v_dual_add_f32 v1, v21, v128 :: v_dual_mul_f32 v6, v18, v10
	v_dual_fmac_f32 v131, v8, v3 :: v_dual_add_f32 v22, v129, v22
	v_fma_f32 v3, v7, v3, -v4
	s_delay_alu instid0(VALU_DEP_3) | instskip(SKIP_1) | instid1(VALU_DEP_4)
	v_add_f32_e32 v1, v1, v2
	v_mul_f32_e32 v133, v19, v12
	v_dual_mul_f32 v4, v20, v12 :: v_dual_add_f32 v5, v22, v126
	s_delay_alu instid0(VALU_DEP_3)
	v_dual_fmac_f32 v132, v18, v9 :: v_dual_add_f32 v1, v1, v3
	s_wait_loadcnt_dscnt 0x0
	v_mul_f32_e32 v136, v122, v14
	v_mul_f32_e32 v3, v123, v14
	v_add_f32_e32 v2, v5, v130
	v_fma_f32 v5, v17, v9, -v6
	v_fmac_f32_e32 v133, v20, v11
	v_fma_f32 v4, v19, v11, -v4
	s_delay_alu instid0(VALU_DEP_4) | instskip(NEXT) | instid1(VALU_DEP_4)
	v_dual_mul_f32 v127, v124, v16 :: v_dual_add_f32 v2, v2, v131
	v_add_f32_e32 v1, v1, v5
	v_dual_mul_f32 v5, v125, v16 :: v_dual_fmac_f32 v136, v123, v13
	v_fma_f32 v3, v122, v13, -v3
	s_delay_alu instid0(VALU_DEP_4) | instskip(NEXT) | instid1(VALU_DEP_4)
	v_add_f32_e32 v2, v2, v132
	v_add_f32_e32 v1, v1, v4
	v_fmac_f32_e32 v127, v125, v15
	v_fma_f32 v4, v124, v15, -v5
	s_delay_alu instid0(VALU_DEP_3) | instskip(NEXT) | instid1(VALU_DEP_1)
	v_dual_add_f32 v2, v2, v133 :: v_dual_add_f32 v1, v1, v3
	v_add_f32_e32 v2, v2, v136
	s_delay_alu instid0(VALU_DEP_1) | instskip(NEXT) | instid1(VALU_DEP_1)
	v_dual_add_f32 v1, v1, v4 :: v_dual_add_f32 v2, v2, v127
	v_dual_sub_f32 v1, v134, v1 :: v_dual_sub_f32 v2, v135, v2
	scratch_store_b64 off, v[1:2], off offset:32
	v_cmpx_lt_u32_e32 3, v0
	s_cbranch_execz .LBB112_301
; %bb.300:
	scratch_load_b64 v[1:2], off, off offset:24
	v_mov_b32_e32 v3, 0
	s_delay_alu instid0(VALU_DEP_1)
	v_mov_b32_e32 v4, v3
	scratch_store_b64 off, v[3:4], off offset:24
	s_wait_loadcnt 0x0
	ds_store_b64 v23, v[1:2]
.LBB112_301:
	s_wait_alu 0xfffe
	s_or_b32 exec_lo, exec_lo, s0
	s_wait_storecnt_dscnt 0x0
	s_barrier_signal -1
	s_barrier_wait -1
	global_inv scope:SCOPE_SE
	s_clause 0x4
	scratch_load_b128 v[5:8], off, off offset:32
	scratch_load_b128 v[1:4], off, off offset:48
	;; [unrolled: 1-line block ×5, first 2 shown]
	v_mov_b32_e32 v21, 0
	ds_load_b128 v[122:125], v21 offset:432
	ds_load_b128 v[126:129], v21 offset:448
	;; [unrolled: 1-line block ×3, first 2 shown]
	scratch_load_b64 v[134:135], off, off offset:24
	s_mov_b32 s0, exec_lo
	s_wait_loadcnt_dscnt 0x502
	v_mul_f32_e32 v22, v123, v6
	v_dual_mul_f32 v136, v122, v6 :: v_dual_mul_f32 v137, v124, v8
	v_mul_f32_e32 v6, v125, v8
	s_delay_alu instid0(VALU_DEP_3) | instskip(NEXT) | instid1(VALU_DEP_3)
	v_fma_f32 v22, v122, v5, -v22
	v_dual_fmac_f32 v136, v123, v5 :: v_dual_fmac_f32 v137, v125, v7
	s_wait_loadcnt_dscnt 0x401
	v_mul_f32_e32 v123, v126, v2
	v_fma_f32 v122, v124, v7, -v6
	ds_load_b128 v[5:8], v21 offset:480
	s_wait_loadcnt_dscnt 0x301
	v_dual_mul_f32 v124, v128, v4 :: v_dual_mul_f32 v125, v130, v10
	v_dual_mul_f32 v4, v129, v4 :: v_dual_fmac_f32 v123, v127, v1
	v_mul_f32_e32 v10, v131, v10
	s_delay_alu instid0(VALU_DEP_3)
	v_dual_mul_f32 v138, v132, v12 :: v_dual_fmac_f32 v125, v131, v9
	v_mul_f32_e32 v12, v133, v12
	v_mul_f32_e32 v2, v127, v2
	v_fmac_f32_e32 v124, v129, v3
	v_fma_f32 v127, v128, v3, -v4
	v_fma_f32 v128, v130, v9, -v10
	v_fmac_f32_e32 v138, v133, v11
	v_fma_f32 v129, v132, v11, -v12
	ds_load_b128 v[9:12], v21 offset:496
	s_wait_loadcnt_dscnt 0x201
	v_dual_mul_f32 v131, v7, v16 :: v_dual_mul_f32 v130, v5, v14
	v_mul_f32_e32 v14, v6, v14
	v_mul_f32_e32 v16, v8, v16
	s_delay_alu instid0(VALU_DEP_3)
	v_fmac_f32_e32 v131, v8, v15
	v_fma_f32 v126, v126, v1, -v2
	scratch_load_b128 v[1:4], off, off offset:112
	v_fmac_f32_e32 v130, v6, v13
	v_fma_f32 v13, v5, v13, -v14
	v_fma_f32 v14, v7, v15, -v16
	ds_load_b128 v[5:8], v21 offset:512
	s_wait_loadcnt_dscnt 0x201
	v_mul_f32_e32 v15, v9, v18
	v_mul_f32_e32 v16, v10, v18
	;; [unrolled: 1-line block ×3, first 2 shown]
	s_delay_alu instid0(VALU_DEP_3) | instskip(NEXT) | instid1(VALU_DEP_3)
	v_dual_mul_f32 v20, v12, v20 :: v_dual_fmac_f32 v15, v10, v17
	v_fma_f32 v16, v9, v17, -v16
	s_delay_alu instid0(VALU_DEP_3) | instskip(NEXT) | instid1(VALU_DEP_3)
	v_fmac_f32_e32 v18, v12, v19
	v_fma_f32 v17, v11, v19, -v20
	scratch_load_b128 v[9:12], off, off offset:128
	s_wait_loadcnt_dscnt 0x100
	v_mul_f32_e32 v19, v5, v2
	v_mul_f32_e32 v2, v6, v2
	;; [unrolled: 1-line block ×3, first 2 shown]
	s_delay_alu instid0(VALU_DEP_3) | instskip(NEXT) | instid1(VALU_DEP_3)
	v_dual_mul_f32 v4, v8, v4 :: v_dual_fmac_f32 v19, v6, v1
	v_fma_f32 v132, v5, v1, -v2
	s_delay_alu instid0(VALU_DEP_3) | instskip(NEXT) | instid1(VALU_DEP_3)
	v_fmac_f32_e32 v20, v8, v3
	v_fma_f32 v133, v7, v3, -v4
	ds_load_b128 v[1:4], v21 offset:528
	ds_load_b128 v[5:8], v21 offset:544
	s_wait_loadcnt_dscnt 0x1
	v_mul_f32_e32 v139, v1, v10
	v_mul_f32_e32 v10, v2, v10
	s_delay_alu instid0(VALU_DEP_2) | instskip(NEXT) | instid1(VALU_DEP_2)
	v_dual_mul_f32 v140, v3, v12 :: v_dual_fmac_f32 v139, v2, v9
	v_fma_f32 v141, v1, v9, -v10
	v_mul_f32_e32 v1, v4, v12
	s_delay_alu instid0(VALU_DEP_3) | instskip(NEXT) | instid1(VALU_DEP_2)
	v_fmac_f32_e32 v140, v4, v11
	v_fma_f32 v142, v3, v11, -v1
	s_clause 0x1
	scratch_load_b128 v[1:4], off, off offset:144
	scratch_load_b128 v[9:12], off, off offset:160
	s_wait_loadcnt_dscnt 0x100
	v_mul_f32_e32 v143, v5, v2
	v_dual_mul_f32 v2, v6, v2 :: v_dual_mul_f32 v145, v7, v4
	s_delay_alu instid0(VALU_DEP_2) | instskip(NEXT) | instid1(VALU_DEP_2)
	v_fmac_f32_e32 v143, v6, v1
	v_fma_f32 v144, v5, v1, -v2
	v_mul_f32_e32 v1, v8, v4
	s_delay_alu instid0(VALU_DEP_4) | instskip(NEXT) | instid1(VALU_DEP_2)
	v_fmac_f32_e32 v145, v8, v3
	v_fma_f32 v146, v7, v3, -v1
	ds_load_b128 v[1:4], v21 offset:560
	ds_load_b128 v[5:8], v21 offset:576
	s_wait_loadcnt_dscnt 0x1
	v_mul_f32_e32 v147, v1, v10
	v_mul_f32_e32 v149, v3, v12
	s_delay_alu instid0(VALU_DEP_2) | instskip(NEXT) | instid1(VALU_DEP_2)
	v_fmac_f32_e32 v147, v2, v9
	v_dual_mul_f32 v2, v2, v10 :: v_dual_fmac_f32 v149, v4, v11
	s_delay_alu instid0(VALU_DEP_1) | instskip(SKIP_1) | instid1(VALU_DEP_1)
	v_fma_f32 v148, v1, v9, -v2
	v_mul_f32_e32 v1, v4, v12
	v_fma_f32 v150, v3, v11, -v1
	s_clause 0x1
	scratch_load_b128 v[1:4], off, off offset:176
	scratch_load_b128 v[9:12], off, off offset:192
	s_wait_loadcnt_dscnt 0x100
	v_mul_f32_e32 v151, v5, v2
	v_dual_mul_f32 v153, v7, v4 :: v_dual_mul_f32 v2, v6, v2
	s_delay_alu instid0(VALU_DEP_2) | instskip(NEXT) | instid1(VALU_DEP_2)
	v_fmac_f32_e32 v151, v6, v1
	v_fmac_f32_e32 v153, v8, v3
	s_delay_alu instid0(VALU_DEP_3) | instskip(SKIP_1) | instid1(VALU_DEP_1)
	v_fma_f32 v152, v5, v1, -v2
	v_mul_f32_e32 v1, v8, v4
	v_fma_f32 v154, v7, v3, -v1
	ds_load_b128 v[1:4], v21 offset:592
	ds_load_b128 v[5:8], v21 offset:608
	s_wait_loadcnt_dscnt 0x1
	v_mul_f32_e32 v155, v1, v10
	v_mul_f32_e32 v157, v3, v12
	s_delay_alu instid0(VALU_DEP_2) | instskip(NEXT) | instid1(VALU_DEP_2)
	v_fmac_f32_e32 v155, v2, v9
	v_dual_mul_f32 v2, v2, v10 :: v_dual_fmac_f32 v157, v4, v11
	s_delay_alu instid0(VALU_DEP_1) | instskip(SKIP_1) | instid1(VALU_DEP_1)
	v_fma_f32 v156, v1, v9, -v2
	v_mul_f32_e32 v1, v4, v12
	v_fma_f32 v158, v3, v11, -v1
	s_clause 0x1
	scratch_load_b128 v[1:4], off, off offset:208
	scratch_load_b128 v[9:12], off, off offset:224
	s_wait_loadcnt_dscnt 0x100
	v_mul_f32_e32 v159, v5, v2
	v_dual_mul_f32 v2, v6, v2 :: v_dual_mul_f32 v161, v7, v4
	s_delay_alu instid0(VALU_DEP_2) | instskip(NEXT) | instid1(VALU_DEP_2)
	v_fmac_f32_e32 v159, v6, v1
	v_fma_f32 v160, v5, v1, -v2
	v_mul_f32_e32 v1, v8, v4
	s_delay_alu instid0(VALU_DEP_4) | instskip(NEXT) | instid1(VALU_DEP_2)
	v_fmac_f32_e32 v161, v8, v3
	v_fma_f32 v162, v7, v3, -v1
	ds_load_b128 v[1:4], v21 offset:624
	ds_load_b128 v[5:8], v21 offset:640
	s_wait_loadcnt_dscnt 0x1
	v_mul_f32_e32 v163, v1, v10
	v_mul_f32_e32 v165, v3, v12
	s_delay_alu instid0(VALU_DEP_2) | instskip(NEXT) | instid1(VALU_DEP_2)
	v_fmac_f32_e32 v163, v2, v9
	v_dual_mul_f32 v2, v2, v10 :: v_dual_fmac_f32 v165, v4, v11
	s_delay_alu instid0(VALU_DEP_1) | instskip(SKIP_1) | instid1(VALU_DEP_1)
	v_fma_f32 v164, v1, v9, -v2
	v_mul_f32_e32 v1, v4, v12
	v_fma_f32 v166, v3, v11, -v1
	s_clause 0x1
	scratch_load_b128 v[1:4], off, off offset:240
	scratch_load_b128 v[9:12], off, off offset:256
	s_wait_loadcnt_dscnt 0x100
	v_mul_f32_e32 v167, v5, v2
	v_dual_mul_f32 v2, v6, v2 :: v_dual_mul_f32 v169, v7, v4
	s_delay_alu instid0(VALU_DEP_2) | instskip(NEXT) | instid1(VALU_DEP_2)
	v_fmac_f32_e32 v167, v6, v1
	v_fma_f32 v168, v5, v1, -v2
	v_mul_f32_e32 v1, v8, v4
	s_delay_alu instid0(VALU_DEP_4) | instskip(NEXT) | instid1(VALU_DEP_2)
	v_fmac_f32_e32 v169, v8, v3
	;; [unrolled: 25-line block ×3, first 2 shown]
	v_fma_f32 v178, v7, v3, -v1
	ds_load_b128 v[1:4], v21 offset:688
	ds_load_b128 v[5:8], v21 offset:704
	s_wait_loadcnt_dscnt 0x1
	v_mul_f32_e32 v179, v1, v10
	v_mul_f32_e32 v181, v3, v12
	s_delay_alu instid0(VALU_DEP_2) | instskip(NEXT) | instid1(VALU_DEP_2)
	v_fmac_f32_e32 v179, v2, v9
	v_dual_mul_f32 v2, v2, v10 :: v_dual_fmac_f32 v181, v4, v11
	s_delay_alu instid0(VALU_DEP_1) | instskip(SKIP_1) | instid1(VALU_DEP_1)
	v_fma_f32 v180, v1, v9, -v2
	v_mul_f32_e32 v1, v4, v12
	v_fma_f32 v182, v3, v11, -v1
	s_clause 0x1
	scratch_load_b128 v[1:4], off, off offset:304
	scratch_load_b128 v[9:12], off, off offset:320
	s_wait_loadcnt_dscnt 0x100
	v_mul_f32_e32 v183, v5, v2
	v_dual_mul_f32 v2, v6, v2 :: v_dual_mul_f32 v185, v7, v4
	s_delay_alu instid0(VALU_DEP_2) | instskip(NEXT) | instid1(VALU_DEP_2)
	v_fmac_f32_e32 v183, v6, v1
	v_fma_f32 v184, v5, v1, -v2
	v_add_f32_e32 v2, 0, v136
	v_mul_f32_e32 v1, v8, v4
	s_delay_alu instid0(VALU_DEP_2) | instskip(NEXT) | instid1(VALU_DEP_2)
	v_dual_fmac_f32 v185, v8, v3 :: v_dual_add_f32 v2, v2, v137
	v_fma_f32 v186, v7, v3, -v1
	s_delay_alu instid0(VALU_DEP_2) | instskip(NEXT) | instid1(VALU_DEP_1)
	v_add_f32_e32 v2, v2, v123
	v_dual_add_f32 v2, v2, v124 :: v_dual_add_f32 v1, 0, v22
	s_delay_alu instid0(VALU_DEP_1) | instskip(NEXT) | instid1(VALU_DEP_1)
	v_dual_add_f32 v2, v2, v125 :: v_dual_add_f32 v1, v1, v122
	v_add_f32_e32 v2, v2, v138
	s_delay_alu instid0(VALU_DEP_2) | instskip(NEXT) | instid1(VALU_DEP_1)
	v_add_f32_e32 v1, v1, v126
	v_dual_add_f32 v2, v2, v130 :: v_dual_add_f32 v1, v1, v127
	scratch_load_b64 v[126:127], off, off offset:384
	v_dual_add_f32 v2, v2, v131 :: v_dual_add_f32 v1, v1, v128
	s_delay_alu instid0(VALU_DEP_1) | instskip(NEXT) | instid1(VALU_DEP_1)
	v_dual_add_f32 v2, v2, v15 :: v_dual_add_f32 v1, v1, v129
	v_dual_add_f32 v2, v2, v18 :: v_dual_add_f32 v1, v1, v13
	s_delay_alu instid0(VALU_DEP_1) | instskip(NEXT) | instid1(VALU_DEP_1)
	v_dual_add_f32 v2, v2, v19 :: v_dual_add_f32 v1, v1, v14
	v_add_f32_e32 v2, v2, v20
	s_delay_alu instid0(VALU_DEP_1) | instskip(NEXT) | instid1(VALU_DEP_1)
	v_dual_add_f32 v1, v1, v16 :: v_dual_add_f32 v2, v2, v139
	v_dual_add_f32 v1, v1, v17 :: v_dual_add_f32 v2, v2, v140
	s_delay_alu instid0(VALU_DEP_1) | instskip(NEXT) | instid1(VALU_DEP_1)
	v_dual_add_f32 v1, v1, v132 :: v_dual_add_f32 v2, v2, v143
	v_add_f32_e32 v1, v1, v133
	s_delay_alu instid0(VALU_DEP_2) | instskip(NEXT) | instid1(VALU_DEP_1)
	v_add_f32_e32 v2, v2, v145
	v_dual_add_f32 v1, v1, v141 :: v_dual_add_f32 v2, v2, v147
	s_delay_alu instid0(VALU_DEP_1) | instskip(NEXT) | instid1(VALU_DEP_1)
	v_dual_add_f32 v1, v1, v142 :: v_dual_add_f32 v2, v2, v149
	v_dual_add_f32 v1, v1, v144 :: v_dual_add_f32 v2, v2, v151
	s_delay_alu instid0(VALU_DEP_1) | instskip(NEXT) | instid1(VALU_DEP_1)
	v_dual_add_f32 v1, v1, v146 :: v_dual_add_f32 v2, v2, v153
	v_add_f32_e32 v1, v1, v148
	s_delay_alu instid0(VALU_DEP_1) | instskip(NEXT) | instid1(VALU_DEP_1)
	v_add_f32_e32 v1, v1, v150
	v_add_f32_e32 v1, v1, v152
	s_delay_alu instid0(VALU_DEP_1) | instskip(NEXT) | instid1(VALU_DEP_1)
	v_add_f32_e32 v1, v1, v154
	v_add_f32_e32 v1, v1, v156
	s_delay_alu instid0(VALU_DEP_1) | instskip(SKIP_2) | instid1(VALU_DEP_1)
	v_dual_add_f32 v6, v1, v158 :: v_dual_add_f32 v5, v2, v155
	ds_load_b128 v[1:4], v21 offset:720
	v_dual_add_f32 v6, v6, v160 :: v_dual_add_f32 v5, v5, v157
	v_add_f32_e32 v13, v6, v162
	s_delay_alu instid0(VALU_DEP_2) | instskip(NEXT) | instid1(VALU_DEP_2)
	v_add_f32_e32 v5, v5, v159
	v_add_f32_e32 v13, v13, v164
	s_delay_alu instid0(VALU_DEP_2)
	v_add_f32_e32 v14, v5, v161
	ds_load_b128 v[5:8], v21 offset:736
	v_add_f32_e32 v13, v13, v166
	s_wait_loadcnt_dscnt 0x101
	v_mul_f32_e32 v22, v1, v10
	v_mul_f32_e32 v10, v2, v10
	;; [unrolled: 1-line block ×4, first 2 shown]
	v_add_f32_e32 v14, v14, v163
	v_fmac_f32_e32 v22, v2, v9
	v_fma_f32 v131, v1, v9, -v10
	v_fmac_f32_e32 v130, v4, v11
	v_fma_f32 v132, v3, v11, -v12
	s_clause 0x1
	scratch_load_b128 v[1:4], off, off offset:336
	scratch_load_b128 v[9:12], off, off offset:352
	v_dual_add_f32 v14, v14, v165 :: v_dual_add_f32 v13, v13, v168
	s_delay_alu instid0(VALU_DEP_1) | instskip(SKIP_2) | instid1(VALU_DEP_1)
	v_dual_add_f32 v17, v14, v167 :: v_dual_add_f32 v18, v13, v170
	scratch_load_b128 v[13:16], off, off offset:368
	v_dual_add_f32 v17, v17, v169 :: v_dual_add_f32 v18, v18, v172
	v_dual_add_f32 v17, v17, v171 :: v_dual_add_f32 v18, v18, v174
	s_delay_alu instid0(VALU_DEP_1) | instskip(NEXT) | instid1(VALU_DEP_1)
	v_dual_add_f32 v17, v17, v173 :: v_dual_add_f32 v18, v18, v176
	v_dual_add_f32 v17, v17, v175 :: v_dual_add_f32 v18, v18, v178
	s_delay_alu instid0(VALU_DEP_1) | instskip(NEXT) | instid1(VALU_DEP_2)
	v_add_f32_e32 v122, v17, v177
	v_add_f32_e32 v128, v18, v180
	ds_load_b128 v[17:20], v21 offset:752
	v_add_f32_e32 v129, v122, v179
	ds_load_b128 v[122:125], v21 offset:768
	v_dual_add_f32 v133, v128, v182 :: v_dual_add_f32 v136, v129, v181
	ds_load_b64 v[128:129], v21 offset:784
	v_add_f32_e32 v133, v133, v184
	s_delay_alu instid0(VALU_DEP_1) | instskip(NEXT) | instid1(VALU_DEP_1)
	v_add_f32_e32 v133, v133, v186
	v_add_f32_e32 v131, v133, v131
	s_delay_alu instid0(VALU_DEP_1)
	v_add_f32_e32 v131, v131, v132
	s_wait_loadcnt_dscnt 0x203
	v_mul_f32_e32 v138, v7, v4
	v_dual_add_f32 v136, v136, v183 :: v_dual_mul_f32 v137, v5, v2
	v_mul_f32_e32 v2, v6, v2
	s_wait_loadcnt_dscnt 0x102
	v_dual_mul_f32 v4, v8, v4 :: v_dual_mul_f32 v133, v17, v10
	s_delay_alu instid0(VALU_DEP_3)
	v_add_f32_e32 v136, v136, v185
	v_fmac_f32_e32 v137, v6, v1
	v_fma_f32 v2, v5, v1, -v2
	v_fmac_f32_e32 v138, v8, v3
	v_fma_f32 v1, v7, v3, -v4
	v_add_f32_e32 v22, v136, v22
	v_mul_f32_e32 v3, v18, v10
	v_add_f32_e32 v2, v131, v2
	v_mul_f32_e32 v136, v19, v12
	s_delay_alu instid0(VALU_DEP_4)
	v_dual_mul_f32 v5, v20, v12 :: v_dual_add_f32 v22, v22, v130
	v_fmac_f32_e32 v133, v18, v9
	v_fma_f32 v3, v17, v9, -v3
	v_add_f32_e32 v1, v2, v1
	s_wait_loadcnt_dscnt 0x1
	v_mul_f32_e32 v139, v122, v14
	v_add_f32_e32 v4, v22, v137
	v_fmac_f32_e32 v136, v20, v11
	v_fma_f32 v5, v19, v11, -v5
	v_dual_add_f32 v1, v1, v3 :: v_dual_mul_f32 v132, v124, v16
	s_delay_alu instid0(VALU_DEP_4) | instskip(SKIP_2) | instid1(VALU_DEP_4)
	v_add_f32_e32 v2, v4, v138
	v_dual_mul_f32 v4, v123, v14 :: v_dual_mul_f32 v3, v125, v16
	v_fmac_f32_e32 v139, v123, v13
	v_add_f32_e32 v1, v1, v5
	s_delay_alu instid0(VALU_DEP_4) | instskip(NEXT) | instid1(VALU_DEP_4)
	v_add_f32_e32 v2, v2, v133
	v_fma_f32 v4, v122, v13, -v4
	s_wait_dscnt 0x0
	v_mul_f32_e32 v130, v128, v127
	v_mul_f32_e32 v5, v129, v127
	v_fmac_f32_e32 v132, v125, v15
	v_add_f32_e32 v2, v2, v136
	v_fma_f32 v3, v124, v15, -v3
	v_add_f32_e32 v1, v1, v4
	v_fmac_f32_e32 v130, v129, v126
	v_fma_f32 v4, v128, v126, -v5
	v_add_f32_e32 v2, v2, v139
	s_delay_alu instid0(VALU_DEP_1) | instskip(NEXT) | instid1(VALU_DEP_1)
	v_dual_add_f32 v1, v1, v3 :: v_dual_add_f32 v2, v2, v132
	v_dual_add_f32 v1, v1, v4 :: v_dual_add_f32 v2, v2, v130
	s_delay_alu instid0(VALU_DEP_1)
	v_dual_sub_f32 v1, v134, v1 :: v_dual_sub_f32 v2, v135, v2
	scratch_store_b64 off, v[1:2], off offset:24
	v_cmpx_lt_u32_e32 2, v0
	s_cbranch_execz .LBB112_303
; %bb.302:
	scratch_load_b64 v[1:2], off, off offset:16
	v_mov_b32_e32 v22, v21
	scratch_store_b64 off, v[21:22], off offset:16
	s_wait_loadcnt 0x0
	ds_store_b64 v23, v[1:2]
.LBB112_303:
	s_wait_alu 0xfffe
	s_or_b32 exec_lo, exec_lo, s0
	s_wait_storecnt_dscnt 0x0
	s_barrier_signal -1
	s_barrier_wait -1
	global_inv scope:SCOPE_SE
	s_clause 0x4
	scratch_load_b128 v[5:8], off, off offset:24
	scratch_load_b128 v[1:4], off, off offset:40
	;; [unrolled: 1-line block ×5, first 2 shown]
	ds_load_2addr_b64 v[122:125], v21 offset0:53 offset1:54
	ds_load_2addr_b64 v[126:129], v21 offset0:55 offset1:56
	;; [unrolled: 1-line block ×3, first 2 shown]
	scratch_load_b64 v[134:135], off, off offset:16
	s_mov_b32 s0, exec_lo
	s_wait_loadcnt_dscnt 0x502
	v_dual_mul_f32 v22, v123, v6 :: v_dual_mul_f32 v137, v124, v8
	v_mul_f32_e32 v136, v122, v6
	v_mul_f32_e32 v6, v125, v8
	s_wait_loadcnt_dscnt 0x300
	v_mul_f32_e32 v138, v132, v12
	v_fma_f32 v22, v122, v5, -v22
	v_dual_fmac_f32 v137, v125, v7 :: v_dual_fmac_f32 v136, v123, v5
	v_mul_f32_e32 v125, v130, v10
	v_mul_f32_e32 v123, v126, v2
	v_fma_f32 v122, v124, v7, -v6
	ds_load_2addr_b64 v[5:8], v21 offset0:59 offset1:60
	v_mul_f32_e32 v124, v128, v4
	v_dual_mul_f32 v4, v129, v4 :: v_dual_fmac_f32 v125, v131, v9
	v_mul_f32_e32 v10, v131, v10
	v_mul_f32_e32 v12, v133, v12
	;; [unrolled: 1-line block ×3, first 2 shown]
	v_dual_fmac_f32 v123, v127, v1 :: v_dual_fmac_f32 v124, v129, v3
	v_fma_f32 v127, v128, v3, -v4
	v_fma_f32 v128, v130, v9, -v10
	v_fmac_f32_e32 v138, v133, v11
	v_fma_f32 v129, v132, v11, -v12
	ds_load_2addr_b64 v[9:12], v21 offset0:61 offset1:62
	s_wait_loadcnt_dscnt 0x201
	v_dual_mul_f32 v131, v7, v16 :: v_dual_mul_f32 v130, v5, v14
	s_delay_alu instid0(VALU_DEP_1)
	v_dual_mul_f32 v14, v6, v14 :: v_dual_fmac_f32 v131, v8, v15
	v_fma_f32 v126, v126, v1, -v2
	scratch_load_b128 v[1:4], off, off offset:104
	v_mul_f32_e32 v16, v8, v16
	v_fmac_f32_e32 v130, v6, v13
	v_fma_f32 v13, v5, v13, -v14
	s_delay_alu instid0(VALU_DEP_3)
	v_fma_f32 v14, v7, v15, -v16
	s_wait_loadcnt_dscnt 0x200
	v_mul_f32_e32 v15, v9, v18
	v_mul_f32_e32 v16, v10, v18
	;; [unrolled: 1-line block ×4, first 2 shown]
	ds_load_2addr_b64 v[5:8], v21 offset0:63 offset1:64
	v_fmac_f32_e32 v15, v10, v17
	v_fma_f32 v16, v9, v17, -v16
	v_fmac_f32_e32 v18, v12, v19
	v_fma_f32 v17, v11, v19, -v20
	scratch_load_b128 v[9:12], off, off offset:120
	s_wait_loadcnt_dscnt 0x100
	v_mul_f32_e32 v19, v5, v2
	v_mul_f32_e32 v2, v6, v2
	;; [unrolled: 1-line block ×3, first 2 shown]
	s_delay_alu instid0(VALU_DEP_3) | instskip(NEXT) | instid1(VALU_DEP_3)
	v_dual_mul_f32 v4, v8, v4 :: v_dual_fmac_f32 v19, v6, v1
	v_fma_f32 v132, v5, v1, -v2
	s_delay_alu instid0(VALU_DEP_3) | instskip(NEXT) | instid1(VALU_DEP_3)
	v_fmac_f32_e32 v20, v8, v3
	v_fma_f32 v133, v7, v3, -v4
	ds_load_2addr_b64 v[1:4], v21 offset0:65 offset1:66
	ds_load_2addr_b64 v[5:8], v21 offset0:67 offset1:68
	s_wait_loadcnt_dscnt 0x1
	v_mul_f32_e32 v139, v1, v10
	v_mul_f32_e32 v10, v2, v10
	s_delay_alu instid0(VALU_DEP_2) | instskip(NEXT) | instid1(VALU_DEP_2)
	v_dual_mul_f32 v140, v3, v12 :: v_dual_fmac_f32 v139, v2, v9
	v_fma_f32 v141, v1, v9, -v10
	v_mul_f32_e32 v1, v4, v12
	s_delay_alu instid0(VALU_DEP_3) | instskip(NEXT) | instid1(VALU_DEP_2)
	v_fmac_f32_e32 v140, v4, v11
	v_fma_f32 v142, v3, v11, -v1
	s_clause 0x1
	scratch_load_b128 v[1:4], off, off offset:136
	scratch_load_b128 v[9:12], off, off offset:152
	s_wait_loadcnt_dscnt 0x100
	v_mul_f32_e32 v143, v5, v2
	v_dual_mul_f32 v2, v6, v2 :: v_dual_mul_f32 v145, v7, v4
	s_delay_alu instid0(VALU_DEP_2) | instskip(NEXT) | instid1(VALU_DEP_2)
	v_fmac_f32_e32 v143, v6, v1
	v_fma_f32 v144, v5, v1, -v2
	v_mul_f32_e32 v1, v8, v4
	s_delay_alu instid0(VALU_DEP_4) | instskip(NEXT) | instid1(VALU_DEP_2)
	v_fmac_f32_e32 v145, v8, v3
	v_fma_f32 v146, v7, v3, -v1
	ds_load_2addr_b64 v[1:4], v21 offset0:69 offset1:70
	ds_load_2addr_b64 v[5:8], v21 offset0:71 offset1:72
	s_wait_loadcnt_dscnt 0x1
	v_mul_f32_e32 v147, v1, v10
	v_mul_f32_e32 v149, v3, v12
	s_delay_alu instid0(VALU_DEP_2) | instskip(NEXT) | instid1(VALU_DEP_2)
	v_fmac_f32_e32 v147, v2, v9
	v_dual_mul_f32 v2, v2, v10 :: v_dual_fmac_f32 v149, v4, v11
	s_delay_alu instid0(VALU_DEP_1) | instskip(SKIP_1) | instid1(VALU_DEP_1)
	v_fma_f32 v148, v1, v9, -v2
	v_mul_f32_e32 v1, v4, v12
	v_fma_f32 v150, v3, v11, -v1
	s_clause 0x1
	scratch_load_b128 v[1:4], off, off offset:168
	scratch_load_b128 v[9:12], off, off offset:184
	s_wait_loadcnt_dscnt 0x100
	v_mul_f32_e32 v151, v5, v2
	v_dual_mul_f32 v2, v6, v2 :: v_dual_mul_f32 v153, v7, v4
	s_delay_alu instid0(VALU_DEP_2) | instskip(NEXT) | instid1(VALU_DEP_2)
	v_fmac_f32_e32 v151, v6, v1
	v_fma_f32 v152, v5, v1, -v2
	v_mul_f32_e32 v1, v8, v4
	s_delay_alu instid0(VALU_DEP_4) | instskip(NEXT) | instid1(VALU_DEP_2)
	v_fmac_f32_e32 v153, v8, v3
	v_fma_f32 v154, v7, v3, -v1
	ds_load_2addr_b64 v[1:4], v21 offset0:73 offset1:74
	ds_load_2addr_b64 v[5:8], v21 offset0:75 offset1:76
	s_wait_loadcnt_dscnt 0x1
	v_mul_f32_e32 v155, v1, v10
	v_mul_f32_e32 v157, v3, v12
	s_delay_alu instid0(VALU_DEP_2) | instskip(NEXT) | instid1(VALU_DEP_2)
	v_fmac_f32_e32 v155, v2, v9
	v_dual_mul_f32 v2, v2, v10 :: v_dual_fmac_f32 v157, v4, v11
	s_delay_alu instid0(VALU_DEP_1) | instskip(SKIP_1) | instid1(VALU_DEP_1)
	v_fma_f32 v156, v1, v9, -v2
	v_mul_f32_e32 v1, v4, v12
	;; [unrolled: 25-line block ×5, first 2 shown]
	v_fma_f32 v182, v3, v11, -v1
	s_clause 0x1
	scratch_load_b128 v[1:4], off, off offset:296
	scratch_load_b128 v[9:12], off, off offset:312
	s_wait_loadcnt_dscnt 0x100
	v_mul_f32_e32 v183, v5, v2
	v_mul_f32_e32 v2, v6, v2
	s_delay_alu instid0(VALU_DEP_2) | instskip(NEXT) | instid1(VALU_DEP_2)
	v_fmac_f32_e32 v183, v6, v1
	v_fma_f32 v184, v5, v1, -v2
	v_add_f32_e32 v2, 0, v136
	s_delay_alu instid0(VALU_DEP_1) | instskip(NEXT) | instid1(VALU_DEP_1)
	v_dual_mul_f32 v1, v8, v4 :: v_dual_add_f32 v2, v2, v137
	v_fma_f32 v186, v7, v3, -v1
	s_delay_alu instid0(VALU_DEP_2) | instskip(NEXT) | instid1(VALU_DEP_1)
	v_dual_add_f32 v1, 0, v22 :: v_dual_add_f32 v2, v2, v123
	v_dual_add_f32 v1, v1, v122 :: v_dual_add_f32 v2, v2, v124
	s_delay_alu instid0(VALU_DEP_1) | instskip(NEXT) | instid1(VALU_DEP_1)
	v_add_f32_e32 v2, v2, v125
	v_add_f32_e32 v2, v2, v138
	s_delay_alu instid0(VALU_DEP_1) | instskip(NEXT) | instid1(VALU_DEP_1)
	v_add_f32_e32 v2, v2, v130
	v_dual_add_f32 v1, v1, v126 :: v_dual_add_f32 v2, v2, v131
	s_delay_alu instid0(VALU_DEP_1) | instskip(NEXT) | instid1(VALU_DEP_1)
	v_add_f32_e32 v1, v1, v127
	v_dual_add_f32 v2, v2, v15 :: v_dual_add_f32 v1, v1, v128
	s_delay_alu instid0(VALU_DEP_1) | instskip(NEXT) | instid1(VALU_DEP_1)
	v_dual_add_f32 v2, v2, v18 :: v_dual_add_f32 v1, v1, v129
	v_dual_add_f32 v2, v2, v19 :: v_dual_add_f32 v1, v1, v13
	s_delay_alu instid0(VALU_DEP_1) | instskip(NEXT) | instid1(VALU_DEP_1)
	v_dual_add_f32 v2, v2, v20 :: v_dual_add_f32 v1, v1, v14
	v_add_f32_e32 v2, v2, v139
	s_delay_alu instid0(VALU_DEP_1) | instskip(NEXT) | instid1(VALU_DEP_1)
	v_add_f32_e32 v2, v2, v140
	v_add_f32_e32 v2, v2, v143
	s_delay_alu instid0(VALU_DEP_1) | instskip(NEXT) | instid1(VALU_DEP_1)
	v_add_f32_e32 v2, v2, v145
	;; [unrolled: 3-line block ×3, first 2 shown]
	v_add_f32_e32 v2, v2, v151
	s_delay_alu instid0(VALU_DEP_1) | instskip(NEXT) | instid1(VALU_DEP_1)
	v_dual_add_f32 v2, v2, v153 :: v_dual_add_f32 v1, v1, v16
	v_add_f32_e32 v1, v1, v17
	s_delay_alu instid0(VALU_DEP_1) | instskip(NEXT) | instid1(VALU_DEP_1)
	v_add_f32_e32 v1, v1, v132
	v_add_f32_e32 v1, v1, v133
	s_delay_alu instid0(VALU_DEP_1) | instskip(NEXT) | instid1(VALU_DEP_1)
	v_add_f32_e32 v1, v1, v141
	;; [unrolled: 3-line block ×6, first 2 shown]
	v_add_f32_e32 v1, v1, v158
	s_delay_alu instid0(VALU_DEP_1) | instskip(SKIP_1) | instid1(VALU_DEP_2)
	v_add_f32_e32 v6, v1, v160
	v_dual_add_f32 v2, v2, v155 :: v_dual_mul_f32 v185, v7, v4
	v_add_f32_e32 v14, v6, v162
	s_delay_alu instid0(VALU_DEP_2) | instskip(NEXT) | instid1(VALU_DEP_3)
	v_add_f32_e32 v5, v2, v157
	v_fmac_f32_e32 v185, v8, v3
	ds_load_2addr_b64 v[1:4], v21 offset0:89 offset1:90
	v_dual_add_f32 v14, v14, v164 :: v_dual_add_f32 v13, v5, v159
	scratch_load_b128 v[5:8], off, off offset:328
	v_add_f32_e32 v17, v14, v166
	v_add_f32_e32 v13, v13, v161
	s_delay_alu instid0(VALU_DEP_2) | instskip(NEXT) | instid1(VALU_DEP_2)
	v_add_f32_e32 v17, v17, v168
	v_add_f32_e32 v13, v13, v163
	s_delay_alu instid0(VALU_DEP_2) | instskip(NEXT) | instid1(VALU_DEP_2)
	v_add_f32_e32 v17, v17, v170
	v_add_f32_e32 v18, v13, v165
	ds_load_2addr_b64 v[13:16], v21 offset0:91 offset1:92
	s_wait_loadcnt_dscnt 0x101
	v_mul_f32_e32 v22, v1, v10
	v_mul_f32_e32 v10, v2, v10
	;; [unrolled: 1-line block ×4, first 2 shown]
	v_add_f32_e32 v18, v18, v167
	v_fmac_f32_e32 v22, v2, v9
	v_fma_f32 v127, v1, v9, -v10
	v_fmac_f32_e32 v126, v4, v11
	v_fma_f32 v128, v3, v11, -v12
	s_clause 0x1
	scratch_load_b128 v[1:4], off, off offset:344
	scratch_load_b128 v[9:12], off, off offset:360
	v_dual_add_f32 v18, v18, v169 :: v_dual_add_f32 v17, v17, v172
	s_delay_alu instid0(VALU_DEP_1)
	v_dual_add_f32 v122, v18, v171 :: v_dual_add_f32 v123, v17, v174
	scratch_load_b128 v[17:20], off, off offset:376
	s_wait_loadcnt_dscnt 0x300
	v_dual_add_f32 v122, v122, v173 :: v_dual_mul_f32 v129, v13, v6
	v_mul_f32_e32 v6, v14, v6
	v_mul_f32_e32 v130, v15, v8
	;; [unrolled: 1-line block ×3, first 2 shown]
	s_delay_alu instid0(VALU_DEP_4)
	v_add_f32_e32 v122, v122, v175
	v_fmac_f32_e32 v129, v14, v5
	v_fma_f32 v131, v13, v5, -v6
	v_fmac_f32_e32 v130, v16, v7
	v_fma_f32 v132, v15, v7, -v8
	ds_load_2addr_b64 v[5:8], v21 offset0:93 offset1:94
	v_add_f32_e32 v123, v123, v176
	v_add_f32_e32 v13, v122, v177
	s_delay_alu instid0(VALU_DEP_2) | instskip(NEXT) | instid1(VALU_DEP_1)
	v_add_f32_e32 v123, v123, v178
	v_dual_add_f32 v122, v123, v180 :: v_dual_add_f32 v123, v13, v179
	ds_load_2addr_b64 v[13:16], v21 offset0:95 offset1:96
	v_dual_add_f32 v133, v122, v182 :: v_dual_add_f32 v136, v123, v181
	ds_load_2addr_b64 v[122:125], v21 offset0:97 offset1:98
	v_add_f32_e32 v21, v133, v184
	s_wait_loadcnt_dscnt 0x202
	v_dual_add_f32 v133, v136, v183 :: v_dual_mul_f32 v136, v5, v2
	v_mul_f32_e32 v2, v6, v2
	s_delay_alu instid0(VALU_DEP_3) | instskip(NEXT) | instid1(VALU_DEP_3)
	v_add_f32_e32 v21, v21, v186
	v_add_f32_e32 v133, v133, v185
	s_delay_alu instid0(VALU_DEP_4) | instskip(NEXT) | instid1(VALU_DEP_4)
	v_fmac_f32_e32 v136, v6, v1
	v_fma_f32 v2, v5, v1, -v2
	s_delay_alu instid0(VALU_DEP_4) | instskip(NEXT) | instid1(VALU_DEP_4)
	v_add_f32_e32 v21, v21, v127
	v_dual_add_f32 v22, v133, v22 :: v_dual_mul_f32 v127, v7, v4
	s_wait_loadcnt_dscnt 0x101
	v_dual_mul_f32 v4, v8, v4 :: v_dual_mul_f32 v133, v13, v10
	s_delay_alu instid0(VALU_DEP_2) | instskip(NEXT) | instid1(VALU_DEP_3)
	v_dual_add_f32 v21, v21, v128 :: v_dual_add_f32 v22, v22, v126
	v_dual_mul_f32 v6, v14, v10 :: v_dual_fmac_f32 v127, v8, v3
	s_delay_alu instid0(VALU_DEP_3) | instskip(NEXT) | instid1(VALU_DEP_3)
	v_fma_f32 v3, v7, v3, -v4
	v_dual_add_f32 v21, v21, v131 :: v_dual_add_f32 v22, v22, v129
	v_mul_f32_e32 v137, v15, v12
	v_dual_mul_f32 v4, v16, v12 :: v_dual_fmac_f32 v133, v14, v9
	s_delay_alu instid0(VALU_DEP_3) | instskip(NEXT) | instid1(VALU_DEP_4)
	v_add_f32_e32 v1, v21, v132
	v_add_f32_e32 v5, v22, v130
	s_wait_loadcnt_dscnt 0x0
	v_dual_mul_f32 v126, v122, v18 :: v_dual_fmac_f32 v137, v16, v11
	v_fma_f32 v4, v15, v11, -v4
	v_add_f32_e32 v1, v1, v2
	v_add_f32_e32 v2, v5, v136
	v_fma_f32 v5, v13, v9, -v6
	v_mul_f32_e32 v128, v124, v20
	s_delay_alu instid0(VALU_DEP_4) | instskip(NEXT) | instid1(VALU_DEP_4)
	v_dual_fmac_f32 v126, v123, v17 :: v_dual_add_f32 v1, v1, v3
	v_dual_add_f32 v2, v2, v127 :: v_dual_mul_f32 v3, v123, v18
	s_delay_alu instid0(VALU_DEP_3) | instskip(NEXT) | instid1(VALU_DEP_3)
	v_fmac_f32_e32 v128, v125, v19
	v_add_f32_e32 v1, v1, v5
	s_delay_alu instid0(VALU_DEP_3) | instskip(NEXT) | instid1(VALU_DEP_4)
	v_dual_add_f32 v2, v2, v133 :: v_dual_mul_f32 v5, v125, v20
	v_fma_f32 v3, v122, v17, -v3
	s_delay_alu instid0(VALU_DEP_2) | instskip(NEXT) | instid1(VALU_DEP_3)
	v_dual_add_f32 v1, v1, v4 :: v_dual_add_f32 v2, v2, v137
	v_fma_f32 v4, v124, v19, -v5
	s_delay_alu instid0(VALU_DEP_2) | instskip(NEXT) | instid1(VALU_DEP_1)
	v_dual_add_f32 v1, v1, v3 :: v_dual_add_f32 v2, v2, v126
	v_add_f32_e32 v1, v1, v4
	s_delay_alu instid0(VALU_DEP_2) | instskip(NEXT) | instid1(VALU_DEP_1)
	v_add_f32_e32 v2, v2, v128
	v_dual_sub_f32 v1, v134, v1 :: v_dual_sub_f32 v2, v135, v2
	scratch_store_b64 off, v[1:2], off offset:16
	v_cmpx_lt_u32_e32 1, v0
	s_cbranch_execz .LBB112_305
; %bb.304:
	scratch_load_b64 v[1:2], off, off offset:8
	v_mov_b32_e32 v3, 0
	s_delay_alu instid0(VALU_DEP_1)
	v_mov_b32_e32 v4, v3
	scratch_store_b64 off, v[3:4], off offset:8
	s_wait_loadcnt 0x0
	ds_store_b64 v23, v[1:2]
.LBB112_305:
	s_wait_alu 0xfffe
	s_or_b32 exec_lo, exec_lo, s0
	s_wait_storecnt_dscnt 0x0
	s_barrier_signal -1
	s_barrier_wait -1
	global_inv scope:SCOPE_SE
	s_clause 0x4
	scratch_load_b128 v[5:8], off, off offset:16
	scratch_load_b128 v[1:4], off, off offset:32
	;; [unrolled: 1-line block ×5, first 2 shown]
	v_mov_b32_e32 v122, 0
	ds_load_b128 v[123:126], v122 offset:416
	ds_load_b128 v[127:130], v122 offset:432
	;; [unrolled: 1-line block ×3, first 2 shown]
	scratch_load_b64 v[21:22], off, off offset:8
	s_mov_b32 s0, exec_lo
	s_wait_loadcnt_dscnt 0x502
	v_mul_f32_e32 v135, v124, v6
	v_dual_mul_f32 v136, v123, v6 :: v_dual_mul_f32 v137, v125, v8
	v_mul_f32_e32 v6, v126, v8
	s_delay_alu instid0(VALU_DEP_3) | instskip(NEXT) | instid1(VALU_DEP_3)
	v_fma_f32 v123, v123, v5, -v135
	v_dual_fmac_f32 v136, v124, v5 :: v_dual_fmac_f32 v137, v126, v7
	s_delay_alu instid0(VALU_DEP_3)
	v_fma_f32 v124, v125, v7, -v6
	ds_load_b128 v[5:8], v122 offset:464
	s_wait_loadcnt_dscnt 0x402
	v_dual_mul_f32 v125, v127, v2 :: v_dual_mul_f32 v126, v129, v4
	s_wait_loadcnt_dscnt 0x301
	v_dual_mul_f32 v135, v131, v10 :: v_dual_mul_f32 v4, v130, v4
	v_mul_f32_e32 v10, v132, v10
	v_mul_f32_e32 v138, v133, v12
	;; [unrolled: 1-line block ×4, first 2 shown]
	v_dual_fmac_f32 v125, v128, v1 :: v_dual_fmac_f32 v126, v130, v3
	v_fma_f32 v128, v129, v3, -v4
	v_fmac_f32_e32 v135, v132, v9
	v_fma_f32 v129, v131, v9, -v10
	v_fmac_f32_e32 v138, v134, v11
	v_fma_f32 v130, v133, v11, -v12
	ds_load_b128 v[9:12], v122 offset:480
	s_wait_loadcnt_dscnt 0x201
	v_mul_f32_e32 v131, v5, v14
	v_mul_f32_e32 v14, v6, v14
	;; [unrolled: 1-line block ×3, first 2 shown]
	s_delay_alu instid0(VALU_DEP_3)
	v_dual_mul_f32 v16, v8, v16 :: v_dual_fmac_f32 v131, v6, v13
	v_fma_f32 v127, v127, v1, -v2
	scratch_load_b128 v[1:4], off, off offset:96
	v_fma_f32 v13, v5, v13, -v14
	v_fmac_f32_e32 v132, v8, v15
	v_fma_f32 v14, v7, v15, -v16
	ds_load_b128 v[5:8], v122 offset:496
	s_wait_loadcnt_dscnt 0x201
	v_mul_f32_e32 v15, v9, v18
	v_mul_f32_e32 v16, v10, v18
	;; [unrolled: 1-line block ×3, first 2 shown]
	s_delay_alu instid0(VALU_DEP_3) | instskip(NEXT) | instid1(VALU_DEP_3)
	v_dual_mul_f32 v20, v12, v20 :: v_dual_fmac_f32 v15, v10, v17
	v_fma_f32 v16, v9, v17, -v16
	s_delay_alu instid0(VALU_DEP_3) | instskip(NEXT) | instid1(VALU_DEP_3)
	v_fmac_f32_e32 v18, v12, v19
	v_fma_f32 v17, v11, v19, -v20
	scratch_load_b128 v[9:12], off, off offset:112
	s_wait_loadcnt_dscnt 0x100
	v_mul_f32_e32 v19, v5, v2
	v_mul_f32_e32 v2, v6, v2
	;; [unrolled: 1-line block ×3, first 2 shown]
	s_delay_alu instid0(VALU_DEP_3) | instskip(NEXT) | instid1(VALU_DEP_3)
	v_dual_mul_f32 v4, v8, v4 :: v_dual_fmac_f32 v19, v6, v1
	v_fma_f32 v133, v5, v1, -v2
	s_delay_alu instid0(VALU_DEP_3) | instskip(NEXT) | instid1(VALU_DEP_3)
	v_fmac_f32_e32 v20, v8, v3
	v_fma_f32 v134, v7, v3, -v4
	ds_load_b128 v[1:4], v122 offset:512
	ds_load_b128 v[5:8], v122 offset:528
	s_wait_loadcnt_dscnt 0x1
	v_mul_f32_e32 v139, v1, v10
	v_mul_f32_e32 v10, v2, v10
	s_delay_alu instid0(VALU_DEP_2) | instskip(NEXT) | instid1(VALU_DEP_2)
	v_dual_mul_f32 v140, v3, v12 :: v_dual_fmac_f32 v139, v2, v9
	v_fma_f32 v141, v1, v9, -v10
	v_mul_f32_e32 v1, v4, v12
	s_delay_alu instid0(VALU_DEP_3) | instskip(NEXT) | instid1(VALU_DEP_2)
	v_fmac_f32_e32 v140, v4, v11
	v_fma_f32 v142, v3, v11, -v1
	s_clause 0x1
	scratch_load_b128 v[1:4], off, off offset:128
	scratch_load_b128 v[9:12], off, off offset:144
	s_wait_loadcnt_dscnt 0x100
	v_mul_f32_e32 v143, v5, v2
	v_dual_mul_f32 v2, v6, v2 :: v_dual_mul_f32 v145, v7, v4
	s_delay_alu instid0(VALU_DEP_2) | instskip(NEXT) | instid1(VALU_DEP_2)
	v_fmac_f32_e32 v143, v6, v1
	v_fma_f32 v144, v5, v1, -v2
	v_mul_f32_e32 v1, v8, v4
	s_delay_alu instid0(VALU_DEP_4) | instskip(NEXT) | instid1(VALU_DEP_2)
	v_fmac_f32_e32 v145, v8, v3
	v_fma_f32 v146, v7, v3, -v1
	ds_load_b128 v[1:4], v122 offset:544
	ds_load_b128 v[5:8], v122 offset:560
	s_wait_loadcnt_dscnt 0x1
	v_mul_f32_e32 v147, v1, v10
	v_mul_f32_e32 v149, v3, v12
	s_delay_alu instid0(VALU_DEP_2) | instskip(NEXT) | instid1(VALU_DEP_2)
	v_fmac_f32_e32 v147, v2, v9
	v_dual_mul_f32 v2, v2, v10 :: v_dual_fmac_f32 v149, v4, v11
	s_delay_alu instid0(VALU_DEP_1) | instskip(SKIP_1) | instid1(VALU_DEP_1)
	v_fma_f32 v148, v1, v9, -v2
	v_mul_f32_e32 v1, v4, v12
	v_fma_f32 v150, v3, v11, -v1
	s_clause 0x1
	scratch_load_b128 v[1:4], off, off offset:160
	scratch_load_b128 v[9:12], off, off offset:176
	s_wait_loadcnt_dscnt 0x100
	v_mul_f32_e32 v151, v5, v2
	v_dual_mul_f32 v153, v7, v4 :: v_dual_mul_f32 v2, v6, v2
	s_delay_alu instid0(VALU_DEP_2) | instskip(NEXT) | instid1(VALU_DEP_2)
	v_fmac_f32_e32 v151, v6, v1
	v_fmac_f32_e32 v153, v8, v3
	s_delay_alu instid0(VALU_DEP_3) | instskip(SKIP_1) | instid1(VALU_DEP_1)
	v_fma_f32 v152, v5, v1, -v2
	v_mul_f32_e32 v1, v8, v4
	v_fma_f32 v154, v7, v3, -v1
	ds_load_b128 v[1:4], v122 offset:576
	ds_load_b128 v[5:8], v122 offset:592
	s_wait_loadcnt_dscnt 0x1
	v_mul_f32_e32 v155, v1, v10
	v_mul_f32_e32 v157, v3, v12
	s_delay_alu instid0(VALU_DEP_2) | instskip(NEXT) | instid1(VALU_DEP_2)
	v_fmac_f32_e32 v155, v2, v9
	v_dual_mul_f32 v2, v2, v10 :: v_dual_fmac_f32 v157, v4, v11
	s_delay_alu instid0(VALU_DEP_1) | instskip(SKIP_1) | instid1(VALU_DEP_1)
	v_fma_f32 v156, v1, v9, -v2
	v_mul_f32_e32 v1, v4, v12
	v_fma_f32 v158, v3, v11, -v1
	s_clause 0x1
	scratch_load_b128 v[1:4], off, off offset:192
	scratch_load_b128 v[9:12], off, off offset:208
	s_wait_loadcnt_dscnt 0x100
	v_mul_f32_e32 v159, v5, v2
	v_dual_mul_f32 v2, v6, v2 :: v_dual_mul_f32 v161, v7, v4
	s_delay_alu instid0(VALU_DEP_2) | instskip(NEXT) | instid1(VALU_DEP_2)
	v_fmac_f32_e32 v159, v6, v1
	v_fma_f32 v160, v5, v1, -v2
	v_mul_f32_e32 v1, v8, v4
	s_delay_alu instid0(VALU_DEP_4) | instskip(NEXT) | instid1(VALU_DEP_2)
	v_fmac_f32_e32 v161, v8, v3
	v_fma_f32 v162, v7, v3, -v1
	ds_load_b128 v[1:4], v122 offset:608
	ds_load_b128 v[5:8], v122 offset:624
	s_wait_loadcnt_dscnt 0x1
	v_mul_f32_e32 v163, v1, v10
	v_mul_f32_e32 v165, v3, v12
	s_delay_alu instid0(VALU_DEP_2) | instskip(NEXT) | instid1(VALU_DEP_2)
	v_fmac_f32_e32 v163, v2, v9
	v_dual_mul_f32 v2, v2, v10 :: v_dual_fmac_f32 v165, v4, v11
	s_delay_alu instid0(VALU_DEP_1) | instskip(SKIP_1) | instid1(VALU_DEP_1)
	v_fma_f32 v164, v1, v9, -v2
	v_mul_f32_e32 v1, v4, v12
	v_fma_f32 v166, v3, v11, -v1
	s_clause 0x1
	scratch_load_b128 v[1:4], off, off offset:224
	scratch_load_b128 v[9:12], off, off offset:240
	s_wait_loadcnt_dscnt 0x100
	v_mul_f32_e32 v167, v5, v2
	v_dual_mul_f32 v2, v6, v2 :: v_dual_mul_f32 v169, v7, v4
	s_delay_alu instid0(VALU_DEP_2) | instskip(NEXT) | instid1(VALU_DEP_2)
	v_fmac_f32_e32 v167, v6, v1
	v_fma_f32 v168, v5, v1, -v2
	v_mul_f32_e32 v1, v8, v4
	s_delay_alu instid0(VALU_DEP_4) | instskip(NEXT) | instid1(VALU_DEP_2)
	v_fmac_f32_e32 v169, v8, v3
	v_fma_f32 v170, v7, v3, -v1
	ds_load_b128 v[1:4], v122 offset:640
	ds_load_b128 v[5:8], v122 offset:656
	s_wait_loadcnt_dscnt 0x1
	v_mul_f32_e32 v171, v1, v10
	v_mul_f32_e32 v173, v3, v12
	s_delay_alu instid0(VALU_DEP_2) | instskip(NEXT) | instid1(VALU_DEP_2)
	v_fmac_f32_e32 v171, v2, v9
	v_dual_mul_f32 v2, v2, v10 :: v_dual_fmac_f32 v173, v4, v11
	s_delay_alu instid0(VALU_DEP_1) | instskip(SKIP_1) | instid1(VALU_DEP_1)
	v_fma_f32 v172, v1, v9, -v2
	v_mul_f32_e32 v1, v4, v12
	v_fma_f32 v174, v3, v11, -v1
	s_clause 0x1
	scratch_load_b128 v[1:4], off, off offset:256
	scratch_load_b128 v[9:12], off, off offset:272
	s_wait_loadcnt_dscnt 0x100
	v_mul_f32_e32 v175, v5, v2
	v_dual_mul_f32 v2, v6, v2 :: v_dual_mul_f32 v177, v7, v4
	s_delay_alu instid0(VALU_DEP_1) | instskip(NEXT) | instid1(VALU_DEP_3)
	v_fma_f32 v176, v5, v1, -v2
	v_fmac_f32_e32 v175, v6, v1
	v_mul_f32_e32 v1, v8, v4
	s_delay_alu instid0(VALU_DEP_4) | instskip(NEXT) | instid1(VALU_DEP_2)
	v_fmac_f32_e32 v177, v8, v3
	v_fma_f32 v178, v7, v3, -v1
	ds_load_b128 v[1:4], v122 offset:672
	ds_load_b128 v[5:8], v122 offset:688
	s_wait_loadcnt_dscnt 0x1
	v_mul_f32_e32 v179, v1, v10
	v_mul_f32_e32 v181, v3, v12
	s_delay_alu instid0(VALU_DEP_2) | instskip(NEXT) | instid1(VALU_DEP_2)
	v_fmac_f32_e32 v179, v2, v9
	v_dual_mul_f32 v2, v2, v10 :: v_dual_fmac_f32 v181, v4, v11
	s_delay_alu instid0(VALU_DEP_1) | instskip(SKIP_1) | instid1(VALU_DEP_1)
	v_fma_f32 v180, v1, v9, -v2
	v_mul_f32_e32 v1, v4, v12
	v_fma_f32 v182, v3, v11, -v1
	s_clause 0x1
	scratch_load_b128 v[1:4], off, off offset:288
	scratch_load_b128 v[9:12], off, off offset:304
	s_wait_loadcnt_dscnt 0x100
	v_mul_f32_e32 v183, v5, v2
	v_mul_f32_e32 v2, v6, v2
	s_delay_alu instid0(VALU_DEP_2) | instskip(NEXT) | instid1(VALU_DEP_2)
	v_fmac_f32_e32 v183, v6, v1
	v_fma_f32 v184, v5, v1, -v2
	v_add_f32_e32 v2, 0, v136
	s_delay_alu instid0(VALU_DEP_1) | instskip(NEXT) | instid1(VALU_DEP_1)
	v_dual_mul_f32 v1, v8, v4 :: v_dual_add_f32 v2, v2, v137
	v_fma_f32 v186, v7, v3, -v1
	s_delay_alu instid0(VALU_DEP_2) | instskip(NEXT) | instid1(VALU_DEP_1)
	v_add_f32_e32 v2, v2, v125
	v_add_f32_e32 v2, v2, v126
	s_delay_alu instid0(VALU_DEP_1) | instskip(NEXT) | instid1(VALU_DEP_1)
	v_add_f32_e32 v2, v2, v135
	v_add_f32_e32 v2, v2, v138
	s_delay_alu instid0(VALU_DEP_1) | instskip(NEXT) | instid1(VALU_DEP_1)
	v_add_f32_e32 v2, v2, v131
	v_dual_add_f32 v2, v2, v132 :: v_dual_add_f32 v1, 0, v123
	s_delay_alu instid0(VALU_DEP_1) | instskip(NEXT) | instid1(VALU_DEP_1)
	v_dual_add_f32 v2, v2, v15 :: v_dual_add_f32 v1, v1, v124
	v_dual_add_f32 v2, v2, v18 :: v_dual_add_f32 v1, v1, v127
	s_delay_alu instid0(VALU_DEP_1) | instskip(SKIP_2) | instid1(VALU_DEP_1)
	v_dual_add_f32 v2, v2, v19 :: v_dual_add_f32 v1, v1, v128
	scratch_load_b64 v[127:128], off, off offset:384
	v_dual_add_f32 v2, v2, v20 :: v_dual_add_f32 v1, v1, v129
	v_dual_add_f32 v2, v2, v139 :: v_dual_add_f32 v1, v1, v130
	s_delay_alu instid0(VALU_DEP_1) | instskip(NEXT) | instid1(VALU_DEP_1)
	v_dual_add_f32 v2, v2, v140 :: v_dual_add_f32 v1, v1, v13
	v_dual_add_f32 v2, v2, v143 :: v_dual_add_f32 v1, v1, v14
	s_delay_alu instid0(VALU_DEP_1) | instskip(NEXT) | instid1(VALU_DEP_1)
	;; [unrolled: 3-line block ×3, first 2 shown]
	v_add_f32_e32 v2, v2, v149
	v_dual_add_f32 v1, v1, v133 :: v_dual_add_f32 v2, v2, v151
	s_delay_alu instid0(VALU_DEP_1) | instskip(NEXT) | instid1(VALU_DEP_1)
	v_dual_add_f32 v1, v1, v134 :: v_dual_add_f32 v2, v2, v153
	v_add_f32_e32 v1, v1, v141
	s_delay_alu instid0(VALU_DEP_1) | instskip(NEXT) | instid1(VALU_DEP_1)
	v_add_f32_e32 v1, v1, v142
	v_add_f32_e32 v1, v1, v144
	s_delay_alu instid0(VALU_DEP_1) | instskip(NEXT) | instid1(VALU_DEP_1)
	v_add_f32_e32 v1, v1, v146
	;; [unrolled: 3-line block ×5, first 2 shown]
	v_add_f32_e32 v6, v1, v160
	v_dual_add_f32 v2, v2, v155 :: v_dual_mul_f32 v185, v7, v4
	s_delay_alu instid0(VALU_DEP_2) | instskip(NEXT) | instid1(VALU_DEP_2)
	v_add_f32_e32 v14, v6, v162
	v_add_f32_e32 v5, v2, v157
	s_delay_alu instid0(VALU_DEP_1) | instskip(NEXT) | instid1(VALU_DEP_1)
	v_dual_add_f32 v14, v14, v164 :: v_dual_add_f32 v13, v5, v159
	v_add_f32_e32 v17, v14, v166
	s_delay_alu instid0(VALU_DEP_2) | instskip(NEXT) | instid1(VALU_DEP_2)
	v_add_f32_e32 v13, v13, v161
	v_add_f32_e32 v17, v17, v168
	s_delay_alu instid0(VALU_DEP_2)
	v_add_f32_e32 v13, v13, v163
	v_fmac_f32_e32 v185, v8, v3
	scratch_load_b128 v[1:4], off, off offset:320
	ds_load_b128 v[5:8], v122 offset:704
	v_add_f32_e32 v17, v17, v170
	v_add_f32_e32 v18, v13, v165
	ds_load_b128 v[13:16], v122 offset:720
	v_add_f32_e32 v17, v17, v172
	s_delay_alu instid0(VALU_DEP_1) | instskip(SKIP_1) | instid1(VALU_DEP_1)
	v_add_f32_e32 v124, v17, v174
	s_wait_loadcnt_dscnt 0x201
	v_dual_add_f32 v124, v124, v176 :: v_dual_mul_f32 v131, v5, v10
	v_mul_f32_e32 v10, v6, v10
	v_mul_f32_e32 v132, v7, v12
	;; [unrolled: 1-line block ×3, first 2 shown]
	s_delay_alu instid0(VALU_DEP_4) | instskip(NEXT) | instid1(VALU_DEP_4)
	v_dual_add_f32 v124, v124, v178 :: v_dual_fmac_f32 v131, v6, v9
	v_fma_f32 v133, v5, v9, -v10
	s_delay_alu instid0(VALU_DEP_4) | instskip(NEXT) | instid1(VALU_DEP_4)
	v_fmac_f32_e32 v132, v8, v11
	v_fma_f32 v134, v7, v11, -v12
	scratch_load_b128 v[5:8], off, off offset:336
	v_add_f32_e32 v18, v18, v167
	scratch_load_b128 v[9:12], off, off offset:352
	v_add_f32_e32 v124, v124, v180
	v_add_f32_e32 v18, v18, v169
	s_delay_alu instid0(VALU_DEP_1) | instskip(SKIP_2) | instid1(VALU_DEP_1)
	v_add_f32_e32 v123, v18, v171
	scratch_load_b128 v[17:20], off, off offset:368
	v_add_f32_e32 v123, v123, v173
	v_add_f32_e32 v123, v123, v175
	s_delay_alu instid0(VALU_DEP_1) | instskip(SKIP_4) | instid1(VALU_DEP_3)
	v_add_f32_e32 v123, v123, v177
	s_wait_loadcnt_dscnt 0x300
	v_mul_f32_e32 v135, v13, v2
	v_mul_f32_e32 v2, v14, v2
	;; [unrolled: 1-line block ×3, first 2 shown]
	v_dual_mul_f32 v4, v16, v4 :: v_dual_fmac_f32 v135, v14, v1
	s_delay_alu instid0(VALU_DEP_3) | instskip(SKIP_1) | instid1(VALU_DEP_4)
	v_fma_f32 v137, v13, v1, -v2
	v_dual_add_f32 v13, v123, v179 :: v_dual_add_f32 v14, v124, v182
	v_fmac_f32_e32 v136, v16, v3
	s_delay_alu instid0(VALU_DEP_4)
	v_fma_f32 v138, v15, v3, -v4
	ds_load_b128 v[1:4], v122 offset:736
	v_add_f32_e32 v123, v13, v181
	v_add_f32_e32 v129, v14, v184
	ds_load_b128 v[13:16], v122 offset:752
	v_dual_add_f32 v130, v123, v183 :: v_dual_add_f32 v139, v129, v186
	ds_load_b128 v[123:126], v122 offset:768
	v_add_f32_e32 v140, v130, v185
	v_add_f32_e32 v133, v139, v133
	ds_load_b64 v[129:130], v122 offset:784
	v_add_f32_e32 v131, v140, v131
	v_add_f32_e32 v133, v133, v134
	s_wait_loadcnt_dscnt 0x203
	v_mul_f32_e32 v139, v1, v6
	s_delay_alu instid0(VALU_DEP_3) | instskip(NEXT) | instid1(VALU_DEP_3)
	v_dual_add_f32 v131, v131, v132 :: v_dual_mul_f32 v6, v2, v6
	v_dual_add_f32 v133, v133, v137 :: v_dual_mul_f32 v132, v3, v8
	s_delay_alu instid0(VALU_DEP_2) | instskip(NEXT) | instid1(VALU_DEP_3)
	v_dual_mul_f32 v8, v4, v8 :: v_dual_add_f32 v131, v131, v135
	v_fma_f32 v1, v1, v5, -v6
	s_delay_alu instid0(VALU_DEP_3)
	v_add_f32_e32 v133, v133, v138
	s_wait_loadcnt_dscnt 0x102
	v_dual_fmac_f32 v139, v2, v5 :: v_dual_mul_f32 v134, v13, v10
	v_dual_add_f32 v131, v131, v136 :: v_dual_fmac_f32 v132, v4, v7
	v_fma_f32 v2, v3, v7, -v8
	v_mul_f32_e32 v3, v14, v10
	s_delay_alu instid0(VALU_DEP_3) | instskip(SKIP_2) | instid1(VALU_DEP_4)
	v_dual_add_f32 v1, v133, v1 :: v_dual_add_f32 v4, v131, v139
	v_mul_f32_e32 v135, v15, v12
	v_dual_mul_f32 v5, v16, v12 :: v_dual_fmac_f32 v134, v14, v9
	v_fma_f32 v3, v13, v9, -v3
	s_delay_alu instid0(VALU_DEP_4)
	v_dual_add_f32 v1, v1, v2 :: v_dual_add_f32 v2, v4, v132
	s_wait_loadcnt_dscnt 0x1
	v_mul_f32_e32 v137, v123, v18
	v_mul_f32_e32 v4, v124, v18
	v_fmac_f32_e32 v135, v16, v11
	v_fma_f32 v5, v15, v11, -v5
	v_dual_add_f32 v1, v1, v3 :: v_dual_add_f32 v2, v2, v134
	v_mul_f32_e32 v138, v125, v20
	v_mul_f32_e32 v3, v126, v20
	v_fmac_f32_e32 v137, v124, v17
	v_fma_f32 v4, v123, v17, -v4
	v_dual_add_f32 v1, v1, v5 :: v_dual_add_f32 v2, v2, v135
	s_wait_dscnt 0x0
	v_mul_f32_e32 v136, v129, v128
	v_mul_f32_e32 v5, v130, v128
	v_fmac_f32_e32 v138, v126, v19
	v_fma_f32 v3, v125, v19, -v3
	v_dual_add_f32 v1, v1, v4 :: v_dual_add_f32 v2, v2, v137
	v_fmac_f32_e32 v136, v130, v127
	v_fma_f32 v4, v129, v127, -v5
	s_delay_alu instid0(VALU_DEP_3) | instskip(NEXT) | instid1(VALU_DEP_1)
	v_dual_add_f32 v1, v1, v3 :: v_dual_add_f32 v2, v2, v138
	v_add_f32_e32 v1, v1, v4
	s_delay_alu instid0(VALU_DEP_1) | instskip(NEXT) | instid1(VALU_DEP_1)
	v_dual_add_f32 v2, v2, v136 :: v_dual_sub_f32 v1, v21, v1
	v_sub_f32_e32 v2, v22, v2
	scratch_store_b64 off, v[1:2], off offset:8
	v_cmpx_ne_u32_e32 0, v0
	s_cbranch_execz .LBB112_307
; %bb.306:
	scratch_load_b64 v[0:1], off, off
	v_mov_b32_e32 v123, v122
	scratch_store_b64 off, v[122:123], off
	s_wait_loadcnt 0x0
	ds_store_b64 v23, v[0:1]
.LBB112_307:
	s_wait_alu 0xfffe
	s_or_b32 exec_lo, exec_lo, s0
	s_wait_storecnt_dscnt 0x0
	s_barrier_signal -1
	s_barrier_wait -1
	global_inv scope:SCOPE_SE
	s_clause 0x6
	scratch_load_b128 v[0:3], off, off offset:8
	scratch_load_b128 v[4:7], off, off offset:24
	;; [unrolled: 1-line block ×7, first 2 shown]
	ds_load_2addr_b64 v[127:130], v122 offset0:51 offset1:52
	ds_load_2addr_b64 v[131:134], v122 offset0:53 offset1:54
	scratch_load_b64 v[135:136], off, off
	s_and_b32 vcc_lo, exec_lo, s12
	s_wait_loadcnt_dscnt 0x701
	v_mul_f32_e32 v137, v128, v1
	v_dual_mul_f32 v138, v127, v1 :: v_dual_mul_f32 v139, v129, v3
	s_delay_alu instid0(VALU_DEP_1) | instskip(NEXT) | instid1(VALU_DEP_2)
	v_dual_mul_f32 v1, v130, v3 :: v_dual_fmac_f32 v138, v128, v0
	v_fmac_f32_e32 v139, v130, v2
	s_delay_alu instid0(VALU_DEP_2)
	v_fma_f32 v128, v129, v2, -v1
	s_wait_loadcnt_dscnt 0x600
	v_mul_f32_e32 v130, v133, v7
	v_fma_f32 v127, v127, v0, -v137
	ds_load_2addr_b64 v[0:3], v122 offset0:55 offset1:56
	v_mul_f32_e32 v129, v131, v5
	v_mul_f32_e32 v5, v132, v5
	;; [unrolled: 1-line block ×3, first 2 shown]
	s_delay_alu instid0(VALU_DEP_3) | instskip(NEXT) | instid1(VALU_DEP_3)
	v_dual_fmac_f32 v130, v134, v6 :: v_dual_fmac_f32 v129, v132, v4
	v_fma_f32 v131, v131, v4, -v5
	s_delay_alu instid0(VALU_DEP_3)
	v_fma_f32 v132, v133, v6, -v7
	ds_load_2addr_b64 v[4:7], v122 offset0:57 offset1:58
	s_wait_loadcnt_dscnt 0x501
	v_mul_f32_e32 v133, v0, v9
	v_dual_mul_f32 v9, v1, v9 :: v_dual_mul_f32 v134, v2, v11
	v_mul_f32_e32 v11, v3, v11
	s_delay_alu instid0(VALU_DEP_3) | instskip(NEXT) | instid1(VALU_DEP_3)
	v_fmac_f32_e32 v133, v1, v8
	v_fma_f32 v137, v0, v8, -v9
	s_delay_alu instid0(VALU_DEP_4) | instskip(NEXT) | instid1(VALU_DEP_4)
	v_fmac_f32_e32 v134, v3, v10
	v_fma_f32 v140, v2, v10, -v11
	ds_load_2addr_b64 v[0:3], v122 offset0:59 offset1:60
	s_wait_loadcnt_dscnt 0x401
	v_mul_f32_e32 v141, v4, v13
	v_dual_mul_f32 v8, v5, v13 :: v_dual_mul_f32 v13, v6, v15
	v_mul_f32_e32 v9, v7, v15
	s_delay_alu instid0(VALU_DEP_3) | instskip(NEXT) | instid1(VALU_DEP_3)
	v_fmac_f32_e32 v141, v5, v12
	v_fma_f32 v12, v4, v12, -v8
	s_delay_alu instid0(VALU_DEP_4) | instskip(NEXT) | instid1(VALU_DEP_4)
	v_fmac_f32_e32 v13, v7, v14
	;; [unrolled: 11-line block ×4, first 2 shown]
	v_fma_f32 v22, v6, v22, -v9
	ds_load_2addr_b64 v[4:7], v122 offset0:65 offset1:66
	s_wait_loadcnt_dscnt 0x101
	v_mul_f32_e32 v23, v0, v124
	v_mul_f32_e32 v8, v1, v124
	;; [unrolled: 1-line block ×4, first 2 shown]
	s_delay_alu instid0(VALU_DEP_4) | instskip(NEXT) | instid1(VALU_DEP_4)
	v_fmac_f32_e32 v23, v1, v123
	v_fma_f32 v123, v0, v123, -v8
	s_delay_alu instid0(VALU_DEP_4) | instskip(NEXT) | instid1(VALU_DEP_4)
	v_fmac_f32_e32 v124, v3, v125
	v_fma_f32 v125, v2, v125, -v9
	s_clause 0x1
	scratch_load_b128 v[0:3], off, off offset:120
	scratch_load_b128 v[8:11], off, off offset:136
	s_wait_loadcnt_dscnt 0x100
	v_mul_f32_e32 v126, v4, v1
	v_mul_f32_e32 v1, v5, v1
	s_delay_alu instid0(VALU_DEP_2) | instskip(NEXT) | instid1(VALU_DEP_2)
	v_dual_mul_f32 v143, v6, v3 :: v_dual_fmac_f32 v126, v5, v0
	v_fma_f32 v142, v4, v0, -v1
	v_mul_f32_e32 v0, v7, v3
	s_delay_alu instid0(VALU_DEP_3) | instskip(NEXT) | instid1(VALU_DEP_2)
	v_fmac_f32_e32 v143, v7, v2
	v_fma_f32 v144, v6, v2, -v0
	ds_load_2addr_b64 v[0:3], v122 offset0:67 offset1:68
	ds_load_2addr_b64 v[4:7], v122 offset0:69 offset1:70
	s_wait_loadcnt_dscnt 0x1
	v_mul_f32_e32 v145, v0, v9
	v_mul_f32_e32 v147, v2, v11
	s_delay_alu instid0(VALU_DEP_2) | instskip(SKIP_1) | instid1(VALU_DEP_3)
	v_fmac_f32_e32 v145, v1, v8
	v_mul_f32_e32 v1, v1, v9
	v_fmac_f32_e32 v147, v3, v10
	s_delay_alu instid0(VALU_DEP_2) | instskip(SKIP_1) | instid1(VALU_DEP_1)
	v_fma_f32 v146, v0, v8, -v1
	v_mul_f32_e32 v0, v3, v11
	v_fma_f32 v148, v2, v10, -v0
	s_clause 0x1
	scratch_load_b128 v[0:3], off, off offset:152
	scratch_load_b128 v[8:11], off, off offset:168
	s_wait_loadcnt_dscnt 0x100
	v_mul_f32_e32 v149, v4, v1
	v_mul_f32_e32 v1, v5, v1
	v_mul_f32_e32 v151, v6, v3
	s_delay_alu instid0(VALU_DEP_3) | instskip(NEXT) | instid1(VALU_DEP_3)
	v_fmac_f32_e32 v149, v5, v0
	v_fma_f32 v150, v4, v0, -v1
	v_mul_f32_e32 v0, v7, v3
	s_delay_alu instid0(VALU_DEP_4) | instskip(NEXT) | instid1(VALU_DEP_2)
	v_fmac_f32_e32 v151, v7, v2
	v_fma_f32 v152, v6, v2, -v0
	ds_load_2addr_b64 v[0:3], v122 offset0:71 offset1:72
	ds_load_2addr_b64 v[4:7], v122 offset0:73 offset1:74
	s_wait_loadcnt_dscnt 0x1
	v_mul_f32_e32 v153, v0, v9
	s_delay_alu instid0(VALU_DEP_1) | instskip(SKIP_1) | instid1(VALU_DEP_1)
	v_fmac_f32_e32 v153, v1, v8
	v_mul_f32_e32 v1, v1, v9
	v_fma_f32 v154, v0, v8, -v1
	v_mul_f32_e32 v155, v2, v11
	v_mul_f32_e32 v0, v3, v11
	s_delay_alu instid0(VALU_DEP_1) | instskip(NEXT) | instid1(VALU_DEP_3)
	v_fma_f32 v156, v2, v10, -v0
	v_fmac_f32_e32 v155, v3, v10
	s_clause 0x1
	scratch_load_b128 v[0:3], off, off offset:184
	scratch_load_b128 v[8:11], off, off offset:200
	s_wait_loadcnt_dscnt 0x100
	v_mul_f32_e32 v157, v4, v1
	v_mul_f32_e32 v1, v5, v1
	v_mul_f32_e32 v159, v6, v3
	s_delay_alu instid0(VALU_DEP_2) | instskip(NEXT) | instid1(VALU_DEP_4)
	v_fma_f32 v158, v4, v0, -v1
	v_dual_fmac_f32 v157, v5, v0 :: v_dual_mul_f32 v0, v7, v3
	s_delay_alu instid0(VALU_DEP_3) | instskip(NEXT) | instid1(VALU_DEP_2)
	v_fmac_f32_e32 v159, v7, v2
	v_fma_f32 v160, v6, v2, -v0
	ds_load_2addr_b64 v[0:3], v122 offset0:75 offset1:76
	ds_load_2addr_b64 v[4:7], v122 offset0:77 offset1:78
	s_wait_loadcnt_dscnt 0x1
	v_mul_f32_e32 v161, v0, v9
	v_mul_f32_e32 v163, v2, v11
	s_delay_alu instid0(VALU_DEP_1) | instskip(NEXT) | instid1(VALU_DEP_3)
	v_fmac_f32_e32 v163, v3, v10
	v_fmac_f32_e32 v161, v1, v8
	v_mul_f32_e32 v1, v1, v9
	s_delay_alu instid0(VALU_DEP_1) | instskip(SKIP_1) | instid1(VALU_DEP_1)
	v_fma_f32 v162, v0, v8, -v1
	v_mul_f32_e32 v0, v3, v11
	v_fma_f32 v164, v2, v10, -v0
	s_clause 0x1
	scratch_load_b128 v[0:3], off, off offset:216
	scratch_load_b128 v[8:11], off, off offset:232
	s_wait_loadcnt_dscnt 0x100
	v_mul_f32_e32 v165, v4, v1
	v_mul_f32_e32 v1, v5, v1
	;; [unrolled: 1-line block ×3, first 2 shown]
	s_delay_alu instid0(VALU_DEP_3) | instskip(NEXT) | instid1(VALU_DEP_3)
	v_fmac_f32_e32 v165, v5, v0
	v_fma_f32 v166, v4, v0, -v1
	v_mul_f32_e32 v0, v7, v3
	s_delay_alu instid0(VALU_DEP_4) | instskip(NEXT) | instid1(VALU_DEP_2)
	v_fmac_f32_e32 v167, v7, v2
	v_fma_f32 v168, v6, v2, -v0
	ds_load_2addr_b64 v[0:3], v122 offset0:79 offset1:80
	ds_load_2addr_b64 v[4:7], v122 offset0:81 offset1:82
	s_wait_loadcnt_dscnt 0x1
	v_mul_f32_e32 v169, v0, v9
	v_mul_f32_e32 v171, v2, v11
	s_delay_alu instid0(VALU_DEP_2) | instskip(SKIP_1) | instid1(VALU_DEP_3)
	v_fmac_f32_e32 v169, v1, v8
	v_mul_f32_e32 v1, v1, v9
	v_fmac_f32_e32 v171, v3, v10
	s_delay_alu instid0(VALU_DEP_2) | instskip(SKIP_1) | instid1(VALU_DEP_1)
	v_fma_f32 v170, v0, v8, -v1
	v_mul_f32_e32 v0, v3, v11
	v_fma_f32 v172, v2, v10, -v0
	s_clause 0x1
	scratch_load_b128 v[0:3], off, off offset:248
	scratch_load_b128 v[8:11], off, off offset:264
	s_wait_loadcnt_dscnt 0x100
	v_mul_f32_e32 v173, v4, v1
	v_mul_f32_e32 v1, v5, v1
	;; [unrolled: 1-line block ×3, first 2 shown]
	s_delay_alu instid0(VALU_DEP_3) | instskip(NEXT) | instid1(VALU_DEP_3)
	v_fmac_f32_e32 v173, v5, v0
	v_fma_f32 v174, v4, v0, -v1
	v_mul_f32_e32 v0, v7, v3
	s_delay_alu instid0(VALU_DEP_4) | instskip(NEXT) | instid1(VALU_DEP_2)
	v_fmac_f32_e32 v175, v7, v2
	v_fma_f32 v176, v6, v2, -v0
	ds_load_2addr_b64 v[0:3], v122 offset0:83 offset1:84
	ds_load_2addr_b64 v[4:7], v122 offset0:85 offset1:86
	s_wait_loadcnt_dscnt 0x1
	v_mul_f32_e32 v177, v0, v9
	v_mul_f32_e32 v179, v2, v11
	s_delay_alu instid0(VALU_DEP_2) | instskip(SKIP_1) | instid1(VALU_DEP_3)
	v_fmac_f32_e32 v177, v1, v8
	v_mul_f32_e32 v1, v1, v9
	v_fmac_f32_e32 v179, v3, v10
	s_delay_alu instid0(VALU_DEP_2) | instskip(SKIP_1) | instid1(VALU_DEP_1)
	v_fma_f32 v178, v0, v8, -v1
	v_mul_f32_e32 v0, v3, v11
	v_fma_f32 v180, v2, v10, -v0
	s_clause 0x1
	scratch_load_b128 v[0:3], off, off offset:280
	scratch_load_b128 v[8:11], off, off offset:296
	s_wait_loadcnt_dscnt 0x100
	v_mul_f32_e32 v181, v4, v1
	v_mul_f32_e32 v1, v5, v1
	;; [unrolled: 1-line block ×3, first 2 shown]
	s_delay_alu instid0(VALU_DEP_3) | instskip(NEXT) | instid1(VALU_DEP_3)
	v_fmac_f32_e32 v181, v5, v0
	v_fma_f32 v182, v4, v0, -v1
	v_dual_mul_f32 v0, v7, v3 :: v_dual_add_f32 v1, 0, v138
	s_delay_alu instid0(VALU_DEP_4) | instskip(NEXT) | instid1(VALU_DEP_2)
	v_fmac_f32_e32 v183, v7, v2
	v_fma_f32 v184, v6, v2, -v0
	v_add_f32_e32 v0, 0, v127
	s_delay_alu instid0(VALU_DEP_1) | instskip(NEXT) | instid1(VALU_DEP_1)
	v_dual_add_f32 v1, v1, v139 :: v_dual_add_f32 v0, v0, v128
	v_dual_add_f32 v1, v1, v129 :: v_dual_add_f32 v0, v0, v131
	s_delay_alu instid0(VALU_DEP_1) | instskip(NEXT) | instid1(VALU_DEP_1)
	v_dual_add_f32 v1, v1, v130 :: v_dual_add_f32 v0, v0, v132
	v_add_f32_e32 v1, v1, v133
	s_delay_alu instid0(VALU_DEP_1) | instskip(NEXT) | instid1(VALU_DEP_1)
	v_dual_add_f32 v0, v0, v137 :: v_dual_add_f32 v1, v1, v134
	v_dual_add_f32 v0, v0, v140 :: v_dual_add_f32 v1, v1, v141
	s_delay_alu instid0(VALU_DEP_1) | instskip(NEXT) | instid1(VALU_DEP_1)
	v_dual_add_f32 v0, v0, v12 :: v_dual_add_f32 v1, v1, v13
	v_dual_add_f32 v0, v0, v14 :: v_dual_add_f32 v1, v1, v15
	;; [unrolled: 3-line block ×8, first 2 shown]
	s_delay_alu instid0(VALU_DEP_1) | instskip(NEXT) | instid1(VALU_DEP_1)
	v_add_f32_e32 v0, v0, v154
	v_dual_add_f32 v4, v0, v156 :: v_dual_add_f32 v5, v1, v155
	ds_load_2addr_b64 v[0:3], v122 offset0:87 offset1:88
	v_dual_add_f32 v12, v4, v158 :: v_dual_add_f32 v13, v5, v157
	scratch_load_b128 v[4:7], off, off offset:312
	v_dual_add_f32 v12, v12, v160 :: v_dual_add_f32 v13, v13, v159
	s_delay_alu instid0(VALU_DEP_1) | instskip(NEXT) | instid1(VALU_DEP_1)
	v_add_f32_e32 v12, v12, v162
	v_dual_add_f32 v16, v13, v161 :: v_dual_add_f32 v17, v12, v164
	ds_load_2addr_b64 v[12:15], v122 offset0:89 offset1:90
	s_wait_loadcnt_dscnt 0x101
	v_mul_f32_e32 v131, v0, v9
	v_dual_mul_f32 v9, v1, v9 :: v_dual_mul_f32 v132, v2, v11
	v_mul_f32_e32 v11, v3, v11
	s_delay_alu instid0(VALU_DEP_3) | instskip(NEXT) | instid1(VALU_DEP_3)
	v_dual_add_f32 v16, v16, v163 :: v_dual_fmac_f32 v131, v1, v8
	v_fma_f32 v127, v0, v8, -v9
	s_delay_alu instid0(VALU_DEP_4) | instskip(NEXT) | instid1(VALU_DEP_4)
	v_fmac_f32_e32 v132, v3, v10
	v_fma_f32 v133, v2, v10, -v11
	scratch_load_b128 v[0:3], off, off offset:328
	v_dual_add_f32 v17, v17, v166 :: v_dual_add_f32 v16, v16, v165
	scratch_load_b128 v[8:11], off, off offset:344
	v_add_f32_e32 v17, v17, v168
	s_delay_alu instid0(VALU_DEP_1) | instskip(NEXT) | instid1(VALU_DEP_1)
	v_add_f32_e32 v17, v17, v170
	v_add_f32_e32 v20, v17, v172
	s_delay_alu instid0(VALU_DEP_1) | instskip(NEXT) | instid1(VALU_DEP_1)
	v_add_f32_e32 v123, v20, v174
	v_add_f32_e32 v123, v123, v176
	s_wait_loadcnt_dscnt 0x200
	s_delay_alu instid0(VALU_DEP_1) | instskip(SKIP_2) | instid1(VALU_DEP_3)
	v_dual_add_f32 v123, v123, v178 :: v_dual_mul_f32 v134, v12, v5
	v_dual_add_f32 v16, v16, v167 :: v_dual_mul_f32 v5, v13, v5
	v_mul_f32_e32 v137, v14, v7
	v_dual_mul_f32 v7, v15, v7 :: v_dual_fmac_f32 v134, v13, v4
	s_delay_alu instid0(VALU_DEP_3) | instskip(NEXT) | instid1(VALU_DEP_4)
	v_add_f32_e32 v16, v16, v169
	v_fma_f32 v138, v12, v4, -v5
	v_add_f32_e32 v12, v123, v180
	v_fmac_f32_e32 v137, v15, v6
	v_fma_f32 v139, v14, v6, -v7
	v_add_f32_e32 v21, v16, v171
	scratch_load_b128 v[16:19], off, off offset:360
	ds_load_2addr_b64 v[4:7], v122 offset0:91 offset1:92
	v_add_f32_e32 v124, v21, v173
	scratch_load_b128 v[20:23], off, off offset:376
	v_add_f32_e32 v124, v124, v175
	s_delay_alu instid0(VALU_DEP_1) | instskip(NEXT) | instid1(VALU_DEP_1)
	v_add_f32_e32 v124, v124, v177
	v_add_f32_e32 v123, v124, v179
	;; [unrolled: 1-line block ×3, first 2 shown]
	ds_load_2addr_b64 v[12:15], v122 offset0:93 offset1:94
	v_dual_add_f32 v123, v123, v181 :: v_dual_add_f32 v128, v124, v184
	s_delay_alu instid0(VALU_DEP_1)
	v_add_f32_e32 v140, v123, v183
	ds_load_2addr_b64 v[123:126], v122 offset0:95 offset1:96
	v_add_f32_e32 v141, v128, v127
	ds_load_2addr_b64 v[127:130], v122 offset0:97 offset1:98
	v_add_f32_e32 v122, v140, v131
	s_wait_loadcnt_dscnt 0x303
	v_mul_f32_e32 v131, v4, v1
	v_add_f32_e32 v133, v141, v133
	v_dual_mul_f32 v1, v5, v1 :: v_dual_mul_f32 v140, v6, v3
	v_dual_add_f32 v122, v122, v132 :: v_dual_mul_f32 v3, v7, v3
	s_delay_alu instid0(VALU_DEP_3) | instskip(SKIP_1) | instid1(VALU_DEP_4)
	v_add_f32_e32 v132, v133, v138
	v_fmac_f32_e32 v131, v5, v0
	v_fma_f32 v0, v4, v0, -v1
	s_wait_loadcnt_dscnt 0x202
	v_dual_add_f32 v122, v122, v134 :: v_dual_mul_f32 v133, v12, v9
	v_add_f32_e32 v4, v132, v139
	v_fmac_f32_e32 v140, v7, v2
	v_fma_f32 v1, v6, v2, -v3
	s_delay_alu instid0(VALU_DEP_4) | instskip(NEXT) | instid1(VALU_DEP_4)
	v_add_f32_e32 v5, v122, v137
	v_dual_mul_f32 v7, v13, v9 :: v_dual_add_f32 v0, v4, v0
	v_dual_mul_f32 v134, v14, v11 :: v_dual_fmac_f32 v133, v13, v8
	s_delay_alu instid0(VALU_DEP_3) | instskip(SKIP_1) | instid1(VALU_DEP_4)
	v_add_f32_e32 v4, v5, v131
	v_mul_f32_e32 v5, v15, v11
	v_fma_f32 v7, v12, v8, -v7
	v_add_f32_e32 v0, v0, v1
	s_delay_alu instid0(VALU_DEP_4) | instskip(NEXT) | instid1(VALU_DEP_4)
	v_dual_fmac_f32 v134, v15, v10 :: v_dual_add_f32 v1, v4, v140
	v_fma_f32 v5, v14, v10, -v5
	s_delay_alu instid0(VALU_DEP_2) | instskip(NEXT) | instid1(VALU_DEP_1)
	v_dual_add_f32 v0, v0, v7 :: v_dual_add_f32 v1, v1, v133
	v_dual_add_f32 v0, v0, v5 :: v_dual_add_f32 v1, v1, v134
	s_wait_loadcnt_dscnt 0x101
	v_mul_f32_e32 v2, v123, v17
	v_dual_mul_f32 v4, v124, v17 :: v_dual_mul_f32 v3, v125, v19
	s_delay_alu instid0(VALU_DEP_2) | instskip(NEXT) | instid1(VALU_DEP_2)
	v_dual_mul_f32 v7, v126, v19 :: v_dual_fmac_f32 v2, v124, v16
	v_fma_f32 v4, v123, v16, -v4
	s_wait_loadcnt_dscnt 0x0
	v_mul_f32_e32 v6, v127, v21
	v_mul_f32_e32 v5, v128, v21
	v_fmac_f32_e32 v3, v126, v18
	v_fma_f32 v7, v125, v18, -v7
	v_dual_add_f32 v0, v0, v4 :: v_dual_add_f32 v1, v1, v2
	v_mul_f32_e32 v9, v129, v23
	v_mul_f32_e32 v2, v130, v23
	v_fmac_f32_e32 v6, v128, v20
	v_fma_f32 v4, v127, v20, -v5
	v_add_f32_e32 v0, v0, v7
	v_add_f32_e32 v1, v1, v3
	v_fmac_f32_e32 v9, v130, v22
	v_fma_f32 v2, v129, v22, -v2
	s_delay_alu instid0(VALU_DEP_3) | instskip(NEXT) | instid1(VALU_DEP_1)
	v_dual_add_f32 v0, v0, v4 :: v_dual_add_f32 v1, v1, v6
	v_dual_add_f32 v0, v0, v2 :: v_dual_add_f32 v1, v1, v9
	s_delay_alu instid0(VALU_DEP_1)
	v_dual_sub_f32 v0, v135, v0 :: v_dual_sub_f32 v1, v136, v1
	scratch_store_b64 off, v[0:1], off
	s_wait_alu 0xfffe
	s_cbranch_vccz .LBB112_404
; %bb.308:
	v_mov_b32_e32 v0, 0
	global_load_b32 v1, v0, s[2:3] offset:188
	s_wait_loadcnt 0x0
	v_cmp_ne_u32_e32 vcc_lo, 48, v1
	s_cbranch_vccz .LBB112_310
; %bb.309:
	v_lshlrev_b32_e32 v1, 3, v1
	s_delay_alu instid0(VALU_DEP_1)
	v_mov_b32_e32 v5, v1
	scratch_load_b64 v[1:2], v5, off offset:-8
	scratch_load_b64 v[3:4], off, off offset:376
	s_wait_loadcnt 0x1
	scratch_store_b64 off, v[1:2], off offset:376
	s_wait_loadcnt 0x0
	scratch_store_b64 v5, v[3:4], off offset:-8
.LBB112_310:
	global_load_b32 v0, v0, s[2:3] offset:184
	s_wait_loadcnt 0x0
	v_cmp_eq_u32_e32 vcc_lo, 47, v0
	s_cbranch_vccnz .LBB112_312
; %bb.311:
	v_lshlrev_b32_e32 v0, 3, v0
	s_delay_alu instid0(VALU_DEP_1)
	v_mov_b32_e32 v4, v0
	scratch_load_b64 v[0:1], v4, off offset:-8
	scratch_load_b64 v[2:3], off, off offset:368
	s_wait_loadcnt 0x1
	scratch_store_b64 off, v[0:1], off offset:368
	s_wait_loadcnt 0x0
	scratch_store_b64 v4, v[2:3], off offset:-8
.LBB112_312:
	v_mov_b32_e32 v0, 0
	global_load_b32 v1, v0, s[2:3] offset:180
	s_wait_loadcnt 0x0
	v_cmp_eq_u32_e32 vcc_lo, 46, v1
	s_cbranch_vccnz .LBB112_314
; %bb.313:
	v_lshlrev_b32_e32 v1, 3, v1
	s_delay_alu instid0(VALU_DEP_1)
	v_mov_b32_e32 v5, v1
	scratch_load_b64 v[1:2], v5, off offset:-8
	scratch_load_b64 v[3:4], off, off offset:360
	s_wait_loadcnt 0x1
	scratch_store_b64 off, v[1:2], off offset:360
	s_wait_loadcnt 0x0
	scratch_store_b64 v5, v[3:4], off offset:-8
.LBB112_314:
	global_load_b32 v0, v0, s[2:3] offset:176
	s_wait_loadcnt 0x0
	v_cmp_eq_u32_e32 vcc_lo, 45, v0
	s_cbranch_vccnz .LBB112_316
; %bb.315:
	v_lshlrev_b32_e32 v0, 3, v0
	s_delay_alu instid0(VALU_DEP_1)
	v_mov_b32_e32 v4, v0
	scratch_load_b64 v[0:1], v4, off offset:-8
	scratch_load_b64 v[2:3], off, off offset:352
	s_wait_loadcnt 0x1
	scratch_store_b64 off, v[0:1], off offset:352
	s_wait_loadcnt 0x0
	scratch_store_b64 v4, v[2:3], off offset:-8
.LBB112_316:
	v_mov_b32_e32 v0, 0
	global_load_b32 v1, v0, s[2:3] offset:172
	s_wait_loadcnt 0x0
	v_cmp_eq_u32_e32 vcc_lo, 44, v1
	s_cbranch_vccnz .LBB112_318
; %bb.317:
	v_lshlrev_b32_e32 v1, 3, v1
	s_delay_alu instid0(VALU_DEP_1)
	v_mov_b32_e32 v5, v1
	scratch_load_b64 v[1:2], v5, off offset:-8
	scratch_load_b64 v[3:4], off, off offset:344
	s_wait_loadcnt 0x1
	scratch_store_b64 off, v[1:2], off offset:344
	s_wait_loadcnt 0x0
	scratch_store_b64 v5, v[3:4], off offset:-8
.LBB112_318:
	global_load_b32 v0, v0, s[2:3] offset:168
	s_wait_loadcnt 0x0
	v_cmp_eq_u32_e32 vcc_lo, 43, v0
	s_cbranch_vccnz .LBB112_320
; %bb.319:
	v_lshlrev_b32_e32 v0, 3, v0
	s_delay_alu instid0(VALU_DEP_1)
	v_mov_b32_e32 v4, v0
	scratch_load_b64 v[0:1], v4, off offset:-8
	scratch_load_b64 v[2:3], off, off offset:336
	s_wait_loadcnt 0x1
	scratch_store_b64 off, v[0:1], off offset:336
	s_wait_loadcnt 0x0
	scratch_store_b64 v4, v[2:3], off offset:-8
.LBB112_320:
	v_mov_b32_e32 v0, 0
	global_load_b32 v1, v0, s[2:3] offset:164
	s_wait_loadcnt 0x0
	v_cmp_eq_u32_e32 vcc_lo, 42, v1
	s_cbranch_vccnz .LBB112_322
; %bb.321:
	v_lshlrev_b32_e32 v1, 3, v1
	s_delay_alu instid0(VALU_DEP_1)
	v_mov_b32_e32 v5, v1
	scratch_load_b64 v[1:2], v5, off offset:-8
	scratch_load_b64 v[3:4], off, off offset:328
	s_wait_loadcnt 0x1
	scratch_store_b64 off, v[1:2], off offset:328
	s_wait_loadcnt 0x0
	scratch_store_b64 v5, v[3:4], off offset:-8
.LBB112_322:
	global_load_b32 v0, v0, s[2:3] offset:160
	s_wait_loadcnt 0x0
	v_cmp_eq_u32_e32 vcc_lo, 41, v0
	s_cbranch_vccnz .LBB112_324
; %bb.323:
	v_lshlrev_b32_e32 v0, 3, v0
	s_delay_alu instid0(VALU_DEP_1)
	v_mov_b32_e32 v4, v0
	scratch_load_b64 v[0:1], v4, off offset:-8
	scratch_load_b64 v[2:3], off, off offset:320
	s_wait_loadcnt 0x1
	scratch_store_b64 off, v[0:1], off offset:320
	s_wait_loadcnt 0x0
	scratch_store_b64 v4, v[2:3], off offset:-8
.LBB112_324:
	v_mov_b32_e32 v0, 0
	global_load_b32 v1, v0, s[2:3] offset:156
	s_wait_loadcnt 0x0
	v_cmp_eq_u32_e32 vcc_lo, 40, v1
	s_cbranch_vccnz .LBB112_326
; %bb.325:
	v_lshlrev_b32_e32 v1, 3, v1
	s_delay_alu instid0(VALU_DEP_1)
	v_mov_b32_e32 v5, v1
	scratch_load_b64 v[1:2], v5, off offset:-8
	scratch_load_b64 v[3:4], off, off offset:312
	s_wait_loadcnt 0x1
	scratch_store_b64 off, v[1:2], off offset:312
	s_wait_loadcnt 0x0
	scratch_store_b64 v5, v[3:4], off offset:-8
.LBB112_326:
	global_load_b32 v0, v0, s[2:3] offset:152
	s_wait_loadcnt 0x0
	v_cmp_eq_u32_e32 vcc_lo, 39, v0
	s_cbranch_vccnz .LBB112_328
; %bb.327:
	v_lshlrev_b32_e32 v0, 3, v0
	s_delay_alu instid0(VALU_DEP_1)
	v_mov_b32_e32 v4, v0
	scratch_load_b64 v[0:1], v4, off offset:-8
	scratch_load_b64 v[2:3], off, off offset:304
	s_wait_loadcnt 0x1
	scratch_store_b64 off, v[0:1], off offset:304
	s_wait_loadcnt 0x0
	scratch_store_b64 v4, v[2:3], off offset:-8
.LBB112_328:
	v_mov_b32_e32 v0, 0
	global_load_b32 v1, v0, s[2:3] offset:148
	s_wait_loadcnt 0x0
	v_cmp_eq_u32_e32 vcc_lo, 38, v1
	s_cbranch_vccnz .LBB112_330
; %bb.329:
	v_lshlrev_b32_e32 v1, 3, v1
	s_delay_alu instid0(VALU_DEP_1)
	v_mov_b32_e32 v5, v1
	scratch_load_b64 v[1:2], v5, off offset:-8
	scratch_load_b64 v[3:4], off, off offset:296
	s_wait_loadcnt 0x1
	scratch_store_b64 off, v[1:2], off offset:296
	s_wait_loadcnt 0x0
	scratch_store_b64 v5, v[3:4], off offset:-8
.LBB112_330:
	global_load_b32 v0, v0, s[2:3] offset:144
	s_wait_loadcnt 0x0
	v_cmp_eq_u32_e32 vcc_lo, 37, v0
	s_cbranch_vccnz .LBB112_332
; %bb.331:
	v_lshlrev_b32_e32 v0, 3, v0
	s_delay_alu instid0(VALU_DEP_1)
	v_mov_b32_e32 v4, v0
	scratch_load_b64 v[0:1], v4, off offset:-8
	scratch_load_b64 v[2:3], off, off offset:288
	s_wait_loadcnt 0x1
	scratch_store_b64 off, v[0:1], off offset:288
	s_wait_loadcnt 0x0
	scratch_store_b64 v4, v[2:3], off offset:-8
.LBB112_332:
	v_mov_b32_e32 v0, 0
	global_load_b32 v1, v0, s[2:3] offset:140
	s_wait_loadcnt 0x0
	v_cmp_eq_u32_e32 vcc_lo, 36, v1
	s_cbranch_vccnz .LBB112_334
; %bb.333:
	v_lshlrev_b32_e32 v1, 3, v1
	s_delay_alu instid0(VALU_DEP_1)
	v_mov_b32_e32 v5, v1
	scratch_load_b64 v[1:2], v5, off offset:-8
	scratch_load_b64 v[3:4], off, off offset:280
	s_wait_loadcnt 0x1
	scratch_store_b64 off, v[1:2], off offset:280
	s_wait_loadcnt 0x0
	scratch_store_b64 v5, v[3:4], off offset:-8
.LBB112_334:
	global_load_b32 v0, v0, s[2:3] offset:136
	s_wait_loadcnt 0x0
	v_cmp_eq_u32_e32 vcc_lo, 35, v0
	s_cbranch_vccnz .LBB112_336
; %bb.335:
	v_lshlrev_b32_e32 v0, 3, v0
	s_delay_alu instid0(VALU_DEP_1)
	v_mov_b32_e32 v4, v0
	scratch_load_b64 v[0:1], v4, off offset:-8
	scratch_load_b64 v[2:3], off, off offset:272
	s_wait_loadcnt 0x1
	scratch_store_b64 off, v[0:1], off offset:272
	s_wait_loadcnt 0x0
	scratch_store_b64 v4, v[2:3], off offset:-8
.LBB112_336:
	v_mov_b32_e32 v0, 0
	global_load_b32 v1, v0, s[2:3] offset:132
	s_wait_loadcnt 0x0
	v_cmp_eq_u32_e32 vcc_lo, 34, v1
	s_cbranch_vccnz .LBB112_338
; %bb.337:
	v_lshlrev_b32_e32 v1, 3, v1
	s_delay_alu instid0(VALU_DEP_1)
	v_mov_b32_e32 v5, v1
	scratch_load_b64 v[1:2], v5, off offset:-8
	scratch_load_b64 v[3:4], off, off offset:264
	s_wait_loadcnt 0x1
	scratch_store_b64 off, v[1:2], off offset:264
	s_wait_loadcnt 0x0
	scratch_store_b64 v5, v[3:4], off offset:-8
.LBB112_338:
	global_load_b32 v0, v0, s[2:3] offset:128
	s_wait_loadcnt 0x0
	v_cmp_eq_u32_e32 vcc_lo, 33, v0
	s_cbranch_vccnz .LBB112_340
; %bb.339:
	v_lshlrev_b32_e32 v0, 3, v0
	s_delay_alu instid0(VALU_DEP_1)
	v_mov_b32_e32 v4, v0
	scratch_load_b64 v[0:1], v4, off offset:-8
	scratch_load_b64 v[2:3], off, off offset:256
	s_wait_loadcnt 0x1
	scratch_store_b64 off, v[0:1], off offset:256
	s_wait_loadcnt 0x0
	scratch_store_b64 v4, v[2:3], off offset:-8
.LBB112_340:
	v_mov_b32_e32 v0, 0
	global_load_b32 v1, v0, s[2:3] offset:124
	s_wait_loadcnt 0x0
	v_cmp_eq_u32_e32 vcc_lo, 32, v1
	s_cbranch_vccnz .LBB112_342
; %bb.341:
	v_lshlrev_b32_e32 v1, 3, v1
	s_delay_alu instid0(VALU_DEP_1)
	v_mov_b32_e32 v5, v1
	scratch_load_b64 v[1:2], v5, off offset:-8
	scratch_load_b64 v[3:4], off, off offset:248
	s_wait_loadcnt 0x1
	scratch_store_b64 off, v[1:2], off offset:248
	s_wait_loadcnt 0x0
	scratch_store_b64 v5, v[3:4], off offset:-8
.LBB112_342:
	global_load_b32 v0, v0, s[2:3] offset:120
	s_wait_loadcnt 0x0
	v_cmp_eq_u32_e32 vcc_lo, 31, v0
	s_cbranch_vccnz .LBB112_344
; %bb.343:
	v_lshlrev_b32_e32 v0, 3, v0
	s_delay_alu instid0(VALU_DEP_1)
	v_mov_b32_e32 v4, v0
	scratch_load_b64 v[0:1], v4, off offset:-8
	scratch_load_b64 v[2:3], off, off offset:240
	s_wait_loadcnt 0x1
	scratch_store_b64 off, v[0:1], off offset:240
	s_wait_loadcnt 0x0
	scratch_store_b64 v4, v[2:3], off offset:-8
.LBB112_344:
	v_mov_b32_e32 v0, 0
	global_load_b32 v1, v0, s[2:3] offset:116
	s_wait_loadcnt 0x0
	v_cmp_eq_u32_e32 vcc_lo, 30, v1
	s_cbranch_vccnz .LBB112_346
; %bb.345:
	v_lshlrev_b32_e32 v1, 3, v1
	s_delay_alu instid0(VALU_DEP_1)
	v_mov_b32_e32 v5, v1
	scratch_load_b64 v[1:2], v5, off offset:-8
	scratch_load_b64 v[3:4], off, off offset:232
	s_wait_loadcnt 0x1
	scratch_store_b64 off, v[1:2], off offset:232
	s_wait_loadcnt 0x0
	scratch_store_b64 v5, v[3:4], off offset:-8
.LBB112_346:
	global_load_b32 v0, v0, s[2:3] offset:112
	s_wait_loadcnt 0x0
	v_cmp_eq_u32_e32 vcc_lo, 29, v0
	s_cbranch_vccnz .LBB112_348
; %bb.347:
	v_lshlrev_b32_e32 v0, 3, v0
	s_delay_alu instid0(VALU_DEP_1)
	v_mov_b32_e32 v4, v0
	scratch_load_b64 v[0:1], v4, off offset:-8
	scratch_load_b64 v[2:3], off, off offset:224
	s_wait_loadcnt 0x1
	scratch_store_b64 off, v[0:1], off offset:224
	s_wait_loadcnt 0x0
	scratch_store_b64 v4, v[2:3], off offset:-8
.LBB112_348:
	v_mov_b32_e32 v0, 0
	global_load_b32 v1, v0, s[2:3] offset:108
	s_wait_loadcnt 0x0
	v_cmp_eq_u32_e32 vcc_lo, 28, v1
	s_cbranch_vccnz .LBB112_350
; %bb.349:
	v_lshlrev_b32_e32 v1, 3, v1
	s_delay_alu instid0(VALU_DEP_1)
	v_mov_b32_e32 v5, v1
	scratch_load_b64 v[1:2], v5, off offset:-8
	scratch_load_b64 v[3:4], off, off offset:216
	s_wait_loadcnt 0x1
	scratch_store_b64 off, v[1:2], off offset:216
	s_wait_loadcnt 0x0
	scratch_store_b64 v5, v[3:4], off offset:-8
.LBB112_350:
	global_load_b32 v0, v0, s[2:3] offset:104
	s_wait_loadcnt 0x0
	v_cmp_eq_u32_e32 vcc_lo, 27, v0
	s_cbranch_vccnz .LBB112_352
; %bb.351:
	v_lshlrev_b32_e32 v0, 3, v0
	s_delay_alu instid0(VALU_DEP_1)
	v_mov_b32_e32 v4, v0
	scratch_load_b64 v[0:1], v4, off offset:-8
	scratch_load_b64 v[2:3], off, off offset:208
	s_wait_loadcnt 0x1
	scratch_store_b64 off, v[0:1], off offset:208
	s_wait_loadcnt 0x0
	scratch_store_b64 v4, v[2:3], off offset:-8
.LBB112_352:
	v_mov_b32_e32 v0, 0
	global_load_b32 v1, v0, s[2:3] offset:100
	s_wait_loadcnt 0x0
	v_cmp_eq_u32_e32 vcc_lo, 26, v1
	s_cbranch_vccnz .LBB112_354
; %bb.353:
	v_lshlrev_b32_e32 v1, 3, v1
	s_delay_alu instid0(VALU_DEP_1)
	v_mov_b32_e32 v5, v1
	scratch_load_b64 v[1:2], v5, off offset:-8
	scratch_load_b64 v[3:4], off, off offset:200
	s_wait_loadcnt 0x1
	scratch_store_b64 off, v[1:2], off offset:200
	s_wait_loadcnt 0x0
	scratch_store_b64 v5, v[3:4], off offset:-8
.LBB112_354:
	global_load_b32 v0, v0, s[2:3] offset:96
	s_wait_loadcnt 0x0
	v_cmp_eq_u32_e32 vcc_lo, 25, v0
	s_cbranch_vccnz .LBB112_356
; %bb.355:
	v_lshlrev_b32_e32 v0, 3, v0
	s_delay_alu instid0(VALU_DEP_1)
	v_mov_b32_e32 v4, v0
	scratch_load_b64 v[0:1], v4, off offset:-8
	scratch_load_b64 v[2:3], off, off offset:192
	s_wait_loadcnt 0x1
	scratch_store_b64 off, v[0:1], off offset:192
	s_wait_loadcnt 0x0
	scratch_store_b64 v4, v[2:3], off offset:-8
.LBB112_356:
	v_mov_b32_e32 v0, 0
	global_load_b32 v1, v0, s[2:3] offset:92
	s_wait_loadcnt 0x0
	v_cmp_eq_u32_e32 vcc_lo, 24, v1
	s_cbranch_vccnz .LBB112_358
; %bb.357:
	v_lshlrev_b32_e32 v1, 3, v1
	s_delay_alu instid0(VALU_DEP_1)
	v_mov_b32_e32 v5, v1
	scratch_load_b64 v[1:2], v5, off offset:-8
	scratch_load_b64 v[3:4], off, off offset:184
	s_wait_loadcnt 0x1
	scratch_store_b64 off, v[1:2], off offset:184
	s_wait_loadcnt 0x0
	scratch_store_b64 v5, v[3:4], off offset:-8
.LBB112_358:
	global_load_b32 v0, v0, s[2:3] offset:88
	s_wait_loadcnt 0x0
	v_cmp_eq_u32_e32 vcc_lo, 23, v0
	s_cbranch_vccnz .LBB112_360
; %bb.359:
	v_lshlrev_b32_e32 v0, 3, v0
	s_delay_alu instid0(VALU_DEP_1)
	v_mov_b32_e32 v4, v0
	scratch_load_b64 v[0:1], v4, off offset:-8
	scratch_load_b64 v[2:3], off, off offset:176
	s_wait_loadcnt 0x1
	scratch_store_b64 off, v[0:1], off offset:176
	s_wait_loadcnt 0x0
	scratch_store_b64 v4, v[2:3], off offset:-8
.LBB112_360:
	v_mov_b32_e32 v0, 0
	global_load_b32 v1, v0, s[2:3] offset:84
	s_wait_loadcnt 0x0
	v_cmp_eq_u32_e32 vcc_lo, 22, v1
	s_cbranch_vccnz .LBB112_362
; %bb.361:
	v_lshlrev_b32_e32 v1, 3, v1
	s_delay_alu instid0(VALU_DEP_1)
	v_mov_b32_e32 v5, v1
	scratch_load_b64 v[1:2], v5, off offset:-8
	scratch_load_b64 v[3:4], off, off offset:168
	s_wait_loadcnt 0x1
	scratch_store_b64 off, v[1:2], off offset:168
	s_wait_loadcnt 0x0
	scratch_store_b64 v5, v[3:4], off offset:-8
.LBB112_362:
	global_load_b32 v0, v0, s[2:3] offset:80
	s_wait_loadcnt 0x0
	v_cmp_eq_u32_e32 vcc_lo, 21, v0
	s_cbranch_vccnz .LBB112_364
; %bb.363:
	v_lshlrev_b32_e32 v0, 3, v0
	s_delay_alu instid0(VALU_DEP_1)
	v_mov_b32_e32 v4, v0
	scratch_load_b64 v[0:1], v4, off offset:-8
	scratch_load_b64 v[2:3], off, off offset:160
	s_wait_loadcnt 0x1
	scratch_store_b64 off, v[0:1], off offset:160
	s_wait_loadcnt 0x0
	scratch_store_b64 v4, v[2:3], off offset:-8
.LBB112_364:
	v_mov_b32_e32 v0, 0
	global_load_b32 v1, v0, s[2:3] offset:76
	s_wait_loadcnt 0x0
	v_cmp_eq_u32_e32 vcc_lo, 20, v1
	s_cbranch_vccnz .LBB112_366
; %bb.365:
	v_lshlrev_b32_e32 v1, 3, v1
	s_delay_alu instid0(VALU_DEP_1)
	v_mov_b32_e32 v5, v1
	scratch_load_b64 v[1:2], v5, off offset:-8
	scratch_load_b64 v[3:4], off, off offset:152
	s_wait_loadcnt 0x1
	scratch_store_b64 off, v[1:2], off offset:152
	s_wait_loadcnt 0x0
	scratch_store_b64 v5, v[3:4], off offset:-8
.LBB112_366:
	global_load_b32 v0, v0, s[2:3] offset:72
	s_wait_loadcnt 0x0
	v_cmp_eq_u32_e32 vcc_lo, 19, v0
	s_cbranch_vccnz .LBB112_368
; %bb.367:
	v_lshlrev_b32_e32 v0, 3, v0
	s_delay_alu instid0(VALU_DEP_1)
	v_mov_b32_e32 v4, v0
	scratch_load_b64 v[0:1], v4, off offset:-8
	scratch_load_b64 v[2:3], off, off offset:144
	s_wait_loadcnt 0x1
	scratch_store_b64 off, v[0:1], off offset:144
	s_wait_loadcnt 0x0
	scratch_store_b64 v4, v[2:3], off offset:-8
.LBB112_368:
	v_mov_b32_e32 v0, 0
	global_load_b32 v1, v0, s[2:3] offset:68
	s_wait_loadcnt 0x0
	v_cmp_eq_u32_e32 vcc_lo, 18, v1
	s_cbranch_vccnz .LBB112_370
; %bb.369:
	v_lshlrev_b32_e32 v1, 3, v1
	s_delay_alu instid0(VALU_DEP_1)
	v_mov_b32_e32 v5, v1
	scratch_load_b64 v[1:2], v5, off offset:-8
	scratch_load_b64 v[3:4], off, off offset:136
	s_wait_loadcnt 0x1
	scratch_store_b64 off, v[1:2], off offset:136
	s_wait_loadcnt 0x0
	scratch_store_b64 v5, v[3:4], off offset:-8
.LBB112_370:
	global_load_b32 v0, v0, s[2:3] offset:64
	s_wait_loadcnt 0x0
	v_cmp_eq_u32_e32 vcc_lo, 17, v0
	s_cbranch_vccnz .LBB112_372
; %bb.371:
	v_lshlrev_b32_e32 v0, 3, v0
	s_delay_alu instid0(VALU_DEP_1)
	v_mov_b32_e32 v4, v0
	scratch_load_b64 v[0:1], v4, off offset:-8
	scratch_load_b64 v[2:3], off, off offset:128
	s_wait_loadcnt 0x1
	scratch_store_b64 off, v[0:1], off offset:128
	s_wait_loadcnt 0x0
	scratch_store_b64 v4, v[2:3], off offset:-8
.LBB112_372:
	v_mov_b32_e32 v0, 0
	global_load_b32 v1, v0, s[2:3] offset:60
	s_wait_loadcnt 0x0
	v_cmp_eq_u32_e32 vcc_lo, 16, v1
	s_cbranch_vccnz .LBB112_374
; %bb.373:
	v_lshlrev_b32_e32 v1, 3, v1
	s_delay_alu instid0(VALU_DEP_1)
	v_mov_b32_e32 v5, v1
	scratch_load_b64 v[1:2], v5, off offset:-8
	scratch_load_b64 v[3:4], off, off offset:120
	s_wait_loadcnt 0x1
	scratch_store_b64 off, v[1:2], off offset:120
	s_wait_loadcnt 0x0
	scratch_store_b64 v5, v[3:4], off offset:-8
.LBB112_374:
	global_load_b32 v0, v0, s[2:3] offset:56
	s_wait_loadcnt 0x0
	v_cmp_eq_u32_e32 vcc_lo, 15, v0
	s_cbranch_vccnz .LBB112_376
; %bb.375:
	v_lshlrev_b32_e32 v0, 3, v0
	s_delay_alu instid0(VALU_DEP_1)
	v_mov_b32_e32 v4, v0
	scratch_load_b64 v[0:1], v4, off offset:-8
	scratch_load_b64 v[2:3], off, off offset:112
	s_wait_loadcnt 0x1
	scratch_store_b64 off, v[0:1], off offset:112
	s_wait_loadcnt 0x0
	scratch_store_b64 v4, v[2:3], off offset:-8
.LBB112_376:
	v_mov_b32_e32 v0, 0
	global_load_b32 v1, v0, s[2:3] offset:52
	s_wait_loadcnt 0x0
	v_cmp_eq_u32_e32 vcc_lo, 14, v1
	s_cbranch_vccnz .LBB112_378
; %bb.377:
	v_lshlrev_b32_e32 v1, 3, v1
	s_delay_alu instid0(VALU_DEP_1)
	v_mov_b32_e32 v5, v1
	scratch_load_b64 v[1:2], v5, off offset:-8
	scratch_load_b64 v[3:4], off, off offset:104
	s_wait_loadcnt 0x1
	scratch_store_b64 off, v[1:2], off offset:104
	s_wait_loadcnt 0x0
	scratch_store_b64 v5, v[3:4], off offset:-8
.LBB112_378:
	global_load_b32 v0, v0, s[2:3] offset:48
	s_wait_loadcnt 0x0
	v_cmp_eq_u32_e32 vcc_lo, 13, v0
	s_cbranch_vccnz .LBB112_380
; %bb.379:
	v_lshlrev_b32_e32 v0, 3, v0
	s_delay_alu instid0(VALU_DEP_1)
	v_mov_b32_e32 v4, v0
	scratch_load_b64 v[0:1], v4, off offset:-8
	scratch_load_b64 v[2:3], off, off offset:96
	s_wait_loadcnt 0x1
	scratch_store_b64 off, v[0:1], off offset:96
	s_wait_loadcnt 0x0
	scratch_store_b64 v4, v[2:3], off offset:-8
.LBB112_380:
	v_mov_b32_e32 v0, 0
	global_load_b32 v1, v0, s[2:3] offset:44
	s_wait_loadcnt 0x0
	v_cmp_eq_u32_e32 vcc_lo, 12, v1
	s_cbranch_vccnz .LBB112_382
; %bb.381:
	v_lshlrev_b32_e32 v1, 3, v1
	s_delay_alu instid0(VALU_DEP_1)
	v_mov_b32_e32 v5, v1
	scratch_load_b64 v[1:2], v5, off offset:-8
	scratch_load_b64 v[3:4], off, off offset:88
	s_wait_loadcnt 0x1
	scratch_store_b64 off, v[1:2], off offset:88
	s_wait_loadcnt 0x0
	scratch_store_b64 v5, v[3:4], off offset:-8
.LBB112_382:
	global_load_b32 v0, v0, s[2:3] offset:40
	s_wait_loadcnt 0x0
	v_cmp_eq_u32_e32 vcc_lo, 11, v0
	s_cbranch_vccnz .LBB112_384
; %bb.383:
	v_lshlrev_b32_e32 v0, 3, v0
	s_delay_alu instid0(VALU_DEP_1)
	v_mov_b32_e32 v4, v0
	scratch_load_b64 v[0:1], v4, off offset:-8
	scratch_load_b64 v[2:3], off, off offset:80
	s_wait_loadcnt 0x1
	scratch_store_b64 off, v[0:1], off offset:80
	s_wait_loadcnt 0x0
	scratch_store_b64 v4, v[2:3], off offset:-8
.LBB112_384:
	v_mov_b32_e32 v0, 0
	global_load_b32 v1, v0, s[2:3] offset:36
	s_wait_loadcnt 0x0
	v_cmp_eq_u32_e32 vcc_lo, 10, v1
	s_cbranch_vccnz .LBB112_386
; %bb.385:
	v_lshlrev_b32_e32 v1, 3, v1
	s_delay_alu instid0(VALU_DEP_1)
	v_mov_b32_e32 v5, v1
	scratch_load_b64 v[1:2], v5, off offset:-8
	scratch_load_b64 v[3:4], off, off offset:72
	s_wait_loadcnt 0x1
	scratch_store_b64 off, v[1:2], off offset:72
	s_wait_loadcnt 0x0
	scratch_store_b64 v5, v[3:4], off offset:-8
.LBB112_386:
	global_load_b32 v0, v0, s[2:3] offset:32
	s_wait_loadcnt 0x0
	v_cmp_eq_u32_e32 vcc_lo, 9, v0
	s_cbranch_vccnz .LBB112_388
; %bb.387:
	v_lshlrev_b32_e32 v0, 3, v0
	s_delay_alu instid0(VALU_DEP_1)
	v_mov_b32_e32 v4, v0
	scratch_load_b64 v[0:1], v4, off offset:-8
	scratch_load_b64 v[2:3], off, off offset:64
	s_wait_loadcnt 0x1
	scratch_store_b64 off, v[0:1], off offset:64
	s_wait_loadcnt 0x0
	scratch_store_b64 v4, v[2:3], off offset:-8
.LBB112_388:
	v_mov_b32_e32 v0, 0
	global_load_b32 v1, v0, s[2:3] offset:28
	s_wait_loadcnt 0x0
	v_cmp_eq_u32_e32 vcc_lo, 8, v1
	s_cbranch_vccnz .LBB112_390
; %bb.389:
	v_lshlrev_b32_e32 v1, 3, v1
	s_delay_alu instid0(VALU_DEP_1)
	v_mov_b32_e32 v5, v1
	scratch_load_b64 v[1:2], v5, off offset:-8
	scratch_load_b64 v[3:4], off, off offset:56
	s_wait_loadcnt 0x1
	scratch_store_b64 off, v[1:2], off offset:56
	s_wait_loadcnt 0x0
	scratch_store_b64 v5, v[3:4], off offset:-8
.LBB112_390:
	global_load_b32 v0, v0, s[2:3] offset:24
	s_wait_loadcnt 0x0
	v_cmp_eq_u32_e32 vcc_lo, 7, v0
	s_cbranch_vccnz .LBB112_392
; %bb.391:
	v_lshlrev_b32_e32 v0, 3, v0
	s_delay_alu instid0(VALU_DEP_1)
	v_mov_b32_e32 v4, v0
	scratch_load_b64 v[0:1], v4, off offset:-8
	scratch_load_b64 v[2:3], off, off offset:48
	s_wait_loadcnt 0x1
	scratch_store_b64 off, v[0:1], off offset:48
	s_wait_loadcnt 0x0
	scratch_store_b64 v4, v[2:3], off offset:-8
.LBB112_392:
	v_mov_b32_e32 v0, 0
	global_load_b32 v1, v0, s[2:3] offset:20
	s_wait_loadcnt 0x0
	v_cmp_eq_u32_e32 vcc_lo, 6, v1
	s_cbranch_vccnz .LBB112_394
; %bb.393:
	v_lshlrev_b32_e32 v1, 3, v1
	s_delay_alu instid0(VALU_DEP_1)
	v_mov_b32_e32 v5, v1
	scratch_load_b64 v[1:2], v5, off offset:-8
	scratch_load_b64 v[3:4], off, off offset:40
	s_wait_loadcnt 0x1
	scratch_store_b64 off, v[1:2], off offset:40
	s_wait_loadcnt 0x0
	scratch_store_b64 v5, v[3:4], off offset:-8
.LBB112_394:
	global_load_b32 v0, v0, s[2:3] offset:16
	s_wait_loadcnt 0x0
	v_cmp_eq_u32_e32 vcc_lo, 5, v0
	s_cbranch_vccnz .LBB112_396
; %bb.395:
	v_lshlrev_b32_e32 v0, 3, v0
	s_delay_alu instid0(VALU_DEP_1)
	v_mov_b32_e32 v4, v0
	scratch_load_b64 v[0:1], v4, off offset:-8
	scratch_load_b64 v[2:3], off, off offset:32
	s_wait_loadcnt 0x1
	scratch_store_b64 off, v[0:1], off offset:32
	s_wait_loadcnt 0x0
	scratch_store_b64 v4, v[2:3], off offset:-8
.LBB112_396:
	v_mov_b32_e32 v0, 0
	global_load_b32 v1, v0, s[2:3] offset:12
	s_wait_loadcnt 0x0
	v_cmp_eq_u32_e32 vcc_lo, 4, v1
	s_cbranch_vccnz .LBB112_398
; %bb.397:
	v_lshlrev_b32_e32 v1, 3, v1
	s_delay_alu instid0(VALU_DEP_1)
	v_mov_b32_e32 v5, v1
	scratch_load_b64 v[1:2], v5, off offset:-8
	scratch_load_b64 v[3:4], off, off offset:24
	s_wait_loadcnt 0x1
	scratch_store_b64 off, v[1:2], off offset:24
	s_wait_loadcnt 0x0
	scratch_store_b64 v5, v[3:4], off offset:-8
.LBB112_398:
	global_load_b32 v0, v0, s[2:3] offset:8
	s_wait_loadcnt 0x0
	v_cmp_eq_u32_e32 vcc_lo, 3, v0
	s_cbranch_vccnz .LBB112_400
; %bb.399:
	v_lshlrev_b32_e32 v0, 3, v0
	s_delay_alu instid0(VALU_DEP_1)
	v_mov_b32_e32 v4, v0
	scratch_load_b64 v[0:1], v4, off offset:-8
	scratch_load_b64 v[2:3], off, off offset:16
	s_wait_loadcnt 0x1
	scratch_store_b64 off, v[0:1], off offset:16
	s_wait_loadcnt 0x0
	scratch_store_b64 v4, v[2:3], off offset:-8
.LBB112_400:
	v_mov_b32_e32 v0, 0
	global_load_b32 v1, v0, s[2:3] offset:4
	s_wait_loadcnt 0x0
	v_cmp_eq_u32_e32 vcc_lo, 2, v1
	s_cbranch_vccnz .LBB112_402
; %bb.401:
	v_lshlrev_b32_e32 v1, 3, v1
	s_delay_alu instid0(VALU_DEP_1)
	v_mov_b32_e32 v5, v1
	scratch_load_b64 v[1:2], v5, off offset:-8
	scratch_load_b64 v[3:4], off, off offset:8
	s_wait_loadcnt 0x1
	scratch_store_b64 off, v[1:2], off offset:8
	s_wait_loadcnt 0x0
	scratch_store_b64 v5, v[3:4], off offset:-8
.LBB112_402:
	global_load_b32 v0, v0, s[2:3]
	s_wait_loadcnt 0x0
	v_cmp_eq_u32_e32 vcc_lo, 1, v0
	s_cbranch_vccnz .LBB112_404
; %bb.403:
	v_lshlrev_b32_e32 v0, 3, v0
	s_delay_alu instid0(VALU_DEP_1)
	v_mov_b32_e32 v4, v0
	scratch_load_b64 v[0:1], v4, off offset:-8
	scratch_load_b64 v[2:3], off, off
	s_wait_loadcnt 0x1
	scratch_store_b64 off, v[0:1], off
	s_wait_loadcnt 0x0
	scratch_store_b64 v4, v[2:3], off offset:-8
.LBB112_404:
	scratch_load_b64 v[0:1], off, off
	s_wait_loadcnt 0x0
	flat_store_b64 v[24:25], v[0:1]
	scratch_load_b64 v[0:1], off, off offset:8
	s_wait_loadcnt 0x0
	flat_store_b64 v[26:27], v[0:1]
	scratch_load_b64 v[0:1], off, off offset:16
	;; [unrolled: 3-line block ×48, first 2 shown]
	s_wait_loadcnt 0x0
	flat_store_b64 v[120:121], v[0:1]
	s_nop 0
	s_sendmsg sendmsg(MSG_DEALLOC_VGPRS)
	s_endpgm
	.section	.rodata,"a",@progbits
	.p2align	6, 0x0
	.amdhsa_kernel _ZN9rocsolver6v33100L18getri_kernel_smallILi49E19rocblas_complex_numIfEPKPS3_EEvT1_iilPiilS8_bb
		.amdhsa_group_segment_fixed_size 792
		.amdhsa_private_segment_fixed_size 400
		.amdhsa_kernarg_size 60
		.amdhsa_user_sgpr_count 2
		.amdhsa_user_sgpr_dispatch_ptr 0
		.amdhsa_user_sgpr_queue_ptr 0
		.amdhsa_user_sgpr_kernarg_segment_ptr 1
		.amdhsa_user_sgpr_dispatch_id 0
		.amdhsa_user_sgpr_private_segment_size 0
		.amdhsa_wavefront_size32 1
		.amdhsa_uses_dynamic_stack 0
		.amdhsa_enable_private_segment 1
		.amdhsa_system_sgpr_workgroup_id_x 1
		.amdhsa_system_sgpr_workgroup_id_y 0
		.amdhsa_system_sgpr_workgroup_id_z 0
		.amdhsa_system_sgpr_workgroup_info 0
		.amdhsa_system_vgpr_workitem_id 0
		.amdhsa_next_free_vgpr 252
		.amdhsa_next_free_sgpr 19
		.amdhsa_reserve_vcc 1
		.amdhsa_float_round_mode_32 0
		.amdhsa_float_round_mode_16_64 0
		.amdhsa_float_denorm_mode_32 3
		.amdhsa_float_denorm_mode_16_64 3
		.amdhsa_fp16_overflow 0
		.amdhsa_workgroup_processor_mode 1
		.amdhsa_memory_ordered 1
		.amdhsa_forward_progress 1
		.amdhsa_inst_pref_size 255
		.amdhsa_round_robin_scheduling 0
		.amdhsa_exception_fp_ieee_invalid_op 0
		.amdhsa_exception_fp_denorm_src 0
		.amdhsa_exception_fp_ieee_div_zero 0
		.amdhsa_exception_fp_ieee_overflow 0
		.amdhsa_exception_fp_ieee_underflow 0
		.amdhsa_exception_fp_ieee_inexact 0
		.amdhsa_exception_int_div_zero 0
	.end_amdhsa_kernel
	.section	.text._ZN9rocsolver6v33100L18getri_kernel_smallILi49E19rocblas_complex_numIfEPKPS3_EEvT1_iilPiilS8_bb,"axG",@progbits,_ZN9rocsolver6v33100L18getri_kernel_smallILi49E19rocblas_complex_numIfEPKPS3_EEvT1_iilPiilS8_bb,comdat
.Lfunc_end112:
	.size	_ZN9rocsolver6v33100L18getri_kernel_smallILi49E19rocblas_complex_numIfEPKPS3_EEvT1_iilPiilS8_bb, .Lfunc_end112-_ZN9rocsolver6v33100L18getri_kernel_smallILi49E19rocblas_complex_numIfEPKPS3_EEvT1_iilPiilS8_bb
                                        ; -- End function
	.set _ZN9rocsolver6v33100L18getri_kernel_smallILi49E19rocblas_complex_numIfEPKPS3_EEvT1_iilPiilS8_bb.num_vgpr, 252
	.set _ZN9rocsolver6v33100L18getri_kernel_smallILi49E19rocblas_complex_numIfEPKPS3_EEvT1_iilPiilS8_bb.num_agpr, 0
	.set _ZN9rocsolver6v33100L18getri_kernel_smallILi49E19rocblas_complex_numIfEPKPS3_EEvT1_iilPiilS8_bb.numbered_sgpr, 19
	.set _ZN9rocsolver6v33100L18getri_kernel_smallILi49E19rocblas_complex_numIfEPKPS3_EEvT1_iilPiilS8_bb.num_named_barrier, 0
	.set _ZN9rocsolver6v33100L18getri_kernel_smallILi49E19rocblas_complex_numIfEPKPS3_EEvT1_iilPiilS8_bb.private_seg_size, 400
	.set _ZN9rocsolver6v33100L18getri_kernel_smallILi49E19rocblas_complex_numIfEPKPS3_EEvT1_iilPiilS8_bb.uses_vcc, 1
	.set _ZN9rocsolver6v33100L18getri_kernel_smallILi49E19rocblas_complex_numIfEPKPS3_EEvT1_iilPiilS8_bb.uses_flat_scratch, 1
	.set _ZN9rocsolver6v33100L18getri_kernel_smallILi49E19rocblas_complex_numIfEPKPS3_EEvT1_iilPiilS8_bb.has_dyn_sized_stack, 0
	.set _ZN9rocsolver6v33100L18getri_kernel_smallILi49E19rocblas_complex_numIfEPKPS3_EEvT1_iilPiilS8_bb.has_recursion, 0
	.set _ZN9rocsolver6v33100L18getri_kernel_smallILi49E19rocblas_complex_numIfEPKPS3_EEvT1_iilPiilS8_bb.has_indirect_call, 0
	.section	.AMDGPU.csdata,"",@progbits
; Kernel info:
; codeLenInByte = 82960
; TotalNumSgprs: 21
; NumVgprs: 252
; ScratchSize: 400
; MemoryBound: 0
; FloatMode: 240
; IeeeMode: 1
; LDSByteSize: 792 bytes/workgroup (compile time only)
; SGPRBlocks: 0
; VGPRBlocks: 31
; NumSGPRsForWavesPerEU: 21
; NumVGPRsForWavesPerEU: 252
; Occupancy: 5
; WaveLimiterHint : 1
; COMPUTE_PGM_RSRC2:SCRATCH_EN: 1
; COMPUTE_PGM_RSRC2:USER_SGPR: 2
; COMPUTE_PGM_RSRC2:TRAP_HANDLER: 0
; COMPUTE_PGM_RSRC2:TGID_X_EN: 1
; COMPUTE_PGM_RSRC2:TGID_Y_EN: 0
; COMPUTE_PGM_RSRC2:TGID_Z_EN: 0
; COMPUTE_PGM_RSRC2:TIDIG_COMP_CNT: 0
	.section	.text._ZN9rocsolver6v33100L18getri_kernel_smallILi50E19rocblas_complex_numIfEPKPS3_EEvT1_iilPiilS8_bb,"axG",@progbits,_ZN9rocsolver6v33100L18getri_kernel_smallILi50E19rocblas_complex_numIfEPKPS3_EEvT1_iilPiilS8_bb,comdat
	.globl	_ZN9rocsolver6v33100L18getri_kernel_smallILi50E19rocblas_complex_numIfEPKPS3_EEvT1_iilPiilS8_bb ; -- Begin function _ZN9rocsolver6v33100L18getri_kernel_smallILi50E19rocblas_complex_numIfEPKPS3_EEvT1_iilPiilS8_bb
	.p2align	8
	.type	_ZN9rocsolver6v33100L18getri_kernel_smallILi50E19rocblas_complex_numIfEPKPS3_EEvT1_iilPiilS8_bb,@function
_ZN9rocsolver6v33100L18getri_kernel_smallILi50E19rocblas_complex_numIfEPKPS3_EEvT1_iilPiilS8_bb: ; @_ZN9rocsolver6v33100L18getri_kernel_smallILi50E19rocblas_complex_numIfEPKPS3_EEvT1_iilPiilS8_bb
; %bb.0:
	s_mov_b32 s2, exec_lo
	v_cmpx_gt_u32_e32 50, v0
	s_cbranch_execz .LBB113_214
; %bb.1:
	s_clause 0x1
	s_load_b32 s13, s[0:1], 0x38
	s_load_b64 s[2:3], s[0:1], 0x0
	s_mov_b32 s8, ttmp9
	s_load_b128 s[4:7], s[0:1], 0x28
	s_wait_kmcnt 0x0
	s_bitcmp1_b32 s13, 8
	s_cselect_b32 s12, -1, 0
	s_ashr_i32 s9, ttmp9, 31
	s_delay_alu instid0(SALU_CYCLE_1) | instskip(NEXT) | instid1(SALU_CYCLE_1)
	s_lshl_b64 s[10:11], s[8:9], 3
	s_add_nc_u64 s[2:3], s[2:3], s[10:11]
	s_load_b64 s[10:11], s[2:3], 0x0
	s_bfe_u32 s2, s13, 0x10008
	s_delay_alu instid0(SALU_CYCLE_1)
	s_cmp_eq_u32 s2, 0
                                        ; implicit-def: $sgpr2_sgpr3
	s_cbranch_scc1 .LBB113_3
; %bb.2:
	s_load_b96 s[16:18], s[0:1], 0x18
	s_mul_u64 s[2:3], s[4:5], s[8:9]
	s_delay_alu instid0(SALU_CYCLE_1)
	s_lshl_b64 s[2:3], s[2:3], 2
	s_wait_kmcnt 0x0
	s_ashr_i32 s5, s18, 31
	s_mov_b32 s4, s18
	s_add_nc_u64 s[2:3], s[16:17], s[2:3]
	s_lshl_b64 s[4:5], s[4:5], 2
	s_delay_alu instid0(SALU_CYCLE_1)
	s_add_nc_u64 s[2:3], s[2:3], s[4:5]
.LBB113_3:
	s_clause 0x1
	s_load_b64 s[4:5], s[0:1], 0x8
	s_load_b32 s13, s[0:1], 0x38
	v_lshlrev_b32_e32 v7, 3, v0
	s_wait_kmcnt 0x0
	s_ashr_i32 s1, s4, 31
	s_mov_b32 s0, s4
	v_add3_u32 v3, s5, s5, v0
	s_lshl_b64 s[0:1], s[0:1], 3
	s_delay_alu instid0(SALU_CYCLE_1)
	s_add_nc_u64 s[0:1], s[10:11], s[0:1]
	s_ashr_i32 s11, s5, 31
	v_add_co_u32 v28, s4, s0, v7
	s_wait_alu 0xf1ff
	v_add_co_ci_u32_e64 v29, null, s1, 0, s4
	s_mov_b32 s10, s5
	v_ashrrev_i32_e32 v4, 31, v3
	s_lshl_b64 s[10:11], s[10:11], 3
	flat_load_b64 v[1:2], v[28:29]
	v_add_co_u32 v30, vcc_lo, v28, s10
	s_delay_alu instid0(VALU_DEP_1) | instskip(SKIP_3) | instid1(VALU_DEP_2)
	v_add_co_ci_u32_e64 v31, null, s11, v29, vcc_lo
	v_lshlrev_b64_e32 v[4:5], 3, v[3:4]
	v_add_nc_u32_e32 v3, s5, v3
	s_bitcmp0_b32 s13, 0
	v_add_co_u32 v32, vcc_lo, s0, v4
	s_wait_alu 0xfffd
	s_delay_alu instid0(VALU_DEP_3) | instskip(SKIP_1) | instid1(VALU_DEP_1)
	v_add_co_ci_u32_e64 v33, null, s1, v5, vcc_lo
	v_ashrrev_i32_e32 v4, 31, v3
	v_lshlrev_b64_e32 v[4:5], 3, v[3:4]
	v_add_nc_u32_e32 v3, s5, v3
	s_delay_alu instid0(VALU_DEP_2) | instskip(SKIP_1) | instid1(VALU_DEP_3)
	v_add_co_u32 v34, vcc_lo, s0, v4
	s_wait_alu 0xfffd
	v_add_co_ci_u32_e64 v35, null, s1, v5, vcc_lo
	s_delay_alu instid0(VALU_DEP_3) | instskip(NEXT) | instid1(VALU_DEP_1)
	v_ashrrev_i32_e32 v4, 31, v3
	v_lshlrev_b64_e32 v[4:5], 3, v[3:4]
	v_add_nc_u32_e32 v3, s5, v3
	s_delay_alu instid0(VALU_DEP_2) | instskip(SKIP_1) | instid1(VALU_DEP_3)
	v_add_co_u32 v36, vcc_lo, s0, v4
	s_wait_alu 0xfffd
	v_add_co_ci_u32_e64 v37, null, s1, v5, vcc_lo
	s_delay_alu instid0(VALU_DEP_3) | instskip(NEXT) | instid1(VALU_DEP_1)
	;; [unrolled: 8-line block ×20, first 2 shown]
	v_ashrrev_i32_e32 v4, 31, v3
	v_lshlrev_b64_e32 v[4:5], 3, v[3:4]
	s_wait_loadcnt_dscnt 0x0
	scratch_store_b64 off, v[1:2], off
	flat_load_b64 v[1:2], v[30:31]
	v_add_nc_u32_e32 v3, s5, v3
	v_add_co_u32 v74, vcc_lo, s0, v4
	s_wait_alu 0xfffd
	v_add_co_ci_u32_e64 v75, null, s1, v5, vcc_lo
	s_delay_alu instid0(VALU_DEP_3) | instskip(NEXT) | instid1(VALU_DEP_1)
	v_ashrrev_i32_e32 v4, 31, v3
	v_lshlrev_b64_e32 v[4:5], 3, v[3:4]
	v_add_nc_u32_e32 v3, s5, v3
	s_delay_alu instid0(VALU_DEP_2) | instskip(SKIP_1) | instid1(VALU_DEP_3)
	v_add_co_u32 v76, vcc_lo, s0, v4
	s_wait_alu 0xfffd
	v_add_co_ci_u32_e64 v77, null, s1, v5, vcc_lo
	s_delay_alu instid0(VALU_DEP_3) | instskip(NEXT) | instid1(VALU_DEP_1)
	v_ashrrev_i32_e32 v4, 31, v3
	v_lshlrev_b64_e32 v[4:5], 3, v[3:4]
	v_add_nc_u32_e32 v3, s5, v3
	s_delay_alu instid0(VALU_DEP_2) | instskip(SKIP_1) | instid1(VALU_DEP_3)
	;; [unrolled: 8-line block ×20, first 2 shown]
	v_add_co_u32 v114, vcc_lo, s0, v4
	s_wait_alu 0xfffd
	v_add_co_ci_u32_e64 v115, null, s1, v5, vcc_lo
	s_delay_alu instid0(VALU_DEP_3) | instskip(NEXT) | instid1(VALU_DEP_1)
	v_ashrrev_i32_e32 v4, 31, v3
	v_lshlrev_b64_e32 v[4:5], 3, v[3:4]
	v_add_nc_u32_e32 v3, s5, v3
	s_delay_alu instid0(VALU_DEP_2)
	v_add_co_u32 v116, vcc_lo, s0, v4
	s_wait_loadcnt_dscnt 0x0
	scratch_store_b64 off, v[1:2], off offset:8
	flat_load_b64 v[1:2], v[32:33]
	s_wait_alu 0xfffd
	v_add_co_ci_u32_e64 v117, null, s1, v5, vcc_lo
	v_ashrrev_i32_e32 v4, 31, v3
	s_delay_alu instid0(VALU_DEP_1) | instskip(SKIP_1) | instid1(VALU_DEP_2)
	v_lshlrev_b64_e32 v[4:5], 3, v[3:4]
	v_add_nc_u32_e32 v3, s5, v3
	v_add_co_u32 v118, vcc_lo, s0, v4
	s_wait_alu 0xfffd
	s_delay_alu instid0(VALU_DEP_3) | instskip(NEXT) | instid1(VALU_DEP_3)
	v_add_co_ci_u32_e64 v119, null, s1, v5, vcc_lo
	v_ashrrev_i32_e32 v4, 31, v3
	s_delay_alu instid0(VALU_DEP_1) | instskip(SKIP_1) | instid1(VALU_DEP_2)
	v_lshlrev_b64_e32 v[4:5], 3, v[3:4]
	v_add_nc_u32_e32 v3, s5, v3
	v_add_co_u32 v120, vcc_lo, s0, v4
	s_wait_alu 0xfffd
	s_delay_alu instid0(VALU_DEP_3) | instskip(NEXT) | instid1(VALU_DEP_3)
	;; [unrolled: 8-line block ×4, first 2 shown]
	v_add_co_ci_u32_e64 v125, null, s1, v5, vcc_lo
	v_ashrrev_i32_e32 v4, 31, v3
	s_delay_alu instid0(VALU_DEP_1) | instskip(NEXT) | instid1(VALU_DEP_1)
	v_lshlrev_b64_e32 v[3:4], 3, v[3:4]
	v_add_co_u32 v126, vcc_lo, s0, v3
	s_wait_alu 0xfffd
	s_delay_alu instid0(VALU_DEP_2)
	v_add_co_ci_u32_e64 v127, null, s1, v4, vcc_lo
	s_mov_b32 s1, -1
	s_wait_loadcnt_dscnt 0x0
	scratch_store_b64 off, v[1:2], off offset:16
	flat_load_b64 v[1:2], v[34:35]
	s_wait_loadcnt_dscnt 0x0
	scratch_store_b64 off, v[1:2], off offset:24
	flat_load_b64 v[1:2], v[36:37]
	;; [unrolled: 3-line block ×47, first 2 shown]
	s_wait_loadcnt_dscnt 0x0
	scratch_store_b64 off, v[1:2], off offset:392
	s_cbranch_scc1 .LBB113_212
; %bb.4:
	v_cmp_eq_u32_e64 s0, 0, v0
	s_and_saveexec_b32 s1, s0
; %bb.5:
	v_mov_b32_e32 v1, 0
	ds_store_b32 v1, v1 offset:800
; %bb.6:
	s_wait_alu 0xfffe
	s_or_b32 exec_lo, exec_lo, s1
	s_wait_storecnt_dscnt 0x0
	s_barrier_signal -1
	s_barrier_wait -1
	global_inv scope:SCOPE_SE
	scratch_load_b64 v[1:2], v7, off
	s_wait_loadcnt 0x0
	v_cmp_eq_f32_e32 vcc_lo, 0, v1
	v_cmp_eq_f32_e64 s1, 0, v2
	s_and_b32 s1, vcc_lo, s1
	s_wait_alu 0xfffe
	s_and_saveexec_b32 s4, s1
	s_cbranch_execz .LBB113_10
; %bb.7:
	v_mov_b32_e32 v1, 0
	s_mov_b32 s5, 0
	ds_load_b32 v2, v1 offset:800
	s_wait_dscnt 0x0
	v_readfirstlane_b32 s1, v2
	v_add_nc_u32_e32 v2, 1, v0
	s_cmp_eq_u32 s1, 0
	s_delay_alu instid0(VALU_DEP_1)
	v_cmp_gt_i32_e32 vcc_lo, s1, v2
	s_cselect_b32 s10, -1, 0
	s_wait_alu 0xfffe
	s_or_b32 s10, s10, vcc_lo
	s_wait_alu 0xfffe
	s_and_b32 exec_lo, exec_lo, s10
	s_cbranch_execz .LBB113_10
; %bb.8:
	v_mov_b32_e32 v3, s1
.LBB113_9:                              ; =>This Inner Loop Header: Depth=1
	ds_cmpstore_rtn_b32 v3, v1, v2, v3 offset:800
	s_wait_dscnt 0x0
	v_cmp_ne_u32_e32 vcc_lo, 0, v3
	v_cmp_le_i32_e64 s1, v3, v2
	s_and_b32 s1, vcc_lo, s1
	s_wait_alu 0xfffe
	s_and_b32 s1, exec_lo, s1
	s_wait_alu 0xfffe
	s_or_b32 s5, s1, s5
	s_wait_alu 0xfffe
	s_and_not1_b32 exec_lo, exec_lo, s5
	s_cbranch_execnz .LBB113_9
.LBB113_10:
	s_wait_alu 0xfffe
	s_or_b32 exec_lo, exec_lo, s4
	v_mov_b32_e32 v1, 0
	s_barrier_signal -1
	s_barrier_wait -1
	global_inv scope:SCOPE_SE
	ds_load_b32 v2, v1 offset:800
	s_and_saveexec_b32 s1, s0
	s_cbranch_execz .LBB113_12
; %bb.11:
	s_lshl_b64 s[4:5], s[8:9], 2
	s_wait_alu 0xfffe
	s_add_nc_u64 s[4:5], s[6:7], s[4:5]
	s_wait_dscnt 0x0
	global_store_b32 v1, v2, s[4:5]
.LBB113_12:
	s_wait_alu 0xfffe
	s_or_b32 exec_lo, exec_lo, s1
	s_wait_dscnt 0x0
	v_cmp_ne_u32_e32 vcc_lo, 0, v2
	s_mov_b32 s1, 0
	s_cbranch_vccnz .LBB113_212
; %bb.13:
	v_mov_b32_e32 v8, v7
                                        ; implicit-def: $vgpr3
                                        ; implicit-def: $vgpr5
	scratch_load_b64 v[1:2], v8, off
	s_wait_loadcnt 0x0
	v_cmp_ngt_f32_e64 s1, |v1|, |v2|
	s_wait_alu 0xfffe
	s_and_saveexec_b32 s4, s1
	s_wait_alu 0xfffe
	s_xor_b32 s1, exec_lo, s4
	s_cbranch_execz .LBB113_15
; %bb.14:
	v_div_scale_f32 v3, null, v2, v2, v1
	v_div_scale_f32 v6, vcc_lo, v1, v2, v1
	s_delay_alu instid0(VALU_DEP_2) | instskip(NEXT) | instid1(TRANS32_DEP_1)
	v_rcp_f32_e32 v4, v3
	v_fma_f32 v5, -v3, v4, 1.0
	s_delay_alu instid0(VALU_DEP_1) | instskip(NEXT) | instid1(VALU_DEP_1)
	v_fmac_f32_e32 v4, v5, v4
	v_mul_f32_e32 v5, v6, v4
	s_delay_alu instid0(VALU_DEP_1) | instskip(NEXT) | instid1(VALU_DEP_1)
	v_fma_f32 v9, -v3, v5, v6
	v_fmac_f32_e32 v5, v9, v4
	s_delay_alu instid0(VALU_DEP_1) | instskip(SKIP_1) | instid1(VALU_DEP_1)
	v_fma_f32 v3, -v3, v5, v6
	s_wait_alu 0xfffd
	v_div_fmas_f32 v3, v3, v4, v5
	s_delay_alu instid0(VALU_DEP_1) | instskip(NEXT) | instid1(VALU_DEP_1)
	v_div_fixup_f32 v3, v3, v2, v1
	v_fmac_f32_e32 v2, v1, v3
	s_delay_alu instid0(VALU_DEP_1) | instskip(NEXT) | instid1(VALU_DEP_1)
	v_div_scale_f32 v1, null, v2, v2, 1.0
	v_rcp_f32_e32 v4, v1
	s_delay_alu instid0(TRANS32_DEP_1) | instskip(NEXT) | instid1(VALU_DEP_1)
	v_fma_f32 v5, -v1, v4, 1.0
	v_fmac_f32_e32 v4, v5, v4
	v_div_scale_f32 v5, vcc_lo, 1.0, v2, 1.0
	s_delay_alu instid0(VALU_DEP_1) | instskip(NEXT) | instid1(VALU_DEP_1)
	v_mul_f32_e32 v6, v5, v4
	v_fma_f32 v9, -v1, v6, v5
	s_delay_alu instid0(VALU_DEP_1) | instskip(NEXT) | instid1(VALU_DEP_1)
	v_fmac_f32_e32 v6, v9, v4
	v_fma_f32 v1, -v1, v6, v5
	s_wait_alu 0xfffd
	s_delay_alu instid0(VALU_DEP_1) | instskip(NEXT) | instid1(VALU_DEP_1)
	v_div_fmas_f32 v1, v1, v4, v6
	v_div_fixup_f32 v1, v1, v2, 1.0
	s_delay_alu instid0(VALU_DEP_1) | instskip(SKIP_1) | instid1(VALU_DEP_2)
	v_mul_f32_e32 v3, v3, v1
	v_xor_b32_e32 v4, 0x80000000, v1
                                        ; implicit-def: $vgpr1_vgpr2
	v_xor_b32_e32 v5, 0x80000000, v3
.LBB113_15:
	s_wait_alu 0xfffe
	s_and_not1_saveexec_b32 s1, s1
	s_cbranch_execz .LBB113_17
; %bb.16:
	v_div_scale_f32 v3, null, v1, v1, v2
	v_div_scale_f32 v6, vcc_lo, v2, v1, v2
	s_delay_alu instid0(VALU_DEP_2) | instskip(NEXT) | instid1(TRANS32_DEP_1)
	v_rcp_f32_e32 v4, v3
	v_fma_f32 v5, -v3, v4, 1.0
	s_delay_alu instid0(VALU_DEP_1) | instskip(NEXT) | instid1(VALU_DEP_1)
	v_fmac_f32_e32 v4, v5, v4
	v_mul_f32_e32 v5, v6, v4
	s_delay_alu instid0(VALU_DEP_1) | instskip(NEXT) | instid1(VALU_DEP_1)
	v_fma_f32 v9, -v3, v5, v6
	v_fmac_f32_e32 v5, v9, v4
	s_delay_alu instid0(VALU_DEP_1) | instskip(SKIP_1) | instid1(VALU_DEP_1)
	v_fma_f32 v3, -v3, v5, v6
	s_wait_alu 0xfffd
	v_div_fmas_f32 v3, v3, v4, v5
	s_delay_alu instid0(VALU_DEP_1) | instskip(NEXT) | instid1(VALU_DEP_1)
	v_div_fixup_f32 v4, v3, v1, v2
	v_fmac_f32_e32 v1, v2, v4
	s_delay_alu instid0(VALU_DEP_1) | instskip(SKIP_1) | instid1(VALU_DEP_2)
	v_div_scale_f32 v2, null, v1, v1, 1.0
	v_div_scale_f32 v6, vcc_lo, 1.0, v1, 1.0
	v_rcp_f32_e32 v3, v2
	s_delay_alu instid0(TRANS32_DEP_1) | instskip(NEXT) | instid1(VALU_DEP_1)
	v_fma_f32 v5, -v2, v3, 1.0
	v_fmac_f32_e32 v3, v5, v3
	s_delay_alu instid0(VALU_DEP_1) | instskip(NEXT) | instid1(VALU_DEP_1)
	v_mul_f32_e32 v5, v6, v3
	v_fma_f32 v9, -v2, v5, v6
	s_delay_alu instid0(VALU_DEP_1) | instskip(NEXT) | instid1(VALU_DEP_1)
	v_fmac_f32_e32 v5, v9, v3
	v_fma_f32 v2, -v2, v5, v6
	s_wait_alu 0xfffd
	s_delay_alu instid0(VALU_DEP_1) | instskip(NEXT) | instid1(VALU_DEP_1)
	v_div_fmas_f32 v2, v2, v3, v5
	v_div_fixup_f32 v3, v2, v1, 1.0
	s_delay_alu instid0(VALU_DEP_1)
	v_xor_b32_e32 v5, 0x80000000, v3
	v_mul_f32_e64 v4, v4, -v3
.LBB113_17:
	s_wait_alu 0xfffe
	s_or_b32 exec_lo, exec_lo, s1
	scratch_store_b64 v8, v[3:4], off
	scratch_load_b64 v[2:3], off, off offset:8
	v_xor_b32_e32 v6, 0x80000000, v4
	v_add_nc_u32_e32 v1, 0x190, v7
	s_wait_loadcnt 0x0
	ds_store_2addr_b64 v7, v[5:6], v[2:3] offset1:50
	s_wait_storecnt_dscnt 0x0
	s_barrier_signal -1
	s_barrier_wait -1
	global_inv scope:SCOPE_SE
	s_and_saveexec_b32 s1, s0
	s_cbranch_execz .LBB113_19
; %bb.18:
	scratch_load_b64 v[2:3], v8, off
	ds_load_b64 v[4:5], v1
	v_mov_b32_e32 v6, 0
	ds_load_b64 v[9:10], v6 offset:8
	s_wait_loadcnt_dscnt 0x1
	v_mul_f32_e32 v6, v4, v3
	v_mul_f32_e32 v3, v5, v3
	s_delay_alu instid0(VALU_DEP_2) | instskip(NEXT) | instid1(VALU_DEP_2)
	v_fmac_f32_e32 v6, v5, v2
	v_fma_f32 v2, v4, v2, -v3
	s_delay_alu instid0(VALU_DEP_2) | instskip(NEXT) | instid1(VALU_DEP_2)
	v_add_f32_e32 v4, 0, v6
	v_add_f32_e32 v2, 0, v2
	s_wait_dscnt 0x0
	s_delay_alu instid0(VALU_DEP_2) | instskip(NEXT) | instid1(VALU_DEP_2)
	v_mul_f32_e32 v5, v4, v10
	v_mul_f32_e32 v3, v2, v10
	s_delay_alu instid0(VALU_DEP_2) | instskip(NEXT) | instid1(VALU_DEP_2)
	v_fma_f32 v2, v2, v9, -v5
	v_fmac_f32_e32 v3, v4, v9
	scratch_store_b64 off, v[2:3], off offset:8
.LBB113_19:
	s_wait_alu 0xfffe
	s_or_b32 exec_lo, exec_lo, s1
	s_wait_loadcnt 0x0
	s_wait_storecnt 0x0
	s_barrier_signal -1
	s_barrier_wait -1
	global_inv scope:SCOPE_SE
	scratch_load_b64 v[2:3], off, off offset:16
	s_mov_b32 s1, exec_lo
	s_wait_loadcnt 0x0
	ds_store_b64 v1, v[2:3]
	s_wait_dscnt 0x0
	s_barrier_signal -1
	s_barrier_wait -1
	global_inv scope:SCOPE_SE
	v_cmpx_gt_u32_e32 2, v0
	s_cbranch_execz .LBB113_23
; %bb.20:
	scratch_load_b64 v[2:3], v8, off
	ds_load_b64 v[4:5], v1
	s_wait_loadcnt_dscnt 0x0
	v_mul_f32_e32 v6, v5, v3
	v_mul_f32_e32 v9, v4, v3
	s_delay_alu instid0(VALU_DEP_2) | instskip(NEXT) | instid1(VALU_DEP_2)
	v_fma_f32 v3, v4, v2, -v6
	v_fmac_f32_e32 v9, v5, v2
	s_delay_alu instid0(VALU_DEP_1)
	v_dual_add_f32 v3, 0, v3 :: v_dual_add_f32 v2, 0, v9
	s_and_saveexec_b32 s4, s0
	s_cbranch_execz .LBB113_22
; %bb.21:
	scratch_load_b64 v[4:5], off, off offset:8
	v_mov_b32_e32 v6, 0
	ds_load_b64 v[9:10], v6 offset:408
	s_wait_loadcnt_dscnt 0x0
	v_mul_f32_e32 v6, v9, v5
	v_mul_f32_e32 v5, v10, v5
	s_delay_alu instid0(VALU_DEP_2) | instskip(NEXT) | instid1(VALU_DEP_2)
	v_fmac_f32_e32 v6, v10, v4
	v_fma_f32 v4, v9, v4, -v5
	s_delay_alu instid0(VALU_DEP_1)
	v_dual_add_f32 v2, v2, v6 :: v_dual_add_f32 v3, v3, v4
.LBB113_22:
	s_wait_alu 0xfffe
	s_or_b32 exec_lo, exec_lo, s4
	v_mov_b32_e32 v4, 0
	ds_load_b64 v[4:5], v4 offset:16
	s_wait_dscnt 0x0
	v_mul_f32_e32 v9, v2, v5
	v_mul_f32_e32 v6, v3, v5
	s_delay_alu instid0(VALU_DEP_2) | instskip(NEXT) | instid1(VALU_DEP_2)
	v_fma_f32 v5, v3, v4, -v9
	v_fmac_f32_e32 v6, v2, v4
	scratch_store_b64 off, v[5:6], off offset:16
.LBB113_23:
	s_wait_alu 0xfffe
	s_or_b32 exec_lo, exec_lo, s1
	s_wait_loadcnt 0x0
	s_wait_storecnt 0x0
	s_barrier_signal -1
	s_barrier_wait -1
	global_inv scope:SCOPE_SE
	scratch_load_b64 v[3:4], off, off offset:24
	v_add_nc_u32_e32 v2, -1, v0
	s_mov_b32 s0, exec_lo
	s_wait_loadcnt 0x0
	ds_store_b64 v1, v[3:4]
	s_wait_dscnt 0x0
	s_barrier_signal -1
	s_barrier_wait -1
	global_inv scope:SCOPE_SE
	v_cmpx_gt_u32_e32 3, v0
	s_cbranch_execz .LBB113_27
; %bb.24:
	v_dual_mov_b32 v3, 0 :: v_dual_add_nc_u32 v4, -1, v0
	v_dual_mov_b32 v6, v7 :: v_dual_add_nc_u32 v5, 0x190, v7
	v_mov_b32_e32 v9, 0
	s_mov_b32 s1, 0
.LBB113_25:                             ; =>This Inner Loop Header: Depth=1
	scratch_load_b64 v[10:11], v6, off
	ds_load_b64 v[12:13], v5
	v_add_nc_u32_e32 v4, 1, v4
	v_add_nc_u32_e32 v5, 8, v5
	s_delay_alu instid0(VALU_DEP_2)
	v_cmp_lt_u32_e32 vcc_lo, 1, v4
	s_wait_alu 0xfffe
	s_or_b32 s1, vcc_lo, s1
	s_wait_loadcnt_dscnt 0x0
	v_mul_f32_e32 v14, v13, v11
	v_mul_f32_e32 v11, v12, v11
	s_delay_alu instid0(VALU_DEP_2) | instskip(NEXT) | instid1(VALU_DEP_2)
	v_fma_f32 v12, v12, v10, -v14
	v_fmac_f32_e32 v11, v13, v10
	s_delay_alu instid0(VALU_DEP_2) | instskip(NEXT) | instid1(VALU_DEP_2)
	v_dual_add_f32 v9, v9, v12 :: v_dual_add_nc_u32 v6, 8, v6
	v_add_f32_e32 v3, v3, v11
	s_wait_alu 0xfffe
	s_and_not1_b32 exec_lo, exec_lo, s1
	s_cbranch_execnz .LBB113_25
; %bb.26:
	s_or_b32 exec_lo, exec_lo, s1
	v_mov_b32_e32 v4, 0
	ds_load_b64 v[4:5], v4 offset:24
	s_wait_dscnt 0x0
	v_mul_f32_e32 v10, v3, v5
	v_mul_f32_e32 v6, v9, v5
	s_delay_alu instid0(VALU_DEP_2) | instskip(NEXT) | instid1(VALU_DEP_2)
	v_fma_f32 v5, v9, v4, -v10
	v_fmac_f32_e32 v6, v3, v4
	scratch_store_b64 off, v[5:6], off offset:24
.LBB113_27:
	s_wait_alu 0xfffe
	s_or_b32 exec_lo, exec_lo, s0
	s_wait_loadcnt 0x0
	s_wait_storecnt 0x0
	s_barrier_signal -1
	s_barrier_wait -1
	global_inv scope:SCOPE_SE
	scratch_load_b64 v[3:4], off, off offset:32
	s_mov_b32 s0, exec_lo
	s_wait_loadcnt 0x0
	ds_store_b64 v1, v[3:4]
	s_wait_dscnt 0x0
	s_barrier_signal -1
	s_barrier_wait -1
	global_inv scope:SCOPE_SE
	v_cmpx_gt_u32_e32 4, v0
	s_cbranch_execz .LBB113_31
; %bb.28:
	v_dual_mov_b32 v3, 0 :: v_dual_add_nc_u32 v4, -1, v0
	v_dual_mov_b32 v6, v7 :: v_dual_add_nc_u32 v5, 0x190, v7
	v_mov_b32_e32 v9, 0
	s_mov_b32 s1, 0
.LBB113_29:                             ; =>This Inner Loop Header: Depth=1
	scratch_load_b64 v[10:11], v6, off
	ds_load_b64 v[12:13], v5
	v_add_nc_u32_e32 v4, 1, v4
	v_add_nc_u32_e32 v5, 8, v5
	s_delay_alu instid0(VALU_DEP_2)
	v_cmp_lt_u32_e32 vcc_lo, 2, v4
	s_wait_alu 0xfffe
	s_or_b32 s1, vcc_lo, s1
	s_wait_loadcnt_dscnt 0x0
	v_mul_f32_e32 v14, v13, v11
	v_mul_f32_e32 v11, v12, v11
	s_delay_alu instid0(VALU_DEP_2) | instskip(NEXT) | instid1(VALU_DEP_2)
	v_fma_f32 v12, v12, v10, -v14
	v_fmac_f32_e32 v11, v13, v10
	s_delay_alu instid0(VALU_DEP_2) | instskip(NEXT) | instid1(VALU_DEP_2)
	v_dual_add_f32 v9, v9, v12 :: v_dual_add_nc_u32 v6, 8, v6
	v_add_f32_e32 v3, v3, v11
	s_wait_alu 0xfffe
	s_and_not1_b32 exec_lo, exec_lo, s1
	s_cbranch_execnz .LBB113_29
; %bb.30:
	s_or_b32 exec_lo, exec_lo, s1
	v_mov_b32_e32 v4, 0
	ds_load_b64 v[4:5], v4 offset:32
	s_wait_dscnt 0x0
	v_mul_f32_e32 v10, v3, v5
	v_mul_f32_e32 v6, v9, v5
	s_delay_alu instid0(VALU_DEP_2) | instskip(NEXT) | instid1(VALU_DEP_2)
	v_fma_f32 v5, v9, v4, -v10
	v_fmac_f32_e32 v6, v3, v4
	scratch_store_b64 off, v[5:6], off offset:32
.LBB113_31:
	s_wait_alu 0xfffe
	s_or_b32 exec_lo, exec_lo, s0
	s_wait_loadcnt 0x0
	s_wait_storecnt 0x0
	s_barrier_signal -1
	s_barrier_wait -1
	global_inv scope:SCOPE_SE
	scratch_load_b64 v[3:4], off, off offset:40
	;; [unrolled: 55-line block ×19, first 2 shown]
	s_mov_b32 s0, exec_lo
	s_wait_loadcnt 0x0
	ds_store_b64 v1, v[3:4]
	s_wait_dscnt 0x0
	s_barrier_signal -1
	s_barrier_wait -1
	global_inv scope:SCOPE_SE
	v_cmpx_gt_u32_e32 22, v0
	s_cbranch_execz .LBB113_103
; %bb.100:
	v_dual_mov_b32 v3, 0 :: v_dual_add_nc_u32 v4, -1, v0
	v_dual_mov_b32 v6, v7 :: v_dual_add_nc_u32 v5, 0x190, v7
	v_mov_b32_e32 v9, 0
	s_mov_b32 s1, 0
.LBB113_101:                            ; =>This Inner Loop Header: Depth=1
	scratch_load_b64 v[10:11], v6, off
	ds_load_b64 v[12:13], v5
	v_add_nc_u32_e32 v4, 1, v4
	v_add_nc_u32_e32 v5, 8, v5
	s_delay_alu instid0(VALU_DEP_2)
	v_cmp_lt_u32_e32 vcc_lo, 20, v4
	s_wait_alu 0xfffe
	s_or_b32 s1, vcc_lo, s1
	s_wait_loadcnt_dscnt 0x0
	v_mul_f32_e32 v14, v13, v11
	v_mul_f32_e32 v11, v12, v11
	s_delay_alu instid0(VALU_DEP_2) | instskip(NEXT) | instid1(VALU_DEP_2)
	v_fma_f32 v12, v12, v10, -v14
	v_fmac_f32_e32 v11, v13, v10
	s_delay_alu instid0(VALU_DEP_2) | instskip(NEXT) | instid1(VALU_DEP_2)
	v_dual_add_f32 v9, v9, v12 :: v_dual_add_nc_u32 v6, 8, v6
	v_add_f32_e32 v3, v3, v11
	s_wait_alu 0xfffe
	s_and_not1_b32 exec_lo, exec_lo, s1
	s_cbranch_execnz .LBB113_101
; %bb.102:
	s_or_b32 exec_lo, exec_lo, s1
	v_mov_b32_e32 v4, 0
	ds_load_b64 v[4:5], v4 offset:176
	s_wait_dscnt 0x0
	v_mul_f32_e32 v10, v3, v5
	v_mul_f32_e32 v6, v9, v5
	s_delay_alu instid0(VALU_DEP_2) | instskip(NEXT) | instid1(VALU_DEP_2)
	v_fma_f32 v5, v9, v4, -v10
	v_fmac_f32_e32 v6, v3, v4
	scratch_store_b64 off, v[5:6], off offset:176
.LBB113_103:
	s_wait_alu 0xfffe
	s_or_b32 exec_lo, exec_lo, s0
	s_wait_loadcnt 0x0
	s_wait_storecnt 0x0
	s_barrier_signal -1
	s_barrier_wait -1
	global_inv scope:SCOPE_SE
	scratch_load_b64 v[3:4], off, off offset:184
	s_mov_b32 s0, exec_lo
	s_wait_loadcnt 0x0
	ds_store_b64 v1, v[3:4]
	s_wait_dscnt 0x0
	s_barrier_signal -1
	s_barrier_wait -1
	global_inv scope:SCOPE_SE
	v_cmpx_gt_u32_e32 23, v0
	s_cbranch_execz .LBB113_107
; %bb.104:
	v_dual_mov_b32 v3, 0 :: v_dual_add_nc_u32 v4, -1, v0
	v_dual_mov_b32 v6, v7 :: v_dual_add_nc_u32 v5, 0x190, v7
	v_mov_b32_e32 v9, 0
	s_mov_b32 s1, 0
.LBB113_105:                            ; =>This Inner Loop Header: Depth=1
	scratch_load_b64 v[10:11], v6, off
	ds_load_b64 v[12:13], v5
	v_add_nc_u32_e32 v4, 1, v4
	v_add_nc_u32_e32 v5, 8, v5
	s_delay_alu instid0(VALU_DEP_2)
	v_cmp_lt_u32_e32 vcc_lo, 21, v4
	s_wait_alu 0xfffe
	s_or_b32 s1, vcc_lo, s1
	s_wait_loadcnt_dscnt 0x0
	v_mul_f32_e32 v14, v13, v11
	v_mul_f32_e32 v11, v12, v11
	s_delay_alu instid0(VALU_DEP_2) | instskip(NEXT) | instid1(VALU_DEP_2)
	v_fma_f32 v12, v12, v10, -v14
	v_fmac_f32_e32 v11, v13, v10
	s_delay_alu instid0(VALU_DEP_2) | instskip(NEXT) | instid1(VALU_DEP_2)
	v_dual_add_f32 v9, v9, v12 :: v_dual_add_nc_u32 v6, 8, v6
	v_add_f32_e32 v3, v3, v11
	s_wait_alu 0xfffe
	s_and_not1_b32 exec_lo, exec_lo, s1
	s_cbranch_execnz .LBB113_105
; %bb.106:
	s_or_b32 exec_lo, exec_lo, s1
	v_mov_b32_e32 v4, 0
	ds_load_b64 v[4:5], v4 offset:184
	s_wait_dscnt 0x0
	v_mul_f32_e32 v10, v3, v5
	v_mul_f32_e32 v6, v9, v5
	s_delay_alu instid0(VALU_DEP_2) | instskip(NEXT) | instid1(VALU_DEP_2)
	v_fma_f32 v5, v9, v4, -v10
	v_fmac_f32_e32 v6, v3, v4
	scratch_store_b64 off, v[5:6], off offset:184
.LBB113_107:
	s_wait_alu 0xfffe
	s_or_b32 exec_lo, exec_lo, s0
	s_wait_loadcnt 0x0
	s_wait_storecnt 0x0
	s_barrier_signal -1
	s_barrier_wait -1
	global_inv scope:SCOPE_SE
	scratch_load_b64 v[3:4], off, off offset:192
	;; [unrolled: 55-line block ×26, first 2 shown]
	s_mov_b32 s0, exec_lo
	s_wait_loadcnt 0x0
	ds_store_b64 v1, v[3:4]
	s_wait_dscnt 0x0
	s_barrier_signal -1
	s_barrier_wait -1
	global_inv scope:SCOPE_SE
	v_cmpx_gt_u32_e32 48, v0
	s_cbranch_execz .LBB113_207
; %bb.204:
	v_dual_mov_b32 v3, 0 :: v_dual_add_nc_u32 v4, -1, v0
	v_dual_mov_b32 v6, v7 :: v_dual_add_nc_u32 v5, 0x190, v7
	v_mov_b32_e32 v7, 0
	s_mov_b32 s1, 0
.LBB113_205:                            ; =>This Inner Loop Header: Depth=1
	scratch_load_b64 v[9:10], v6, off
	ds_load_b64 v[11:12], v5
	v_add_nc_u32_e32 v6, 8, v6
	v_add_nc_u32_e32 v4, 1, v4
	;; [unrolled: 1-line block ×3, first 2 shown]
	s_delay_alu instid0(VALU_DEP_2)
	v_cmp_lt_u32_e32 vcc_lo, 46, v4
	s_wait_alu 0xfffe
	s_or_b32 s1, vcc_lo, s1
	s_wait_loadcnt_dscnt 0x0
	v_mul_f32_e32 v13, v12, v10
	v_mul_f32_e32 v10, v11, v10
	s_delay_alu instid0(VALU_DEP_2) | instskip(NEXT) | instid1(VALU_DEP_1)
	v_fma_f32 v11, v11, v9, -v13
	v_dual_fmac_f32 v10, v12, v9 :: v_dual_add_f32 v7, v7, v11
	s_delay_alu instid0(VALU_DEP_1)
	v_add_f32_e32 v3, v3, v10
	s_wait_alu 0xfffe
	s_and_not1_b32 exec_lo, exec_lo, s1
	s_cbranch_execnz .LBB113_205
; %bb.206:
	s_or_b32 exec_lo, exec_lo, s1
	v_mov_b32_e32 v4, 0
	ds_load_b64 v[4:5], v4 offset:384
	s_wait_dscnt 0x0
	v_mul_f32_e32 v9, v3, v5
	v_mul_f32_e32 v6, v7, v5
	s_delay_alu instid0(VALU_DEP_2) | instskip(NEXT) | instid1(VALU_DEP_2)
	v_fma_f32 v5, v7, v4, -v9
	v_fmac_f32_e32 v6, v3, v4
	scratch_store_b64 off, v[5:6], off offset:384
.LBB113_207:
	s_wait_alu 0xfffe
	s_or_b32 exec_lo, exec_lo, s0
	s_wait_loadcnt 0x0
	s_wait_storecnt 0x0
	s_barrier_signal -1
	s_barrier_wait -1
	global_inv scope:SCOPE_SE
	scratch_load_b64 v[3:4], off, off offset:392
	s_mov_b32 s0, exec_lo
	s_wait_loadcnt 0x0
	ds_store_b64 v1, v[3:4]
	s_wait_dscnt 0x0
	s_barrier_signal -1
	s_barrier_wait -1
	global_inv scope:SCOPE_SE
	v_cmpx_ne_u32_e32 49, v0
	s_cbranch_execz .LBB113_211
; %bb.208:
	v_dual_mov_b32 v3, 0 :: v_dual_mov_b32 v4, 0
	s_mov_b32 s1, 0
.LBB113_209:                            ; =>This Inner Loop Header: Depth=1
	scratch_load_b64 v[5:6], v8, off
	ds_load_b64 v[9:10], v1
	v_add_nc_u32_e32 v2, 1, v2
	v_add_nc_u32_e32 v1, 8, v1
	;; [unrolled: 1-line block ×3, first 2 shown]
	s_delay_alu instid0(VALU_DEP_3)
	v_cmp_lt_u32_e32 vcc_lo, 47, v2
	s_wait_alu 0xfffe
	s_or_b32 s1, vcc_lo, s1
	s_wait_loadcnt_dscnt 0x0
	v_mul_f32_e32 v7, v10, v6
	v_mul_f32_e32 v6, v9, v6
	s_delay_alu instid0(VALU_DEP_2) | instskip(NEXT) | instid1(VALU_DEP_2)
	v_fma_f32 v7, v9, v5, -v7
	v_fmac_f32_e32 v6, v10, v5
	s_delay_alu instid0(VALU_DEP_1)
	v_dual_add_f32 v4, v4, v7 :: v_dual_add_f32 v3, v3, v6
	s_wait_alu 0xfffe
	s_and_not1_b32 exec_lo, exec_lo, s1
	s_cbranch_execnz .LBB113_209
; %bb.210:
	s_or_b32 exec_lo, exec_lo, s1
	v_mov_b32_e32 v1, 0
	ds_load_b64 v[1:2], v1 offset:392
	s_wait_dscnt 0x0
	v_mul_f32_e32 v6, v3, v2
	v_mul_f32_e32 v5, v4, v2
	s_delay_alu instid0(VALU_DEP_2) | instskip(NEXT) | instid1(VALU_DEP_2)
	v_fma_f32 v4, v4, v1, -v6
	v_fmac_f32_e32 v5, v3, v1
	scratch_store_b64 off, v[4:5], off offset:392
.LBB113_211:
	s_wait_alu 0xfffe
	s_or_b32 exec_lo, exec_lo, s0
	s_mov_b32 s1, -1
	s_wait_loadcnt 0x0
	s_wait_storecnt 0x0
	s_barrier_signal -1
	s_barrier_wait -1
	global_inv scope:SCOPE_SE
.LBB113_212:
	s_wait_alu 0xfffe
	s_and_b32 vcc_lo, exec_lo, s1
	s_wait_alu 0xfffe
	s_cbranch_vccz .LBB113_214
; %bb.213:
	v_mov_b32_e32 v1, 0
	s_lshl_b64 s[0:1], s[8:9], 2
	s_wait_alu 0xfffe
	s_add_nc_u64 s[0:1], s[6:7], s[0:1]
	global_load_b32 v1, v1, s[0:1]
	s_wait_loadcnt 0x0
	v_cmp_ne_u32_e32 vcc_lo, 0, v1
	s_cbranch_vccz .LBB113_215
.LBB113_214:
	s_nop 0
	s_sendmsg sendmsg(MSG_DEALLOC_VGPRS)
	s_endpgm
.LBB113_215:
	v_lshl_add_u32 v23, v0, 3, 0x190
	s_mov_b32 s0, exec_lo
	v_cmpx_eq_u32_e32 49, v0
	s_cbranch_execz .LBB113_217
; %bb.216:
	scratch_load_b64 v[1:2], off, off offset:384
	v_mov_b32_e32 v3, 0
	s_delay_alu instid0(VALU_DEP_1)
	v_mov_b32_e32 v4, v3
	scratch_store_b64 off, v[3:4], off offset:384
	s_wait_loadcnt 0x0
	ds_store_b64 v23, v[1:2]
.LBB113_217:
	s_wait_alu 0xfffe
	s_or_b32 exec_lo, exec_lo, s0
	s_wait_storecnt_dscnt 0x0
	s_barrier_signal -1
	s_barrier_wait -1
	global_inv scope:SCOPE_SE
	s_clause 0x1
	scratch_load_b64 v[2:3], off, off offset:392
	scratch_load_b64 v[4:5], off, off offset:384
	v_mov_b32_e32 v1, 0
	s_mov_b32 s0, exec_lo
	ds_load_b64 v[6:7], v1 offset:792
	s_wait_loadcnt_dscnt 0x100
	v_mul_f32_e32 v8, v7, v3
	v_mul_f32_e32 v3, v6, v3
	s_delay_alu instid0(VALU_DEP_2) | instskip(NEXT) | instid1(VALU_DEP_2)
	v_fma_f32 v6, v6, v2, -v8
	v_fmac_f32_e32 v3, v7, v2
	s_delay_alu instid0(VALU_DEP_1) | instskip(SKIP_1) | instid1(VALU_DEP_1)
	v_dual_add_f32 v2, 0, v6 :: v_dual_add_f32 v3, 0, v3
	s_wait_loadcnt 0x0
	v_dual_sub_f32 v2, v4, v2 :: v_dual_sub_f32 v3, v5, v3
	scratch_store_b64 off, v[2:3], off offset:384
	v_cmpx_lt_u32_e32 47, v0
	s_cbranch_execz .LBB113_219
; %bb.218:
	scratch_load_b64 v[3:4], off, off offset:376
	v_mov_b32_e32 v2, v1
	scratch_store_b64 off, v[1:2], off offset:376
	s_wait_loadcnt 0x0
	ds_store_b64 v23, v[3:4]
.LBB113_219:
	s_wait_alu 0xfffe
	s_or_b32 exec_lo, exec_lo, s0
	s_wait_storecnt_dscnt 0x0
	s_barrier_signal -1
	s_barrier_wait -1
	global_inv scope:SCOPE_SE
	s_clause 0x1
	scratch_load_b128 v[2:5], off, off offset:384
	scratch_load_b64 v[10:11], off, off offset:376
	ds_load_b128 v[6:9], v1 offset:784
	s_mov_b32 s0, exec_lo
	s_wait_loadcnt_dscnt 0x100
	v_dual_mul_f32 v1, v7, v3 :: v_dual_mul_f32 v12, v8, v5
	v_mul_f32_e32 v3, v6, v3
	s_delay_alu instid0(VALU_DEP_2) | instskip(NEXT) | instid1(VALU_DEP_2)
	v_fma_f32 v1, v6, v2, -v1
	v_dual_fmac_f32 v12, v9, v4 :: v_dual_fmac_f32 v3, v7, v2
	s_delay_alu instid0(VALU_DEP_2) | instskip(NEXT) | instid1(VALU_DEP_2)
	v_add_f32_e32 v1, 0, v1
	v_add_f32_e32 v3, 0, v3
	v_mul_f32_e32 v5, v9, v5
	s_delay_alu instid0(VALU_DEP_1) | instskip(NEXT) | instid1(VALU_DEP_1)
	v_fma_f32 v2, v8, v4, -v5
	v_dual_add_f32 v1, v1, v2 :: v_dual_add_f32 v2, v3, v12
	s_wait_loadcnt 0x0
	s_delay_alu instid0(VALU_DEP_1)
	v_dual_sub_f32 v1, v10, v1 :: v_dual_sub_f32 v2, v11, v2
	scratch_store_b64 off, v[1:2], off offset:376
	v_cmpx_lt_u32_e32 46, v0
	s_cbranch_execz .LBB113_221
; %bb.220:
	scratch_load_b64 v[1:2], off, off offset:368
	v_mov_b32_e32 v3, 0
	s_delay_alu instid0(VALU_DEP_1)
	v_mov_b32_e32 v4, v3
	scratch_store_b64 off, v[3:4], off offset:368
	s_wait_loadcnt 0x0
	ds_store_b64 v23, v[1:2]
.LBB113_221:
	s_wait_alu 0xfffe
	s_or_b32 exec_lo, exec_lo, s0
	s_wait_storecnt_dscnt 0x0
	s_barrier_signal -1
	s_barrier_wait -1
	global_inv scope:SCOPE_SE
	s_clause 0x2
	scratch_load_b128 v[2:5], off, off offset:376
	scratch_load_b64 v[10:11], off, off offset:392
	scratch_load_b64 v[12:13], off, off offset:368
	v_mov_b32_e32 v1, 0
	ds_load_2addr_b64 v[6:9], v1 offset0:97 offset1:98
	ds_load_b64 v[14:15], v1 offset:792
	s_mov_b32 s0, exec_lo
	s_wait_loadcnt_dscnt 0x201
	v_dual_mul_f32 v16, v7, v3 :: v_dual_mul_f32 v17, v8, v5
	s_wait_loadcnt_dscnt 0x100
	v_mul_f32_e32 v18, v14, v11
	v_mul_f32_e32 v3, v6, v3
	;; [unrolled: 1-line block ×3, first 2 shown]
	v_fma_f32 v6, v6, v2, -v16
	s_delay_alu instid0(VALU_DEP_4) | instskip(NEXT) | instid1(VALU_DEP_4)
	v_fmac_f32_e32 v18, v15, v10
	v_fmac_f32_e32 v3, v7, v2
	v_mul_f32_e32 v2, v15, v11
	s_delay_alu instid0(VALU_DEP_1) | instskip(SKIP_3) | instid1(VALU_DEP_1)
	v_fma_f32 v2, v14, v10, -v2
	v_fmac_f32_e32 v17, v9, v4
	v_fma_f32 v4, v8, v4, -v5
	v_add_f32_e32 v5, 0, v6
	v_add_f32_e32 v4, v5, v4
	s_delay_alu instid0(VALU_DEP_1) | instskip(SKIP_1) | instid1(VALU_DEP_1)
	v_dual_add_f32 v2, v4, v2 :: v_dual_add_f32 v3, 0, v3
	s_wait_loadcnt 0x0
	v_dual_sub_f32 v2, v12, v2 :: v_dual_add_f32 v3, v3, v17
	s_delay_alu instid0(VALU_DEP_1) | instskip(NEXT) | instid1(VALU_DEP_1)
	v_add_f32_e32 v3, v3, v18
	v_sub_f32_e32 v3, v13, v3
	scratch_store_b64 off, v[2:3], off offset:368
	v_cmpx_lt_u32_e32 45, v0
	s_cbranch_execz .LBB113_223
; %bb.222:
	scratch_load_b64 v[3:4], off, off offset:360
	v_mov_b32_e32 v2, v1
	scratch_store_b64 off, v[1:2], off offset:360
	s_wait_loadcnt 0x0
	ds_store_b64 v23, v[3:4]
.LBB113_223:
	s_wait_alu 0xfffe
	s_or_b32 exec_lo, exec_lo, s0
	s_wait_storecnt_dscnt 0x0
	s_barrier_signal -1
	s_barrier_wait -1
	global_inv scope:SCOPE_SE
	s_clause 0x2
	scratch_load_b128 v[2:5], off, off offset:368
	scratch_load_b128 v[6:9], off, off offset:384
	scratch_load_b64 v[18:19], off, off offset:360
	ds_load_b128 v[10:13], v1 offset:768
	ds_load_b128 v[14:17], v1 offset:784
	s_mov_b32 s0, exec_lo
	s_wait_loadcnt_dscnt 0x201
	v_dual_mul_f32 v1, v10, v3 :: v_dual_mul_f32 v20, v12, v5
	s_wait_loadcnt_dscnt 0x100
	v_dual_mul_f32 v3, v11, v3 :: v_dual_mul_f32 v22, v16, v9
	v_mul_f32_e32 v5, v13, v5
	s_delay_alu instid0(VALU_DEP_3) | instskip(NEXT) | instid1(VALU_DEP_3)
	v_dual_mul_f32 v21, v14, v7 :: v_dual_fmac_f32 v20, v13, v4
	v_fma_f32 v3, v10, v2, -v3
	s_delay_alu instid0(VALU_DEP_4) | instskip(SKIP_2) | instid1(VALU_DEP_4)
	v_dual_fmac_f32 v1, v11, v2 :: v_dual_fmac_f32 v22, v17, v8
	v_mul_f32_e32 v2, v15, v7
	v_fma_f32 v4, v12, v4, -v5
	v_add_f32_e32 v3, 0, v3
	v_fmac_f32_e32 v21, v15, v6
	s_delay_alu instid0(VALU_DEP_4) | instskip(NEXT) | instid1(VALU_DEP_3)
	v_fma_f32 v2, v14, v6, -v2
	v_add_f32_e32 v3, v3, v4
	s_delay_alu instid0(VALU_DEP_1) | instskip(NEXT) | instid1(VALU_DEP_1)
	v_dual_add_f32 v1, 0, v1 :: v_dual_add_f32 v2, v3, v2
	v_add_f32_e32 v1, v1, v20
	s_delay_alu instid0(VALU_DEP_1) | instskip(NEXT) | instid1(VALU_DEP_1)
	v_add_f32_e32 v1, v1, v21
	v_add_f32_e32 v3, v1, v22
	v_mul_f32_e32 v5, v17, v9
	s_delay_alu instid0(VALU_DEP_1) | instskip(NEXT) | instid1(VALU_DEP_1)
	v_fma_f32 v4, v16, v8, -v5
	v_add_f32_e32 v2, v2, v4
	s_wait_loadcnt 0x0
	s_delay_alu instid0(VALU_DEP_1)
	v_dual_sub_f32 v1, v18, v2 :: v_dual_sub_f32 v2, v19, v3
	scratch_store_b64 off, v[1:2], off offset:360
	v_cmpx_lt_u32_e32 44, v0
	s_cbranch_execz .LBB113_225
; %bb.224:
	scratch_load_b64 v[1:2], off, off offset:352
	v_mov_b32_e32 v3, 0
	s_delay_alu instid0(VALU_DEP_1)
	v_mov_b32_e32 v4, v3
	scratch_store_b64 off, v[3:4], off offset:352
	s_wait_loadcnt 0x0
	ds_store_b64 v23, v[1:2]
.LBB113_225:
	s_wait_alu 0xfffe
	s_or_b32 exec_lo, exec_lo, s0
	s_wait_storecnt_dscnt 0x0
	s_barrier_signal -1
	s_barrier_wait -1
	global_inv scope:SCOPE_SE
	s_clause 0x3
	scratch_load_b128 v[2:5], off, off offset:360
	scratch_load_b128 v[6:9], off, off offset:376
	scratch_load_b64 v[18:19], off, off offset:392
	scratch_load_b64 v[20:21], off, off offset:352
	v_mov_b32_e32 v1, 0
	ds_load_2addr_b64 v[10:13], v1 offset0:95 offset1:96
	ds_load_2addr_b64 v[14:17], v1 offset0:97 offset1:98
	ds_load_b64 v[24:25], v1 offset:792
	s_mov_b32 s0, exec_lo
	s_wait_loadcnt_dscnt 0x302
	v_mul_f32_e32 v22, v10, v3
	v_dual_mul_f32 v26, v12, v5 :: v_dual_mul_f32 v3, v11, v3
	s_wait_loadcnt_dscnt 0x100
	v_mul_f32_e32 v129, v24, v19
	s_delay_alu instid0(VALU_DEP_3)
	v_dual_mul_f32 v5, v13, v5 :: v_dual_fmac_f32 v22, v11, v2
	v_dual_mul_f32 v27, v14, v7 :: v_dual_mul_f32 v128, v16, v9
	v_fma_f32 v3, v10, v2, -v3
	v_mul_f32_e32 v2, v15, v7
	v_fmac_f32_e32 v26, v13, v4
	v_fma_f32 v4, v12, v4, -v5
	v_dual_add_f32 v5, 0, v22 :: v_dual_fmac_f32 v128, v17, v8
	v_add_f32_e32 v3, 0, v3
	v_fma_f32 v2, v14, v6, -v2
	v_fmac_f32_e32 v27, v15, v6
	v_fmac_f32_e32 v129, v25, v18
	s_delay_alu instid0(VALU_DEP_4) | instskip(NEXT) | instid1(VALU_DEP_1)
	v_dual_add_f32 v3, v3, v4 :: v_dual_add_f32 v4, v5, v26
	v_dual_mul_f32 v7, v17, v9 :: v_dual_add_f32 v2, v3, v2
	s_delay_alu instid0(VALU_DEP_2) | instskip(NEXT) | instid1(VALU_DEP_2)
	v_add_f32_e32 v3, v4, v27
	v_fma_f32 v6, v16, v8, -v7
	s_delay_alu instid0(VALU_DEP_1) | instskip(NEXT) | instid1(VALU_DEP_1)
	v_dual_mul_f32 v5, v25, v19 :: v_dual_add_f32 v2, v2, v6
	v_fma_f32 v4, v24, v18, -v5
	s_delay_alu instid0(VALU_DEP_1) | instskip(SKIP_1) | instid1(VALU_DEP_1)
	v_add_f32_e32 v2, v2, v4
	s_wait_loadcnt 0x0
	v_dual_add_f32 v3, v3, v128 :: v_dual_sub_f32 v2, v20, v2
	s_delay_alu instid0(VALU_DEP_1) | instskip(NEXT) | instid1(VALU_DEP_1)
	v_add_f32_e32 v3, v3, v129
	v_sub_f32_e32 v3, v21, v3
	scratch_store_b64 off, v[2:3], off offset:352
	v_cmpx_lt_u32_e32 43, v0
	s_cbranch_execz .LBB113_227
; %bb.226:
	scratch_load_b64 v[3:4], off, off offset:344
	v_mov_b32_e32 v2, v1
	scratch_store_b64 off, v[1:2], off offset:344
	s_wait_loadcnt 0x0
	ds_store_b64 v23, v[3:4]
.LBB113_227:
	s_wait_alu 0xfffe
	s_or_b32 exec_lo, exec_lo, s0
	s_wait_storecnt_dscnt 0x0
	s_barrier_signal -1
	s_barrier_wait -1
	global_inv scope:SCOPE_SE
	s_clause 0x3
	scratch_load_b128 v[2:5], off, off offset:352
	scratch_load_b128 v[6:9], off, off offset:368
	;; [unrolled: 1-line block ×3, first 2 shown]
	scratch_load_b64 v[128:129], off, off offset:344
	ds_load_b128 v[14:17], v1 offset:752
	ds_load_b128 v[18:21], v1 offset:768
	;; [unrolled: 1-line block ×3, first 2 shown]
	s_mov_b32 s0, exec_lo
	s_wait_loadcnt_dscnt 0x302
	v_dual_mul_f32 v1, v14, v3 :: v_dual_mul_f32 v22, v16, v5
	v_mul_f32_e32 v3, v15, v3
	s_wait_loadcnt_dscnt 0x201
	v_dual_mul_f32 v5, v17, v5 :: v_dual_mul_f32 v130, v18, v7
	s_delay_alu instid0(VALU_DEP_3) | instskip(NEXT) | instid1(VALU_DEP_3)
	v_dual_mul_f32 v131, v20, v9 :: v_dual_fmac_f32 v22, v17, v4
	v_fma_f32 v3, v14, v2, -v3
	v_fmac_f32_e32 v1, v15, v2
	v_mul_f32_e32 v2, v19, v7
	v_fma_f32 v4, v16, v4, -v5
	s_wait_loadcnt_dscnt 0x100
	v_dual_mul_f32 v132, v24, v11 :: v_dual_mul_f32 v133, v26, v13
	v_dual_add_f32 v3, 0, v3 :: v_dual_fmac_f32 v130, v19, v6
	v_fma_f32 v2, v18, v6, -v2
	s_delay_alu instid0(VALU_DEP_3) | instskip(NEXT) | instid1(VALU_DEP_3)
	v_dual_fmac_f32 v132, v25, v10 :: v_dual_fmac_f32 v133, v27, v12
	v_dual_add_f32 v3, v3, v4 :: v_dual_mul_f32 v4, v25, v11
	s_delay_alu instid0(VALU_DEP_1) | instskip(NEXT) | instid1(VALU_DEP_2)
	v_dual_add_f32 v1, 0, v1 :: v_dual_add_f32 v2, v3, v2
	v_fma_f32 v4, v24, v10, -v4
	v_mul_f32_e32 v5, v21, v9
	v_mul_f32_e32 v3, v27, v13
	s_delay_alu instid0(VALU_DEP_2) | instskip(SKIP_1) | instid1(VALU_DEP_3)
	v_fma_f32 v5, v20, v8, -v5
	v_add_f32_e32 v1, v1, v22
	v_fma_f32 v3, v26, v12, -v3
	s_delay_alu instid0(VALU_DEP_2) | instskip(NEXT) | instid1(VALU_DEP_1)
	v_dual_add_f32 v2, v2, v5 :: v_dual_add_f32 v1, v1, v130
	v_add_f32_e32 v2, v2, v4
	s_delay_alu instid0(VALU_DEP_1) | instskip(NEXT) | instid1(VALU_DEP_1)
	v_dual_fmac_f32 v131, v21, v8 :: v_dual_add_f32 v2, v2, v3
	v_add_f32_e32 v1, v1, v131
	s_delay_alu instid0(VALU_DEP_1) | instskip(NEXT) | instid1(VALU_DEP_1)
	v_add_f32_e32 v1, v1, v132
	v_add_f32_e32 v3, v1, v133
	s_wait_loadcnt 0x0
	s_delay_alu instid0(VALU_DEP_1)
	v_dual_sub_f32 v1, v128, v2 :: v_dual_sub_f32 v2, v129, v3
	scratch_store_b64 off, v[1:2], off offset:344
	v_cmpx_lt_u32_e32 42, v0
	s_cbranch_execz .LBB113_229
; %bb.228:
	scratch_load_b64 v[1:2], off, off offset:336
	v_mov_b32_e32 v3, 0
	s_delay_alu instid0(VALU_DEP_1)
	v_mov_b32_e32 v4, v3
	scratch_store_b64 off, v[3:4], off offset:336
	s_wait_loadcnt 0x0
	ds_store_b64 v23, v[1:2]
.LBB113_229:
	s_wait_alu 0xfffe
	s_or_b32 exec_lo, exec_lo, s0
	s_wait_storecnt_dscnt 0x0
	s_barrier_signal -1
	s_barrier_wait -1
	global_inv scope:SCOPE_SE
	s_clause 0x4
	scratch_load_b128 v[2:5], off, off offset:344
	scratch_load_b128 v[6:9], off, off offset:360
	;; [unrolled: 1-line block ×3, first 2 shown]
	scratch_load_b64 v[128:129], off, off offset:392
	scratch_load_b64 v[130:131], off, off offset:336
	v_mov_b32_e32 v1, 0
	ds_load_2addr_b64 v[14:17], v1 offset0:93 offset1:94
	ds_load_2addr_b64 v[18:21], v1 offset0:95 offset1:96
	;; [unrolled: 1-line block ×3, first 2 shown]
	ds_load_b64 v[132:133], v1 offset:792
	s_mov_b32 s0, exec_lo
	s_wait_loadcnt_dscnt 0x403
	v_mul_f32_e32 v22, v14, v3
	s_wait_loadcnt_dscnt 0x302
	v_dual_mul_f32 v136, v20, v9 :: v_dual_mul_f32 v3, v15, v3
	v_dual_mul_f32 v134, v16, v5 :: v_dual_mul_f32 v135, v18, v7
	s_wait_loadcnt_dscnt 0x100
	v_dual_mul_f32 v139, v132, v129 :: v_dual_fmac_f32 v22, v15, v2
	v_mul_f32_e32 v5, v17, v5
	v_fma_f32 v3, v14, v2, -v3
	v_mul_f32_e32 v2, v19, v7
	v_fmac_f32_e32 v134, v17, v4
	v_fmac_f32_e32 v136, v21, v8
	v_fma_f32 v4, v16, v4, -v5
	v_add_f32_e32 v3, 0, v3
	v_add_f32_e32 v5, 0, v22
	v_fma_f32 v2, v18, v6, -v2
	v_fmac_f32_e32 v135, v19, v6
	v_dual_mul_f32 v137, v24, v11 :: v_dual_mul_f32 v138, v26, v13
	s_delay_alu instid0(VALU_DEP_4) | instskip(SKIP_1) | instid1(VALU_DEP_3)
	v_dual_add_f32 v3, v3, v4 :: v_dual_add_f32 v4, v5, v134
	v_mul_f32_e32 v7, v21, v9
	v_dual_mul_f32 v5, v25, v11 :: v_dual_fmac_f32 v138, v27, v12
	s_delay_alu instid0(VALU_DEP_3) | instskip(NEXT) | instid1(VALU_DEP_3)
	v_add_f32_e32 v2, v3, v2
	v_fma_f32 v6, v20, v8, -v7
	s_delay_alu instid0(VALU_DEP_1) | instskip(SKIP_3) | instid1(VALU_DEP_3)
	v_add_f32_e32 v2, v2, v6
	v_dual_mul_f32 v6, v133, v129 :: v_dual_add_f32 v3, v4, v135
	v_mul_f32_e32 v4, v27, v13
	v_fma_f32 v5, v24, v10, -v5
	v_add_f32_e32 v3, v3, v136
	s_delay_alu instid0(VALU_DEP_2) | instskip(NEXT) | instid1(VALU_DEP_4)
	v_dual_fmac_f32 v137, v25, v10 :: v_dual_add_f32 v2, v2, v5
	v_fma_f32 v4, v26, v12, -v4
	v_fma_f32 v5, v132, v128, -v6
	s_delay_alu instid0(VALU_DEP_2) | instskip(SKIP_1) | instid1(VALU_DEP_2)
	v_dual_add_f32 v3, v3, v137 :: v_dual_add_f32 v2, v2, v4
	v_fmac_f32_e32 v139, v133, v128
	v_dual_add_f32 v3, v3, v138 :: v_dual_add_f32 v2, v2, v5
	s_wait_loadcnt 0x0
	s_delay_alu instid0(VALU_DEP_1) | instskip(NEXT) | instid1(VALU_DEP_1)
	v_dual_add_f32 v3, v3, v139 :: v_dual_sub_f32 v2, v130, v2
	v_sub_f32_e32 v3, v131, v3
	scratch_store_b64 off, v[2:3], off offset:336
	v_cmpx_lt_u32_e32 41, v0
	s_cbranch_execz .LBB113_231
; %bb.230:
	scratch_load_b64 v[3:4], off, off offset:328
	v_mov_b32_e32 v2, v1
	scratch_store_b64 off, v[1:2], off offset:328
	s_wait_loadcnt 0x0
	ds_store_b64 v23, v[3:4]
.LBB113_231:
	s_wait_alu 0xfffe
	s_or_b32 exec_lo, exec_lo, s0
	s_wait_storecnt_dscnt 0x0
	s_barrier_signal -1
	s_barrier_wait -1
	global_inv scope:SCOPE_SE
	s_clause 0x4
	scratch_load_b128 v[2:5], off, off offset:336
	scratch_load_b128 v[6:9], off, off offset:352
	;; [unrolled: 1-line block ×4, first 2 shown]
	scratch_load_b64 v[136:137], off, off offset:328
	ds_load_b128 v[18:21], v1 offset:736
	ds_load_b128 v[24:27], v1 offset:752
	;; [unrolled: 1-line block ×4, first 2 shown]
	s_mov_b32 s0, exec_lo
	s_wait_loadcnt_dscnt 0x403
	v_dual_mul_f32 v1, v18, v3 :: v_dual_mul_f32 v22, v20, v5
	v_mul_f32_e32 v3, v19, v3
	s_wait_loadcnt_dscnt 0x302
	v_dual_mul_f32 v138, v24, v7 :: v_dual_mul_f32 v139, v26, v9
	s_delay_alu instid0(VALU_DEP_3) | instskip(NEXT) | instid1(VALU_DEP_3)
	v_dual_fmac_f32 v1, v19, v2 :: v_dual_fmac_f32 v22, v21, v4
	v_fma_f32 v3, v18, v2, -v3
	v_mul_f32_e32 v2, v25, v7
	s_wait_loadcnt_dscnt 0x201
	v_dual_mul_f32 v140, v128, v11 :: v_dual_mul_f32 v141, v130, v13
	s_delay_alu instid0(VALU_DEP_3) | instskip(NEXT) | instid1(VALU_DEP_3)
	v_dual_fmac_f32 v138, v25, v6 :: v_dual_add_f32 v3, 0, v3
	v_fma_f32 v2, v24, v6, -v2
	v_mul_f32_e32 v5, v21, v5
	s_delay_alu instid0(VALU_DEP_4) | instskip(SKIP_2) | instid1(VALU_DEP_3)
	v_dual_fmac_f32 v140, v129, v10 :: v_dual_add_f32 v1, 0, v1
	s_wait_loadcnt_dscnt 0x100
	v_dual_mul_f32 v142, v132, v15 :: v_dual_mul_f32 v143, v134, v17
	v_fma_f32 v4, v20, v4, -v5
	v_mul_f32_e32 v5, v27, v9
	s_delay_alu instid0(VALU_DEP_3) | instskip(NEXT) | instid1(VALU_DEP_4)
	v_dual_fmac_f32 v139, v27, v8 :: v_dual_fmac_f32 v142, v133, v14
	v_fmac_f32_e32 v143, v135, v16
	s_delay_alu instid0(VALU_DEP_3) | instskip(SKIP_1) | instid1(VALU_DEP_1)
	v_fma_f32 v5, v26, v8, -v5
	v_dual_add_f32 v3, v3, v4 :: v_dual_mul_f32 v4, v129, v11
	v_add_f32_e32 v2, v3, v2
	v_mul_f32_e32 v3, v131, v13
	s_delay_alu instid0(VALU_DEP_3) | instskip(NEXT) | instid1(VALU_DEP_3)
	v_fma_f32 v4, v128, v10, -v4
	v_dual_add_f32 v2, v2, v5 :: v_dual_add_f32 v1, v1, v22
	v_mul_f32_e32 v5, v133, v15
	s_delay_alu instid0(VALU_DEP_4) | instskip(NEXT) | instid1(VALU_DEP_3)
	v_fma_f32 v3, v130, v12, -v3
	v_dual_add_f32 v2, v2, v4 :: v_dual_add_f32 v1, v1, v138
	v_mul_f32_e32 v4, v135, v17
	v_fmac_f32_e32 v141, v131, v12
	v_fma_f32 v5, v132, v14, -v5
	s_delay_alu instid0(VALU_DEP_4) | instskip(SKIP_2) | instid1(VALU_DEP_2)
	v_add_f32_e32 v2, v2, v3
	v_add_f32_e32 v1, v1, v139
	v_fma_f32 v3, v134, v16, -v4
	v_dual_add_f32 v2, v2, v5 :: v_dual_add_f32 v1, v1, v140
	s_delay_alu instid0(VALU_DEP_1) | instskip(NEXT) | instid1(VALU_DEP_1)
	v_dual_add_f32 v2, v2, v3 :: v_dual_add_f32 v1, v1, v141
	v_add_f32_e32 v1, v1, v142
	s_delay_alu instid0(VALU_DEP_1) | instskip(SKIP_1) | instid1(VALU_DEP_1)
	v_add_f32_e32 v3, v1, v143
	s_wait_loadcnt 0x0
	v_dual_sub_f32 v1, v136, v2 :: v_dual_sub_f32 v2, v137, v3
	scratch_store_b64 off, v[1:2], off offset:328
	v_cmpx_lt_u32_e32 40, v0
	s_cbranch_execz .LBB113_233
; %bb.232:
	scratch_load_b64 v[1:2], off, off offset:320
	v_mov_b32_e32 v3, 0
	s_delay_alu instid0(VALU_DEP_1)
	v_mov_b32_e32 v4, v3
	scratch_store_b64 off, v[3:4], off offset:320
	s_wait_loadcnt 0x0
	ds_store_b64 v23, v[1:2]
.LBB113_233:
	s_wait_alu 0xfffe
	s_or_b32 exec_lo, exec_lo, s0
	s_wait_storecnt_dscnt 0x0
	s_barrier_signal -1
	s_barrier_wait -1
	global_inv scope:SCOPE_SE
	s_clause 0x5
	scratch_load_b128 v[2:5], off, off offset:328
	scratch_load_b128 v[6:9], off, off offset:344
	;; [unrolled: 1-line block ×4, first 2 shown]
	scratch_load_b64 v[136:137], off, off offset:392
	scratch_load_b64 v[138:139], off, off offset:320
	v_mov_b32_e32 v1, 0
	ds_load_2addr_b64 v[18:21], v1 offset0:91 offset1:92
	ds_load_2addr_b64 v[24:27], v1 offset0:93 offset1:94
	;; [unrolled: 1-line block ×4, first 2 shown]
	ds_load_b64 v[140:141], v1 offset:792
	s_mov_b32 s0, exec_lo
	s_wait_loadcnt_dscnt 0x504
	v_mul_f32_e32 v22, v18, v3
	v_dual_mul_f32 v142, v20, v5 :: v_dual_mul_f32 v3, v19, v3
	s_wait_loadcnt_dscnt 0x403
	v_dual_mul_f32 v143, v24, v7 :: v_dual_mul_f32 v144, v26, v9
	v_mul_f32_e32 v5, v21, v5
	s_wait_loadcnt_dscnt 0x100
	v_dual_mul_f32 v149, v140, v137 :: v_dual_fmac_f32 v22, v19, v2
	v_fma_f32 v3, v18, v2, -v3
	v_mul_f32_e32 v2, v25, v7
	v_fmac_f32_e32 v142, v21, v4
	v_fmac_f32_e32 v144, v27, v8
	v_fma_f32 v4, v20, v4, -v5
	v_add_f32_e32 v3, 0, v3
	v_add_f32_e32 v5, 0, v22
	v_mul_f32_e32 v7, v27, v9
	v_fma_f32 v2, v24, v6, -v2
	v_fmac_f32_e32 v143, v25, v6
	s_delay_alu instid0(VALU_DEP_4) | instskip(SKIP_3) | instid1(VALU_DEP_4)
	v_dual_add_f32 v3, v3, v4 :: v_dual_add_f32 v4, v5, v142
	v_mul_f32_e32 v5, v129, v11
	v_fma_f32 v6, v26, v8, -v7
	v_dual_mul_f32 v145, v128, v11 :: v_dual_mul_f32 v146, v130, v13
	v_dual_add_f32 v2, v3, v2 :: v_dual_add_f32 v3, v4, v143
	v_mul_f32_e32 v4, v131, v13
	v_fma_f32 v5, v128, v10, -v5
	s_delay_alu instid0(VALU_DEP_4) | instskip(NEXT) | instid1(VALU_DEP_4)
	v_fmac_f32_e32 v146, v131, v12
	v_add_f32_e32 v2, v2, v6
	v_fmac_f32_e32 v145, v129, v10
	v_dual_add_f32 v3, v3, v144 :: v_dual_mul_f32 v6, v133, v15
	v_fma_f32 v4, v130, v12, -v4
	s_delay_alu instid0(VALU_DEP_4) | instskip(SKIP_1) | instid1(VALU_DEP_4)
	v_dual_add_f32 v2, v2, v5 :: v_dual_mul_f32 v147, v132, v15
	v_mul_f32_e32 v148, v134, v17
	v_add_f32_e32 v3, v3, v145
	v_fma_f32 v6, v132, v14, -v6
	s_delay_alu instid0(VALU_DEP_4) | instskip(NEXT) | instid1(VALU_DEP_4)
	v_dual_add_f32 v2, v2, v4 :: v_dual_mul_f32 v5, v135, v17
	v_dual_fmac_f32 v147, v133, v14 :: v_dual_fmac_f32 v148, v135, v16
	s_delay_alu instid0(VALU_DEP_4) | instskip(NEXT) | instid1(VALU_DEP_3)
	v_dual_add_f32 v3, v3, v146 :: v_dual_mul_f32 v4, v141, v137
	v_add_f32_e32 v2, v2, v6
	s_delay_alu instid0(VALU_DEP_4) | instskip(NEXT) | instid1(VALU_DEP_3)
	v_fma_f32 v5, v134, v16, -v5
	v_add_f32_e32 v3, v3, v147
	s_delay_alu instid0(VALU_DEP_4) | instskip(NEXT) | instid1(VALU_DEP_2)
	v_fma_f32 v4, v140, v136, -v4
	v_dual_add_f32 v2, v2, v5 :: v_dual_add_f32 v3, v3, v148
	s_delay_alu instid0(VALU_DEP_1) | instskip(SKIP_1) | instid1(VALU_DEP_1)
	v_add_f32_e32 v2, v2, v4
	s_wait_loadcnt 0x0
	v_dual_fmac_f32 v149, v141, v136 :: v_dual_sub_f32 v2, v138, v2
	s_delay_alu instid0(VALU_DEP_1) | instskip(NEXT) | instid1(VALU_DEP_1)
	v_add_f32_e32 v3, v3, v149
	v_sub_f32_e32 v3, v139, v3
	scratch_store_b64 off, v[2:3], off offset:320
	v_cmpx_lt_u32_e32 39, v0
	s_cbranch_execz .LBB113_235
; %bb.234:
	scratch_load_b64 v[3:4], off, off offset:312
	v_mov_b32_e32 v2, v1
	scratch_store_b64 off, v[1:2], off offset:312
	s_wait_loadcnt 0x0
	ds_store_b64 v23, v[3:4]
.LBB113_235:
	s_wait_alu 0xfffe
	s_or_b32 exec_lo, exec_lo, s0
	s_wait_storecnt_dscnt 0x0
	s_barrier_signal -1
	s_barrier_wait -1
	global_inv scope:SCOPE_SE
	s_clause 0x5
	scratch_load_b128 v[2:5], off, off offset:320
	scratch_load_b128 v[6:9], off, off offset:336
	;; [unrolled: 1-line block ×5, first 2 shown]
	scratch_load_b64 v[144:145], off, off offset:312
	ds_load_b128 v[24:27], v1 offset:720
	ds_load_b128 v[128:131], v1 offset:736
	;; [unrolled: 1-line block ×5, first 2 shown]
	s_mov_b32 s0, exec_lo
	s_wait_loadcnt_dscnt 0x504
	v_dual_mul_f32 v1, v24, v3 :: v_dual_mul_f32 v22, v26, v5
	v_mul_f32_e32 v3, v25, v3
	s_wait_loadcnt_dscnt 0x403
	v_dual_mul_f32 v5, v27, v5 :: v_dual_mul_f32 v146, v128, v7
	s_delay_alu instid0(VALU_DEP_3) | instskip(NEXT) | instid1(VALU_DEP_3)
	v_dual_mul_f32 v147, v130, v9 :: v_dual_fmac_f32 v22, v27, v4
	v_fma_f32 v3, v24, v2, -v3
	v_fmac_f32_e32 v1, v25, v2
	v_mul_f32_e32 v2, v129, v7
	v_fma_f32 v4, v26, v4, -v5
	s_wait_loadcnt_dscnt 0x302
	v_dual_mul_f32 v148, v132, v11 :: v_dual_mul_f32 v149, v134, v13
	v_dual_add_f32 v3, 0, v3 :: v_dual_fmac_f32 v146, v129, v6
	s_wait_loadcnt_dscnt 0x201
	v_dual_mul_f32 v150, v136, v15 :: v_dual_mul_f32 v151, v138, v17
	s_delay_alu instid0(VALU_DEP_3) | instskip(SKIP_1) | instid1(VALU_DEP_3)
	v_dual_mul_f32 v5, v131, v9 :: v_dual_fmac_f32 v148, v133, v10
	v_fma_f32 v2, v128, v6, -v2
	v_dual_add_f32 v3, v3, v4 :: v_dual_fmac_f32 v150, v137, v14
	s_delay_alu instid0(VALU_DEP_3)
	v_fma_f32 v5, v130, v8, -v5
	v_mul_f32_e32 v4, v133, v11
	s_wait_loadcnt_dscnt 0x100
	v_dual_mul_f32 v152, v140, v19 :: v_dual_mul_f32 v153, v142, v21
	v_add_f32_e32 v2, v3, v2
	v_mul_f32_e32 v3, v135, v13
	v_fma_f32 v4, v132, v10, -v4
	s_delay_alu instid0(VALU_DEP_4) | instskip(NEXT) | instid1(VALU_DEP_4)
	v_dual_fmac_f32 v152, v141, v18 :: v_dual_fmac_f32 v151, v139, v16
	v_add_f32_e32 v2, v2, v5
	v_add_f32_e32 v1, 0, v1
	v_fma_f32 v3, v134, v12, -v3
	v_fmac_f32_e32 v153, v143, v20
	s_delay_alu instid0(VALU_DEP_3) | instskip(SKIP_1) | instid1(VALU_DEP_2)
	v_dual_add_f32 v2, v2, v4 :: v_dual_add_f32 v1, v1, v22
	v_mul_f32_e32 v4, v139, v17
	v_dual_fmac_f32 v147, v131, v8 :: v_dual_add_f32 v2, v2, v3
	s_delay_alu instid0(VALU_DEP_3) | instskip(NEXT) | instid1(VALU_DEP_3)
	v_add_f32_e32 v1, v1, v146
	v_fma_f32 v4, v138, v16, -v4
	v_mul_f32_e32 v5, v137, v15
	v_mul_f32_e32 v3, v141, v19
	s_delay_alu instid0(VALU_DEP_4) | instskip(NEXT) | instid1(VALU_DEP_3)
	v_add_f32_e32 v1, v1, v147
	v_fma_f32 v5, v136, v14, -v5
	v_fmac_f32_e32 v149, v135, v12
	s_delay_alu instid0(VALU_DEP_4) | instskip(NEXT) | instid1(VALU_DEP_3)
	v_fma_f32 v3, v140, v18, -v3
	v_add_f32_e32 v2, v2, v5
	s_delay_alu instid0(VALU_DEP_1) | instskip(SKIP_1) | instid1(VALU_DEP_2)
	v_dual_mul_f32 v5, v143, v21 :: v_dual_add_f32 v2, v2, v4
	v_add_f32_e32 v1, v1, v148
	v_fma_f32 v4, v142, v20, -v5
	s_delay_alu instid0(VALU_DEP_2) | instskip(NEXT) | instid1(VALU_DEP_1)
	v_dual_add_f32 v2, v2, v3 :: v_dual_add_f32 v1, v1, v149
	v_dual_add_f32 v2, v2, v4 :: v_dual_add_f32 v1, v1, v150
	s_delay_alu instid0(VALU_DEP_1) | instskip(NEXT) | instid1(VALU_DEP_1)
	v_add_f32_e32 v1, v1, v151
	v_add_f32_e32 v1, v1, v152
	s_delay_alu instid0(VALU_DEP_1) | instskip(SKIP_1) | instid1(VALU_DEP_1)
	v_add_f32_e32 v3, v1, v153
	s_wait_loadcnt 0x0
	v_dual_sub_f32 v1, v144, v2 :: v_dual_sub_f32 v2, v145, v3
	scratch_store_b64 off, v[1:2], off offset:312
	v_cmpx_lt_u32_e32 38, v0
	s_cbranch_execz .LBB113_237
; %bb.236:
	scratch_load_b64 v[1:2], off, off offset:304
	v_mov_b32_e32 v3, 0
	s_delay_alu instid0(VALU_DEP_1)
	v_mov_b32_e32 v4, v3
	scratch_store_b64 off, v[3:4], off offset:304
	s_wait_loadcnt 0x0
	ds_store_b64 v23, v[1:2]
.LBB113_237:
	s_wait_alu 0xfffe
	s_or_b32 exec_lo, exec_lo, s0
	s_wait_storecnt_dscnt 0x0
	s_barrier_signal -1
	s_barrier_wait -1
	global_inv scope:SCOPE_SE
	s_clause 0x6
	scratch_load_b128 v[2:5], off, off offset:312
	scratch_load_b128 v[6:9], off, off offset:328
	;; [unrolled: 1-line block ×5, first 2 shown]
	scratch_load_b64 v[144:145], off, off offset:392
	scratch_load_b64 v[146:147], off, off offset:304
	v_mov_b32_e32 v1, 0
	ds_load_2addr_b64 v[24:27], v1 offset0:89 offset1:90
	ds_load_2addr_b64 v[128:131], v1 offset0:91 offset1:92
	;; [unrolled: 1-line block ×5, first 2 shown]
	ds_load_b64 v[148:149], v1 offset:792
	s_mov_b32 s0, exec_lo
	s_wait_loadcnt_dscnt 0x605
	v_mul_f32_e32 v22, v24, v3
	v_dual_mul_f32 v3, v25, v3 :: v_dual_mul_f32 v150, v26, v5
	s_wait_loadcnt_dscnt 0x302
	v_dual_mul_f32 v151, v128, v7 :: v_dual_mul_f32 v156, v138, v17
	v_mul_f32_e32 v5, v27, v5
	s_delay_alu instid0(VALU_DEP_3)
	v_fma_f32 v3, v24, v2, -v3
	v_dual_mul_f32 v152, v130, v9 :: v_dual_mul_f32 v153, v132, v11
	s_wait_loadcnt_dscnt 0x100
	v_dual_mul_f32 v159, v148, v145 :: v_dual_fmac_f32 v22, v25, v2
	v_mul_f32_e32 v2, v129, v7
	v_dual_fmac_f32 v150, v27, v4 :: v_dual_add_f32 v3, 0, v3
	v_fma_f32 v4, v26, v4, -v5
	s_delay_alu instid0(VALU_DEP_4) | instskip(SKIP_2) | instid1(VALU_DEP_4)
	v_dual_add_f32 v5, 0, v22 :: v_dual_fmac_f32 v152, v131, v8
	v_mul_f32_e32 v7, v131, v9
	v_fma_f32 v2, v128, v6, -v2
	v_add_f32_e32 v3, v3, v4
	v_fmac_f32_e32 v151, v129, v6
	v_add_f32_e32 v4, v5, v150
	v_mul_f32_e32 v5, v133, v11
	v_fma_f32 v6, v130, v8, -v7
	v_add_f32_e32 v2, v3, v2
	v_dual_mul_f32 v154, v134, v13 :: v_dual_mul_f32 v155, v136, v15
	v_dual_add_f32 v3, v4, v151 :: v_dual_mul_f32 v4, v135, v13
	v_fma_f32 v5, v132, v10, -v5
	s_delay_alu instid0(VALU_DEP_4)
	v_add_f32_e32 v2, v2, v6
	v_fmac_f32_e32 v153, v133, v10
	v_mul_f32_e32 v6, v137, v15
	v_fmac_f32_e32 v154, v135, v12
	v_add_f32_e32 v3, v3, v152
	v_fma_f32 v4, v134, v12, -v4
	v_add_f32_e32 v2, v2, v5
	v_mul_f32_e32 v5, v139, v17
	v_fma_f32 v6, v136, v14, -v6
	v_add_f32_e32 v3, v3, v153
	v_dual_fmac_f32 v155, v137, v14 :: v_dual_fmac_f32 v156, v139, v16
	v_add_f32_e32 v2, v2, v4
	v_mul_f32_e32 v4, v141, v19
	v_fma_f32 v5, v138, v16, -v5
	v_dual_mul_f32 v157, v140, v19 :: v_dual_mul_f32 v158, v142, v21
	s_delay_alu instid0(VALU_DEP_4) | instskip(SKIP_1) | instid1(VALU_DEP_3)
	v_add_f32_e32 v2, v2, v6
	v_add_f32_e32 v3, v3, v154
	v_dual_mul_f32 v6, v143, v21 :: v_dual_fmac_f32 v157, v141, v18
	v_fma_f32 v4, v140, v18, -v4
	s_delay_alu instid0(VALU_DEP_3) | instskip(SKIP_1) | instid1(VALU_DEP_4)
	v_dual_add_f32 v2, v2, v5 :: v_dual_add_f32 v3, v3, v155
	v_dual_mul_f32 v5, v149, v145 :: v_dual_fmac_f32 v158, v143, v20
	v_fma_f32 v6, v142, v20, -v6
	s_delay_alu instid0(VALU_DEP_3) | instskip(NEXT) | instid1(VALU_DEP_4)
	v_add_f32_e32 v2, v2, v4
	v_add_f32_e32 v3, v3, v156
	s_delay_alu instid0(VALU_DEP_4) | instskip(NEXT) | instid1(VALU_DEP_2)
	v_fma_f32 v4, v148, v144, -v5
	v_dual_add_f32 v2, v2, v6 :: v_dual_add_f32 v3, v3, v157
	s_delay_alu instid0(VALU_DEP_1) | instskip(SKIP_1) | instid1(VALU_DEP_1)
	v_dual_add_f32 v2, v2, v4 :: v_dual_add_f32 v3, v3, v158
	s_wait_loadcnt 0x0
	v_dual_fmac_f32 v159, v149, v144 :: v_dual_sub_f32 v2, v146, v2
	s_delay_alu instid0(VALU_DEP_1) | instskip(NEXT) | instid1(VALU_DEP_1)
	v_add_f32_e32 v3, v3, v159
	v_sub_f32_e32 v3, v147, v3
	scratch_store_b64 off, v[2:3], off offset:304
	v_cmpx_lt_u32_e32 37, v0
	s_cbranch_execz .LBB113_239
; %bb.238:
	scratch_load_b64 v[3:4], off, off offset:296
	v_mov_b32_e32 v2, v1
	scratch_store_b64 off, v[1:2], off offset:296
	s_wait_loadcnt 0x0
	ds_store_b64 v23, v[3:4]
.LBB113_239:
	s_wait_alu 0xfffe
	s_or_b32 exec_lo, exec_lo, s0
	s_wait_storecnt_dscnt 0x0
	s_barrier_signal -1
	s_barrier_wait -1
	global_inv scope:SCOPE_SE
	s_clause 0x6
	scratch_load_b128 v[2:5], off, off offset:304
	scratch_load_b128 v[6:9], off, off offset:320
	;; [unrolled: 1-line block ×6, first 2 shown]
	scratch_load_b64 v[152:153], off, off offset:296
	ds_load_b128 v[128:131], v1 offset:704
	ds_load_b128 v[132:135], v1 offset:720
	;; [unrolled: 1-line block ×6, first 2 shown]
	s_mov_b32 s0, exec_lo
	s_wait_loadcnt_dscnt 0x605
	v_dual_mul_f32 v1, v128, v3 :: v_dual_mul_f32 v22, v130, v5
	v_mul_f32_e32 v3, v129, v3
	s_wait_loadcnt_dscnt 0x504
	v_dual_mul_f32 v5, v131, v5 :: v_dual_mul_f32 v154, v132, v7
	v_mul_f32_e32 v155, v134, v9
	s_wait_loadcnt_dscnt 0x100
	v_mul_f32_e32 v162, v148, v25
	v_fma_f32 v3, v128, v2, -v3
	v_dual_mul_f32 v163, v150, v27 :: v_dual_fmac_f32 v22, v131, v4
	v_fmac_f32_e32 v1, v129, v2
	v_mul_f32_e32 v2, v133, v7
	v_fma_f32 v4, v130, v4, -v5
	v_dual_add_f32 v3, 0, v3 :: v_dual_fmac_f32 v154, v133, v6
	v_dual_mul_f32 v156, v136, v11 :: v_dual_mul_f32 v157, v138, v13
	v_dual_mul_f32 v158, v140, v15 :: v_dual_mul_f32 v159, v142, v17
	s_delay_alu instid0(VALU_DEP_2) | instskip(SKIP_1) | instid1(VALU_DEP_3)
	v_dual_mul_f32 v5, v135, v9 :: v_dual_fmac_f32 v156, v137, v10
	v_fma_f32 v2, v132, v6, -v2
	v_dual_add_f32 v3, v3, v4 :: v_dual_fmac_f32 v158, v141, v14
	s_delay_alu instid0(VALU_DEP_3) | instskip(SKIP_2) | instid1(VALU_DEP_4)
	v_fma_f32 v5, v134, v8, -v5
	v_mul_f32_e32 v4, v137, v11
	v_dual_mul_f32 v160, v144, v19 :: v_dual_mul_f32 v161, v146, v21
	v_add_f32_e32 v2, v3, v2
	v_mul_f32_e32 v3, v139, v13
	s_delay_alu instid0(VALU_DEP_4) | instskip(NEXT) | instid1(VALU_DEP_4)
	v_fma_f32 v4, v136, v10, -v4
	v_dual_fmac_f32 v160, v145, v18 :: v_dual_fmac_f32 v159, v143, v16
	s_delay_alu instid0(VALU_DEP_4) | instskip(SKIP_3) | instid1(VALU_DEP_4)
	v_add_f32_e32 v2, v2, v5
	v_add_f32_e32 v1, 0, v1
	v_fma_f32 v3, v138, v12, -v3
	v_fmac_f32_e32 v161, v147, v20
	v_dual_fmac_f32 v163, v151, v26 :: v_dual_add_f32 v2, v2, v4
	s_delay_alu instid0(VALU_DEP_4) | instskip(SKIP_2) | instid1(VALU_DEP_3)
	v_dual_add_f32 v1, v1, v22 :: v_dual_mul_f32 v4, v143, v17
	v_fmac_f32_e32 v155, v135, v8
	v_fmac_f32_e32 v162, v149, v24
	v_dual_add_f32 v2, v2, v3 :: v_dual_add_f32 v1, v1, v154
	s_delay_alu instid0(VALU_DEP_4) | instskip(SKIP_1) | instid1(VALU_DEP_3)
	v_fma_f32 v4, v142, v16, -v4
	v_mul_f32_e32 v5, v141, v15
	v_add_f32_e32 v1, v1, v155
	s_delay_alu instid0(VALU_DEP_2) | instskip(NEXT) | instid1(VALU_DEP_1)
	v_fma_f32 v5, v140, v14, -v5
	v_dual_fmac_f32 v157, v139, v12 :: v_dual_add_f32 v2, v2, v5
	s_delay_alu instid0(VALU_DEP_1) | instskip(NEXT) | instid1(VALU_DEP_1)
	v_dual_mul_f32 v5, v147, v21 :: v_dual_add_f32 v2, v2, v4
	v_fma_f32 v5, v146, v20, -v5
	v_mul_f32_e32 v3, v145, v19
	v_mul_f32_e32 v4, v149, v25
	s_delay_alu instid0(VALU_DEP_2) | instskip(SKIP_1) | instid1(VALU_DEP_3)
	v_fma_f32 v3, v144, v18, -v3
	v_add_f32_e32 v1, v1, v156
	v_fma_f32 v4, v148, v24, -v4
	s_delay_alu instid0(VALU_DEP_3) | instskip(NEXT) | instid1(VALU_DEP_1)
	v_add_f32_e32 v2, v2, v3
	v_dual_mul_f32 v3, v151, v27 :: v_dual_add_f32 v2, v2, v5
	s_delay_alu instid0(VALU_DEP_4) | instskip(NEXT) | instid1(VALU_DEP_2)
	v_add_f32_e32 v1, v1, v157
	v_fma_f32 v3, v150, v26, -v3
	s_delay_alu instid0(VALU_DEP_2) | instskip(NEXT) | instid1(VALU_DEP_1)
	v_dual_add_f32 v2, v2, v4 :: v_dual_add_f32 v1, v1, v158
	v_add_f32_e32 v2, v2, v3
	s_delay_alu instid0(VALU_DEP_2) | instskip(NEXT) | instid1(VALU_DEP_1)
	v_add_f32_e32 v1, v1, v159
	v_add_f32_e32 v1, v1, v160
	s_delay_alu instid0(VALU_DEP_1) | instskip(NEXT) | instid1(VALU_DEP_1)
	v_add_f32_e32 v1, v1, v161
	v_add_f32_e32 v1, v1, v162
	s_delay_alu instid0(VALU_DEP_1) | instskip(SKIP_1) | instid1(VALU_DEP_1)
	v_add_f32_e32 v3, v1, v163
	s_wait_loadcnt 0x0
	v_dual_sub_f32 v1, v152, v2 :: v_dual_sub_f32 v2, v153, v3
	scratch_store_b64 off, v[1:2], off offset:296
	v_cmpx_lt_u32_e32 36, v0
	s_cbranch_execz .LBB113_241
; %bb.240:
	scratch_load_b64 v[1:2], off, off offset:288
	v_mov_b32_e32 v3, 0
	s_delay_alu instid0(VALU_DEP_1)
	v_mov_b32_e32 v4, v3
	scratch_store_b64 off, v[3:4], off offset:288
	s_wait_loadcnt 0x0
	ds_store_b64 v23, v[1:2]
.LBB113_241:
	s_wait_alu 0xfffe
	s_or_b32 exec_lo, exec_lo, s0
	s_wait_storecnt_dscnt 0x0
	s_barrier_signal -1
	s_barrier_wait -1
	global_inv scope:SCOPE_SE
	s_clause 0x7
	scratch_load_b128 v[2:5], off, off offset:296
	scratch_load_b128 v[6:9], off, off offset:312
	;; [unrolled: 1-line block ×6, first 2 shown]
	scratch_load_b64 v[152:153], off, off offset:392
	scratch_load_b64 v[154:155], off, off offset:288
	v_mov_b32_e32 v1, 0
	ds_load_2addr_b64 v[128:131], v1 offset0:87 offset1:88
	ds_load_2addr_b64 v[132:135], v1 offset0:89 offset1:90
	;; [unrolled: 1-line block ×6, first 2 shown]
	ds_load_b64 v[156:157], v1 offset:792
	s_mov_b32 s0, exec_lo
	s_wait_loadcnt_dscnt 0x706
	v_mul_f32_e32 v22, v128, v3
	v_dual_mul_f32 v3, v129, v3 :: v_dual_mul_f32 v158, v130, v5
	s_wait_loadcnt_dscnt 0x302
	v_dual_mul_f32 v159, v132, v7 :: v_dual_mul_f32 v166, v146, v21
	v_mul_f32_e32 v5, v131, v5
	s_delay_alu instid0(VALU_DEP_3)
	v_fma_f32 v3, v128, v2, -v3
	v_dual_mul_f32 v160, v134, v9 :: v_dual_mul_f32 v161, v136, v11
	s_wait_loadcnt_dscnt 0x100
	v_dual_mul_f32 v169, v156, v153 :: v_dual_fmac_f32 v22, v129, v2
	v_mul_f32_e32 v2, v133, v7
	v_dual_fmac_f32 v158, v131, v4 :: v_dual_add_f32 v3, 0, v3
	v_fma_f32 v4, v130, v4, -v5
	s_delay_alu instid0(VALU_DEP_4) | instskip(SKIP_2) | instid1(VALU_DEP_4)
	v_dual_add_f32 v5, 0, v22 :: v_dual_fmac_f32 v160, v135, v8
	v_mul_f32_e32 v7, v135, v9
	v_fma_f32 v2, v132, v6, -v2
	v_add_f32_e32 v3, v3, v4
	v_fmac_f32_e32 v159, v133, v6
	v_add_f32_e32 v4, v5, v158
	v_mul_f32_e32 v5, v137, v11
	v_fma_f32 v6, v134, v8, -v7
	v_add_f32_e32 v2, v3, v2
	v_dual_mul_f32 v162, v138, v13 :: v_dual_mul_f32 v163, v140, v15
	v_dual_add_f32 v3, v4, v159 :: v_dual_mul_f32 v4, v139, v13
	v_fma_f32 v5, v136, v10, -v5
	s_delay_alu instid0(VALU_DEP_4)
	v_add_f32_e32 v2, v2, v6
	v_fmac_f32_e32 v161, v137, v10
	v_mul_f32_e32 v6, v141, v15
	v_fmac_f32_e32 v162, v139, v12
	v_add_f32_e32 v3, v3, v160
	v_fma_f32 v4, v138, v12, -v4
	v_add_f32_e32 v2, v2, v5
	v_dual_mul_f32 v164, v142, v17 :: v_dual_mul_f32 v165, v144, v19
	s_delay_alu instid0(VALU_DEP_4)
	v_add_f32_e32 v3, v3, v161
	v_mul_f32_e32 v5, v143, v17
	v_fma_f32 v6, v140, v14, -v6
	v_dual_add_f32 v2, v2, v4 :: v_dual_fmac_f32 v163, v141, v14
	v_fmac_f32_e32 v164, v143, v16
	v_mul_f32_e32 v4, v145, v19
	v_fma_f32 v5, v142, v16, -v5
	s_delay_alu instid0(VALU_DEP_4) | instskip(SKIP_3) | instid1(VALU_DEP_3)
	v_add_f32_e32 v2, v2, v6
	v_add_f32_e32 v3, v3, v162
	v_dual_mul_f32 v6, v147, v21 :: v_dual_fmac_f32 v165, v145, v18
	v_fma_f32 v4, v144, v18, -v4
	v_dual_add_f32 v2, v2, v5 :: v_dual_add_f32 v3, v3, v163
	s_delay_alu instid0(VALU_DEP_3) | instskip(SKIP_1) | instid1(VALU_DEP_3)
	v_fma_f32 v6, v146, v20, -v6
	v_dual_mul_f32 v167, v148, v25 :: v_dual_mul_f32 v168, v150, v27
	v_add_f32_e32 v2, v2, v4
	s_delay_alu instid0(VALU_DEP_4) | instskip(SKIP_1) | instid1(VALU_DEP_4)
	v_add_f32_e32 v3, v3, v164
	v_dual_mul_f32 v5, v149, v25 :: v_dual_fmac_f32 v166, v147, v20
	v_dual_mul_f32 v4, v151, v27 :: v_dual_fmac_f32 v167, v149, v24
	s_delay_alu instid0(VALU_DEP_3) | instskip(NEXT) | instid1(VALU_DEP_3)
	v_dual_add_f32 v2, v2, v6 :: v_dual_add_f32 v3, v3, v165
	v_fma_f32 v5, v148, v24, -v5
	v_mul_f32_e32 v6, v157, v153
	v_dual_fmac_f32 v168, v151, v26 :: v_dual_fmac_f32 v169, v157, v152
	s_delay_alu instid0(VALU_DEP_4) | instskip(SKIP_3) | instid1(VALU_DEP_4)
	v_add_f32_e32 v3, v3, v166
	v_fma_f32 v4, v150, v26, -v4
	v_add_f32_e32 v2, v2, v5
	v_fma_f32 v5, v156, v152, -v6
	v_add_f32_e32 v3, v3, v167
	s_delay_alu instid0(VALU_DEP_1) | instskip(NEXT) | instid1(VALU_DEP_1)
	v_add_f32_e32 v3, v3, v168
	v_dual_add_f32 v2, v2, v4 :: v_dual_add_f32 v3, v3, v169
	s_wait_loadcnt 0x0
	s_delay_alu instid0(VALU_DEP_1) | instskip(NEXT) | instid1(VALU_DEP_1)
	v_dual_add_f32 v2, v2, v5 :: v_dual_sub_f32 v3, v155, v3
	v_sub_f32_e32 v2, v154, v2
	scratch_store_b64 off, v[2:3], off offset:288
	v_cmpx_lt_u32_e32 35, v0
	s_cbranch_execz .LBB113_243
; %bb.242:
	scratch_load_b64 v[3:4], off, off offset:280
	v_mov_b32_e32 v2, v1
	scratch_store_b64 off, v[1:2], off offset:280
	s_wait_loadcnt 0x0
	ds_store_b64 v23, v[3:4]
.LBB113_243:
	s_wait_alu 0xfffe
	s_or_b32 exec_lo, exec_lo, s0
	s_wait_storecnt_dscnt 0x0
	s_barrier_signal -1
	s_barrier_wait -1
	global_inv scope:SCOPE_SE
	s_clause 0x7
	scratch_load_b128 v[2:5], off, off offset:288
	scratch_load_b128 v[6:9], off, off offset:304
	;; [unrolled: 1-line block ×7, first 2 shown]
	scratch_load_b64 v[160:161], off, off offset:280
	ds_load_b128 v[132:135], v1 offset:688
	ds_load_b128 v[136:139], v1 offset:704
	;; [unrolled: 1-line block ×7, first 2 shown]
	s_mov_b32 s0, exec_lo
	s_wait_loadcnt_dscnt 0x706
	v_dual_mul_f32 v1, v132, v3 :: v_dual_mul_f32 v22, v134, v5
	v_mul_f32_e32 v3, v133, v3
	s_wait_loadcnt_dscnt 0x605
	v_dual_mul_f32 v5, v135, v5 :: v_dual_mul_f32 v162, v136, v7
	v_mul_f32_e32 v163, v138, v9
	s_wait_loadcnt_dscnt 0x201
	v_mul_f32_e32 v170, v152, v25
	v_fma_f32 v3, v132, v2, -v3
	s_wait_loadcnt_dscnt 0x100
	v_dual_mul_f32 v173, v158, v131 :: v_dual_fmac_f32 v22, v135, v4
	v_fmac_f32_e32 v1, v133, v2
	v_mul_f32_e32 v2, v137, v7
	v_fma_f32 v4, v134, v4, -v5
	v_dual_add_f32 v3, 0, v3 :: v_dual_fmac_f32 v162, v137, v6
	v_dual_mul_f32 v164, v140, v11 :: v_dual_mul_f32 v165, v142, v13
	v_dual_mul_f32 v166, v144, v15 :: v_dual_mul_f32 v167, v146, v17
	s_delay_alu instid0(VALU_DEP_2) | instskip(SKIP_1) | instid1(VALU_DEP_3)
	v_dual_mul_f32 v5, v139, v9 :: v_dual_fmac_f32 v164, v141, v10
	v_fma_f32 v2, v136, v6, -v2
	v_dual_add_f32 v3, v3, v4 :: v_dual_fmac_f32 v166, v145, v14
	s_delay_alu instid0(VALU_DEP_3) | instskip(SKIP_1) | instid1(VALU_DEP_3)
	v_fma_f32 v5, v138, v8, -v5
	v_dual_mul_f32 v168, v148, v19 :: v_dual_mul_f32 v169, v150, v21
	v_add_f32_e32 v2, v3, v2
	v_dual_mul_f32 v4, v141, v11 :: v_dual_mul_f32 v3, v143, v13
	s_delay_alu instid0(VALU_DEP_3) | instskip(NEXT) | instid1(VALU_DEP_3)
	v_dual_fmac_f32 v168, v149, v18 :: v_dual_fmac_f32 v167, v147, v16
	v_add_f32_e32 v2, v2, v5
	v_add_f32_e32 v1, 0, v1
	s_delay_alu instid0(VALU_DEP_4) | instskip(SKIP_2) | instid1(VALU_DEP_3)
	v_fma_f32 v4, v140, v10, -v4
	v_fma_f32 v3, v142, v12, -v3
	v_dual_mul_f32 v171, v154, v27 :: v_dual_mul_f32 v172, v156, v129
	v_dual_add_f32 v1, v1, v22 :: v_dual_add_f32 v2, v2, v4
	v_mul_f32_e32 v4, v147, v17
	v_fmac_f32_e32 v163, v139, v8
	s_delay_alu instid0(VALU_DEP_4) | instskip(NEXT) | instid1(VALU_DEP_4)
	v_fmac_f32_e32 v171, v155, v26
	v_dual_add_f32 v1, v1, v162 :: v_dual_add_f32 v2, v2, v3
	s_delay_alu instid0(VALU_DEP_4) | instskip(SKIP_2) | instid1(VALU_DEP_4)
	v_fma_f32 v4, v146, v16, -v4
	v_mul_f32_e32 v5, v145, v15
	v_fmac_f32_e32 v173, v159, v130
	v_add_f32_e32 v1, v1, v163
	v_fmac_f32_e32 v170, v153, v24
	v_fmac_f32_e32 v172, v157, v128
	v_fma_f32 v5, v144, v14, -v5
	s_delay_alu instid0(VALU_DEP_1) | instskip(NEXT) | instid1(VALU_DEP_1)
	v_dual_fmac_f32 v165, v143, v12 :: v_dual_add_f32 v2, v2, v5
	v_dual_mul_f32 v5, v151, v21 :: v_dual_add_f32 v2, v2, v4
	s_delay_alu instid0(VALU_DEP_1) | instskip(SKIP_2) | instid1(VALU_DEP_2)
	v_fma_f32 v5, v150, v20, -v5
	v_mul_f32_e32 v3, v149, v19
	v_mul_f32_e32 v4, v153, v25
	v_fma_f32 v3, v148, v18, -v3
	v_add_f32_e32 v1, v1, v164
	s_delay_alu instid0(VALU_DEP_3) | instskip(NEXT) | instid1(VALU_DEP_3)
	v_fma_f32 v4, v152, v24, -v4
	v_add_f32_e32 v2, v2, v3
	s_delay_alu instid0(VALU_DEP_1) | instskip(NEXT) | instid1(VALU_DEP_4)
	v_dual_mul_f32 v3, v155, v27 :: v_dual_add_f32 v2, v2, v5
	v_add_f32_e32 v1, v1, v165
	v_mul_f32_e32 v5, v157, v129
	s_delay_alu instid0(VALU_DEP_3) | instskip(NEXT) | instid1(VALU_DEP_3)
	v_fma_f32 v3, v154, v26, -v3
	v_dual_add_f32 v2, v2, v4 :: v_dual_add_f32 v1, v1, v166
	v_mul_f32_e32 v4, v159, v131
	v_fmac_f32_e32 v169, v151, v20
	v_fma_f32 v5, v156, v128, -v5
	s_delay_alu instid0(VALU_DEP_4) | instskip(SKIP_2) | instid1(VALU_DEP_2)
	v_add_f32_e32 v2, v2, v3
	v_add_f32_e32 v1, v1, v167
	v_fma_f32 v3, v158, v130, -v4
	v_dual_add_f32 v2, v2, v5 :: v_dual_add_f32 v1, v1, v168
	s_delay_alu instid0(VALU_DEP_1) | instskip(NEXT) | instid1(VALU_DEP_1)
	v_dual_add_f32 v2, v2, v3 :: v_dual_add_f32 v1, v1, v169
	v_add_f32_e32 v1, v1, v170
	s_delay_alu instid0(VALU_DEP_1) | instskip(NEXT) | instid1(VALU_DEP_1)
	v_add_f32_e32 v1, v1, v171
	v_add_f32_e32 v1, v1, v172
	s_delay_alu instid0(VALU_DEP_1) | instskip(SKIP_1) | instid1(VALU_DEP_1)
	v_add_f32_e32 v3, v1, v173
	s_wait_loadcnt 0x0
	v_dual_sub_f32 v1, v160, v2 :: v_dual_sub_f32 v2, v161, v3
	scratch_store_b64 off, v[1:2], off offset:280
	v_cmpx_lt_u32_e32 34, v0
	s_cbranch_execz .LBB113_245
; %bb.244:
	scratch_load_b64 v[1:2], off, off offset:272
	v_mov_b32_e32 v3, 0
	s_delay_alu instid0(VALU_DEP_1)
	v_mov_b32_e32 v4, v3
	scratch_store_b64 off, v[3:4], off offset:272
	s_wait_loadcnt 0x0
	ds_store_b64 v23, v[1:2]
.LBB113_245:
	s_wait_alu 0xfffe
	s_or_b32 exec_lo, exec_lo, s0
	s_wait_storecnt_dscnt 0x0
	s_barrier_signal -1
	s_barrier_wait -1
	global_inv scope:SCOPE_SE
	s_clause 0x8
	scratch_load_b128 v[2:5], off, off offset:280
	scratch_load_b128 v[6:9], off, off offset:296
	;; [unrolled: 1-line block ×7, first 2 shown]
	scratch_load_b64 v[160:161], off, off offset:392
	scratch_load_b64 v[162:163], off, off offset:272
	v_mov_b32_e32 v1, 0
	ds_load_2addr_b64 v[132:135], v1 offset0:85 offset1:86
	ds_load_2addr_b64 v[136:139], v1 offset0:87 offset1:88
	;; [unrolled: 1-line block ×7, first 2 shown]
	ds_load_b64 v[164:165], v1 offset:792
	s_mov_b32 s0, exec_lo
	s_wait_loadcnt_dscnt 0x807
	v_mul_f32_e32 v22, v132, v3
	v_dual_mul_f32 v3, v133, v3 :: v_dual_mul_f32 v166, v134, v5
	s_wait_loadcnt_dscnt 0x403
	v_dual_mul_f32 v167, v136, v7 :: v_dual_mul_f32 v174, v150, v21
	v_mul_f32_e32 v5, v135, v5
	s_delay_alu instid0(VALU_DEP_3)
	v_fma_f32 v3, v132, v2, -v3
	v_dual_mul_f32 v168, v138, v9 :: v_dual_mul_f32 v169, v140, v11
	s_wait_loadcnt_dscnt 0x100
	v_dual_mul_f32 v179, v164, v161 :: v_dual_fmac_f32 v22, v133, v2
	v_mul_f32_e32 v2, v137, v7
	v_dual_fmac_f32 v166, v135, v4 :: v_dual_add_f32 v3, 0, v3
	v_fma_f32 v4, v134, v4, -v5
	s_delay_alu instid0(VALU_DEP_4) | instskip(SKIP_2) | instid1(VALU_DEP_4)
	v_dual_add_f32 v5, 0, v22 :: v_dual_fmac_f32 v168, v139, v8
	v_mul_f32_e32 v7, v139, v9
	v_fma_f32 v2, v136, v6, -v2
	v_add_f32_e32 v3, v3, v4
	v_fmac_f32_e32 v167, v137, v6
	v_add_f32_e32 v4, v5, v166
	v_mul_f32_e32 v5, v141, v11
	v_fma_f32 v6, v138, v8, -v7
	v_add_f32_e32 v2, v3, v2
	v_dual_mul_f32 v170, v142, v13 :: v_dual_mul_f32 v171, v144, v15
	v_dual_add_f32 v3, v4, v167 :: v_dual_mul_f32 v4, v143, v13
	v_fma_f32 v5, v140, v10, -v5
	s_delay_alu instid0(VALU_DEP_4)
	v_add_f32_e32 v2, v2, v6
	v_fmac_f32_e32 v169, v141, v10
	v_mul_f32_e32 v6, v145, v15
	v_fmac_f32_e32 v170, v143, v12
	v_add_f32_e32 v3, v3, v168
	v_fma_f32 v4, v142, v12, -v4
	v_add_f32_e32 v2, v2, v5
	v_dual_mul_f32 v172, v146, v17 :: v_dual_mul_f32 v173, v148, v19
	s_delay_alu instid0(VALU_DEP_4)
	v_add_f32_e32 v3, v3, v169
	v_mul_f32_e32 v5, v147, v17
	v_fma_f32 v6, v144, v14, -v6
	v_dual_add_f32 v2, v2, v4 :: v_dual_fmac_f32 v171, v145, v14
	v_fmac_f32_e32 v172, v147, v16
	v_mul_f32_e32 v4, v149, v19
	v_fma_f32 v5, v146, v16, -v5
	s_delay_alu instid0(VALU_DEP_4) | instskip(SKIP_3) | instid1(VALU_DEP_3)
	v_add_f32_e32 v2, v2, v6
	v_add_f32_e32 v3, v3, v170
	v_dual_mul_f32 v6, v151, v21 :: v_dual_fmac_f32 v173, v149, v18
	v_fma_f32 v4, v148, v18, -v4
	v_dual_add_f32 v2, v2, v5 :: v_dual_add_f32 v3, v3, v171
	s_delay_alu instid0(VALU_DEP_3) | instskip(SKIP_1) | instid1(VALU_DEP_3)
	v_fma_f32 v6, v150, v20, -v6
	v_dual_mul_f32 v175, v152, v25 :: v_dual_mul_f32 v176, v154, v27
	v_add_f32_e32 v2, v2, v4
	s_delay_alu instid0(VALU_DEP_4) | instskip(SKIP_1) | instid1(VALU_DEP_4)
	v_add_f32_e32 v3, v3, v172
	v_dual_mul_f32 v5, v153, v25 :: v_dual_fmac_f32 v174, v151, v20
	v_dual_mul_f32 v4, v155, v27 :: v_dual_fmac_f32 v175, v153, v24
	s_delay_alu instid0(VALU_DEP_3) | instskip(NEXT) | instid1(VALU_DEP_3)
	v_dual_add_f32 v2, v2, v6 :: v_dual_add_f32 v3, v3, v173
	v_fma_f32 v5, v152, v24, -v5
	v_dual_mul_f32 v177, v156, v129 :: v_dual_mul_f32 v178, v158, v131
	s_delay_alu instid0(VALU_DEP_3) | instskip(NEXT) | instid1(VALU_DEP_2)
	v_dual_mul_f32 v6, v157, v129 :: v_dual_add_f32 v3, v3, v174
	v_dual_fmac_f32 v176, v155, v26 :: v_dual_fmac_f32 v177, v157, v128
	v_fma_f32 v4, v154, v26, -v4
	s_delay_alu instid0(VALU_DEP_3) | instskip(SKIP_3) | instid1(VALU_DEP_4)
	v_dual_add_f32 v2, v2, v5 :: v_dual_add_f32 v3, v3, v175
	v_mul_f32_e32 v5, v159, v131
	v_fma_f32 v6, v156, v128, -v6
	v_dual_fmac_f32 v178, v159, v130 :: v_dual_fmac_f32 v179, v165, v160
	v_add_f32_e32 v2, v2, v4
	v_dual_add_f32 v3, v3, v176 :: v_dual_mul_f32 v4, v165, v161
	v_fma_f32 v5, v158, v130, -v5
	s_delay_alu instid0(VALU_DEP_2) | instskip(NEXT) | instid1(VALU_DEP_3)
	v_dual_add_f32 v2, v2, v6 :: v_dual_add_f32 v3, v3, v177
	v_fma_f32 v4, v164, v160, -v4
	s_delay_alu instid0(VALU_DEP_2) | instskip(NEXT) | instid1(VALU_DEP_1)
	v_dual_add_f32 v2, v2, v5 :: v_dual_add_f32 v3, v3, v178
	v_dual_add_f32 v2, v2, v4 :: v_dual_add_f32 v3, v3, v179
	s_wait_loadcnt 0x0
	s_delay_alu instid0(VALU_DEP_1)
	v_dual_sub_f32 v2, v162, v2 :: v_dual_sub_f32 v3, v163, v3
	scratch_store_b64 off, v[2:3], off offset:272
	v_cmpx_lt_u32_e32 33, v0
	s_cbranch_execz .LBB113_247
; %bb.246:
	scratch_load_b64 v[3:4], off, off offset:264
	v_mov_b32_e32 v2, v1
	scratch_store_b64 off, v[1:2], off offset:264
	s_wait_loadcnt 0x0
	ds_store_b64 v23, v[3:4]
.LBB113_247:
	s_wait_alu 0xfffe
	s_or_b32 exec_lo, exec_lo, s0
	s_wait_storecnt_dscnt 0x0
	s_barrier_signal -1
	s_barrier_wait -1
	global_inv scope:SCOPE_SE
	s_clause 0x8
	scratch_load_b128 v[2:5], off, off offset:272
	scratch_load_b128 v[6:9], off, off offset:288
	;; [unrolled: 1-line block ×8, first 2 shown]
	scratch_load_b64 v[168:169], off, off offset:264
	ds_load_b128 v[136:139], v1 offset:672
	ds_load_b128 v[140:143], v1 offset:688
	;; [unrolled: 1-line block ×8, first 2 shown]
	s_mov_b32 s0, exec_lo
	s_wait_loadcnt_dscnt 0x807
	v_dual_mul_f32 v1, v136, v3 :: v_dual_mul_f32 v22, v138, v5
	v_mul_f32_e32 v3, v137, v3
	s_wait_loadcnt_dscnt 0x706
	v_dual_mul_f32 v5, v139, v5 :: v_dual_mul_f32 v170, v140, v7
	v_mul_f32_e32 v171, v142, v9
	s_wait_loadcnt_dscnt 0x201
	v_mul_f32_e32 v180, v160, v129
	v_fma_f32 v3, v136, v2, -v3
	s_wait_loadcnt_dscnt 0x100
	v_dual_mul_f32 v183, v166, v135 :: v_dual_fmac_f32 v22, v139, v4
	v_fmac_f32_e32 v1, v137, v2
	v_mul_f32_e32 v2, v141, v7
	v_fma_f32 v4, v138, v4, -v5
	v_dual_add_f32 v3, 0, v3 :: v_dual_fmac_f32 v170, v141, v6
	v_dual_mul_f32 v172, v144, v11 :: v_dual_mul_f32 v173, v146, v13
	v_dual_mul_f32 v174, v148, v15 :: v_dual_mul_f32 v175, v150, v17
	s_delay_alu instid0(VALU_DEP_2) | instskip(SKIP_1) | instid1(VALU_DEP_3)
	v_dual_mul_f32 v5, v143, v9 :: v_dual_fmac_f32 v172, v145, v10
	v_fma_f32 v2, v140, v6, -v2
	v_dual_add_f32 v3, v3, v4 :: v_dual_fmac_f32 v174, v149, v14
	s_delay_alu instid0(VALU_DEP_3) | instskip(SKIP_1) | instid1(VALU_DEP_3)
	v_fma_f32 v5, v142, v8, -v5
	v_dual_mul_f32 v176, v152, v19 :: v_dual_mul_f32 v177, v154, v21
	v_add_f32_e32 v2, v3, v2
	v_dual_mul_f32 v4, v145, v11 :: v_dual_mul_f32 v3, v147, v13
	s_delay_alu instid0(VALU_DEP_3) | instskip(SKIP_1) | instid1(VALU_DEP_4)
	v_fmac_f32_e32 v176, v153, v18
	v_dual_mul_f32 v178, v156, v25 :: v_dual_mul_f32 v179, v158, v27
	v_add_f32_e32 v2, v2, v5
	v_add_f32_e32 v1, 0, v1
	v_fma_f32 v4, v144, v10, -v4
	v_fma_f32 v3, v146, v12, -v3
	v_fmac_f32_e32 v175, v151, v16
	v_dual_mul_f32 v181, v162, v131 :: v_dual_mul_f32 v182, v164, v133
	s_delay_alu instid0(VALU_DEP_4) | instskip(SKIP_2) | instid1(VALU_DEP_4)
	v_dual_add_f32 v1, v1, v22 :: v_dual_add_f32 v2, v2, v4
	v_mul_f32_e32 v4, v151, v17
	v_fmac_f32_e32 v171, v143, v8
	v_dual_fmac_f32 v179, v159, v26 :: v_dual_fmac_f32 v182, v165, v132
	s_delay_alu instid0(VALU_DEP_4) | instskip(NEXT) | instid1(VALU_DEP_4)
	v_add_f32_e32 v1, v1, v170
	v_fma_f32 v4, v150, v16, -v4
	v_mul_f32_e32 v5, v149, v15
	v_dual_add_f32 v2, v2, v3 :: v_dual_fmac_f32 v181, v163, v130
	s_delay_alu instid0(VALU_DEP_4) | instskip(SKIP_1) | instid1(VALU_DEP_4)
	v_add_f32_e32 v1, v1, v171
	v_fmac_f32_e32 v178, v157, v24
	v_fma_f32 v5, v148, v14, -v5
	v_fmac_f32_e32 v173, v147, v12
	v_dual_fmac_f32 v183, v167, v134 :: v_dual_fmac_f32 v180, v161, v128
	s_delay_alu instid0(VALU_DEP_3) | instskip(NEXT) | instid1(VALU_DEP_1)
	v_add_f32_e32 v2, v2, v5
	v_dual_mul_f32 v5, v155, v21 :: v_dual_add_f32 v2, v2, v4
	s_delay_alu instid0(VALU_DEP_1) | instskip(SKIP_2) | instid1(VALU_DEP_2)
	v_fma_f32 v5, v154, v20, -v5
	v_mul_f32_e32 v3, v153, v19
	v_mul_f32_e32 v4, v157, v25
	v_fma_f32 v3, v152, v18, -v3
	v_add_f32_e32 v1, v1, v172
	s_delay_alu instid0(VALU_DEP_3) | instskip(NEXT) | instid1(VALU_DEP_3)
	v_fma_f32 v4, v156, v24, -v4
	v_add_f32_e32 v2, v2, v3
	s_delay_alu instid0(VALU_DEP_1) | instskip(NEXT) | instid1(VALU_DEP_4)
	v_dual_mul_f32 v3, v159, v27 :: v_dual_add_f32 v2, v2, v5
	v_add_f32_e32 v1, v1, v173
	s_delay_alu instid0(VALU_DEP_2) | instskip(NEXT) | instid1(VALU_DEP_2)
	v_fma_f32 v3, v158, v26, -v3
	v_dual_add_f32 v2, v2, v4 :: v_dual_add_f32 v1, v1, v174
	v_mul_f32_e32 v4, v163, v131
	s_delay_alu instid0(VALU_DEP_2) | instskip(SKIP_1) | instid1(VALU_DEP_3)
	v_dual_fmac_f32 v177, v155, v20 :: v_dual_add_f32 v2, v2, v3
	v_mul_f32_e32 v3, v165, v133
	v_fma_f32 v4, v162, v130, -v4
	v_mul_f32_e32 v5, v161, v129
	s_delay_alu instid0(VALU_DEP_3) | instskip(NEXT) | instid1(VALU_DEP_2)
	v_fma_f32 v3, v164, v132, -v3
	v_fma_f32 v5, v160, v128, -v5
	s_delay_alu instid0(VALU_DEP_1) | instskip(NEXT) | instid1(VALU_DEP_1)
	v_dual_add_f32 v1, v1, v175 :: v_dual_add_f32 v2, v2, v5
	v_dual_mul_f32 v5, v167, v135 :: v_dual_add_f32 v2, v2, v4
	s_delay_alu instid0(VALU_DEP_2) | instskip(NEXT) | instid1(VALU_DEP_2)
	v_add_f32_e32 v1, v1, v176
	v_fma_f32 v4, v166, v134, -v5
	s_delay_alu instid0(VALU_DEP_2) | instskip(NEXT) | instid1(VALU_DEP_1)
	v_dual_add_f32 v2, v2, v3 :: v_dual_add_f32 v1, v1, v177
	v_dual_add_f32 v2, v2, v4 :: v_dual_add_f32 v1, v1, v178
	s_delay_alu instid0(VALU_DEP_1) | instskip(NEXT) | instid1(VALU_DEP_1)
	v_add_f32_e32 v1, v1, v179
	v_add_f32_e32 v1, v1, v180
	s_delay_alu instid0(VALU_DEP_1) | instskip(NEXT) | instid1(VALU_DEP_1)
	v_add_f32_e32 v1, v1, v181
	v_add_f32_e32 v1, v1, v182
	s_delay_alu instid0(VALU_DEP_1) | instskip(SKIP_1) | instid1(VALU_DEP_1)
	v_add_f32_e32 v3, v1, v183
	s_wait_loadcnt 0x0
	v_dual_sub_f32 v1, v168, v2 :: v_dual_sub_f32 v2, v169, v3
	scratch_store_b64 off, v[1:2], off offset:264
	v_cmpx_lt_u32_e32 32, v0
	s_cbranch_execz .LBB113_249
; %bb.248:
	scratch_load_b64 v[1:2], off, off offset:256
	v_mov_b32_e32 v3, 0
	s_delay_alu instid0(VALU_DEP_1)
	v_mov_b32_e32 v4, v3
	scratch_store_b64 off, v[3:4], off offset:256
	s_wait_loadcnt 0x0
	ds_store_b64 v23, v[1:2]
.LBB113_249:
	s_wait_alu 0xfffe
	s_or_b32 exec_lo, exec_lo, s0
	s_wait_storecnt_dscnt 0x0
	s_barrier_signal -1
	s_barrier_wait -1
	global_inv scope:SCOPE_SE
	s_clause 0x9
	scratch_load_b128 v[2:5], off, off offset:264
	scratch_load_b128 v[6:9], off, off offset:280
	;; [unrolled: 1-line block ×8, first 2 shown]
	scratch_load_b64 v[168:169], off, off offset:392
	scratch_load_b64 v[170:171], off, off offset:256
	v_mov_b32_e32 v1, 0
	ds_load_2addr_b64 v[136:139], v1 offset0:83 offset1:84
	ds_load_2addr_b64 v[140:143], v1 offset0:85 offset1:86
	;; [unrolled: 1-line block ×8, first 2 shown]
	ds_load_b64 v[172:173], v1 offset:792
	s_mov_b32 s0, exec_lo
	s_wait_loadcnt_dscnt 0x908
	v_mul_f32_e32 v22, v136, v3
	v_dual_mul_f32 v3, v137, v3 :: v_dual_mul_f32 v174, v138, v5
	s_wait_loadcnt_dscnt 0x504
	v_dual_mul_f32 v175, v140, v7 :: v_dual_mul_f32 v182, v154, v21
	v_mul_f32_e32 v5, v139, v5
	s_delay_alu instid0(VALU_DEP_3)
	v_fma_f32 v3, v136, v2, -v3
	v_dual_mul_f32 v176, v142, v9 :: v_dual_mul_f32 v177, v144, v11
	s_wait_loadcnt_dscnt 0x100
	v_dual_mul_f32 v189, v172, v169 :: v_dual_fmac_f32 v22, v137, v2
	v_mul_f32_e32 v2, v141, v7
	v_dual_fmac_f32 v174, v139, v4 :: v_dual_add_f32 v3, 0, v3
	v_fma_f32 v4, v138, v4, -v5
	s_delay_alu instid0(VALU_DEP_4) | instskip(SKIP_2) | instid1(VALU_DEP_4)
	v_dual_add_f32 v5, 0, v22 :: v_dual_fmac_f32 v176, v143, v8
	v_mul_f32_e32 v7, v143, v9
	v_fma_f32 v2, v140, v6, -v2
	v_add_f32_e32 v3, v3, v4
	v_fmac_f32_e32 v175, v141, v6
	v_add_f32_e32 v4, v5, v174
	v_mul_f32_e32 v5, v145, v11
	v_fma_f32 v6, v142, v8, -v7
	v_add_f32_e32 v2, v3, v2
	v_dual_mul_f32 v178, v146, v13 :: v_dual_mul_f32 v179, v148, v15
	v_dual_add_f32 v3, v4, v175 :: v_dual_mul_f32 v4, v147, v13
	v_fma_f32 v5, v144, v10, -v5
	s_delay_alu instid0(VALU_DEP_4)
	v_add_f32_e32 v2, v2, v6
	v_fmac_f32_e32 v177, v145, v10
	v_mul_f32_e32 v6, v149, v15
	v_fmac_f32_e32 v178, v147, v12
	v_add_f32_e32 v3, v3, v176
	v_fma_f32 v4, v146, v12, -v4
	v_add_f32_e32 v2, v2, v5
	v_dual_mul_f32 v180, v150, v17 :: v_dual_mul_f32 v181, v152, v19
	s_delay_alu instid0(VALU_DEP_4)
	v_add_f32_e32 v3, v3, v177
	v_mul_f32_e32 v5, v151, v17
	v_fma_f32 v6, v148, v14, -v6
	v_dual_add_f32 v2, v2, v4 :: v_dual_fmac_f32 v179, v149, v14
	v_fmac_f32_e32 v180, v151, v16
	v_mul_f32_e32 v4, v153, v19
	v_fma_f32 v5, v150, v16, -v5
	s_delay_alu instid0(VALU_DEP_4) | instskip(SKIP_3) | instid1(VALU_DEP_3)
	v_add_f32_e32 v2, v2, v6
	v_add_f32_e32 v3, v3, v178
	v_dual_mul_f32 v6, v155, v21 :: v_dual_fmac_f32 v181, v153, v18
	v_fma_f32 v4, v152, v18, -v4
	v_dual_add_f32 v2, v2, v5 :: v_dual_add_f32 v3, v3, v179
	s_delay_alu instid0(VALU_DEP_3) | instskip(SKIP_1) | instid1(VALU_DEP_3)
	v_fma_f32 v6, v154, v20, -v6
	v_dual_mul_f32 v183, v156, v25 :: v_dual_mul_f32 v184, v158, v27
	v_add_f32_e32 v2, v2, v4
	s_delay_alu instid0(VALU_DEP_4) | instskip(SKIP_1) | instid1(VALU_DEP_4)
	v_add_f32_e32 v3, v3, v180
	v_dual_mul_f32 v5, v157, v25 :: v_dual_fmac_f32 v182, v155, v20
	v_dual_mul_f32 v4, v159, v27 :: v_dual_fmac_f32 v183, v157, v24
	s_delay_alu instid0(VALU_DEP_3) | instskip(NEXT) | instid1(VALU_DEP_3)
	v_dual_add_f32 v2, v2, v6 :: v_dual_add_f32 v3, v3, v181
	v_fma_f32 v5, v156, v24, -v5
	v_dual_mul_f32 v185, v160, v129 :: v_dual_mul_f32 v186, v162, v131
	s_delay_alu instid0(VALU_DEP_3) | instskip(NEXT) | instid1(VALU_DEP_2)
	v_dual_mul_f32 v6, v161, v129 :: v_dual_add_f32 v3, v3, v182
	v_dual_fmac_f32 v184, v159, v26 :: v_dual_fmac_f32 v185, v161, v128
	v_fma_f32 v4, v158, v26, -v4
	s_delay_alu instid0(VALU_DEP_3) | instskip(SKIP_3) | instid1(VALU_DEP_4)
	v_dual_add_f32 v2, v2, v5 :: v_dual_add_f32 v3, v3, v183
	v_mul_f32_e32 v5, v163, v131
	v_fma_f32 v6, v160, v128, -v6
	v_dual_mul_f32 v187, v164, v133 :: v_dual_mul_f32 v188, v166, v135
	v_add_f32_e32 v2, v2, v4
	v_dual_add_f32 v3, v3, v184 :: v_dual_mul_f32 v4, v165, v133
	s_delay_alu instid0(VALU_DEP_3) | instskip(SKIP_1) | instid1(VALU_DEP_3)
	v_dual_fmac_f32 v186, v163, v130 :: v_dual_fmac_f32 v187, v165, v132
	v_fma_f32 v5, v162, v130, -v5
	v_dual_add_f32 v2, v2, v6 :: v_dual_add_f32 v3, v3, v185
	v_mul_f32_e32 v6, v167, v135
	v_fma_f32 v4, v164, v132, -v4
	v_dual_fmac_f32 v188, v167, v134 :: v_dual_fmac_f32 v189, v173, v168
	s_delay_alu instid0(VALU_DEP_4) | instskip(SKIP_2) | instid1(VALU_DEP_3)
	v_dual_add_f32 v2, v2, v5 :: v_dual_add_f32 v3, v3, v186
	v_mul_f32_e32 v5, v173, v169
	v_fma_f32 v6, v166, v134, -v6
	v_dual_add_f32 v2, v2, v4 :: v_dual_add_f32 v3, v3, v187
	s_delay_alu instid0(VALU_DEP_3) | instskip(NEXT) | instid1(VALU_DEP_2)
	v_fma_f32 v4, v172, v168, -v5
	v_dual_add_f32 v2, v2, v6 :: v_dual_add_f32 v3, v3, v188
	s_delay_alu instid0(VALU_DEP_1) | instskip(SKIP_1) | instid1(VALU_DEP_1)
	v_dual_add_f32 v2, v2, v4 :: v_dual_add_f32 v3, v3, v189
	s_wait_loadcnt 0x0
	v_dual_sub_f32 v2, v170, v2 :: v_dual_sub_f32 v3, v171, v3
	scratch_store_b64 off, v[2:3], off offset:256
	v_cmpx_lt_u32_e32 31, v0
	s_cbranch_execz .LBB113_251
; %bb.250:
	scratch_load_b64 v[3:4], off, off offset:248
	v_mov_b32_e32 v2, v1
	scratch_store_b64 off, v[1:2], off offset:248
	s_wait_loadcnt 0x0
	ds_store_b64 v23, v[3:4]
.LBB113_251:
	s_wait_alu 0xfffe
	s_or_b32 exec_lo, exec_lo, s0
	s_wait_storecnt_dscnt 0x0
	s_barrier_signal -1
	s_barrier_wait -1
	global_inv scope:SCOPE_SE
	s_clause 0x9
	scratch_load_b128 v[2:5], off, off offset:256
	scratch_load_b128 v[6:9], off, off offset:272
	;; [unrolled: 1-line block ×9, first 2 shown]
	scratch_load_b64 v[176:177], off, off offset:248
	ds_load_b128 v[140:143], v1 offset:656
	ds_load_b128 v[144:147], v1 offset:672
	;; [unrolled: 1-line block ×9, first 2 shown]
	s_mov_b32 s0, exec_lo
	s_wait_loadcnt_dscnt 0x908
	v_dual_mul_f32 v1, v140, v3 :: v_dual_mul_f32 v22, v142, v5
	v_mul_f32_e32 v5, v143, v5
	v_mul_f32_e32 v3, v141, v3
	s_wait_loadcnt_dscnt 0x807
	v_dual_mul_f32 v178, v144, v7 :: v_dual_mul_f32 v179, v146, v9
	s_wait_loadcnt_dscnt 0x201
	v_dual_fmac_f32 v1, v141, v2 :: v_dual_mul_f32 v190, v168, v133
	v_fma_f32 v3, v140, v2, -v3
	s_wait_loadcnt_dscnt 0x100
	v_dual_mul_f32 v193, v174, v139 :: v_dual_fmac_f32 v22, v143, v4
	v_mul_f32_e32 v2, v145, v7
	v_fma_f32 v4, v142, v4, -v5
	v_dual_add_f32 v3, 0, v3 :: v_dual_fmac_f32 v178, v145, v6
	v_dual_mul_f32 v180, v148, v11 :: v_dual_mul_f32 v181, v150, v13
	v_dual_mul_f32 v182, v152, v15 :: v_dual_mul_f32 v183, v154, v17
	s_delay_alu instid0(VALU_DEP_2) | instskip(SKIP_1) | instid1(VALU_DEP_3)
	v_dual_mul_f32 v5, v147, v9 :: v_dual_fmac_f32 v180, v149, v10
	v_fma_f32 v2, v144, v6, -v2
	v_dual_add_f32 v3, v3, v4 :: v_dual_fmac_f32 v182, v153, v14
	s_delay_alu instid0(VALU_DEP_3) | instskip(SKIP_1) | instid1(VALU_DEP_3)
	v_fma_f32 v5, v146, v8, -v5
	v_dual_mul_f32 v184, v156, v19 :: v_dual_mul_f32 v185, v158, v21
	v_add_f32_e32 v2, v3, v2
	v_dual_mul_f32 v4, v149, v11 :: v_dual_mul_f32 v3, v151, v13
	s_delay_alu instid0(VALU_DEP_3) | instskip(SKIP_1) | instid1(VALU_DEP_4)
	v_fmac_f32_e32 v184, v157, v18
	v_dual_mul_f32 v186, v160, v25 :: v_dual_mul_f32 v187, v162, v27
	v_add_f32_e32 v2, v2, v5
	v_add_f32_e32 v1, 0, v1
	v_fma_f32 v4, v148, v10, -v4
	v_fma_f32 v3, v150, v12, -v3
	v_dual_fmac_f32 v183, v155, v16 :: v_dual_mul_f32 v188, v164, v129
	v_mul_f32_e32 v189, v166, v131
	s_delay_alu instid0(VALU_DEP_4) | instskip(SKIP_3) | instid1(VALU_DEP_4)
	v_dual_add_f32 v1, v1, v22 :: v_dual_add_f32 v2, v2, v4
	v_mul_f32_e32 v4, v155, v17
	v_fmac_f32_e32 v179, v147, v8
	v_dual_mul_f32 v191, v170, v135 :: v_dual_mul_f32 v192, v172, v137
	v_add_f32_e32 v1, v1, v178
	s_delay_alu instid0(VALU_DEP_4) | instskip(SKIP_2) | instid1(VALU_DEP_4)
	v_fma_f32 v4, v154, v16, -v4
	v_mul_f32_e32 v5, v153, v15
	v_dual_add_f32 v2, v2, v3 :: v_dual_fmac_f32 v189, v167, v130
	v_add_f32_e32 v1, v1, v179
	v_dual_fmac_f32 v187, v163, v26 :: v_dual_fmac_f32 v190, v169, v132
	s_delay_alu instid0(VALU_DEP_4) | instskip(SKIP_3) | instid1(VALU_DEP_4)
	v_fma_f32 v5, v152, v14, -v5
	v_fmac_f32_e32 v181, v151, v12
	v_dual_fmac_f32 v186, v161, v24 :: v_dual_fmac_f32 v193, v175, v138
	v_fmac_f32_e32 v188, v165, v128
	v_add_f32_e32 v2, v2, v5
	v_dual_mul_f32 v5, v159, v21 :: v_dual_fmac_f32 v192, v173, v136
	s_delay_alu instid0(VALU_DEP_2) | instskip(NEXT) | instid1(VALU_DEP_2)
	v_add_f32_e32 v2, v2, v4
	v_fma_f32 v5, v158, v20, -v5
	v_mul_f32_e32 v3, v157, v19
	v_mul_f32_e32 v4, v161, v25
	s_delay_alu instid0(VALU_DEP_2) | instskip(SKIP_1) | instid1(VALU_DEP_3)
	v_fma_f32 v3, v156, v18, -v3
	v_add_f32_e32 v1, v1, v180
	v_fma_f32 v4, v160, v24, -v4
	s_delay_alu instid0(VALU_DEP_3) | instskip(NEXT) | instid1(VALU_DEP_1)
	v_add_f32_e32 v2, v2, v3
	v_dual_mul_f32 v3, v163, v27 :: v_dual_add_f32 v2, v2, v5
	s_delay_alu instid0(VALU_DEP_4) | instskip(NEXT) | instid1(VALU_DEP_2)
	v_add_f32_e32 v1, v1, v181
	v_fma_f32 v3, v162, v26, -v3
	s_delay_alu instid0(VALU_DEP_2) | instskip(SKIP_1) | instid1(VALU_DEP_2)
	v_dual_add_f32 v2, v2, v4 :: v_dual_add_f32 v1, v1, v182
	v_mul_f32_e32 v4, v167, v131
	v_dual_fmac_f32 v185, v159, v20 :: v_dual_add_f32 v2, v2, v3
	v_mul_f32_e32 v3, v169, v133
	s_delay_alu instid0(VALU_DEP_3) | instskip(SKIP_1) | instid1(VALU_DEP_3)
	v_fma_f32 v4, v166, v130, -v4
	v_mul_f32_e32 v5, v165, v129
	v_fma_f32 v3, v168, v132, -v3
	s_delay_alu instid0(VALU_DEP_2) | instskip(NEXT) | instid1(VALU_DEP_1)
	v_fma_f32 v5, v164, v128, -v5
	v_dual_add_f32 v1, v1, v183 :: v_dual_add_f32 v2, v2, v5
	s_delay_alu instid0(VALU_DEP_1) | instskip(NEXT) | instid1(VALU_DEP_2)
	v_dual_mul_f32 v5, v171, v135 :: v_dual_add_f32 v2, v2, v4
	v_add_f32_e32 v1, v1, v184
	v_mul_f32_e32 v4, v173, v137
	s_delay_alu instid0(VALU_DEP_3) | instskip(NEXT) | instid1(VALU_DEP_4)
	v_fma_f32 v5, v170, v134, -v5
	v_dual_add_f32 v2, v2, v3 :: v_dual_fmac_f32 v191, v171, v134
	v_mul_f32_e32 v3, v175, v139
	s_delay_alu instid0(VALU_DEP_4) | instskip(NEXT) | instid1(VALU_DEP_3)
	v_fma_f32 v4, v172, v136, -v4
	v_add_f32_e32 v2, v2, v5
	v_add_f32_e32 v1, v1, v185
	s_delay_alu instid0(VALU_DEP_4) | instskip(NEXT) | instid1(VALU_DEP_2)
	v_fma_f32 v3, v174, v138, -v3
	v_dual_add_f32 v2, v2, v4 :: v_dual_add_f32 v1, v1, v186
	s_delay_alu instid0(VALU_DEP_1) | instskip(NEXT) | instid1(VALU_DEP_2)
	v_add_f32_e32 v2, v2, v3
	v_add_f32_e32 v1, v1, v187
	s_delay_alu instid0(VALU_DEP_1) | instskip(NEXT) | instid1(VALU_DEP_1)
	v_add_f32_e32 v1, v1, v188
	v_add_f32_e32 v1, v1, v189
	s_delay_alu instid0(VALU_DEP_1) | instskip(NEXT) | instid1(VALU_DEP_1)
	;; [unrolled: 3-line block ×3, first 2 shown]
	v_add_f32_e32 v1, v1, v192
	v_add_f32_e32 v3, v1, v193
	s_wait_loadcnt 0x0
	s_delay_alu instid0(VALU_DEP_1)
	v_dual_sub_f32 v1, v176, v2 :: v_dual_sub_f32 v2, v177, v3
	scratch_store_b64 off, v[1:2], off offset:248
	v_cmpx_lt_u32_e32 30, v0
	s_cbranch_execz .LBB113_253
; %bb.252:
	scratch_load_b64 v[1:2], off, off offset:240
	v_mov_b32_e32 v3, 0
	s_delay_alu instid0(VALU_DEP_1)
	v_mov_b32_e32 v4, v3
	scratch_store_b64 off, v[3:4], off offset:240
	s_wait_loadcnt 0x0
	ds_store_b64 v23, v[1:2]
.LBB113_253:
	s_wait_alu 0xfffe
	s_or_b32 exec_lo, exec_lo, s0
	s_wait_storecnt_dscnt 0x0
	s_barrier_signal -1
	s_barrier_wait -1
	global_inv scope:SCOPE_SE
	s_clause 0xa
	scratch_load_b128 v[2:5], off, off offset:248
	scratch_load_b128 v[6:9], off, off offset:264
	;; [unrolled: 1-line block ×9, first 2 shown]
	scratch_load_b64 v[176:177], off, off offset:392
	scratch_load_b64 v[178:179], off, off offset:240
	v_mov_b32_e32 v1, 0
	ds_load_2addr_b64 v[140:143], v1 offset0:81 offset1:82
	ds_load_2addr_b64 v[144:147], v1 offset0:83 offset1:84
	;; [unrolled: 1-line block ×9, first 2 shown]
	ds_load_b64 v[180:181], v1 offset:792
	s_mov_b32 s0, exec_lo
	s_wait_loadcnt_dscnt 0xa09
	v_mul_f32_e32 v22, v140, v3
	v_dual_mul_f32 v3, v141, v3 :: v_dual_mul_f32 v182, v142, v5
	s_wait_loadcnt_dscnt 0x605
	v_dual_mul_f32 v183, v144, v7 :: v_dual_mul_f32 v190, v158, v21
	v_mul_f32_e32 v5, v143, v5
	s_delay_alu instid0(VALU_DEP_3)
	v_fma_f32 v3, v140, v2, -v3
	v_dual_mul_f32 v184, v146, v9 :: v_dual_mul_f32 v185, v148, v11
	s_wait_loadcnt_dscnt 0x100
	v_dual_mul_f32 v199, v180, v177 :: v_dual_fmac_f32 v22, v141, v2
	v_mul_f32_e32 v2, v145, v7
	v_dual_fmac_f32 v182, v143, v4 :: v_dual_add_f32 v3, 0, v3
	v_fma_f32 v4, v142, v4, -v5
	s_delay_alu instid0(VALU_DEP_4) | instskip(SKIP_2) | instid1(VALU_DEP_4)
	v_dual_add_f32 v5, 0, v22 :: v_dual_fmac_f32 v184, v147, v8
	v_mul_f32_e32 v7, v147, v9
	v_fma_f32 v2, v144, v6, -v2
	v_add_f32_e32 v3, v3, v4
	v_fmac_f32_e32 v183, v145, v6
	v_add_f32_e32 v4, v5, v182
	v_mul_f32_e32 v5, v149, v11
	v_fma_f32 v6, v146, v8, -v7
	v_add_f32_e32 v2, v3, v2
	v_dual_mul_f32 v186, v150, v13 :: v_dual_mul_f32 v187, v152, v15
	v_dual_add_f32 v3, v4, v183 :: v_dual_mul_f32 v4, v151, v13
	v_fma_f32 v5, v148, v10, -v5
	s_delay_alu instid0(VALU_DEP_4)
	v_add_f32_e32 v2, v2, v6
	v_fmac_f32_e32 v185, v149, v10
	v_mul_f32_e32 v6, v153, v15
	v_fmac_f32_e32 v186, v151, v12
	v_add_f32_e32 v3, v3, v184
	v_fma_f32 v4, v150, v12, -v4
	v_add_f32_e32 v2, v2, v5
	v_dual_mul_f32 v188, v154, v17 :: v_dual_mul_f32 v189, v156, v19
	s_delay_alu instid0(VALU_DEP_4)
	v_add_f32_e32 v3, v3, v185
	v_mul_f32_e32 v5, v155, v17
	v_fma_f32 v6, v152, v14, -v6
	v_dual_add_f32 v2, v2, v4 :: v_dual_fmac_f32 v187, v153, v14
	v_fmac_f32_e32 v188, v155, v16
	v_mul_f32_e32 v4, v157, v19
	v_fma_f32 v5, v154, v16, -v5
	s_delay_alu instid0(VALU_DEP_4) | instskip(SKIP_3) | instid1(VALU_DEP_3)
	v_add_f32_e32 v2, v2, v6
	v_add_f32_e32 v3, v3, v186
	v_dual_mul_f32 v6, v159, v21 :: v_dual_fmac_f32 v189, v157, v18
	v_fma_f32 v4, v156, v18, -v4
	v_dual_add_f32 v2, v2, v5 :: v_dual_add_f32 v3, v3, v187
	s_delay_alu instid0(VALU_DEP_3) | instskip(SKIP_1) | instid1(VALU_DEP_3)
	v_fma_f32 v6, v158, v20, -v6
	v_dual_mul_f32 v191, v160, v25 :: v_dual_mul_f32 v192, v162, v27
	v_add_f32_e32 v2, v2, v4
	s_delay_alu instid0(VALU_DEP_4) | instskip(SKIP_1) | instid1(VALU_DEP_4)
	v_add_f32_e32 v3, v3, v188
	v_dual_mul_f32 v5, v161, v25 :: v_dual_fmac_f32 v190, v159, v20
	v_dual_mul_f32 v4, v163, v27 :: v_dual_fmac_f32 v191, v161, v24
	s_delay_alu instid0(VALU_DEP_3) | instskip(NEXT) | instid1(VALU_DEP_3)
	v_dual_add_f32 v2, v2, v6 :: v_dual_add_f32 v3, v3, v189
	v_fma_f32 v5, v160, v24, -v5
	v_dual_mul_f32 v193, v164, v129 :: v_dual_mul_f32 v194, v166, v131
	s_delay_alu instid0(VALU_DEP_3) | instskip(NEXT) | instid1(VALU_DEP_2)
	v_dual_mul_f32 v6, v165, v129 :: v_dual_add_f32 v3, v3, v190
	v_dual_fmac_f32 v192, v163, v26 :: v_dual_fmac_f32 v193, v165, v128
	v_fma_f32 v4, v162, v26, -v4
	s_delay_alu instid0(VALU_DEP_3) | instskip(SKIP_3) | instid1(VALU_DEP_4)
	v_dual_add_f32 v2, v2, v5 :: v_dual_add_f32 v3, v3, v191
	v_mul_f32_e32 v5, v167, v131
	v_fma_f32 v6, v164, v128, -v6
	v_dual_mul_f32 v195, v168, v133 :: v_dual_mul_f32 v196, v170, v135
	v_add_f32_e32 v2, v2, v4
	v_dual_add_f32 v3, v3, v192 :: v_dual_mul_f32 v4, v169, v133
	s_delay_alu instid0(VALU_DEP_3) | instskip(SKIP_1) | instid1(VALU_DEP_3)
	v_dual_fmac_f32 v194, v167, v130 :: v_dual_fmac_f32 v195, v169, v132
	v_fma_f32 v5, v166, v130, -v5
	v_dual_add_f32 v2, v2, v6 :: v_dual_add_f32 v3, v3, v193
	v_mul_f32_e32 v6, v171, v135
	v_fma_f32 v4, v168, v132, -v4
	v_dual_mul_f32 v197, v172, v137 :: v_dual_mul_f32 v198, v174, v139
	s_delay_alu instid0(VALU_DEP_4) | instskip(SKIP_1) | instid1(VALU_DEP_3)
	v_dual_add_f32 v2, v2, v5 :: v_dual_add_f32 v3, v3, v194
	v_dual_mul_f32 v5, v173, v137 :: v_dual_fmac_f32 v196, v171, v134
	v_fmac_f32_e32 v197, v173, v136
	v_fma_f32 v6, v170, v134, -v6
	s_delay_alu instid0(VALU_DEP_4) | instskip(SKIP_2) | instid1(VALU_DEP_3)
	v_dual_add_f32 v2, v2, v4 :: v_dual_add_f32 v3, v3, v195
	v_dual_mul_f32 v4, v175, v139 :: v_dual_fmac_f32 v199, v181, v176
	v_fma_f32 v5, v172, v136, -v5
	v_dual_add_f32 v2, v2, v6 :: v_dual_add_f32 v3, v3, v196
	v_fmac_f32_e32 v198, v175, v138
	s_delay_alu instid0(VALU_DEP_4) | instskip(NEXT) | instid1(VALU_DEP_3)
	v_fma_f32 v4, v174, v138, -v4
	v_add_f32_e32 v3, v3, v197
	s_delay_alu instid0(VALU_DEP_1) | instskip(SKIP_1) | instid1(VALU_DEP_2)
	v_dual_mul_f32 v6, v181, v177 :: v_dual_add_f32 v3, v3, v198
	v_add_f32_e32 v2, v2, v5
	v_fma_f32 v5, v180, v176, -v6
	s_delay_alu instid0(VALU_DEP_2) | instskip(SKIP_1) | instid1(VALU_DEP_1)
	v_dual_add_f32 v3, v3, v199 :: v_dual_add_f32 v2, v2, v4
	s_wait_loadcnt 0x0
	v_dual_sub_f32 v3, v179, v3 :: v_dual_add_f32 v2, v2, v5
	s_delay_alu instid0(VALU_DEP_1)
	v_sub_f32_e32 v2, v178, v2
	scratch_store_b64 off, v[2:3], off offset:240
	v_cmpx_lt_u32_e32 29, v0
	s_cbranch_execz .LBB113_255
; %bb.254:
	scratch_load_b64 v[3:4], off, off offset:232
	v_mov_b32_e32 v2, v1
	scratch_store_b64 off, v[1:2], off offset:232
	s_wait_loadcnt 0x0
	ds_store_b64 v23, v[3:4]
.LBB113_255:
	s_wait_alu 0xfffe
	s_or_b32 exec_lo, exec_lo, s0
	s_wait_storecnt_dscnt 0x0
	s_barrier_signal -1
	s_barrier_wait -1
	global_inv scope:SCOPE_SE
	s_clause 0xa
	scratch_load_b128 v[2:5], off, off offset:240
	scratch_load_b128 v[6:9], off, off offset:256
	;; [unrolled: 1-line block ×10, first 2 shown]
	scratch_load_b64 v[184:185], off, off offset:232
	ds_load_b128 v[144:147], v1 offset:640
	ds_load_b128 v[148:151], v1 offset:656
	;; [unrolled: 1-line block ×10, first 2 shown]
	s_mov_b32 s0, exec_lo
	s_wait_loadcnt_dscnt 0xa09
	v_dual_mul_f32 v1, v144, v3 :: v_dual_mul_f32 v22, v146, v5
	s_wait_loadcnt_dscnt 0x908
	v_dual_mul_f32 v5, v147, v5 :: v_dual_mul_f32 v186, v148, v7
	v_mul_f32_e32 v187, v150, v9
	v_mul_f32_e32 v3, v145, v3
	v_dual_fmac_f32 v1, v145, v2 :: v_dual_fmac_f32 v22, v147, v4
	s_wait_loadcnt_dscnt 0x100
	v_dual_mul_f32 v200, v176, v137 :: v_dual_mul_f32 v203, v182, v143
	s_delay_alu instid0(VALU_DEP_3) | instskip(SKIP_3) | instid1(VALU_DEP_4)
	v_fma_f32 v3, v144, v2, -v3
	v_mul_f32_e32 v2, v149, v7
	v_fma_f32 v4, v146, v4, -v5
	v_dual_mul_f32 v188, v152, v11 :: v_dual_mul_f32 v189, v154, v13
	v_dual_add_f32 v3, 0, v3 :: v_dual_fmac_f32 v186, v149, v6
	v_dual_mul_f32 v190, v156, v15 :: v_dual_mul_f32 v191, v158, v17
	s_delay_alu instid0(VALU_DEP_3) | instskip(SKIP_1) | instid1(VALU_DEP_3)
	v_dual_mul_f32 v5, v151, v9 :: v_dual_fmac_f32 v188, v153, v10
	v_fma_f32 v2, v148, v6, -v2
	v_dual_add_f32 v3, v3, v4 :: v_dual_fmac_f32 v190, v157, v14
	s_delay_alu instid0(VALU_DEP_3) | instskip(SKIP_1) | instid1(VALU_DEP_3)
	v_fma_f32 v5, v150, v8, -v5
	v_dual_mul_f32 v192, v160, v19 :: v_dual_mul_f32 v193, v162, v21
	v_add_f32_e32 v2, v3, v2
	v_dual_mul_f32 v3, v155, v13 :: v_dual_mul_f32 v4, v153, v11
	s_delay_alu instid0(VALU_DEP_3) | instskip(SKIP_1) | instid1(VALU_DEP_4)
	v_fmac_f32_e32 v192, v161, v18
	v_dual_mul_f32 v194, v164, v25 :: v_dual_mul_f32 v195, v166, v27
	v_add_f32_e32 v2, v2, v5
	v_add_f32_e32 v1, 0, v1
	v_fma_f32 v4, v152, v10, -v4
	v_fma_f32 v3, v154, v12, -v3
	v_dual_fmac_f32 v191, v159, v16 :: v_dual_mul_f32 v196, v168, v129
	v_mul_f32_e32 v197, v170, v131
	s_delay_alu instid0(VALU_DEP_4) | instskip(SKIP_3) | instid1(VALU_DEP_4)
	v_dual_add_f32 v1, v1, v22 :: v_dual_add_f32 v2, v2, v4
	v_mul_f32_e32 v4, v159, v17
	v_dual_fmac_f32 v187, v151, v8 :: v_dual_mul_f32 v198, v172, v133
	v_mul_f32_e32 v199, v174, v135
	v_add_f32_e32 v1, v1, v186
	s_delay_alu instid0(VALU_DEP_4) | instskip(SKIP_2) | instid1(VALU_DEP_4)
	v_fma_f32 v4, v158, v16, -v4
	v_mul_f32_e32 v5, v157, v15
	v_dual_add_f32 v2, v2, v3 :: v_dual_fmac_f32 v197, v171, v130
	v_add_f32_e32 v1, v1, v187
	v_dual_mul_f32 v201, v178, v139 :: v_dual_mul_f32 v202, v180, v141
	s_delay_alu instid0(VALU_DEP_4) | instskip(SKIP_3) | instid1(VALU_DEP_4)
	v_fma_f32 v5, v156, v14, -v5
	v_fmac_f32_e32 v189, v155, v12
	v_dual_fmac_f32 v194, v165, v24 :: v_dual_fmac_f32 v195, v167, v26
	v_fmac_f32_e32 v198, v173, v132
	v_add_f32_e32 v2, v2, v5
	v_mul_f32_e32 v5, v163, v21
	v_fmac_f32_e32 v201, v179, v138
	v_dual_fmac_f32 v203, v183, v142 :: v_dual_fmac_f32 v196, v169, v128
	s_delay_alu instid0(VALU_DEP_4) | instskip(NEXT) | instid1(VALU_DEP_4)
	v_add_f32_e32 v2, v2, v4
	v_fma_f32 v5, v162, v20, -v5
	v_mul_f32_e32 v3, v161, v19
	v_mul_f32_e32 v4, v165, v25
	v_fmac_f32_e32 v200, v177, v136
	v_fmac_f32_e32 v202, v181, v140
	s_delay_alu instid0(VALU_DEP_4) | instskip(SKIP_2) | instid1(VALU_DEP_3)
	v_fma_f32 v3, v160, v18, -v3
	v_add_f32_e32 v1, v1, v188
	v_fma_f32 v4, v164, v24, -v4
	v_add_f32_e32 v2, v2, v3
	s_delay_alu instid0(VALU_DEP_1) | instskip(NEXT) | instid1(VALU_DEP_4)
	v_dual_mul_f32 v3, v167, v27 :: v_dual_add_f32 v2, v2, v5
	v_add_f32_e32 v1, v1, v189
	s_delay_alu instid0(VALU_DEP_2) | instskip(NEXT) | instid1(VALU_DEP_2)
	v_fma_f32 v3, v166, v26, -v3
	v_dual_add_f32 v2, v2, v4 :: v_dual_add_f32 v1, v1, v190
	v_mul_f32_e32 v4, v171, v131
	s_delay_alu instid0(VALU_DEP_2) | instskip(SKIP_1) | instid1(VALU_DEP_3)
	v_dual_fmac_f32 v193, v163, v20 :: v_dual_add_f32 v2, v2, v3
	v_mul_f32_e32 v3, v173, v133
	v_fma_f32 v4, v170, v130, -v4
	v_mul_f32_e32 v5, v169, v129
	s_delay_alu instid0(VALU_DEP_3) | instskip(NEXT) | instid1(VALU_DEP_2)
	v_fma_f32 v3, v172, v132, -v3
	v_fma_f32 v5, v168, v128, -v5
	s_delay_alu instid0(VALU_DEP_1) | instskip(NEXT) | instid1(VALU_DEP_1)
	v_dual_add_f32 v1, v1, v191 :: v_dual_add_f32 v2, v2, v5
	v_dual_mul_f32 v5, v175, v135 :: v_dual_add_f32 v2, v2, v4
	s_delay_alu instid0(VALU_DEP_2) | instskip(SKIP_1) | instid1(VALU_DEP_3)
	v_add_f32_e32 v1, v1, v192
	v_mul_f32_e32 v4, v177, v137
	v_fma_f32 v5, v174, v134, -v5
	s_delay_alu instid0(VALU_DEP_4) | instskip(SKIP_1) | instid1(VALU_DEP_4)
	v_dual_add_f32 v2, v2, v3 :: v_dual_fmac_f32 v199, v175, v134
	v_mul_f32_e32 v3, v179, v139
	v_fma_f32 v4, v176, v136, -v4
	s_delay_alu instid0(VALU_DEP_3) | instskip(SKIP_1) | instid1(VALU_DEP_4)
	v_add_f32_e32 v2, v2, v5
	v_add_f32_e32 v1, v1, v193
	v_fma_f32 v3, v178, v138, -v3
	s_delay_alu instid0(VALU_DEP_2) | instskip(SKIP_1) | instid1(VALU_DEP_2)
	v_dual_add_f32 v2, v2, v4 :: v_dual_add_f32 v1, v1, v194
	v_dual_mul_f32 v4, v183, v143 :: v_dual_mul_f32 v5, v181, v141
	v_add_f32_e32 v2, v2, v3
	s_delay_alu instid0(VALU_DEP_2) | instskip(NEXT) | instid1(VALU_DEP_3)
	v_fma_f32 v3, v182, v142, -v4
	v_fma_f32 v5, v180, v140, -v5
	s_delay_alu instid0(VALU_DEP_1) | instskip(NEXT) | instid1(VALU_DEP_1)
	v_dual_add_f32 v1, v1, v195 :: v_dual_add_f32 v2, v2, v5
	v_dual_add_f32 v1, v1, v196 :: v_dual_add_f32 v2, v2, v3
	s_delay_alu instid0(VALU_DEP_1) | instskip(NEXT) | instid1(VALU_DEP_1)
	v_add_f32_e32 v1, v1, v197
	v_add_f32_e32 v1, v1, v198
	s_delay_alu instid0(VALU_DEP_1) | instskip(NEXT) | instid1(VALU_DEP_1)
	v_add_f32_e32 v1, v1, v199
	v_add_f32_e32 v1, v1, v200
	;; [unrolled: 3-line block ×3, first 2 shown]
	s_delay_alu instid0(VALU_DEP_1) | instskip(SKIP_1) | instid1(VALU_DEP_1)
	v_add_f32_e32 v3, v1, v203
	s_wait_loadcnt 0x0
	v_dual_sub_f32 v1, v184, v2 :: v_dual_sub_f32 v2, v185, v3
	scratch_store_b64 off, v[1:2], off offset:232
	v_cmpx_lt_u32_e32 28, v0
	s_cbranch_execz .LBB113_257
; %bb.256:
	scratch_load_b64 v[1:2], off, off offset:224
	v_mov_b32_e32 v3, 0
	s_delay_alu instid0(VALU_DEP_1)
	v_mov_b32_e32 v4, v3
	scratch_store_b64 off, v[3:4], off offset:224
	s_wait_loadcnt 0x0
	ds_store_b64 v23, v[1:2]
.LBB113_257:
	s_wait_alu 0xfffe
	s_or_b32 exec_lo, exec_lo, s0
	s_wait_storecnt_dscnt 0x0
	s_barrier_signal -1
	s_barrier_wait -1
	global_inv scope:SCOPE_SE
	s_clause 0xb
	scratch_load_b128 v[2:5], off, off offset:232
	scratch_load_b128 v[6:9], off, off offset:248
	;; [unrolled: 1-line block ×10, first 2 shown]
	scratch_load_b64 v[184:185], off, off offset:392
	scratch_load_b64 v[186:187], off, off offset:224
	v_mov_b32_e32 v1, 0
	ds_load_2addr_b64 v[144:147], v1 offset0:79 offset1:80
	ds_load_2addr_b64 v[148:151], v1 offset0:81 offset1:82
	;; [unrolled: 1-line block ×10, first 2 shown]
	ds_load_b64 v[188:189], v1 offset:792
	s_mov_b32 s0, exec_lo
	s_wait_loadcnt_dscnt 0xb0a
	v_mul_f32_e32 v22, v144, v3
	v_dual_mul_f32 v3, v145, v3 :: v_dual_mul_f32 v190, v146, v5
	s_wait_loadcnt_dscnt 0x706
	v_dual_mul_f32 v191, v148, v7 :: v_dual_mul_f32 v198, v162, v21
	v_mul_f32_e32 v5, v147, v5
	s_delay_alu instid0(VALU_DEP_3)
	v_fma_f32 v3, v144, v2, -v3
	v_dual_mul_f32 v192, v150, v9 :: v_dual_mul_f32 v193, v152, v11
	s_wait_loadcnt_dscnt 0x100
	v_dual_fmac_f32 v22, v145, v2 :: v_dual_mul_f32 v209, v188, v185
	v_mul_f32_e32 v2, v149, v7
	v_dual_fmac_f32 v190, v147, v4 :: v_dual_add_f32 v3, 0, v3
	v_fma_f32 v4, v146, v4, -v5
	s_delay_alu instid0(VALU_DEP_4) | instskip(SKIP_2) | instid1(VALU_DEP_4)
	v_dual_add_f32 v5, 0, v22 :: v_dual_fmac_f32 v192, v151, v8
	v_mul_f32_e32 v7, v151, v9
	v_fma_f32 v2, v148, v6, -v2
	v_add_f32_e32 v3, v3, v4
	v_fmac_f32_e32 v191, v149, v6
	v_add_f32_e32 v4, v5, v190
	v_mul_f32_e32 v5, v153, v11
	v_fma_f32 v6, v150, v8, -v7
	v_add_f32_e32 v2, v3, v2
	v_dual_mul_f32 v194, v154, v13 :: v_dual_mul_f32 v195, v156, v15
	v_dual_add_f32 v3, v4, v191 :: v_dual_mul_f32 v4, v155, v13
	v_fma_f32 v5, v152, v10, -v5
	s_delay_alu instid0(VALU_DEP_4)
	v_add_f32_e32 v2, v2, v6
	v_fmac_f32_e32 v193, v153, v10
	v_mul_f32_e32 v6, v157, v15
	v_fmac_f32_e32 v194, v155, v12
	v_add_f32_e32 v3, v3, v192
	v_fma_f32 v4, v154, v12, -v4
	v_add_f32_e32 v2, v2, v5
	v_dual_mul_f32 v196, v158, v17 :: v_dual_mul_f32 v197, v160, v19
	s_delay_alu instid0(VALU_DEP_4)
	v_add_f32_e32 v3, v3, v193
	v_mul_f32_e32 v5, v159, v17
	v_fma_f32 v6, v156, v14, -v6
	v_dual_add_f32 v2, v2, v4 :: v_dual_fmac_f32 v195, v157, v14
	v_fmac_f32_e32 v196, v159, v16
	v_mul_f32_e32 v4, v161, v19
	v_fma_f32 v5, v158, v16, -v5
	s_delay_alu instid0(VALU_DEP_4) | instskip(SKIP_3) | instid1(VALU_DEP_3)
	v_add_f32_e32 v2, v2, v6
	v_add_f32_e32 v3, v3, v194
	v_dual_mul_f32 v6, v163, v21 :: v_dual_fmac_f32 v197, v161, v18
	v_fma_f32 v4, v160, v18, -v4
	v_dual_add_f32 v2, v2, v5 :: v_dual_add_f32 v3, v3, v195
	s_delay_alu instid0(VALU_DEP_3) | instskip(SKIP_1) | instid1(VALU_DEP_3)
	v_fma_f32 v6, v162, v20, -v6
	v_dual_mul_f32 v199, v164, v25 :: v_dual_mul_f32 v200, v166, v27
	v_add_f32_e32 v2, v2, v4
	s_delay_alu instid0(VALU_DEP_4) | instskip(SKIP_1) | instid1(VALU_DEP_4)
	v_add_f32_e32 v3, v3, v196
	v_dual_mul_f32 v5, v165, v25 :: v_dual_fmac_f32 v198, v163, v20
	v_dual_mul_f32 v4, v167, v27 :: v_dual_fmac_f32 v199, v165, v24
	s_delay_alu instid0(VALU_DEP_3) | instskip(NEXT) | instid1(VALU_DEP_3)
	v_dual_add_f32 v2, v2, v6 :: v_dual_add_f32 v3, v3, v197
	v_fma_f32 v5, v164, v24, -v5
	v_dual_mul_f32 v201, v168, v129 :: v_dual_mul_f32 v202, v170, v131
	s_delay_alu instid0(VALU_DEP_3) | instskip(NEXT) | instid1(VALU_DEP_2)
	v_dual_mul_f32 v6, v169, v129 :: v_dual_add_f32 v3, v3, v198
	v_dual_fmac_f32 v200, v167, v26 :: v_dual_fmac_f32 v201, v169, v128
	v_fma_f32 v4, v166, v26, -v4
	s_delay_alu instid0(VALU_DEP_3) | instskip(SKIP_3) | instid1(VALU_DEP_4)
	v_dual_add_f32 v2, v2, v5 :: v_dual_add_f32 v3, v3, v199
	v_mul_f32_e32 v5, v171, v131
	v_fma_f32 v6, v168, v128, -v6
	v_dual_mul_f32 v203, v172, v133 :: v_dual_mul_f32 v204, v174, v135
	v_add_f32_e32 v2, v2, v4
	v_dual_add_f32 v3, v3, v200 :: v_dual_mul_f32 v4, v173, v133
	s_delay_alu instid0(VALU_DEP_3) | instskip(SKIP_1) | instid1(VALU_DEP_3)
	v_dual_fmac_f32 v202, v171, v130 :: v_dual_fmac_f32 v203, v173, v132
	v_fma_f32 v5, v170, v130, -v5
	v_dual_add_f32 v2, v2, v6 :: v_dual_add_f32 v3, v3, v201
	v_mul_f32_e32 v6, v175, v135
	v_fma_f32 v4, v172, v132, -v4
	v_dual_mul_f32 v205, v176, v137 :: v_dual_mul_f32 v206, v178, v139
	s_delay_alu instid0(VALU_DEP_4) | instskip(SKIP_1) | instid1(VALU_DEP_3)
	v_dual_add_f32 v2, v2, v5 :: v_dual_add_f32 v3, v3, v202
	v_dual_mul_f32 v5, v177, v137 :: v_dual_fmac_f32 v204, v175, v134
	v_fmac_f32_e32 v205, v177, v136
	v_fma_f32 v6, v174, v134, -v6
	s_delay_alu instid0(VALU_DEP_4) | instskip(SKIP_2) | instid1(VALU_DEP_3)
	v_dual_add_f32 v2, v2, v4 :: v_dual_add_f32 v3, v3, v203
	v_dual_mul_f32 v207, v180, v141 :: v_dual_mul_f32 v208, v182, v143
	v_mul_f32_e32 v4, v179, v139
	v_dual_add_f32 v2, v2, v6 :: v_dual_add_f32 v3, v3, v204
	v_fma_f32 v5, v176, v136, -v5
	v_dual_fmac_f32 v206, v179, v138 :: v_dual_fmac_f32 v209, v189, v184
	v_fmac_f32_e32 v207, v181, v140
	v_fma_f32 v4, v178, v138, -v4
	v_add_f32_e32 v3, v3, v205
	v_mul_f32_e32 v6, v181, v141
	v_dual_add_f32 v2, v2, v5 :: v_dual_mul_f32 v5, v183, v143
	v_fmac_f32_e32 v208, v183, v142
	s_delay_alu instid0(VALU_DEP_4) | instskip(NEXT) | instid1(VALU_DEP_4)
	v_add_f32_e32 v3, v3, v206
	v_fma_f32 v6, v180, v140, -v6
	s_delay_alu instid0(VALU_DEP_4) | instskip(SKIP_2) | instid1(VALU_DEP_3)
	v_add_f32_e32 v2, v2, v4
	v_mul_f32_e32 v4, v189, v185
	v_fma_f32 v5, v182, v142, -v5
	v_dual_add_f32 v3, v3, v207 :: v_dual_add_f32 v2, v2, v6
	s_delay_alu instid0(VALU_DEP_3) | instskip(NEXT) | instid1(VALU_DEP_2)
	v_fma_f32 v4, v188, v184, -v4
	v_add_f32_e32 v3, v3, v208
	s_delay_alu instid0(VALU_DEP_1) | instskip(SKIP_1) | instid1(VALU_DEP_1)
	v_add_f32_e32 v3, v3, v209
	s_wait_loadcnt 0x0
	v_dual_add_f32 v2, v2, v5 :: v_dual_sub_f32 v3, v187, v3
	s_delay_alu instid0(VALU_DEP_1) | instskip(NEXT) | instid1(VALU_DEP_1)
	v_add_f32_e32 v2, v2, v4
	v_sub_f32_e32 v2, v186, v2
	scratch_store_b64 off, v[2:3], off offset:224
	v_cmpx_lt_u32_e32 27, v0
	s_cbranch_execz .LBB113_259
; %bb.258:
	scratch_load_b64 v[3:4], off, off offset:216
	v_mov_b32_e32 v2, v1
	scratch_store_b64 off, v[1:2], off offset:216
	s_wait_loadcnt 0x0
	ds_store_b64 v23, v[3:4]
.LBB113_259:
	s_wait_alu 0xfffe
	s_or_b32 exec_lo, exec_lo, s0
	s_wait_storecnt_dscnt 0x0
	s_barrier_signal -1
	s_barrier_wait -1
	global_inv scope:SCOPE_SE
	s_clause 0xb
	scratch_load_b128 v[2:5], off, off offset:224
	scratch_load_b128 v[6:9], off, off offset:240
	;; [unrolled: 1-line block ×11, first 2 shown]
	scratch_load_b64 v[192:193], off, off offset:216
	ds_load_b128 v[148:151], v1 offset:624
	ds_load_b128 v[152:155], v1 offset:640
	;; [unrolled: 1-line block ×11, first 2 shown]
	s_mov_b32 s0, exec_lo
	s_wait_loadcnt_dscnt 0xb0a
	v_dual_mul_f32 v1, v148, v3 :: v_dual_mul_f32 v22, v150, v5
	s_wait_loadcnt_dscnt 0xa09
	v_dual_mul_f32 v5, v151, v5 :: v_dual_mul_f32 v194, v152, v7
	v_mul_f32_e32 v195, v154, v9
	v_mul_f32_e32 v3, v149, v3
	v_dual_fmac_f32 v1, v149, v2 :: v_dual_fmac_f32 v22, v151, v4
	s_wait_loadcnt_dscnt 0x908
	v_dual_mul_f32 v196, v156, v11 :: v_dual_mul_f32 v197, v158, v13
	s_wait_loadcnt_dscnt 0x201
	v_mul_f32_e32 v210, v184, v141
	v_fma_f32 v3, v148, v2, -v3
	s_wait_loadcnt_dscnt 0x100
	v_mul_f32_e32 v213, v190, v147
	v_mul_f32_e32 v2, v153, v7
	v_fma_f32 v4, v150, v4, -v5
	v_dual_mul_f32 v198, v160, v15 :: v_dual_mul_f32 v199, v162, v17
	v_dual_add_f32 v3, 0, v3 :: v_dual_fmac_f32 v194, v153, v6
	v_dual_mul_f32 v5, v155, v9 :: v_dual_fmac_f32 v196, v157, v10
	v_fma_f32 v2, v152, v6, -v2
	s_delay_alu instid0(VALU_DEP_3) | instskip(NEXT) | instid1(VALU_DEP_3)
	v_dual_add_f32 v3, v3, v4 :: v_dual_fmac_f32 v198, v161, v14
	v_fma_f32 v5, v154, v8, -v5
	v_dual_mul_f32 v200, v164, v19 :: v_dual_mul_f32 v201, v166, v21
	s_delay_alu instid0(VALU_DEP_3) | instskip(SKIP_3) | instid1(VALU_DEP_4)
	v_add_f32_e32 v2, v3, v2
	v_mul_f32_e32 v3, v159, v13
	v_dual_mul_f32 v202, v168, v25 :: v_dual_mul_f32 v203, v170, v27
	v_mul_f32_e32 v4, v157, v11
	v_add_f32_e32 v2, v2, v5
	v_dual_add_f32 v1, 0, v1 :: v_dual_fmac_f32 v200, v165, v18
	v_fma_f32 v3, v158, v12, -v3
	s_delay_alu instid0(VALU_DEP_4) | instskip(SKIP_1) | instid1(VALU_DEP_4)
	v_fma_f32 v4, v156, v10, -v4
	v_fmac_f32_e32 v199, v163, v16
	v_dual_add_f32 v1, v1, v22 :: v_dual_mul_f32 v204, v172, v129
	v_mul_f32_e32 v205, v174, v131
	s_delay_alu instid0(VALU_DEP_4) | instskip(NEXT) | instid1(VALU_DEP_3)
	v_add_f32_e32 v2, v2, v4
	v_dual_mul_f32 v4, v163, v17 :: v_dual_add_f32 v1, v1, v194
	v_dual_fmac_f32 v195, v155, v8 :: v_dual_mul_f32 v208, v180, v137
	v_mul_f32_e32 v209, v182, v139
	s_delay_alu instid0(VALU_DEP_3) | instskip(SKIP_4) | instid1(VALU_DEP_4)
	v_fma_f32 v4, v162, v16, -v4
	v_mul_f32_e32 v5, v161, v15
	v_add_f32_e32 v2, v2, v3
	v_dual_add_f32 v1, v1, v195 :: v_dual_mul_f32 v206, v176, v133
	v_mul_f32_e32 v207, v178, v135
	v_fma_f32 v5, v160, v14, -v5
	v_fmac_f32_e32 v197, v159, v12
	v_dual_fmac_f32 v202, v169, v24 :: v_dual_fmac_f32 v205, v175, v130
	v_dual_fmac_f32 v203, v171, v26 :: v_dual_fmac_f32 v206, v177, v132
	s_delay_alu instid0(VALU_DEP_4) | instskip(SKIP_2) | instid1(VALU_DEP_3)
	v_add_f32_e32 v2, v2, v5
	v_mul_f32_e32 v5, v167, v21
	v_dual_mul_f32 v211, v186, v143 :: v_dual_mul_f32 v212, v188, v145
	v_dual_fmac_f32 v209, v183, v138 :: v_dual_add_f32 v2, v2, v4
	s_delay_alu instid0(VALU_DEP_3) | instskip(SKIP_4) | instid1(VALU_DEP_4)
	v_fma_f32 v5, v166, v20, -v5
	v_mul_f32_e32 v3, v165, v19
	v_mul_f32_e32 v4, v169, v25
	v_dual_fmac_f32 v212, v189, v144 :: v_dual_fmac_f32 v211, v187, v142
	v_fmac_f32_e32 v204, v173, v128
	v_fma_f32 v3, v164, v18, -v3
	v_add_f32_e32 v1, v1, v196
	v_fma_f32 v4, v168, v24, -v4
	v_dual_fmac_f32 v213, v191, v146 :: v_dual_fmac_f32 v208, v181, v136
	s_delay_alu instid0(VALU_DEP_4) | instskip(SKIP_1) | instid1(VALU_DEP_2)
	v_add_f32_e32 v2, v2, v3
	v_dual_mul_f32 v3, v171, v27 :: v_dual_fmac_f32 v210, v185, v140
	v_add_f32_e32 v2, v2, v5
	v_add_f32_e32 v1, v1, v197
	s_delay_alu instid0(VALU_DEP_3) | instskip(NEXT) | instid1(VALU_DEP_2)
	v_fma_f32 v3, v170, v26, -v3
	v_dual_add_f32 v2, v2, v4 :: v_dual_add_f32 v1, v1, v198
	v_mul_f32_e32 v4, v175, v131
	s_delay_alu instid0(VALU_DEP_2) | instskip(SKIP_1) | instid1(VALU_DEP_3)
	v_dual_fmac_f32 v201, v167, v20 :: v_dual_add_f32 v2, v2, v3
	v_mul_f32_e32 v3, v177, v133
	v_fma_f32 v4, v174, v130, -v4
	v_mul_f32_e32 v5, v173, v129
	s_delay_alu instid0(VALU_DEP_3) | instskip(NEXT) | instid1(VALU_DEP_2)
	v_fma_f32 v3, v176, v132, -v3
	v_fma_f32 v5, v172, v128, -v5
	s_delay_alu instid0(VALU_DEP_1) | instskip(NEXT) | instid1(VALU_DEP_1)
	v_dual_add_f32 v1, v1, v199 :: v_dual_add_f32 v2, v2, v5
	v_dual_mul_f32 v5, v179, v135 :: v_dual_add_f32 v2, v2, v4
	s_delay_alu instid0(VALU_DEP_2) | instskip(SKIP_1) | instid1(VALU_DEP_3)
	v_add_f32_e32 v1, v1, v200
	v_mul_f32_e32 v4, v181, v137
	v_fma_f32 v5, v178, v134, -v5
	s_delay_alu instid0(VALU_DEP_4) | instskip(SKIP_1) | instid1(VALU_DEP_4)
	v_dual_add_f32 v2, v2, v3 :: v_dual_fmac_f32 v207, v179, v134
	v_mul_f32_e32 v3, v183, v139
	v_fma_f32 v4, v180, v136, -v4
	s_delay_alu instid0(VALU_DEP_3) | instskip(SKIP_1) | instid1(VALU_DEP_4)
	v_add_f32_e32 v2, v2, v5
	v_add_f32_e32 v1, v1, v201
	v_fma_f32 v3, v182, v138, -v3
	s_delay_alu instid0(VALU_DEP_3) | instskip(NEXT) | instid1(VALU_DEP_3)
	v_dual_add_f32 v2, v2, v4 :: v_dual_mul_f32 v5, v185, v141
	v_dual_add_f32 v1, v1, v202 :: v_dual_mul_f32 v4, v187, v143
	s_delay_alu instid0(VALU_DEP_2) | instskip(NEXT) | instid1(VALU_DEP_3)
	v_add_f32_e32 v2, v2, v3
	v_fma_f32 v5, v184, v140, -v5
	s_delay_alu instid0(VALU_DEP_3) | instskip(SKIP_2) | instid1(VALU_DEP_4)
	v_add_f32_e32 v1, v1, v203
	v_mul_f32_e32 v3, v189, v145
	v_fma_f32 v4, v186, v142, -v4
	v_dual_add_f32 v2, v2, v5 :: v_dual_mul_f32 v5, v191, v147
	s_delay_alu instid0(VALU_DEP_3) | instskip(NEXT) | instid1(VALU_DEP_2)
	v_fma_f32 v3, v188, v144, -v3
	v_add_f32_e32 v2, v2, v4
	v_add_f32_e32 v1, v1, v204
	s_delay_alu instid0(VALU_DEP_4) | instskip(NEXT) | instid1(VALU_DEP_2)
	v_fma_f32 v4, v190, v146, -v5
	v_dual_add_f32 v2, v2, v3 :: v_dual_add_f32 v1, v1, v205
	s_delay_alu instid0(VALU_DEP_1) | instskip(NEXT) | instid1(VALU_DEP_1)
	v_dual_add_f32 v2, v2, v4 :: v_dual_add_f32 v1, v1, v206
	v_add_f32_e32 v1, v1, v207
	s_delay_alu instid0(VALU_DEP_1) | instskip(NEXT) | instid1(VALU_DEP_1)
	v_add_f32_e32 v1, v1, v208
	v_add_f32_e32 v1, v1, v209
	s_delay_alu instid0(VALU_DEP_1) | instskip(NEXT) | instid1(VALU_DEP_1)
	v_add_f32_e32 v1, v1, v210
	;; [unrolled: 3-line block ×3, first 2 shown]
	v_add_f32_e32 v3, v1, v213
	s_wait_loadcnt 0x0
	s_delay_alu instid0(VALU_DEP_1)
	v_dual_sub_f32 v1, v192, v2 :: v_dual_sub_f32 v2, v193, v3
	scratch_store_b64 off, v[1:2], off offset:216
	v_cmpx_lt_u32_e32 26, v0
	s_cbranch_execz .LBB113_261
; %bb.260:
	scratch_load_b64 v[1:2], off, off offset:208
	v_mov_b32_e32 v3, 0
	s_delay_alu instid0(VALU_DEP_1)
	v_mov_b32_e32 v4, v3
	scratch_store_b64 off, v[3:4], off offset:208
	s_wait_loadcnt 0x0
	ds_store_b64 v23, v[1:2]
.LBB113_261:
	s_wait_alu 0xfffe
	s_or_b32 exec_lo, exec_lo, s0
	s_wait_storecnt_dscnt 0x0
	s_barrier_signal -1
	s_barrier_wait -1
	global_inv scope:SCOPE_SE
	s_clause 0xc
	scratch_load_b128 v[2:5], off, off offset:216
	scratch_load_b128 v[6:9], off, off offset:232
	;; [unrolled: 1-line block ×11, first 2 shown]
	scratch_load_b64 v[192:193], off, off offset:392
	scratch_load_b64 v[194:195], off, off offset:208
	v_mov_b32_e32 v1, 0
	ds_load_2addr_b64 v[148:151], v1 offset0:77 offset1:78
	ds_load_2addr_b64 v[152:155], v1 offset0:79 offset1:80
	;; [unrolled: 1-line block ×11, first 2 shown]
	ds_load_b64 v[196:197], v1 offset:792
	s_mov_b32 s0, exec_lo
	s_wait_loadcnt_dscnt 0xc0b
	v_mul_f32_e32 v22, v148, v3
	v_dual_mul_f32 v3, v149, v3 :: v_dual_mul_f32 v198, v150, v5
	s_wait_loadcnt_dscnt 0x807
	v_dual_mul_f32 v199, v152, v7 :: v_dual_mul_f32 v206, v166, v21
	v_mul_f32_e32 v5, v151, v5
	s_delay_alu instid0(VALU_DEP_3)
	v_fma_f32 v3, v148, v2, -v3
	v_dual_mul_f32 v200, v154, v9 :: v_dual_mul_f32 v201, v156, v11
	v_fmac_f32_e32 v22, v149, v2
	s_wait_loadcnt_dscnt 0x100
	v_dual_mul_f32 v2, v153, v7 :: v_dual_mul_f32 v219, v196, v193
	v_dual_fmac_f32 v198, v151, v4 :: v_dual_add_f32 v3, 0, v3
	v_fma_f32 v4, v150, v4, -v5
	v_dual_add_f32 v5, 0, v22 :: v_dual_fmac_f32 v200, v155, v8
	v_mul_f32_e32 v7, v155, v9
	v_fma_f32 v2, v152, v6, -v2
	s_delay_alu instid0(VALU_DEP_4)
	v_add_f32_e32 v3, v3, v4
	v_fmac_f32_e32 v199, v153, v6
	v_add_f32_e32 v4, v5, v198
	v_mul_f32_e32 v5, v157, v11
	v_fma_f32 v6, v154, v8, -v7
	v_add_f32_e32 v2, v3, v2
	v_dual_mul_f32 v202, v158, v13 :: v_dual_mul_f32 v203, v160, v15
	v_dual_add_f32 v3, v4, v199 :: v_dual_mul_f32 v4, v159, v13
	v_fma_f32 v5, v156, v10, -v5
	s_delay_alu instid0(VALU_DEP_4)
	v_add_f32_e32 v2, v2, v6
	v_fmac_f32_e32 v201, v157, v10
	v_mul_f32_e32 v6, v161, v15
	v_fmac_f32_e32 v202, v159, v12
	v_add_f32_e32 v3, v3, v200
	v_fma_f32 v4, v158, v12, -v4
	v_add_f32_e32 v2, v2, v5
	v_dual_mul_f32 v204, v162, v17 :: v_dual_mul_f32 v205, v164, v19
	s_delay_alu instid0(VALU_DEP_4)
	v_add_f32_e32 v3, v3, v201
	v_mul_f32_e32 v5, v163, v17
	v_fma_f32 v6, v160, v14, -v6
	v_dual_add_f32 v2, v2, v4 :: v_dual_fmac_f32 v203, v161, v14
	v_fmac_f32_e32 v204, v163, v16
	v_mul_f32_e32 v4, v165, v19
	v_fma_f32 v5, v162, v16, -v5
	s_delay_alu instid0(VALU_DEP_4) | instskip(SKIP_3) | instid1(VALU_DEP_3)
	v_add_f32_e32 v2, v2, v6
	v_add_f32_e32 v3, v3, v202
	v_dual_mul_f32 v6, v167, v21 :: v_dual_fmac_f32 v205, v165, v18
	v_fma_f32 v4, v164, v18, -v4
	v_dual_add_f32 v2, v2, v5 :: v_dual_add_f32 v3, v3, v203
	s_delay_alu instid0(VALU_DEP_3) | instskip(SKIP_1) | instid1(VALU_DEP_3)
	v_fma_f32 v6, v166, v20, -v6
	v_dual_mul_f32 v207, v168, v25 :: v_dual_mul_f32 v208, v170, v27
	v_add_f32_e32 v2, v2, v4
	s_delay_alu instid0(VALU_DEP_4) | instskip(SKIP_1) | instid1(VALU_DEP_4)
	v_add_f32_e32 v3, v3, v204
	v_dual_mul_f32 v5, v169, v25 :: v_dual_fmac_f32 v206, v167, v20
	v_dual_mul_f32 v4, v171, v27 :: v_dual_fmac_f32 v207, v169, v24
	s_delay_alu instid0(VALU_DEP_3) | instskip(NEXT) | instid1(VALU_DEP_3)
	v_dual_add_f32 v2, v2, v6 :: v_dual_add_f32 v3, v3, v205
	v_fma_f32 v5, v168, v24, -v5
	v_dual_mul_f32 v209, v172, v129 :: v_dual_mul_f32 v210, v174, v131
	s_delay_alu instid0(VALU_DEP_3) | instskip(NEXT) | instid1(VALU_DEP_2)
	v_dual_mul_f32 v6, v173, v129 :: v_dual_add_f32 v3, v3, v206
	v_dual_fmac_f32 v208, v171, v26 :: v_dual_fmac_f32 v209, v173, v128
	v_fma_f32 v4, v170, v26, -v4
	s_delay_alu instid0(VALU_DEP_3) | instskip(SKIP_3) | instid1(VALU_DEP_4)
	v_dual_add_f32 v2, v2, v5 :: v_dual_add_f32 v3, v3, v207
	v_mul_f32_e32 v5, v175, v131
	v_fma_f32 v6, v172, v128, -v6
	v_dual_mul_f32 v211, v176, v133 :: v_dual_mul_f32 v212, v178, v135
	v_add_f32_e32 v2, v2, v4
	v_dual_add_f32 v3, v3, v208 :: v_dual_mul_f32 v4, v177, v133
	s_delay_alu instid0(VALU_DEP_3) | instskip(SKIP_1) | instid1(VALU_DEP_3)
	v_dual_fmac_f32 v210, v175, v130 :: v_dual_fmac_f32 v211, v177, v132
	v_fma_f32 v5, v174, v130, -v5
	v_dual_add_f32 v2, v2, v6 :: v_dual_add_f32 v3, v3, v209
	v_mul_f32_e32 v6, v179, v135
	v_fma_f32 v4, v176, v132, -v4
	v_dual_mul_f32 v213, v180, v137 :: v_dual_mul_f32 v214, v182, v139
	s_delay_alu instid0(VALU_DEP_4) | instskip(SKIP_1) | instid1(VALU_DEP_3)
	v_dual_add_f32 v2, v2, v5 :: v_dual_add_f32 v3, v3, v210
	v_dual_mul_f32 v5, v181, v137 :: v_dual_fmac_f32 v212, v179, v134
	v_fmac_f32_e32 v213, v181, v136
	v_fma_f32 v6, v178, v134, -v6
	s_delay_alu instid0(VALU_DEP_4) | instskip(SKIP_2) | instid1(VALU_DEP_2)
	v_dual_add_f32 v2, v2, v4 :: v_dual_add_f32 v3, v3, v211
	v_dual_mul_f32 v215, v184, v141 :: v_dual_mul_f32 v216, v186, v143
	v_dual_mul_f32 v217, v188, v145 :: v_dual_mul_f32 v218, v190, v147
	v_dual_mul_f32 v4, v183, v139 :: v_dual_fmac_f32 v215, v185, v140
	v_fma_f32 v5, v180, v136, -v5
	v_dual_add_f32 v2, v2, v6 :: v_dual_add_f32 v3, v3, v212
	v_mul_f32_e32 v6, v185, v141
	v_dual_fmac_f32 v214, v183, v138 :: v_dual_fmac_f32 v217, v189, v144
	v_fma_f32 v4, v182, v138, -v4
	s_delay_alu instid0(VALU_DEP_4) | instskip(SKIP_3) | instid1(VALU_DEP_3)
	v_add_f32_e32 v3, v3, v213
	v_dual_add_f32 v2, v2, v5 :: v_dual_mul_f32 v5, v187, v143
	v_fma_f32 v6, v184, v140, -v6
	v_fmac_f32_e32 v216, v187, v142
	v_dual_add_f32 v3, v3, v214 :: v_dual_add_f32 v2, v2, v4
	v_mul_f32_e32 v4, v189, v145
	v_fma_f32 v5, v186, v142, -v5
	v_fmac_f32_e32 v218, v191, v146
	s_delay_alu instid0(VALU_DEP_4) | instskip(SKIP_2) | instid1(VALU_DEP_3)
	v_dual_add_f32 v3, v3, v215 :: v_dual_add_f32 v2, v2, v6
	v_dual_mul_f32 v6, v191, v147 :: v_dual_fmac_f32 v219, v197, v192
	v_fma_f32 v4, v188, v144, -v4
	v_add_f32_e32 v2, v2, v5
	v_mul_f32_e32 v5, v197, v193
	v_add_f32_e32 v3, v3, v216
	v_fma_f32 v6, v190, v146, -v6
	s_delay_alu instid0(VALU_DEP_2) | instskip(NEXT) | instid1(VALU_DEP_1)
	v_add_f32_e32 v3, v3, v217
	v_dual_add_f32 v3, v3, v218 :: v_dual_add_f32 v2, v2, v4
	v_fma_f32 v4, v196, v192, -v5
	s_delay_alu instid0(VALU_DEP_2) | instskip(SKIP_1) | instid1(VALU_DEP_1)
	v_dual_add_f32 v3, v3, v219 :: v_dual_add_f32 v2, v2, v6
	s_wait_loadcnt 0x0
	v_dual_sub_f32 v3, v195, v3 :: v_dual_add_f32 v2, v2, v4
	s_delay_alu instid0(VALU_DEP_1)
	v_sub_f32_e32 v2, v194, v2
	scratch_store_b64 off, v[2:3], off offset:208
	v_cmpx_lt_u32_e32 25, v0
	s_cbranch_execz .LBB113_263
; %bb.262:
	scratch_load_b64 v[3:4], off, off offset:200
	v_mov_b32_e32 v2, v1
	scratch_store_b64 off, v[1:2], off offset:200
	s_wait_loadcnt 0x0
	ds_store_b64 v23, v[3:4]
.LBB113_263:
	s_wait_alu 0xfffe
	s_or_b32 exec_lo, exec_lo, s0
	s_wait_storecnt_dscnt 0x0
	s_barrier_signal -1
	s_barrier_wait -1
	global_inv scope:SCOPE_SE
	s_clause 0xc
	scratch_load_b128 v[2:5], off, off offset:208
	scratch_load_b128 v[6:9], off, off offset:224
	;; [unrolled: 1-line block ×12, first 2 shown]
	scratch_load_b64 v[200:201], off, off offset:200
	ds_load_b128 v[152:155], v1 offset:608
	ds_load_b128 v[156:159], v1 offset:624
	ds_load_b128 v[160:163], v1 offset:640
	ds_load_b128 v[164:167], v1 offset:656
	ds_load_b128 v[168:171], v1 offset:672
	ds_load_b128 v[172:175], v1 offset:688
	ds_load_b128 v[176:179], v1 offset:704
	ds_load_b128 v[180:183], v1 offset:720
	ds_load_b128 v[184:187], v1 offset:736
	ds_load_b128 v[188:191], v1 offset:752
	ds_load_b128 v[192:195], v1 offset:768
	ds_load_b128 v[196:199], v1 offset:784
	s_mov_b32 s0, exec_lo
	s_wait_loadcnt_dscnt 0xc0b
	v_dual_mul_f32 v1, v152, v3 :: v_dual_mul_f32 v22, v154, v5
	s_wait_loadcnt_dscnt 0xb0a
	v_dual_mul_f32 v5, v155, v5 :: v_dual_mul_f32 v202, v156, v7
	v_mul_f32_e32 v203, v158, v9
	s_delay_alu instid0(VALU_DEP_3)
	v_fmac_f32_e32 v1, v153, v2
	v_dual_mul_f32 v3, v153, v3 :: v_dual_fmac_f32 v22, v155, v4
	s_wait_loadcnt_dscnt 0xa09
	v_dual_mul_f32 v204, v160, v11 :: v_dual_mul_f32 v205, v162, v13
	s_wait_loadcnt_dscnt 0x201
	v_mul_f32_e32 v220, v192, v145
	v_fma_f32 v3, v152, v2, -v3
	s_wait_loadcnt_dscnt 0x100
	v_mul_f32_e32 v223, v198, v151
	v_mul_f32_e32 v2, v157, v7
	v_fma_f32 v4, v154, v4, -v5
	v_dual_mul_f32 v206, v164, v15 :: v_dual_mul_f32 v207, v166, v17
	v_dual_add_f32 v3, 0, v3 :: v_dual_fmac_f32 v202, v157, v6
	v_dual_mul_f32 v5, v159, v9 :: v_dual_fmac_f32 v204, v161, v10
	v_fma_f32 v2, v156, v6, -v2
	s_delay_alu instid0(VALU_DEP_3) | instskip(NEXT) | instid1(VALU_DEP_3)
	v_dual_add_f32 v3, v3, v4 :: v_dual_fmac_f32 v206, v165, v14
	v_fma_f32 v5, v158, v8, -v5
	v_dual_mul_f32 v208, v168, v19 :: v_dual_mul_f32 v209, v170, v21
	s_delay_alu instid0(VALU_DEP_3) | instskip(SKIP_3) | instid1(VALU_DEP_4)
	v_add_f32_e32 v2, v3, v2
	v_mul_f32_e32 v3, v163, v13
	v_dual_mul_f32 v210, v172, v25 :: v_dual_mul_f32 v211, v174, v27
	v_mul_f32_e32 v4, v161, v11
	v_add_f32_e32 v2, v2, v5
	v_dual_add_f32 v1, 0, v1 :: v_dual_fmac_f32 v208, v169, v18
	v_fma_f32 v3, v162, v12, -v3
	s_delay_alu instid0(VALU_DEP_4) | instskip(SKIP_1) | instid1(VALU_DEP_4)
	v_fma_f32 v4, v160, v10, -v4
	v_fmac_f32_e32 v207, v167, v16
	v_dual_add_f32 v1, v1, v22 :: v_dual_mul_f32 v212, v176, v129
	v_mul_f32_e32 v213, v178, v131
	s_delay_alu instid0(VALU_DEP_4) | instskip(NEXT) | instid1(VALU_DEP_3)
	v_add_f32_e32 v2, v2, v4
	v_dual_mul_f32 v4, v167, v17 :: v_dual_add_f32 v1, v1, v202
	v_dual_fmac_f32 v203, v159, v8 :: v_dual_mul_f32 v216, v184, v137
	v_mul_f32_e32 v217, v186, v139
	s_delay_alu instid0(VALU_DEP_3) | instskip(SKIP_4) | instid1(VALU_DEP_4)
	v_fma_f32 v4, v166, v16, -v4
	v_mul_f32_e32 v5, v165, v15
	v_add_f32_e32 v2, v2, v3
	v_dual_add_f32 v1, v1, v203 :: v_dual_mul_f32 v214, v180, v133
	v_mul_f32_e32 v215, v182, v135
	v_fma_f32 v5, v164, v14, -v5
	v_fmac_f32_e32 v205, v163, v12
	v_dual_fmac_f32 v213, v179, v130 :: v_dual_fmac_f32 v210, v173, v24
	v_dual_mul_f32 v218, v188, v141 :: v_dual_mul_f32 v219, v190, v143
	s_delay_alu instid0(VALU_DEP_4) | instskip(SKIP_3) | instid1(VALU_DEP_3)
	v_add_f32_e32 v2, v2, v5
	v_mul_f32_e32 v5, v171, v21
	v_dual_fmac_f32 v211, v175, v26 :: v_dual_fmac_f32 v214, v181, v132
	v_dual_mul_f32 v221, v194, v147 :: v_dual_mul_f32 v222, v196, v149
	v_fma_f32 v5, v170, v20, -v5
	v_dual_mul_f32 v3, v169, v19 :: v_dual_add_f32 v2, v2, v4
	v_dual_mul_f32 v4, v173, v25 :: v_dual_fmac_f32 v219, v191, v142
	v_dual_fmac_f32 v217, v187, v138 :: v_dual_fmac_f32 v220, v193, v144
	s_delay_alu instid0(VALU_DEP_3) | instskip(SKIP_1) | instid1(VALU_DEP_4)
	v_fma_f32 v3, v168, v18, -v3
	v_add_f32_e32 v1, v1, v204
	v_fma_f32 v4, v172, v24, -v4
	v_dual_fmac_f32 v212, v177, v128 :: v_dual_fmac_f32 v223, v199, v150
	s_delay_alu instid0(VALU_DEP_4) | instskip(SKIP_3) | instid1(VALU_DEP_4)
	v_add_f32_e32 v2, v2, v3
	v_dual_mul_f32 v3, v175, v27 :: v_dual_fmac_f32 v216, v185, v136
	v_fmac_f32_e32 v218, v189, v140
	v_fmac_f32_e32 v222, v197, v148
	v_add_f32_e32 v2, v2, v5
	v_add_f32_e32 v1, v1, v205
	v_fma_f32 v3, v174, v26, -v3
	s_delay_alu instid0(VALU_DEP_2) | instskip(SKIP_1) | instid1(VALU_DEP_2)
	v_dual_add_f32 v2, v2, v4 :: v_dual_add_f32 v1, v1, v206
	v_mul_f32_e32 v4, v179, v131
	v_dual_fmac_f32 v209, v171, v20 :: v_dual_add_f32 v2, v2, v3
	v_mul_f32_e32 v3, v181, v133
	s_delay_alu instid0(VALU_DEP_3) | instskip(SKIP_1) | instid1(VALU_DEP_3)
	v_fma_f32 v4, v178, v130, -v4
	v_mul_f32_e32 v5, v177, v129
	v_fma_f32 v3, v180, v132, -v3
	s_delay_alu instid0(VALU_DEP_2) | instskip(NEXT) | instid1(VALU_DEP_1)
	v_fma_f32 v5, v176, v128, -v5
	v_dual_add_f32 v1, v1, v207 :: v_dual_add_f32 v2, v2, v5
	s_delay_alu instid0(VALU_DEP_1) | instskip(NEXT) | instid1(VALU_DEP_2)
	v_dual_mul_f32 v5, v183, v135 :: v_dual_add_f32 v2, v2, v4
	v_add_f32_e32 v1, v1, v208
	v_mul_f32_e32 v4, v185, v137
	s_delay_alu instid0(VALU_DEP_3) | instskip(NEXT) | instid1(VALU_DEP_4)
	v_fma_f32 v5, v182, v134, -v5
	v_dual_add_f32 v2, v2, v3 :: v_dual_fmac_f32 v215, v183, v134
	v_mul_f32_e32 v3, v187, v139
	s_delay_alu instid0(VALU_DEP_4) | instskip(NEXT) | instid1(VALU_DEP_3)
	v_fma_f32 v4, v184, v136, -v4
	v_add_f32_e32 v2, v2, v5
	v_add_f32_e32 v1, v1, v209
	s_delay_alu instid0(VALU_DEP_4) | instskip(NEXT) | instid1(VALU_DEP_3)
	v_fma_f32 v3, v186, v138, -v3
	v_dual_add_f32 v2, v2, v4 :: v_dual_mul_f32 v5, v189, v141
	s_delay_alu instid0(VALU_DEP_3) | instskip(NEXT) | instid1(VALU_DEP_2)
	v_dual_add_f32 v1, v1, v210 :: v_dual_mul_f32 v4, v191, v143
	v_add_f32_e32 v2, v2, v3
	s_delay_alu instid0(VALU_DEP_3) | instskip(NEXT) | instid1(VALU_DEP_3)
	v_fma_f32 v5, v188, v140, -v5
	v_add_f32_e32 v1, v1, v211
	v_mul_f32_e32 v3, v193, v145
	v_fma_f32 v4, v190, v142, -v4
	s_delay_alu instid0(VALU_DEP_4) | instskip(NEXT) | instid1(VALU_DEP_3)
	v_dual_add_f32 v2, v2, v5 :: v_dual_mul_f32 v5, v195, v147
	v_fma_f32 v3, v192, v144, -v3
	s_delay_alu instid0(VALU_DEP_2) | instskip(SKIP_3) | instid1(VALU_DEP_4)
	v_add_f32_e32 v2, v2, v4
	v_add_f32_e32 v1, v1, v212
	v_mul_f32_e32 v4, v197, v149
	v_fma_f32 v5, v194, v146, -v5
	v_dual_add_f32 v2, v2, v3 :: v_dual_fmac_f32 v221, v195, v146
	v_mul_f32_e32 v3, v199, v151
	s_delay_alu instid0(VALU_DEP_4) | instskip(NEXT) | instid1(VALU_DEP_3)
	v_fma_f32 v4, v196, v148, -v4
	v_add_f32_e32 v2, v2, v5
	v_add_f32_e32 v1, v1, v213
	s_delay_alu instid0(VALU_DEP_4) | instskip(NEXT) | instid1(VALU_DEP_2)
	v_fma_f32 v3, v198, v150, -v3
	v_dual_add_f32 v2, v2, v4 :: v_dual_add_f32 v1, v1, v214
	s_delay_alu instid0(VALU_DEP_1) | instskip(NEXT) | instid1(VALU_DEP_2)
	v_add_f32_e32 v2, v2, v3
	v_add_f32_e32 v1, v1, v215
	s_delay_alu instid0(VALU_DEP_1) | instskip(NEXT) | instid1(VALU_DEP_1)
	v_add_f32_e32 v1, v1, v216
	v_add_f32_e32 v1, v1, v217
	s_delay_alu instid0(VALU_DEP_1) | instskip(NEXT) | instid1(VALU_DEP_1)
	;; [unrolled: 3-line block ×4, first 2 shown]
	v_add_f32_e32 v1, v1, v222
	v_add_f32_e32 v3, v1, v223
	s_wait_loadcnt 0x0
	s_delay_alu instid0(VALU_DEP_1)
	v_dual_sub_f32 v1, v200, v2 :: v_dual_sub_f32 v2, v201, v3
	scratch_store_b64 off, v[1:2], off offset:200
	v_cmpx_lt_u32_e32 24, v0
	s_cbranch_execz .LBB113_265
; %bb.264:
	scratch_load_b64 v[1:2], off, off offset:192
	v_mov_b32_e32 v3, 0
	s_delay_alu instid0(VALU_DEP_1)
	v_mov_b32_e32 v4, v3
	scratch_store_b64 off, v[3:4], off offset:192
	s_wait_loadcnt 0x0
	ds_store_b64 v23, v[1:2]
.LBB113_265:
	s_wait_alu 0xfffe
	s_or_b32 exec_lo, exec_lo, s0
	s_wait_storecnt_dscnt 0x0
	s_barrier_signal -1
	s_barrier_wait -1
	global_inv scope:SCOPE_SE
	s_clause 0xd
	scratch_load_b128 v[2:5], off, off offset:200
	scratch_load_b128 v[6:9], off, off offset:216
	;; [unrolled: 1-line block ×12, first 2 shown]
	scratch_load_b64 v[200:201], off, off offset:392
	scratch_load_b64 v[202:203], off, off offset:192
	v_mov_b32_e32 v1, 0
	ds_load_2addr_b64 v[152:155], v1 offset0:75 offset1:76
	ds_load_2addr_b64 v[156:159], v1 offset0:77 offset1:78
	;; [unrolled: 1-line block ×12, first 2 shown]
	ds_load_b64 v[204:205], v1 offset:792
	s_mov_b32 s0, exec_lo
	s_wait_loadcnt_dscnt 0xd0c
	v_mul_f32_e32 v22, v152, v3
	v_dual_mul_f32 v3, v153, v3 :: v_dual_mul_f32 v206, v154, v5
	s_wait_loadcnt_dscnt 0x908
	v_dual_mul_f32 v207, v156, v7 :: v_dual_mul_f32 v214, v170, v21
	v_mul_f32_e32 v5, v155, v5
	s_delay_alu instid0(VALU_DEP_3) | instskip(SKIP_3) | instid1(VALU_DEP_4)
	v_fma_f32 v3, v152, v2, -v3
	v_dual_mul_f32 v208, v158, v9 :: v_dual_mul_f32 v209, v160, v11
	v_fmac_f32_e32 v22, v153, v2
	v_mul_f32_e32 v2, v157, v7
	v_dual_fmac_f32 v206, v155, v4 :: v_dual_add_f32 v3, 0, v3
	s_wait_loadcnt_dscnt 0x100
	v_mul_f32_e32 v229, v204, v201
	v_fma_f32 v4, v154, v4, -v5
	v_dual_add_f32 v5, 0, v22 :: v_dual_fmac_f32 v208, v159, v8
	v_mul_f32_e32 v7, v159, v9
	v_fma_f32 v2, v156, v6, -v2
	s_delay_alu instid0(VALU_DEP_4)
	v_add_f32_e32 v3, v3, v4
	v_fmac_f32_e32 v207, v157, v6
	v_add_f32_e32 v4, v5, v206
	v_mul_f32_e32 v5, v161, v11
	v_fma_f32 v6, v158, v8, -v7
	v_add_f32_e32 v2, v3, v2
	v_dual_mul_f32 v210, v162, v13 :: v_dual_mul_f32 v211, v164, v15
	v_dual_add_f32 v3, v4, v207 :: v_dual_mul_f32 v4, v163, v13
	v_fma_f32 v5, v160, v10, -v5
	s_delay_alu instid0(VALU_DEP_4)
	v_add_f32_e32 v2, v2, v6
	v_fmac_f32_e32 v209, v161, v10
	v_mul_f32_e32 v6, v165, v15
	v_fmac_f32_e32 v210, v163, v12
	v_add_f32_e32 v3, v3, v208
	v_fma_f32 v4, v162, v12, -v4
	v_add_f32_e32 v2, v2, v5
	v_dual_mul_f32 v212, v166, v17 :: v_dual_mul_f32 v213, v168, v19
	s_delay_alu instid0(VALU_DEP_4)
	v_add_f32_e32 v3, v3, v209
	v_mul_f32_e32 v5, v167, v17
	v_fma_f32 v6, v164, v14, -v6
	v_dual_add_f32 v2, v2, v4 :: v_dual_fmac_f32 v211, v165, v14
	v_fmac_f32_e32 v212, v167, v16
	v_mul_f32_e32 v4, v169, v19
	v_fma_f32 v5, v166, v16, -v5
	s_delay_alu instid0(VALU_DEP_4) | instskip(SKIP_3) | instid1(VALU_DEP_3)
	v_add_f32_e32 v2, v2, v6
	v_add_f32_e32 v3, v3, v210
	v_dual_mul_f32 v6, v171, v21 :: v_dual_fmac_f32 v213, v169, v18
	v_fma_f32 v4, v168, v18, -v4
	v_dual_add_f32 v2, v2, v5 :: v_dual_add_f32 v3, v3, v211
	s_delay_alu instid0(VALU_DEP_3) | instskip(SKIP_1) | instid1(VALU_DEP_3)
	v_fma_f32 v6, v170, v20, -v6
	v_dual_mul_f32 v215, v172, v25 :: v_dual_mul_f32 v216, v174, v27
	v_add_f32_e32 v2, v2, v4
	s_delay_alu instid0(VALU_DEP_4) | instskip(SKIP_1) | instid1(VALU_DEP_4)
	v_add_f32_e32 v3, v3, v212
	v_dual_mul_f32 v5, v173, v25 :: v_dual_fmac_f32 v214, v171, v20
	v_dual_mul_f32 v4, v175, v27 :: v_dual_fmac_f32 v215, v173, v24
	s_delay_alu instid0(VALU_DEP_3) | instskip(NEXT) | instid1(VALU_DEP_3)
	v_dual_add_f32 v2, v2, v6 :: v_dual_add_f32 v3, v3, v213
	v_fma_f32 v5, v172, v24, -v5
	v_dual_mul_f32 v217, v176, v129 :: v_dual_mul_f32 v218, v178, v131
	s_delay_alu instid0(VALU_DEP_3) | instskip(NEXT) | instid1(VALU_DEP_2)
	v_dual_mul_f32 v6, v177, v129 :: v_dual_add_f32 v3, v3, v214
	v_dual_fmac_f32 v216, v175, v26 :: v_dual_fmac_f32 v217, v177, v128
	v_fma_f32 v4, v174, v26, -v4
	s_delay_alu instid0(VALU_DEP_3) | instskip(SKIP_3) | instid1(VALU_DEP_4)
	v_dual_add_f32 v2, v2, v5 :: v_dual_add_f32 v3, v3, v215
	v_mul_f32_e32 v5, v179, v131
	v_fma_f32 v6, v176, v128, -v6
	v_dual_mul_f32 v219, v180, v133 :: v_dual_mul_f32 v220, v182, v135
	v_add_f32_e32 v2, v2, v4
	v_dual_add_f32 v3, v3, v216 :: v_dual_mul_f32 v4, v181, v133
	s_delay_alu instid0(VALU_DEP_3) | instskip(SKIP_1) | instid1(VALU_DEP_3)
	v_dual_fmac_f32 v218, v179, v130 :: v_dual_fmac_f32 v219, v181, v132
	v_fma_f32 v5, v178, v130, -v5
	v_dual_add_f32 v2, v2, v6 :: v_dual_add_f32 v3, v3, v217
	v_mul_f32_e32 v6, v183, v135
	v_fma_f32 v4, v180, v132, -v4
	v_dual_mul_f32 v221, v184, v137 :: v_dual_mul_f32 v222, v186, v139
	s_delay_alu instid0(VALU_DEP_4) | instskip(SKIP_1) | instid1(VALU_DEP_3)
	v_dual_add_f32 v2, v2, v5 :: v_dual_add_f32 v3, v3, v218
	v_dual_mul_f32 v5, v185, v137 :: v_dual_fmac_f32 v220, v183, v134
	v_fmac_f32_e32 v221, v185, v136
	v_fma_f32 v6, v182, v134, -v6
	s_delay_alu instid0(VALU_DEP_4) | instskip(SKIP_2) | instid1(VALU_DEP_2)
	v_dual_add_f32 v2, v2, v4 :: v_dual_add_f32 v3, v3, v219
	v_dual_mul_f32 v223, v188, v141 :: v_dual_mul_f32 v224, v190, v143
	v_dual_mul_f32 v225, v192, v145 :: v_dual_mul_f32 v226, v194, v147
	v_dual_mul_f32 v4, v187, v139 :: v_dual_fmac_f32 v223, v189, v140
	v_fma_f32 v5, v184, v136, -v5
	v_dual_add_f32 v2, v2, v6 :: v_dual_add_f32 v3, v3, v220
	v_mul_f32_e32 v6, v189, v141
	v_dual_fmac_f32 v222, v187, v138 :: v_dual_fmac_f32 v225, v193, v144
	v_fma_f32 v4, v186, v138, -v4
	s_delay_alu instid0(VALU_DEP_4) | instskip(SKIP_3) | instid1(VALU_DEP_3)
	v_add_f32_e32 v3, v3, v221
	v_dual_add_f32 v2, v2, v5 :: v_dual_mul_f32 v5, v191, v143
	v_fma_f32 v6, v188, v140, -v6
	v_fmac_f32_e32 v224, v191, v142
	v_dual_add_f32 v3, v3, v222 :: v_dual_add_f32 v2, v2, v4
	v_mul_f32_e32 v4, v193, v145
	v_fma_f32 v5, v190, v142, -v5
	v_dual_mul_f32 v227, v196, v149 :: v_dual_mul_f32 v228, v198, v151
	s_delay_alu instid0(VALU_DEP_4) | instskip(NEXT) | instid1(VALU_DEP_2)
	v_dual_add_f32 v3, v3, v223 :: v_dual_add_f32 v2, v2, v6
	v_dual_mul_f32 v6, v195, v147 :: v_dual_fmac_f32 v227, v197, v148
	v_dual_fmac_f32 v226, v195, v146 :: v_dual_fmac_f32 v229, v205, v200
	s_delay_alu instid0(VALU_DEP_3)
	v_add_f32_e32 v2, v2, v5
	v_mul_f32_e32 v5, v197, v149
	v_add_f32_e32 v3, v3, v224
	v_fma_f32 v6, v194, v146, -v6
	v_fma_f32 v4, v192, v144, -v4
	v_fmac_f32_e32 v228, v199, v150
	v_fma_f32 v5, v196, v148, -v5
	v_add_f32_e32 v3, v3, v225
	s_delay_alu instid0(VALU_DEP_1) | instskip(SKIP_1) | instid1(VALU_DEP_2)
	v_dual_add_f32 v3, v3, v226 :: v_dual_add_f32 v2, v2, v4
	v_mul_f32_e32 v4, v199, v151
	v_dual_add_f32 v3, v3, v227 :: v_dual_add_f32 v2, v2, v6
	v_mul_f32_e32 v6, v205, v201
	s_delay_alu instid0(VALU_DEP_3) | instskip(NEXT) | instid1(VALU_DEP_3)
	v_fma_f32 v4, v198, v150, -v4
	v_add_f32_e32 v3, v3, v228
	s_delay_alu instid0(VALU_DEP_1) | instskip(SKIP_3) | instid1(VALU_DEP_2)
	v_add_f32_e32 v3, v3, v229
	v_add_f32_e32 v2, v2, v5
	v_fma_f32 v5, v204, v200, -v6
	s_wait_loadcnt 0x0
	v_dual_sub_f32 v3, v203, v3 :: v_dual_add_f32 v2, v2, v4
	s_delay_alu instid0(VALU_DEP_1) | instskip(NEXT) | instid1(VALU_DEP_1)
	v_add_f32_e32 v2, v2, v5
	v_sub_f32_e32 v2, v202, v2
	scratch_store_b64 off, v[2:3], off offset:192
	v_cmpx_lt_u32_e32 23, v0
	s_cbranch_execz .LBB113_267
; %bb.266:
	scratch_load_b64 v[3:4], off, off offset:184
	v_mov_b32_e32 v2, v1
	scratch_store_b64 off, v[1:2], off offset:184
	s_wait_loadcnt 0x0
	ds_store_b64 v23, v[3:4]
.LBB113_267:
	s_wait_alu 0xfffe
	s_or_b32 exec_lo, exec_lo, s0
	s_wait_storecnt_dscnt 0x0
	s_barrier_signal -1
	s_barrier_wait -1
	global_inv scope:SCOPE_SE
	s_clause 0xd
	scratch_load_b128 v[2:5], off, off offset:192
	scratch_load_b128 v[6:9], off, off offset:208
	;; [unrolled: 1-line block ×13, first 2 shown]
	scratch_load_b64 v[208:209], off, off offset:184
	ds_load_b128 v[156:159], v1 offset:592
	ds_load_b128 v[160:163], v1 offset:608
	;; [unrolled: 1-line block ×13, first 2 shown]
	s_mov_b32 s0, exec_lo
	s_wait_loadcnt_dscnt 0xd0c
	v_dual_mul_f32 v1, v156, v3 :: v_dual_mul_f32 v22, v158, v5
	s_wait_loadcnt_dscnt 0xc0b
	v_dual_mul_f32 v5, v159, v5 :: v_dual_mul_f32 v210, v160, v7
	v_mul_f32_e32 v211, v162, v9
	s_wait_loadcnt_dscnt 0xb0a
	v_dual_fmac_f32 v1, v157, v2 :: v_dual_mul_f32 v212, v164, v11
	v_mul_f32_e32 v213, v166, v13
	v_dual_mul_f32 v3, v157, v3 :: v_dual_fmac_f32 v22, v159, v4
	s_wait_loadcnt_dscnt 0xa09
	v_dual_mul_f32 v214, v168, v15 :: v_dual_mul_f32 v215, v170, v17
	s_wait_loadcnt_dscnt 0x201
	v_mul_f32_e32 v230, v200, v149
	v_fma_f32 v3, v156, v2, -v3
	s_wait_loadcnt_dscnt 0x100
	v_mul_f32_e32 v233, v206, v155
	v_mul_f32_e32 v2, v161, v7
	v_fma_f32 v4, v158, v4, -v5
	v_dual_mul_f32 v5, v163, v9 :: v_dual_fmac_f32 v212, v165, v10
	v_dual_add_f32 v3, 0, v3 :: v_dual_fmac_f32 v210, v161, v6
	s_delay_alu instid0(VALU_DEP_4) | instskip(NEXT) | instid1(VALU_DEP_3)
	v_fma_f32 v2, v160, v6, -v2
	v_fma_f32 v5, v162, v8, -v5
	s_delay_alu instid0(VALU_DEP_3) | instskip(SKIP_2) | instid1(VALU_DEP_3)
	v_dual_fmac_f32 v214, v169, v14 :: v_dual_add_f32 v3, v3, v4
	v_dual_mul_f32 v216, v172, v19 :: v_dual_mul_f32 v217, v174, v21
	v_dual_mul_f32 v218, v176, v25 :: v_dual_mul_f32 v219, v178, v27
	v_add_f32_e32 v2, v3, v2
	s_delay_alu instid0(VALU_DEP_3) | instskip(SKIP_1) | instid1(VALU_DEP_3)
	v_dual_mul_f32 v3, v167, v13 :: v_dual_fmac_f32 v216, v173, v18
	v_dual_mul_f32 v4, v165, v11 :: v_dual_fmac_f32 v215, v171, v16
	v_add_f32_e32 v2, v2, v5
	v_add_f32_e32 v1, 0, v1
	s_delay_alu instid0(VALU_DEP_4) | instskip(NEXT) | instid1(VALU_DEP_4)
	v_fma_f32 v3, v166, v12, -v3
	v_fma_f32 v4, v164, v10, -v4
	v_dual_mul_f32 v220, v180, v129 :: v_dual_mul_f32 v221, v182, v131
	s_delay_alu instid0(VALU_DEP_4) | instskip(SKIP_1) | instid1(VALU_DEP_4)
	v_dual_add_f32 v1, v1, v22 :: v_dual_mul_f32 v224, v188, v137
	v_mul_f32_e32 v225, v190, v139
	v_add_f32_e32 v2, v2, v4
	s_delay_alu instid0(VALU_DEP_3) | instskip(SKIP_2) | instid1(VALU_DEP_3)
	v_dual_mul_f32 v4, v171, v17 :: v_dual_add_f32 v1, v1, v210
	v_dual_fmac_f32 v211, v163, v8 :: v_dual_mul_f32 v222, v184, v133
	v_mul_f32_e32 v223, v186, v135
	v_fma_f32 v4, v170, v16, -v4
	v_mul_f32_e32 v5, v169, v15
	v_add_f32_e32 v2, v2, v3
	v_add_f32_e32 v1, v1, v211
	v_dual_fmac_f32 v221, v183, v130 :: v_dual_mul_f32 v226, v192, v141
	v_mul_f32_e32 v227, v194, v143
	v_fma_f32 v5, v168, v14, -v5
	v_fmac_f32_e32 v213, v167, v12
	v_dual_fmac_f32 v218, v177, v24 :: v_dual_fmac_f32 v219, v179, v26
	v_fmac_f32_e32 v222, v185, v132
	s_delay_alu instid0(VALU_DEP_4) | instskip(SKIP_2) | instid1(VALU_DEP_3)
	v_add_f32_e32 v2, v2, v5
	v_mul_f32_e32 v5, v175, v21
	v_dual_mul_f32 v228, v196, v145 :: v_dual_mul_f32 v229, v198, v147
	v_dual_fmac_f32 v227, v195, v142 :: v_dual_add_f32 v2, v2, v4
	s_delay_alu instid0(VALU_DEP_3) | instskip(SKIP_4) | instid1(VALU_DEP_4)
	v_fma_f32 v5, v174, v20, -v5
	v_mul_f32_e32 v3, v173, v19
	v_dual_mul_f32 v4, v177, v25 :: v_dual_mul_f32 v231, v202, v151
	v_mul_f32_e32 v232, v204, v153
	v_fmac_f32_e32 v220, v181, v128
	v_fma_f32 v3, v172, v18, -v3
	v_add_f32_e32 v1, v1, v212
	v_fma_f32 v4, v176, v24, -v4
	v_dual_fmac_f32 v225, v191, v138 :: v_dual_fmac_f32 v228, v197, v144
	s_delay_alu instid0(VALU_DEP_4) | instskip(SKIP_3) | instid1(VALU_DEP_4)
	v_add_f32_e32 v2, v2, v3
	v_mul_f32_e32 v3, v179, v27
	v_fmac_f32_e32 v231, v203, v150
	v_dual_fmac_f32 v233, v207, v154 :: v_dual_fmac_f32 v224, v189, v136
	v_add_f32_e32 v2, v2, v5
	v_add_f32_e32 v1, v1, v213
	v_fma_f32 v3, v178, v26, -v3
	v_fmac_f32_e32 v226, v193, v140
	v_fmac_f32_e32 v230, v201, v148
	s_delay_alu instid0(VALU_DEP_4) | instskip(SKIP_3) | instid1(VALU_DEP_4)
	v_dual_add_f32 v2, v2, v4 :: v_dual_add_f32 v1, v1, v214
	v_mul_f32_e32 v4, v183, v131
	v_fmac_f32_e32 v217, v175, v20
	v_fmac_f32_e32 v232, v205, v152
	v_dual_add_f32 v2, v2, v3 :: v_dual_mul_f32 v3, v185, v133
	s_delay_alu instid0(VALU_DEP_4) | instskip(SKIP_1) | instid1(VALU_DEP_3)
	v_fma_f32 v4, v182, v130, -v4
	v_mul_f32_e32 v5, v181, v129
	v_fma_f32 v3, v184, v132, -v3
	s_delay_alu instid0(VALU_DEP_2) | instskip(NEXT) | instid1(VALU_DEP_1)
	v_fma_f32 v5, v180, v128, -v5
	v_dual_add_f32 v1, v1, v215 :: v_dual_add_f32 v2, v2, v5
	s_delay_alu instid0(VALU_DEP_1) | instskip(NEXT) | instid1(VALU_DEP_2)
	v_dual_mul_f32 v5, v187, v135 :: v_dual_add_f32 v2, v2, v4
	v_add_f32_e32 v1, v1, v216
	v_mul_f32_e32 v4, v189, v137
	s_delay_alu instid0(VALU_DEP_3) | instskip(NEXT) | instid1(VALU_DEP_4)
	v_fma_f32 v5, v186, v134, -v5
	v_dual_add_f32 v2, v2, v3 :: v_dual_fmac_f32 v223, v187, v134
	v_mul_f32_e32 v3, v191, v139
	s_delay_alu instid0(VALU_DEP_4) | instskip(NEXT) | instid1(VALU_DEP_3)
	v_fma_f32 v4, v188, v136, -v4
	v_add_f32_e32 v2, v2, v5
	v_add_f32_e32 v1, v1, v217
	s_delay_alu instid0(VALU_DEP_4) | instskip(NEXT) | instid1(VALU_DEP_3)
	v_fma_f32 v3, v190, v138, -v3
	v_dual_add_f32 v2, v2, v4 :: v_dual_mul_f32 v5, v193, v141
	s_delay_alu instid0(VALU_DEP_3) | instskip(NEXT) | instid1(VALU_DEP_2)
	v_dual_add_f32 v1, v1, v218 :: v_dual_mul_f32 v4, v195, v143
	v_add_f32_e32 v2, v2, v3
	s_delay_alu instid0(VALU_DEP_3) | instskip(NEXT) | instid1(VALU_DEP_3)
	v_fma_f32 v5, v192, v140, -v5
	v_add_f32_e32 v1, v1, v219
	v_mul_f32_e32 v3, v197, v145
	v_fma_f32 v4, v194, v142, -v4
	s_delay_alu instid0(VALU_DEP_4) | instskip(NEXT) | instid1(VALU_DEP_3)
	v_dual_add_f32 v2, v2, v5 :: v_dual_mul_f32 v5, v199, v147
	v_fma_f32 v3, v196, v144, -v3
	s_delay_alu instid0(VALU_DEP_2) | instskip(SKIP_3) | instid1(VALU_DEP_4)
	v_add_f32_e32 v2, v2, v4
	v_add_f32_e32 v1, v1, v220
	v_mul_f32_e32 v4, v201, v149
	v_fma_f32 v5, v198, v146, -v5
	v_dual_add_f32 v2, v2, v3 :: v_dual_fmac_f32 v229, v199, v146
	v_mul_f32_e32 v3, v203, v151
	s_delay_alu instid0(VALU_DEP_4) | instskip(NEXT) | instid1(VALU_DEP_3)
	v_fma_f32 v4, v200, v148, -v4
	v_add_f32_e32 v2, v2, v5
	v_add_f32_e32 v1, v1, v221
	s_delay_alu instid0(VALU_DEP_4) | instskip(NEXT) | instid1(VALU_DEP_2)
	v_fma_f32 v3, v202, v150, -v3
	v_dual_add_f32 v2, v2, v4 :: v_dual_add_f32 v1, v1, v222
	v_dual_mul_f32 v4, v207, v155 :: v_dual_mul_f32 v5, v205, v153
	s_delay_alu instid0(VALU_DEP_2) | instskip(NEXT) | instid1(VALU_DEP_2)
	v_add_f32_e32 v2, v2, v3
	v_fma_f32 v3, v206, v154, -v4
	s_delay_alu instid0(VALU_DEP_3) | instskip(NEXT) | instid1(VALU_DEP_1)
	v_fma_f32 v5, v204, v152, -v5
	v_dual_add_f32 v1, v1, v223 :: v_dual_add_f32 v2, v2, v5
	s_delay_alu instid0(VALU_DEP_1) | instskip(NEXT) | instid1(VALU_DEP_1)
	v_dual_add_f32 v1, v1, v224 :: v_dual_add_f32 v2, v2, v3
	v_add_f32_e32 v1, v1, v225
	s_delay_alu instid0(VALU_DEP_1) | instskip(NEXT) | instid1(VALU_DEP_1)
	v_add_f32_e32 v1, v1, v226
	v_add_f32_e32 v1, v1, v227
	s_delay_alu instid0(VALU_DEP_1) | instskip(NEXT) | instid1(VALU_DEP_1)
	v_add_f32_e32 v1, v1, v228
	;; [unrolled: 3-line block ×4, first 2 shown]
	v_add_f32_e32 v3, v1, v233
	s_wait_loadcnt 0x0
	s_delay_alu instid0(VALU_DEP_1)
	v_dual_sub_f32 v1, v208, v2 :: v_dual_sub_f32 v2, v209, v3
	scratch_store_b64 off, v[1:2], off offset:184
	v_cmpx_lt_u32_e32 22, v0
	s_cbranch_execz .LBB113_269
; %bb.268:
	scratch_load_b64 v[1:2], off, off offset:176
	v_mov_b32_e32 v3, 0
	s_delay_alu instid0(VALU_DEP_1)
	v_mov_b32_e32 v4, v3
	scratch_store_b64 off, v[3:4], off offset:176
	s_wait_loadcnt 0x0
	ds_store_b64 v23, v[1:2]
.LBB113_269:
	s_wait_alu 0xfffe
	s_or_b32 exec_lo, exec_lo, s0
	s_wait_storecnt_dscnt 0x0
	s_barrier_signal -1
	s_barrier_wait -1
	global_inv scope:SCOPE_SE
	s_clause 0xe
	scratch_load_b128 v[2:5], off, off offset:184
	scratch_load_b128 v[6:9], off, off offset:200
	;; [unrolled: 1-line block ×13, first 2 shown]
	scratch_load_b64 v[208:209], off, off offset:392
	scratch_load_b64 v[210:211], off, off offset:176
	v_mov_b32_e32 v1, 0
	ds_load_2addr_b64 v[156:159], v1 offset0:73 offset1:74
	ds_load_2addr_b64 v[160:163], v1 offset0:75 offset1:76
	;; [unrolled: 1-line block ×13, first 2 shown]
	ds_load_b64 v[212:213], v1 offset:792
	s_mov_b32 s0, exec_lo
	s_wait_loadcnt_dscnt 0xe0d
	v_mul_f32_e32 v22, v156, v3
	v_dual_mul_f32 v3, v157, v3 :: v_dual_mul_f32 v214, v158, v5
	s_wait_loadcnt_dscnt 0xa09
	v_dual_mul_f32 v215, v160, v7 :: v_dual_mul_f32 v222, v174, v21
	v_mul_f32_e32 v5, v159, v5
	s_delay_alu instid0(VALU_DEP_3) | instskip(SKIP_3) | instid1(VALU_DEP_4)
	v_fma_f32 v3, v156, v2, -v3
	v_dual_mul_f32 v216, v162, v9 :: v_dual_mul_f32 v217, v164, v11
	v_fmac_f32_e32 v22, v157, v2
	v_mul_f32_e32 v2, v161, v7
	v_dual_fmac_f32 v214, v159, v4 :: v_dual_add_f32 v3, 0, v3
	s_wait_loadcnt_dscnt 0x100
	v_mul_f32_e32 v239, v212, v209
	v_fma_f32 v4, v158, v4, -v5
	v_dual_add_f32 v5, 0, v22 :: v_dual_fmac_f32 v216, v163, v8
	v_mul_f32_e32 v7, v163, v9
	v_fma_f32 v2, v160, v6, -v2
	s_delay_alu instid0(VALU_DEP_4)
	v_add_f32_e32 v3, v3, v4
	v_fmac_f32_e32 v215, v161, v6
	v_add_f32_e32 v4, v5, v214
	v_mul_f32_e32 v5, v165, v11
	v_fma_f32 v6, v162, v8, -v7
	v_add_f32_e32 v2, v3, v2
	v_dual_mul_f32 v218, v166, v13 :: v_dual_mul_f32 v219, v168, v15
	v_dual_add_f32 v3, v4, v215 :: v_dual_mul_f32 v4, v167, v13
	v_fma_f32 v5, v164, v10, -v5
	s_delay_alu instid0(VALU_DEP_4)
	v_add_f32_e32 v2, v2, v6
	v_fmac_f32_e32 v217, v165, v10
	v_mul_f32_e32 v6, v169, v15
	v_fmac_f32_e32 v218, v167, v12
	v_add_f32_e32 v3, v3, v216
	v_fma_f32 v4, v166, v12, -v4
	v_add_f32_e32 v2, v2, v5
	v_dual_mul_f32 v220, v170, v17 :: v_dual_mul_f32 v221, v172, v19
	s_delay_alu instid0(VALU_DEP_4)
	v_add_f32_e32 v3, v3, v217
	v_mul_f32_e32 v5, v171, v17
	v_fma_f32 v6, v168, v14, -v6
	v_dual_add_f32 v2, v2, v4 :: v_dual_fmac_f32 v219, v169, v14
	v_fmac_f32_e32 v220, v171, v16
	v_mul_f32_e32 v4, v173, v19
	v_fma_f32 v5, v170, v16, -v5
	s_delay_alu instid0(VALU_DEP_4) | instskip(SKIP_3) | instid1(VALU_DEP_3)
	v_add_f32_e32 v2, v2, v6
	v_add_f32_e32 v3, v3, v218
	v_dual_mul_f32 v6, v175, v21 :: v_dual_fmac_f32 v221, v173, v18
	v_fma_f32 v4, v172, v18, -v4
	v_dual_add_f32 v2, v2, v5 :: v_dual_add_f32 v3, v3, v219
	s_delay_alu instid0(VALU_DEP_3) | instskip(SKIP_1) | instid1(VALU_DEP_3)
	v_fma_f32 v6, v174, v20, -v6
	v_dual_mul_f32 v223, v176, v25 :: v_dual_mul_f32 v224, v178, v27
	v_add_f32_e32 v2, v2, v4
	s_delay_alu instid0(VALU_DEP_4) | instskip(SKIP_1) | instid1(VALU_DEP_4)
	v_add_f32_e32 v3, v3, v220
	v_dual_mul_f32 v5, v177, v25 :: v_dual_fmac_f32 v222, v175, v20
	v_dual_mul_f32 v4, v179, v27 :: v_dual_fmac_f32 v223, v177, v24
	s_delay_alu instid0(VALU_DEP_3) | instskip(NEXT) | instid1(VALU_DEP_3)
	v_dual_add_f32 v2, v2, v6 :: v_dual_add_f32 v3, v3, v221
	v_fma_f32 v5, v176, v24, -v5
	v_dual_mul_f32 v225, v180, v129 :: v_dual_mul_f32 v226, v182, v131
	s_delay_alu instid0(VALU_DEP_3) | instskip(NEXT) | instid1(VALU_DEP_2)
	v_dual_mul_f32 v6, v181, v129 :: v_dual_add_f32 v3, v3, v222
	v_dual_fmac_f32 v224, v179, v26 :: v_dual_fmac_f32 v225, v181, v128
	v_fma_f32 v4, v178, v26, -v4
	s_delay_alu instid0(VALU_DEP_3) | instskip(SKIP_3) | instid1(VALU_DEP_4)
	v_dual_add_f32 v2, v2, v5 :: v_dual_add_f32 v3, v3, v223
	v_mul_f32_e32 v5, v183, v131
	v_fma_f32 v6, v180, v128, -v6
	v_dual_mul_f32 v227, v184, v133 :: v_dual_mul_f32 v228, v186, v135
	v_add_f32_e32 v2, v2, v4
	v_dual_add_f32 v3, v3, v224 :: v_dual_mul_f32 v4, v185, v133
	s_delay_alu instid0(VALU_DEP_3) | instskip(SKIP_1) | instid1(VALU_DEP_3)
	v_dual_fmac_f32 v226, v183, v130 :: v_dual_fmac_f32 v227, v185, v132
	v_fma_f32 v5, v182, v130, -v5
	v_dual_add_f32 v2, v2, v6 :: v_dual_add_f32 v3, v3, v225
	v_mul_f32_e32 v6, v187, v135
	v_fma_f32 v4, v184, v132, -v4
	v_dual_mul_f32 v229, v188, v137 :: v_dual_mul_f32 v230, v190, v139
	s_delay_alu instid0(VALU_DEP_4) | instskip(SKIP_1) | instid1(VALU_DEP_3)
	v_dual_add_f32 v2, v2, v5 :: v_dual_add_f32 v3, v3, v226
	v_dual_mul_f32 v5, v189, v137 :: v_dual_fmac_f32 v228, v187, v134
	v_fmac_f32_e32 v229, v189, v136
	v_fma_f32 v6, v186, v134, -v6
	s_delay_alu instid0(VALU_DEP_4) | instskip(SKIP_2) | instid1(VALU_DEP_2)
	v_dual_add_f32 v2, v2, v4 :: v_dual_add_f32 v3, v3, v227
	v_dual_mul_f32 v231, v192, v141 :: v_dual_mul_f32 v232, v194, v143
	v_dual_mul_f32 v233, v196, v145 :: v_dual_mul_f32 v234, v198, v147
	v_dual_mul_f32 v4, v191, v139 :: v_dual_fmac_f32 v231, v193, v140
	v_fma_f32 v5, v188, v136, -v5
	v_dual_add_f32 v2, v2, v6 :: v_dual_add_f32 v3, v3, v228
	v_mul_f32_e32 v6, v193, v141
	v_dual_fmac_f32 v230, v191, v138 :: v_dual_fmac_f32 v233, v197, v144
	v_fma_f32 v4, v190, v138, -v4
	s_delay_alu instid0(VALU_DEP_4) | instskip(SKIP_3) | instid1(VALU_DEP_3)
	v_add_f32_e32 v3, v3, v229
	v_dual_add_f32 v2, v2, v5 :: v_dual_mul_f32 v5, v195, v143
	v_fma_f32 v6, v192, v140, -v6
	v_dual_mul_f32 v237, v204, v153 :: v_dual_mul_f32 v238, v206, v155
	v_dual_add_f32 v3, v3, v230 :: v_dual_add_f32 v2, v2, v4
	v_mul_f32_e32 v4, v197, v145
	v_fmac_f32_e32 v232, v195, v142
	v_fma_f32 v5, v194, v142, -v5
	s_delay_alu instid0(VALU_DEP_4) | instskip(SKIP_3) | instid1(VALU_DEP_4)
	v_dual_add_f32 v3, v3, v231 :: v_dual_add_f32 v2, v2, v6
	v_dual_mul_f32 v235, v200, v149 :: v_dual_mul_f32 v236, v202, v151
	v_mul_f32_e32 v6, v199, v147
	v_dual_fmac_f32 v234, v199, v146 :: v_dual_fmac_f32 v237, v205, v152
	v_add_f32_e32 v2, v2, v5
	v_mul_f32_e32 v5, v201, v149
	v_add_f32_e32 v3, v3, v232
	v_fma_f32 v4, v196, v144, -v4
	v_fmac_f32_e32 v235, v201, v148
	v_fma_f32 v6, v198, v146, -v6
	v_fma_f32 v5, v200, v148, -v5
	v_add_f32_e32 v3, v3, v233
	v_dual_fmac_f32 v236, v203, v150 :: v_dual_fmac_f32 v239, v213, v208
	v_fmac_f32_e32 v238, v207, v154
	s_delay_alu instid0(VALU_DEP_3) | instskip(SKIP_1) | instid1(VALU_DEP_2)
	v_dual_add_f32 v3, v3, v234 :: v_dual_add_f32 v2, v2, v4
	v_mul_f32_e32 v4, v203, v151
	v_dual_add_f32 v3, v3, v235 :: v_dual_add_f32 v2, v2, v6
	v_mul_f32_e32 v6, v205, v153
	s_delay_alu instid0(VALU_DEP_3) | instskip(NEXT) | instid1(VALU_DEP_3)
	v_fma_f32 v4, v202, v150, -v4
	v_dual_add_f32 v3, v3, v236 :: v_dual_add_f32 v2, v2, v5
	v_mul_f32_e32 v5, v207, v155
	s_delay_alu instid0(VALU_DEP_4) | instskip(NEXT) | instid1(VALU_DEP_3)
	v_fma_f32 v6, v204, v152, -v6
	v_dual_add_f32 v3, v3, v237 :: v_dual_add_f32 v2, v2, v4
	v_mul_f32_e32 v4, v213, v209
	s_delay_alu instid0(VALU_DEP_4) | instskip(NEXT) | instid1(VALU_DEP_3)
	v_fma_f32 v5, v206, v154, -v5
	v_add_f32_e32 v3, v3, v238
	s_delay_alu instid0(VALU_DEP_4) | instskip(NEXT) | instid1(VALU_DEP_4)
	v_add_f32_e32 v2, v2, v6
	v_fma_f32 v4, v212, v208, -v4
	s_delay_alu instid0(VALU_DEP_2) | instskip(SKIP_1) | instid1(VALU_DEP_1)
	v_dual_add_f32 v3, v3, v239 :: v_dual_add_f32 v2, v2, v5
	s_wait_loadcnt 0x0
	v_dual_sub_f32 v3, v211, v3 :: v_dual_add_f32 v2, v2, v4
	s_delay_alu instid0(VALU_DEP_1)
	v_sub_f32_e32 v2, v210, v2
	scratch_store_b64 off, v[2:3], off offset:176
	v_cmpx_lt_u32_e32 21, v0
	s_cbranch_execz .LBB113_271
; %bb.270:
	scratch_load_b64 v[3:4], off, off offset:168
	v_mov_b32_e32 v2, v1
	scratch_store_b64 off, v[1:2], off offset:168
	s_wait_loadcnt 0x0
	ds_store_b64 v23, v[3:4]
.LBB113_271:
	s_wait_alu 0xfffe
	s_or_b32 exec_lo, exec_lo, s0
	s_wait_storecnt_dscnt 0x0
	s_barrier_signal -1
	s_barrier_wait -1
	global_inv scope:SCOPE_SE
	s_clause 0xe
	scratch_load_b128 v[2:5], off, off offset:176
	scratch_load_b128 v[6:9], off, off offset:192
	;; [unrolled: 1-line block ×14, first 2 shown]
	scratch_load_b64 v[216:217], off, off offset:168
	ds_load_b128 v[160:163], v1 offset:576
	ds_load_b128 v[164:167], v1 offset:592
	;; [unrolled: 1-line block ×14, first 2 shown]
	s_mov_b32 s0, exec_lo
	s_wait_loadcnt_dscnt 0xe0d
	v_dual_mul_f32 v1, v160, v3 :: v_dual_mul_f32 v22, v162, v5
	s_wait_loadcnt_dscnt 0xd0c
	v_dual_mul_f32 v5, v163, v5 :: v_dual_mul_f32 v218, v164, v7
	v_mul_f32_e32 v219, v166, v9
	s_wait_loadcnt_dscnt 0xc0b
	v_dual_fmac_f32 v1, v161, v2 :: v_dual_mul_f32 v220, v168, v11
	v_mul_f32_e32 v221, v170, v13
	v_dual_mul_f32 v3, v161, v3 :: v_dual_fmac_f32 v22, v163, v4
	s_wait_loadcnt_dscnt 0xb0a
	v_dual_mul_f32 v222, v172, v15 :: v_dual_mul_f32 v223, v174, v17
	s_wait_loadcnt_dscnt 0x201
	v_mul_f32_e32 v240, v208, v153
	v_fma_f32 v3, v160, v2, -v3
	s_wait_loadcnt_dscnt 0x100
	v_mul_f32_e32 v243, v214, v159
	v_mul_f32_e32 v2, v165, v7
	v_fma_f32 v4, v162, v4, -v5
	v_dual_mul_f32 v5, v167, v9 :: v_dual_fmac_f32 v220, v169, v10
	v_dual_add_f32 v3, 0, v3 :: v_dual_fmac_f32 v218, v165, v6
	s_delay_alu instid0(VALU_DEP_4) | instskip(NEXT) | instid1(VALU_DEP_3)
	v_fma_f32 v2, v164, v6, -v2
	v_fma_f32 v5, v166, v8, -v5
	s_delay_alu instid0(VALU_DEP_3) | instskip(SKIP_2) | instid1(VALU_DEP_3)
	v_dual_fmac_f32 v222, v173, v14 :: v_dual_add_f32 v3, v3, v4
	v_dual_mul_f32 v224, v176, v19 :: v_dual_mul_f32 v225, v178, v21
	v_dual_mul_f32 v226, v180, v25 :: v_dual_mul_f32 v227, v182, v27
	v_add_f32_e32 v2, v3, v2
	s_delay_alu instid0(VALU_DEP_3) | instskip(SKIP_1) | instid1(VALU_DEP_3)
	v_dual_mul_f32 v3, v171, v13 :: v_dual_fmac_f32 v224, v177, v18
	v_dual_fmac_f32 v223, v175, v16 :: v_dual_mul_f32 v4, v169, v11
	v_add_f32_e32 v2, v2, v5
	v_add_f32_e32 v1, 0, v1
	s_delay_alu instid0(VALU_DEP_4) | instskip(SKIP_2) | instid1(VALU_DEP_4)
	v_fma_f32 v3, v170, v12, -v3
	v_dual_mul_f32 v228, v184, v129 :: v_dual_mul_f32 v229, v186, v131
	v_fma_f32 v4, v168, v10, -v4
	v_dual_add_f32 v1, v1, v22 :: v_dual_mul_f32 v232, v192, v137
	v_dual_mul_f32 v233, v194, v139 :: v_dual_mul_f32 v230, v188, v133
	v_mul_f32_e32 v231, v190, v135
	s_delay_alu instid0(VALU_DEP_3) | instskip(SKIP_2) | instid1(VALU_DEP_3)
	v_dual_add_f32 v2, v2, v4 :: v_dual_add_f32 v1, v1, v218
	v_mul_f32_e32 v4, v175, v17
	v_fmac_f32_e32 v219, v167, v8
	v_dual_fmac_f32 v229, v187, v130 :: v_dual_add_f32 v2, v2, v3
	v_dual_mul_f32 v234, v196, v141 :: v_dual_mul_f32 v235, v198, v143
	s_delay_alu instid0(VALU_DEP_4) | instskip(SKIP_4) | instid1(VALU_DEP_4)
	v_fma_f32 v4, v174, v16, -v4
	v_mul_f32_e32 v5, v173, v15
	v_add_f32_e32 v1, v1, v219
	v_dual_fmac_f32 v227, v183, v26 :: v_dual_fmac_f32 v230, v189, v132
	v_fmac_f32_e32 v226, v181, v24
	v_fma_f32 v5, v172, v14, -v5
	v_dual_fmac_f32 v221, v171, v12 :: v_dual_mul_f32 v238, v204, v149
	v_dual_mul_f32 v239, v206, v151 :: v_dual_mul_f32 v236, v200, v145
	v_mul_f32_e32 v237, v202, v147
	s_delay_alu instid0(VALU_DEP_4) | instskip(SKIP_3) | instid1(VALU_DEP_4)
	v_add_f32_e32 v2, v2, v5
	v_mul_f32_e32 v5, v179, v21
	v_fmac_f32_e32 v235, v199, v142
	v_dual_fmac_f32 v233, v195, v138 :: v_dual_fmac_f32 v236, v201, v144
	v_add_f32_e32 v2, v2, v4
	s_delay_alu instid0(VALU_DEP_4) | instskip(SKIP_4) | instid1(VALU_DEP_4)
	v_fma_f32 v5, v178, v20, -v5
	v_mul_f32_e32 v3, v177, v19
	v_mul_f32_e32 v4, v181, v25
	v_dual_fmac_f32 v228, v185, v128 :: v_dual_mul_f32 v241, v210, v155
	v_mul_f32_e32 v242, v212, v157
	v_fma_f32 v3, v176, v18, -v3
	v_add_f32_e32 v1, v1, v220
	v_fma_f32 v4, v180, v24, -v4
	s_delay_alu instid0(VALU_DEP_4) | instskip(NEXT) | instid1(VALU_DEP_4)
	v_dual_fmac_f32 v239, v207, v150 :: v_dual_fmac_f32 v242, v213, v156
	v_add_f32_e32 v2, v2, v3
	v_mul_f32_e32 v3, v183, v27
	v_fmac_f32_e32 v241, v211, v154
	v_dual_fmac_f32 v243, v215, v158 :: v_dual_fmac_f32 v232, v193, v136
	s_delay_alu instid0(VALU_DEP_4) | instskip(SKIP_4) | instid1(VALU_DEP_4)
	v_add_f32_e32 v2, v2, v5
	v_add_f32_e32 v1, v1, v221
	v_fma_f32 v3, v182, v26, -v3
	v_fmac_f32_e32 v234, v197, v140
	v_fmac_f32_e32 v238, v205, v148
	v_dual_add_f32 v2, v2, v4 :: v_dual_add_f32 v1, v1, v222
	v_mul_f32_e32 v4, v187, v131
	v_fmac_f32_e32 v225, v179, v20
	v_fmac_f32_e32 v240, v209, v152
	s_delay_alu instid0(VALU_DEP_4) | instskip(NEXT) | instid1(VALU_DEP_4)
	v_dual_add_f32 v2, v2, v3 :: v_dual_mul_f32 v3, v189, v133
	v_fma_f32 v4, v186, v130, -v4
	v_mul_f32_e32 v5, v185, v129
	s_delay_alu instid0(VALU_DEP_3) | instskip(NEXT) | instid1(VALU_DEP_2)
	v_fma_f32 v3, v188, v132, -v3
	v_fma_f32 v5, v184, v128, -v5
	s_delay_alu instid0(VALU_DEP_1) | instskip(NEXT) | instid1(VALU_DEP_1)
	v_dual_add_f32 v1, v1, v223 :: v_dual_add_f32 v2, v2, v5
	v_dual_mul_f32 v5, v191, v135 :: v_dual_add_f32 v2, v2, v4
	s_delay_alu instid0(VALU_DEP_2) | instskip(SKIP_1) | instid1(VALU_DEP_3)
	v_add_f32_e32 v1, v1, v224
	v_mul_f32_e32 v4, v193, v137
	v_fma_f32 v5, v190, v134, -v5
	s_delay_alu instid0(VALU_DEP_4) | instskip(SKIP_1) | instid1(VALU_DEP_4)
	v_dual_add_f32 v2, v2, v3 :: v_dual_fmac_f32 v231, v191, v134
	v_mul_f32_e32 v3, v195, v139
	v_fma_f32 v4, v192, v136, -v4
	s_delay_alu instid0(VALU_DEP_3) | instskip(SKIP_1) | instid1(VALU_DEP_4)
	v_add_f32_e32 v2, v2, v5
	v_add_f32_e32 v1, v1, v225
	v_fma_f32 v3, v194, v138, -v3
	s_delay_alu instid0(VALU_DEP_3) | instskip(NEXT) | instid1(VALU_DEP_3)
	v_dual_add_f32 v2, v2, v4 :: v_dual_mul_f32 v5, v197, v141
	v_dual_add_f32 v1, v1, v226 :: v_dual_mul_f32 v4, v199, v143
	s_delay_alu instid0(VALU_DEP_2) | instskip(NEXT) | instid1(VALU_DEP_3)
	v_add_f32_e32 v2, v2, v3
	v_fma_f32 v5, v196, v140, -v5
	s_delay_alu instid0(VALU_DEP_3) | instskip(SKIP_2) | instid1(VALU_DEP_4)
	v_add_f32_e32 v1, v1, v227
	v_mul_f32_e32 v3, v201, v145
	v_fma_f32 v4, v198, v142, -v4
	v_dual_add_f32 v2, v2, v5 :: v_dual_mul_f32 v5, v203, v147
	s_delay_alu instid0(VALU_DEP_3) | instskip(NEXT) | instid1(VALU_DEP_2)
	v_fma_f32 v3, v200, v144, -v3
	v_add_f32_e32 v2, v2, v4
	v_add_f32_e32 v1, v1, v228
	v_mul_f32_e32 v4, v205, v149
	v_fma_f32 v5, v202, v146, -v5
	s_delay_alu instid0(VALU_DEP_4) | instskip(SKIP_1) | instid1(VALU_DEP_4)
	v_dual_add_f32 v2, v2, v3 :: v_dual_fmac_f32 v237, v203, v146
	v_mul_f32_e32 v3, v207, v151
	v_fma_f32 v4, v204, v148, -v4
	s_delay_alu instid0(VALU_DEP_3) | instskip(SKIP_1) | instid1(VALU_DEP_4)
	v_add_f32_e32 v2, v2, v5
	v_add_f32_e32 v1, v1, v229
	v_fma_f32 v3, v206, v150, -v3
	s_delay_alu instid0(VALU_DEP_3) | instskip(NEXT) | instid1(VALU_DEP_3)
	v_dual_add_f32 v2, v2, v4 :: v_dual_mul_f32 v5, v209, v153
	v_dual_add_f32 v1, v1, v230 :: v_dual_mul_f32 v4, v211, v155
	s_delay_alu instid0(VALU_DEP_2) | instskip(NEXT) | instid1(VALU_DEP_3)
	v_add_f32_e32 v2, v2, v3
	v_fma_f32 v5, v208, v152, -v5
	s_delay_alu instid0(VALU_DEP_3) | instskip(SKIP_2) | instid1(VALU_DEP_4)
	v_add_f32_e32 v1, v1, v231
	v_mul_f32_e32 v3, v213, v157
	v_fma_f32 v4, v210, v154, -v4
	v_dual_add_f32 v2, v2, v5 :: v_dual_mul_f32 v5, v215, v159
	s_delay_alu instid0(VALU_DEP_3) | instskip(NEXT) | instid1(VALU_DEP_2)
	v_fma_f32 v3, v212, v156, -v3
	v_add_f32_e32 v2, v2, v4
	v_add_f32_e32 v1, v1, v232
	s_delay_alu instid0(VALU_DEP_4) | instskip(NEXT) | instid1(VALU_DEP_2)
	v_fma_f32 v4, v214, v158, -v5
	v_dual_add_f32 v2, v2, v3 :: v_dual_add_f32 v1, v1, v233
	s_delay_alu instid0(VALU_DEP_1) | instskip(NEXT) | instid1(VALU_DEP_1)
	v_dual_add_f32 v2, v2, v4 :: v_dual_add_f32 v1, v1, v234
	v_add_f32_e32 v1, v1, v235
	s_delay_alu instid0(VALU_DEP_1) | instskip(NEXT) | instid1(VALU_DEP_1)
	v_add_f32_e32 v1, v1, v236
	v_add_f32_e32 v1, v1, v237
	s_delay_alu instid0(VALU_DEP_1) | instskip(NEXT) | instid1(VALU_DEP_1)
	v_add_f32_e32 v1, v1, v238
	v_add_f32_e32 v1, v1, v239
	s_delay_alu instid0(VALU_DEP_1) | instskip(NEXT) | instid1(VALU_DEP_1)
	v_add_f32_e32 v1, v1, v240
	v_add_f32_e32 v1, v1, v241
	s_delay_alu instid0(VALU_DEP_1) | instskip(NEXT) | instid1(VALU_DEP_1)
	v_add_f32_e32 v1, v1, v242
	v_add_f32_e32 v3, v1, v243
	s_wait_loadcnt 0x0
	s_delay_alu instid0(VALU_DEP_1)
	v_dual_sub_f32 v1, v216, v2 :: v_dual_sub_f32 v2, v217, v3
	scratch_store_b64 off, v[1:2], off offset:168
	v_cmpx_lt_u32_e32 20, v0
	s_cbranch_execz .LBB113_273
; %bb.272:
	scratch_load_b64 v[1:2], off, off offset:160
	v_mov_b32_e32 v3, 0
	s_delay_alu instid0(VALU_DEP_1)
	v_mov_b32_e32 v4, v3
	scratch_store_b64 off, v[3:4], off offset:160
	s_wait_loadcnt 0x0
	ds_store_b64 v23, v[1:2]
.LBB113_273:
	s_wait_alu 0xfffe
	s_or_b32 exec_lo, exec_lo, s0
	s_wait_storecnt_dscnt 0x0
	s_barrier_signal -1
	s_barrier_wait -1
	global_inv scope:SCOPE_SE
	s_clause 0xf
	scratch_load_b128 v[2:5], off, off offset:168
	scratch_load_b128 v[6:9], off, off offset:184
	;; [unrolled: 1-line block ×14, first 2 shown]
	scratch_load_b64 v[216:217], off, off offset:392
	scratch_load_b64 v[218:219], off, off offset:160
	v_mov_b32_e32 v1, 0
	ds_load_2addr_b64 v[160:163], v1 offset0:71 offset1:72
	ds_load_2addr_b64 v[164:167], v1 offset0:73 offset1:74
	;; [unrolled: 1-line block ×14, first 2 shown]
	ds_load_b64 v[220:221], v1 offset:792
	s_mov_b32 s0, exec_lo
	s_wait_loadcnt_dscnt 0xf0e
	v_mul_f32_e32 v22, v160, v3
	v_dual_mul_f32 v3, v161, v3 :: v_dual_mul_f32 v222, v162, v5
	s_wait_loadcnt_dscnt 0xb0a
	v_dual_mul_f32 v223, v164, v7 :: v_dual_mul_f32 v230, v178, v21
	v_mul_f32_e32 v5, v163, v5
	s_delay_alu instid0(VALU_DEP_3)
	v_fma_f32 v3, v160, v2, -v3
	v_dual_mul_f32 v224, v166, v9 :: v_dual_mul_f32 v225, v168, v11
	v_fmac_f32_e32 v222, v163, v4
	v_fmac_f32_e32 v22, v161, v2
	v_mul_f32_e32 v2, v165, v7
	v_fma_f32 v4, v162, v4, -v5
	v_add_f32_e32 v3, 0, v3
	s_wait_loadcnt_dscnt 0x100
	v_mul_f32_e32 v249, v220, v217
	v_dual_add_f32 v5, 0, v22 :: v_dual_fmac_f32 v224, v167, v8
	v_mul_f32_e32 v7, v167, v9
	v_fma_f32 v2, v164, v6, -v2
	v_add_f32_e32 v3, v3, v4
	v_fmac_f32_e32 v223, v165, v6
	v_add_f32_e32 v4, v5, v222
	v_mul_f32_e32 v5, v169, v11
	v_fma_f32 v6, v166, v8, -v7
	v_add_f32_e32 v2, v3, v2
	v_dual_mul_f32 v226, v170, v13 :: v_dual_mul_f32 v227, v172, v15
	v_dual_add_f32 v3, v4, v223 :: v_dual_mul_f32 v4, v171, v13
	v_fma_f32 v5, v168, v10, -v5
	s_delay_alu instid0(VALU_DEP_4)
	v_add_f32_e32 v2, v2, v6
	v_fmac_f32_e32 v225, v169, v10
	v_mul_f32_e32 v6, v173, v15
	v_fmac_f32_e32 v226, v171, v12
	v_add_f32_e32 v3, v3, v224
	v_fma_f32 v4, v170, v12, -v4
	v_add_f32_e32 v2, v2, v5
	v_dual_mul_f32 v228, v174, v17 :: v_dual_mul_f32 v229, v176, v19
	s_delay_alu instid0(VALU_DEP_4)
	v_add_f32_e32 v3, v3, v225
	v_mul_f32_e32 v5, v175, v17
	v_fma_f32 v6, v172, v14, -v6
	v_dual_add_f32 v2, v2, v4 :: v_dual_fmac_f32 v227, v173, v14
	v_fmac_f32_e32 v228, v175, v16
	v_mul_f32_e32 v4, v177, v19
	v_fma_f32 v5, v174, v16, -v5
	s_delay_alu instid0(VALU_DEP_4) | instskip(SKIP_3) | instid1(VALU_DEP_3)
	v_add_f32_e32 v2, v2, v6
	v_add_f32_e32 v3, v3, v226
	v_dual_mul_f32 v6, v179, v21 :: v_dual_fmac_f32 v229, v177, v18
	v_fma_f32 v4, v176, v18, -v4
	v_dual_add_f32 v2, v2, v5 :: v_dual_add_f32 v3, v3, v227
	s_delay_alu instid0(VALU_DEP_3) | instskip(SKIP_1) | instid1(VALU_DEP_3)
	v_fma_f32 v6, v178, v20, -v6
	v_dual_mul_f32 v231, v180, v25 :: v_dual_mul_f32 v232, v182, v27
	v_add_f32_e32 v2, v2, v4
	s_delay_alu instid0(VALU_DEP_4) | instskip(SKIP_1) | instid1(VALU_DEP_4)
	v_add_f32_e32 v3, v3, v228
	v_dual_mul_f32 v5, v181, v25 :: v_dual_fmac_f32 v230, v179, v20
	v_dual_mul_f32 v4, v183, v27 :: v_dual_fmac_f32 v231, v181, v24
	s_delay_alu instid0(VALU_DEP_3) | instskip(NEXT) | instid1(VALU_DEP_3)
	v_dual_add_f32 v2, v2, v6 :: v_dual_add_f32 v3, v3, v229
	v_fma_f32 v5, v180, v24, -v5
	v_dual_mul_f32 v233, v184, v129 :: v_dual_mul_f32 v234, v186, v131
	s_delay_alu instid0(VALU_DEP_3) | instskip(NEXT) | instid1(VALU_DEP_2)
	v_dual_mul_f32 v6, v185, v129 :: v_dual_add_f32 v3, v3, v230
	v_dual_fmac_f32 v232, v183, v26 :: v_dual_fmac_f32 v233, v185, v128
	v_fma_f32 v4, v182, v26, -v4
	s_delay_alu instid0(VALU_DEP_3) | instskip(SKIP_3) | instid1(VALU_DEP_4)
	v_dual_add_f32 v2, v2, v5 :: v_dual_add_f32 v3, v3, v231
	v_mul_f32_e32 v5, v187, v131
	v_fma_f32 v6, v184, v128, -v6
	v_dual_mul_f32 v235, v188, v133 :: v_dual_mul_f32 v236, v190, v135
	v_add_f32_e32 v2, v2, v4
	v_dual_add_f32 v3, v3, v232 :: v_dual_mul_f32 v4, v189, v133
	s_delay_alu instid0(VALU_DEP_3) | instskip(SKIP_1) | instid1(VALU_DEP_3)
	v_dual_fmac_f32 v234, v187, v130 :: v_dual_fmac_f32 v235, v189, v132
	v_fma_f32 v5, v186, v130, -v5
	v_dual_add_f32 v2, v2, v6 :: v_dual_add_f32 v3, v3, v233
	v_mul_f32_e32 v6, v191, v135
	v_fma_f32 v4, v188, v132, -v4
	v_dual_mul_f32 v237, v192, v137 :: v_dual_mul_f32 v238, v194, v139
	s_delay_alu instid0(VALU_DEP_4) | instskip(SKIP_1) | instid1(VALU_DEP_3)
	v_dual_add_f32 v2, v2, v5 :: v_dual_add_f32 v3, v3, v234
	v_dual_mul_f32 v5, v193, v137 :: v_dual_fmac_f32 v236, v191, v134
	v_fmac_f32_e32 v237, v193, v136
	v_fma_f32 v6, v190, v134, -v6
	s_delay_alu instid0(VALU_DEP_4) | instskip(SKIP_2) | instid1(VALU_DEP_2)
	v_dual_add_f32 v2, v2, v4 :: v_dual_add_f32 v3, v3, v235
	v_dual_mul_f32 v239, v196, v141 :: v_dual_mul_f32 v240, v198, v143
	v_dual_mul_f32 v241, v200, v145 :: v_dual_mul_f32 v242, v202, v147
	v_dual_mul_f32 v4, v195, v139 :: v_dual_fmac_f32 v239, v197, v140
	v_fma_f32 v5, v192, v136, -v5
	v_dual_add_f32 v2, v2, v6 :: v_dual_add_f32 v3, v3, v236
	v_mul_f32_e32 v6, v197, v141
	v_dual_fmac_f32 v238, v195, v138 :: v_dual_fmac_f32 v241, v201, v144
	v_fma_f32 v4, v194, v138, -v4
	s_delay_alu instid0(VALU_DEP_4) | instskip(SKIP_3) | instid1(VALU_DEP_3)
	v_add_f32_e32 v3, v3, v237
	v_dual_add_f32 v2, v2, v5 :: v_dual_mul_f32 v5, v199, v143
	v_fma_f32 v6, v196, v140, -v6
	v_dual_mul_f32 v245, v208, v153 :: v_dual_mul_f32 v246, v210, v155
	v_dual_add_f32 v3, v3, v238 :: v_dual_add_f32 v2, v2, v4
	v_mul_f32_e32 v4, v201, v145
	v_fmac_f32_e32 v240, v199, v142
	v_fma_f32 v5, v198, v142, -v5
	s_delay_alu instid0(VALU_DEP_4) | instskip(SKIP_3) | instid1(VALU_DEP_4)
	v_dual_add_f32 v3, v3, v239 :: v_dual_add_f32 v2, v2, v6
	v_dual_mul_f32 v243, v204, v149 :: v_dual_mul_f32 v244, v206, v151
	v_mul_f32_e32 v6, v203, v147
	v_dual_fmac_f32 v242, v203, v146 :: v_dual_fmac_f32 v245, v209, v152
	v_add_f32_e32 v2, v2, v5
	v_mul_f32_e32 v5, v205, v149
	v_add_f32_e32 v3, v3, v240
	v_fma_f32 v4, v200, v144, -v4
	v_fmac_f32_e32 v243, v205, v148
	v_fma_f32 v6, v202, v146, -v6
	v_dual_mul_f32 v247, v212, v157 :: v_dual_mul_f32 v248, v214, v159
	v_add_f32_e32 v3, v3, v241
	v_fma_f32 v5, v204, v148, -v5
	s_delay_alu instid0(VALU_DEP_3) | instskip(NEXT) | instid1(VALU_DEP_4)
	v_dual_fmac_f32 v244, v207, v150 :: v_dual_fmac_f32 v247, v213, v156
	v_fmac_f32_e32 v248, v215, v158
	s_delay_alu instid0(VALU_DEP_4) | instskip(SKIP_2) | instid1(VALU_DEP_3)
	v_dual_add_f32 v3, v3, v242 :: v_dual_add_f32 v2, v2, v4
	v_mul_f32_e32 v4, v207, v151
	v_dual_fmac_f32 v246, v211, v154 :: v_dual_fmac_f32 v249, v221, v216
	v_dual_add_f32 v3, v3, v243 :: v_dual_add_f32 v2, v2, v6
	v_mul_f32_e32 v6, v209, v153
	s_delay_alu instid0(VALU_DEP_4) | instskip(NEXT) | instid1(VALU_DEP_3)
	v_fma_f32 v4, v206, v150, -v4
	v_dual_add_f32 v2, v2, v5 :: v_dual_mul_f32 v5, v211, v155
	s_delay_alu instid0(VALU_DEP_3) | instskip(NEXT) | instid1(VALU_DEP_2)
	v_fma_f32 v6, v208, v152, -v6
	v_add_f32_e32 v2, v2, v4
	s_delay_alu instid0(VALU_DEP_3) | instskip(NEXT) | instid1(VALU_DEP_2)
	v_fma_f32 v5, v210, v154, -v5
	v_add_f32_e32 v2, v2, v6
	v_mul_f32_e32 v6, v215, v159
	s_delay_alu instid0(VALU_DEP_2) | instskip(SKIP_2) | instid1(VALU_DEP_4)
	v_add_f32_e32 v2, v2, v5
	v_mul_f32_e32 v5, v221, v217
	v_add_f32_e32 v3, v3, v244
	v_fma_f32 v6, v214, v158, -v6
	s_delay_alu instid0(VALU_DEP_2) | instskip(NEXT) | instid1(VALU_DEP_1)
	v_add_f32_e32 v3, v3, v245
	v_dual_mul_f32 v4, v213, v157 :: v_dual_add_f32 v3, v3, v246
	s_delay_alu instid0(VALU_DEP_1) | instskip(NEXT) | instid1(VALU_DEP_2)
	v_fma_f32 v4, v212, v156, -v4
	v_add_f32_e32 v3, v3, v247
	s_delay_alu instid0(VALU_DEP_1) | instskip(NEXT) | instid1(VALU_DEP_3)
	v_add_f32_e32 v3, v3, v248
	v_add_f32_e32 v2, v2, v4
	v_fma_f32 v4, v220, v216, -v5
	s_delay_alu instid0(VALU_DEP_2) | instskip(SKIP_1) | instid1(VALU_DEP_1)
	v_dual_add_f32 v3, v3, v249 :: v_dual_add_f32 v2, v2, v6
	s_wait_loadcnt 0x0
	v_dual_sub_f32 v3, v219, v3 :: v_dual_add_f32 v2, v2, v4
	s_delay_alu instid0(VALU_DEP_1)
	v_sub_f32_e32 v2, v218, v2
	scratch_store_b64 off, v[2:3], off offset:160
	v_cmpx_lt_u32_e32 19, v0
	s_cbranch_execz .LBB113_275
; %bb.274:
	scratch_load_b64 v[3:4], off, off offset:152
	v_mov_b32_e32 v2, v1
	scratch_store_b64 off, v[1:2], off offset:152
	s_wait_loadcnt 0x0
	ds_store_b64 v23, v[3:4]
.LBB113_275:
	s_wait_alu 0xfffe
	s_or_b32 exec_lo, exec_lo, s0
	s_wait_storecnt_dscnt 0x0
	s_barrier_signal -1
	s_barrier_wait -1
	global_inv scope:SCOPE_SE
	s_clause 0xf
	scratch_load_b128 v[2:5], off, off offset:160
	scratch_load_b128 v[6:9], off, off offset:176
	;; [unrolled: 1-line block ×15, first 2 shown]
	scratch_load_b64 v[224:225], off, off offset:152
	ds_load_b128 v[164:167], v1 offset:560
	ds_load_b128 v[168:171], v1 offset:576
	;; [unrolled: 1-line block ×15, first 2 shown]
	s_mov_b32 s0, exec_lo
	s_wait_loadcnt_dscnt 0xf0e
	v_dual_mul_f32 v1, v164, v3 :: v_dual_mul_f32 v22, v166, v5
	s_wait_loadcnt_dscnt 0xe0d
	v_dual_mul_f32 v5, v167, v5 :: v_dual_mul_f32 v226, v168, v7
	v_mul_f32_e32 v227, v170, v9
	s_wait_loadcnt_dscnt 0xd0c
	v_dual_fmac_f32 v1, v165, v2 :: v_dual_mul_f32 v228, v172, v11
	s_wait_loadcnt_dscnt 0xc0b
	v_dual_mul_f32 v229, v174, v13 :: v_dual_mul_f32 v230, v176, v15
	v_mul_f32_e32 v231, v178, v17
	v_dual_mul_f32 v3, v165, v3 :: v_dual_fmac_f32 v22, v167, v4
	s_wait_loadcnt_dscnt 0xb0a
	v_dual_mul_f32 v232, v180, v19 :: v_dual_mul_f32 v233, v182, v21
	s_wait_loadcnt_dscnt 0x201
	v_mul_f32_e32 v250, v216, v157
	v_fma_f32 v3, v164, v2, -v3
	s_wait_loadcnt_dscnt 0x100
	v_mul_f32_e32 v253, v222, v163
	v_mul_f32_e32 v2, v169, v7
	v_fma_f32 v4, v166, v4, -v5
	v_dual_mul_f32 v5, v171, v9 :: v_dual_fmac_f32 v228, v173, v10
	v_dual_add_f32 v3, 0, v3 :: v_dual_fmac_f32 v226, v169, v6
	s_delay_alu instid0(VALU_DEP_4) | instskip(NEXT) | instid1(VALU_DEP_3)
	v_fma_f32 v2, v168, v6, -v2
	v_fma_f32 v5, v170, v8, -v5
	s_delay_alu instid0(VALU_DEP_3) | instskip(SKIP_2) | instid1(VALU_DEP_3)
	v_dual_fmac_f32 v230, v177, v14 :: v_dual_add_f32 v3, v3, v4
	v_dual_mul_f32 v234, v184, v25 :: v_dual_mul_f32 v235, v186, v27
	v_dual_fmac_f32 v232, v181, v18 :: v_dual_fmac_f32 v231, v179, v16
	v_add_f32_e32 v2, v3, v2
	v_mul_f32_e32 v3, v175, v13
	v_dual_mul_f32 v236, v188, v129 :: v_dual_mul_f32 v237, v190, v131
	v_mul_f32_e32 v4, v173, v11
	s_delay_alu instid0(VALU_DEP_4) | instskip(SKIP_4) | instid1(VALU_DEP_4)
	v_add_f32_e32 v2, v2, v5
	v_add_f32_e32 v1, 0, v1
	v_fma_f32 v3, v174, v12, -v3
	v_dual_mul_f32 v240, v196, v137 :: v_dual_mul_f32 v241, v198, v139
	v_fma_f32 v4, v172, v10, -v4
	v_dual_add_f32 v1, v1, v22 :: v_dual_mul_f32 v238, v192, v133
	v_mul_f32_e32 v239, v194, v135
	s_delay_alu instid0(VALU_DEP_3) | instskip(NEXT) | instid1(VALU_DEP_3)
	v_dual_fmac_f32 v237, v191, v130 :: v_dual_add_f32 v2, v2, v4
	v_dual_add_f32 v1, v1, v226 :: v_dual_mul_f32 v4, v179, v17
	v_dual_fmac_f32 v227, v171, v8 :: v_dual_mul_f32 v242, v200, v141
	v_mul_f32_e32 v243, v202, v143
	s_delay_alu instid0(VALU_DEP_4) | instskip(NEXT) | instid1(VALU_DEP_4)
	v_add_f32_e32 v2, v2, v3
	v_fma_f32 v4, v178, v16, -v4
	v_mul_f32_e32 v5, v177, v15
	v_add_f32_e32 v1, v1, v227
	v_dual_fmac_f32 v235, v187, v26 :: v_dual_fmac_f32 v238, v193, v132
	v_dual_mul_f32 v246, v208, v149 :: v_dual_mul_f32 v247, v210, v151
	s_delay_alu instid0(VALU_DEP_4) | instskip(SKIP_3) | instid1(VALU_DEP_4)
	v_fma_f32 v5, v176, v14, -v5
	v_fmac_f32_e32 v229, v175, v12
	v_fmac_f32_e32 v234, v185, v24
	v_dual_mul_f32 v244, v204, v145 :: v_dual_mul_f32 v245, v206, v147
	v_add_f32_e32 v2, v2, v5
	v_mul_f32_e32 v5, v183, v21
	v_dual_fmac_f32 v243, v203, v142 :: v_dual_mul_f32 v248, v212, v153
	v_mul_f32_e32 v249, v214, v155
	s_delay_alu instid0(VALU_DEP_4) | instskip(NEXT) | instid1(VALU_DEP_4)
	v_add_f32_e32 v2, v2, v4
	v_fma_f32 v5, v182, v20, -v5
	v_mul_f32_e32 v3, v181, v19
	v_mul_f32_e32 v4, v185, v25
	v_dual_fmac_f32 v236, v189, v128 :: v_dual_mul_f32 v251, v218, v159
	v_mul_f32_e32 v252, v220, v161
	s_delay_alu instid0(VALU_DEP_4) | instskip(SKIP_3) | instid1(VALU_DEP_4)
	v_fma_f32 v3, v180, v18, -v3
	v_add_f32_e32 v1, v1, v228
	v_fma_f32 v4, v184, v24, -v4
	v_dual_fmac_f32 v241, v199, v138 :: v_dual_fmac_f32 v244, v205, v144
	v_add_f32_e32 v2, v2, v3
	v_mul_f32_e32 v3, v187, v27
	v_fmac_f32_e32 v249, v215, v154
	v_dual_fmac_f32 v247, v211, v150 :: v_dual_fmac_f32 v250, v217, v156
	s_delay_alu instid0(VALU_DEP_4) | instskip(SKIP_3) | instid1(VALU_DEP_3)
	v_add_f32_e32 v2, v2, v5
	v_add_f32_e32 v1, v1, v229
	v_fma_f32 v3, v186, v26, -v3
	v_dual_fmac_f32 v253, v223, v162 :: v_dual_fmac_f32 v240, v197, v136
	v_dual_add_f32 v2, v2, v4 :: v_dual_add_f32 v1, v1, v230
	v_mul_f32_e32 v4, v191, v131
	v_fmac_f32_e32 v233, v183, v20
	v_fmac_f32_e32 v242, v201, v140
	s_delay_alu instid0(VALU_DEP_4) | instskip(NEXT) | instid1(VALU_DEP_4)
	v_dual_add_f32 v2, v2, v3 :: v_dual_mul_f32 v3, v193, v133
	v_fma_f32 v4, v190, v130, -v4
	v_mul_f32_e32 v5, v189, v129
	v_fmac_f32_e32 v246, v209, v148
	v_fmac_f32_e32 v248, v213, v152
	v_fma_f32 v3, v192, v132, -v3
	v_fmac_f32_e32 v252, v221, v160
	v_fma_f32 v5, v188, v128, -v5
	s_delay_alu instid0(VALU_DEP_1) | instskip(NEXT) | instid1(VALU_DEP_1)
	v_dual_add_f32 v1, v1, v231 :: v_dual_add_f32 v2, v2, v5
	v_dual_mul_f32 v5, v195, v135 :: v_dual_add_f32 v2, v2, v4
	s_delay_alu instid0(VALU_DEP_2) | instskip(SKIP_1) | instid1(VALU_DEP_3)
	v_add_f32_e32 v1, v1, v232
	v_mul_f32_e32 v4, v197, v137
	v_fma_f32 v5, v194, v134, -v5
	s_delay_alu instid0(VALU_DEP_4) | instskip(SKIP_1) | instid1(VALU_DEP_4)
	v_dual_add_f32 v2, v2, v3 :: v_dual_fmac_f32 v239, v195, v134
	v_mul_f32_e32 v3, v199, v139
	v_fma_f32 v4, v196, v136, -v4
	s_delay_alu instid0(VALU_DEP_3) | instskip(SKIP_1) | instid1(VALU_DEP_4)
	v_add_f32_e32 v2, v2, v5
	v_add_f32_e32 v1, v1, v233
	v_fma_f32 v3, v198, v138, -v3
	s_delay_alu instid0(VALU_DEP_3) | instskip(NEXT) | instid1(VALU_DEP_3)
	v_dual_add_f32 v2, v2, v4 :: v_dual_mul_f32 v5, v201, v141
	v_dual_add_f32 v1, v1, v234 :: v_dual_mul_f32 v4, v203, v143
	s_delay_alu instid0(VALU_DEP_2) | instskip(NEXT) | instid1(VALU_DEP_3)
	v_add_f32_e32 v2, v2, v3
	v_fma_f32 v5, v200, v140, -v5
	s_delay_alu instid0(VALU_DEP_3) | instskip(SKIP_2) | instid1(VALU_DEP_4)
	v_add_f32_e32 v1, v1, v235
	v_mul_f32_e32 v3, v205, v145
	v_fma_f32 v4, v202, v142, -v4
	v_dual_add_f32 v2, v2, v5 :: v_dual_mul_f32 v5, v207, v147
	s_delay_alu instid0(VALU_DEP_3) | instskip(NEXT) | instid1(VALU_DEP_2)
	v_fma_f32 v3, v204, v144, -v3
	v_add_f32_e32 v2, v2, v4
	v_add_f32_e32 v1, v1, v236
	v_mul_f32_e32 v4, v209, v149
	v_fma_f32 v5, v206, v146, -v5
	s_delay_alu instid0(VALU_DEP_4) | instskip(SKIP_1) | instid1(VALU_DEP_4)
	v_dual_add_f32 v2, v2, v3 :: v_dual_fmac_f32 v245, v207, v146
	v_mul_f32_e32 v3, v211, v151
	v_fma_f32 v4, v208, v148, -v4
	s_delay_alu instid0(VALU_DEP_3) | instskip(SKIP_1) | instid1(VALU_DEP_4)
	v_add_f32_e32 v2, v2, v5
	v_add_f32_e32 v1, v1, v237
	v_fma_f32 v3, v210, v150, -v3
	s_delay_alu instid0(VALU_DEP_3) | instskip(NEXT) | instid1(VALU_DEP_3)
	v_dual_add_f32 v2, v2, v4 :: v_dual_mul_f32 v5, v213, v153
	v_dual_add_f32 v1, v1, v238 :: v_dual_mul_f32 v4, v215, v155
	s_delay_alu instid0(VALU_DEP_2) | instskip(NEXT) | instid1(VALU_DEP_3)
	v_add_f32_e32 v2, v2, v3
	v_fma_f32 v5, v212, v152, -v5
	s_delay_alu instid0(VALU_DEP_3) | instskip(SKIP_2) | instid1(VALU_DEP_4)
	v_add_f32_e32 v1, v1, v239
	v_mul_f32_e32 v3, v217, v157
	v_fma_f32 v4, v214, v154, -v4
	v_dual_add_f32 v2, v2, v5 :: v_dual_mul_f32 v5, v219, v159
	s_delay_alu instid0(VALU_DEP_3) | instskip(NEXT) | instid1(VALU_DEP_2)
	v_fma_f32 v3, v216, v156, -v3
	v_add_f32_e32 v2, v2, v4
	v_add_f32_e32 v1, v1, v240
	v_mul_f32_e32 v4, v221, v161
	v_fma_f32 v5, v218, v158, -v5
	s_delay_alu instid0(VALU_DEP_4) | instskip(SKIP_1) | instid1(VALU_DEP_4)
	v_dual_add_f32 v2, v2, v3 :: v_dual_fmac_f32 v251, v219, v158
	v_mul_f32_e32 v3, v223, v163
	v_fma_f32 v4, v220, v160, -v4
	s_delay_alu instid0(VALU_DEP_3) | instskip(SKIP_1) | instid1(VALU_DEP_4)
	v_add_f32_e32 v2, v2, v5
	v_add_f32_e32 v1, v1, v241
	v_fma_f32 v3, v222, v162, -v3
	s_delay_alu instid0(VALU_DEP_2) | instskip(NEXT) | instid1(VALU_DEP_1)
	v_dual_add_f32 v2, v2, v4 :: v_dual_add_f32 v1, v1, v242
	v_add_f32_e32 v2, v2, v3
	s_delay_alu instid0(VALU_DEP_2) | instskip(NEXT) | instid1(VALU_DEP_1)
	v_add_f32_e32 v1, v1, v243
	v_add_f32_e32 v1, v1, v244
	s_delay_alu instid0(VALU_DEP_1) | instskip(NEXT) | instid1(VALU_DEP_1)
	v_add_f32_e32 v1, v1, v245
	v_add_f32_e32 v1, v1, v246
	s_delay_alu instid0(VALU_DEP_1) | instskip(NEXT) | instid1(VALU_DEP_1)
	;; [unrolled: 3-line block ×4, first 2 shown]
	v_add_f32_e32 v1, v1, v251
	v_add_f32_e32 v1, v1, v252
	s_delay_alu instid0(VALU_DEP_1) | instskip(SKIP_1) | instid1(VALU_DEP_1)
	v_add_f32_e32 v3, v1, v253
	s_wait_loadcnt 0x0
	v_dual_sub_f32 v1, v224, v2 :: v_dual_sub_f32 v2, v225, v3
	scratch_store_b64 off, v[1:2], off offset:152
	v_cmpx_lt_u32_e32 18, v0
	s_cbranch_execz .LBB113_277
; %bb.276:
	scratch_load_b64 v[1:2], off, off offset:144
	v_mov_b32_e32 v3, 0
	s_delay_alu instid0(VALU_DEP_1)
	v_mov_b32_e32 v4, v3
	scratch_store_b64 off, v[3:4], off offset:144
	s_wait_loadcnt 0x0
	ds_store_b64 v23, v[1:2]
.LBB113_277:
	s_wait_alu 0xfffe
	s_or_b32 exec_lo, exec_lo, s0
	s_wait_storecnt_dscnt 0x0
	s_barrier_signal -1
	s_barrier_wait -1
	global_inv scope:SCOPE_SE
	s_clause 0x4
	scratch_load_b128 v[5:8], off, off offset:152
	scratch_load_b128 v[1:4], off, off offset:168
	;; [unrolled: 1-line block ×5, first 2 shown]
	v_mov_b32_e32 v21, 0
	ds_load_2addr_b64 v[24:27], v21 offset0:69 offset1:70
	ds_load_2addr_b64 v[128:131], v21 offset0:71 offset1:72
	;; [unrolled: 1-line block ×3, first 2 shown]
	scratch_load_b64 v[136:137], off, off offset:144
	s_mov_b32 s0, exec_lo
	s_wait_loadcnt_dscnt 0x502
	v_mul_f32_e32 v22, v25, v6
	v_dual_mul_f32 v138, v24, v6 :: v_dual_mul_f32 v139, v26, v8
	v_mul_f32_e32 v6, v27, v8
	s_delay_alu instid0(VALU_DEP_3) | instskip(NEXT) | instid1(VALU_DEP_3)
	v_fma_f32 v22, v24, v5, -v22
	v_dual_fmac_f32 v138, v25, v5 :: v_dual_fmac_f32 v139, v27, v7
	s_wait_loadcnt_dscnt 0x401
	v_mul_f32_e32 v25, v128, v2
	v_fma_f32 v24, v26, v7, -v6
	ds_load_2addr_b64 v[5:8], v21 offset0:75 offset1:76
	s_wait_loadcnt_dscnt 0x301
	v_dual_mul_f32 v26, v130, v4 :: v_dual_mul_f32 v27, v132, v10
	v_dual_mul_f32 v4, v131, v4 :: v_dual_fmac_f32 v25, v129, v1
	v_mul_f32_e32 v10, v133, v10
	s_delay_alu instid0(VALU_DEP_3)
	v_dual_mul_f32 v140, v134, v12 :: v_dual_fmac_f32 v27, v133, v9
	v_mul_f32_e32 v12, v135, v12
	v_mul_f32_e32 v2, v129, v2
	v_fmac_f32_e32 v26, v131, v3
	v_fma_f32 v129, v130, v3, -v4
	v_fma_f32 v130, v132, v9, -v10
	v_fmac_f32_e32 v140, v135, v11
	v_fma_f32 v131, v134, v11, -v12
	ds_load_2addr_b64 v[9:12], v21 offset0:77 offset1:78
	s_wait_loadcnt_dscnt 0x201
	v_mul_f32_e32 v133, v7, v16
	v_fma_f32 v128, v128, v1, -v2
	scratch_load_b128 v[1:4], off, off offset:232
	v_mul_f32_e32 v132, v5, v14
	v_mul_f32_e32 v14, v6, v14
	;; [unrolled: 1-line block ×3, first 2 shown]
	s_delay_alu instid0(VALU_DEP_3) | instskip(NEXT) | instid1(VALU_DEP_3)
	v_dual_fmac_f32 v133, v8, v15 :: v_dual_fmac_f32 v132, v6, v13
	v_fma_f32 v13, v5, v13, -v14
	s_delay_alu instid0(VALU_DEP_3)
	v_fma_f32 v14, v7, v15, -v16
	ds_load_2addr_b64 v[5:8], v21 offset0:79 offset1:80
	s_wait_loadcnt_dscnt 0x201
	v_mul_f32_e32 v15, v9, v18
	v_mul_f32_e32 v16, v10, v18
	;; [unrolled: 1-line block ×3, first 2 shown]
	s_delay_alu instid0(VALU_DEP_3) | instskip(NEXT) | instid1(VALU_DEP_3)
	v_dual_mul_f32 v20, v12, v20 :: v_dual_fmac_f32 v15, v10, v17
	v_fma_f32 v16, v9, v17, -v16
	s_delay_alu instid0(VALU_DEP_3) | instskip(NEXT) | instid1(VALU_DEP_3)
	v_fmac_f32_e32 v18, v12, v19
	v_fma_f32 v17, v11, v19, -v20
	scratch_load_b128 v[9:12], off, off offset:248
	s_wait_loadcnt_dscnt 0x100
	v_mul_f32_e32 v19, v5, v2
	v_mul_f32_e32 v2, v6, v2
	v_mul_f32_e32 v20, v7, v4
	s_delay_alu instid0(VALU_DEP_3) | instskip(NEXT) | instid1(VALU_DEP_3)
	v_dual_mul_f32 v4, v8, v4 :: v_dual_fmac_f32 v19, v6, v1
	v_fma_f32 v134, v5, v1, -v2
	s_delay_alu instid0(VALU_DEP_3) | instskip(NEXT) | instid1(VALU_DEP_3)
	v_fmac_f32_e32 v20, v8, v3
	v_fma_f32 v135, v7, v3, -v4
	ds_load_2addr_b64 v[1:4], v21 offset0:81 offset1:82
	ds_load_2addr_b64 v[5:8], v21 offset0:83 offset1:84
	s_wait_loadcnt_dscnt 0x1
	v_mul_f32_e32 v141, v1, v10
	v_mul_f32_e32 v10, v2, v10
	s_delay_alu instid0(VALU_DEP_2) | instskip(NEXT) | instid1(VALU_DEP_2)
	v_dual_mul_f32 v142, v3, v12 :: v_dual_fmac_f32 v141, v2, v9
	v_fma_f32 v143, v1, v9, -v10
	v_mul_f32_e32 v1, v4, v12
	s_delay_alu instid0(VALU_DEP_3) | instskip(NEXT) | instid1(VALU_DEP_2)
	v_fmac_f32_e32 v142, v4, v11
	v_fma_f32 v144, v3, v11, -v1
	s_clause 0x1
	scratch_load_b128 v[1:4], off, off offset:264
	scratch_load_b128 v[9:12], off, off offset:280
	s_wait_loadcnt_dscnt 0x100
	v_mul_f32_e32 v145, v5, v2
	v_dual_mul_f32 v2, v6, v2 :: v_dual_mul_f32 v147, v7, v4
	s_delay_alu instid0(VALU_DEP_2) | instskip(NEXT) | instid1(VALU_DEP_2)
	v_fmac_f32_e32 v145, v6, v1
	v_fma_f32 v146, v5, v1, -v2
	v_mul_f32_e32 v1, v8, v4
	s_delay_alu instid0(VALU_DEP_4) | instskip(NEXT) | instid1(VALU_DEP_2)
	v_fmac_f32_e32 v147, v8, v3
	v_fma_f32 v148, v7, v3, -v1
	ds_load_2addr_b64 v[1:4], v21 offset0:85 offset1:86
	ds_load_2addr_b64 v[5:8], v21 offset0:87 offset1:88
	s_wait_loadcnt_dscnt 0x1
	v_mul_f32_e32 v149, v1, v10
	v_mul_f32_e32 v151, v3, v12
	s_delay_alu instid0(VALU_DEP_2) | instskip(NEXT) | instid1(VALU_DEP_2)
	v_fmac_f32_e32 v149, v2, v9
	v_dual_mul_f32 v2, v2, v10 :: v_dual_fmac_f32 v151, v4, v11
	s_delay_alu instid0(VALU_DEP_1) | instskip(SKIP_1) | instid1(VALU_DEP_1)
	v_fma_f32 v150, v1, v9, -v2
	v_mul_f32_e32 v1, v4, v12
	v_fma_f32 v152, v3, v11, -v1
	s_clause 0x1
	scratch_load_b128 v[1:4], off, off offset:296
	scratch_load_b128 v[9:12], off, off offset:312
	s_wait_loadcnt_dscnt 0x100
	v_mul_f32_e32 v153, v5, v2
	v_dual_mul_f32 v155, v7, v4 :: v_dual_mul_f32 v2, v6, v2
	s_delay_alu instid0(VALU_DEP_2) | instskip(NEXT) | instid1(VALU_DEP_2)
	v_fmac_f32_e32 v153, v6, v1
	v_fmac_f32_e32 v155, v8, v3
	s_delay_alu instid0(VALU_DEP_3) | instskip(SKIP_1) | instid1(VALU_DEP_1)
	v_fma_f32 v154, v5, v1, -v2
	v_dual_mul_f32 v1, v8, v4 :: v_dual_add_f32 v2, 0, v138
	v_fma_f32 v156, v7, v3, -v1
	s_delay_alu instid0(VALU_DEP_2) | instskip(NEXT) | instid1(VALU_DEP_1)
	v_dual_add_f32 v1, 0, v22 :: v_dual_add_f32 v2, v2, v139
	v_dual_add_f32 v1, v1, v24 :: v_dual_add_f32 v2, v2, v25
	s_delay_alu instid0(VALU_DEP_1) | instskip(NEXT) | instid1(VALU_DEP_1)
	v_dual_add_f32 v1, v1, v128 :: v_dual_add_f32 v2, v2, v26
	v_dual_add_f32 v1, v1, v129 :: v_dual_add_f32 v2, v2, v27
	scratch_load_b64 v[128:129], off, off offset:392
	v_add_f32_e32 v1, v1, v130
	s_delay_alu instid0(VALU_DEP_1) | instskip(NEXT) | instid1(VALU_DEP_1)
	v_add_f32_e32 v1, v1, v131
	v_dual_add_f32 v5, v2, v140 :: v_dual_add_f32 v6, v1, v13
	scratch_load_b128 v[1:4], off, off offset:328
	v_dual_add_f32 v13, v5, v132 :: v_dual_add_f32 v14, v6, v14
	ds_load_2addr_b64 v[5:8], v21 offset0:89 offset1:90
	v_dual_add_f32 v13, v13, v133 :: v_dual_add_f32 v14, v14, v16
	s_delay_alu instid0(VALU_DEP_1) | instskip(NEXT) | instid1(VALU_DEP_1)
	v_add_f32_e32 v13, v13, v15
	v_dual_add_f32 v17, v14, v17 :: v_dual_add_f32 v18, v13, v18
	ds_load_2addr_b64 v[13:16], v21 offset0:91 offset1:92
	v_dual_add_f32 v17, v17, v134 :: v_dual_add_f32 v18, v18, v19
	s_wait_loadcnt_dscnt 0x201
	v_mul_f32_e32 v22, v5, v10
	v_mul_f32_e32 v10, v6, v10
	;; [unrolled: 1-line block ×3, first 2 shown]
	v_dual_mul_f32 v12, v8, v12 :: v_dual_add_f32 v17, v17, v135
	s_delay_alu instid0(VALU_DEP_4) | instskip(NEXT) | instid1(VALU_DEP_4)
	v_fmac_f32_e32 v22, v6, v9
	v_fma_f32 v133, v5, v9, -v10
	v_add_f32_e32 v18, v18, v20
	s_delay_alu instid0(VALU_DEP_4)
	v_fma_f32 v134, v7, v11, -v12
	v_add_f32_e32 v17, v17, v143
	v_fmac_f32_e32 v132, v8, v11
	s_clause 0x1
	scratch_load_b128 v[5:8], off, off offset:344
	scratch_load_b128 v[9:12], off, off offset:360
	v_dual_add_f32 v25, v17, v144 :: v_dual_add_f32 v24, v18, v141
	scratch_load_b128 v[17:20], off, off offset:376
	v_add_f32_e32 v25, v25, v146
	s_delay_alu instid0(VALU_DEP_1) | instskip(NEXT) | instid1(VALU_DEP_1)
	v_dual_add_f32 v24, v24, v142 :: v_dual_add_f32 v25, v25, v148
	v_dual_add_f32 v24, v24, v145 :: v_dual_add_f32 v25, v25, v150
	s_wait_loadcnt_dscnt 0x300
	s_delay_alu instid0(VALU_DEP_1) | instskip(SKIP_1) | instid1(VALU_DEP_2)
	v_dual_mul_f32 v135, v13, v2 :: v_dual_add_f32 v24, v24, v147
	v_mul_f32_e32 v2, v14, v2
	v_dual_fmac_f32 v135, v14, v1 :: v_dual_add_f32 v14, v25, v152
	s_delay_alu instid0(VALU_DEP_2) | instskip(NEXT) | instid1(VALU_DEP_2)
	v_fma_f32 v139, v13, v1, -v2
	v_dual_add_f32 v13, v24, v149 :: v_dual_add_f32 v130, v14, v154
	s_delay_alu instid0(VALU_DEP_1) | instskip(SKIP_1) | instid1(VALU_DEP_3)
	v_add_f32_e32 v24, v13, v151
	v_mul_f32_e32 v138, v15, v4
	v_add_f32_e32 v141, v130, v156
	v_mul_f32_e32 v4, v16, v4
	s_delay_alu instid0(VALU_DEP_4) | instskip(NEXT) | instid1(VALU_DEP_4)
	v_add_f32_e32 v131, v24, v153
	v_fmac_f32_e32 v138, v16, v3
	ds_load_2addr_b64 v[24:27], v21 offset0:97 offset1:98
	v_add_f32_e32 v133, v141, v133
	v_fma_f32 v140, v15, v3, -v4
	ds_load_2addr_b64 v[1:4], v21 offset0:93 offset1:94
	ds_load_2addr_b64 v[13:16], v21 offset0:95 offset1:96
	v_dual_add_f32 v142, v131, v155 :: v_dual_add_f32 v133, v133, v134
	ds_load_b64 v[130:131], v21 offset:792
	v_add_f32_e32 v133, v133, v139
	s_delay_alu instid0(VALU_DEP_1)
	v_add_f32_e32 v133, v133, v140
	s_wait_loadcnt_dscnt 0x3
	v_mul_f32_e32 v139, v24, v18
	s_wait_dscnt 0x2
	v_mul_f32_e32 v141, v1, v6
	v_add_f32_e32 v22, v142, v22
	v_mul_f32_e32 v6, v2, v6
	s_wait_dscnt 0x1
	v_mul_f32_e32 v134, v13, v10
	v_fmac_f32_e32 v139, v25, v17
	v_fmac_f32_e32 v141, v2, v5
	v_add_f32_e32 v22, v22, v132
	v_mul_f32_e32 v132, v3, v8
	v_mul_f32_e32 v8, v4, v8
	v_fma_f32 v1, v1, v5, -v6
	v_mul_f32_e32 v5, v16, v12
	s_delay_alu instid0(VALU_DEP_4) | instskip(NEXT) | instid1(VALU_DEP_4)
	v_fmac_f32_e32 v132, v4, v7
	v_fma_f32 v2, v3, v7, -v8
	v_mul_f32_e32 v3, v14, v10
	v_dual_add_f32 v1, v133, v1 :: v_dual_add_f32 v22, v22, v135
	v_fma_f32 v5, v15, v11, -v5
	v_mul_f32_e32 v135, v15, v12
	s_delay_alu instid0(VALU_DEP_4) | instskip(NEXT) | instid1(VALU_DEP_4)
	v_fma_f32 v3, v13, v9, -v3
	v_add_f32_e32 v1, v1, v2
	v_add_f32_e32 v22, v22, v138
	s_wait_dscnt 0x0
	v_mul_f32_e32 v138, v130, v129
	v_dual_mul_f32 v140, v26, v20 :: v_dual_fmac_f32 v135, v16, v11
	v_add_f32_e32 v1, v1, v3
	v_mul_f32_e32 v3, v27, v20
	s_delay_alu instid0(VALU_DEP_4) | instskip(NEXT) | instid1(VALU_DEP_3)
	v_fmac_f32_e32 v138, v131, v128
	v_dual_fmac_f32 v140, v27, v19 :: v_dual_add_f32 v1, v1, v5
	s_delay_alu instid0(VALU_DEP_3) | instskip(SKIP_1) | instid1(VALU_DEP_1)
	v_fma_f32 v3, v26, v19, -v3
	v_add_f32_e32 v4, v22, v141
	v_dual_mul_f32 v5, v131, v129 :: v_dual_add_f32 v2, v4, v132
	v_mul_f32_e32 v4, v25, v18
	s_delay_alu instid0(VALU_DEP_1) | instskip(NEXT) | instid1(VALU_DEP_1)
	v_fma_f32 v4, v24, v17, -v4
	v_dual_fmac_f32 v134, v14, v9 :: v_dual_add_f32 v1, v1, v4
	s_delay_alu instid0(VALU_DEP_4) | instskip(NEXT) | instid1(VALU_DEP_2)
	v_fma_f32 v4, v130, v128, -v5
	v_dual_add_f32 v1, v1, v3 :: v_dual_add_f32 v2, v2, v134
	s_delay_alu instid0(VALU_DEP_1) | instskip(NEXT) | instid1(VALU_DEP_1)
	v_dual_add_f32 v1, v1, v4 :: v_dual_add_f32 v2, v2, v135
	v_dual_sub_f32 v1, v136, v1 :: v_dual_add_f32 v2, v2, v139
	s_delay_alu instid0(VALU_DEP_1) | instskip(NEXT) | instid1(VALU_DEP_1)
	v_add_f32_e32 v2, v2, v140
	v_add_f32_e32 v2, v2, v138
	s_delay_alu instid0(VALU_DEP_1)
	v_sub_f32_e32 v2, v137, v2
	scratch_store_b64 off, v[1:2], off offset:144
	v_cmpx_lt_u32_e32 17, v0
	s_cbranch_execz .LBB113_279
; %bb.278:
	scratch_load_b64 v[1:2], off, off offset:136
	v_mov_b32_e32 v22, v21
	scratch_store_b64 off, v[21:22], off offset:136
	s_wait_loadcnt 0x0
	ds_store_b64 v23, v[1:2]
.LBB113_279:
	s_wait_alu 0xfffe
	s_or_b32 exec_lo, exec_lo, s0
	s_wait_storecnt_dscnt 0x0
	s_barrier_signal -1
	s_barrier_wait -1
	global_inv scope:SCOPE_SE
	s_clause 0x4
	scratch_load_b128 v[5:8], off, off offset:144
	scratch_load_b128 v[1:4], off, off offset:160
	;; [unrolled: 1-line block ×5, first 2 shown]
	ds_load_b128 v[24:27], v21 offset:544
	ds_load_b128 v[128:131], v21 offset:560
	;; [unrolled: 1-line block ×3, first 2 shown]
	scratch_load_b64 v[136:137], off, off offset:136
	s_mov_b32 s0, exec_lo
	s_wait_loadcnt_dscnt 0x502
	v_dual_mul_f32 v22, v25, v6 :: v_dual_mul_f32 v139, v26, v8
	v_mul_f32_e32 v138, v24, v6
	v_mul_f32_e32 v6, v27, v8
	s_wait_loadcnt_dscnt 0x300
	v_mul_f32_e32 v140, v134, v12
	v_fma_f32 v22, v24, v5, -v22
	v_dual_fmac_f32 v139, v27, v7 :: v_dual_fmac_f32 v138, v25, v5
	v_mul_f32_e32 v27, v132, v10
	v_mul_f32_e32 v25, v128, v2
	v_fma_f32 v24, v26, v7, -v6
	ds_load_b128 v[5:8], v21 offset:592
	v_mul_f32_e32 v26, v130, v4
	v_dual_mul_f32 v4, v131, v4 :: v_dual_fmac_f32 v27, v133, v9
	v_mul_f32_e32 v10, v133, v10
	v_mul_f32_e32 v12, v135, v12
	;; [unrolled: 1-line block ×3, first 2 shown]
	v_dual_fmac_f32 v25, v129, v1 :: v_dual_fmac_f32 v26, v131, v3
	v_fma_f32 v129, v130, v3, -v4
	v_fma_f32 v130, v132, v9, -v10
	v_fmac_f32_e32 v140, v135, v11
	v_fma_f32 v131, v134, v11, -v12
	ds_load_b128 v[9:12], v21 offset:608
	s_wait_loadcnt_dscnt 0x201
	v_mul_f32_e32 v133, v7, v16
	v_fma_f32 v128, v128, v1, -v2
	scratch_load_b128 v[1:4], off, off offset:224
	v_mul_f32_e32 v132, v5, v14
	v_mul_f32_e32 v14, v6, v14
	;; [unrolled: 1-line block ×3, first 2 shown]
	s_delay_alu instid0(VALU_DEP_3) | instskip(NEXT) | instid1(VALU_DEP_3)
	v_dual_fmac_f32 v133, v8, v15 :: v_dual_fmac_f32 v132, v6, v13
	v_fma_f32 v13, v5, v13, -v14
	s_delay_alu instid0(VALU_DEP_3)
	v_fma_f32 v14, v7, v15, -v16
	ds_load_b128 v[5:8], v21 offset:624
	s_wait_loadcnt_dscnt 0x201
	v_mul_f32_e32 v15, v9, v18
	v_mul_f32_e32 v16, v10, v18
	;; [unrolled: 1-line block ×3, first 2 shown]
	s_delay_alu instid0(VALU_DEP_3) | instskip(NEXT) | instid1(VALU_DEP_3)
	v_dual_mul_f32 v20, v12, v20 :: v_dual_fmac_f32 v15, v10, v17
	v_fma_f32 v16, v9, v17, -v16
	s_delay_alu instid0(VALU_DEP_3) | instskip(NEXT) | instid1(VALU_DEP_3)
	v_fmac_f32_e32 v18, v12, v19
	v_fma_f32 v17, v11, v19, -v20
	scratch_load_b128 v[9:12], off, off offset:240
	s_wait_loadcnt_dscnt 0x100
	v_mul_f32_e32 v19, v5, v2
	v_mul_f32_e32 v2, v6, v2
	;; [unrolled: 1-line block ×3, first 2 shown]
	s_delay_alu instid0(VALU_DEP_3) | instskip(NEXT) | instid1(VALU_DEP_3)
	v_dual_mul_f32 v4, v8, v4 :: v_dual_fmac_f32 v19, v6, v1
	v_fma_f32 v134, v5, v1, -v2
	s_delay_alu instid0(VALU_DEP_3) | instskip(NEXT) | instid1(VALU_DEP_3)
	v_fmac_f32_e32 v20, v8, v3
	v_fma_f32 v135, v7, v3, -v4
	ds_load_b128 v[1:4], v21 offset:640
	ds_load_b128 v[5:8], v21 offset:656
	s_wait_loadcnt_dscnt 0x1
	v_mul_f32_e32 v141, v1, v10
	v_mul_f32_e32 v10, v2, v10
	s_delay_alu instid0(VALU_DEP_2) | instskip(NEXT) | instid1(VALU_DEP_2)
	v_dual_mul_f32 v142, v3, v12 :: v_dual_fmac_f32 v141, v2, v9
	v_fma_f32 v143, v1, v9, -v10
	v_mul_f32_e32 v1, v4, v12
	s_delay_alu instid0(VALU_DEP_3) | instskip(NEXT) | instid1(VALU_DEP_2)
	v_fmac_f32_e32 v142, v4, v11
	v_fma_f32 v144, v3, v11, -v1
	s_clause 0x1
	scratch_load_b128 v[1:4], off, off offset:256
	scratch_load_b128 v[9:12], off, off offset:272
	s_wait_loadcnt_dscnt 0x100
	v_mul_f32_e32 v145, v5, v2
	v_dual_mul_f32 v2, v6, v2 :: v_dual_mul_f32 v147, v7, v4
	s_delay_alu instid0(VALU_DEP_2) | instskip(NEXT) | instid1(VALU_DEP_2)
	v_fmac_f32_e32 v145, v6, v1
	v_fma_f32 v146, v5, v1, -v2
	v_mul_f32_e32 v1, v8, v4
	s_delay_alu instid0(VALU_DEP_4) | instskip(NEXT) | instid1(VALU_DEP_2)
	v_fmac_f32_e32 v147, v8, v3
	v_fma_f32 v148, v7, v3, -v1
	ds_load_b128 v[1:4], v21 offset:672
	ds_load_b128 v[5:8], v21 offset:688
	s_wait_loadcnt_dscnt 0x1
	v_mul_f32_e32 v149, v1, v10
	v_mul_f32_e32 v151, v3, v12
	s_delay_alu instid0(VALU_DEP_2) | instskip(NEXT) | instid1(VALU_DEP_2)
	v_fmac_f32_e32 v149, v2, v9
	v_dual_mul_f32 v2, v2, v10 :: v_dual_fmac_f32 v151, v4, v11
	s_delay_alu instid0(VALU_DEP_1) | instskip(SKIP_1) | instid1(VALU_DEP_1)
	v_fma_f32 v150, v1, v9, -v2
	v_mul_f32_e32 v1, v4, v12
	v_fma_f32 v152, v3, v11, -v1
	s_clause 0x1
	scratch_load_b128 v[1:4], off, off offset:288
	scratch_load_b128 v[9:12], off, off offset:304
	s_wait_loadcnt_dscnt 0x100
	v_mul_f32_e32 v153, v5, v2
	v_dual_mul_f32 v2, v6, v2 :: v_dual_mul_f32 v155, v7, v4
	s_delay_alu instid0(VALU_DEP_2) | instskip(NEXT) | instid1(VALU_DEP_2)
	v_fmac_f32_e32 v153, v6, v1
	v_fma_f32 v154, v5, v1, -v2
	v_mul_f32_e32 v1, v8, v4
	s_delay_alu instid0(VALU_DEP_4) | instskip(NEXT) | instid1(VALU_DEP_2)
	v_fmac_f32_e32 v155, v8, v3
	v_fma_f32 v156, v7, v3, -v1
	ds_load_b128 v[1:4], v21 offset:704
	ds_load_b128 v[5:8], v21 offset:720
	s_wait_loadcnt_dscnt 0x1
	v_mul_f32_e32 v157, v1, v10
	v_mul_f32_e32 v159, v3, v12
	s_delay_alu instid0(VALU_DEP_2) | instskip(NEXT) | instid1(VALU_DEP_2)
	v_fmac_f32_e32 v157, v2, v9
	v_dual_mul_f32 v2, v2, v10 :: v_dual_fmac_f32 v159, v4, v11
	s_delay_alu instid0(VALU_DEP_1) | instskip(SKIP_1) | instid1(VALU_DEP_1)
	v_fma_f32 v158, v1, v9, -v2
	v_mul_f32_e32 v1, v4, v12
	v_fma_f32 v160, v3, v11, -v1
	s_clause 0x1
	scratch_load_b128 v[1:4], off, off offset:320
	scratch_load_b128 v[9:12], off, off offset:336
	s_wait_loadcnt_dscnt 0x100
	v_mul_f32_e32 v161, v5, v2
	v_mul_f32_e32 v2, v6, v2
	s_delay_alu instid0(VALU_DEP_1) | instskip(SKIP_1) | instid1(VALU_DEP_1)
	v_fma_f32 v162, v5, v1, -v2
	v_add_f32_e32 v2, 0, v138
	v_add_f32_e32 v2, v2, v139
	s_delay_alu instid0(VALU_DEP_1) | instskip(NEXT) | instid1(VALU_DEP_1)
	v_dual_add_f32 v2, v2, v25 :: v_dual_mul_f32 v163, v7, v4
	v_add_f32_e32 v2, v2, v26
	s_delay_alu instid0(VALU_DEP_1) | instskip(NEXT) | instid1(VALU_DEP_1)
	v_add_f32_e32 v2, v2, v27
	v_dual_fmac_f32 v163, v8, v3 :: v_dual_add_f32 v2, v2, v140
	s_delay_alu instid0(VALU_DEP_1) | instskip(NEXT) | instid1(VALU_DEP_1)
	v_add_f32_e32 v2, v2, v132
	v_add_f32_e32 v2, v2, v133
	s_delay_alu instid0(VALU_DEP_1) | instskip(NEXT) | instid1(VALU_DEP_1)
	v_add_f32_e32 v5, v2, v15
	v_add_f32_e32 v5, v5, v18
	s_delay_alu instid0(VALU_DEP_1) | instskip(SKIP_2) | instid1(VALU_DEP_1)
	v_add_f32_e32 v5, v5, v19
	v_fmac_f32_e32 v161, v6, v1
	v_mul_f32_e32 v1, v8, v4
	v_fma_f32 v164, v7, v3, -v1
	v_add_f32_e32 v1, 0, v22
	s_delay_alu instid0(VALU_DEP_1) | instskip(NEXT) | instid1(VALU_DEP_1)
	v_add_f32_e32 v1, v1, v24
	v_add_f32_e32 v1, v1, v128
	s_delay_alu instid0(VALU_DEP_1) | instskip(NEXT) | instid1(VALU_DEP_1)
	v_add_f32_e32 v1, v1, v129
	v_add_f32_e32 v1, v1, v130
	s_delay_alu instid0(VALU_DEP_1) | instskip(NEXT) | instid1(VALU_DEP_1)
	v_add_f32_e32 v1, v1, v131
	v_add_f32_e32 v1, v1, v13
	s_delay_alu instid0(VALU_DEP_1) | instskip(NEXT) | instid1(VALU_DEP_1)
	v_add_f32_e32 v1, v1, v14
	v_add_f32_e32 v1, v1, v16
	s_delay_alu instid0(VALU_DEP_1) | instskip(SKIP_2) | instid1(VALU_DEP_1)
	v_add_f32_e32 v6, v1, v17
	ds_load_b128 v[1:4], v21 offset:736
	v_add_f32_e32 v6, v6, v134
	v_add_f32_e32 v13, v6, v135
	s_delay_alu instid0(VALU_DEP_1) | instskip(NEXT) | instid1(VALU_DEP_1)
	v_add_f32_e32 v13, v13, v143
	v_add_f32_e32 v13, v13, v144
	s_delay_alu instid0(VALU_DEP_1) | instskip(NEXT) | instid1(VALU_DEP_1)
	v_add_f32_e32 v13, v13, v146
	v_add_f32_e32 v18, v13, v148
	s_delay_alu instid0(VALU_DEP_1)
	v_add_f32_e32 v18, v18, v150
	v_add_f32_e32 v14, v5, v20
	ds_load_b128 v[5:8], v21 offset:752
	s_wait_loadcnt_dscnt 0x1
	v_mul_f32_e32 v22, v1, v10
	v_mul_f32_e32 v128, v3, v12
	;; [unrolled: 1-line block ×4, first 2 shown]
	v_add_f32_e32 v14, v14, v141
	v_fmac_f32_e32 v22, v2, v9
	v_fmac_f32_e32 v128, v4, v11
	v_fma_f32 v129, v1, v9, -v10
	v_fma_f32 v130, v3, v11, -v12
	s_clause 0x1
	scratch_load_b128 v[1:4], off, off offset:352
	scratch_load_b128 v[9:12], off, off offset:368
	v_add_f32_e32 v14, v14, v142
	v_add_f32_e32 v18, v18, v152
	s_delay_alu instid0(VALU_DEP_2) | instskip(SKIP_2) | instid1(VALU_DEP_1)
	v_add_f32_e32 v17, v14, v145
	scratch_load_b128 v[13:16], off, off offset:384
	v_dual_add_f32 v24, v18, v154 :: v_dual_add_f32 v17, v17, v147
	v_add_f32_e32 v131, v24, v156
	s_delay_alu instid0(VALU_DEP_2) | instskip(NEXT) | instid1(VALU_DEP_1)
	v_add_f32_e32 v17, v17, v149
	v_add_f32_e32 v17, v17, v151
	s_delay_alu instid0(VALU_DEP_1)
	v_add_f32_e32 v25, v17, v153
	ds_load_b128 v[17:20], v21 offset:768
	v_add_f32_e32 v132, v25, v155
	ds_load_b128 v[24:27], v21 offset:784
	v_add_f32_e32 v21, v131, v158
	s_wait_loadcnt_dscnt 0x202
	v_dual_add_f32 v131, v132, v157 :: v_dual_mul_f32 v132, v5, v2
	s_wait_loadcnt_dscnt 0x101
	v_mul_f32_e32 v134, v17, v10
	v_dual_add_f32 v21, v21, v160 :: v_dual_mul_f32 v2, v6, v2
	s_delay_alu instid0(VALU_DEP_3) | instskip(NEXT) | instid1(VALU_DEP_2)
	v_dual_fmac_f32 v132, v6, v1 :: v_dual_add_f32 v131, v131, v159
	v_dual_fmac_f32 v134, v18, v9 :: v_dual_add_f32 v21, v21, v162
	s_wait_loadcnt_dscnt 0x0
	v_dual_mul_f32 v138, v24, v14 :: v_dual_mul_f32 v133, v7, v4
	s_delay_alu instid0(VALU_DEP_3) | instskip(SKIP_1) | instid1(VALU_DEP_3)
	v_dual_add_f32 v131, v131, v161 :: v_dual_mul_f32 v4, v8, v4
	v_fma_f32 v2, v5, v1, -v2
	v_dual_fmac_f32 v138, v25, v13 :: v_dual_fmac_f32 v133, v8, v3
	s_delay_alu instid0(VALU_DEP_3) | instskip(NEXT) | instid1(VALU_DEP_4)
	v_add_f32_e32 v131, v131, v163
	v_fma_f32 v3, v7, v3, -v4
	v_mul_f32_e32 v4, v20, v12
	v_dual_add_f32 v21, v21, v164 :: v_dual_mul_f32 v6, v18, v10
	s_delay_alu instid0(VALU_DEP_4) | instskip(NEXT) | instid1(VALU_DEP_3)
	v_add_f32_e32 v22, v131, v22
	v_fma_f32 v4, v19, v11, -v4
	s_delay_alu instid0(VALU_DEP_3) | instskip(SKIP_1) | instid1(VALU_DEP_4)
	v_add_f32_e32 v21, v21, v129
	v_mul_f32_e32 v129, v26, v16
	v_add_f32_e32 v5, v22, v128
	s_delay_alu instid0(VALU_DEP_2) | instskip(NEXT) | instid1(VALU_DEP_4)
	v_fmac_f32_e32 v129, v27, v15
	v_add_f32_e32 v1, v21, v130
	s_delay_alu instid0(VALU_DEP_1) | instskip(NEXT) | instid1(VALU_DEP_4)
	v_add_f32_e32 v1, v1, v2
	v_add_f32_e32 v2, v5, v132
	v_mul_f32_e32 v135, v19, v12
	v_fma_f32 v5, v17, v9, -v6
	s_delay_alu instid0(VALU_DEP_3) | instskip(SKIP_1) | instid1(VALU_DEP_4)
	v_dual_add_f32 v1, v1, v3 :: v_dual_add_f32 v2, v2, v133
	v_mul_f32_e32 v3, v25, v14
	v_fmac_f32_e32 v135, v20, v11
	s_delay_alu instid0(VALU_DEP_3) | instskip(SKIP_1) | instid1(VALU_DEP_4)
	v_dual_add_f32 v1, v1, v5 :: v_dual_add_f32 v2, v2, v134
	v_mul_f32_e32 v5, v27, v16
	v_fma_f32 v3, v24, v13, -v3
	s_delay_alu instid0(VALU_DEP_3) | instskip(NEXT) | instid1(VALU_DEP_3)
	v_dual_add_f32 v1, v1, v4 :: v_dual_add_f32 v2, v2, v135
	v_fma_f32 v4, v26, v15, -v5
	s_delay_alu instid0(VALU_DEP_2) | instskip(NEXT) | instid1(VALU_DEP_1)
	v_dual_add_f32 v1, v1, v3 :: v_dual_add_f32 v2, v2, v138
	v_dual_add_f32 v1, v1, v4 :: v_dual_add_f32 v2, v2, v129
	s_delay_alu instid0(VALU_DEP_1)
	v_dual_sub_f32 v1, v136, v1 :: v_dual_sub_f32 v2, v137, v2
	scratch_store_b64 off, v[1:2], off offset:136
	v_cmpx_lt_u32_e32 16, v0
	s_cbranch_execz .LBB113_281
; %bb.280:
	scratch_load_b64 v[1:2], off, off offset:128
	v_mov_b32_e32 v3, 0
	s_delay_alu instid0(VALU_DEP_1)
	v_mov_b32_e32 v4, v3
	scratch_store_b64 off, v[3:4], off offset:128
	s_wait_loadcnt 0x0
	ds_store_b64 v23, v[1:2]
.LBB113_281:
	s_wait_alu 0xfffe
	s_or_b32 exec_lo, exec_lo, s0
	s_wait_storecnt_dscnt 0x0
	s_barrier_signal -1
	s_barrier_wait -1
	global_inv scope:SCOPE_SE
	s_clause 0x4
	scratch_load_b128 v[5:8], off, off offset:136
	scratch_load_b128 v[1:4], off, off offset:152
	scratch_load_b128 v[9:12], off, off offset:168
	scratch_load_b128 v[13:16], off, off offset:184
	scratch_load_b128 v[17:20], off, off offset:200
	v_mov_b32_e32 v21, 0
	ds_load_2addr_b64 v[24:27], v21 offset0:67 offset1:68
	ds_load_2addr_b64 v[128:131], v21 offset0:69 offset1:70
	;; [unrolled: 1-line block ×3, first 2 shown]
	scratch_load_b64 v[136:137], off, off offset:128
	s_mov_b32 s0, exec_lo
	s_wait_loadcnt_dscnt 0x502
	v_mul_f32_e32 v22, v25, v6
	v_dual_mul_f32 v138, v24, v6 :: v_dual_mul_f32 v139, v26, v8
	v_mul_f32_e32 v6, v27, v8
	s_delay_alu instid0(VALU_DEP_3) | instskip(NEXT) | instid1(VALU_DEP_3)
	v_fma_f32 v22, v24, v5, -v22
	v_dual_fmac_f32 v138, v25, v5 :: v_dual_fmac_f32 v139, v27, v7
	s_wait_loadcnt_dscnt 0x401
	v_mul_f32_e32 v25, v128, v2
	v_fma_f32 v24, v26, v7, -v6
	ds_load_2addr_b64 v[5:8], v21 offset0:73 offset1:74
	s_wait_loadcnt_dscnt 0x301
	v_dual_mul_f32 v26, v130, v4 :: v_dual_mul_f32 v27, v132, v10
	v_dual_mul_f32 v4, v131, v4 :: v_dual_fmac_f32 v25, v129, v1
	v_mul_f32_e32 v10, v133, v10
	s_delay_alu instid0(VALU_DEP_3)
	v_dual_mul_f32 v140, v134, v12 :: v_dual_fmac_f32 v27, v133, v9
	v_mul_f32_e32 v12, v135, v12
	v_mul_f32_e32 v2, v129, v2
	v_fmac_f32_e32 v26, v131, v3
	v_fma_f32 v129, v130, v3, -v4
	v_fma_f32 v130, v132, v9, -v10
	v_fmac_f32_e32 v140, v135, v11
	v_fma_f32 v131, v134, v11, -v12
	ds_load_2addr_b64 v[9:12], v21 offset0:75 offset1:76
	s_wait_loadcnt_dscnt 0x201
	v_mul_f32_e32 v133, v7, v16
	v_fma_f32 v128, v128, v1, -v2
	scratch_load_b128 v[1:4], off, off offset:216
	v_mul_f32_e32 v132, v5, v14
	v_mul_f32_e32 v14, v6, v14
	;; [unrolled: 1-line block ×3, first 2 shown]
	s_delay_alu instid0(VALU_DEP_3) | instskip(NEXT) | instid1(VALU_DEP_3)
	v_dual_fmac_f32 v133, v8, v15 :: v_dual_fmac_f32 v132, v6, v13
	v_fma_f32 v13, v5, v13, -v14
	s_delay_alu instid0(VALU_DEP_3)
	v_fma_f32 v14, v7, v15, -v16
	ds_load_2addr_b64 v[5:8], v21 offset0:77 offset1:78
	s_wait_loadcnt_dscnt 0x201
	v_mul_f32_e32 v15, v9, v18
	v_mul_f32_e32 v16, v10, v18
	;; [unrolled: 1-line block ×3, first 2 shown]
	s_delay_alu instid0(VALU_DEP_3) | instskip(NEXT) | instid1(VALU_DEP_3)
	v_dual_mul_f32 v20, v12, v20 :: v_dual_fmac_f32 v15, v10, v17
	v_fma_f32 v16, v9, v17, -v16
	s_delay_alu instid0(VALU_DEP_3) | instskip(NEXT) | instid1(VALU_DEP_3)
	v_fmac_f32_e32 v18, v12, v19
	v_fma_f32 v17, v11, v19, -v20
	scratch_load_b128 v[9:12], off, off offset:232
	s_wait_loadcnt_dscnt 0x100
	v_mul_f32_e32 v19, v5, v2
	v_mul_f32_e32 v2, v6, v2
	;; [unrolled: 1-line block ×3, first 2 shown]
	s_delay_alu instid0(VALU_DEP_3) | instskip(NEXT) | instid1(VALU_DEP_3)
	v_dual_mul_f32 v4, v8, v4 :: v_dual_fmac_f32 v19, v6, v1
	v_fma_f32 v134, v5, v1, -v2
	s_delay_alu instid0(VALU_DEP_3) | instskip(NEXT) | instid1(VALU_DEP_3)
	v_fmac_f32_e32 v20, v8, v3
	v_fma_f32 v135, v7, v3, -v4
	ds_load_2addr_b64 v[1:4], v21 offset0:79 offset1:80
	ds_load_2addr_b64 v[5:8], v21 offset0:81 offset1:82
	s_wait_loadcnt_dscnt 0x1
	v_mul_f32_e32 v141, v1, v10
	v_mul_f32_e32 v10, v2, v10
	s_delay_alu instid0(VALU_DEP_2) | instskip(NEXT) | instid1(VALU_DEP_2)
	v_dual_mul_f32 v142, v3, v12 :: v_dual_fmac_f32 v141, v2, v9
	v_fma_f32 v143, v1, v9, -v10
	v_mul_f32_e32 v1, v4, v12
	s_delay_alu instid0(VALU_DEP_3) | instskip(NEXT) | instid1(VALU_DEP_2)
	v_fmac_f32_e32 v142, v4, v11
	v_fma_f32 v144, v3, v11, -v1
	s_clause 0x1
	scratch_load_b128 v[1:4], off, off offset:248
	scratch_load_b128 v[9:12], off, off offset:264
	s_wait_loadcnt_dscnt 0x100
	v_mul_f32_e32 v145, v5, v2
	v_dual_mul_f32 v2, v6, v2 :: v_dual_mul_f32 v147, v7, v4
	s_delay_alu instid0(VALU_DEP_2) | instskip(NEXT) | instid1(VALU_DEP_2)
	v_fmac_f32_e32 v145, v6, v1
	v_fma_f32 v146, v5, v1, -v2
	v_mul_f32_e32 v1, v8, v4
	s_delay_alu instid0(VALU_DEP_4) | instskip(NEXT) | instid1(VALU_DEP_2)
	v_fmac_f32_e32 v147, v8, v3
	v_fma_f32 v148, v7, v3, -v1
	ds_load_2addr_b64 v[1:4], v21 offset0:83 offset1:84
	ds_load_2addr_b64 v[5:8], v21 offset0:85 offset1:86
	s_wait_loadcnt_dscnt 0x1
	v_mul_f32_e32 v149, v1, v10
	v_mul_f32_e32 v151, v3, v12
	s_delay_alu instid0(VALU_DEP_2) | instskip(NEXT) | instid1(VALU_DEP_2)
	v_fmac_f32_e32 v149, v2, v9
	v_dual_mul_f32 v2, v2, v10 :: v_dual_fmac_f32 v151, v4, v11
	s_delay_alu instid0(VALU_DEP_1) | instskip(SKIP_1) | instid1(VALU_DEP_1)
	v_fma_f32 v150, v1, v9, -v2
	v_mul_f32_e32 v1, v4, v12
	v_fma_f32 v152, v3, v11, -v1
	s_clause 0x1
	scratch_load_b128 v[1:4], off, off offset:280
	scratch_load_b128 v[9:12], off, off offset:296
	s_wait_loadcnt_dscnt 0x100
	v_mul_f32_e32 v153, v5, v2
	v_dual_mul_f32 v155, v7, v4 :: v_dual_mul_f32 v2, v6, v2
	s_delay_alu instid0(VALU_DEP_2) | instskip(NEXT) | instid1(VALU_DEP_2)
	v_fmac_f32_e32 v153, v6, v1
	v_fmac_f32_e32 v155, v8, v3
	s_delay_alu instid0(VALU_DEP_3) | instskip(SKIP_1) | instid1(VALU_DEP_1)
	v_fma_f32 v154, v5, v1, -v2
	v_mul_f32_e32 v1, v8, v4
	v_fma_f32 v156, v7, v3, -v1
	ds_load_2addr_b64 v[1:4], v21 offset0:87 offset1:88
	ds_load_2addr_b64 v[5:8], v21 offset0:89 offset1:90
	s_wait_loadcnt_dscnt 0x1
	v_mul_f32_e32 v157, v1, v10
	v_mul_f32_e32 v159, v3, v12
	s_delay_alu instid0(VALU_DEP_2) | instskip(NEXT) | instid1(VALU_DEP_2)
	v_fmac_f32_e32 v157, v2, v9
	v_dual_mul_f32 v2, v2, v10 :: v_dual_fmac_f32 v159, v4, v11
	s_delay_alu instid0(VALU_DEP_1) | instskip(SKIP_1) | instid1(VALU_DEP_1)
	v_fma_f32 v158, v1, v9, -v2
	v_mul_f32_e32 v1, v4, v12
	v_fma_f32 v160, v3, v11, -v1
	s_clause 0x1
	scratch_load_b128 v[1:4], off, off offset:312
	scratch_load_b128 v[9:12], off, off offset:328
	s_wait_loadcnt_dscnt 0x100
	v_mul_f32_e32 v161, v5, v2
	v_mul_f32_e32 v2, v6, v2
	s_delay_alu instid0(VALU_DEP_1) | instskip(SKIP_1) | instid1(VALU_DEP_1)
	v_fma_f32 v162, v5, v1, -v2
	v_add_f32_e32 v2, 0, v138
	v_add_f32_e32 v2, v2, v139
	s_delay_alu instid0(VALU_DEP_1) | instskip(NEXT) | instid1(VALU_DEP_1)
	v_add_f32_e32 v2, v2, v25
	v_add_f32_e32 v2, v2, v26
	s_delay_alu instid0(VALU_DEP_1) | instskip(NEXT) | instid1(VALU_DEP_1)
	;; [unrolled: 3-line block ×3, first 2 shown]
	v_add_f32_e32 v2, v2, v132
	v_dual_mul_f32 v163, v7, v4 :: v_dual_add_f32 v2, v2, v133
	s_delay_alu instid0(VALU_DEP_1) | instskip(NEXT) | instid1(VALU_DEP_1)
	v_add_f32_e32 v5, v2, v15
	v_add_f32_e32 v5, v5, v18
	s_delay_alu instid0(VALU_DEP_1) | instskip(SKIP_2) | instid1(VALU_DEP_1)
	v_add_f32_e32 v5, v5, v19
	v_fmac_f32_e32 v161, v6, v1
	v_mul_f32_e32 v1, v8, v4
	v_fma_f32 v164, v7, v3, -v1
	v_add_f32_e32 v1, 0, v22
	s_delay_alu instid0(VALU_DEP_1) | instskip(NEXT) | instid1(VALU_DEP_1)
	v_add_f32_e32 v1, v1, v24
	v_add_f32_e32 v1, v1, v128
	s_delay_alu instid0(VALU_DEP_1) | instskip(SKIP_2) | instid1(VALU_DEP_1)
	v_add_f32_e32 v1, v1, v129
	scratch_load_b64 v[128:129], off, off offset:392
	v_add_f32_e32 v1, v1, v130
	v_add_f32_e32 v1, v1, v131
	s_delay_alu instid0(VALU_DEP_1) | instskip(NEXT) | instid1(VALU_DEP_1)
	v_add_f32_e32 v1, v1, v13
	v_add_f32_e32 v1, v1, v14
	s_delay_alu instid0(VALU_DEP_1) | instskip(NEXT) | instid1(VALU_DEP_1)
	v_add_f32_e32 v1, v1, v16
	v_dual_fmac_f32 v163, v8, v3 :: v_dual_add_f32 v6, v1, v17
	ds_load_2addr_b64 v[1:4], v21 offset0:91 offset1:92
	v_add_f32_e32 v6, v6, v134
	s_delay_alu instid0(VALU_DEP_1) | instskip(NEXT) | instid1(VALU_DEP_1)
	v_add_f32_e32 v13, v6, v135
	v_add_f32_e32 v13, v13, v143
	s_delay_alu instid0(VALU_DEP_1) | instskip(NEXT) | instid1(VALU_DEP_1)
	v_add_f32_e32 v13, v13, v144
	;; [unrolled: 3-line block ×3, first 2 shown]
	v_add_f32_e32 v18, v18, v150
	v_add_f32_e32 v14, v5, v20
	ds_load_2addr_b64 v[5:8], v21 offset0:93 offset1:94
	s_wait_loadcnt_dscnt 0x101
	v_mul_f32_e32 v22, v1, v10
	v_mul_f32_e32 v10, v2, v10
	;; [unrolled: 1-line block ×4, first 2 shown]
	v_add_f32_e32 v14, v14, v141
	v_fmac_f32_e32 v22, v2, v9
	v_fma_f32 v133, v1, v9, -v10
	v_fmac_f32_e32 v132, v4, v11
	v_fma_f32 v134, v3, v11, -v12
	s_clause 0x1
	scratch_load_b128 v[1:4], off, off offset:344
	scratch_load_b128 v[9:12], off, off offset:360
	v_add_f32_e32 v14, v14, v142
	v_add_f32_e32 v18, v18, v152
	s_delay_alu instid0(VALU_DEP_2) | instskip(SKIP_2) | instid1(VALU_DEP_1)
	v_add_f32_e32 v17, v14, v145
	scratch_load_b128 v[13:16], off, off offset:376
	v_dual_add_f32 v18, v18, v154 :: v_dual_add_f32 v17, v17, v147
	v_dual_add_f32 v18, v18, v156 :: v_dual_add_f32 v17, v17, v149
	s_delay_alu instid0(VALU_DEP_1) | instskip(NEXT) | instid1(VALU_DEP_1)
	v_add_f32_e32 v130, v18, v158
	v_add_f32_e32 v135, v130, v160
	s_wait_loadcnt_dscnt 0x200
	v_mul_f32_e32 v139, v5, v2
	v_dual_mul_f32 v2, v6, v2 :: v_dual_add_f32 v17, v17, v151
	v_mul_f32_e32 v140, v7, v4
	v_mul_f32_e32 v4, v8, v4
	s_delay_alu instid0(VALU_DEP_3) | instskip(NEXT) | instid1(VALU_DEP_3)
	v_fma_f32 v2, v5, v1, -v2
	v_dual_add_f32 v17, v17, v153 :: v_dual_fmac_f32 v140, v8, v3
	s_delay_alu instid0(VALU_DEP_1)
	v_add_f32_e32 v24, v17, v155
	ds_load_2addr_b64 v[17:20], v21 offset0:95 offset1:96
	v_add_f32_e32 v131, v24, v157
	ds_load_2addr_b64 v[24:27], v21 offset0:97 offset1:98
	v_add_f32_e32 v135, v135, v162
	v_add_f32_e32 v138, v131, v159
	ds_load_b64 v[130:131], v21 offset:792
	v_add_f32_e32 v138, v138, v161
	s_delay_alu instid0(VALU_DEP_1) | instskip(SKIP_1) | instid1(VALU_DEP_1)
	v_dual_add_f32 v138, v138, v163 :: v_dual_add_f32 v135, v135, v164
	s_wait_loadcnt_dscnt 0x102
	v_dual_mul_f32 v5, v20, v12 :: v_dual_add_f32 v22, v138, v22
	s_delay_alu instid0(VALU_DEP_2) | instskip(SKIP_1) | instid1(VALU_DEP_2)
	v_add_f32_e32 v133, v135, v133
	v_dual_mul_f32 v138, v19, v12 :: v_dual_mul_f32 v135, v17, v10
	v_dual_add_f32 v22, v22, v132 :: v_dual_add_f32 v133, v133, v134
	v_fmac_f32_e32 v139, v6, v1
	v_fma_f32 v1, v7, v3, -v4
	s_wait_loadcnt_dscnt 0x1
	v_mul_f32_e32 v134, v26, v16
	s_wait_dscnt 0x0
	v_mul_f32_e32 v132, v130, v129
	v_add_f32_e32 v2, v133, v2
	v_dual_mul_f32 v141, v24, v14 :: v_dual_add_f32 v4, v22, v139
	v_mul_f32_e32 v3, v18, v10
	v_dual_fmac_f32 v135, v18, v9 :: v_dual_fmac_f32 v138, v20, v11
	s_delay_alu instid0(VALU_DEP_4) | instskip(NEXT) | instid1(VALU_DEP_4)
	v_dual_add_f32 v1, v2, v1 :: v_dual_fmac_f32 v134, v27, v15
	v_add_f32_e32 v2, v4, v140
	s_delay_alu instid0(VALU_DEP_4)
	v_fma_f32 v3, v17, v9, -v3
	v_mul_f32_e32 v4, v25, v14
	v_fma_f32 v5, v19, v11, -v5
	v_dual_fmac_f32 v141, v25, v13 :: v_dual_fmac_f32 v132, v131, v128
	v_add_f32_e32 v2, v2, v135
	v_add_f32_e32 v1, v1, v3
	v_mul_f32_e32 v3, v27, v16
	v_fma_f32 v4, v24, v13, -v4
	s_delay_alu instid0(VALU_DEP_4) | instskip(NEXT) | instid1(VALU_DEP_3)
	v_add_f32_e32 v2, v2, v138
	v_fma_f32 v3, v26, v15, -v3
	s_delay_alu instid0(VALU_DEP_2) | instskip(NEXT) | instid1(VALU_DEP_1)
	v_add_f32_e32 v2, v2, v141
	v_dual_add_f32 v1, v1, v5 :: v_dual_add_f32 v2, v2, v134
	v_mul_f32_e32 v5, v131, v129
	s_delay_alu instid0(VALU_DEP_2) | instskip(NEXT) | instid1(VALU_DEP_3)
	v_add_f32_e32 v1, v1, v4
	v_add_f32_e32 v2, v2, v132
	s_delay_alu instid0(VALU_DEP_3) | instskip(NEXT) | instid1(VALU_DEP_3)
	v_fma_f32 v4, v130, v128, -v5
	v_add_f32_e32 v1, v1, v3
	s_delay_alu instid0(VALU_DEP_3) | instskip(NEXT) | instid1(VALU_DEP_2)
	v_sub_f32_e32 v2, v137, v2
	v_add_f32_e32 v1, v1, v4
	s_delay_alu instid0(VALU_DEP_1)
	v_sub_f32_e32 v1, v136, v1
	scratch_store_b64 off, v[1:2], off offset:128
	v_cmpx_lt_u32_e32 15, v0
	s_cbranch_execz .LBB113_283
; %bb.282:
	scratch_load_b64 v[1:2], off, off offset:120
	v_mov_b32_e32 v22, v21
	scratch_store_b64 off, v[21:22], off offset:120
	s_wait_loadcnt 0x0
	ds_store_b64 v23, v[1:2]
.LBB113_283:
	s_wait_alu 0xfffe
	s_or_b32 exec_lo, exec_lo, s0
	s_wait_storecnt_dscnt 0x0
	s_barrier_signal -1
	s_barrier_wait -1
	global_inv scope:SCOPE_SE
	s_clause 0x4
	scratch_load_b128 v[5:8], off, off offset:128
	scratch_load_b128 v[1:4], off, off offset:144
	;; [unrolled: 1-line block ×5, first 2 shown]
	ds_load_b128 v[24:27], v21 offset:528
	ds_load_b128 v[128:131], v21 offset:544
	;; [unrolled: 1-line block ×3, first 2 shown]
	scratch_load_b64 v[136:137], off, off offset:120
	s_mov_b32 s0, exec_lo
	s_wait_loadcnt_dscnt 0x502
	v_dual_mul_f32 v22, v25, v6 :: v_dual_mul_f32 v139, v26, v8
	v_mul_f32_e32 v138, v24, v6
	v_mul_f32_e32 v6, v27, v8
	s_wait_loadcnt_dscnt 0x300
	v_mul_f32_e32 v140, v134, v12
	v_fma_f32 v22, v24, v5, -v22
	v_dual_fmac_f32 v139, v27, v7 :: v_dual_fmac_f32 v138, v25, v5
	v_mul_f32_e32 v27, v132, v10
	v_mul_f32_e32 v25, v128, v2
	v_fma_f32 v24, v26, v7, -v6
	ds_load_b128 v[5:8], v21 offset:576
	v_mul_f32_e32 v26, v130, v4
	v_dual_mul_f32 v4, v131, v4 :: v_dual_fmac_f32 v27, v133, v9
	v_mul_f32_e32 v10, v133, v10
	v_mul_f32_e32 v12, v135, v12
	;; [unrolled: 1-line block ×3, first 2 shown]
	v_dual_fmac_f32 v25, v129, v1 :: v_dual_fmac_f32 v26, v131, v3
	v_fma_f32 v129, v130, v3, -v4
	v_fma_f32 v130, v132, v9, -v10
	v_fmac_f32_e32 v140, v135, v11
	v_fma_f32 v131, v134, v11, -v12
	ds_load_b128 v[9:12], v21 offset:592
	s_wait_loadcnt_dscnt 0x201
	v_mul_f32_e32 v133, v7, v16
	v_fma_f32 v128, v128, v1, -v2
	scratch_load_b128 v[1:4], off, off offset:208
	v_mul_f32_e32 v132, v5, v14
	v_mul_f32_e32 v14, v6, v14
	;; [unrolled: 1-line block ×3, first 2 shown]
	s_delay_alu instid0(VALU_DEP_3) | instskip(NEXT) | instid1(VALU_DEP_3)
	v_dual_fmac_f32 v133, v8, v15 :: v_dual_fmac_f32 v132, v6, v13
	v_fma_f32 v13, v5, v13, -v14
	s_delay_alu instid0(VALU_DEP_3)
	v_fma_f32 v14, v7, v15, -v16
	ds_load_b128 v[5:8], v21 offset:608
	s_wait_loadcnt_dscnt 0x201
	v_mul_f32_e32 v15, v9, v18
	v_mul_f32_e32 v16, v10, v18
	;; [unrolled: 1-line block ×3, first 2 shown]
	s_delay_alu instid0(VALU_DEP_3) | instskip(NEXT) | instid1(VALU_DEP_3)
	v_dual_mul_f32 v20, v12, v20 :: v_dual_fmac_f32 v15, v10, v17
	v_fma_f32 v16, v9, v17, -v16
	s_delay_alu instid0(VALU_DEP_3) | instskip(NEXT) | instid1(VALU_DEP_3)
	v_fmac_f32_e32 v18, v12, v19
	v_fma_f32 v17, v11, v19, -v20
	scratch_load_b128 v[9:12], off, off offset:224
	s_wait_loadcnt_dscnt 0x100
	v_mul_f32_e32 v19, v5, v2
	v_mul_f32_e32 v2, v6, v2
	;; [unrolled: 1-line block ×3, first 2 shown]
	s_delay_alu instid0(VALU_DEP_3) | instskip(NEXT) | instid1(VALU_DEP_3)
	v_dual_mul_f32 v4, v8, v4 :: v_dual_fmac_f32 v19, v6, v1
	v_fma_f32 v134, v5, v1, -v2
	s_delay_alu instid0(VALU_DEP_3) | instskip(NEXT) | instid1(VALU_DEP_3)
	v_fmac_f32_e32 v20, v8, v3
	v_fma_f32 v135, v7, v3, -v4
	ds_load_b128 v[1:4], v21 offset:624
	ds_load_b128 v[5:8], v21 offset:640
	s_wait_loadcnt_dscnt 0x1
	v_mul_f32_e32 v141, v1, v10
	v_mul_f32_e32 v10, v2, v10
	s_delay_alu instid0(VALU_DEP_2) | instskip(NEXT) | instid1(VALU_DEP_2)
	v_dual_mul_f32 v142, v3, v12 :: v_dual_fmac_f32 v141, v2, v9
	v_fma_f32 v143, v1, v9, -v10
	v_mul_f32_e32 v1, v4, v12
	s_delay_alu instid0(VALU_DEP_3) | instskip(NEXT) | instid1(VALU_DEP_2)
	v_fmac_f32_e32 v142, v4, v11
	v_fma_f32 v144, v3, v11, -v1
	s_clause 0x1
	scratch_load_b128 v[1:4], off, off offset:240
	scratch_load_b128 v[9:12], off, off offset:256
	s_wait_loadcnt_dscnt 0x100
	v_mul_f32_e32 v145, v5, v2
	v_dual_mul_f32 v2, v6, v2 :: v_dual_mul_f32 v147, v7, v4
	s_delay_alu instid0(VALU_DEP_2) | instskip(NEXT) | instid1(VALU_DEP_2)
	v_fmac_f32_e32 v145, v6, v1
	v_fma_f32 v146, v5, v1, -v2
	v_mul_f32_e32 v1, v8, v4
	s_delay_alu instid0(VALU_DEP_4) | instskip(NEXT) | instid1(VALU_DEP_2)
	v_fmac_f32_e32 v147, v8, v3
	v_fma_f32 v148, v7, v3, -v1
	ds_load_b128 v[1:4], v21 offset:656
	ds_load_b128 v[5:8], v21 offset:672
	s_wait_loadcnt_dscnt 0x1
	v_mul_f32_e32 v149, v1, v10
	v_mul_f32_e32 v151, v3, v12
	s_delay_alu instid0(VALU_DEP_2) | instskip(NEXT) | instid1(VALU_DEP_2)
	v_fmac_f32_e32 v149, v2, v9
	v_dual_mul_f32 v2, v2, v10 :: v_dual_fmac_f32 v151, v4, v11
	s_delay_alu instid0(VALU_DEP_1) | instskip(SKIP_1) | instid1(VALU_DEP_1)
	v_fma_f32 v150, v1, v9, -v2
	v_mul_f32_e32 v1, v4, v12
	v_fma_f32 v152, v3, v11, -v1
	s_clause 0x1
	scratch_load_b128 v[1:4], off, off offset:272
	scratch_load_b128 v[9:12], off, off offset:288
	s_wait_loadcnt_dscnt 0x100
	v_mul_f32_e32 v153, v5, v2
	v_dual_mul_f32 v2, v6, v2 :: v_dual_mul_f32 v155, v7, v4
	s_delay_alu instid0(VALU_DEP_2) | instskip(NEXT) | instid1(VALU_DEP_2)
	v_fmac_f32_e32 v153, v6, v1
	v_fma_f32 v154, v5, v1, -v2
	v_mul_f32_e32 v1, v8, v4
	s_delay_alu instid0(VALU_DEP_4) | instskip(NEXT) | instid1(VALU_DEP_2)
	v_fmac_f32_e32 v155, v8, v3
	v_fma_f32 v156, v7, v3, -v1
	ds_load_b128 v[1:4], v21 offset:688
	ds_load_b128 v[5:8], v21 offset:704
	s_wait_loadcnt_dscnt 0x1
	v_mul_f32_e32 v157, v1, v10
	v_mul_f32_e32 v159, v3, v12
	s_delay_alu instid0(VALU_DEP_2) | instskip(NEXT) | instid1(VALU_DEP_2)
	v_fmac_f32_e32 v157, v2, v9
	v_dual_mul_f32 v2, v2, v10 :: v_dual_fmac_f32 v159, v4, v11
	s_delay_alu instid0(VALU_DEP_1) | instskip(SKIP_1) | instid1(VALU_DEP_1)
	v_fma_f32 v158, v1, v9, -v2
	v_mul_f32_e32 v1, v4, v12
	v_fma_f32 v160, v3, v11, -v1
	s_clause 0x1
	scratch_load_b128 v[1:4], off, off offset:304
	scratch_load_b128 v[9:12], off, off offset:320
	s_wait_loadcnt_dscnt 0x100
	v_mul_f32_e32 v161, v5, v2
	v_mul_f32_e32 v2, v6, v2
	s_delay_alu instid0(VALU_DEP_1) | instskip(SKIP_1) | instid1(VALU_DEP_1)
	v_fma_f32 v162, v5, v1, -v2
	v_add_f32_e32 v2, 0, v138
	v_add_f32_e32 v2, v2, v139
	s_delay_alu instid0(VALU_DEP_1) | instskip(NEXT) | instid1(VALU_DEP_1)
	v_dual_add_f32 v2, v2, v25 :: v_dual_mul_f32 v163, v7, v4
	v_add_f32_e32 v2, v2, v26
	s_delay_alu instid0(VALU_DEP_1) | instskip(NEXT) | instid1(VALU_DEP_3)
	v_add_f32_e32 v2, v2, v27
	v_fmac_f32_e32 v163, v8, v3
	v_fmac_f32_e32 v161, v6, v1
	s_delay_alu instid0(VALU_DEP_3) | instskip(NEXT) | instid1(VALU_DEP_1)
	v_add_f32_e32 v2, v2, v140
	v_add_f32_e32 v2, v2, v132
	s_delay_alu instid0(VALU_DEP_1) | instskip(NEXT) | instid1(VALU_DEP_1)
	v_dual_mul_f32 v1, v8, v4 :: v_dual_add_f32 v2, v2, v133
	v_fma_f32 v164, v7, v3, -v1
	s_delay_alu instid0(VALU_DEP_2) | instskip(NEXT) | instid1(VALU_DEP_1)
	v_dual_add_f32 v1, 0, v22 :: v_dual_add_f32 v2, v2, v15
	v_add_f32_e32 v1, v1, v24
	s_delay_alu instid0(VALU_DEP_2) | instskip(NEXT) | instid1(VALU_DEP_2)
	v_add_f32_e32 v5, v2, v18
	v_add_f32_e32 v1, v1, v128
	s_delay_alu instid0(VALU_DEP_1) | instskip(NEXT) | instid1(VALU_DEP_1)
	v_add_f32_e32 v1, v1, v129
	v_add_f32_e32 v1, v1, v130
	s_delay_alu instid0(VALU_DEP_1) | instskip(NEXT) | instid1(VALU_DEP_1)
	v_add_f32_e32 v1, v1, v131
	v_add_f32_e32 v1, v1, v13
	;; [unrolled: 1-line block ×3, first 2 shown]
	s_delay_alu instid0(VALU_DEP_2) | instskip(NEXT) | instid1(VALU_DEP_2)
	v_add_f32_e32 v1, v1, v14
	v_add_f32_e32 v13, v13, v20
	s_delay_alu instid0(VALU_DEP_2) | instskip(NEXT) | instid1(VALU_DEP_1)
	v_add_f32_e32 v1, v1, v16
	v_add_f32_e32 v1, v1, v17
	s_delay_alu instid0(VALU_DEP_1) | instskip(SKIP_4) | instid1(VALU_DEP_1)
	v_add_f32_e32 v6, v1, v134
	ds_load_b128 v[1:4], v21 offset:720
	v_add_f32_e32 v14, v6, v135
	scratch_load_b128 v[5:8], off, off offset:336
	v_dual_add_f32 v13, v13, v141 :: v_dual_add_f32 v14, v14, v143
	v_dual_add_f32 v18, v13, v142 :: v_dual_add_f32 v17, v14, v144
	ds_load_b128 v[13:16], v21 offset:736
	v_add_f32_e32 v18, v18, v145
	s_wait_loadcnt_dscnt 0x101
	v_mul_f32_e32 v22, v1, v10
	s_delay_alu instid0(VALU_DEP_2)
	v_add_f32_e32 v18, v18, v147
	v_mul_f32_e32 v10, v2, v10
	v_mul_f32_e32 v128, v3, v12
	;; [unrolled: 1-line block ×3, first 2 shown]
	v_fmac_f32_e32 v22, v2, v9
	v_add_f32_e32 v24, v18, v149
	v_fma_f32 v129, v1, v9, -v10
	v_fmac_f32_e32 v128, v4, v11
	v_fma_f32 v130, v3, v11, -v12
	scratch_load_b128 v[1:4], off, off offset:352
	v_dual_add_f32 v24, v24, v151 :: v_dual_add_f32 v17, v17, v146
	scratch_load_b128 v[9:12], off, off offset:368
	s_wait_loadcnt_dscnt 0x200
	v_dual_add_f32 v24, v24, v153 :: v_dual_mul_f32 v131, v13, v6
	v_mul_f32_e32 v132, v15, v8
	v_add_f32_e32 v17, v17, v148
	v_mul_f32_e32 v8, v16, v8
	v_mul_f32_e32 v6, v14, v6
	s_delay_alu instid0(VALU_DEP_4) | instskip(NEXT) | instid1(VALU_DEP_4)
	v_dual_fmac_f32 v131, v14, v5 :: v_dual_fmac_f32 v132, v16, v7
	v_add_f32_e32 v17, v17, v150
	s_delay_alu instid0(VALU_DEP_4) | instskip(NEXT) | instid1(VALU_DEP_4)
	v_fma_f32 v134, v15, v7, -v8
	v_fma_f32 v133, v13, v5, -v6
	ds_load_b128 v[5:8], v21 offset:752
	v_add_f32_e32 v25, v17, v152
	scratch_load_b128 v[17:20], off, off offset:384
	v_add_f32_e32 v25, v25, v154
	s_delay_alu instid0(VALU_DEP_1) | instskip(NEXT) | instid1(VALU_DEP_1)
	v_add_f32_e32 v25, v25, v156
	v_dual_add_f32 v13, v24, v155 :: v_dual_add_f32 v24, v25, v158
	s_delay_alu instid0(VALU_DEP_1)
	v_add_f32_e32 v25, v13, v157
	ds_load_b128 v[13:16], v21 offset:768
	v_dual_add_f32 v135, v24, v160 :: v_dual_add_f32 v138, v25, v159
	ds_load_b128 v[24:27], v21 offset:784
	v_add_f32_e32 v21, v135, v162
	s_wait_loadcnt_dscnt 0x202
	v_dual_add_f32 v135, v138, v161 :: v_dual_mul_f32 v138, v5, v2
	s_delay_alu instid0(VALU_DEP_1) | instskip(NEXT) | instid1(VALU_DEP_2)
	v_dual_mul_f32 v2, v6, v2 :: v_dual_add_f32 v135, v135, v163
	v_fmac_f32_e32 v138, v6, v1
	s_delay_alu instid0(VALU_DEP_2) | instskip(NEXT) | instid1(VALU_DEP_3)
	v_fma_f32 v2, v5, v1, -v2
	v_add_f32_e32 v22, v135, v22
	s_wait_loadcnt_dscnt 0x101
	v_mul_f32_e32 v135, v13, v10
	v_mul_f32_e32 v6, v14, v10
	s_delay_alu instid0(VALU_DEP_3) | instskip(NEXT) | instid1(VALU_DEP_1)
	v_add_f32_e32 v22, v22, v128
	v_dual_add_f32 v21, v21, v164 :: v_dual_add_f32 v22, v22, v131
	s_delay_alu instid0(VALU_DEP_1) | instskip(SKIP_4) | instid1(VALU_DEP_1)
	v_add_f32_e32 v21, v21, v129
	v_mul_f32_e32 v129, v7, v4
	v_mul_f32_e32 v4, v8, v4
	s_wait_loadcnt_dscnt 0x0
	v_dual_mul_f32 v128, v24, v18 :: v_dual_add_f32 v5, v22, v132
	v_dual_fmac_f32 v128, v25, v17 :: v_dual_fmac_f32 v129, v8, v3
	v_add_f32_e32 v21, v21, v130
	v_fma_f32 v3, v7, v3, -v4
	v_dual_mul_f32 v4, v16, v12 :: v_dual_fmac_f32 v135, v14, v9
	v_mul_f32_e32 v139, v15, v12
	s_delay_alu instid0(VALU_DEP_4) | instskip(NEXT) | instid1(VALU_DEP_3)
	v_dual_add_f32 v21, v21, v133 :: v_dual_mul_f32 v130, v26, v20
	v_fma_f32 v4, v15, v11, -v4
	s_delay_alu instid0(VALU_DEP_2) | instskip(NEXT) | instid1(VALU_DEP_1)
	v_dual_add_f32 v1, v21, v134 :: v_dual_fmac_f32 v130, v27, v19
	v_add_f32_e32 v1, v1, v2
	v_dual_add_f32 v2, v5, v138 :: v_dual_fmac_f32 v139, v16, v11
	v_fma_f32 v5, v13, v9, -v6
	s_delay_alu instid0(VALU_DEP_2) | instskip(NEXT) | instid1(VALU_DEP_1)
	v_add_f32_e32 v2, v2, v129
	v_add_f32_e32 v2, v2, v135
	s_delay_alu instid0(VALU_DEP_1) | instskip(NEXT) | instid1(VALU_DEP_1)
	v_add_f32_e32 v2, v2, v139
	v_dual_add_f32 v2, v2, v128 :: v_dual_add_f32 v1, v1, v3
	v_mul_f32_e32 v3, v25, v18
	s_delay_alu instid0(VALU_DEP_2) | instskip(SKIP_1) | instid1(VALU_DEP_3)
	v_dual_add_f32 v2, v2, v130 :: v_dual_add_f32 v1, v1, v5
	v_mul_f32_e32 v5, v27, v20
	v_fma_f32 v3, v24, v17, -v3
	s_delay_alu instid0(VALU_DEP_3) | instskip(NEXT) | instid1(VALU_DEP_4)
	v_sub_f32_e32 v2, v137, v2
	v_add_f32_e32 v1, v1, v4
	s_delay_alu instid0(VALU_DEP_4) | instskip(NEXT) | instid1(VALU_DEP_2)
	v_fma_f32 v4, v26, v19, -v5
	v_add_f32_e32 v1, v1, v3
	s_delay_alu instid0(VALU_DEP_1) | instskip(NEXT) | instid1(VALU_DEP_1)
	v_add_f32_e32 v1, v1, v4
	v_sub_f32_e32 v1, v136, v1
	scratch_store_b64 off, v[1:2], off offset:120
	v_cmpx_lt_u32_e32 14, v0
	s_cbranch_execz .LBB113_285
; %bb.284:
	scratch_load_b64 v[1:2], off, off offset:112
	v_mov_b32_e32 v3, 0
	s_delay_alu instid0(VALU_DEP_1)
	v_mov_b32_e32 v4, v3
	scratch_store_b64 off, v[3:4], off offset:112
	s_wait_loadcnt 0x0
	ds_store_b64 v23, v[1:2]
.LBB113_285:
	s_wait_alu 0xfffe
	s_or_b32 exec_lo, exec_lo, s0
	s_wait_storecnt_dscnt 0x0
	s_barrier_signal -1
	s_barrier_wait -1
	global_inv scope:SCOPE_SE
	s_clause 0x4
	scratch_load_b128 v[5:8], off, off offset:120
	scratch_load_b128 v[1:4], off, off offset:136
	;; [unrolled: 1-line block ×5, first 2 shown]
	v_mov_b32_e32 v21, 0
	ds_load_2addr_b64 v[24:27], v21 offset0:65 offset1:66
	ds_load_2addr_b64 v[128:131], v21 offset0:67 offset1:68
	;; [unrolled: 1-line block ×3, first 2 shown]
	scratch_load_b64 v[136:137], off, off offset:112
	s_mov_b32 s0, exec_lo
	s_wait_loadcnt_dscnt 0x502
	v_mul_f32_e32 v22, v25, v6
	v_dual_mul_f32 v138, v24, v6 :: v_dual_mul_f32 v139, v26, v8
	v_mul_f32_e32 v6, v27, v8
	s_delay_alu instid0(VALU_DEP_3) | instskip(NEXT) | instid1(VALU_DEP_3)
	v_fma_f32 v22, v24, v5, -v22
	v_dual_fmac_f32 v138, v25, v5 :: v_dual_fmac_f32 v139, v27, v7
	s_wait_loadcnt_dscnt 0x401
	v_mul_f32_e32 v25, v128, v2
	v_fma_f32 v24, v26, v7, -v6
	ds_load_2addr_b64 v[5:8], v21 offset0:71 offset1:72
	s_wait_loadcnt_dscnt 0x301
	v_dual_mul_f32 v26, v130, v4 :: v_dual_mul_f32 v27, v132, v10
	v_dual_mul_f32 v4, v131, v4 :: v_dual_fmac_f32 v25, v129, v1
	v_mul_f32_e32 v10, v133, v10
	s_delay_alu instid0(VALU_DEP_3)
	v_dual_mul_f32 v140, v134, v12 :: v_dual_fmac_f32 v27, v133, v9
	v_mul_f32_e32 v12, v135, v12
	v_mul_f32_e32 v2, v129, v2
	v_fmac_f32_e32 v26, v131, v3
	v_fma_f32 v129, v130, v3, -v4
	v_fma_f32 v130, v132, v9, -v10
	v_fmac_f32_e32 v140, v135, v11
	v_fma_f32 v131, v134, v11, -v12
	ds_load_2addr_b64 v[9:12], v21 offset0:73 offset1:74
	s_wait_loadcnt_dscnt 0x201
	v_mul_f32_e32 v133, v7, v16
	v_fma_f32 v128, v128, v1, -v2
	scratch_load_b128 v[1:4], off, off offset:200
	v_mul_f32_e32 v132, v5, v14
	v_mul_f32_e32 v14, v6, v14
	;; [unrolled: 1-line block ×3, first 2 shown]
	s_delay_alu instid0(VALU_DEP_3) | instskip(NEXT) | instid1(VALU_DEP_3)
	v_dual_fmac_f32 v133, v8, v15 :: v_dual_fmac_f32 v132, v6, v13
	v_fma_f32 v13, v5, v13, -v14
	s_delay_alu instid0(VALU_DEP_3)
	v_fma_f32 v14, v7, v15, -v16
	ds_load_2addr_b64 v[5:8], v21 offset0:75 offset1:76
	s_wait_loadcnt_dscnt 0x201
	v_mul_f32_e32 v15, v9, v18
	v_mul_f32_e32 v16, v10, v18
	;; [unrolled: 1-line block ×3, first 2 shown]
	s_delay_alu instid0(VALU_DEP_3) | instskip(NEXT) | instid1(VALU_DEP_3)
	v_dual_mul_f32 v20, v12, v20 :: v_dual_fmac_f32 v15, v10, v17
	v_fma_f32 v16, v9, v17, -v16
	s_delay_alu instid0(VALU_DEP_3) | instskip(NEXT) | instid1(VALU_DEP_3)
	v_fmac_f32_e32 v18, v12, v19
	v_fma_f32 v17, v11, v19, -v20
	scratch_load_b128 v[9:12], off, off offset:216
	s_wait_loadcnt_dscnt 0x100
	v_mul_f32_e32 v19, v5, v2
	v_mul_f32_e32 v2, v6, v2
	;; [unrolled: 1-line block ×3, first 2 shown]
	s_delay_alu instid0(VALU_DEP_3) | instskip(NEXT) | instid1(VALU_DEP_3)
	v_dual_mul_f32 v4, v8, v4 :: v_dual_fmac_f32 v19, v6, v1
	v_fma_f32 v134, v5, v1, -v2
	s_delay_alu instid0(VALU_DEP_3) | instskip(NEXT) | instid1(VALU_DEP_3)
	v_fmac_f32_e32 v20, v8, v3
	v_fma_f32 v135, v7, v3, -v4
	ds_load_2addr_b64 v[1:4], v21 offset0:77 offset1:78
	ds_load_2addr_b64 v[5:8], v21 offset0:79 offset1:80
	s_wait_loadcnt_dscnt 0x1
	v_mul_f32_e32 v141, v1, v10
	v_mul_f32_e32 v10, v2, v10
	s_delay_alu instid0(VALU_DEP_2) | instskip(NEXT) | instid1(VALU_DEP_2)
	v_dual_mul_f32 v142, v3, v12 :: v_dual_fmac_f32 v141, v2, v9
	v_fma_f32 v143, v1, v9, -v10
	v_mul_f32_e32 v1, v4, v12
	s_delay_alu instid0(VALU_DEP_3) | instskip(NEXT) | instid1(VALU_DEP_2)
	v_fmac_f32_e32 v142, v4, v11
	v_fma_f32 v144, v3, v11, -v1
	s_clause 0x1
	scratch_load_b128 v[1:4], off, off offset:232
	scratch_load_b128 v[9:12], off, off offset:248
	s_wait_loadcnt_dscnt 0x100
	v_mul_f32_e32 v145, v5, v2
	v_dual_mul_f32 v2, v6, v2 :: v_dual_mul_f32 v147, v7, v4
	s_delay_alu instid0(VALU_DEP_2) | instskip(NEXT) | instid1(VALU_DEP_2)
	v_fmac_f32_e32 v145, v6, v1
	v_fma_f32 v146, v5, v1, -v2
	v_mul_f32_e32 v1, v8, v4
	s_delay_alu instid0(VALU_DEP_4) | instskip(NEXT) | instid1(VALU_DEP_2)
	v_fmac_f32_e32 v147, v8, v3
	v_fma_f32 v148, v7, v3, -v1
	ds_load_2addr_b64 v[1:4], v21 offset0:81 offset1:82
	ds_load_2addr_b64 v[5:8], v21 offset0:83 offset1:84
	s_wait_loadcnt_dscnt 0x1
	v_mul_f32_e32 v149, v1, v10
	v_mul_f32_e32 v151, v3, v12
	s_delay_alu instid0(VALU_DEP_2) | instskip(NEXT) | instid1(VALU_DEP_2)
	v_fmac_f32_e32 v149, v2, v9
	v_dual_mul_f32 v2, v2, v10 :: v_dual_fmac_f32 v151, v4, v11
	s_delay_alu instid0(VALU_DEP_1) | instskip(SKIP_1) | instid1(VALU_DEP_1)
	v_fma_f32 v150, v1, v9, -v2
	v_mul_f32_e32 v1, v4, v12
	v_fma_f32 v152, v3, v11, -v1
	s_clause 0x1
	scratch_load_b128 v[1:4], off, off offset:264
	scratch_load_b128 v[9:12], off, off offset:280
	s_wait_loadcnt_dscnt 0x100
	v_mul_f32_e32 v153, v5, v2
	v_dual_mul_f32 v155, v7, v4 :: v_dual_mul_f32 v2, v6, v2
	s_delay_alu instid0(VALU_DEP_2) | instskip(NEXT) | instid1(VALU_DEP_2)
	v_fmac_f32_e32 v153, v6, v1
	v_fmac_f32_e32 v155, v8, v3
	s_delay_alu instid0(VALU_DEP_3) | instskip(SKIP_1) | instid1(VALU_DEP_1)
	v_fma_f32 v154, v5, v1, -v2
	v_mul_f32_e32 v1, v8, v4
	v_fma_f32 v156, v7, v3, -v1
	ds_load_2addr_b64 v[1:4], v21 offset0:85 offset1:86
	ds_load_2addr_b64 v[5:8], v21 offset0:87 offset1:88
	s_wait_loadcnt_dscnt 0x1
	v_mul_f32_e32 v157, v1, v10
	v_mul_f32_e32 v159, v3, v12
	s_delay_alu instid0(VALU_DEP_2) | instskip(NEXT) | instid1(VALU_DEP_2)
	v_fmac_f32_e32 v157, v2, v9
	v_dual_mul_f32 v2, v2, v10 :: v_dual_fmac_f32 v159, v4, v11
	s_delay_alu instid0(VALU_DEP_1) | instskip(SKIP_1) | instid1(VALU_DEP_1)
	v_fma_f32 v158, v1, v9, -v2
	v_mul_f32_e32 v1, v4, v12
	v_fma_f32 v160, v3, v11, -v1
	s_clause 0x1
	scratch_load_b128 v[1:4], off, off offset:296
	scratch_load_b128 v[9:12], off, off offset:312
	s_wait_loadcnt_dscnt 0x100
	v_mul_f32_e32 v161, v5, v2
	v_mul_f32_e32 v2, v6, v2
	s_delay_alu instid0(VALU_DEP_1) | instskip(SKIP_1) | instid1(VALU_DEP_1)
	v_fma_f32 v162, v5, v1, -v2
	v_add_f32_e32 v2, 0, v138
	v_add_f32_e32 v2, v2, v139
	s_delay_alu instid0(VALU_DEP_1) | instskip(NEXT) | instid1(VALU_DEP_1)
	v_add_f32_e32 v2, v2, v25
	v_add_f32_e32 v2, v2, v26
	s_delay_alu instid0(VALU_DEP_1) | instskip(SKIP_1) | instid1(VALU_DEP_2)
	v_add_f32_e32 v2, v2, v27
	v_fmac_f32_e32 v161, v6, v1
	v_add_f32_e32 v2, v2, v140
	s_delay_alu instid0(VALU_DEP_1) | instskip(NEXT) | instid1(VALU_DEP_1)
	v_add_f32_e32 v2, v2, v132
	v_dual_mul_f32 v163, v7, v4 :: v_dual_add_f32 v2, v2, v133
	s_delay_alu instid0(VALU_DEP_1) | instskip(NEXT) | instid1(VALU_DEP_1)
	v_dual_mul_f32 v1, v8, v4 :: v_dual_add_f32 v2, v2, v15
	v_fma_f32 v164, v7, v3, -v1
	v_add_f32_e32 v1, 0, v22
	s_delay_alu instid0(VALU_DEP_3) | instskip(NEXT) | instid1(VALU_DEP_2)
	v_add_f32_e32 v5, v2, v18
	v_add_f32_e32 v1, v1, v24
	s_delay_alu instid0(VALU_DEP_1) | instskip(NEXT) | instid1(VALU_DEP_1)
	v_add_f32_e32 v1, v1, v128
	v_add_f32_e32 v1, v1, v129
	scratch_load_b64 v[128:129], off, off offset:392
	v_add_f32_e32 v1, v1, v130
	s_delay_alu instid0(VALU_DEP_1) | instskip(NEXT) | instid1(VALU_DEP_1)
	v_add_f32_e32 v1, v1, v131
	v_add_f32_e32 v1, v1, v13
	;; [unrolled: 1-line block ×3, first 2 shown]
	s_delay_alu instid0(VALU_DEP_2) | instskip(NEXT) | instid1(VALU_DEP_2)
	v_add_f32_e32 v1, v1, v14
	v_add_f32_e32 v13, v13, v20
	s_delay_alu instid0(VALU_DEP_2) | instskip(NEXT) | instid1(VALU_DEP_2)
	v_add_f32_e32 v1, v1, v16
	v_add_f32_e32 v13, v13, v141
	v_fmac_f32_e32 v163, v8, v3
	s_delay_alu instid0(VALU_DEP_3) | instskip(NEXT) | instid1(VALU_DEP_3)
	v_add_f32_e32 v1, v1, v17
	v_add_f32_e32 v18, v13, v142
	s_delay_alu instid0(VALU_DEP_2)
	v_add_f32_e32 v6, v1, v134
	scratch_load_b128 v[1:4], off, off offset:328
	v_add_f32_e32 v18, v18, v145
	v_add_f32_e32 v14, v6, v135
	ds_load_2addr_b64 v[5:8], v21 offset0:89 offset1:90
	v_add_f32_e32 v18, v18, v147
	v_add_f32_e32 v14, v14, v143
	s_delay_alu instid0(VALU_DEP_2) | instskip(NEXT) | instid1(VALU_DEP_2)
	v_add_f32_e32 v24, v18, v149
	v_add_f32_e32 v17, v14, v144
	ds_load_2addr_b64 v[13:16], v21 offset0:91 offset1:92
	v_add_f32_e32 v24, v24, v151
	s_delay_alu instid0(VALU_DEP_1)
	v_add_f32_e32 v24, v24, v153
	s_wait_loadcnt_dscnt 0x201
	v_mul_f32_e32 v22, v5, v10
	v_mul_f32_e32 v10, v6, v10
	;; [unrolled: 1-line block ×3, first 2 shown]
	v_dual_mul_f32 v12, v8, v12 :: v_dual_add_f32 v17, v17, v146
	s_delay_alu instid0(VALU_DEP_4) | instskip(NEXT) | instid1(VALU_DEP_4)
	v_fmac_f32_e32 v22, v6, v9
	v_fma_f32 v133, v5, v9, -v10
	s_delay_alu instid0(VALU_DEP_4) | instskip(NEXT) | instid1(VALU_DEP_4)
	v_fmac_f32_e32 v132, v8, v11
	v_fma_f32 v134, v7, v11, -v12
	s_clause 0x1
	scratch_load_b128 v[5:8], off, off offset:344
	scratch_load_b128 v[9:12], off, off offset:360
	v_dual_add_f32 v17, v17, v148 :: v_dual_add_f32 v24, v24, v155
	s_wait_loadcnt_dscnt 0x200
	s_delay_alu instid0(VALU_DEP_1) | instskip(NEXT) | instid1(VALU_DEP_1)
	v_dual_add_f32 v17, v17, v150 :: v_dual_mul_f32 v138, v15, v4
	v_add_f32_e32 v25, v17, v152
	scratch_load_b128 v[17:20], off, off offset:376
	v_mul_f32_e32 v135, v13, v2
	v_mul_f32_e32 v2, v14, v2
	v_dual_fmac_f32 v138, v16, v3 :: v_dual_add_f32 v25, v25, v154
	v_mul_f32_e32 v4, v16, v4
	s_delay_alu instid0(VALU_DEP_3) | instskip(SKIP_1) | instid1(VALU_DEP_4)
	v_fma_f32 v139, v13, v1, -v2
	v_add_f32_e32 v13, v24, v157
	v_add_f32_e32 v25, v25, v156
	s_delay_alu instid0(VALU_DEP_4) | instskip(NEXT) | instid1(VALU_DEP_3)
	v_fma_f32 v140, v15, v3, -v4
	v_add_f32_e32 v24, v13, v159
	s_delay_alu instid0(VALU_DEP_1) | instskip(NEXT) | instid1(VALU_DEP_1)
	v_add_f32_e32 v131, v24, v161
	v_add_f32_e32 v142, v131, v163
	s_delay_alu instid0(VALU_DEP_1) | instskip(NEXT) | instid1(VALU_DEP_1)
	v_add_f32_e32 v22, v142, v22
	v_dual_add_f32 v25, v25, v158 :: v_dual_add_f32 v22, v22, v132
	s_delay_alu instid0(VALU_DEP_1)
	v_dual_fmac_f32 v135, v14, v1 :: v_dual_add_f32 v14, v25, v160
	ds_load_2addr_b64 v[1:4], v21 offset0:93 offset1:94
	ds_load_2addr_b64 v[24:27], v21 offset0:97 offset1:98
	v_add_f32_e32 v22, v22, v135
	v_add_f32_e32 v130, v14, v162
	ds_load_2addr_b64 v[13:16], v21 offset0:95 offset1:96
	v_add_f32_e32 v22, v22, v138
	v_add_f32_e32 v141, v130, v164
	ds_load_b64 v[130:131], v21 offset:792
	s_wait_loadcnt_dscnt 0x203
	v_dual_add_f32 v133, v141, v133 :: v_dual_mul_f32 v132, v3, v8
	s_delay_alu instid0(VALU_DEP_1)
	v_add_f32_e32 v133, v133, v134
	v_dual_mul_f32 v141, v1, v6 :: v_dual_mul_f32 v8, v4, v8
	v_mul_f32_e32 v6, v2, v6
	s_wait_loadcnt_dscnt 0x101
	v_dual_mul_f32 v134, v13, v10 :: v_dual_mul_f32 v135, v15, v12
	v_add_f32_e32 v133, v133, v139
	v_dual_fmac_f32 v141, v2, v5 :: v_dual_fmac_f32 v132, v4, v7
	v_fma_f32 v1, v1, v5, -v6
	v_fma_f32 v2, v3, v7, -v8
	s_delay_alu instid0(VALU_DEP_3) | instskip(SKIP_2) | instid1(VALU_DEP_3)
	v_dual_add_f32 v133, v133, v140 :: v_dual_add_f32 v4, v22, v141
	v_dual_mul_f32 v5, v16, v12 :: v_dual_fmac_f32 v134, v14, v9
	v_mul_f32_e32 v3, v14, v10
	v_add_f32_e32 v1, v133, v1
	s_wait_dscnt 0x0
	v_dual_fmac_f32 v135, v16, v11 :: v_dual_mul_f32 v138, v130, v129
	v_fma_f32 v5, v15, v11, -v5
	s_delay_alu instid0(VALU_DEP_3) | instskip(SKIP_1) | instid1(VALU_DEP_4)
	v_dual_add_f32 v1, v1, v2 :: v_dual_add_f32 v2, v4, v132
	v_fma_f32 v3, v13, v9, -v3
	v_fmac_f32_e32 v138, v131, v128
	s_delay_alu instid0(VALU_DEP_2) | instskip(SKIP_1) | instid1(VALU_DEP_1)
	v_dual_add_f32 v2, v2, v134 :: v_dual_add_f32 v1, v1, v3
	s_wait_loadcnt 0x0
	v_dual_add_f32 v2, v2, v135 :: v_dual_mul_f32 v3, v27, v20
	v_mul_f32_e32 v139, v24, v18
	v_mul_f32_e32 v4, v25, v18
	v_mul_f32_e32 v140, v26, v20
	s_delay_alu instid0(VALU_DEP_4) | instskip(NEXT) | instid1(VALU_DEP_4)
	v_fma_f32 v3, v26, v19, -v3
	v_fmac_f32_e32 v139, v25, v17
	s_delay_alu instid0(VALU_DEP_4) | instskip(NEXT) | instid1(VALU_DEP_4)
	v_fma_f32 v4, v24, v17, -v4
	v_dual_fmac_f32 v140, v27, v19 :: v_dual_add_f32 v1, v1, v5
	s_delay_alu instid0(VALU_DEP_3) | instskip(NEXT) | instid1(VALU_DEP_1)
	v_dual_add_f32 v2, v2, v139 :: v_dual_mul_f32 v5, v131, v129
	v_add_f32_e32 v2, v2, v140
	s_delay_alu instid0(VALU_DEP_3) | instskip(NEXT) | instid1(VALU_DEP_3)
	v_add_f32_e32 v1, v1, v4
	v_fma_f32 v4, v130, v128, -v5
	s_delay_alu instid0(VALU_DEP_2) | instskip(NEXT) | instid1(VALU_DEP_1)
	v_dual_add_f32 v2, v2, v138 :: v_dual_add_f32 v1, v1, v3
	v_sub_f32_e32 v2, v137, v2
	s_delay_alu instid0(VALU_DEP_2) | instskip(NEXT) | instid1(VALU_DEP_1)
	v_add_f32_e32 v1, v1, v4
	v_sub_f32_e32 v1, v136, v1
	scratch_store_b64 off, v[1:2], off offset:112
	v_cmpx_lt_u32_e32 13, v0
	s_cbranch_execz .LBB113_287
; %bb.286:
	scratch_load_b64 v[1:2], off, off offset:104
	v_mov_b32_e32 v22, v21
	scratch_store_b64 off, v[21:22], off offset:104
	s_wait_loadcnt 0x0
	ds_store_b64 v23, v[1:2]
.LBB113_287:
	s_wait_alu 0xfffe
	s_or_b32 exec_lo, exec_lo, s0
	s_wait_storecnt_dscnt 0x0
	s_barrier_signal -1
	s_barrier_wait -1
	global_inv scope:SCOPE_SE
	s_clause 0x4
	scratch_load_b128 v[5:8], off, off offset:112
	scratch_load_b128 v[1:4], off, off offset:128
	;; [unrolled: 1-line block ×5, first 2 shown]
	ds_load_b128 v[24:27], v21 offset:512
	ds_load_b128 v[128:131], v21 offset:528
	ds_load_b128 v[132:135], v21 offset:544
	scratch_load_b64 v[136:137], off, off offset:104
	s_mov_b32 s0, exec_lo
	s_wait_loadcnt_dscnt 0x502
	v_dual_mul_f32 v22, v25, v6 :: v_dual_mul_f32 v139, v26, v8
	v_mul_f32_e32 v138, v24, v6
	v_mul_f32_e32 v6, v27, v8
	s_wait_loadcnt_dscnt 0x300
	v_mul_f32_e32 v140, v134, v12
	v_fma_f32 v22, v24, v5, -v22
	v_dual_fmac_f32 v139, v27, v7 :: v_dual_fmac_f32 v138, v25, v5
	v_mul_f32_e32 v27, v132, v10
	v_mul_f32_e32 v25, v128, v2
	v_fma_f32 v24, v26, v7, -v6
	ds_load_b128 v[5:8], v21 offset:560
	v_mul_f32_e32 v26, v130, v4
	v_dual_mul_f32 v4, v131, v4 :: v_dual_fmac_f32 v27, v133, v9
	v_mul_f32_e32 v10, v133, v10
	v_mul_f32_e32 v12, v135, v12
	;; [unrolled: 1-line block ×3, first 2 shown]
	v_dual_fmac_f32 v25, v129, v1 :: v_dual_fmac_f32 v26, v131, v3
	v_fma_f32 v129, v130, v3, -v4
	v_fma_f32 v130, v132, v9, -v10
	v_fmac_f32_e32 v140, v135, v11
	v_fma_f32 v131, v134, v11, -v12
	ds_load_b128 v[9:12], v21 offset:576
	s_wait_loadcnt_dscnt 0x201
	v_mul_f32_e32 v133, v7, v16
	v_fma_f32 v128, v128, v1, -v2
	scratch_load_b128 v[1:4], off, off offset:192
	v_mul_f32_e32 v132, v5, v14
	v_mul_f32_e32 v14, v6, v14
	;; [unrolled: 1-line block ×3, first 2 shown]
	s_delay_alu instid0(VALU_DEP_3) | instskip(NEXT) | instid1(VALU_DEP_3)
	v_dual_fmac_f32 v133, v8, v15 :: v_dual_fmac_f32 v132, v6, v13
	v_fma_f32 v13, v5, v13, -v14
	s_delay_alu instid0(VALU_DEP_3)
	v_fma_f32 v14, v7, v15, -v16
	ds_load_b128 v[5:8], v21 offset:592
	s_wait_loadcnt_dscnt 0x201
	v_mul_f32_e32 v15, v9, v18
	v_mul_f32_e32 v16, v10, v18
	;; [unrolled: 1-line block ×3, first 2 shown]
	s_delay_alu instid0(VALU_DEP_3) | instskip(NEXT) | instid1(VALU_DEP_3)
	v_dual_mul_f32 v20, v12, v20 :: v_dual_fmac_f32 v15, v10, v17
	v_fma_f32 v16, v9, v17, -v16
	s_delay_alu instid0(VALU_DEP_3) | instskip(NEXT) | instid1(VALU_DEP_3)
	v_fmac_f32_e32 v18, v12, v19
	v_fma_f32 v17, v11, v19, -v20
	scratch_load_b128 v[9:12], off, off offset:208
	s_wait_loadcnt_dscnt 0x100
	v_mul_f32_e32 v19, v5, v2
	v_mul_f32_e32 v2, v6, v2
	;; [unrolled: 1-line block ×3, first 2 shown]
	s_delay_alu instid0(VALU_DEP_3) | instskip(NEXT) | instid1(VALU_DEP_3)
	v_dual_mul_f32 v4, v8, v4 :: v_dual_fmac_f32 v19, v6, v1
	v_fma_f32 v134, v5, v1, -v2
	s_delay_alu instid0(VALU_DEP_3) | instskip(NEXT) | instid1(VALU_DEP_3)
	v_fmac_f32_e32 v20, v8, v3
	v_fma_f32 v135, v7, v3, -v4
	ds_load_b128 v[1:4], v21 offset:608
	ds_load_b128 v[5:8], v21 offset:624
	s_wait_loadcnt_dscnt 0x1
	v_mul_f32_e32 v141, v1, v10
	v_mul_f32_e32 v10, v2, v10
	s_delay_alu instid0(VALU_DEP_2) | instskip(NEXT) | instid1(VALU_DEP_2)
	v_dual_mul_f32 v142, v3, v12 :: v_dual_fmac_f32 v141, v2, v9
	v_fma_f32 v143, v1, v9, -v10
	v_mul_f32_e32 v1, v4, v12
	s_delay_alu instid0(VALU_DEP_3) | instskip(NEXT) | instid1(VALU_DEP_2)
	v_fmac_f32_e32 v142, v4, v11
	v_fma_f32 v144, v3, v11, -v1
	s_clause 0x1
	scratch_load_b128 v[1:4], off, off offset:224
	scratch_load_b128 v[9:12], off, off offset:240
	s_wait_loadcnt_dscnt 0x100
	v_mul_f32_e32 v145, v5, v2
	v_dual_mul_f32 v2, v6, v2 :: v_dual_mul_f32 v147, v7, v4
	s_delay_alu instid0(VALU_DEP_2) | instskip(NEXT) | instid1(VALU_DEP_2)
	v_fmac_f32_e32 v145, v6, v1
	v_fma_f32 v146, v5, v1, -v2
	v_mul_f32_e32 v1, v8, v4
	s_delay_alu instid0(VALU_DEP_4) | instskip(NEXT) | instid1(VALU_DEP_2)
	v_fmac_f32_e32 v147, v8, v3
	v_fma_f32 v148, v7, v3, -v1
	ds_load_b128 v[1:4], v21 offset:640
	ds_load_b128 v[5:8], v21 offset:656
	s_wait_loadcnt_dscnt 0x1
	v_mul_f32_e32 v149, v1, v10
	v_mul_f32_e32 v151, v3, v12
	s_delay_alu instid0(VALU_DEP_2) | instskip(NEXT) | instid1(VALU_DEP_2)
	v_fmac_f32_e32 v149, v2, v9
	v_dual_mul_f32 v2, v2, v10 :: v_dual_fmac_f32 v151, v4, v11
	s_delay_alu instid0(VALU_DEP_1) | instskip(SKIP_1) | instid1(VALU_DEP_1)
	v_fma_f32 v150, v1, v9, -v2
	v_mul_f32_e32 v1, v4, v12
	v_fma_f32 v152, v3, v11, -v1
	s_clause 0x1
	scratch_load_b128 v[1:4], off, off offset:256
	scratch_load_b128 v[9:12], off, off offset:272
	s_wait_loadcnt_dscnt 0x100
	v_mul_f32_e32 v153, v5, v2
	v_dual_mul_f32 v2, v6, v2 :: v_dual_mul_f32 v155, v7, v4
	s_delay_alu instid0(VALU_DEP_2) | instskip(NEXT) | instid1(VALU_DEP_2)
	v_fmac_f32_e32 v153, v6, v1
	v_fma_f32 v154, v5, v1, -v2
	v_mul_f32_e32 v1, v8, v4
	s_delay_alu instid0(VALU_DEP_4) | instskip(NEXT) | instid1(VALU_DEP_2)
	v_fmac_f32_e32 v155, v8, v3
	v_fma_f32 v156, v7, v3, -v1
	ds_load_b128 v[1:4], v21 offset:672
	ds_load_b128 v[5:8], v21 offset:688
	s_wait_loadcnt_dscnt 0x1
	v_mul_f32_e32 v157, v1, v10
	v_mul_f32_e32 v159, v3, v12
	s_delay_alu instid0(VALU_DEP_2) | instskip(NEXT) | instid1(VALU_DEP_2)
	v_fmac_f32_e32 v157, v2, v9
	v_dual_mul_f32 v2, v2, v10 :: v_dual_fmac_f32 v159, v4, v11
	s_delay_alu instid0(VALU_DEP_1) | instskip(SKIP_1) | instid1(VALU_DEP_1)
	v_fma_f32 v158, v1, v9, -v2
	v_mul_f32_e32 v1, v4, v12
	;; [unrolled: 25-line block ×3, first 2 shown]
	v_fma_f32 v168, v3, v11, -v1
	s_clause 0x1
	scratch_load_b128 v[1:4], off, off offset:320
	scratch_load_b128 v[9:12], off, off offset:336
	s_wait_loadcnt_dscnt 0x100
	v_mul_f32_e32 v169, v5, v2
	v_mul_f32_e32 v2, v6, v2
	s_delay_alu instid0(VALU_DEP_1) | instskip(SKIP_1) | instid1(VALU_DEP_1)
	v_fma_f32 v170, v5, v1, -v2
	v_add_f32_e32 v2, 0, v138
	v_add_f32_e32 v2, v2, v139
	s_delay_alu instid0(VALU_DEP_1) | instskip(NEXT) | instid1(VALU_DEP_1)
	v_add_f32_e32 v2, v2, v25
	v_add_f32_e32 v2, v2, v26
	s_delay_alu instid0(VALU_DEP_1) | instskip(NEXT) | instid1(VALU_DEP_1)
	;; [unrolled: 3-line block ×4, first 2 shown]
	v_dual_add_f32 v2, v2, v15 :: v_dual_mul_f32 v171, v7, v4
	v_add_f32_e32 v2, v2, v18
	s_delay_alu instid0(VALU_DEP_1) | instskip(SKIP_2) | instid1(VALU_DEP_3)
	v_add_f32_e32 v2, v2, v19
	v_fmac_f32_e32 v169, v6, v1
	v_mul_f32_e32 v1, v8, v4
	v_dual_fmac_f32 v171, v8, v3 :: v_dual_add_f32 v2, v2, v20
	s_delay_alu instid0(VALU_DEP_2) | instskip(SKIP_1) | instid1(VALU_DEP_3)
	v_fma_f32 v172, v7, v3, -v1
	v_add_f32_e32 v1, 0, v22
	v_add_f32_e32 v5, v2, v141
	s_delay_alu instid0(VALU_DEP_2) | instskip(NEXT) | instid1(VALU_DEP_2)
	v_add_f32_e32 v1, v1, v24
	v_add_f32_e32 v5, v5, v142
	s_delay_alu instid0(VALU_DEP_2) | instskip(NEXT) | instid1(VALU_DEP_2)
	v_add_f32_e32 v1, v1, v128
	v_add_f32_e32 v5, v5, v145
	s_delay_alu instid0(VALU_DEP_2) | instskip(NEXT) | instid1(VALU_DEP_1)
	v_add_f32_e32 v1, v1, v129
	v_add_f32_e32 v1, v1, v130
	s_delay_alu instid0(VALU_DEP_1) | instskip(NEXT) | instid1(VALU_DEP_1)
	v_add_f32_e32 v1, v1, v131
	v_add_f32_e32 v1, v1, v13
	s_delay_alu instid0(VALU_DEP_1) | instskip(SKIP_1) | instid1(VALU_DEP_1)
	v_add_f32_e32 v1, v1, v14
	v_add_f32_e32 v14, v5, v147
	;; [unrolled: 1-line block ×3, first 2 shown]
	s_delay_alu instid0(VALU_DEP_1) | instskip(NEXT) | instid1(VALU_DEP_1)
	v_dual_add_f32 v14, v14, v151 :: v_dual_add_f32 v1, v1, v16
	v_add_f32_e32 v1, v1, v17
	s_delay_alu instid0(VALU_DEP_2) | instskip(NEXT) | instid1(VALU_DEP_2)
	v_add_f32_e32 v17, v14, v153
	v_add_f32_e32 v1, v1, v134
	s_delay_alu instid0(VALU_DEP_2) | instskip(NEXT) | instid1(VALU_DEP_2)
	v_add_f32_e32 v17, v17, v155
	v_add_f32_e32 v1, v1, v135
	s_delay_alu instid0(VALU_DEP_2) | instskip(NEXT) | instid1(VALU_DEP_2)
	v_add_f32_e32 v17, v17, v157
	v_add_f32_e32 v1, v1, v143
	s_delay_alu instid0(VALU_DEP_2) | instskip(NEXT) | instid1(VALU_DEP_2)
	v_add_f32_e32 v17, v17, v159
	v_add_f32_e32 v6, v1, v144
	ds_load_b128 v[1:4], v21 offset:736
	v_dual_add_f32 v25, v17, v161 :: v_dual_add_f32 v6, v6, v146
	s_delay_alu instid0(VALU_DEP_1)
	v_dual_add_f32 v132, v25, v163 :: v_dual_add_f32 v13, v6, v148
	ds_load_b128 v[5:8], v21 offset:752
	s_wait_loadcnt_dscnt 0x1
	v_mul_f32_e32 v22, v1, v10
	v_mul_f32_e32 v128, v3, v12
	;; [unrolled: 1-line block ×4, first 2 shown]
	s_delay_alu instid0(VALU_DEP_4) | instskip(NEXT) | instid1(VALU_DEP_4)
	v_fmac_f32_e32 v22, v2, v9
	v_fmac_f32_e32 v128, v4, v11
	s_delay_alu instid0(VALU_DEP_4) | instskip(NEXT) | instid1(VALU_DEP_4)
	v_fma_f32 v129, v1, v9, -v10
	v_fma_f32 v130, v3, v11, -v12
	s_clause 0x1
	scratch_load_b128 v[1:4], off, off offset:352
	scratch_load_b128 v[9:12], off, off offset:368
	v_add_f32_e32 v13, v13, v150
	s_delay_alu instid0(VALU_DEP_1) | instskip(NEXT) | instid1(VALU_DEP_1)
	v_add_f32_e32 v13, v13, v152
	v_add_f32_e32 v13, v13, v154
	s_delay_alu instid0(VALU_DEP_1) | instskip(SKIP_2) | instid1(VALU_DEP_1)
	v_add_f32_e32 v18, v13, v156
	scratch_load_b128 v[13:16], off, off offset:384
	v_add_f32_e32 v18, v18, v158
	v_add_f32_e32 v18, v18, v160
	s_delay_alu instid0(VALU_DEP_1)
	v_add_f32_e32 v24, v18, v162
	ds_load_b128 v[17:20], v21 offset:768
	v_add_f32_e32 v131, v24, v164
	ds_load_b128 v[24:27], v21 offset:784
	s_wait_loadcnt_dscnt 0x101
	v_dual_mul_f32 v133, v7, v4 :: v_dual_mul_f32 v134, v17, v10
	v_add_f32_e32 v21, v131, v166
	v_dual_add_f32 v131, v132, v165 :: v_dual_mul_f32 v132, v5, v2
	v_mul_f32_e32 v2, v6, v2
	v_mul_f32_e32 v4, v8, v4
	s_delay_alu instid0(VALU_DEP_4) | instskip(NEXT) | instid1(VALU_DEP_4)
	v_add_f32_e32 v21, v21, v168
	v_dual_fmac_f32 v133, v8, v3 :: v_dual_fmac_f32 v132, v6, v1
	s_delay_alu instid0(VALU_DEP_4) | instskip(SKIP_1) | instid1(VALU_DEP_4)
	v_fma_f32 v2, v5, v1, -v2
	v_mul_f32_e32 v6, v18, v10
	v_add_f32_e32 v21, v21, v170
	v_fma_f32 v3, v7, v3, -v4
	v_mul_f32_e32 v135, v19, v12
	v_mul_f32_e32 v4, v20, v12
	s_delay_alu instid0(VALU_DEP_4)
	v_dual_fmac_f32 v134, v18, v9 :: v_dual_add_f32 v21, v21, v172
	s_wait_loadcnt_dscnt 0x0
	v_dual_mul_f32 v138, v24, v14 :: v_dual_add_f32 v131, v131, v167
	v_fmac_f32_e32 v135, v20, v11
	v_fma_f32 v4, v19, v11, -v4
	v_add_f32_e32 v21, v21, v129
	s_delay_alu instid0(VALU_DEP_4) | instskip(SKIP_2) | instid1(VALU_DEP_4)
	v_fmac_f32_e32 v138, v25, v13
	v_add_f32_e32 v131, v131, v169
	v_mul_f32_e32 v129, v26, v16
	v_add_f32_e32 v1, v21, v130
	s_delay_alu instid0(VALU_DEP_3) | instskip(NEXT) | instid1(VALU_DEP_3)
	v_add_f32_e32 v131, v131, v171
	v_fmac_f32_e32 v129, v27, v15
	s_delay_alu instid0(VALU_DEP_3) | instskip(NEXT) | instid1(VALU_DEP_1)
	v_add_f32_e32 v1, v1, v2
	v_dual_add_f32 v22, v131, v22 :: v_dual_add_f32 v1, v1, v3
	v_mul_f32_e32 v3, v25, v14
	s_delay_alu instid0(VALU_DEP_2) | instskip(NEXT) | instid1(VALU_DEP_2)
	v_add_f32_e32 v5, v22, v128
	v_fma_f32 v3, v24, v13, -v3
	s_delay_alu instid0(VALU_DEP_2) | instskip(SKIP_1) | instid1(VALU_DEP_2)
	v_add_f32_e32 v2, v5, v132
	v_fma_f32 v5, v17, v9, -v6
	v_add_f32_e32 v2, v2, v133
	s_delay_alu instid0(VALU_DEP_2) | instskip(NEXT) | instid1(VALU_DEP_2)
	v_add_f32_e32 v1, v1, v5
	v_dual_mul_f32 v5, v27, v16 :: v_dual_add_f32 v2, v2, v134
	s_delay_alu instid0(VALU_DEP_2) | instskip(NEXT) | instid1(VALU_DEP_2)
	v_add_f32_e32 v1, v1, v4
	v_fma_f32 v4, v26, v15, -v5
	s_delay_alu instid0(VALU_DEP_3) | instskip(NEXT) | instid1(VALU_DEP_1)
	v_add_f32_e32 v2, v2, v135
	v_dual_add_f32 v1, v1, v3 :: v_dual_add_f32 v2, v2, v138
	s_delay_alu instid0(VALU_DEP_1) | instskip(NEXT) | instid1(VALU_DEP_1)
	v_dual_add_f32 v1, v1, v4 :: v_dual_add_f32 v2, v2, v129
	v_dual_sub_f32 v1, v136, v1 :: v_dual_sub_f32 v2, v137, v2
	scratch_store_b64 off, v[1:2], off offset:104
	v_cmpx_lt_u32_e32 12, v0
	s_cbranch_execz .LBB113_289
; %bb.288:
	scratch_load_b64 v[1:2], off, off offset:96
	v_mov_b32_e32 v3, 0
	s_delay_alu instid0(VALU_DEP_1)
	v_mov_b32_e32 v4, v3
	scratch_store_b64 off, v[3:4], off offset:96
	s_wait_loadcnt 0x0
	ds_store_b64 v23, v[1:2]
.LBB113_289:
	s_wait_alu 0xfffe
	s_or_b32 exec_lo, exec_lo, s0
	s_wait_storecnt_dscnt 0x0
	s_barrier_signal -1
	s_barrier_wait -1
	global_inv scope:SCOPE_SE
	s_clause 0x4
	scratch_load_b128 v[5:8], off, off offset:104
	scratch_load_b128 v[1:4], off, off offset:120
	;; [unrolled: 1-line block ×5, first 2 shown]
	v_mov_b32_e32 v21, 0
	ds_load_2addr_b64 v[24:27], v21 offset0:63 offset1:64
	ds_load_2addr_b64 v[128:131], v21 offset0:65 offset1:66
	;; [unrolled: 1-line block ×3, first 2 shown]
	scratch_load_b64 v[136:137], off, off offset:96
	s_mov_b32 s0, exec_lo
	s_wait_loadcnt_dscnt 0x502
	v_mul_f32_e32 v22, v25, v6
	v_dual_mul_f32 v138, v24, v6 :: v_dual_mul_f32 v139, v26, v8
	v_mul_f32_e32 v6, v27, v8
	s_delay_alu instid0(VALU_DEP_3) | instskip(NEXT) | instid1(VALU_DEP_3)
	v_fma_f32 v22, v24, v5, -v22
	v_dual_fmac_f32 v138, v25, v5 :: v_dual_fmac_f32 v139, v27, v7
	s_wait_loadcnt_dscnt 0x401
	v_mul_f32_e32 v25, v128, v2
	v_fma_f32 v24, v26, v7, -v6
	ds_load_2addr_b64 v[5:8], v21 offset0:69 offset1:70
	s_wait_loadcnt_dscnt 0x301
	v_dual_mul_f32 v26, v130, v4 :: v_dual_mul_f32 v27, v132, v10
	v_dual_mul_f32 v4, v131, v4 :: v_dual_fmac_f32 v25, v129, v1
	v_mul_f32_e32 v10, v133, v10
	s_delay_alu instid0(VALU_DEP_3)
	v_dual_mul_f32 v140, v134, v12 :: v_dual_fmac_f32 v27, v133, v9
	v_mul_f32_e32 v12, v135, v12
	v_mul_f32_e32 v2, v129, v2
	v_fmac_f32_e32 v26, v131, v3
	v_fma_f32 v129, v130, v3, -v4
	v_fma_f32 v130, v132, v9, -v10
	v_fmac_f32_e32 v140, v135, v11
	v_fma_f32 v131, v134, v11, -v12
	ds_load_2addr_b64 v[9:12], v21 offset0:71 offset1:72
	s_wait_loadcnt_dscnt 0x201
	v_mul_f32_e32 v133, v7, v16
	v_fma_f32 v128, v128, v1, -v2
	scratch_load_b128 v[1:4], off, off offset:184
	v_mul_f32_e32 v132, v5, v14
	v_mul_f32_e32 v14, v6, v14
	;; [unrolled: 1-line block ×3, first 2 shown]
	s_delay_alu instid0(VALU_DEP_3) | instskip(NEXT) | instid1(VALU_DEP_3)
	v_dual_fmac_f32 v133, v8, v15 :: v_dual_fmac_f32 v132, v6, v13
	v_fma_f32 v13, v5, v13, -v14
	s_delay_alu instid0(VALU_DEP_3)
	v_fma_f32 v14, v7, v15, -v16
	ds_load_2addr_b64 v[5:8], v21 offset0:73 offset1:74
	s_wait_loadcnt_dscnt 0x201
	v_mul_f32_e32 v15, v9, v18
	v_mul_f32_e32 v16, v10, v18
	;; [unrolled: 1-line block ×3, first 2 shown]
	s_delay_alu instid0(VALU_DEP_3) | instskip(NEXT) | instid1(VALU_DEP_3)
	v_dual_mul_f32 v20, v12, v20 :: v_dual_fmac_f32 v15, v10, v17
	v_fma_f32 v16, v9, v17, -v16
	s_delay_alu instid0(VALU_DEP_3) | instskip(NEXT) | instid1(VALU_DEP_3)
	v_fmac_f32_e32 v18, v12, v19
	v_fma_f32 v17, v11, v19, -v20
	scratch_load_b128 v[9:12], off, off offset:200
	s_wait_loadcnt_dscnt 0x100
	v_mul_f32_e32 v19, v5, v2
	v_mul_f32_e32 v2, v6, v2
	;; [unrolled: 1-line block ×3, first 2 shown]
	s_delay_alu instid0(VALU_DEP_3) | instskip(NEXT) | instid1(VALU_DEP_3)
	v_dual_mul_f32 v4, v8, v4 :: v_dual_fmac_f32 v19, v6, v1
	v_fma_f32 v134, v5, v1, -v2
	s_delay_alu instid0(VALU_DEP_3) | instskip(NEXT) | instid1(VALU_DEP_3)
	v_fmac_f32_e32 v20, v8, v3
	v_fma_f32 v135, v7, v3, -v4
	ds_load_2addr_b64 v[1:4], v21 offset0:75 offset1:76
	ds_load_2addr_b64 v[5:8], v21 offset0:77 offset1:78
	s_wait_loadcnt_dscnt 0x1
	v_mul_f32_e32 v141, v1, v10
	v_mul_f32_e32 v10, v2, v10
	s_delay_alu instid0(VALU_DEP_2) | instskip(NEXT) | instid1(VALU_DEP_2)
	v_dual_mul_f32 v142, v3, v12 :: v_dual_fmac_f32 v141, v2, v9
	v_fma_f32 v143, v1, v9, -v10
	v_mul_f32_e32 v1, v4, v12
	s_delay_alu instid0(VALU_DEP_3) | instskip(NEXT) | instid1(VALU_DEP_2)
	v_fmac_f32_e32 v142, v4, v11
	v_fma_f32 v144, v3, v11, -v1
	s_clause 0x1
	scratch_load_b128 v[1:4], off, off offset:216
	scratch_load_b128 v[9:12], off, off offset:232
	s_wait_loadcnt_dscnt 0x100
	v_mul_f32_e32 v145, v5, v2
	v_dual_mul_f32 v2, v6, v2 :: v_dual_mul_f32 v147, v7, v4
	s_delay_alu instid0(VALU_DEP_2) | instskip(NEXT) | instid1(VALU_DEP_2)
	v_fmac_f32_e32 v145, v6, v1
	v_fma_f32 v146, v5, v1, -v2
	v_mul_f32_e32 v1, v8, v4
	s_delay_alu instid0(VALU_DEP_4) | instskip(NEXT) | instid1(VALU_DEP_2)
	v_fmac_f32_e32 v147, v8, v3
	v_fma_f32 v148, v7, v3, -v1
	ds_load_2addr_b64 v[1:4], v21 offset0:79 offset1:80
	ds_load_2addr_b64 v[5:8], v21 offset0:81 offset1:82
	s_wait_loadcnt_dscnt 0x1
	v_mul_f32_e32 v149, v1, v10
	v_mul_f32_e32 v151, v3, v12
	s_delay_alu instid0(VALU_DEP_2) | instskip(NEXT) | instid1(VALU_DEP_2)
	v_fmac_f32_e32 v149, v2, v9
	v_dual_mul_f32 v2, v2, v10 :: v_dual_fmac_f32 v151, v4, v11
	s_delay_alu instid0(VALU_DEP_1) | instskip(SKIP_1) | instid1(VALU_DEP_1)
	v_fma_f32 v150, v1, v9, -v2
	v_mul_f32_e32 v1, v4, v12
	v_fma_f32 v152, v3, v11, -v1
	s_clause 0x1
	scratch_load_b128 v[1:4], off, off offset:248
	scratch_load_b128 v[9:12], off, off offset:264
	s_wait_loadcnt_dscnt 0x100
	v_mul_f32_e32 v153, v5, v2
	v_dual_mul_f32 v155, v7, v4 :: v_dual_mul_f32 v2, v6, v2
	s_delay_alu instid0(VALU_DEP_2) | instskip(NEXT) | instid1(VALU_DEP_2)
	v_fmac_f32_e32 v153, v6, v1
	v_fmac_f32_e32 v155, v8, v3
	s_delay_alu instid0(VALU_DEP_3) | instskip(SKIP_1) | instid1(VALU_DEP_1)
	v_fma_f32 v154, v5, v1, -v2
	v_mul_f32_e32 v1, v8, v4
	v_fma_f32 v156, v7, v3, -v1
	ds_load_2addr_b64 v[1:4], v21 offset0:83 offset1:84
	ds_load_2addr_b64 v[5:8], v21 offset0:85 offset1:86
	s_wait_loadcnt_dscnt 0x1
	v_mul_f32_e32 v157, v1, v10
	v_mul_f32_e32 v159, v3, v12
	s_delay_alu instid0(VALU_DEP_2) | instskip(NEXT) | instid1(VALU_DEP_2)
	v_fmac_f32_e32 v157, v2, v9
	v_dual_mul_f32 v2, v2, v10 :: v_dual_fmac_f32 v159, v4, v11
	s_delay_alu instid0(VALU_DEP_1) | instskip(SKIP_1) | instid1(VALU_DEP_1)
	v_fma_f32 v158, v1, v9, -v2
	v_mul_f32_e32 v1, v4, v12
	v_fma_f32 v160, v3, v11, -v1
	s_clause 0x1
	scratch_load_b128 v[1:4], off, off offset:280
	scratch_load_b128 v[9:12], off, off offset:296
	s_wait_loadcnt_dscnt 0x100
	v_mul_f32_e32 v161, v5, v2
	v_dual_mul_f32 v2, v6, v2 :: v_dual_mul_f32 v163, v7, v4
	s_delay_alu instid0(VALU_DEP_2) | instskip(NEXT) | instid1(VALU_DEP_2)
	v_fmac_f32_e32 v161, v6, v1
	v_fma_f32 v162, v5, v1, -v2
	v_mul_f32_e32 v1, v8, v4
	s_delay_alu instid0(VALU_DEP_4) | instskip(NEXT) | instid1(VALU_DEP_2)
	v_fmac_f32_e32 v163, v8, v3
	v_fma_f32 v164, v7, v3, -v1
	ds_load_2addr_b64 v[1:4], v21 offset0:87 offset1:88
	ds_load_2addr_b64 v[5:8], v21 offset0:89 offset1:90
	s_wait_loadcnt_dscnt 0x1
	v_mul_f32_e32 v165, v1, v10
	v_mul_f32_e32 v167, v3, v12
	s_delay_alu instid0(VALU_DEP_2) | instskip(NEXT) | instid1(VALU_DEP_2)
	v_fmac_f32_e32 v165, v2, v9
	v_dual_mul_f32 v2, v2, v10 :: v_dual_fmac_f32 v167, v4, v11
	s_delay_alu instid0(VALU_DEP_1) | instskip(SKIP_1) | instid1(VALU_DEP_1)
	v_fma_f32 v166, v1, v9, -v2
	v_mul_f32_e32 v1, v4, v12
	v_fma_f32 v168, v3, v11, -v1
	s_clause 0x1
	scratch_load_b128 v[1:4], off, off offset:312
	scratch_load_b128 v[9:12], off, off offset:328
	s_wait_loadcnt_dscnt 0x100
	v_mul_f32_e32 v169, v5, v2
	v_mul_f32_e32 v2, v6, v2
	s_delay_alu instid0(VALU_DEP_1) | instskip(SKIP_1) | instid1(VALU_DEP_1)
	v_fma_f32 v170, v5, v1, -v2
	v_add_f32_e32 v2, 0, v138
	v_add_f32_e32 v2, v2, v139
	s_delay_alu instid0(VALU_DEP_1) | instskip(NEXT) | instid1(VALU_DEP_1)
	v_add_f32_e32 v2, v2, v25
	v_add_f32_e32 v2, v2, v26
	s_delay_alu instid0(VALU_DEP_1) | instskip(NEXT) | instid1(VALU_DEP_1)
	;; [unrolled: 3-line block ×4, first 2 shown]
	v_add_f32_e32 v2, v2, v15
	v_add_f32_e32 v2, v2, v18
	s_delay_alu instid0(VALU_DEP_1) | instskip(SKIP_2) | instid1(VALU_DEP_3)
	v_add_f32_e32 v2, v2, v19
	v_fmac_f32_e32 v169, v6, v1
	v_mul_f32_e32 v1, v8, v4
	v_add_f32_e32 v2, v2, v20
	s_delay_alu instid0(VALU_DEP_2) | instskip(SKIP_1) | instid1(VALU_DEP_1)
	v_fma_f32 v172, v7, v3, -v1
	v_add_f32_e32 v1, 0, v22
	v_add_f32_e32 v1, v1, v24
	s_delay_alu instid0(VALU_DEP_1) | instskip(NEXT) | instid1(VALU_DEP_1)
	v_add_f32_e32 v1, v1, v128
	v_add_f32_e32 v1, v1, v129
	scratch_load_b64 v[128:129], off, off offset:392
	v_add_f32_e32 v1, v1, v130
	s_delay_alu instid0(VALU_DEP_1) | instskip(NEXT) | instid1(VALU_DEP_1)
	v_add_f32_e32 v1, v1, v131
	v_add_f32_e32 v1, v1, v13
	s_delay_alu instid0(VALU_DEP_1) | instskip(NEXT) | instid1(VALU_DEP_1)
	v_add_f32_e32 v1, v1, v14
	;; [unrolled: 3-line block ×5, first 2 shown]
	v_dual_mul_f32 v171, v7, v4 :: v_dual_add_f32 v6, v6, v146
	s_delay_alu instid0(VALU_DEP_1) | instskip(NEXT) | instid1(VALU_DEP_2)
	v_fmac_f32_e32 v171, v8, v3
	v_add_f32_e32 v13, v6, v148
	s_delay_alu instid0(VALU_DEP_1) | instskip(NEXT) | instid1(VALU_DEP_1)
	v_add_f32_e32 v13, v13, v150
	v_add_f32_e32 v13, v13, v152
	s_delay_alu instid0(VALU_DEP_1) | instskip(SKIP_4) | instid1(VALU_DEP_1)
	v_add_f32_e32 v13, v13, v154
	v_add_f32_e32 v5, v2, v141
	ds_load_2addr_b64 v[1:4], v21 offset0:91 offset1:92
	v_add_f32_e32 v18, v13, v156
	v_add_f32_e32 v5, v5, v142
	v_dual_add_f32 v18, v18, v158 :: v_dual_add_f32 v5, v5, v145
	s_delay_alu instid0(VALU_DEP_1) | instskip(NEXT) | instid1(VALU_DEP_2)
	v_add_f32_e32 v18, v18, v160
	v_add_f32_e32 v14, v5, v147
	ds_load_2addr_b64 v[5:8], v21 offset0:93 offset1:94
	v_add_f32_e32 v18, v18, v162
	v_add_f32_e32 v14, v14, v149
	s_wait_loadcnt_dscnt 0x101
	v_mul_f32_e32 v22, v1, v10
	v_mul_f32_e32 v10, v2, v10
	;; [unrolled: 1-line block ×4, first 2 shown]
	v_add_f32_e32 v14, v14, v151
	v_fmac_f32_e32 v22, v2, v9
	v_fma_f32 v133, v1, v9, -v10
	v_fmac_f32_e32 v132, v4, v11
	v_fma_f32 v134, v3, v11, -v12
	s_clause 0x1
	scratch_load_b128 v[1:4], off, off offset:344
	scratch_load_b128 v[9:12], off, off offset:360
	v_add_f32_e32 v17, v14, v153
	scratch_load_b128 v[13:16], off, off offset:376
	v_dual_add_f32 v18, v18, v164 :: v_dual_add_f32 v17, v17, v155
	s_delay_alu instid0(VALU_DEP_1) | instskip(NEXT) | instid1(VALU_DEP_1)
	v_dual_add_f32 v130, v18, v166 :: v_dual_add_f32 v17, v17, v157
	v_add_f32_e32 v135, v130, v168
	s_wait_loadcnt_dscnt 0x200
	s_delay_alu instid0(VALU_DEP_2) | instskip(NEXT) | instid1(VALU_DEP_1)
	v_dual_add_f32 v17, v17, v159 :: v_dual_mul_f32 v140, v7, v4
	v_dual_add_f32 v17, v17, v161 :: v_dual_mul_f32 v4, v8, v4
	s_delay_alu instid0(VALU_DEP_2) | instskip(NEXT) | instid1(VALU_DEP_2)
	v_dual_fmac_f32 v140, v8, v3 :: v_dual_mul_f32 v139, v5, v2
	v_add_f32_e32 v24, v17, v163
	ds_load_2addr_b64 v[17:20], v21 offset0:95 offset1:96
	v_mul_f32_e32 v2, v6, v2
	v_fmac_f32_e32 v139, v6, v1
	v_add_f32_e32 v135, v135, v170
	s_delay_alu instid0(VALU_DEP_3) | instskip(SKIP_1) | instid1(VALU_DEP_3)
	v_fma_f32 v2, v5, v1, -v2
	v_fma_f32 v1, v7, v3, -v4
	v_add_f32_e32 v135, v135, v172
	s_delay_alu instid0(VALU_DEP_1) | instskip(NEXT) | instid1(VALU_DEP_1)
	v_add_f32_e32 v133, v135, v133
	v_add_f32_e32 v133, v133, v134
	;; [unrolled: 1-line block ×3, first 2 shown]
	ds_load_2addr_b64 v[24:27], v21 offset0:97 offset1:98
	s_wait_loadcnt_dscnt 0x101
	v_mul_f32_e32 v3, v18, v10
	v_add_f32_e32 v2, v133, v2
	v_add_f32_e32 v138, v131, v167
	ds_load_b64 v[130:131], v21 offset:792
	v_fma_f32 v3, v17, v9, -v3
	v_add_f32_e32 v1, v2, v1
	v_add_f32_e32 v138, v138, v169
	s_delay_alu instid0(VALU_DEP_1) | instskip(NEXT) | instid1(VALU_DEP_1)
	v_add_f32_e32 v138, v138, v171
	v_add_f32_e32 v22, v138, v22
	s_wait_loadcnt_dscnt 0x1
	v_dual_mul_f32 v134, v26, v16 :: v_dual_mul_f32 v135, v17, v10
	v_mul_f32_e32 v138, v19, v12
	s_delay_alu instid0(VALU_DEP_3) | instskip(NEXT) | instid1(VALU_DEP_3)
	v_add_f32_e32 v22, v22, v132
	v_dual_fmac_f32 v134, v27, v15 :: v_dual_fmac_f32 v135, v18, v9
	s_wait_dscnt 0x0
	v_dual_mul_f32 v132, v130, v129 :: v_dual_mul_f32 v141, v24, v14
	s_delay_alu instid0(VALU_DEP_3) | instskip(SKIP_1) | instid1(VALU_DEP_3)
	v_add_f32_e32 v4, v22, v139
	v_fmac_f32_e32 v138, v20, v11
	v_dual_fmac_f32 v132, v131, v128 :: v_dual_fmac_f32 v141, v25, v13
	s_delay_alu instid0(VALU_DEP_3) | instskip(SKIP_1) | instid1(VALU_DEP_2)
	v_add_f32_e32 v2, v4, v140
	v_mul_f32_e32 v4, v25, v14
	v_dual_add_f32 v2, v2, v135 :: v_dual_mul_f32 v5, v20, v12
	s_delay_alu instid0(VALU_DEP_2) | instskip(NEXT) | instid1(VALU_DEP_2)
	v_fma_f32 v4, v24, v13, -v4
	v_add_f32_e32 v2, v2, v138
	s_delay_alu instid0(VALU_DEP_3) | instskip(NEXT) | instid1(VALU_DEP_2)
	v_fma_f32 v5, v19, v11, -v5
	v_dual_add_f32 v2, v2, v141 :: v_dual_add_f32 v1, v1, v3
	s_delay_alu instid0(VALU_DEP_1) | instskip(NEXT) | instid1(VALU_DEP_2)
	v_dual_mul_f32 v3, v27, v16 :: v_dual_add_f32 v2, v2, v134
	v_add_f32_e32 v1, v1, v5
	v_mul_f32_e32 v5, v131, v129
	s_delay_alu instid0(VALU_DEP_3) | instskip(NEXT) | instid1(VALU_DEP_4)
	v_fma_f32 v3, v26, v15, -v3
	v_add_f32_e32 v2, v2, v132
	s_delay_alu instid0(VALU_DEP_4) | instskip(NEXT) | instid1(VALU_DEP_4)
	v_add_f32_e32 v1, v1, v4
	v_fma_f32 v4, v130, v128, -v5
	s_delay_alu instid0(VALU_DEP_3) | instskip(NEXT) | instid1(VALU_DEP_3)
	v_sub_f32_e32 v2, v137, v2
	v_add_f32_e32 v1, v1, v3
	s_delay_alu instid0(VALU_DEP_1) | instskip(NEXT) | instid1(VALU_DEP_1)
	v_add_f32_e32 v1, v1, v4
	v_sub_f32_e32 v1, v136, v1
	scratch_store_b64 off, v[1:2], off offset:96
	v_cmpx_lt_u32_e32 11, v0
	s_cbranch_execz .LBB113_291
; %bb.290:
	scratch_load_b64 v[1:2], off, off offset:88
	v_mov_b32_e32 v22, v21
	scratch_store_b64 off, v[21:22], off offset:88
	s_wait_loadcnt 0x0
	ds_store_b64 v23, v[1:2]
.LBB113_291:
	s_wait_alu 0xfffe
	s_or_b32 exec_lo, exec_lo, s0
	s_wait_storecnt_dscnt 0x0
	s_barrier_signal -1
	s_barrier_wait -1
	global_inv scope:SCOPE_SE
	s_clause 0x4
	scratch_load_b128 v[5:8], off, off offset:96
	scratch_load_b128 v[1:4], off, off offset:112
	;; [unrolled: 1-line block ×5, first 2 shown]
	ds_load_b128 v[24:27], v21 offset:496
	ds_load_b128 v[128:131], v21 offset:512
	;; [unrolled: 1-line block ×3, first 2 shown]
	scratch_load_b64 v[136:137], off, off offset:88
	s_mov_b32 s0, exec_lo
	s_wait_loadcnt_dscnt 0x502
	v_dual_mul_f32 v22, v25, v6 :: v_dual_mul_f32 v139, v26, v8
	v_mul_f32_e32 v138, v24, v6
	v_mul_f32_e32 v6, v27, v8
	s_wait_loadcnt_dscnt 0x300
	v_mul_f32_e32 v140, v134, v12
	v_fma_f32 v22, v24, v5, -v22
	v_dual_fmac_f32 v139, v27, v7 :: v_dual_fmac_f32 v138, v25, v5
	v_mul_f32_e32 v27, v132, v10
	v_mul_f32_e32 v25, v128, v2
	v_fma_f32 v24, v26, v7, -v6
	ds_load_b128 v[5:8], v21 offset:544
	v_mul_f32_e32 v26, v130, v4
	v_dual_mul_f32 v4, v131, v4 :: v_dual_fmac_f32 v27, v133, v9
	v_mul_f32_e32 v10, v133, v10
	v_mul_f32_e32 v12, v135, v12
	;; [unrolled: 1-line block ×3, first 2 shown]
	v_dual_fmac_f32 v25, v129, v1 :: v_dual_fmac_f32 v26, v131, v3
	v_fma_f32 v129, v130, v3, -v4
	v_fma_f32 v130, v132, v9, -v10
	v_fmac_f32_e32 v140, v135, v11
	v_fma_f32 v131, v134, v11, -v12
	ds_load_b128 v[9:12], v21 offset:560
	s_wait_loadcnt_dscnt 0x201
	v_mul_f32_e32 v133, v7, v16
	v_fma_f32 v128, v128, v1, -v2
	scratch_load_b128 v[1:4], off, off offset:176
	v_mul_f32_e32 v132, v5, v14
	v_mul_f32_e32 v14, v6, v14
	;; [unrolled: 1-line block ×3, first 2 shown]
	s_delay_alu instid0(VALU_DEP_3) | instskip(NEXT) | instid1(VALU_DEP_3)
	v_dual_fmac_f32 v133, v8, v15 :: v_dual_fmac_f32 v132, v6, v13
	v_fma_f32 v13, v5, v13, -v14
	s_delay_alu instid0(VALU_DEP_3)
	v_fma_f32 v14, v7, v15, -v16
	ds_load_b128 v[5:8], v21 offset:576
	s_wait_loadcnt_dscnt 0x201
	v_mul_f32_e32 v15, v9, v18
	v_mul_f32_e32 v16, v10, v18
	;; [unrolled: 1-line block ×3, first 2 shown]
	s_delay_alu instid0(VALU_DEP_3) | instskip(NEXT) | instid1(VALU_DEP_3)
	v_dual_mul_f32 v20, v12, v20 :: v_dual_fmac_f32 v15, v10, v17
	v_fma_f32 v16, v9, v17, -v16
	s_delay_alu instid0(VALU_DEP_3) | instskip(NEXT) | instid1(VALU_DEP_3)
	v_fmac_f32_e32 v18, v12, v19
	v_fma_f32 v17, v11, v19, -v20
	scratch_load_b128 v[9:12], off, off offset:192
	s_wait_loadcnt_dscnt 0x100
	v_mul_f32_e32 v19, v5, v2
	v_mul_f32_e32 v2, v6, v2
	;; [unrolled: 1-line block ×3, first 2 shown]
	s_delay_alu instid0(VALU_DEP_3) | instskip(NEXT) | instid1(VALU_DEP_3)
	v_dual_mul_f32 v4, v8, v4 :: v_dual_fmac_f32 v19, v6, v1
	v_fma_f32 v134, v5, v1, -v2
	s_delay_alu instid0(VALU_DEP_3) | instskip(NEXT) | instid1(VALU_DEP_3)
	v_fmac_f32_e32 v20, v8, v3
	v_fma_f32 v135, v7, v3, -v4
	ds_load_b128 v[1:4], v21 offset:592
	ds_load_b128 v[5:8], v21 offset:608
	s_wait_loadcnt_dscnt 0x1
	v_mul_f32_e32 v141, v1, v10
	v_mul_f32_e32 v10, v2, v10
	s_delay_alu instid0(VALU_DEP_2) | instskip(NEXT) | instid1(VALU_DEP_2)
	v_dual_mul_f32 v142, v3, v12 :: v_dual_fmac_f32 v141, v2, v9
	v_fma_f32 v143, v1, v9, -v10
	v_mul_f32_e32 v1, v4, v12
	s_delay_alu instid0(VALU_DEP_3) | instskip(NEXT) | instid1(VALU_DEP_2)
	v_fmac_f32_e32 v142, v4, v11
	v_fma_f32 v144, v3, v11, -v1
	s_clause 0x1
	scratch_load_b128 v[1:4], off, off offset:208
	scratch_load_b128 v[9:12], off, off offset:224
	s_wait_loadcnt_dscnt 0x100
	v_mul_f32_e32 v145, v5, v2
	v_dual_mul_f32 v2, v6, v2 :: v_dual_mul_f32 v147, v7, v4
	s_delay_alu instid0(VALU_DEP_2) | instskip(NEXT) | instid1(VALU_DEP_2)
	v_fmac_f32_e32 v145, v6, v1
	v_fma_f32 v146, v5, v1, -v2
	v_mul_f32_e32 v1, v8, v4
	s_delay_alu instid0(VALU_DEP_4) | instskip(NEXT) | instid1(VALU_DEP_2)
	v_fmac_f32_e32 v147, v8, v3
	v_fma_f32 v148, v7, v3, -v1
	ds_load_b128 v[1:4], v21 offset:624
	ds_load_b128 v[5:8], v21 offset:640
	s_wait_loadcnt_dscnt 0x1
	v_mul_f32_e32 v149, v1, v10
	v_mul_f32_e32 v151, v3, v12
	s_delay_alu instid0(VALU_DEP_2) | instskip(NEXT) | instid1(VALU_DEP_2)
	v_fmac_f32_e32 v149, v2, v9
	v_dual_mul_f32 v2, v2, v10 :: v_dual_fmac_f32 v151, v4, v11
	s_delay_alu instid0(VALU_DEP_1) | instskip(SKIP_1) | instid1(VALU_DEP_1)
	v_fma_f32 v150, v1, v9, -v2
	v_mul_f32_e32 v1, v4, v12
	v_fma_f32 v152, v3, v11, -v1
	s_clause 0x1
	scratch_load_b128 v[1:4], off, off offset:240
	scratch_load_b128 v[9:12], off, off offset:256
	s_wait_loadcnt_dscnt 0x100
	v_mul_f32_e32 v153, v5, v2
	v_dual_mul_f32 v2, v6, v2 :: v_dual_mul_f32 v155, v7, v4
	s_delay_alu instid0(VALU_DEP_2) | instskip(NEXT) | instid1(VALU_DEP_2)
	v_fmac_f32_e32 v153, v6, v1
	v_fma_f32 v154, v5, v1, -v2
	v_mul_f32_e32 v1, v8, v4
	s_delay_alu instid0(VALU_DEP_4) | instskip(NEXT) | instid1(VALU_DEP_2)
	v_fmac_f32_e32 v155, v8, v3
	v_fma_f32 v156, v7, v3, -v1
	ds_load_b128 v[1:4], v21 offset:656
	ds_load_b128 v[5:8], v21 offset:672
	s_wait_loadcnt_dscnt 0x1
	v_mul_f32_e32 v157, v1, v10
	v_mul_f32_e32 v159, v3, v12
	s_delay_alu instid0(VALU_DEP_2) | instskip(NEXT) | instid1(VALU_DEP_2)
	v_fmac_f32_e32 v157, v2, v9
	v_dual_mul_f32 v2, v2, v10 :: v_dual_fmac_f32 v159, v4, v11
	s_delay_alu instid0(VALU_DEP_1) | instskip(SKIP_1) | instid1(VALU_DEP_1)
	v_fma_f32 v158, v1, v9, -v2
	v_mul_f32_e32 v1, v4, v12
	;; [unrolled: 25-line block ×3, first 2 shown]
	v_fma_f32 v168, v3, v11, -v1
	s_clause 0x1
	scratch_load_b128 v[1:4], off, off offset:304
	scratch_load_b128 v[9:12], off, off offset:320
	s_wait_loadcnt_dscnt 0x100
	v_mul_f32_e32 v169, v5, v2
	v_mul_f32_e32 v2, v6, v2
	s_delay_alu instid0(VALU_DEP_1) | instskip(SKIP_1) | instid1(VALU_DEP_1)
	v_fma_f32 v170, v5, v1, -v2
	v_add_f32_e32 v2, 0, v138
	v_add_f32_e32 v2, v2, v139
	s_delay_alu instid0(VALU_DEP_1) | instskip(NEXT) | instid1(VALU_DEP_1)
	v_add_f32_e32 v2, v2, v25
	v_add_f32_e32 v2, v2, v26
	s_delay_alu instid0(VALU_DEP_1) | instskip(NEXT) | instid1(VALU_DEP_1)
	;; [unrolled: 3-line block ×4, first 2 shown]
	v_dual_add_f32 v2, v2, v15 :: v_dual_mul_f32 v171, v7, v4
	v_add_f32_e32 v2, v2, v18
	s_delay_alu instid0(VALU_DEP_1) | instskip(SKIP_1) | instid1(VALU_DEP_2)
	v_add_f32_e32 v2, v2, v19
	v_fmac_f32_e32 v169, v6, v1
	v_dual_fmac_f32 v171, v8, v3 :: v_dual_add_f32 v2, v2, v20
	s_delay_alu instid0(VALU_DEP_1) | instskip(NEXT) | instid1(VALU_DEP_1)
	v_dual_mul_f32 v1, v8, v4 :: v_dual_add_f32 v2, v2, v141
	v_fma_f32 v172, v7, v3, -v1
	v_add_f32_e32 v1, 0, v22
	s_delay_alu instid0(VALU_DEP_3) | instskip(NEXT) | instid1(VALU_DEP_2)
	v_add_f32_e32 v5, v2, v142
	v_add_f32_e32 v1, v1, v24
	s_delay_alu instid0(VALU_DEP_1) | instskip(NEXT) | instid1(VALU_DEP_1)
	v_add_f32_e32 v1, v1, v128
	v_add_f32_e32 v1, v1, v129
	s_delay_alu instid0(VALU_DEP_1) | instskip(NEXT) | instid1(VALU_DEP_1)
	v_add_f32_e32 v1, v1, v130
	v_add_f32_e32 v1, v1, v131
	s_delay_alu instid0(VALU_DEP_1) | instskip(SKIP_1) | instid1(VALU_DEP_2)
	v_add_f32_e32 v1, v1, v13
	v_add_f32_e32 v13, v5, v145
	;; [unrolled: 1-line block ×3, first 2 shown]
	s_delay_alu instid0(VALU_DEP_2) | instskip(NEXT) | instid1(VALU_DEP_1)
	v_add_f32_e32 v13, v13, v147
	v_add_f32_e32 v13, v13, v149
	s_delay_alu instid0(VALU_DEP_1) | instskip(NEXT) | instid1(VALU_DEP_1)
	v_add_f32_e32 v18, v13, v151
	v_dual_add_f32 v18, v18, v153 :: v_dual_add_f32 v1, v1, v16
	s_delay_alu instid0(VALU_DEP_1) | instskip(NEXT) | instid1(VALU_DEP_1)
	v_add_f32_e32 v18, v18, v155
	v_add_f32_e32 v24, v18, v157
	s_delay_alu instid0(VALU_DEP_1) | instskip(NEXT) | instid1(VALU_DEP_1)
	v_dual_add_f32 v1, v1, v17 :: v_dual_add_f32 v24, v24, v159
	v_add_f32_e32 v1, v1, v134
	s_delay_alu instid0(VALU_DEP_1) | instskip(NEXT) | instid1(VALU_DEP_1)
	v_add_f32_e32 v1, v1, v135
	v_add_f32_e32 v1, v1, v143
	s_delay_alu instid0(VALU_DEP_1) | instskip(NEXT) | instid1(VALU_DEP_1)
	v_add_f32_e32 v1, v1, v144
	v_add_f32_e32 v6, v1, v146
	ds_load_b128 v[1:4], v21 offset:720
	v_add_f32_e32 v24, v24, v161
	v_add_f32_e32 v14, v6, v148
	scratch_load_b128 v[5:8], off, off offset:336
	v_add_f32_e32 v14, v14, v150
	s_delay_alu instid0(VALU_DEP_1)
	v_add_f32_e32 v17, v14, v152
	ds_load_b128 v[13:16], v21 offset:736
	s_wait_loadcnt_dscnt 0x101
	v_mul_f32_e32 v22, v1, v10
	v_mul_f32_e32 v10, v2, v10
	;; [unrolled: 1-line block ×4, first 2 shown]
	s_delay_alu instid0(VALU_DEP_4) | instskip(NEXT) | instid1(VALU_DEP_4)
	v_fmac_f32_e32 v22, v2, v9
	v_fma_f32 v129, v1, v9, -v10
	s_delay_alu instid0(VALU_DEP_4) | instskip(NEXT) | instid1(VALU_DEP_4)
	v_fmac_f32_e32 v128, v4, v11
	v_fma_f32 v130, v3, v11, -v12
	s_clause 0x1
	scratch_load_b128 v[1:4], off, off offset:352
	scratch_load_b128 v[9:12], off, off offset:368
	s_wait_loadcnt_dscnt 0x200
	v_mul_f32_e32 v131, v13, v6
	v_mul_f32_e32 v6, v14, v6
	;; [unrolled: 1-line block ×3, first 2 shown]
	s_delay_alu instid0(VALU_DEP_3) | instskip(NEXT) | instid1(VALU_DEP_3)
	v_dual_mul_f32 v8, v16, v8 :: v_dual_fmac_f32 v131, v14, v5
	v_fma_f32 v133, v13, v5, -v6
	s_delay_alu instid0(VALU_DEP_3) | instskip(NEXT) | instid1(VALU_DEP_3)
	v_fmac_f32_e32 v132, v16, v7
	v_fma_f32 v134, v15, v7, -v8
	ds_load_b128 v[5:8], v21 offset:752
	v_add_f32_e32 v17, v17, v154
	v_add_f32_e32 v13, v24, v163
	s_delay_alu instid0(VALU_DEP_2) | instskip(NEXT) | instid1(VALU_DEP_1)
	v_add_f32_e32 v17, v17, v156
	v_add_f32_e32 v17, v17, v158
	s_delay_alu instid0(VALU_DEP_1) | instskip(SKIP_2) | instid1(VALU_DEP_1)
	v_add_f32_e32 v25, v17, v160
	scratch_load_b128 v[17:20], off, off offset:384
	v_add_f32_e32 v25, v25, v162
	v_add_f32_e32 v25, v25, v164
	s_delay_alu instid0(VALU_DEP_1)
	v_add_f32_e32 v24, v25, v166
	v_add_f32_e32 v25, v13, v165
	ds_load_b128 v[13:16], v21 offset:768
	v_dual_add_f32 v135, v24, v168 :: v_dual_add_f32 v138, v25, v167
	ds_load_b128 v[24:27], v21 offset:784
	v_add_f32_e32 v21, v135, v170
	s_delay_alu instid0(VALU_DEP_1) | instskip(SKIP_2) | instid1(VALU_DEP_1)
	v_add_f32_e32 v21, v21, v172
	s_wait_loadcnt_dscnt 0x101
	v_mul_f32_e32 v139, v15, v12
	v_fmac_f32_e32 v139, v16, v11
	s_delay_alu instid0(VALU_DEP_3) | instskip(NEXT) | instid1(VALU_DEP_1)
	v_add_f32_e32 v21, v21, v129
	v_add_f32_e32 v21, v21, v130
	s_wait_loadcnt_dscnt 0x0
	s_delay_alu instid0(VALU_DEP_1) | instskip(SKIP_2) | instid1(VALU_DEP_3)
	v_dual_add_f32 v21, v21, v133 :: v_dual_mul_f32 v130, v26, v20
	v_dual_add_f32 v135, v138, v169 :: v_dual_mul_f32 v138, v5, v2
	v_mul_f32_e32 v2, v6, v2
	v_fmac_f32_e32 v130, v27, v19
	s_delay_alu instid0(VALU_DEP_3)
	v_add_f32_e32 v135, v135, v171
	v_mul_f32_e32 v129, v7, v4
	v_mul_f32_e32 v4, v8, v4
	v_fma_f32 v2, v5, v1, -v2
	v_fmac_f32_e32 v138, v6, v1
	v_add_f32_e32 v22, v135, v22
	v_add_f32_e32 v1, v21, v134
	v_dual_mul_f32 v6, v14, v10 :: v_dual_fmac_f32 v129, v8, v3
	v_fma_f32 v3, v7, v3, -v4
	s_delay_alu instid0(VALU_DEP_4) | instskip(SKIP_2) | instid1(VALU_DEP_3)
	v_add_f32_e32 v22, v22, v128
	v_mul_f32_e32 v128, v24, v18
	v_dual_add_f32 v1, v1, v2 :: v_dual_mul_f32 v4, v16, v12
	v_add_f32_e32 v22, v22, v131
	s_delay_alu instid0(VALU_DEP_3) | instskip(SKIP_1) | instid1(VALU_DEP_4)
	v_fmac_f32_e32 v128, v25, v17
	v_mul_f32_e32 v135, v13, v10
	v_add_f32_e32 v1, v1, v3
	v_mul_f32_e32 v3, v25, v18
	v_add_f32_e32 v5, v22, v132
	v_fma_f32 v4, v15, v11, -v4
	v_fmac_f32_e32 v135, v14, v9
	s_delay_alu instid0(VALU_DEP_4) | instskip(NEXT) | instid1(VALU_DEP_4)
	v_fma_f32 v3, v24, v17, -v3
	v_add_f32_e32 v2, v5, v138
	v_fma_f32 v5, v13, v9, -v6
	s_delay_alu instid0(VALU_DEP_2) | instskip(NEXT) | instid1(VALU_DEP_2)
	v_add_f32_e32 v2, v2, v129
	v_add_f32_e32 v1, v1, v5
	s_delay_alu instid0(VALU_DEP_2) | instskip(NEXT) | instid1(VALU_DEP_2)
	v_dual_mul_f32 v5, v27, v20 :: v_dual_add_f32 v2, v2, v135
	v_add_f32_e32 v1, v1, v4
	s_delay_alu instid0(VALU_DEP_2) | instskip(NEXT) | instid1(VALU_DEP_3)
	v_fma_f32 v4, v26, v19, -v5
	v_add_f32_e32 v2, v2, v139
	s_delay_alu instid0(VALU_DEP_1) | instskip(NEXT) | instid1(VALU_DEP_1)
	v_dual_add_f32 v1, v1, v3 :: v_dual_add_f32 v2, v2, v128
	v_dual_add_f32 v1, v1, v4 :: v_dual_add_f32 v2, v2, v130
	s_delay_alu instid0(VALU_DEP_1)
	v_dual_sub_f32 v1, v136, v1 :: v_dual_sub_f32 v2, v137, v2
	scratch_store_b64 off, v[1:2], off offset:88
	v_cmpx_lt_u32_e32 10, v0
	s_cbranch_execz .LBB113_293
; %bb.292:
	scratch_load_b64 v[1:2], off, off offset:80
	v_mov_b32_e32 v3, 0
	s_delay_alu instid0(VALU_DEP_1)
	v_mov_b32_e32 v4, v3
	scratch_store_b64 off, v[3:4], off offset:80
	s_wait_loadcnt 0x0
	ds_store_b64 v23, v[1:2]
.LBB113_293:
	s_wait_alu 0xfffe
	s_or_b32 exec_lo, exec_lo, s0
	s_wait_storecnt_dscnt 0x0
	s_barrier_signal -1
	s_barrier_wait -1
	global_inv scope:SCOPE_SE
	s_clause 0x4
	scratch_load_b128 v[5:8], off, off offset:88
	scratch_load_b128 v[1:4], off, off offset:104
	;; [unrolled: 1-line block ×5, first 2 shown]
	v_mov_b32_e32 v21, 0
	ds_load_2addr_b64 v[24:27], v21 offset0:61 offset1:62
	ds_load_2addr_b64 v[128:131], v21 offset0:63 offset1:64
	;; [unrolled: 1-line block ×3, first 2 shown]
	scratch_load_b64 v[136:137], off, off offset:80
	s_mov_b32 s0, exec_lo
	s_wait_loadcnt_dscnt 0x502
	v_mul_f32_e32 v22, v25, v6
	v_dual_mul_f32 v138, v24, v6 :: v_dual_mul_f32 v139, v26, v8
	v_mul_f32_e32 v6, v27, v8
	s_delay_alu instid0(VALU_DEP_3) | instskip(NEXT) | instid1(VALU_DEP_3)
	v_fma_f32 v22, v24, v5, -v22
	v_dual_fmac_f32 v138, v25, v5 :: v_dual_fmac_f32 v139, v27, v7
	s_wait_loadcnt_dscnt 0x401
	v_mul_f32_e32 v25, v128, v2
	v_fma_f32 v24, v26, v7, -v6
	ds_load_2addr_b64 v[5:8], v21 offset0:67 offset1:68
	s_wait_loadcnt_dscnt 0x301
	v_dual_mul_f32 v26, v130, v4 :: v_dual_mul_f32 v27, v132, v10
	v_dual_mul_f32 v4, v131, v4 :: v_dual_fmac_f32 v25, v129, v1
	v_mul_f32_e32 v10, v133, v10
	s_delay_alu instid0(VALU_DEP_3)
	v_dual_mul_f32 v140, v134, v12 :: v_dual_fmac_f32 v27, v133, v9
	v_mul_f32_e32 v12, v135, v12
	v_mul_f32_e32 v2, v129, v2
	v_fmac_f32_e32 v26, v131, v3
	v_fma_f32 v129, v130, v3, -v4
	v_fma_f32 v130, v132, v9, -v10
	v_fmac_f32_e32 v140, v135, v11
	v_fma_f32 v131, v134, v11, -v12
	ds_load_2addr_b64 v[9:12], v21 offset0:69 offset1:70
	s_wait_loadcnt_dscnt 0x201
	v_mul_f32_e32 v133, v7, v16
	v_fma_f32 v128, v128, v1, -v2
	scratch_load_b128 v[1:4], off, off offset:168
	v_mul_f32_e32 v132, v5, v14
	v_mul_f32_e32 v14, v6, v14
	;; [unrolled: 1-line block ×3, first 2 shown]
	s_delay_alu instid0(VALU_DEP_3) | instskip(NEXT) | instid1(VALU_DEP_3)
	v_dual_fmac_f32 v133, v8, v15 :: v_dual_fmac_f32 v132, v6, v13
	v_fma_f32 v13, v5, v13, -v14
	s_delay_alu instid0(VALU_DEP_3)
	v_fma_f32 v14, v7, v15, -v16
	ds_load_2addr_b64 v[5:8], v21 offset0:71 offset1:72
	s_wait_loadcnt_dscnt 0x201
	v_mul_f32_e32 v15, v9, v18
	v_mul_f32_e32 v16, v10, v18
	;; [unrolled: 1-line block ×3, first 2 shown]
	s_delay_alu instid0(VALU_DEP_3) | instskip(NEXT) | instid1(VALU_DEP_3)
	v_dual_mul_f32 v20, v12, v20 :: v_dual_fmac_f32 v15, v10, v17
	v_fma_f32 v16, v9, v17, -v16
	s_delay_alu instid0(VALU_DEP_3) | instskip(NEXT) | instid1(VALU_DEP_3)
	v_fmac_f32_e32 v18, v12, v19
	v_fma_f32 v17, v11, v19, -v20
	scratch_load_b128 v[9:12], off, off offset:184
	s_wait_loadcnt_dscnt 0x100
	v_mul_f32_e32 v19, v5, v2
	v_mul_f32_e32 v2, v6, v2
	;; [unrolled: 1-line block ×3, first 2 shown]
	s_delay_alu instid0(VALU_DEP_3) | instskip(NEXT) | instid1(VALU_DEP_3)
	v_dual_mul_f32 v4, v8, v4 :: v_dual_fmac_f32 v19, v6, v1
	v_fma_f32 v134, v5, v1, -v2
	s_delay_alu instid0(VALU_DEP_3) | instskip(NEXT) | instid1(VALU_DEP_3)
	v_fmac_f32_e32 v20, v8, v3
	v_fma_f32 v135, v7, v3, -v4
	ds_load_2addr_b64 v[1:4], v21 offset0:73 offset1:74
	ds_load_2addr_b64 v[5:8], v21 offset0:75 offset1:76
	s_wait_loadcnt_dscnt 0x1
	v_mul_f32_e32 v141, v1, v10
	v_mul_f32_e32 v10, v2, v10
	s_delay_alu instid0(VALU_DEP_2) | instskip(NEXT) | instid1(VALU_DEP_2)
	v_dual_mul_f32 v142, v3, v12 :: v_dual_fmac_f32 v141, v2, v9
	v_fma_f32 v143, v1, v9, -v10
	v_mul_f32_e32 v1, v4, v12
	s_delay_alu instid0(VALU_DEP_3) | instskip(NEXT) | instid1(VALU_DEP_2)
	v_fmac_f32_e32 v142, v4, v11
	v_fma_f32 v144, v3, v11, -v1
	s_clause 0x1
	scratch_load_b128 v[1:4], off, off offset:200
	scratch_load_b128 v[9:12], off, off offset:216
	s_wait_loadcnt_dscnt 0x100
	v_mul_f32_e32 v145, v5, v2
	v_dual_mul_f32 v2, v6, v2 :: v_dual_mul_f32 v147, v7, v4
	s_delay_alu instid0(VALU_DEP_2) | instskip(NEXT) | instid1(VALU_DEP_2)
	v_fmac_f32_e32 v145, v6, v1
	v_fma_f32 v146, v5, v1, -v2
	v_mul_f32_e32 v1, v8, v4
	s_delay_alu instid0(VALU_DEP_4) | instskip(NEXT) | instid1(VALU_DEP_2)
	v_fmac_f32_e32 v147, v8, v3
	v_fma_f32 v148, v7, v3, -v1
	ds_load_2addr_b64 v[1:4], v21 offset0:77 offset1:78
	ds_load_2addr_b64 v[5:8], v21 offset0:79 offset1:80
	s_wait_loadcnt_dscnt 0x1
	v_mul_f32_e32 v149, v1, v10
	v_mul_f32_e32 v151, v3, v12
	s_delay_alu instid0(VALU_DEP_2) | instskip(NEXT) | instid1(VALU_DEP_2)
	v_fmac_f32_e32 v149, v2, v9
	v_dual_mul_f32 v2, v2, v10 :: v_dual_fmac_f32 v151, v4, v11
	s_delay_alu instid0(VALU_DEP_1) | instskip(SKIP_1) | instid1(VALU_DEP_1)
	v_fma_f32 v150, v1, v9, -v2
	v_mul_f32_e32 v1, v4, v12
	v_fma_f32 v152, v3, v11, -v1
	s_clause 0x1
	scratch_load_b128 v[1:4], off, off offset:232
	scratch_load_b128 v[9:12], off, off offset:248
	s_wait_loadcnt_dscnt 0x100
	v_mul_f32_e32 v153, v5, v2
	v_dual_mul_f32 v155, v7, v4 :: v_dual_mul_f32 v2, v6, v2
	s_delay_alu instid0(VALU_DEP_2) | instskip(NEXT) | instid1(VALU_DEP_2)
	v_fmac_f32_e32 v153, v6, v1
	v_fmac_f32_e32 v155, v8, v3
	s_delay_alu instid0(VALU_DEP_3) | instskip(SKIP_1) | instid1(VALU_DEP_1)
	v_fma_f32 v154, v5, v1, -v2
	v_mul_f32_e32 v1, v8, v4
	v_fma_f32 v156, v7, v3, -v1
	ds_load_2addr_b64 v[1:4], v21 offset0:81 offset1:82
	ds_load_2addr_b64 v[5:8], v21 offset0:83 offset1:84
	s_wait_loadcnt_dscnt 0x1
	v_mul_f32_e32 v157, v1, v10
	v_mul_f32_e32 v159, v3, v12
	s_delay_alu instid0(VALU_DEP_2) | instskip(NEXT) | instid1(VALU_DEP_2)
	v_fmac_f32_e32 v157, v2, v9
	v_dual_mul_f32 v2, v2, v10 :: v_dual_fmac_f32 v159, v4, v11
	s_delay_alu instid0(VALU_DEP_1) | instskip(SKIP_1) | instid1(VALU_DEP_1)
	v_fma_f32 v158, v1, v9, -v2
	v_mul_f32_e32 v1, v4, v12
	v_fma_f32 v160, v3, v11, -v1
	s_clause 0x1
	scratch_load_b128 v[1:4], off, off offset:264
	scratch_load_b128 v[9:12], off, off offset:280
	s_wait_loadcnt_dscnt 0x100
	v_mul_f32_e32 v161, v5, v2
	v_dual_mul_f32 v2, v6, v2 :: v_dual_mul_f32 v163, v7, v4
	s_delay_alu instid0(VALU_DEP_2) | instskip(NEXT) | instid1(VALU_DEP_2)
	v_fmac_f32_e32 v161, v6, v1
	v_fma_f32 v162, v5, v1, -v2
	v_mul_f32_e32 v1, v8, v4
	s_delay_alu instid0(VALU_DEP_4) | instskip(NEXT) | instid1(VALU_DEP_2)
	v_fmac_f32_e32 v163, v8, v3
	v_fma_f32 v164, v7, v3, -v1
	ds_load_2addr_b64 v[1:4], v21 offset0:85 offset1:86
	ds_load_2addr_b64 v[5:8], v21 offset0:87 offset1:88
	s_wait_loadcnt_dscnt 0x1
	v_mul_f32_e32 v165, v1, v10
	v_mul_f32_e32 v167, v3, v12
	s_delay_alu instid0(VALU_DEP_2) | instskip(NEXT) | instid1(VALU_DEP_2)
	v_fmac_f32_e32 v165, v2, v9
	v_dual_mul_f32 v2, v2, v10 :: v_dual_fmac_f32 v167, v4, v11
	s_delay_alu instid0(VALU_DEP_1) | instskip(SKIP_1) | instid1(VALU_DEP_1)
	v_fma_f32 v166, v1, v9, -v2
	v_mul_f32_e32 v1, v4, v12
	v_fma_f32 v168, v3, v11, -v1
	s_clause 0x1
	scratch_load_b128 v[1:4], off, off offset:296
	scratch_load_b128 v[9:12], off, off offset:312
	s_wait_loadcnt_dscnt 0x100
	v_mul_f32_e32 v169, v5, v2
	v_mul_f32_e32 v2, v6, v2
	s_delay_alu instid0(VALU_DEP_1) | instskip(SKIP_1) | instid1(VALU_DEP_1)
	v_fma_f32 v170, v5, v1, -v2
	v_add_f32_e32 v2, 0, v138
	v_add_f32_e32 v2, v2, v139
	s_delay_alu instid0(VALU_DEP_1) | instskip(NEXT) | instid1(VALU_DEP_1)
	v_add_f32_e32 v2, v2, v25
	v_add_f32_e32 v2, v2, v26
	s_delay_alu instid0(VALU_DEP_1) | instskip(NEXT) | instid1(VALU_DEP_1)
	;; [unrolled: 3-line block ×4, first 2 shown]
	v_add_f32_e32 v2, v2, v15
	v_add_f32_e32 v2, v2, v18
	s_delay_alu instid0(VALU_DEP_1) | instskip(SKIP_2) | instid1(VALU_DEP_3)
	v_add_f32_e32 v2, v2, v19
	v_fmac_f32_e32 v169, v6, v1
	v_mul_f32_e32 v1, v8, v4
	v_add_f32_e32 v2, v2, v20
	v_mul_f32_e32 v171, v7, v4
	s_delay_alu instid0(VALU_DEP_3) | instskip(NEXT) | instid1(VALU_DEP_3)
	v_fma_f32 v172, v7, v3, -v1
	v_dual_add_f32 v1, 0, v22 :: v_dual_add_f32 v2, v2, v141
	s_delay_alu instid0(VALU_DEP_1) | instskip(NEXT) | instid1(VALU_DEP_2)
	v_add_f32_e32 v1, v1, v24
	v_add_f32_e32 v5, v2, v142
	s_delay_alu instid0(VALU_DEP_2) | instskip(NEXT) | instid1(VALU_DEP_1)
	v_add_f32_e32 v1, v1, v128
	v_add_f32_e32 v1, v1, v129
	scratch_load_b64 v[128:129], off, off offset:392
	v_add_f32_e32 v1, v1, v130
	s_delay_alu instid0(VALU_DEP_1) | instskip(NEXT) | instid1(VALU_DEP_1)
	v_add_f32_e32 v1, v1, v131
	v_add_f32_e32 v1, v1, v13
	;; [unrolled: 1-line block ×3, first 2 shown]
	s_delay_alu instid0(VALU_DEP_1) | instskip(NEXT) | instid1(VALU_DEP_1)
	v_add_f32_e32 v13, v13, v147
	v_add_f32_e32 v13, v13, v149
	s_delay_alu instid0(VALU_DEP_1) | instskip(NEXT) | instid1(VALU_DEP_1)
	v_add_f32_e32 v18, v13, v151
	v_dual_add_f32 v18, v18, v153 :: v_dual_add_f32 v1, v1, v14
	s_delay_alu instid0(VALU_DEP_1) | instskip(NEXT) | instid1(VALU_DEP_1)
	v_dual_add_f32 v18, v18, v155 :: v_dual_add_f32 v1, v1, v16
	v_add_f32_e32 v24, v18, v157
	s_delay_alu instid0(VALU_DEP_1) | instskip(NEXT) | instid1(VALU_DEP_1)
	v_dual_add_f32 v1, v1, v17 :: v_dual_add_f32 v24, v24, v159
	v_add_f32_e32 v1, v1, v134
	s_delay_alu instid0(VALU_DEP_1) | instskip(NEXT) | instid1(VALU_DEP_1)
	v_add_f32_e32 v1, v1, v135
	v_add_f32_e32 v1, v1, v143
	s_delay_alu instid0(VALU_DEP_1) | instskip(NEXT) | instid1(VALU_DEP_1)
	v_add_f32_e32 v1, v1, v144
	v_dual_add_f32 v6, v1, v146 :: v_dual_fmac_f32 v171, v8, v3
	scratch_load_b128 v[1:4], off, off offset:328
	v_add_f32_e32 v24, v24, v161
	v_add_f32_e32 v14, v6, v148
	ds_load_2addr_b64 v[5:8], v21 offset0:89 offset1:90
	v_add_f32_e32 v24, v24, v163
	v_add_f32_e32 v14, v14, v150
	s_delay_alu instid0(VALU_DEP_1)
	v_add_f32_e32 v17, v14, v152
	ds_load_2addr_b64 v[13:16], v21 offset0:91 offset1:92
	s_wait_loadcnt_dscnt 0x201
	v_mul_f32_e32 v22, v5, v10
	v_mul_f32_e32 v10, v6, v10
	;; [unrolled: 1-line block ×4, first 2 shown]
	s_delay_alu instid0(VALU_DEP_4) | instskip(NEXT) | instid1(VALU_DEP_4)
	v_fmac_f32_e32 v22, v6, v9
	v_fma_f32 v133, v5, v9, -v10
	s_delay_alu instid0(VALU_DEP_4) | instskip(NEXT) | instid1(VALU_DEP_4)
	v_fmac_f32_e32 v132, v8, v11
	v_fma_f32 v134, v7, v11, -v12
	s_clause 0x1
	scratch_load_b128 v[5:8], off, off offset:344
	scratch_load_b128 v[9:12], off, off offset:360
	s_wait_loadcnt_dscnt 0x200
	v_mul_f32_e32 v135, v13, v2
	v_mul_f32_e32 v2, v14, v2
	;; [unrolled: 1-line block ×3, first 2 shown]
	s_delay_alu instid0(VALU_DEP_3) | instskip(NEXT) | instid1(VALU_DEP_3)
	v_dual_mul_f32 v4, v16, v4 :: v_dual_fmac_f32 v135, v14, v1
	v_fma_f32 v139, v13, v1, -v2
	v_add_f32_e32 v13, v24, v165
	s_delay_alu instid0(VALU_DEP_4) | instskip(NEXT) | instid1(VALU_DEP_4)
	v_fmac_f32_e32 v138, v16, v3
	v_fma_f32 v140, v15, v3, -v4
	ds_load_2addr_b64 v[1:4], v21 offset0:93 offset1:94
	v_add_f32_e32 v24, v13, v167
	s_delay_alu instid0(VALU_DEP_1) | instskip(NEXT) | instid1(VALU_DEP_1)
	v_add_f32_e32 v131, v24, v169
	v_add_f32_e32 v142, v131, v171
	s_delay_alu instid0(VALU_DEP_1) | instskip(NEXT) | instid1(VALU_DEP_1)
	v_add_f32_e32 v22, v142, v22
	v_dual_add_f32 v17, v17, v154 :: v_dual_add_f32 v22, v22, v132
	s_delay_alu instid0(VALU_DEP_1) | instskip(NEXT) | instid1(VALU_DEP_1)
	v_dual_add_f32 v17, v17, v156 :: v_dual_add_f32 v22, v22, v135
	v_add_f32_e32 v17, v17, v158
	s_delay_alu instid0(VALU_DEP_1) | instskip(SKIP_2) | instid1(VALU_DEP_1)
	v_dual_add_f32 v22, v22, v138 :: v_dual_add_f32 v25, v17, v160
	scratch_load_b128 v[17:20], off, off offset:376
	v_add_f32_e32 v25, v25, v162
	v_add_f32_e32 v25, v25, v164
	s_delay_alu instid0(VALU_DEP_1) | instskip(NEXT) | instid1(VALU_DEP_1)
	v_add_f32_e32 v25, v25, v166
	v_add_f32_e32 v14, v25, v168
	ds_load_2addr_b64 v[24:27], v21 offset0:97 offset1:98
	v_add_f32_e32 v130, v14, v170
	ds_load_2addr_b64 v[13:16], v21 offset0:95 offset1:96
	s_wait_loadcnt_dscnt 0x202
	v_mul_f32_e32 v132, v3, v8
	v_mul_f32_e32 v8, v4, v8
	v_add_f32_e32 v141, v130, v172
	ds_load_b64 v[130:131], v21 offset:792
	v_dual_fmac_f32 v132, v4, v7 :: v_dual_add_f32 v133, v141, v133
	s_delay_alu instid0(VALU_DEP_1)
	v_add_f32_e32 v133, v133, v134
	s_wait_loadcnt_dscnt 0x101
	v_mul_f32_e32 v134, v13, v10
	v_mul_f32_e32 v141, v1, v6
	v_dual_mul_f32 v6, v2, v6 :: v_dual_mul_f32 v135, v15, v12
	s_wait_dscnt 0x0
	v_mul_f32_e32 v138, v130, v129
	v_fmac_f32_e32 v134, v14, v9
	v_fmac_f32_e32 v141, v2, v5
	v_fma_f32 v1, v1, v5, -v6
	v_fma_f32 v2, v3, v7, -v8
	v_dual_fmac_f32 v138, v131, v128 :: v_dual_mul_f32 v3, v14, v10
	s_delay_alu instid0(VALU_DEP_4) | instskip(NEXT) | instid1(VALU_DEP_2)
	v_dual_add_f32 v4, v22, v141 :: v_dual_add_f32 v133, v133, v139
	v_fma_f32 v3, v13, v9, -v3
	s_delay_alu instid0(VALU_DEP_2) | instskip(SKIP_2) | instid1(VALU_DEP_1)
	v_add_f32_e32 v133, v133, v140
	s_wait_loadcnt 0x0
	v_mul_f32_e32 v140, v26, v20
	v_dual_fmac_f32 v140, v27, v19 :: v_dual_add_f32 v1, v133, v1
	s_delay_alu instid0(VALU_DEP_1) | instskip(SKIP_1) | instid1(VALU_DEP_2)
	v_dual_add_f32 v1, v1, v2 :: v_dual_add_f32 v2, v4, v132
	v_dual_mul_f32 v4, v25, v18 :: v_dual_fmac_f32 v135, v16, v11
	v_add_f32_e32 v2, v2, v134
	v_mul_f32_e32 v139, v24, v18
	s_delay_alu instid0(VALU_DEP_3) | instskip(NEXT) | instid1(VALU_DEP_2)
	v_fma_f32 v4, v24, v17, -v4
	v_dual_add_f32 v2, v2, v135 :: v_dual_fmac_f32 v139, v25, v17
	s_delay_alu instid0(VALU_DEP_1) | instskip(NEXT) | instid1(VALU_DEP_1)
	v_add_f32_e32 v2, v2, v139
	v_add_f32_e32 v2, v2, v140
	v_mul_f32_e32 v5, v16, v12
	v_add_f32_e32 v1, v1, v3
	s_delay_alu instid0(VALU_DEP_3) | instskip(NEXT) | instid1(VALU_DEP_3)
	v_dual_mul_f32 v3, v27, v20 :: v_dual_add_f32 v2, v2, v138
	v_fma_f32 v5, v15, v11, -v5
	s_delay_alu instid0(VALU_DEP_2) | instskip(NEXT) | instid1(VALU_DEP_3)
	v_fma_f32 v3, v26, v19, -v3
	v_sub_f32_e32 v2, v137, v2
	s_delay_alu instid0(VALU_DEP_3) | instskip(SKIP_1) | instid1(VALU_DEP_2)
	v_add_f32_e32 v1, v1, v5
	v_mul_f32_e32 v5, v131, v129
	v_add_f32_e32 v1, v1, v4
	s_delay_alu instid0(VALU_DEP_2) | instskip(NEXT) | instid1(VALU_DEP_2)
	v_fma_f32 v4, v130, v128, -v5
	v_add_f32_e32 v1, v1, v3
	s_delay_alu instid0(VALU_DEP_1) | instskip(NEXT) | instid1(VALU_DEP_1)
	v_add_f32_e32 v1, v1, v4
	v_sub_f32_e32 v1, v136, v1
	scratch_store_b64 off, v[1:2], off offset:80
	v_cmpx_lt_u32_e32 9, v0
	s_cbranch_execz .LBB113_295
; %bb.294:
	scratch_load_b64 v[1:2], off, off offset:72
	v_mov_b32_e32 v22, v21
	scratch_store_b64 off, v[21:22], off offset:72
	s_wait_loadcnt 0x0
	ds_store_b64 v23, v[1:2]
.LBB113_295:
	s_wait_alu 0xfffe
	s_or_b32 exec_lo, exec_lo, s0
	s_wait_storecnt_dscnt 0x0
	s_barrier_signal -1
	s_barrier_wait -1
	global_inv scope:SCOPE_SE
	s_clause 0x4
	scratch_load_b128 v[5:8], off, off offset:80
	scratch_load_b128 v[1:4], off, off offset:96
	;; [unrolled: 1-line block ×5, first 2 shown]
	ds_load_b128 v[24:27], v21 offset:480
	ds_load_b128 v[128:131], v21 offset:496
	;; [unrolled: 1-line block ×3, first 2 shown]
	scratch_load_b64 v[136:137], off, off offset:72
	s_mov_b32 s0, exec_lo
	s_wait_loadcnt_dscnt 0x502
	v_dual_mul_f32 v22, v25, v6 :: v_dual_mul_f32 v139, v26, v8
	v_mul_f32_e32 v138, v24, v6
	v_mul_f32_e32 v6, v27, v8
	s_wait_loadcnt_dscnt 0x300
	v_mul_f32_e32 v140, v134, v12
	v_fma_f32 v22, v24, v5, -v22
	v_dual_fmac_f32 v139, v27, v7 :: v_dual_fmac_f32 v138, v25, v5
	v_mul_f32_e32 v27, v132, v10
	v_mul_f32_e32 v25, v128, v2
	v_fma_f32 v24, v26, v7, -v6
	ds_load_b128 v[5:8], v21 offset:528
	v_mul_f32_e32 v26, v130, v4
	v_dual_mul_f32 v4, v131, v4 :: v_dual_fmac_f32 v27, v133, v9
	v_mul_f32_e32 v10, v133, v10
	v_mul_f32_e32 v12, v135, v12
	;; [unrolled: 1-line block ×3, first 2 shown]
	v_dual_fmac_f32 v25, v129, v1 :: v_dual_fmac_f32 v26, v131, v3
	v_fma_f32 v129, v130, v3, -v4
	v_fma_f32 v130, v132, v9, -v10
	v_fmac_f32_e32 v140, v135, v11
	v_fma_f32 v131, v134, v11, -v12
	ds_load_b128 v[9:12], v21 offset:544
	s_wait_loadcnt_dscnt 0x201
	v_mul_f32_e32 v133, v7, v16
	v_fma_f32 v128, v128, v1, -v2
	scratch_load_b128 v[1:4], off, off offset:160
	v_mul_f32_e32 v132, v5, v14
	v_mul_f32_e32 v14, v6, v14
	;; [unrolled: 1-line block ×3, first 2 shown]
	s_delay_alu instid0(VALU_DEP_3) | instskip(NEXT) | instid1(VALU_DEP_3)
	v_dual_fmac_f32 v133, v8, v15 :: v_dual_fmac_f32 v132, v6, v13
	v_fma_f32 v13, v5, v13, -v14
	s_delay_alu instid0(VALU_DEP_3)
	v_fma_f32 v14, v7, v15, -v16
	ds_load_b128 v[5:8], v21 offset:560
	s_wait_loadcnt_dscnt 0x201
	v_mul_f32_e32 v15, v9, v18
	v_mul_f32_e32 v16, v10, v18
	;; [unrolled: 1-line block ×3, first 2 shown]
	s_delay_alu instid0(VALU_DEP_3) | instskip(NEXT) | instid1(VALU_DEP_3)
	v_dual_mul_f32 v20, v12, v20 :: v_dual_fmac_f32 v15, v10, v17
	v_fma_f32 v16, v9, v17, -v16
	s_delay_alu instid0(VALU_DEP_3) | instskip(NEXT) | instid1(VALU_DEP_3)
	v_fmac_f32_e32 v18, v12, v19
	v_fma_f32 v17, v11, v19, -v20
	scratch_load_b128 v[9:12], off, off offset:176
	s_wait_loadcnt_dscnt 0x100
	v_mul_f32_e32 v19, v5, v2
	v_mul_f32_e32 v2, v6, v2
	;; [unrolled: 1-line block ×3, first 2 shown]
	s_delay_alu instid0(VALU_DEP_3) | instskip(NEXT) | instid1(VALU_DEP_3)
	v_dual_mul_f32 v4, v8, v4 :: v_dual_fmac_f32 v19, v6, v1
	v_fma_f32 v134, v5, v1, -v2
	s_delay_alu instid0(VALU_DEP_3) | instskip(NEXT) | instid1(VALU_DEP_3)
	v_fmac_f32_e32 v20, v8, v3
	v_fma_f32 v135, v7, v3, -v4
	ds_load_b128 v[1:4], v21 offset:576
	ds_load_b128 v[5:8], v21 offset:592
	s_wait_loadcnt_dscnt 0x1
	v_mul_f32_e32 v141, v1, v10
	v_mul_f32_e32 v10, v2, v10
	s_delay_alu instid0(VALU_DEP_2) | instskip(NEXT) | instid1(VALU_DEP_2)
	v_dual_mul_f32 v142, v3, v12 :: v_dual_fmac_f32 v141, v2, v9
	v_fma_f32 v143, v1, v9, -v10
	v_mul_f32_e32 v1, v4, v12
	s_delay_alu instid0(VALU_DEP_3) | instskip(NEXT) | instid1(VALU_DEP_2)
	v_fmac_f32_e32 v142, v4, v11
	v_fma_f32 v144, v3, v11, -v1
	s_clause 0x1
	scratch_load_b128 v[1:4], off, off offset:192
	scratch_load_b128 v[9:12], off, off offset:208
	s_wait_loadcnt_dscnt 0x100
	v_mul_f32_e32 v145, v5, v2
	v_dual_mul_f32 v2, v6, v2 :: v_dual_mul_f32 v147, v7, v4
	s_delay_alu instid0(VALU_DEP_2) | instskip(NEXT) | instid1(VALU_DEP_2)
	v_fmac_f32_e32 v145, v6, v1
	v_fma_f32 v146, v5, v1, -v2
	v_mul_f32_e32 v1, v8, v4
	s_delay_alu instid0(VALU_DEP_4) | instskip(NEXT) | instid1(VALU_DEP_2)
	v_fmac_f32_e32 v147, v8, v3
	v_fma_f32 v148, v7, v3, -v1
	ds_load_b128 v[1:4], v21 offset:608
	ds_load_b128 v[5:8], v21 offset:624
	s_wait_loadcnt_dscnt 0x1
	v_mul_f32_e32 v149, v1, v10
	v_mul_f32_e32 v151, v3, v12
	s_delay_alu instid0(VALU_DEP_2) | instskip(NEXT) | instid1(VALU_DEP_2)
	v_fmac_f32_e32 v149, v2, v9
	v_dual_mul_f32 v2, v2, v10 :: v_dual_fmac_f32 v151, v4, v11
	s_delay_alu instid0(VALU_DEP_1) | instskip(SKIP_1) | instid1(VALU_DEP_1)
	v_fma_f32 v150, v1, v9, -v2
	v_mul_f32_e32 v1, v4, v12
	v_fma_f32 v152, v3, v11, -v1
	s_clause 0x1
	scratch_load_b128 v[1:4], off, off offset:224
	scratch_load_b128 v[9:12], off, off offset:240
	s_wait_loadcnt_dscnt 0x100
	v_mul_f32_e32 v153, v5, v2
	v_dual_mul_f32 v2, v6, v2 :: v_dual_mul_f32 v155, v7, v4
	s_delay_alu instid0(VALU_DEP_2) | instskip(NEXT) | instid1(VALU_DEP_2)
	v_fmac_f32_e32 v153, v6, v1
	v_fma_f32 v154, v5, v1, -v2
	v_mul_f32_e32 v1, v8, v4
	s_delay_alu instid0(VALU_DEP_4) | instskip(NEXT) | instid1(VALU_DEP_2)
	v_fmac_f32_e32 v155, v8, v3
	v_fma_f32 v156, v7, v3, -v1
	ds_load_b128 v[1:4], v21 offset:640
	ds_load_b128 v[5:8], v21 offset:656
	s_wait_loadcnt_dscnt 0x1
	v_mul_f32_e32 v157, v1, v10
	v_mul_f32_e32 v159, v3, v12
	s_delay_alu instid0(VALU_DEP_2) | instskip(NEXT) | instid1(VALU_DEP_2)
	v_fmac_f32_e32 v157, v2, v9
	v_dual_mul_f32 v2, v2, v10 :: v_dual_fmac_f32 v159, v4, v11
	s_delay_alu instid0(VALU_DEP_1) | instskip(SKIP_1) | instid1(VALU_DEP_1)
	v_fma_f32 v158, v1, v9, -v2
	v_mul_f32_e32 v1, v4, v12
	;; [unrolled: 25-line block ×4, first 2 shown]
	v_fma_f32 v176, v3, v11, -v1
	s_clause 0x1
	scratch_load_b128 v[1:4], off, off offset:320
	scratch_load_b128 v[9:12], off, off offset:336
	s_wait_loadcnt_dscnt 0x100
	v_mul_f32_e32 v177, v5, v2
	v_mul_f32_e32 v2, v6, v2
	s_delay_alu instid0(VALU_DEP_1) | instskip(SKIP_1) | instid1(VALU_DEP_1)
	v_fma_f32 v178, v5, v1, -v2
	v_add_f32_e32 v2, 0, v138
	v_add_f32_e32 v2, v2, v139
	s_delay_alu instid0(VALU_DEP_1) | instskip(NEXT) | instid1(VALU_DEP_1)
	v_add_f32_e32 v2, v2, v25
	v_add_f32_e32 v2, v2, v26
	s_delay_alu instid0(VALU_DEP_1) | instskip(NEXT) | instid1(VALU_DEP_1)
	;; [unrolled: 3-line block ×7, first 2 shown]
	v_add_f32_e32 v2, v2, v145
	v_add_f32_e32 v2, v2, v147
	v_fmac_f32_e32 v177, v6, v1
	v_mul_f32_e32 v1, v8, v4
	s_delay_alu instid0(VALU_DEP_1) | instskip(SKIP_1) | instid1(VALU_DEP_1)
	v_fma_f32 v180, v7, v3, -v1
	v_add_f32_e32 v1, 0, v22
	v_add_f32_e32 v1, v1, v24
	s_delay_alu instid0(VALU_DEP_1) | instskip(NEXT) | instid1(VALU_DEP_1)
	v_add_f32_e32 v1, v1, v128
	v_add_f32_e32 v1, v1, v129
	s_delay_alu instid0(VALU_DEP_1) | instskip(NEXT) | instid1(VALU_DEP_1)
	;; [unrolled: 3-line block ×9, first 2 shown]
	v_dual_mul_f32 v179, v7, v4 :: v_dual_add_f32 v6, v6, v154
	v_add_f32_e32 v13, v6, v156
	s_delay_alu instid0(VALU_DEP_1) | instskip(NEXT) | instid1(VALU_DEP_1)
	v_add_f32_e32 v13, v13, v158
	v_add_f32_e32 v13, v13, v160
	s_delay_alu instid0(VALU_DEP_1) | instskip(NEXT) | instid1(VALU_DEP_1)
	v_add_f32_e32 v13, v13, v162
	v_dual_add_f32 v5, v2, v149 :: v_dual_add_f32 v18, v13, v164
	s_delay_alu instid0(VALU_DEP_1) | instskip(NEXT) | instid1(VALU_DEP_1)
	v_dual_add_f32 v5, v5, v151 :: v_dual_add_f32 v18, v18, v166
	v_dual_add_f32 v5, v5, v153 :: v_dual_add_f32 v18, v18, v168
	s_delay_alu instid0(VALU_DEP_1)
	v_add_f32_e32 v14, v5, v155
	v_fmac_f32_e32 v179, v8, v3
	ds_load_b128 v[1:4], v21 offset:736
	ds_load_b128 v[5:8], v21 offset:752
	v_add_f32_e32 v24, v18, v170
	v_add_f32_e32 v14, v14, v157
	s_delay_alu instid0(VALU_DEP_1)
	v_add_f32_e32 v14, v14, v159
	s_wait_loadcnt_dscnt 0x1
	v_mul_f32_e32 v22, v1, v10
	v_mul_f32_e32 v128, v3, v12
	;; [unrolled: 1-line block ×4, first 2 shown]
	s_delay_alu instid0(VALU_DEP_4) | instskip(NEXT) | instid1(VALU_DEP_4)
	v_fmac_f32_e32 v22, v2, v9
	v_fmac_f32_e32 v128, v4, v11
	s_delay_alu instid0(VALU_DEP_4) | instskip(NEXT) | instid1(VALU_DEP_4)
	v_fma_f32 v129, v1, v9, -v10
	v_fma_f32 v130, v3, v11, -v12
	s_clause 0x1
	scratch_load_b128 v[1:4], off, off offset:352
	scratch_load_b128 v[9:12], off, off offset:368
	v_add_f32_e32 v17, v14, v161
	scratch_load_b128 v[13:16], off, off offset:384
	v_add_f32_e32 v17, v17, v163
	s_delay_alu instid0(VALU_DEP_1) | instskip(NEXT) | instid1(VALU_DEP_1)
	v_add_f32_e32 v17, v17, v165
	v_add_f32_e32 v17, v17, v167
	s_delay_alu instid0(VALU_DEP_1)
	v_add_f32_e32 v25, v17, v169
	ds_load_b128 v[17:20], v21 offset:768
	v_dual_add_f32 v131, v24, v172 :: v_dual_add_f32 v132, v25, v171
	ds_load_b128 v[24:27], v21 offset:784
	s_wait_loadcnt_dscnt 0x101
	v_dual_mul_f32 v133, v7, v4 :: v_dual_mul_f32 v134, v17, v10
	v_add_f32_e32 v21, v131, v174
	v_add_f32_e32 v131, v132, v173
	s_wait_loadcnt_dscnt 0x0
	v_mul_f32_e32 v138, v24, v14
	v_mul_f32_e32 v132, v5, v2
	v_dual_mul_f32 v2, v6, v2 :: v_dual_add_f32 v21, v21, v176
	s_delay_alu instid0(VALU_DEP_3) | instskip(SKIP_1) | instid1(VALU_DEP_3)
	v_dual_add_f32 v131, v131, v175 :: v_dual_fmac_f32 v138, v25, v13
	v_mul_f32_e32 v4, v8, v4
	v_fma_f32 v2, v5, v1, -v2
	s_delay_alu instid0(VALU_DEP_4) | instskip(NEXT) | instid1(VALU_DEP_4)
	v_add_f32_e32 v21, v21, v178
	v_add_f32_e32 v131, v131, v177
	v_fmac_f32_e32 v132, v6, v1
	v_dual_mul_f32 v6, v18, v10 :: v_dual_fmac_f32 v133, v8, v3
	s_delay_alu instid0(VALU_DEP_4) | instskip(NEXT) | instid1(VALU_DEP_4)
	v_add_f32_e32 v21, v21, v180
	v_add_f32_e32 v131, v131, v179
	v_fma_f32 v3, v7, v3, -v4
	v_mul_f32_e32 v135, v19, v12
	s_delay_alu instid0(VALU_DEP_4) | instskip(NEXT) | instid1(VALU_DEP_4)
	v_dual_mul_f32 v4, v20, v12 :: v_dual_add_f32 v21, v21, v129
	v_add_f32_e32 v22, v131, v22
	s_delay_alu instid0(VALU_DEP_3) | instskip(NEXT) | instid1(VALU_DEP_3)
	v_dual_fmac_f32 v134, v18, v9 :: v_dual_fmac_f32 v135, v20, v11
	v_fma_f32 v4, v19, v11, -v4
	s_delay_alu instid0(VALU_DEP_4) | instskip(NEXT) | instid1(VALU_DEP_4)
	v_add_f32_e32 v1, v21, v130
	v_add_f32_e32 v5, v22, v128
	v_mul_f32_e32 v129, v26, v16
	s_delay_alu instid0(VALU_DEP_3) | instskip(NEXT) | instid1(VALU_DEP_3)
	v_add_f32_e32 v1, v1, v2
	v_add_f32_e32 v2, v5, v132
	v_fma_f32 v5, v17, v9, -v6
	s_delay_alu instid0(VALU_DEP_4) | instskip(NEXT) | instid1(VALU_DEP_3)
	v_fmac_f32_e32 v129, v27, v15
	v_dual_add_f32 v1, v1, v3 :: v_dual_add_f32 v2, v2, v133
	v_mul_f32_e32 v3, v25, v14
	s_delay_alu instid0(VALU_DEP_2) | instskip(SKIP_1) | instid1(VALU_DEP_3)
	v_dual_add_f32 v1, v1, v5 :: v_dual_add_f32 v2, v2, v134
	v_mul_f32_e32 v5, v27, v16
	v_fma_f32 v3, v24, v13, -v3
	s_delay_alu instid0(VALU_DEP_3) | instskip(NEXT) | instid1(VALU_DEP_3)
	v_dual_add_f32 v1, v1, v4 :: v_dual_add_f32 v2, v2, v135
	v_fma_f32 v4, v26, v15, -v5
	s_delay_alu instid0(VALU_DEP_2) | instskip(NEXT) | instid1(VALU_DEP_1)
	v_dual_add_f32 v1, v1, v3 :: v_dual_add_f32 v2, v2, v138
	v_dual_add_f32 v1, v1, v4 :: v_dual_add_f32 v2, v2, v129
	s_delay_alu instid0(VALU_DEP_1)
	v_dual_sub_f32 v1, v136, v1 :: v_dual_sub_f32 v2, v137, v2
	scratch_store_b64 off, v[1:2], off offset:72
	v_cmpx_lt_u32_e32 8, v0
	s_cbranch_execz .LBB113_297
; %bb.296:
	scratch_load_b64 v[1:2], off, off offset:64
	v_mov_b32_e32 v3, 0
	s_delay_alu instid0(VALU_DEP_1)
	v_mov_b32_e32 v4, v3
	scratch_store_b64 off, v[3:4], off offset:64
	s_wait_loadcnt 0x0
	ds_store_b64 v23, v[1:2]
.LBB113_297:
	s_wait_alu 0xfffe
	s_or_b32 exec_lo, exec_lo, s0
	s_wait_storecnt_dscnt 0x0
	s_barrier_signal -1
	s_barrier_wait -1
	global_inv scope:SCOPE_SE
	s_clause 0x4
	scratch_load_b128 v[5:8], off, off offset:72
	scratch_load_b128 v[1:4], off, off offset:88
	;; [unrolled: 1-line block ×5, first 2 shown]
	v_mov_b32_e32 v21, 0
	ds_load_2addr_b64 v[24:27], v21 offset0:59 offset1:60
	ds_load_2addr_b64 v[128:131], v21 offset0:61 offset1:62
	;; [unrolled: 1-line block ×3, first 2 shown]
	scratch_load_b64 v[136:137], off, off offset:64
	s_mov_b32 s0, exec_lo
	s_wait_loadcnt_dscnt 0x502
	v_mul_f32_e32 v22, v25, v6
	v_dual_mul_f32 v138, v24, v6 :: v_dual_mul_f32 v139, v26, v8
	v_mul_f32_e32 v6, v27, v8
	s_delay_alu instid0(VALU_DEP_3) | instskip(NEXT) | instid1(VALU_DEP_3)
	v_fma_f32 v22, v24, v5, -v22
	v_dual_fmac_f32 v138, v25, v5 :: v_dual_fmac_f32 v139, v27, v7
	s_wait_loadcnt_dscnt 0x401
	v_mul_f32_e32 v25, v128, v2
	v_fma_f32 v24, v26, v7, -v6
	ds_load_2addr_b64 v[5:8], v21 offset0:65 offset1:66
	s_wait_loadcnt_dscnt 0x301
	v_dual_mul_f32 v26, v130, v4 :: v_dual_mul_f32 v27, v132, v10
	v_dual_mul_f32 v4, v131, v4 :: v_dual_fmac_f32 v25, v129, v1
	v_mul_f32_e32 v10, v133, v10
	s_delay_alu instid0(VALU_DEP_3)
	v_dual_mul_f32 v140, v134, v12 :: v_dual_fmac_f32 v27, v133, v9
	v_mul_f32_e32 v12, v135, v12
	v_mul_f32_e32 v2, v129, v2
	v_fmac_f32_e32 v26, v131, v3
	v_fma_f32 v129, v130, v3, -v4
	v_fma_f32 v130, v132, v9, -v10
	v_fmac_f32_e32 v140, v135, v11
	v_fma_f32 v131, v134, v11, -v12
	ds_load_2addr_b64 v[9:12], v21 offset0:67 offset1:68
	s_wait_loadcnt_dscnt 0x201
	v_mul_f32_e32 v133, v7, v16
	v_fma_f32 v128, v128, v1, -v2
	scratch_load_b128 v[1:4], off, off offset:152
	v_mul_f32_e32 v132, v5, v14
	v_mul_f32_e32 v14, v6, v14
	v_mul_f32_e32 v16, v8, v16
	s_delay_alu instid0(VALU_DEP_3) | instskip(NEXT) | instid1(VALU_DEP_3)
	v_dual_fmac_f32 v133, v8, v15 :: v_dual_fmac_f32 v132, v6, v13
	v_fma_f32 v13, v5, v13, -v14
	s_delay_alu instid0(VALU_DEP_3)
	v_fma_f32 v14, v7, v15, -v16
	ds_load_2addr_b64 v[5:8], v21 offset0:69 offset1:70
	s_wait_loadcnt_dscnt 0x201
	v_mul_f32_e32 v15, v9, v18
	v_mul_f32_e32 v16, v10, v18
	;; [unrolled: 1-line block ×3, first 2 shown]
	s_delay_alu instid0(VALU_DEP_3) | instskip(NEXT) | instid1(VALU_DEP_3)
	v_dual_mul_f32 v20, v12, v20 :: v_dual_fmac_f32 v15, v10, v17
	v_fma_f32 v16, v9, v17, -v16
	s_delay_alu instid0(VALU_DEP_3) | instskip(NEXT) | instid1(VALU_DEP_3)
	v_fmac_f32_e32 v18, v12, v19
	v_fma_f32 v17, v11, v19, -v20
	scratch_load_b128 v[9:12], off, off offset:168
	s_wait_loadcnt_dscnt 0x100
	v_mul_f32_e32 v19, v5, v2
	v_mul_f32_e32 v2, v6, v2
	v_mul_f32_e32 v20, v7, v4
	s_delay_alu instid0(VALU_DEP_3) | instskip(NEXT) | instid1(VALU_DEP_3)
	v_dual_mul_f32 v4, v8, v4 :: v_dual_fmac_f32 v19, v6, v1
	v_fma_f32 v134, v5, v1, -v2
	s_delay_alu instid0(VALU_DEP_3) | instskip(NEXT) | instid1(VALU_DEP_3)
	v_fmac_f32_e32 v20, v8, v3
	v_fma_f32 v135, v7, v3, -v4
	ds_load_2addr_b64 v[1:4], v21 offset0:71 offset1:72
	ds_load_2addr_b64 v[5:8], v21 offset0:73 offset1:74
	s_wait_loadcnt_dscnt 0x1
	v_mul_f32_e32 v141, v1, v10
	v_mul_f32_e32 v10, v2, v10
	s_delay_alu instid0(VALU_DEP_2) | instskip(NEXT) | instid1(VALU_DEP_2)
	v_dual_mul_f32 v142, v3, v12 :: v_dual_fmac_f32 v141, v2, v9
	v_fma_f32 v143, v1, v9, -v10
	v_mul_f32_e32 v1, v4, v12
	s_delay_alu instid0(VALU_DEP_3) | instskip(NEXT) | instid1(VALU_DEP_2)
	v_fmac_f32_e32 v142, v4, v11
	v_fma_f32 v144, v3, v11, -v1
	s_clause 0x1
	scratch_load_b128 v[1:4], off, off offset:184
	scratch_load_b128 v[9:12], off, off offset:200
	s_wait_loadcnt_dscnt 0x100
	v_mul_f32_e32 v145, v5, v2
	v_dual_mul_f32 v2, v6, v2 :: v_dual_mul_f32 v147, v7, v4
	s_delay_alu instid0(VALU_DEP_2) | instskip(NEXT) | instid1(VALU_DEP_2)
	v_fmac_f32_e32 v145, v6, v1
	v_fma_f32 v146, v5, v1, -v2
	v_mul_f32_e32 v1, v8, v4
	s_delay_alu instid0(VALU_DEP_4) | instskip(NEXT) | instid1(VALU_DEP_2)
	v_fmac_f32_e32 v147, v8, v3
	v_fma_f32 v148, v7, v3, -v1
	ds_load_2addr_b64 v[1:4], v21 offset0:75 offset1:76
	ds_load_2addr_b64 v[5:8], v21 offset0:77 offset1:78
	s_wait_loadcnt_dscnt 0x1
	v_mul_f32_e32 v149, v1, v10
	v_mul_f32_e32 v151, v3, v12
	s_delay_alu instid0(VALU_DEP_2) | instskip(NEXT) | instid1(VALU_DEP_2)
	v_fmac_f32_e32 v149, v2, v9
	v_dual_mul_f32 v2, v2, v10 :: v_dual_fmac_f32 v151, v4, v11
	s_delay_alu instid0(VALU_DEP_1) | instskip(SKIP_1) | instid1(VALU_DEP_1)
	v_fma_f32 v150, v1, v9, -v2
	v_mul_f32_e32 v1, v4, v12
	v_fma_f32 v152, v3, v11, -v1
	s_clause 0x1
	scratch_load_b128 v[1:4], off, off offset:216
	scratch_load_b128 v[9:12], off, off offset:232
	s_wait_loadcnt_dscnt 0x100
	v_mul_f32_e32 v153, v5, v2
	v_dual_mul_f32 v155, v7, v4 :: v_dual_mul_f32 v2, v6, v2
	s_delay_alu instid0(VALU_DEP_2) | instskip(NEXT) | instid1(VALU_DEP_2)
	v_fmac_f32_e32 v153, v6, v1
	v_fmac_f32_e32 v155, v8, v3
	s_delay_alu instid0(VALU_DEP_3) | instskip(SKIP_1) | instid1(VALU_DEP_1)
	v_fma_f32 v154, v5, v1, -v2
	v_mul_f32_e32 v1, v8, v4
	v_fma_f32 v156, v7, v3, -v1
	ds_load_2addr_b64 v[1:4], v21 offset0:79 offset1:80
	ds_load_2addr_b64 v[5:8], v21 offset0:81 offset1:82
	s_wait_loadcnt_dscnt 0x1
	v_mul_f32_e32 v157, v1, v10
	v_mul_f32_e32 v159, v3, v12
	s_delay_alu instid0(VALU_DEP_2) | instskip(NEXT) | instid1(VALU_DEP_2)
	v_fmac_f32_e32 v157, v2, v9
	v_dual_mul_f32 v2, v2, v10 :: v_dual_fmac_f32 v159, v4, v11
	s_delay_alu instid0(VALU_DEP_1) | instskip(SKIP_1) | instid1(VALU_DEP_1)
	v_fma_f32 v158, v1, v9, -v2
	v_mul_f32_e32 v1, v4, v12
	v_fma_f32 v160, v3, v11, -v1
	s_clause 0x1
	scratch_load_b128 v[1:4], off, off offset:248
	scratch_load_b128 v[9:12], off, off offset:264
	s_wait_loadcnt_dscnt 0x100
	v_mul_f32_e32 v161, v5, v2
	v_dual_mul_f32 v2, v6, v2 :: v_dual_mul_f32 v163, v7, v4
	s_delay_alu instid0(VALU_DEP_2) | instskip(NEXT) | instid1(VALU_DEP_2)
	v_fmac_f32_e32 v161, v6, v1
	v_fma_f32 v162, v5, v1, -v2
	v_mul_f32_e32 v1, v8, v4
	s_delay_alu instid0(VALU_DEP_4) | instskip(NEXT) | instid1(VALU_DEP_2)
	v_fmac_f32_e32 v163, v8, v3
	v_fma_f32 v164, v7, v3, -v1
	ds_load_2addr_b64 v[1:4], v21 offset0:83 offset1:84
	ds_load_2addr_b64 v[5:8], v21 offset0:85 offset1:86
	s_wait_loadcnt_dscnt 0x1
	v_mul_f32_e32 v165, v1, v10
	v_mul_f32_e32 v167, v3, v12
	s_delay_alu instid0(VALU_DEP_2) | instskip(NEXT) | instid1(VALU_DEP_2)
	v_fmac_f32_e32 v165, v2, v9
	v_dual_mul_f32 v2, v2, v10 :: v_dual_fmac_f32 v167, v4, v11
	s_delay_alu instid0(VALU_DEP_1) | instskip(SKIP_1) | instid1(VALU_DEP_1)
	v_fma_f32 v166, v1, v9, -v2
	v_mul_f32_e32 v1, v4, v12
	v_fma_f32 v168, v3, v11, -v1
	s_clause 0x1
	scratch_load_b128 v[1:4], off, off offset:280
	scratch_load_b128 v[9:12], off, off offset:296
	s_wait_loadcnt_dscnt 0x100
	v_mul_f32_e32 v169, v5, v2
	v_dual_mul_f32 v2, v6, v2 :: v_dual_mul_f32 v171, v7, v4
	s_delay_alu instid0(VALU_DEP_2) | instskip(NEXT) | instid1(VALU_DEP_2)
	v_fmac_f32_e32 v169, v6, v1
	v_fma_f32 v170, v5, v1, -v2
	v_mul_f32_e32 v1, v8, v4
	s_delay_alu instid0(VALU_DEP_4) | instskip(NEXT) | instid1(VALU_DEP_2)
	v_fmac_f32_e32 v171, v8, v3
	v_fma_f32 v172, v7, v3, -v1
	ds_load_2addr_b64 v[1:4], v21 offset0:87 offset1:88
	ds_load_2addr_b64 v[5:8], v21 offset0:89 offset1:90
	s_wait_loadcnt_dscnt 0x1
	v_mul_f32_e32 v173, v1, v10
	v_mul_f32_e32 v175, v3, v12
	s_delay_alu instid0(VALU_DEP_2) | instskip(NEXT) | instid1(VALU_DEP_2)
	v_fmac_f32_e32 v173, v2, v9
	v_dual_mul_f32 v2, v2, v10 :: v_dual_fmac_f32 v175, v4, v11
	s_delay_alu instid0(VALU_DEP_1) | instskip(SKIP_1) | instid1(VALU_DEP_1)
	v_fma_f32 v174, v1, v9, -v2
	v_mul_f32_e32 v1, v4, v12
	v_fma_f32 v176, v3, v11, -v1
	s_clause 0x1
	scratch_load_b128 v[1:4], off, off offset:312
	scratch_load_b128 v[9:12], off, off offset:328
	s_wait_loadcnt_dscnt 0x100
	v_mul_f32_e32 v177, v5, v2
	v_mul_f32_e32 v2, v6, v2
	s_delay_alu instid0(VALU_DEP_2) | instskip(NEXT) | instid1(VALU_DEP_2)
	v_fmac_f32_e32 v177, v6, v1
	v_fma_f32 v178, v5, v1, -v2
	v_dual_add_f32 v2, 0, v138 :: v_dual_mul_f32 v1, v8, v4
	s_delay_alu instid0(VALU_DEP_1) | instskip(NEXT) | instid1(VALU_DEP_2)
	v_add_f32_e32 v2, v2, v139
	v_fma_f32 v180, v7, v3, -v1
	s_delay_alu instid0(VALU_DEP_2) | instskip(NEXT) | instid1(VALU_DEP_1)
	v_dual_add_f32 v1, 0, v22 :: v_dual_add_f32 v2, v2, v25
	v_dual_add_f32 v1, v1, v24 :: v_dual_add_f32 v2, v2, v26
	s_delay_alu instid0(VALU_DEP_1) | instskip(NEXT) | instid1(VALU_DEP_1)
	v_dual_add_f32 v1, v1, v128 :: v_dual_add_f32 v2, v2, v27
	v_add_f32_e32 v1, v1, v129
	scratch_load_b64 v[128:129], off, off offset:392
	v_dual_add_f32 v2, v2, v140 :: v_dual_add_f32 v1, v1, v130
	s_delay_alu instid0(VALU_DEP_1) | instskip(NEXT) | instid1(VALU_DEP_1)
	v_dual_add_f32 v2, v2, v132 :: v_dual_add_f32 v1, v1, v131
	v_add_f32_e32 v2, v2, v133
	s_delay_alu instid0(VALU_DEP_1) | instskip(NEXT) | instid1(VALU_DEP_1)
	v_dual_add_f32 v1, v1, v13 :: v_dual_add_f32 v2, v2, v15
	v_add_f32_e32 v2, v2, v18
	s_delay_alu instid0(VALU_DEP_1) | instskip(NEXT) | instid1(VALU_DEP_1)
	v_add_f32_e32 v2, v2, v19
	v_add_f32_e32 v2, v2, v20
	s_delay_alu instid0(VALU_DEP_1) | instskip(NEXT) | instid1(VALU_DEP_1)
	v_add_f32_e32 v2, v2, v141
	v_add_f32_e32 v2, v2, v142
	s_delay_alu instid0(VALU_DEP_1) | instskip(NEXT) | instid1(VALU_DEP_1)
	v_dual_add_f32 v2, v2, v145 :: v_dual_add_f32 v1, v1, v14
	v_dual_add_f32 v2, v2, v147 :: v_dual_add_f32 v1, v1, v16
	s_delay_alu instid0(VALU_DEP_1) | instskip(NEXT) | instid1(VALU_DEP_1)
	v_add_f32_e32 v1, v1, v17
	v_add_f32_e32 v1, v1, v134
	s_delay_alu instid0(VALU_DEP_1) | instskip(NEXT) | instid1(VALU_DEP_1)
	v_add_f32_e32 v1, v1, v135
	v_add_f32_e32 v1, v1, v143
	;; [unrolled: 3-line block ×4, first 2 shown]
	s_delay_alu instid0(VALU_DEP_1) | instskip(NEXT) | instid1(VALU_DEP_1)
	v_add_f32_e32 v6, v1, v152
	v_dual_mul_f32 v179, v7, v4 :: v_dual_add_f32 v6, v6, v154
	s_delay_alu instid0(VALU_DEP_1) | instskip(NEXT) | instid1(VALU_DEP_2)
	v_fmac_f32_e32 v179, v8, v3
	v_add_f32_e32 v13, v6, v156
	s_delay_alu instid0(VALU_DEP_1) | instskip(NEXT) | instid1(VALU_DEP_1)
	v_add_f32_e32 v13, v13, v158
	v_add_f32_e32 v13, v13, v160
	s_delay_alu instid0(VALU_DEP_1) | instskip(SKIP_3) | instid1(VALU_DEP_1)
	v_add_f32_e32 v13, v13, v162
	v_add_f32_e32 v5, v2, v149
	ds_load_2addr_b64 v[1:4], v21 offset0:91 offset1:92
	v_add_f32_e32 v18, v13, v164
	v_dual_add_f32 v5, v5, v151 :: v_dual_add_f32 v18, v18, v166
	s_delay_alu instid0(VALU_DEP_1) | instskip(NEXT) | instid1(VALU_DEP_1)
	v_dual_add_f32 v5, v5, v153 :: v_dual_add_f32 v18, v18, v168
	v_add_f32_e32 v14, v5, v155
	ds_load_2addr_b64 v[5:8], v21 offset0:93 offset1:94
	v_add_f32_e32 v18, v18, v170
	v_add_f32_e32 v14, v14, v157
	s_wait_loadcnt_dscnt 0x101
	v_mul_f32_e32 v22, v1, v10
	v_mul_f32_e32 v10, v2, v10
	;; [unrolled: 1-line block ×4, first 2 shown]
	v_add_f32_e32 v18, v18, v172
	v_fmac_f32_e32 v22, v2, v9
	v_fma_f32 v133, v1, v9, -v10
	v_fmac_f32_e32 v132, v4, v11
	v_fma_f32 v134, v3, v11, -v12
	s_clause 0x1
	scratch_load_b128 v[1:4], off, off offset:344
	scratch_load_b128 v[9:12], off, off offset:360
	v_add_f32_e32 v130, v18, v174
	v_add_f32_e32 v14, v14, v159
	s_delay_alu instid0(VALU_DEP_2) | instskip(NEXT) | instid1(VALU_DEP_1)
	v_add_f32_e32 v135, v130, v176
	v_add_f32_e32 v135, v135, v178
	s_delay_alu instid0(VALU_DEP_1) | instskip(NEXT) | instid1(VALU_DEP_1)
	v_add_f32_e32 v135, v135, v180
	v_add_f32_e32 v133, v135, v133
	s_delay_alu instid0(VALU_DEP_1)
	v_add_f32_e32 v133, v133, v134
	s_wait_loadcnt_dscnt 0x100
	v_mul_f32_e32 v139, v5, v2
	v_mul_f32_e32 v2, v6, v2
	;; [unrolled: 1-line block ×4, first 2 shown]
	s_delay_alu instid0(VALU_DEP_3)
	v_fma_f32 v2, v5, v1, -v2
	v_add_f32_e32 v17, v14, v161
	scratch_load_b128 v[13:16], off, off offset:376
	v_fmac_f32_e32 v140, v8, v3
	v_add_f32_e32 v2, v133, v2
	v_add_f32_e32 v17, v17, v163
	s_delay_alu instid0(VALU_DEP_1) | instskip(NEXT) | instid1(VALU_DEP_1)
	v_add_f32_e32 v17, v17, v165
	v_add_f32_e32 v17, v17, v167
	s_delay_alu instid0(VALU_DEP_1) | instskip(NEXT) | instid1(VALU_DEP_1)
	v_add_f32_e32 v17, v17, v169
	v_add_f32_e32 v24, v17, v171
	ds_load_2addr_b64 v[17:20], v21 offset0:95 offset1:96
	v_add_f32_e32 v131, v24, v173
	ds_load_2addr_b64 v[24:27], v21 offset0:97 offset1:98
	v_add_f32_e32 v138, v131, v175
	ds_load_b64 v[130:131], v21 offset:792
	v_add_f32_e32 v138, v138, v177
	s_wait_loadcnt_dscnt 0x102
	s_delay_alu instid0(VALU_DEP_1) | instskip(NEXT) | instid1(VALU_DEP_1)
	v_dual_add_f32 v138, v138, v179 :: v_dual_mul_f32 v135, v17, v10
	v_dual_mul_f32 v5, v20, v12 :: v_dual_add_f32 v22, v138, v22
	s_delay_alu instid0(VALU_DEP_2) | instskip(NEXT) | instid1(VALU_DEP_2)
	v_dual_mul_f32 v138, v19, v12 :: v_dual_fmac_f32 v135, v18, v9
	v_fma_f32 v5, v19, v11, -v5
	s_delay_alu instid0(VALU_DEP_3) | instskip(NEXT) | instid1(VALU_DEP_3)
	v_add_f32_e32 v22, v22, v132
	v_fmac_f32_e32 v138, v20, v11
	s_wait_dscnt 0x0
	v_mul_f32_e32 v132, v130, v129
	s_delay_alu instid0(VALU_DEP_1) | instskip(SKIP_2) | instid1(VALU_DEP_3)
	v_dual_fmac_f32 v132, v131, v128 :: v_dual_fmac_f32 v139, v6, v1
	v_fma_f32 v1, v7, v3, -v4
	v_mul_f32_e32 v3, v18, v10
	v_add_f32_e32 v4, v22, v139
	s_delay_alu instid0(VALU_DEP_3) | instskip(NEXT) | instid1(VALU_DEP_3)
	v_add_f32_e32 v1, v2, v1
	v_fma_f32 v3, v17, v9, -v3
	s_delay_alu instid0(VALU_DEP_1) | instskip(NEXT) | instid1(VALU_DEP_1)
	v_dual_add_f32 v2, v4, v140 :: v_dual_add_f32 v1, v1, v3
	v_dual_add_f32 v2, v2, v135 :: v_dual_add_f32 v1, v1, v5
	s_delay_alu instid0(VALU_DEP_1)
	v_dual_mul_f32 v5, v131, v129 :: v_dual_add_f32 v2, v2, v138
	s_wait_loadcnt 0x0
	v_mul_f32_e32 v141, v24, v14
	v_mul_f32_e32 v4, v25, v14
	;; [unrolled: 1-line block ×4, first 2 shown]
	s_delay_alu instid0(VALU_DEP_4) | instskip(NEXT) | instid1(VALU_DEP_4)
	v_fmac_f32_e32 v141, v25, v13
	v_fma_f32 v4, v24, v13, -v4
	s_delay_alu instid0(VALU_DEP_4) | instskip(NEXT) | instid1(VALU_DEP_4)
	v_fmac_f32_e32 v134, v27, v15
	v_fma_f32 v3, v26, v15, -v3
	s_delay_alu instid0(VALU_DEP_3) | instskip(SKIP_1) | instid1(VALU_DEP_2)
	v_dual_add_f32 v2, v2, v141 :: v_dual_add_f32 v1, v1, v4
	v_fma_f32 v4, v130, v128, -v5
	v_dual_add_f32 v2, v2, v134 :: v_dual_add_f32 v1, v1, v3
	s_delay_alu instid0(VALU_DEP_1) | instskip(NEXT) | instid1(VALU_DEP_2)
	v_add_f32_e32 v2, v2, v132
	v_add_f32_e32 v1, v1, v4
	s_delay_alu instid0(VALU_DEP_1)
	v_dual_sub_f32 v2, v137, v2 :: v_dual_sub_f32 v1, v136, v1
	scratch_store_b64 off, v[1:2], off offset:64
	v_cmpx_lt_u32_e32 7, v0
	s_cbranch_execz .LBB113_299
; %bb.298:
	scratch_load_b64 v[1:2], off, off offset:56
	v_mov_b32_e32 v22, v21
	scratch_store_b64 off, v[21:22], off offset:56
	s_wait_loadcnt 0x0
	ds_store_b64 v23, v[1:2]
.LBB113_299:
	s_wait_alu 0xfffe
	s_or_b32 exec_lo, exec_lo, s0
	s_wait_storecnt_dscnt 0x0
	s_barrier_signal -1
	s_barrier_wait -1
	global_inv scope:SCOPE_SE
	s_clause 0x4
	scratch_load_b128 v[5:8], off, off offset:64
	scratch_load_b128 v[1:4], off, off offset:80
	scratch_load_b128 v[9:12], off, off offset:96
	scratch_load_b128 v[13:16], off, off offset:112
	scratch_load_b128 v[17:20], off, off offset:128
	ds_load_b128 v[24:27], v21 offset:464
	ds_load_b128 v[128:131], v21 offset:480
	;; [unrolled: 1-line block ×3, first 2 shown]
	scratch_load_b64 v[136:137], off, off offset:56
	s_mov_b32 s0, exec_lo
	s_wait_loadcnt_dscnt 0x502
	v_dual_mul_f32 v22, v25, v6 :: v_dual_mul_f32 v139, v26, v8
	v_mul_f32_e32 v138, v24, v6
	v_mul_f32_e32 v6, v27, v8
	s_wait_loadcnt_dscnt 0x300
	v_mul_f32_e32 v140, v134, v12
	v_fma_f32 v22, v24, v5, -v22
	v_dual_fmac_f32 v139, v27, v7 :: v_dual_fmac_f32 v138, v25, v5
	v_mul_f32_e32 v27, v132, v10
	v_mul_f32_e32 v25, v128, v2
	v_fma_f32 v24, v26, v7, -v6
	ds_load_b128 v[5:8], v21 offset:512
	v_mul_f32_e32 v26, v130, v4
	v_dual_mul_f32 v4, v131, v4 :: v_dual_fmac_f32 v27, v133, v9
	v_mul_f32_e32 v10, v133, v10
	v_mul_f32_e32 v12, v135, v12
	v_mul_f32_e32 v2, v129, v2
	v_dual_fmac_f32 v25, v129, v1 :: v_dual_fmac_f32 v26, v131, v3
	v_fma_f32 v129, v130, v3, -v4
	v_fma_f32 v130, v132, v9, -v10
	v_fmac_f32_e32 v140, v135, v11
	v_fma_f32 v131, v134, v11, -v12
	ds_load_b128 v[9:12], v21 offset:528
	s_wait_loadcnt_dscnt 0x201
	v_mul_f32_e32 v133, v7, v16
	v_fma_f32 v128, v128, v1, -v2
	scratch_load_b128 v[1:4], off, off offset:144
	v_mul_f32_e32 v132, v5, v14
	v_mul_f32_e32 v14, v6, v14
	;; [unrolled: 1-line block ×3, first 2 shown]
	s_delay_alu instid0(VALU_DEP_3) | instskip(NEXT) | instid1(VALU_DEP_3)
	v_dual_fmac_f32 v133, v8, v15 :: v_dual_fmac_f32 v132, v6, v13
	v_fma_f32 v13, v5, v13, -v14
	s_delay_alu instid0(VALU_DEP_3)
	v_fma_f32 v14, v7, v15, -v16
	ds_load_b128 v[5:8], v21 offset:544
	s_wait_loadcnt_dscnt 0x201
	v_mul_f32_e32 v15, v9, v18
	v_mul_f32_e32 v16, v10, v18
	;; [unrolled: 1-line block ×3, first 2 shown]
	s_delay_alu instid0(VALU_DEP_3) | instskip(NEXT) | instid1(VALU_DEP_3)
	v_dual_mul_f32 v20, v12, v20 :: v_dual_fmac_f32 v15, v10, v17
	v_fma_f32 v16, v9, v17, -v16
	s_delay_alu instid0(VALU_DEP_3) | instskip(NEXT) | instid1(VALU_DEP_3)
	v_fmac_f32_e32 v18, v12, v19
	v_fma_f32 v17, v11, v19, -v20
	scratch_load_b128 v[9:12], off, off offset:160
	s_wait_loadcnt_dscnt 0x100
	v_mul_f32_e32 v19, v5, v2
	v_mul_f32_e32 v2, v6, v2
	;; [unrolled: 1-line block ×3, first 2 shown]
	s_delay_alu instid0(VALU_DEP_3) | instskip(NEXT) | instid1(VALU_DEP_3)
	v_dual_mul_f32 v4, v8, v4 :: v_dual_fmac_f32 v19, v6, v1
	v_fma_f32 v134, v5, v1, -v2
	s_delay_alu instid0(VALU_DEP_3) | instskip(NEXT) | instid1(VALU_DEP_3)
	v_fmac_f32_e32 v20, v8, v3
	v_fma_f32 v135, v7, v3, -v4
	ds_load_b128 v[1:4], v21 offset:560
	ds_load_b128 v[5:8], v21 offset:576
	s_wait_loadcnt_dscnt 0x1
	v_mul_f32_e32 v141, v1, v10
	v_mul_f32_e32 v10, v2, v10
	s_delay_alu instid0(VALU_DEP_2) | instskip(NEXT) | instid1(VALU_DEP_2)
	v_dual_mul_f32 v142, v3, v12 :: v_dual_fmac_f32 v141, v2, v9
	v_fma_f32 v143, v1, v9, -v10
	v_mul_f32_e32 v1, v4, v12
	s_delay_alu instid0(VALU_DEP_3) | instskip(NEXT) | instid1(VALU_DEP_2)
	v_fmac_f32_e32 v142, v4, v11
	v_fma_f32 v144, v3, v11, -v1
	s_clause 0x1
	scratch_load_b128 v[1:4], off, off offset:176
	scratch_load_b128 v[9:12], off, off offset:192
	s_wait_loadcnt_dscnt 0x100
	v_mul_f32_e32 v145, v5, v2
	v_dual_mul_f32 v2, v6, v2 :: v_dual_mul_f32 v147, v7, v4
	s_delay_alu instid0(VALU_DEP_2) | instskip(NEXT) | instid1(VALU_DEP_2)
	v_fmac_f32_e32 v145, v6, v1
	v_fma_f32 v146, v5, v1, -v2
	v_mul_f32_e32 v1, v8, v4
	s_delay_alu instid0(VALU_DEP_4) | instskip(NEXT) | instid1(VALU_DEP_2)
	v_fmac_f32_e32 v147, v8, v3
	v_fma_f32 v148, v7, v3, -v1
	ds_load_b128 v[1:4], v21 offset:592
	ds_load_b128 v[5:8], v21 offset:608
	s_wait_loadcnt_dscnt 0x1
	v_mul_f32_e32 v149, v1, v10
	v_mul_f32_e32 v151, v3, v12
	s_delay_alu instid0(VALU_DEP_2) | instskip(NEXT) | instid1(VALU_DEP_2)
	v_fmac_f32_e32 v149, v2, v9
	v_dual_mul_f32 v2, v2, v10 :: v_dual_fmac_f32 v151, v4, v11
	s_delay_alu instid0(VALU_DEP_1) | instskip(SKIP_1) | instid1(VALU_DEP_1)
	v_fma_f32 v150, v1, v9, -v2
	v_mul_f32_e32 v1, v4, v12
	v_fma_f32 v152, v3, v11, -v1
	s_clause 0x1
	scratch_load_b128 v[1:4], off, off offset:208
	scratch_load_b128 v[9:12], off, off offset:224
	s_wait_loadcnt_dscnt 0x100
	v_mul_f32_e32 v153, v5, v2
	v_dual_mul_f32 v2, v6, v2 :: v_dual_mul_f32 v155, v7, v4
	s_delay_alu instid0(VALU_DEP_2) | instskip(NEXT) | instid1(VALU_DEP_2)
	v_fmac_f32_e32 v153, v6, v1
	v_fma_f32 v154, v5, v1, -v2
	v_mul_f32_e32 v1, v8, v4
	s_delay_alu instid0(VALU_DEP_4) | instskip(NEXT) | instid1(VALU_DEP_2)
	v_fmac_f32_e32 v155, v8, v3
	v_fma_f32 v156, v7, v3, -v1
	ds_load_b128 v[1:4], v21 offset:624
	ds_load_b128 v[5:8], v21 offset:640
	s_wait_loadcnt_dscnt 0x1
	v_mul_f32_e32 v157, v1, v10
	v_mul_f32_e32 v159, v3, v12
	s_delay_alu instid0(VALU_DEP_2) | instskip(NEXT) | instid1(VALU_DEP_2)
	v_fmac_f32_e32 v157, v2, v9
	v_dual_mul_f32 v2, v2, v10 :: v_dual_fmac_f32 v159, v4, v11
	s_delay_alu instid0(VALU_DEP_1) | instskip(SKIP_1) | instid1(VALU_DEP_1)
	v_fma_f32 v158, v1, v9, -v2
	v_mul_f32_e32 v1, v4, v12
	;; [unrolled: 25-line block ×4, first 2 shown]
	v_fma_f32 v176, v3, v11, -v1
	s_clause 0x1
	scratch_load_b128 v[1:4], off, off offset:304
	scratch_load_b128 v[9:12], off, off offset:320
	s_wait_loadcnt_dscnt 0x100
	v_mul_f32_e32 v177, v5, v2
	v_mul_f32_e32 v2, v6, v2
	s_delay_alu instid0(VALU_DEP_1) | instskip(SKIP_1) | instid1(VALU_DEP_1)
	v_fma_f32 v178, v5, v1, -v2
	v_add_f32_e32 v2, 0, v138
	v_add_f32_e32 v2, v2, v139
	s_delay_alu instid0(VALU_DEP_1) | instskip(NEXT) | instid1(VALU_DEP_1)
	v_add_f32_e32 v2, v2, v25
	v_add_f32_e32 v2, v2, v26
	s_delay_alu instid0(VALU_DEP_1) | instskip(NEXT) | instid1(VALU_DEP_1)
	;; [unrolled: 3-line block ×7, first 2 shown]
	v_add_f32_e32 v2, v2, v145
	v_add_f32_e32 v2, v2, v147
	v_fmac_f32_e32 v177, v6, v1
	v_mul_f32_e32 v1, v8, v4
	s_delay_alu instid0(VALU_DEP_3) | instskip(NEXT) | instid1(VALU_DEP_2)
	v_dual_mul_f32 v179, v7, v4 :: v_dual_add_f32 v2, v2, v149
	v_fma_f32 v180, v7, v3, -v1
	v_add_f32_e32 v1, 0, v22
	s_delay_alu instid0(VALU_DEP_1) | instskip(NEXT) | instid1(VALU_DEP_1)
	v_add_f32_e32 v1, v1, v24
	v_add_f32_e32 v1, v1, v128
	s_delay_alu instid0(VALU_DEP_1) | instskip(NEXT) | instid1(VALU_DEP_1)
	v_add_f32_e32 v1, v1, v129
	v_add_f32_e32 v1, v1, v130
	s_delay_alu instid0(VALU_DEP_1) | instskip(NEXT) | instid1(VALU_DEP_1)
	v_add_f32_e32 v1, v1, v131
	v_add_f32_e32 v1, v1, v13
	s_delay_alu instid0(VALU_DEP_1) | instskip(NEXT) | instid1(VALU_DEP_1)
	v_add_f32_e32 v1, v1, v14
	v_add_f32_e32 v1, v1, v16
	s_delay_alu instid0(VALU_DEP_1) | instskip(NEXT) | instid1(VALU_DEP_1)
	v_add_f32_e32 v1, v1, v17
	v_add_f32_e32 v1, v1, v134
	s_delay_alu instid0(VALU_DEP_1) | instskip(NEXT) | instid1(VALU_DEP_1)
	v_add_f32_e32 v1, v1, v135
	v_add_f32_e32 v1, v1, v143
	s_delay_alu instid0(VALU_DEP_1) | instskip(NEXT) | instid1(VALU_DEP_1)
	v_add_f32_e32 v1, v1, v144
	v_add_f32_e32 v1, v1, v146
	s_delay_alu instid0(VALU_DEP_1) | instskip(NEXT) | instid1(VALU_DEP_1)
	v_add_f32_e32 v1, v1, v148
	v_add_f32_e32 v1, v1, v150
	s_delay_alu instid0(VALU_DEP_1) | instskip(NEXT) | instid1(VALU_DEP_1)
	v_add_f32_e32 v1, v1, v152
	v_dual_add_f32 v6, v1, v154 :: v_dual_fmac_f32 v179, v8, v3
	s_delay_alu instid0(VALU_DEP_1) | instskip(NEXT) | instid1(VALU_DEP_1)
	v_add_f32_e32 v14, v6, v156
	v_add_f32_e32 v14, v14, v158
	s_delay_alu instid0(VALU_DEP_1) | instskip(NEXT) | instid1(VALU_DEP_1)
	v_add_f32_e32 v17, v14, v160
	v_add_f32_e32 v17, v17, v162
	;; [unrolled: 3-line block ×4, first 2 shown]
	s_delay_alu instid0(VALU_DEP_1)
	v_add_f32_e32 v25, v25, v172
	v_add_f32_e32 v5, v2, v151
	ds_load_b128 v[1:4], v21 offset:720
	v_add_f32_e32 v13, v5, v153
	scratch_load_b128 v[5:8], off, off offset:336
	v_add_f32_e32 v13, v13, v155
	s_delay_alu instid0(VALU_DEP_1) | instskip(NEXT) | instid1(VALU_DEP_1)
	v_add_f32_e32 v13, v13, v157
	v_add_f32_e32 v18, v13, v159
	ds_load_b128 v[13:16], v21 offset:736
	s_wait_loadcnt_dscnt 0x101
	v_mul_f32_e32 v22, v1, v10
	v_mul_f32_e32 v10, v2, v10
	;; [unrolled: 1-line block ×4, first 2 shown]
	v_add_f32_e32 v18, v18, v161
	v_fmac_f32_e32 v22, v2, v9
	v_fma_f32 v129, v1, v9, -v10
	v_fmac_f32_e32 v128, v4, v11
	v_fma_f32 v130, v3, v11, -v12
	s_clause 0x1
	scratch_load_b128 v[1:4], off, off offset:352
	scratch_load_b128 v[9:12], off, off offset:368
	v_add_f32_e32 v18, v18, v163
	s_delay_alu instid0(VALU_DEP_1) | instskip(SKIP_3) | instid1(VALU_DEP_1)
	v_add_f32_e32 v24, v18, v165
	scratch_load_b128 v[17:20], off, off offset:384
	v_add_f32_e32 v24, v24, v167
	s_wait_loadcnt_dscnt 0x300
	v_dual_add_f32 v24, v24, v169 :: v_dual_mul_f32 v131, v13, v6
	v_mul_f32_e32 v6, v14, v6
	v_mul_f32_e32 v132, v15, v8
	s_delay_alu instid0(VALU_DEP_3) | instskip(NEXT) | instid1(VALU_DEP_3)
	v_dual_mul_f32 v8, v16, v8 :: v_dual_fmac_f32 v131, v14, v5
	v_fma_f32 v133, v13, v5, -v6
	v_dual_add_f32 v13, v24, v171 :: v_dual_add_f32 v24, v25, v174
	s_delay_alu instid0(VALU_DEP_4) | instskip(NEXT) | instid1(VALU_DEP_4)
	v_fmac_f32_e32 v132, v16, v7
	v_fma_f32 v134, v15, v7, -v8
	ds_load_b128 v[5:8], v21 offset:752
	v_add_f32_e32 v25, v13, v173
	v_add_f32_e32 v135, v24, v176
	ds_load_b128 v[13:16], v21 offset:768
	v_add_f32_e32 v138, v25, v175
	ds_load_b128 v[24:27], v21 offset:784
	v_add_f32_e32 v21, v135, v178
	v_add_f32_e32 v135, v138, v177
	s_delay_alu instid0(VALU_DEP_2) | instskip(NEXT) | instid1(VALU_DEP_2)
	v_add_f32_e32 v21, v21, v180
	v_add_f32_e32 v135, v135, v179
	s_delay_alu instid0(VALU_DEP_2) | instskip(SKIP_2) | instid1(VALU_DEP_3)
	v_add_f32_e32 v21, v21, v129
	s_wait_loadcnt_dscnt 0x202
	v_mul_f32_e32 v138, v5, v2
	v_add_f32_e32 v22, v135, v22
	v_mul_f32_e32 v2, v6, v2
	v_add_f32_e32 v21, v21, v130
	v_mul_f32_e32 v129, v7, v4
	v_mul_f32_e32 v4, v8, v4
	v_add_f32_e32 v22, v22, v128
	v_fma_f32 v2, v5, v1, -v2
	v_add_f32_e32 v21, v21, v133
	s_wait_loadcnt_dscnt 0x101
	v_dual_fmac_f32 v138, v6, v1 :: v_dual_mul_f32 v135, v13, v10
	v_add_f32_e32 v22, v22, v131
	v_mul_f32_e32 v6, v14, v10
	v_add_f32_e32 v1, v21, v134
	v_fmac_f32_e32 v129, v8, v3
	v_fma_f32 v3, v7, v3, -v4
	v_add_f32_e32 v5, v22, v132
	v_mul_f32_e32 v139, v15, v12
	v_dual_add_f32 v1, v1, v2 :: v_dual_mul_f32 v4, v16, v12
	s_delay_alu instid0(VALU_DEP_3) | instskip(SKIP_2) | instid1(VALU_DEP_3)
	v_dual_fmac_f32 v135, v14, v9 :: v_dual_add_f32 v2, v5, v138
	v_fma_f32 v5, v13, v9, -v6
	s_wait_loadcnt_dscnt 0x0
	v_dual_add_f32 v1, v1, v3 :: v_dual_mul_f32 v128, v24, v18
	s_delay_alu instid0(VALU_DEP_3) | instskip(SKIP_2) | instid1(VALU_DEP_4)
	v_dual_mul_f32 v3, v25, v18 :: v_dual_add_f32 v2, v2, v129
	v_fmac_f32_e32 v139, v16, v11
	v_fma_f32 v4, v15, v11, -v4
	v_dual_add_f32 v1, v1, v5 :: v_dual_mul_f32 v130, v26, v20
	s_delay_alu instid0(VALU_DEP_4) | instskip(SKIP_2) | instid1(VALU_DEP_3)
	v_dual_add_f32 v2, v2, v135 :: v_dual_mul_f32 v5, v27, v20
	v_fmac_f32_e32 v128, v25, v17
	v_fma_f32 v3, v24, v17, -v3
	v_dual_add_f32 v1, v1, v4 :: v_dual_add_f32 v2, v2, v139
	v_fmac_f32_e32 v130, v27, v19
	v_fma_f32 v4, v26, v19, -v5
	s_delay_alu instid0(VALU_DEP_3) | instskip(NEXT) | instid1(VALU_DEP_1)
	v_dual_add_f32 v1, v1, v3 :: v_dual_add_f32 v2, v2, v128
	v_dual_add_f32 v1, v1, v4 :: v_dual_add_f32 v2, v2, v130
	s_delay_alu instid0(VALU_DEP_1)
	v_dual_sub_f32 v1, v136, v1 :: v_dual_sub_f32 v2, v137, v2
	scratch_store_b64 off, v[1:2], off offset:56
	v_cmpx_lt_u32_e32 6, v0
	s_cbranch_execz .LBB113_301
; %bb.300:
	scratch_load_b64 v[1:2], off, off offset:48
	v_mov_b32_e32 v3, 0
	s_delay_alu instid0(VALU_DEP_1)
	v_mov_b32_e32 v4, v3
	scratch_store_b64 off, v[3:4], off offset:48
	s_wait_loadcnt 0x0
	ds_store_b64 v23, v[1:2]
.LBB113_301:
	s_wait_alu 0xfffe
	s_or_b32 exec_lo, exec_lo, s0
	s_wait_storecnt_dscnt 0x0
	s_barrier_signal -1
	s_barrier_wait -1
	global_inv scope:SCOPE_SE
	s_clause 0x4
	scratch_load_b128 v[5:8], off, off offset:56
	scratch_load_b128 v[1:4], off, off offset:72
	;; [unrolled: 1-line block ×5, first 2 shown]
	v_mov_b32_e32 v21, 0
	ds_load_2addr_b64 v[24:27], v21 offset0:57 offset1:58
	ds_load_2addr_b64 v[128:131], v21 offset0:59 offset1:60
	;; [unrolled: 1-line block ×3, first 2 shown]
	scratch_load_b64 v[136:137], off, off offset:48
	s_mov_b32 s0, exec_lo
	s_wait_loadcnt_dscnt 0x502
	v_mul_f32_e32 v22, v25, v6
	v_dual_mul_f32 v138, v24, v6 :: v_dual_mul_f32 v139, v26, v8
	v_mul_f32_e32 v6, v27, v8
	s_delay_alu instid0(VALU_DEP_3) | instskip(NEXT) | instid1(VALU_DEP_3)
	v_fma_f32 v22, v24, v5, -v22
	v_dual_fmac_f32 v138, v25, v5 :: v_dual_fmac_f32 v139, v27, v7
	s_wait_loadcnt_dscnt 0x401
	v_mul_f32_e32 v25, v128, v2
	v_fma_f32 v24, v26, v7, -v6
	ds_load_2addr_b64 v[5:8], v21 offset0:63 offset1:64
	s_wait_loadcnt_dscnt 0x301
	v_dual_mul_f32 v26, v130, v4 :: v_dual_mul_f32 v27, v132, v10
	v_dual_mul_f32 v4, v131, v4 :: v_dual_fmac_f32 v25, v129, v1
	v_mul_f32_e32 v10, v133, v10
	s_delay_alu instid0(VALU_DEP_3)
	v_dual_mul_f32 v140, v134, v12 :: v_dual_fmac_f32 v27, v133, v9
	v_mul_f32_e32 v12, v135, v12
	v_mul_f32_e32 v2, v129, v2
	v_fmac_f32_e32 v26, v131, v3
	v_fma_f32 v129, v130, v3, -v4
	v_fma_f32 v130, v132, v9, -v10
	v_fmac_f32_e32 v140, v135, v11
	v_fma_f32 v131, v134, v11, -v12
	ds_load_2addr_b64 v[9:12], v21 offset0:65 offset1:66
	s_wait_loadcnt_dscnt 0x201
	v_mul_f32_e32 v133, v7, v16
	v_fma_f32 v128, v128, v1, -v2
	scratch_load_b128 v[1:4], off, off offset:136
	v_mul_f32_e32 v132, v5, v14
	v_mul_f32_e32 v14, v6, v14
	;; [unrolled: 1-line block ×3, first 2 shown]
	s_delay_alu instid0(VALU_DEP_3) | instskip(NEXT) | instid1(VALU_DEP_3)
	v_dual_fmac_f32 v133, v8, v15 :: v_dual_fmac_f32 v132, v6, v13
	v_fma_f32 v13, v5, v13, -v14
	s_delay_alu instid0(VALU_DEP_3)
	v_fma_f32 v14, v7, v15, -v16
	ds_load_2addr_b64 v[5:8], v21 offset0:67 offset1:68
	s_wait_loadcnt_dscnt 0x201
	v_mul_f32_e32 v15, v9, v18
	v_mul_f32_e32 v16, v10, v18
	;; [unrolled: 1-line block ×3, first 2 shown]
	s_delay_alu instid0(VALU_DEP_3) | instskip(NEXT) | instid1(VALU_DEP_3)
	v_dual_mul_f32 v20, v12, v20 :: v_dual_fmac_f32 v15, v10, v17
	v_fma_f32 v16, v9, v17, -v16
	s_delay_alu instid0(VALU_DEP_3) | instskip(NEXT) | instid1(VALU_DEP_3)
	v_fmac_f32_e32 v18, v12, v19
	v_fma_f32 v17, v11, v19, -v20
	scratch_load_b128 v[9:12], off, off offset:152
	s_wait_loadcnt_dscnt 0x100
	v_mul_f32_e32 v19, v5, v2
	v_mul_f32_e32 v2, v6, v2
	;; [unrolled: 1-line block ×3, first 2 shown]
	s_delay_alu instid0(VALU_DEP_3) | instskip(NEXT) | instid1(VALU_DEP_3)
	v_dual_mul_f32 v4, v8, v4 :: v_dual_fmac_f32 v19, v6, v1
	v_fma_f32 v134, v5, v1, -v2
	s_delay_alu instid0(VALU_DEP_3) | instskip(NEXT) | instid1(VALU_DEP_3)
	v_fmac_f32_e32 v20, v8, v3
	v_fma_f32 v135, v7, v3, -v4
	ds_load_2addr_b64 v[1:4], v21 offset0:69 offset1:70
	ds_load_2addr_b64 v[5:8], v21 offset0:71 offset1:72
	s_wait_loadcnt_dscnt 0x1
	v_mul_f32_e32 v141, v1, v10
	v_mul_f32_e32 v10, v2, v10
	s_delay_alu instid0(VALU_DEP_2) | instskip(NEXT) | instid1(VALU_DEP_2)
	v_dual_mul_f32 v142, v3, v12 :: v_dual_fmac_f32 v141, v2, v9
	v_fma_f32 v143, v1, v9, -v10
	v_mul_f32_e32 v1, v4, v12
	s_delay_alu instid0(VALU_DEP_3) | instskip(NEXT) | instid1(VALU_DEP_2)
	v_fmac_f32_e32 v142, v4, v11
	v_fma_f32 v144, v3, v11, -v1
	s_clause 0x1
	scratch_load_b128 v[1:4], off, off offset:168
	scratch_load_b128 v[9:12], off, off offset:184
	s_wait_loadcnt_dscnt 0x100
	v_mul_f32_e32 v145, v5, v2
	v_dual_mul_f32 v2, v6, v2 :: v_dual_mul_f32 v147, v7, v4
	s_delay_alu instid0(VALU_DEP_2) | instskip(NEXT) | instid1(VALU_DEP_2)
	v_fmac_f32_e32 v145, v6, v1
	v_fma_f32 v146, v5, v1, -v2
	v_mul_f32_e32 v1, v8, v4
	s_delay_alu instid0(VALU_DEP_4) | instskip(NEXT) | instid1(VALU_DEP_2)
	v_fmac_f32_e32 v147, v8, v3
	v_fma_f32 v148, v7, v3, -v1
	ds_load_2addr_b64 v[1:4], v21 offset0:73 offset1:74
	ds_load_2addr_b64 v[5:8], v21 offset0:75 offset1:76
	s_wait_loadcnt_dscnt 0x1
	v_mul_f32_e32 v149, v1, v10
	v_mul_f32_e32 v151, v3, v12
	s_delay_alu instid0(VALU_DEP_2) | instskip(NEXT) | instid1(VALU_DEP_2)
	v_fmac_f32_e32 v149, v2, v9
	v_dual_mul_f32 v2, v2, v10 :: v_dual_fmac_f32 v151, v4, v11
	s_delay_alu instid0(VALU_DEP_1) | instskip(SKIP_1) | instid1(VALU_DEP_1)
	v_fma_f32 v150, v1, v9, -v2
	v_mul_f32_e32 v1, v4, v12
	v_fma_f32 v152, v3, v11, -v1
	s_clause 0x1
	scratch_load_b128 v[1:4], off, off offset:200
	scratch_load_b128 v[9:12], off, off offset:216
	s_wait_loadcnt_dscnt 0x100
	v_mul_f32_e32 v153, v5, v2
	v_dual_mul_f32 v155, v7, v4 :: v_dual_mul_f32 v2, v6, v2
	s_delay_alu instid0(VALU_DEP_2) | instskip(NEXT) | instid1(VALU_DEP_2)
	v_fmac_f32_e32 v153, v6, v1
	v_fmac_f32_e32 v155, v8, v3
	s_delay_alu instid0(VALU_DEP_3) | instskip(SKIP_1) | instid1(VALU_DEP_1)
	v_fma_f32 v154, v5, v1, -v2
	v_mul_f32_e32 v1, v8, v4
	v_fma_f32 v156, v7, v3, -v1
	ds_load_2addr_b64 v[1:4], v21 offset0:77 offset1:78
	ds_load_2addr_b64 v[5:8], v21 offset0:79 offset1:80
	s_wait_loadcnt_dscnt 0x1
	v_mul_f32_e32 v157, v1, v10
	v_mul_f32_e32 v159, v3, v12
	s_delay_alu instid0(VALU_DEP_2) | instskip(NEXT) | instid1(VALU_DEP_2)
	v_fmac_f32_e32 v157, v2, v9
	v_dual_mul_f32 v2, v2, v10 :: v_dual_fmac_f32 v159, v4, v11
	s_delay_alu instid0(VALU_DEP_1) | instskip(SKIP_1) | instid1(VALU_DEP_1)
	v_fma_f32 v158, v1, v9, -v2
	v_mul_f32_e32 v1, v4, v12
	v_fma_f32 v160, v3, v11, -v1
	s_clause 0x1
	scratch_load_b128 v[1:4], off, off offset:232
	scratch_load_b128 v[9:12], off, off offset:248
	s_wait_loadcnt_dscnt 0x100
	v_mul_f32_e32 v161, v5, v2
	v_dual_mul_f32 v2, v6, v2 :: v_dual_mul_f32 v163, v7, v4
	s_delay_alu instid0(VALU_DEP_2) | instskip(NEXT) | instid1(VALU_DEP_2)
	v_fmac_f32_e32 v161, v6, v1
	v_fma_f32 v162, v5, v1, -v2
	v_mul_f32_e32 v1, v8, v4
	s_delay_alu instid0(VALU_DEP_4) | instskip(NEXT) | instid1(VALU_DEP_2)
	v_fmac_f32_e32 v163, v8, v3
	v_fma_f32 v164, v7, v3, -v1
	ds_load_2addr_b64 v[1:4], v21 offset0:81 offset1:82
	ds_load_2addr_b64 v[5:8], v21 offset0:83 offset1:84
	s_wait_loadcnt_dscnt 0x1
	v_mul_f32_e32 v165, v1, v10
	v_mul_f32_e32 v167, v3, v12
	s_delay_alu instid0(VALU_DEP_2) | instskip(NEXT) | instid1(VALU_DEP_2)
	v_fmac_f32_e32 v165, v2, v9
	v_dual_mul_f32 v2, v2, v10 :: v_dual_fmac_f32 v167, v4, v11
	s_delay_alu instid0(VALU_DEP_1) | instskip(SKIP_1) | instid1(VALU_DEP_1)
	v_fma_f32 v166, v1, v9, -v2
	v_mul_f32_e32 v1, v4, v12
	v_fma_f32 v168, v3, v11, -v1
	s_clause 0x1
	scratch_load_b128 v[1:4], off, off offset:264
	scratch_load_b128 v[9:12], off, off offset:280
	s_wait_loadcnt_dscnt 0x100
	v_mul_f32_e32 v169, v5, v2
	v_dual_mul_f32 v2, v6, v2 :: v_dual_mul_f32 v171, v7, v4
	s_delay_alu instid0(VALU_DEP_2) | instskip(NEXT) | instid1(VALU_DEP_2)
	v_fmac_f32_e32 v169, v6, v1
	v_fma_f32 v170, v5, v1, -v2
	v_mul_f32_e32 v1, v8, v4
	s_delay_alu instid0(VALU_DEP_4) | instskip(NEXT) | instid1(VALU_DEP_2)
	v_fmac_f32_e32 v171, v8, v3
	v_fma_f32 v172, v7, v3, -v1
	ds_load_2addr_b64 v[1:4], v21 offset0:85 offset1:86
	ds_load_2addr_b64 v[5:8], v21 offset0:87 offset1:88
	s_wait_loadcnt_dscnt 0x1
	v_mul_f32_e32 v173, v1, v10
	v_mul_f32_e32 v175, v3, v12
	s_delay_alu instid0(VALU_DEP_2) | instskip(NEXT) | instid1(VALU_DEP_2)
	v_fmac_f32_e32 v173, v2, v9
	v_dual_mul_f32 v2, v2, v10 :: v_dual_fmac_f32 v175, v4, v11
	s_delay_alu instid0(VALU_DEP_1) | instskip(SKIP_1) | instid1(VALU_DEP_1)
	v_fma_f32 v174, v1, v9, -v2
	v_mul_f32_e32 v1, v4, v12
	v_fma_f32 v176, v3, v11, -v1
	s_clause 0x1
	scratch_load_b128 v[1:4], off, off offset:296
	scratch_load_b128 v[9:12], off, off offset:312
	s_wait_loadcnt_dscnt 0x100
	v_mul_f32_e32 v177, v5, v2
	v_mul_f32_e32 v2, v6, v2
	s_delay_alu instid0(VALU_DEP_1) | instskip(SKIP_1) | instid1(VALU_DEP_1)
	v_fma_f32 v178, v5, v1, -v2
	v_add_f32_e32 v2, 0, v138
	v_add_f32_e32 v2, v2, v139
	s_delay_alu instid0(VALU_DEP_1) | instskip(NEXT) | instid1(VALU_DEP_1)
	v_add_f32_e32 v2, v2, v25
	v_add_f32_e32 v2, v2, v26
	s_delay_alu instid0(VALU_DEP_1) | instskip(NEXT) | instid1(VALU_DEP_1)
	;; [unrolled: 3-line block ×7, first 2 shown]
	v_add_f32_e32 v2, v2, v145
	v_add_f32_e32 v2, v2, v147
	s_delay_alu instid0(VALU_DEP_1) | instskip(SKIP_2) | instid1(VALU_DEP_1)
	v_add_f32_e32 v2, v2, v149
	v_fmac_f32_e32 v177, v6, v1
	v_mul_f32_e32 v1, v8, v4
	v_fma_f32 v180, v7, v3, -v1
	v_add_f32_e32 v1, 0, v22
	s_delay_alu instid0(VALU_DEP_1) | instskip(NEXT) | instid1(VALU_DEP_1)
	v_add_f32_e32 v1, v1, v24
	v_add_f32_e32 v1, v1, v128
	s_delay_alu instid0(VALU_DEP_1) | instskip(SKIP_2) | instid1(VALU_DEP_1)
	v_add_f32_e32 v1, v1, v129
	scratch_load_b64 v[128:129], off, off offset:392
	v_add_f32_e32 v1, v1, v130
	v_add_f32_e32 v1, v1, v131
	s_delay_alu instid0(VALU_DEP_1) | instskip(NEXT) | instid1(VALU_DEP_1)
	v_add_f32_e32 v1, v1, v13
	v_add_f32_e32 v1, v1, v14
	s_delay_alu instid0(VALU_DEP_1) | instskip(NEXT) | instid1(VALU_DEP_1)
	;; [unrolled: 3-line block ×8, first 2 shown]
	v_dual_mul_f32 v179, v7, v4 :: v_dual_add_f32 v14, v14, v158
	v_fmac_f32_e32 v179, v8, v3
	s_delay_alu instid0(VALU_DEP_2) | instskip(NEXT) | instid1(VALU_DEP_1)
	v_add_f32_e32 v17, v14, v160
	v_add_f32_e32 v17, v17, v162
	s_delay_alu instid0(VALU_DEP_1) | instskip(NEXT) | instid1(VALU_DEP_1)
	v_add_f32_e32 v17, v17, v164
	v_add_f32_e32 v17, v17, v166
	s_delay_alu instid0(VALU_DEP_1) | instskip(NEXT) | instid1(VALU_DEP_1)
	;; [unrolled: 3-line block ×3, first 2 shown]
	v_add_f32_e32 v25, v25, v172
	v_add_f32_e32 v25, v25, v174
	;; [unrolled: 1-line block ×3, first 2 shown]
	scratch_load_b128 v[1:4], off, off offset:328
	v_add_f32_e32 v13, v5, v153
	ds_load_2addr_b64 v[5:8], v21 offset0:89 offset1:90
	v_add_f32_e32 v13, v13, v155
	s_delay_alu instid0(VALU_DEP_1) | instskip(NEXT) | instid1(VALU_DEP_1)
	v_add_f32_e32 v13, v13, v157
	v_add_f32_e32 v18, v13, v159
	ds_load_2addr_b64 v[13:16], v21 offset0:91 offset1:92
	v_add_f32_e32 v18, v18, v161
	s_wait_loadcnt_dscnt 0x201
	v_mul_f32_e32 v22, v5, v10
	v_mul_f32_e32 v10, v6, v10
	;; [unrolled: 1-line block ×4, first 2 shown]
	v_add_f32_e32 v18, v18, v163
	v_fmac_f32_e32 v22, v6, v9
	v_fma_f32 v133, v5, v9, -v10
	v_fmac_f32_e32 v132, v8, v11
	v_fma_f32 v134, v7, v11, -v12
	s_clause 0x1
	scratch_load_b128 v[9:12], off, off offset:360
	scratch_load_b128 v[5:8], off, off offset:344
	v_add_f32_e32 v24, v18, v165
	scratch_load_b128 v[17:20], off, off offset:376
	v_add_f32_e32 v24, v24, v167
	s_delay_alu instid0(VALU_DEP_1) | instskip(SKIP_1) | instid1(VALU_DEP_1)
	v_add_f32_e32 v24, v24, v169
	s_wait_loadcnt_dscnt 0x300
	v_dual_add_f32 v24, v24, v171 :: v_dual_mul_f32 v135, v13, v2
	v_mul_f32_e32 v2, v14, v2
	v_mul_f32_e32 v138, v15, v4
	s_delay_alu instid0(VALU_DEP_3) | instskip(NEXT) | instid1(VALU_DEP_3)
	v_dual_mul_f32 v4, v16, v4 :: v_dual_fmac_f32 v135, v14, v1
	v_fma_f32 v139, v13, v1, -v2
	v_dual_add_f32 v13, v24, v173 :: v_dual_add_f32 v14, v25, v176
	s_delay_alu instid0(VALU_DEP_4) | instskip(NEXT) | instid1(VALU_DEP_4)
	v_fmac_f32_e32 v138, v16, v3
	v_fma_f32 v140, v15, v3, -v4
	ds_load_2addr_b64 v[1:4], v21 offset0:93 offset1:94
	v_add_f32_e32 v24, v13, v175
	v_add_f32_e32 v130, v14, v178
	ds_load_2addr_b64 v[13:16], v21 offset0:95 offset1:96
	v_add_f32_e32 v131, v24, v177
	ds_load_2addr_b64 v[24:27], v21 offset0:97 offset1:98
	v_dual_add_f32 v141, v130, v180 :: v_dual_add_f32 v142, v131, v179
	ds_load_b64 v[130:131], v21 offset:792
	v_dual_add_f32 v133, v141, v133 :: v_dual_add_f32 v22, v142, v22
	s_delay_alu instid0(VALU_DEP_1)
	v_dual_add_f32 v133, v133, v134 :: v_dual_add_f32 v22, v22, v132
	s_wait_loadcnt_dscnt 0x202
	v_mul_f32_e32 v134, v13, v10
	s_wait_loadcnt 0x1
	v_mul_f32_e32 v132, v3, v8
	v_mul_f32_e32 v8, v4, v8
	v_dual_add_f32 v22, v22, v135 :: v_dual_mul_f32 v135, v15, v12
	v_fmac_f32_e32 v134, v14, v9
	s_delay_alu instid0(VALU_DEP_4) | instskip(NEXT) | instid1(VALU_DEP_3)
	v_fmac_f32_e32 v132, v4, v7
	v_add_f32_e32 v22, v22, v138
	s_wait_dscnt 0x0
	v_dual_mul_f32 v138, v130, v129 :: v_dual_mul_f32 v141, v1, v6
	v_dual_mul_f32 v6, v2, v6 :: v_dual_fmac_f32 v135, v16, v11
	s_delay_alu instid0(VALU_DEP_2) | instskip(NEXT) | instid1(VALU_DEP_2)
	v_dual_fmac_f32 v138, v131, v128 :: v_dual_add_f32 v133, v133, v139
	v_fma_f32 v1, v1, v5, -v6
	s_delay_alu instid0(VALU_DEP_4) | instskip(SKIP_3) | instid1(VALU_DEP_4)
	v_fmac_f32_e32 v141, v2, v5
	v_fma_f32 v2, v3, v7, -v8
	v_mul_f32_e32 v3, v14, v10
	v_add_f32_e32 v133, v133, v140
	v_dual_mul_f32 v5, v16, v12 :: v_dual_add_f32 v4, v22, v141
	s_wait_loadcnt 0x0
	v_mul_f32_e32 v139, v24, v18
	v_fma_f32 v3, v13, v9, -v3
	v_add_f32_e32 v1, v133, v1
	v_fma_f32 v5, v15, v11, -v5
	s_delay_alu instid0(VALU_DEP_4) | instskip(NEXT) | instid1(VALU_DEP_3)
	v_dual_mul_f32 v140, v26, v20 :: v_dual_fmac_f32 v139, v25, v17
	v_dual_add_f32 v1, v1, v2 :: v_dual_add_f32 v2, v4, v132
	v_mul_f32_e32 v4, v25, v18
	s_delay_alu instid0(VALU_DEP_3) | instskip(NEXT) | instid1(VALU_DEP_3)
	v_fmac_f32_e32 v140, v27, v19
	v_dual_add_f32 v1, v1, v3 :: v_dual_add_f32 v2, v2, v134
	v_mul_f32_e32 v3, v27, v20
	s_delay_alu instid0(VALU_DEP_4) | instskip(NEXT) | instid1(VALU_DEP_3)
	v_fma_f32 v4, v24, v17, -v4
	v_dual_add_f32 v1, v1, v5 :: v_dual_add_f32 v2, v2, v135
	v_mul_f32_e32 v5, v131, v129
	s_delay_alu instid0(VALU_DEP_4) | instskip(NEXT) | instid1(VALU_DEP_3)
	v_fma_f32 v3, v26, v19, -v3
	v_dual_add_f32 v1, v1, v4 :: v_dual_add_f32 v2, v2, v139
	s_delay_alu instid0(VALU_DEP_3) | instskip(NEXT) | instid1(VALU_DEP_2)
	v_fma_f32 v4, v130, v128, -v5
	v_dual_add_f32 v1, v1, v3 :: v_dual_add_f32 v2, v2, v140
	s_delay_alu instid0(VALU_DEP_1) | instskip(NEXT) | instid1(VALU_DEP_1)
	v_dual_add_f32 v1, v1, v4 :: v_dual_add_f32 v2, v2, v138
	v_dual_sub_f32 v1, v136, v1 :: v_dual_sub_f32 v2, v137, v2
	scratch_store_b64 off, v[1:2], off offset:48
	v_cmpx_lt_u32_e32 5, v0
	s_cbranch_execz .LBB113_303
; %bb.302:
	scratch_load_b64 v[1:2], off, off offset:40
	v_mov_b32_e32 v22, v21
	scratch_store_b64 off, v[21:22], off offset:40
	s_wait_loadcnt 0x0
	ds_store_b64 v23, v[1:2]
.LBB113_303:
	s_wait_alu 0xfffe
	s_or_b32 exec_lo, exec_lo, s0
	s_wait_storecnt_dscnt 0x0
	s_barrier_signal -1
	s_barrier_wait -1
	global_inv scope:SCOPE_SE
	s_clause 0x4
	scratch_load_b128 v[5:8], off, off offset:48
	scratch_load_b128 v[1:4], off, off offset:64
	;; [unrolled: 1-line block ×5, first 2 shown]
	ds_load_b128 v[24:27], v21 offset:448
	ds_load_b128 v[128:131], v21 offset:464
	;; [unrolled: 1-line block ×3, first 2 shown]
	scratch_load_b64 v[136:137], off, off offset:40
	s_mov_b32 s0, exec_lo
	s_wait_loadcnt_dscnt 0x502
	v_dual_mul_f32 v22, v25, v6 :: v_dual_mul_f32 v139, v26, v8
	v_mul_f32_e32 v138, v24, v6
	v_mul_f32_e32 v6, v27, v8
	s_wait_loadcnt_dscnt 0x300
	v_mul_f32_e32 v140, v134, v12
	v_fma_f32 v22, v24, v5, -v22
	v_dual_fmac_f32 v139, v27, v7 :: v_dual_fmac_f32 v138, v25, v5
	v_mul_f32_e32 v27, v132, v10
	v_mul_f32_e32 v25, v128, v2
	v_fma_f32 v24, v26, v7, -v6
	ds_load_b128 v[5:8], v21 offset:496
	v_mul_f32_e32 v26, v130, v4
	v_dual_mul_f32 v4, v131, v4 :: v_dual_fmac_f32 v27, v133, v9
	v_mul_f32_e32 v10, v133, v10
	v_mul_f32_e32 v12, v135, v12
	;; [unrolled: 1-line block ×3, first 2 shown]
	v_dual_fmac_f32 v25, v129, v1 :: v_dual_fmac_f32 v26, v131, v3
	v_fma_f32 v129, v130, v3, -v4
	v_fma_f32 v130, v132, v9, -v10
	v_fmac_f32_e32 v140, v135, v11
	v_fma_f32 v131, v134, v11, -v12
	ds_load_b128 v[9:12], v21 offset:512
	s_wait_loadcnt_dscnt 0x201
	v_mul_f32_e32 v133, v7, v16
	v_fma_f32 v128, v128, v1, -v2
	scratch_load_b128 v[1:4], off, off offset:128
	v_mul_f32_e32 v132, v5, v14
	v_mul_f32_e32 v14, v6, v14
	;; [unrolled: 1-line block ×3, first 2 shown]
	s_delay_alu instid0(VALU_DEP_3) | instskip(NEXT) | instid1(VALU_DEP_3)
	v_dual_fmac_f32 v133, v8, v15 :: v_dual_fmac_f32 v132, v6, v13
	v_fma_f32 v13, v5, v13, -v14
	s_delay_alu instid0(VALU_DEP_3)
	v_fma_f32 v14, v7, v15, -v16
	ds_load_b128 v[5:8], v21 offset:528
	s_wait_loadcnt_dscnt 0x201
	v_mul_f32_e32 v15, v9, v18
	v_mul_f32_e32 v16, v10, v18
	;; [unrolled: 1-line block ×3, first 2 shown]
	s_delay_alu instid0(VALU_DEP_3) | instskip(NEXT) | instid1(VALU_DEP_3)
	v_dual_mul_f32 v20, v12, v20 :: v_dual_fmac_f32 v15, v10, v17
	v_fma_f32 v16, v9, v17, -v16
	s_delay_alu instid0(VALU_DEP_3) | instskip(NEXT) | instid1(VALU_DEP_3)
	v_fmac_f32_e32 v18, v12, v19
	v_fma_f32 v17, v11, v19, -v20
	scratch_load_b128 v[9:12], off, off offset:144
	s_wait_loadcnt_dscnt 0x100
	v_mul_f32_e32 v19, v5, v2
	v_mul_f32_e32 v2, v6, v2
	;; [unrolled: 1-line block ×3, first 2 shown]
	s_delay_alu instid0(VALU_DEP_3) | instskip(NEXT) | instid1(VALU_DEP_3)
	v_dual_mul_f32 v4, v8, v4 :: v_dual_fmac_f32 v19, v6, v1
	v_fma_f32 v134, v5, v1, -v2
	s_delay_alu instid0(VALU_DEP_3) | instskip(NEXT) | instid1(VALU_DEP_3)
	v_fmac_f32_e32 v20, v8, v3
	v_fma_f32 v135, v7, v3, -v4
	ds_load_b128 v[1:4], v21 offset:544
	ds_load_b128 v[5:8], v21 offset:560
	s_wait_loadcnt_dscnt 0x1
	v_mul_f32_e32 v141, v1, v10
	v_mul_f32_e32 v10, v2, v10
	s_delay_alu instid0(VALU_DEP_2) | instskip(NEXT) | instid1(VALU_DEP_2)
	v_dual_mul_f32 v142, v3, v12 :: v_dual_fmac_f32 v141, v2, v9
	v_fma_f32 v143, v1, v9, -v10
	v_mul_f32_e32 v1, v4, v12
	s_delay_alu instid0(VALU_DEP_3) | instskip(NEXT) | instid1(VALU_DEP_2)
	v_fmac_f32_e32 v142, v4, v11
	v_fma_f32 v144, v3, v11, -v1
	s_clause 0x1
	scratch_load_b128 v[1:4], off, off offset:160
	scratch_load_b128 v[9:12], off, off offset:176
	s_wait_loadcnt_dscnt 0x100
	v_mul_f32_e32 v145, v5, v2
	v_dual_mul_f32 v2, v6, v2 :: v_dual_mul_f32 v147, v7, v4
	s_delay_alu instid0(VALU_DEP_2) | instskip(NEXT) | instid1(VALU_DEP_2)
	v_fmac_f32_e32 v145, v6, v1
	v_fma_f32 v146, v5, v1, -v2
	v_mul_f32_e32 v1, v8, v4
	s_delay_alu instid0(VALU_DEP_4) | instskip(NEXT) | instid1(VALU_DEP_2)
	v_fmac_f32_e32 v147, v8, v3
	v_fma_f32 v148, v7, v3, -v1
	ds_load_b128 v[1:4], v21 offset:576
	ds_load_b128 v[5:8], v21 offset:592
	s_wait_loadcnt_dscnt 0x1
	v_mul_f32_e32 v149, v1, v10
	v_mul_f32_e32 v151, v3, v12
	s_delay_alu instid0(VALU_DEP_2) | instskip(NEXT) | instid1(VALU_DEP_2)
	v_fmac_f32_e32 v149, v2, v9
	v_dual_mul_f32 v2, v2, v10 :: v_dual_fmac_f32 v151, v4, v11
	s_delay_alu instid0(VALU_DEP_1) | instskip(SKIP_1) | instid1(VALU_DEP_1)
	v_fma_f32 v150, v1, v9, -v2
	v_mul_f32_e32 v1, v4, v12
	v_fma_f32 v152, v3, v11, -v1
	s_clause 0x1
	scratch_load_b128 v[1:4], off, off offset:192
	scratch_load_b128 v[9:12], off, off offset:208
	s_wait_loadcnt_dscnt 0x100
	v_mul_f32_e32 v153, v5, v2
	v_dual_mul_f32 v2, v6, v2 :: v_dual_mul_f32 v155, v7, v4
	s_delay_alu instid0(VALU_DEP_2) | instskip(NEXT) | instid1(VALU_DEP_2)
	v_fmac_f32_e32 v153, v6, v1
	v_fma_f32 v154, v5, v1, -v2
	v_mul_f32_e32 v1, v8, v4
	s_delay_alu instid0(VALU_DEP_4) | instskip(NEXT) | instid1(VALU_DEP_2)
	v_fmac_f32_e32 v155, v8, v3
	v_fma_f32 v156, v7, v3, -v1
	ds_load_b128 v[1:4], v21 offset:608
	ds_load_b128 v[5:8], v21 offset:624
	s_wait_loadcnt_dscnt 0x1
	v_mul_f32_e32 v157, v1, v10
	v_mul_f32_e32 v159, v3, v12
	s_delay_alu instid0(VALU_DEP_2) | instskip(NEXT) | instid1(VALU_DEP_2)
	v_fmac_f32_e32 v157, v2, v9
	v_dual_mul_f32 v2, v2, v10 :: v_dual_fmac_f32 v159, v4, v11
	s_delay_alu instid0(VALU_DEP_1) | instskip(SKIP_1) | instid1(VALU_DEP_1)
	v_fma_f32 v158, v1, v9, -v2
	v_mul_f32_e32 v1, v4, v12
	;; [unrolled: 25-line block ×5, first 2 shown]
	v_fma_f32 v184, v3, v11, -v1
	s_clause 0x1
	scratch_load_b128 v[1:4], off, off offset:320
	scratch_load_b128 v[9:12], off, off offset:336
	s_wait_loadcnt_dscnt 0x100
	v_mul_f32_e32 v185, v5, v2
	v_dual_mul_f32 v2, v6, v2 :: v_dual_mul_f32 v187, v7, v4
	s_delay_alu instid0(VALU_DEP_2) | instskip(NEXT) | instid1(VALU_DEP_2)
	v_fmac_f32_e32 v185, v6, v1
	v_fma_f32 v186, v5, v1, -v2
	v_dual_mul_f32 v1, v8, v4 :: v_dual_add_f32 v2, 0, v138
	s_delay_alu instid0(VALU_DEP_4) | instskip(NEXT) | instid1(VALU_DEP_2)
	v_fmac_f32_e32 v187, v8, v3
	v_fma_f32 v188, v7, v3, -v1
	s_delay_alu instid0(VALU_DEP_3) | instskip(NEXT) | instid1(VALU_DEP_1)
	v_dual_add_f32 v1, 0, v22 :: v_dual_add_f32 v2, v2, v139
	v_dual_add_f32 v1, v1, v24 :: v_dual_add_f32 v2, v2, v25
	s_delay_alu instid0(VALU_DEP_1) | instskip(NEXT) | instid1(VALU_DEP_1)
	v_dual_add_f32 v1, v1, v128 :: v_dual_add_f32 v2, v2, v26
	v_dual_add_f32 v1, v1, v129 :: v_dual_add_f32 v2, v2, v27
	s_delay_alu instid0(VALU_DEP_1) | instskip(NEXT) | instid1(VALU_DEP_1)
	;; [unrolled: 3-line block ×3, first 2 shown]
	v_add_f32_e32 v1, v1, v13
	v_dual_add_f32 v2, v2, v133 :: v_dual_add_f32 v1, v1, v14
	s_delay_alu instid0(VALU_DEP_1) | instskip(NEXT) | instid1(VALU_DEP_1)
	v_dual_add_f32 v2, v2, v15 :: v_dual_add_f32 v1, v1, v16
	v_dual_add_f32 v2, v2, v18 :: v_dual_add_f32 v1, v1, v17
	s_delay_alu instid0(VALU_DEP_1) | instskip(NEXT) | instid1(VALU_DEP_1)
	v_dual_add_f32 v2, v2, v19 :: v_dual_add_f32 v1, v1, v134
	v_dual_add_f32 v2, v2, v20 :: v_dual_add_f32 v1, v1, v135
	s_delay_alu instid0(VALU_DEP_1) | instskip(NEXT) | instid1(VALU_DEP_1)
	v_dual_add_f32 v2, v2, v141 :: v_dual_add_f32 v1, v1, v143
	v_dual_add_f32 v2, v2, v142 :: v_dual_add_f32 v1, v1, v144
	s_delay_alu instid0(VALU_DEP_1) | instskip(NEXT) | instid1(VALU_DEP_1)
	v_dual_add_f32 v2, v2, v145 :: v_dual_add_f32 v1, v1, v146
	v_dual_add_f32 v2, v2, v147 :: v_dual_add_f32 v1, v1, v148
	s_delay_alu instid0(VALU_DEP_1) | instskip(NEXT) | instid1(VALU_DEP_1)
	v_dual_add_f32 v2, v2, v149 :: v_dual_add_f32 v1, v1, v150
	v_dual_add_f32 v2, v2, v151 :: v_dual_add_f32 v1, v1, v152
	s_delay_alu instid0(VALU_DEP_1) | instskip(NEXT) | instid1(VALU_DEP_1)
	v_dual_add_f32 v2, v2, v153 :: v_dual_add_f32 v1, v1, v154
	v_dual_add_f32 v2, v2, v155 :: v_dual_add_f32 v1, v1, v156
	s_delay_alu instid0(VALU_DEP_1) | instskip(NEXT) | instid1(VALU_DEP_2)
	v_add_f32_e32 v5, v2, v157
	v_add_f32_e32 v1, v1, v158
	s_delay_alu instid0(VALU_DEP_2) | instskip(NEXT) | instid1(VALU_DEP_2)
	v_add_f32_e32 v5, v5, v159
	v_add_f32_e32 v6, v1, v160
	ds_load_b128 v[1:4], v21 offset:736
	v_dual_add_f32 v5, v5, v161 :: v_dual_add_f32 v6, v6, v162
	s_delay_alu instid0(VALU_DEP_1) | instskip(SKIP_2) | instid1(VALU_DEP_1)
	v_dual_add_f32 v14, v5, v163 :: v_dual_add_f32 v13, v6, v164
	ds_load_b128 v[5:8], v21 offset:752
	v_dual_add_f32 v14, v14, v165 :: v_dual_add_f32 v13, v13, v166
	v_dual_add_f32 v14, v14, v167 :: v_dual_add_f32 v13, v13, v168
	s_wait_loadcnt_dscnt 0x1
	v_mul_f32_e32 v22, v1, v10
	v_mul_f32_e32 v128, v3, v12
	;; [unrolled: 1-line block ×3, first 2 shown]
	v_dual_mul_f32 v12, v4, v12 :: v_dual_add_f32 v13, v13, v170
	s_delay_alu instid0(VALU_DEP_4) | instskip(NEXT) | instid1(VALU_DEP_4)
	v_fmac_f32_e32 v22, v2, v9
	v_fmac_f32_e32 v128, v4, v11
	s_delay_alu instid0(VALU_DEP_4) | instskip(NEXT) | instid1(VALU_DEP_4)
	v_fma_f32 v129, v1, v9, -v10
	v_fma_f32 v130, v3, v11, -v12
	s_clause 0x1
	scratch_load_b128 v[1:4], off, off offset:352
	scratch_load_b128 v[9:12], off, off offset:368
	v_dual_add_f32 v17, v14, v169 :: v_dual_add_f32 v18, v13, v172
	scratch_load_b128 v[13:16], off, off offset:384
	v_dual_add_f32 v17, v17, v171 :: v_dual_add_f32 v18, v18, v174
	s_delay_alu instid0(VALU_DEP_1) | instskip(NEXT) | instid1(VALU_DEP_1)
	v_dual_add_f32 v17, v17, v173 :: v_dual_add_f32 v18, v18, v176
	v_dual_add_f32 v17, v17, v175 :: v_dual_add_f32 v24, v18, v178
	s_delay_alu instid0(VALU_DEP_1)
	v_add_f32_e32 v25, v17, v177
	ds_load_b128 v[17:20], v21 offset:768
	v_dual_add_f32 v131, v24, v180 :: v_dual_add_f32 v132, v25, v179
	ds_load_b128 v[24:27], v21 offset:784
	s_wait_loadcnt_dscnt 0x101
	v_dual_mul_f32 v133, v7, v4 :: v_dual_mul_f32 v134, v17, v10
	v_mul_f32_e32 v4, v8, v4
	s_wait_loadcnt_dscnt 0x0
	v_dual_mul_f32 v135, v19, v12 :: v_dual_mul_f32 v138, v24, v14
	v_add_f32_e32 v21, v131, v182
	v_dual_add_f32 v131, v132, v181 :: v_dual_mul_f32 v132, v5, v2
	v_mul_f32_e32 v2, v6, v2
	s_delay_alu instid0(VALU_DEP_4) | instskip(NEXT) | instid1(VALU_DEP_4)
	v_fmac_f32_e32 v138, v25, v13
	v_add_f32_e32 v21, v21, v184
	s_delay_alu instid0(VALU_DEP_4) | instskip(NEXT) | instid1(VALU_DEP_4)
	v_dual_add_f32 v131, v131, v183 :: v_dual_fmac_f32 v132, v6, v1
	v_fma_f32 v2, v5, v1, -v2
	v_mul_f32_e32 v6, v18, v10
	s_delay_alu instid0(VALU_DEP_4) | instskip(NEXT) | instid1(VALU_DEP_4)
	v_add_f32_e32 v21, v21, v186
	v_add_f32_e32 v131, v131, v185
	v_fmac_f32_e32 v133, v8, v3
	v_fma_f32 v3, v7, v3, -v4
	v_mul_f32_e32 v4, v20, v12
	v_add_f32_e32 v21, v21, v188
	v_dual_add_f32 v131, v131, v187 :: v_dual_fmac_f32 v134, v18, v9
	v_fmac_f32_e32 v135, v20, v11
	s_delay_alu instid0(VALU_DEP_4) | instskip(NEXT) | instid1(VALU_DEP_3)
	v_fma_f32 v4, v19, v11, -v4
	v_dual_add_f32 v21, v21, v129 :: v_dual_add_f32 v22, v131, v22
	v_mul_f32_e32 v129, v26, v16
	s_delay_alu instid0(VALU_DEP_2) | instskip(NEXT) | instid1(VALU_DEP_3)
	v_add_f32_e32 v1, v21, v130
	v_add_f32_e32 v5, v22, v128
	s_delay_alu instid0(VALU_DEP_3) | instskip(NEXT) | instid1(VALU_DEP_3)
	v_fmac_f32_e32 v129, v27, v15
	v_add_f32_e32 v1, v1, v2
	s_delay_alu instid0(VALU_DEP_3) | instskip(SKIP_1) | instid1(VALU_DEP_2)
	v_add_f32_e32 v2, v5, v132
	v_fma_f32 v5, v17, v9, -v6
	v_dual_add_f32 v1, v1, v3 :: v_dual_add_f32 v2, v2, v133
	v_mul_f32_e32 v3, v25, v14
	s_delay_alu instid0(VALU_DEP_2) | instskip(SKIP_1) | instid1(VALU_DEP_3)
	v_dual_add_f32 v1, v1, v5 :: v_dual_add_f32 v2, v2, v134
	v_mul_f32_e32 v5, v27, v16
	v_fma_f32 v3, v24, v13, -v3
	s_delay_alu instid0(VALU_DEP_3) | instskip(NEXT) | instid1(VALU_DEP_3)
	v_dual_add_f32 v1, v1, v4 :: v_dual_add_f32 v2, v2, v135
	v_fma_f32 v4, v26, v15, -v5
	s_delay_alu instid0(VALU_DEP_2) | instskip(NEXT) | instid1(VALU_DEP_1)
	v_dual_add_f32 v1, v1, v3 :: v_dual_add_f32 v2, v2, v138
	v_dual_add_f32 v1, v1, v4 :: v_dual_add_f32 v2, v2, v129
	s_delay_alu instid0(VALU_DEP_1)
	v_dual_sub_f32 v1, v136, v1 :: v_dual_sub_f32 v2, v137, v2
	scratch_store_b64 off, v[1:2], off offset:40
	v_cmpx_lt_u32_e32 4, v0
	s_cbranch_execz .LBB113_305
; %bb.304:
	scratch_load_b64 v[1:2], off, off offset:32
	v_mov_b32_e32 v3, 0
	s_delay_alu instid0(VALU_DEP_1)
	v_mov_b32_e32 v4, v3
	scratch_store_b64 off, v[3:4], off offset:32
	s_wait_loadcnt 0x0
	ds_store_b64 v23, v[1:2]
.LBB113_305:
	s_wait_alu 0xfffe
	s_or_b32 exec_lo, exec_lo, s0
	s_wait_storecnt_dscnt 0x0
	s_barrier_signal -1
	s_barrier_wait -1
	global_inv scope:SCOPE_SE
	s_clause 0x4
	scratch_load_b128 v[5:8], off, off offset:40
	scratch_load_b128 v[1:4], off, off offset:56
	;; [unrolled: 1-line block ×5, first 2 shown]
	v_mov_b32_e32 v21, 0
	ds_load_2addr_b64 v[24:27], v21 offset0:55 offset1:56
	ds_load_2addr_b64 v[128:131], v21 offset0:57 offset1:58
	ds_load_2addr_b64 v[132:135], v21 offset0:59 offset1:60
	scratch_load_b64 v[136:137], off, off offset:32
	s_mov_b32 s0, exec_lo
	s_wait_loadcnt_dscnt 0x502
	v_mul_f32_e32 v22, v25, v6
	v_dual_mul_f32 v138, v24, v6 :: v_dual_mul_f32 v139, v26, v8
	v_mul_f32_e32 v6, v27, v8
	s_delay_alu instid0(VALU_DEP_3) | instskip(NEXT) | instid1(VALU_DEP_3)
	v_fma_f32 v22, v24, v5, -v22
	v_dual_fmac_f32 v138, v25, v5 :: v_dual_fmac_f32 v139, v27, v7
	s_wait_loadcnt_dscnt 0x401
	v_mul_f32_e32 v25, v128, v2
	v_fma_f32 v24, v26, v7, -v6
	ds_load_2addr_b64 v[5:8], v21 offset0:61 offset1:62
	s_wait_loadcnt_dscnt 0x301
	v_dual_mul_f32 v26, v130, v4 :: v_dual_mul_f32 v27, v132, v10
	v_dual_mul_f32 v4, v131, v4 :: v_dual_fmac_f32 v25, v129, v1
	v_mul_f32_e32 v10, v133, v10
	s_delay_alu instid0(VALU_DEP_3)
	v_dual_mul_f32 v140, v134, v12 :: v_dual_fmac_f32 v27, v133, v9
	v_mul_f32_e32 v12, v135, v12
	v_mul_f32_e32 v2, v129, v2
	v_fmac_f32_e32 v26, v131, v3
	v_fma_f32 v129, v130, v3, -v4
	v_fma_f32 v130, v132, v9, -v10
	v_fmac_f32_e32 v140, v135, v11
	v_fma_f32 v131, v134, v11, -v12
	ds_load_2addr_b64 v[9:12], v21 offset0:63 offset1:64
	s_wait_loadcnt_dscnt 0x201
	v_mul_f32_e32 v133, v7, v16
	v_fma_f32 v128, v128, v1, -v2
	scratch_load_b128 v[1:4], off, off offset:120
	v_mul_f32_e32 v132, v5, v14
	v_mul_f32_e32 v14, v6, v14
	v_mul_f32_e32 v16, v8, v16
	s_delay_alu instid0(VALU_DEP_3) | instskip(NEXT) | instid1(VALU_DEP_3)
	v_dual_fmac_f32 v133, v8, v15 :: v_dual_fmac_f32 v132, v6, v13
	v_fma_f32 v13, v5, v13, -v14
	s_delay_alu instid0(VALU_DEP_3)
	v_fma_f32 v14, v7, v15, -v16
	ds_load_2addr_b64 v[5:8], v21 offset0:65 offset1:66
	s_wait_loadcnt_dscnt 0x201
	v_mul_f32_e32 v15, v9, v18
	v_mul_f32_e32 v16, v10, v18
	;; [unrolled: 1-line block ×3, first 2 shown]
	s_delay_alu instid0(VALU_DEP_3) | instskip(NEXT) | instid1(VALU_DEP_3)
	v_dual_mul_f32 v20, v12, v20 :: v_dual_fmac_f32 v15, v10, v17
	v_fma_f32 v16, v9, v17, -v16
	s_delay_alu instid0(VALU_DEP_3) | instskip(NEXT) | instid1(VALU_DEP_3)
	v_fmac_f32_e32 v18, v12, v19
	v_fma_f32 v17, v11, v19, -v20
	scratch_load_b128 v[9:12], off, off offset:136
	s_wait_loadcnt_dscnt 0x100
	v_mul_f32_e32 v19, v5, v2
	v_mul_f32_e32 v2, v6, v2
	;; [unrolled: 1-line block ×3, first 2 shown]
	s_delay_alu instid0(VALU_DEP_3) | instskip(NEXT) | instid1(VALU_DEP_3)
	v_dual_mul_f32 v4, v8, v4 :: v_dual_fmac_f32 v19, v6, v1
	v_fma_f32 v134, v5, v1, -v2
	s_delay_alu instid0(VALU_DEP_3) | instskip(NEXT) | instid1(VALU_DEP_3)
	v_fmac_f32_e32 v20, v8, v3
	v_fma_f32 v135, v7, v3, -v4
	ds_load_2addr_b64 v[1:4], v21 offset0:67 offset1:68
	ds_load_2addr_b64 v[5:8], v21 offset0:69 offset1:70
	s_wait_loadcnt_dscnt 0x1
	v_mul_f32_e32 v141, v1, v10
	v_mul_f32_e32 v10, v2, v10
	s_delay_alu instid0(VALU_DEP_2) | instskip(NEXT) | instid1(VALU_DEP_2)
	v_dual_mul_f32 v142, v3, v12 :: v_dual_fmac_f32 v141, v2, v9
	v_fma_f32 v143, v1, v9, -v10
	v_mul_f32_e32 v1, v4, v12
	s_delay_alu instid0(VALU_DEP_3) | instskip(NEXT) | instid1(VALU_DEP_2)
	v_fmac_f32_e32 v142, v4, v11
	v_fma_f32 v144, v3, v11, -v1
	s_clause 0x1
	scratch_load_b128 v[1:4], off, off offset:152
	scratch_load_b128 v[9:12], off, off offset:168
	s_wait_loadcnt_dscnt 0x100
	v_mul_f32_e32 v145, v5, v2
	v_dual_mul_f32 v2, v6, v2 :: v_dual_mul_f32 v147, v7, v4
	s_delay_alu instid0(VALU_DEP_2) | instskip(NEXT) | instid1(VALU_DEP_2)
	v_fmac_f32_e32 v145, v6, v1
	v_fma_f32 v146, v5, v1, -v2
	v_mul_f32_e32 v1, v8, v4
	s_delay_alu instid0(VALU_DEP_4) | instskip(NEXT) | instid1(VALU_DEP_2)
	v_fmac_f32_e32 v147, v8, v3
	v_fma_f32 v148, v7, v3, -v1
	ds_load_2addr_b64 v[1:4], v21 offset0:71 offset1:72
	ds_load_2addr_b64 v[5:8], v21 offset0:73 offset1:74
	s_wait_loadcnt_dscnt 0x1
	v_mul_f32_e32 v149, v1, v10
	v_mul_f32_e32 v151, v3, v12
	s_delay_alu instid0(VALU_DEP_2) | instskip(NEXT) | instid1(VALU_DEP_2)
	v_fmac_f32_e32 v149, v2, v9
	v_dual_mul_f32 v2, v2, v10 :: v_dual_fmac_f32 v151, v4, v11
	s_delay_alu instid0(VALU_DEP_1) | instskip(SKIP_1) | instid1(VALU_DEP_1)
	v_fma_f32 v150, v1, v9, -v2
	v_mul_f32_e32 v1, v4, v12
	v_fma_f32 v152, v3, v11, -v1
	s_clause 0x1
	scratch_load_b128 v[1:4], off, off offset:184
	scratch_load_b128 v[9:12], off, off offset:200
	s_wait_loadcnt_dscnt 0x100
	v_mul_f32_e32 v153, v5, v2
	v_dual_mul_f32 v155, v7, v4 :: v_dual_mul_f32 v2, v6, v2
	s_delay_alu instid0(VALU_DEP_2) | instskip(NEXT) | instid1(VALU_DEP_2)
	v_fmac_f32_e32 v153, v6, v1
	v_fmac_f32_e32 v155, v8, v3
	s_delay_alu instid0(VALU_DEP_3) | instskip(SKIP_1) | instid1(VALU_DEP_1)
	v_fma_f32 v154, v5, v1, -v2
	v_mul_f32_e32 v1, v8, v4
	v_fma_f32 v156, v7, v3, -v1
	ds_load_2addr_b64 v[1:4], v21 offset0:75 offset1:76
	ds_load_2addr_b64 v[5:8], v21 offset0:77 offset1:78
	s_wait_loadcnt_dscnt 0x1
	v_mul_f32_e32 v157, v1, v10
	v_mul_f32_e32 v159, v3, v12
	s_delay_alu instid0(VALU_DEP_2) | instskip(NEXT) | instid1(VALU_DEP_2)
	v_fmac_f32_e32 v157, v2, v9
	v_dual_mul_f32 v2, v2, v10 :: v_dual_fmac_f32 v159, v4, v11
	s_delay_alu instid0(VALU_DEP_1) | instskip(SKIP_1) | instid1(VALU_DEP_1)
	v_fma_f32 v158, v1, v9, -v2
	v_mul_f32_e32 v1, v4, v12
	v_fma_f32 v160, v3, v11, -v1
	s_clause 0x1
	scratch_load_b128 v[1:4], off, off offset:216
	scratch_load_b128 v[9:12], off, off offset:232
	s_wait_loadcnt_dscnt 0x100
	v_mul_f32_e32 v161, v5, v2
	v_dual_mul_f32 v2, v6, v2 :: v_dual_mul_f32 v163, v7, v4
	s_delay_alu instid0(VALU_DEP_2) | instskip(NEXT) | instid1(VALU_DEP_2)
	v_fmac_f32_e32 v161, v6, v1
	v_fma_f32 v162, v5, v1, -v2
	v_mul_f32_e32 v1, v8, v4
	s_delay_alu instid0(VALU_DEP_4) | instskip(NEXT) | instid1(VALU_DEP_2)
	v_fmac_f32_e32 v163, v8, v3
	v_fma_f32 v164, v7, v3, -v1
	ds_load_2addr_b64 v[1:4], v21 offset0:79 offset1:80
	ds_load_2addr_b64 v[5:8], v21 offset0:81 offset1:82
	s_wait_loadcnt_dscnt 0x1
	v_mul_f32_e32 v165, v1, v10
	v_mul_f32_e32 v167, v3, v12
	s_delay_alu instid0(VALU_DEP_2) | instskip(NEXT) | instid1(VALU_DEP_2)
	v_fmac_f32_e32 v165, v2, v9
	v_dual_mul_f32 v2, v2, v10 :: v_dual_fmac_f32 v167, v4, v11
	s_delay_alu instid0(VALU_DEP_1) | instskip(SKIP_1) | instid1(VALU_DEP_1)
	v_fma_f32 v166, v1, v9, -v2
	v_mul_f32_e32 v1, v4, v12
	v_fma_f32 v168, v3, v11, -v1
	s_clause 0x1
	scratch_load_b128 v[1:4], off, off offset:248
	scratch_load_b128 v[9:12], off, off offset:264
	s_wait_loadcnt_dscnt 0x100
	v_mul_f32_e32 v169, v5, v2
	v_dual_mul_f32 v2, v6, v2 :: v_dual_mul_f32 v171, v7, v4
	s_delay_alu instid0(VALU_DEP_2) | instskip(NEXT) | instid1(VALU_DEP_2)
	v_fmac_f32_e32 v169, v6, v1
	v_fma_f32 v170, v5, v1, -v2
	v_mul_f32_e32 v1, v8, v4
	s_delay_alu instid0(VALU_DEP_4) | instskip(NEXT) | instid1(VALU_DEP_2)
	v_fmac_f32_e32 v171, v8, v3
	;; [unrolled: 25-line block ×3, first 2 shown]
	v_fma_f32 v180, v7, v3, -v1
	ds_load_2addr_b64 v[1:4], v21 offset0:87 offset1:88
	ds_load_2addr_b64 v[5:8], v21 offset0:89 offset1:90
	s_wait_loadcnt_dscnt 0x1
	v_mul_f32_e32 v181, v1, v10
	v_mul_f32_e32 v183, v3, v12
	s_delay_alu instid0(VALU_DEP_2) | instskip(NEXT) | instid1(VALU_DEP_2)
	v_fmac_f32_e32 v181, v2, v9
	v_dual_mul_f32 v2, v2, v10 :: v_dual_fmac_f32 v183, v4, v11
	s_delay_alu instid0(VALU_DEP_1) | instskip(SKIP_1) | instid1(VALU_DEP_1)
	v_fma_f32 v182, v1, v9, -v2
	v_mul_f32_e32 v1, v4, v12
	v_fma_f32 v184, v3, v11, -v1
	s_clause 0x1
	scratch_load_b128 v[1:4], off, off offset:312
	scratch_load_b128 v[9:12], off, off offset:328
	s_wait_loadcnt_dscnt 0x100
	v_mul_f32_e32 v185, v5, v2
	v_dual_mul_f32 v2, v6, v2 :: v_dual_mul_f32 v187, v7, v4
	s_delay_alu instid0(VALU_DEP_2) | instskip(NEXT) | instid1(VALU_DEP_2)
	v_fmac_f32_e32 v185, v6, v1
	v_fma_f32 v186, v5, v1, -v2
	v_add_f32_e32 v2, 0, v138
	s_delay_alu instid0(VALU_DEP_1) | instskip(NEXT) | instid1(VALU_DEP_1)
	v_add_f32_e32 v2, v2, v139
	v_add_f32_e32 v2, v2, v25
	s_delay_alu instid0(VALU_DEP_1) | instskip(NEXT) | instid1(VALU_DEP_1)
	v_dual_add_f32 v2, v2, v26 :: v_dual_mul_f32 v1, v8, v4
	v_add_f32_e32 v2, v2, v27
	s_delay_alu instid0(VALU_DEP_2) | instskip(NEXT) | instid1(VALU_DEP_2)
	v_fma_f32 v188, v7, v3, -v1
	v_dual_add_f32 v1, 0, v22 :: v_dual_add_f32 v2, v2, v140
	s_delay_alu instid0(VALU_DEP_1) | instskip(NEXT) | instid1(VALU_DEP_2)
	v_add_f32_e32 v1, v1, v24
	v_add_f32_e32 v2, v2, v132
	s_delay_alu instid0(VALU_DEP_1) | instskip(NEXT) | instid1(VALU_DEP_1)
	v_dual_add_f32 v1, v1, v128 :: v_dual_add_f32 v2, v2, v133
	v_add_f32_e32 v1, v1, v129
	scratch_load_b64 v[128:129], off, off offset:392
	v_dual_add_f32 v2, v2, v15 :: v_dual_add_f32 v1, v1, v130
	s_delay_alu instid0(VALU_DEP_1) | instskip(NEXT) | instid1(VALU_DEP_1)
	v_dual_add_f32 v2, v2, v18 :: v_dual_add_f32 v1, v1, v131
	v_dual_add_f32 v2, v2, v19 :: v_dual_add_f32 v1, v1, v13
	s_delay_alu instid0(VALU_DEP_1) | instskip(NEXT) | instid1(VALU_DEP_1)
	v_dual_add_f32 v2, v2, v20 :: v_dual_add_f32 v1, v1, v14
	;; [unrolled: 3-line block ×3, first 2 shown]
	v_dual_add_f32 v2, v2, v145 :: v_dual_add_f32 v1, v1, v134
	s_delay_alu instid0(VALU_DEP_1) | instskip(NEXT) | instid1(VALU_DEP_1)
	v_add_f32_e32 v2, v2, v147
	v_dual_add_f32 v1, v1, v135 :: v_dual_add_f32 v2, v2, v149
	s_delay_alu instid0(VALU_DEP_1) | instskip(NEXT) | instid1(VALU_DEP_1)
	v_add_f32_e32 v1, v1, v143
	v_dual_add_f32 v2, v2, v151 :: v_dual_add_f32 v1, v1, v144
	s_delay_alu instid0(VALU_DEP_1) | instskip(NEXT) | instid1(VALU_DEP_1)
	v_dual_add_f32 v2, v2, v153 :: v_dual_add_f32 v1, v1, v146
	v_dual_add_f32 v2, v2, v155 :: v_dual_add_f32 v1, v1, v148
	s_delay_alu instid0(VALU_DEP_1) | instskip(NEXT) | instid1(VALU_DEP_2)
	v_add_f32_e32 v5, v2, v157
	v_add_f32_e32 v1, v1, v150
	s_delay_alu instid0(VALU_DEP_2) | instskip(NEXT) | instid1(VALU_DEP_2)
	v_add_f32_e32 v5, v5, v159
	v_add_f32_e32 v1, v1, v152
	s_delay_alu instid0(VALU_DEP_1) | instskip(NEXT) | instid1(VALU_DEP_1)
	v_add_f32_e32 v1, v1, v154
	v_add_f32_e32 v1, v1, v156
	s_delay_alu instid0(VALU_DEP_1) | instskip(NEXT) | instid1(VALU_DEP_1)
	;; [unrolled: 3-line block ×3, first 2 shown]
	v_dual_add_f32 v5, v5, v161 :: v_dual_add_f32 v6, v6, v162
	v_dual_add_f32 v14, v5, v163 :: v_dual_add_f32 v13, v6, v164
	s_delay_alu instid0(VALU_DEP_1) | instskip(NEXT) | instid1(VALU_DEP_1)
	v_dual_add_f32 v14, v14, v165 :: v_dual_add_f32 v13, v13, v166
	v_dual_add_f32 v14, v14, v167 :: v_dual_add_f32 v13, v13, v168
	s_delay_alu instid0(VALU_DEP_1) | instskip(NEXT) | instid1(VALU_DEP_1)
	v_add_f32_e32 v13, v13, v170
	v_dual_add_f32 v18, v13, v172 :: v_dual_fmac_f32 v187, v8, v3
	ds_load_2addr_b64 v[1:4], v21 offset0:91 offset1:92
	ds_load_2addr_b64 v[5:8], v21 offset0:93 offset1:94
	v_add_f32_e32 v18, v18, v174
	s_delay_alu instid0(VALU_DEP_1) | instskip(NEXT) | instid1(VALU_DEP_1)
	v_add_f32_e32 v18, v18, v176
	v_add_f32_e32 v18, v18, v178
	s_delay_alu instid0(VALU_DEP_1)
	v_add_f32_e32 v18, v18, v180
	s_wait_loadcnt_dscnt 0x101
	v_mul_f32_e32 v22, v1, v10
	v_mul_f32_e32 v10, v2, v10
	;; [unrolled: 1-line block ×3, first 2 shown]
	v_dual_mul_f32 v12, v4, v12 :: v_dual_add_f32 v17, v14, v169
	s_delay_alu instid0(VALU_DEP_4) | instskip(NEXT) | instid1(VALU_DEP_4)
	v_fmac_f32_e32 v22, v2, v9
	v_fma_f32 v133, v1, v9, -v10
	s_delay_alu instid0(VALU_DEP_4) | instskip(NEXT) | instid1(VALU_DEP_4)
	v_fmac_f32_e32 v132, v4, v11
	v_fma_f32 v134, v3, v11, -v12
	s_clause 0x2
	scratch_load_b128 v[1:4], off, off offset:344
	scratch_load_b128 v[9:12], off, off offset:360
	;; [unrolled: 1-line block ×3, first 2 shown]
	v_dual_add_f32 v17, v17, v171 :: v_dual_add_f32 v130, v18, v182
	s_delay_alu instid0(VALU_DEP_1) | instskip(NEXT) | instid1(VALU_DEP_2)
	v_add_f32_e32 v17, v17, v173
	v_add_f32_e32 v135, v130, v184
	s_delay_alu instid0(VALU_DEP_2) | instskip(NEXT) | instid1(VALU_DEP_2)
	v_add_f32_e32 v17, v17, v175
	v_add_f32_e32 v135, v135, v186
	s_delay_alu instid0(VALU_DEP_2) | instskip(NEXT) | instid1(VALU_DEP_1)
	v_add_f32_e32 v17, v17, v177
	v_dual_add_f32 v135, v135, v188 :: v_dual_add_f32 v24, v17, v179
	ds_load_2addr_b64 v[17:20], v21 offset0:95 offset1:96
	v_add_f32_e32 v133, v135, v133
	v_add_f32_e32 v131, v24, v181
	ds_load_2addr_b64 v[24:27], v21 offset0:97 offset1:98
	v_dual_add_f32 v133, v133, v134 :: v_dual_add_f32 v138, v131, v183
	ds_load_b64 v[130:131], v21 offset:792
	v_add_f32_e32 v138, v138, v185
	s_delay_alu instid0(VALU_DEP_1) | instskip(NEXT) | instid1(VALU_DEP_1)
	v_add_f32_e32 v138, v138, v187
	v_add_f32_e32 v22, v138, v22
	s_delay_alu instid0(VALU_DEP_1) | instskip(SKIP_3) | instid1(VALU_DEP_1)
	v_add_f32_e32 v22, v22, v132
	s_wait_loadcnt_dscnt 0x300
	v_mul_f32_e32 v132, v130, v129
	s_wait_loadcnt 0x2
	v_dual_fmac_f32 v132, v131, v128 :: v_dual_mul_f32 v139, v5, v2
	v_mul_f32_e32 v2, v6, v2
	v_mul_f32_e32 v140, v7, v4
	s_wait_loadcnt 0x1
	v_dual_mul_f32 v4, v8, v4 :: v_dual_mul_f32 v135, v17, v10
	v_fmac_f32_e32 v139, v6, v1
	v_fma_f32 v2, v5, v1, -v2
	v_fmac_f32_e32 v140, v8, v3
	s_delay_alu instid0(VALU_DEP_4)
	v_fma_f32 v1, v7, v3, -v4
	v_mul_f32_e32 v3, v18, v10
	v_add_f32_e32 v4, v22, v139
	v_add_f32_e32 v2, v133, v2
	v_mul_f32_e32 v138, v19, v12
	v_mul_f32_e32 v5, v20, v12
	v_fmac_f32_e32 v135, v18, v9
	v_fma_f32 v3, v17, v9, -v3
	v_dual_add_f32 v1, v2, v1 :: v_dual_add_f32 v2, v4, v140
	s_wait_loadcnt 0x0
	v_mul_f32_e32 v141, v24, v14
	v_mul_f32_e32 v4, v25, v14
	v_fmac_f32_e32 v138, v20, v11
	v_fma_f32 v5, v19, v11, -v5
	v_add_f32_e32 v1, v1, v3
	v_add_f32_e32 v2, v2, v135
	v_mul_f32_e32 v134, v26, v16
	v_mul_f32_e32 v3, v27, v16
	v_fmac_f32_e32 v141, v25, v13
	v_fma_f32 v4, v24, v13, -v4
	v_dual_add_f32 v1, v1, v5 :: v_dual_add_f32 v2, v2, v138
	v_mul_f32_e32 v5, v131, v129
	v_fmac_f32_e32 v134, v27, v15
	v_fma_f32 v3, v26, v15, -v3
	s_delay_alu instid0(VALU_DEP_4) | instskip(NEXT) | instid1(VALU_DEP_4)
	v_dual_add_f32 v1, v1, v4 :: v_dual_add_f32 v2, v2, v141
	v_fma_f32 v4, v130, v128, -v5
	s_delay_alu instid0(VALU_DEP_2) | instskip(NEXT) | instid1(VALU_DEP_1)
	v_dual_add_f32 v1, v1, v3 :: v_dual_add_f32 v2, v2, v134
	v_add_f32_e32 v1, v1, v4
	s_delay_alu instid0(VALU_DEP_1) | instskip(NEXT) | instid1(VALU_DEP_1)
	v_dual_add_f32 v2, v2, v132 :: v_dual_sub_f32 v1, v136, v1
	v_sub_f32_e32 v2, v137, v2
	scratch_store_b64 off, v[1:2], off offset:32
	v_cmpx_lt_u32_e32 3, v0
	s_cbranch_execz .LBB113_307
; %bb.306:
	scratch_load_b64 v[1:2], off, off offset:24
	v_mov_b32_e32 v22, v21
	scratch_store_b64 off, v[21:22], off offset:24
	s_wait_loadcnt 0x0
	ds_store_b64 v23, v[1:2]
.LBB113_307:
	s_wait_alu 0xfffe
	s_or_b32 exec_lo, exec_lo, s0
	s_wait_storecnt_dscnt 0x0
	s_barrier_signal -1
	s_barrier_wait -1
	global_inv scope:SCOPE_SE
	s_clause 0x4
	scratch_load_b128 v[5:8], off, off offset:32
	scratch_load_b128 v[1:4], off, off offset:48
	;; [unrolled: 1-line block ×5, first 2 shown]
	ds_load_b128 v[24:27], v21 offset:432
	ds_load_b128 v[128:131], v21 offset:448
	;; [unrolled: 1-line block ×3, first 2 shown]
	scratch_load_b64 v[136:137], off, off offset:24
	s_mov_b32 s0, exec_lo
	s_wait_loadcnt_dscnt 0x502
	v_dual_mul_f32 v22, v25, v6 :: v_dual_mul_f32 v139, v26, v8
	v_mul_f32_e32 v138, v24, v6
	v_mul_f32_e32 v6, v27, v8
	s_wait_loadcnt_dscnt 0x300
	v_mul_f32_e32 v140, v134, v12
	v_fma_f32 v22, v24, v5, -v22
	v_dual_fmac_f32 v139, v27, v7 :: v_dual_fmac_f32 v138, v25, v5
	v_mul_f32_e32 v27, v132, v10
	v_mul_f32_e32 v25, v128, v2
	v_fma_f32 v24, v26, v7, -v6
	ds_load_b128 v[5:8], v21 offset:480
	v_mul_f32_e32 v26, v130, v4
	v_dual_mul_f32 v4, v131, v4 :: v_dual_fmac_f32 v27, v133, v9
	v_mul_f32_e32 v10, v133, v10
	v_mul_f32_e32 v12, v135, v12
	v_mul_f32_e32 v2, v129, v2
	v_dual_fmac_f32 v25, v129, v1 :: v_dual_fmac_f32 v26, v131, v3
	v_fma_f32 v129, v130, v3, -v4
	v_fma_f32 v130, v132, v9, -v10
	v_fmac_f32_e32 v140, v135, v11
	v_fma_f32 v131, v134, v11, -v12
	ds_load_b128 v[9:12], v21 offset:496
	s_wait_loadcnt_dscnt 0x201
	v_mul_f32_e32 v133, v7, v16
	v_fma_f32 v128, v128, v1, -v2
	scratch_load_b128 v[1:4], off, off offset:112
	v_mul_f32_e32 v132, v5, v14
	v_mul_f32_e32 v14, v6, v14
	;; [unrolled: 1-line block ×3, first 2 shown]
	s_delay_alu instid0(VALU_DEP_3) | instskip(NEXT) | instid1(VALU_DEP_3)
	v_dual_fmac_f32 v133, v8, v15 :: v_dual_fmac_f32 v132, v6, v13
	v_fma_f32 v13, v5, v13, -v14
	s_delay_alu instid0(VALU_DEP_3)
	v_fma_f32 v14, v7, v15, -v16
	ds_load_b128 v[5:8], v21 offset:512
	s_wait_loadcnt_dscnt 0x201
	v_mul_f32_e32 v15, v9, v18
	v_mul_f32_e32 v16, v10, v18
	v_mul_f32_e32 v18, v11, v20
	s_delay_alu instid0(VALU_DEP_3) | instskip(NEXT) | instid1(VALU_DEP_3)
	v_dual_mul_f32 v20, v12, v20 :: v_dual_fmac_f32 v15, v10, v17
	v_fma_f32 v16, v9, v17, -v16
	s_delay_alu instid0(VALU_DEP_3) | instskip(NEXT) | instid1(VALU_DEP_3)
	v_fmac_f32_e32 v18, v12, v19
	v_fma_f32 v17, v11, v19, -v20
	scratch_load_b128 v[9:12], off, off offset:128
	s_wait_loadcnt_dscnt 0x100
	v_mul_f32_e32 v19, v5, v2
	v_mul_f32_e32 v2, v6, v2
	;; [unrolled: 1-line block ×3, first 2 shown]
	s_delay_alu instid0(VALU_DEP_3) | instskip(NEXT) | instid1(VALU_DEP_3)
	v_dual_mul_f32 v4, v8, v4 :: v_dual_fmac_f32 v19, v6, v1
	v_fma_f32 v134, v5, v1, -v2
	s_delay_alu instid0(VALU_DEP_3) | instskip(NEXT) | instid1(VALU_DEP_3)
	v_fmac_f32_e32 v20, v8, v3
	v_fma_f32 v135, v7, v3, -v4
	ds_load_b128 v[1:4], v21 offset:528
	ds_load_b128 v[5:8], v21 offset:544
	s_wait_loadcnt_dscnt 0x1
	v_mul_f32_e32 v141, v1, v10
	v_mul_f32_e32 v10, v2, v10
	s_delay_alu instid0(VALU_DEP_2) | instskip(NEXT) | instid1(VALU_DEP_2)
	v_dual_mul_f32 v142, v3, v12 :: v_dual_fmac_f32 v141, v2, v9
	v_fma_f32 v143, v1, v9, -v10
	v_mul_f32_e32 v1, v4, v12
	s_delay_alu instid0(VALU_DEP_3) | instskip(NEXT) | instid1(VALU_DEP_2)
	v_fmac_f32_e32 v142, v4, v11
	v_fma_f32 v144, v3, v11, -v1
	s_clause 0x1
	scratch_load_b128 v[1:4], off, off offset:144
	scratch_load_b128 v[9:12], off, off offset:160
	s_wait_loadcnt_dscnt 0x100
	v_mul_f32_e32 v145, v5, v2
	v_dual_mul_f32 v2, v6, v2 :: v_dual_mul_f32 v147, v7, v4
	s_delay_alu instid0(VALU_DEP_2) | instskip(NEXT) | instid1(VALU_DEP_2)
	v_fmac_f32_e32 v145, v6, v1
	v_fma_f32 v146, v5, v1, -v2
	v_mul_f32_e32 v1, v8, v4
	s_delay_alu instid0(VALU_DEP_4) | instskip(NEXT) | instid1(VALU_DEP_2)
	v_fmac_f32_e32 v147, v8, v3
	v_fma_f32 v148, v7, v3, -v1
	ds_load_b128 v[1:4], v21 offset:560
	ds_load_b128 v[5:8], v21 offset:576
	s_wait_loadcnt_dscnt 0x1
	v_mul_f32_e32 v149, v1, v10
	v_mul_f32_e32 v151, v3, v12
	s_delay_alu instid0(VALU_DEP_2) | instskip(NEXT) | instid1(VALU_DEP_2)
	v_fmac_f32_e32 v149, v2, v9
	v_dual_mul_f32 v2, v2, v10 :: v_dual_fmac_f32 v151, v4, v11
	s_delay_alu instid0(VALU_DEP_1) | instskip(SKIP_1) | instid1(VALU_DEP_1)
	v_fma_f32 v150, v1, v9, -v2
	v_mul_f32_e32 v1, v4, v12
	v_fma_f32 v152, v3, v11, -v1
	s_clause 0x1
	scratch_load_b128 v[1:4], off, off offset:176
	scratch_load_b128 v[9:12], off, off offset:192
	s_wait_loadcnt_dscnt 0x100
	v_mul_f32_e32 v153, v5, v2
	v_dual_mul_f32 v2, v6, v2 :: v_dual_mul_f32 v155, v7, v4
	s_delay_alu instid0(VALU_DEP_2) | instskip(NEXT) | instid1(VALU_DEP_2)
	v_fmac_f32_e32 v153, v6, v1
	v_fma_f32 v154, v5, v1, -v2
	v_mul_f32_e32 v1, v8, v4
	s_delay_alu instid0(VALU_DEP_4) | instskip(NEXT) | instid1(VALU_DEP_2)
	v_fmac_f32_e32 v155, v8, v3
	v_fma_f32 v156, v7, v3, -v1
	ds_load_b128 v[1:4], v21 offset:592
	ds_load_b128 v[5:8], v21 offset:608
	s_wait_loadcnt_dscnt 0x1
	v_mul_f32_e32 v157, v1, v10
	v_mul_f32_e32 v159, v3, v12
	s_delay_alu instid0(VALU_DEP_2) | instskip(NEXT) | instid1(VALU_DEP_2)
	v_fmac_f32_e32 v157, v2, v9
	v_dual_mul_f32 v2, v2, v10 :: v_dual_fmac_f32 v159, v4, v11
	s_delay_alu instid0(VALU_DEP_1) | instskip(SKIP_1) | instid1(VALU_DEP_1)
	v_fma_f32 v158, v1, v9, -v2
	v_mul_f32_e32 v1, v4, v12
	v_fma_f32 v160, v3, v11, -v1
	s_clause 0x1
	scratch_load_b128 v[1:4], off, off offset:208
	scratch_load_b128 v[9:12], off, off offset:224
	s_wait_loadcnt_dscnt 0x100
	v_mul_f32_e32 v161, v5, v2
	v_dual_mul_f32 v2, v6, v2 :: v_dual_mul_f32 v163, v7, v4
	s_delay_alu instid0(VALU_DEP_1) | instskip(NEXT) | instid1(VALU_DEP_3)
	v_fma_f32 v162, v5, v1, -v2
	v_fmac_f32_e32 v161, v6, v1
	v_mul_f32_e32 v1, v8, v4
	s_delay_alu instid0(VALU_DEP_4) | instskip(NEXT) | instid1(VALU_DEP_2)
	v_fmac_f32_e32 v163, v8, v3
	v_fma_f32 v164, v7, v3, -v1
	ds_load_b128 v[1:4], v21 offset:624
	ds_load_b128 v[5:8], v21 offset:640
	s_wait_loadcnt_dscnt 0x1
	v_mul_f32_e32 v165, v1, v10
	v_mul_f32_e32 v167, v3, v12
	s_delay_alu instid0(VALU_DEP_1) | instskip(NEXT) | instid1(VALU_DEP_3)
	v_fmac_f32_e32 v167, v4, v11
	v_fmac_f32_e32 v165, v2, v9
	v_mul_f32_e32 v2, v2, v10
	s_delay_alu instid0(VALU_DEP_1) | instskip(SKIP_1) | instid1(VALU_DEP_1)
	v_fma_f32 v166, v1, v9, -v2
	v_mul_f32_e32 v1, v4, v12
	v_fma_f32 v168, v3, v11, -v1
	s_clause 0x1
	scratch_load_b128 v[1:4], off, off offset:240
	scratch_load_b128 v[9:12], off, off offset:256
	s_wait_loadcnt_dscnt 0x100
	v_mul_f32_e32 v169, v5, v2
	v_dual_mul_f32 v2, v6, v2 :: v_dual_mul_f32 v171, v7, v4
	s_delay_alu instid0(VALU_DEP_2) | instskip(NEXT) | instid1(VALU_DEP_2)
	v_fmac_f32_e32 v169, v6, v1
	v_fma_f32 v170, v5, v1, -v2
	v_mul_f32_e32 v1, v8, v4
	s_delay_alu instid0(VALU_DEP_4) | instskip(NEXT) | instid1(VALU_DEP_2)
	v_fmac_f32_e32 v171, v8, v3
	v_fma_f32 v172, v7, v3, -v1
	ds_load_b128 v[1:4], v21 offset:656
	ds_load_b128 v[5:8], v21 offset:672
	s_wait_loadcnt_dscnt 0x1
	v_mul_f32_e32 v173, v1, v10
	v_mul_f32_e32 v175, v3, v12
	s_delay_alu instid0(VALU_DEP_2) | instskip(NEXT) | instid1(VALU_DEP_2)
	v_fmac_f32_e32 v173, v2, v9
	v_dual_mul_f32 v2, v2, v10 :: v_dual_fmac_f32 v175, v4, v11
	s_delay_alu instid0(VALU_DEP_1) | instskip(SKIP_1) | instid1(VALU_DEP_1)
	v_fma_f32 v174, v1, v9, -v2
	v_mul_f32_e32 v1, v4, v12
	v_fma_f32 v176, v3, v11, -v1
	s_clause 0x1
	scratch_load_b128 v[1:4], off, off offset:272
	scratch_load_b128 v[9:12], off, off offset:288
	s_wait_loadcnt_dscnt 0x100
	v_mul_f32_e32 v177, v5, v2
	v_dual_mul_f32 v2, v6, v2 :: v_dual_mul_f32 v179, v7, v4
	s_delay_alu instid0(VALU_DEP_2) | instskip(NEXT) | instid1(VALU_DEP_2)
	v_fmac_f32_e32 v177, v6, v1
	v_fma_f32 v178, v5, v1, -v2
	v_mul_f32_e32 v1, v8, v4
	s_delay_alu instid0(VALU_DEP_4) | instskip(NEXT) | instid1(VALU_DEP_2)
	v_fmac_f32_e32 v179, v8, v3
	v_fma_f32 v180, v7, v3, -v1
	ds_load_b128 v[1:4], v21 offset:688
	ds_load_b128 v[5:8], v21 offset:704
	s_wait_loadcnt_dscnt 0x1
	v_mul_f32_e32 v181, v1, v10
	v_mul_f32_e32 v183, v3, v12
	s_delay_alu instid0(VALU_DEP_2) | instskip(NEXT) | instid1(VALU_DEP_2)
	v_fmac_f32_e32 v181, v2, v9
	v_dual_mul_f32 v2, v2, v10 :: v_dual_fmac_f32 v183, v4, v11
	s_delay_alu instid0(VALU_DEP_1) | instskip(SKIP_1) | instid1(VALU_DEP_1)
	v_fma_f32 v182, v1, v9, -v2
	v_mul_f32_e32 v1, v4, v12
	v_fma_f32 v184, v3, v11, -v1
	s_clause 0x1
	scratch_load_b128 v[1:4], off, off offset:304
	scratch_load_b128 v[9:12], off, off offset:320
	s_wait_loadcnt_dscnt 0x100
	v_mul_f32_e32 v185, v5, v2
	v_mul_f32_e32 v2, v6, v2
	s_delay_alu instid0(VALU_DEP_1) | instskip(SKIP_1) | instid1(VALU_DEP_1)
	v_fma_f32 v186, v5, v1, -v2
	v_add_f32_e32 v2, 0, v138
	v_add_f32_e32 v2, v2, v139
	s_delay_alu instid0(VALU_DEP_1) | instskip(NEXT) | instid1(VALU_DEP_1)
	v_add_f32_e32 v2, v2, v25
	v_add_f32_e32 v2, v2, v26
	s_delay_alu instid0(VALU_DEP_1) | instskip(NEXT) | instid1(VALU_DEP_1)
	;; [unrolled: 3-line block ×5, first 2 shown]
	v_add_f32_e32 v2, v2, v19
	v_add_f32_e32 v2, v2, v20
	v_fmac_f32_e32 v185, v6, v1
	s_delay_alu instid0(VALU_DEP_2) | instskip(NEXT) | instid1(VALU_DEP_1)
	v_dual_mul_f32 v1, v8, v4 :: v_dual_add_f32 v2, v2, v141
	v_fma_f32 v188, v7, v3, -v1
	v_add_f32_e32 v1, 0, v22
	s_delay_alu instid0(VALU_DEP_1) | instskip(NEXT) | instid1(VALU_DEP_1)
	v_dual_add_f32 v2, v2, v142 :: v_dual_add_f32 v1, v1, v24
	v_dual_add_f32 v2, v2, v145 :: v_dual_add_f32 v1, v1, v128
	s_delay_alu instid0(VALU_DEP_1) | instskip(NEXT) | instid1(VALU_DEP_1)
	v_dual_add_f32 v2, v2, v147 :: v_dual_add_f32 v1, v1, v129
	v_dual_add_f32 v2, v2, v149 :: v_dual_add_f32 v1, v1, v130
	s_delay_alu instid0(VALU_DEP_1) | instskip(NEXT) | instid1(VALU_DEP_1)
	v_add_f32_e32 v2, v2, v151
	v_dual_add_f32 v1, v1, v131 :: v_dual_add_f32 v2, v2, v153
	s_delay_alu instid0(VALU_DEP_1) | instskip(NEXT) | instid1(VALU_DEP_1)
	v_dual_add_f32 v1, v1, v13 :: v_dual_add_f32 v2, v2, v155
	v_dual_add_f32 v1, v1, v14 :: v_dual_add_f32 v2, v2, v157
	s_delay_alu instid0(VALU_DEP_1) | instskip(NEXT) | instid1(VALU_DEP_1)
	v_add_f32_e32 v1, v1, v16
	v_add_f32_e32 v1, v1, v17
	s_delay_alu instid0(VALU_DEP_1) | instskip(NEXT) | instid1(VALU_DEP_1)
	v_add_f32_e32 v1, v1, v134
	v_add_f32_e32 v1, v1, v135
	;; [unrolled: 3-line block ×8, first 2 shown]
	s_delay_alu instid0(VALU_DEP_1) | instskip(NEXT) | instid1(VALU_DEP_1)
	v_dual_mul_f32 v187, v7, v4 :: v_dual_add_f32 v14, v14, v166
	v_fmac_f32_e32 v187, v8, v3
	s_delay_alu instid0(VALU_DEP_2) | instskip(NEXT) | instid1(VALU_DEP_1)
	v_add_f32_e32 v17, v14, v168
	v_add_f32_e32 v17, v17, v170
	s_delay_alu instid0(VALU_DEP_1) | instskip(NEXT) | instid1(VALU_DEP_1)
	v_add_f32_e32 v17, v17, v172
	v_add_f32_e32 v17, v17, v174
	s_delay_alu instid0(VALU_DEP_1) | instskip(NEXT) | instid1(VALU_DEP_1)
	v_add_f32_e32 v25, v17, v176
	v_add_f32_e32 v25, v25, v178
	s_delay_alu instid0(VALU_DEP_1)
	v_add_f32_e32 v25, v25, v180
	v_add_f32_e32 v5, v2, v159
	ds_load_b128 v[1:4], v21 offset:720
	v_add_f32_e32 v13, v5, v161
	scratch_load_b128 v[5:8], off, off offset:336
	v_add_f32_e32 v13, v13, v163
	s_delay_alu instid0(VALU_DEP_1) | instskip(NEXT) | instid1(VALU_DEP_1)
	v_add_f32_e32 v13, v13, v165
	v_add_f32_e32 v18, v13, v167
	ds_load_b128 v[13:16], v21 offset:736
	s_wait_loadcnt_dscnt 0x101
	v_mul_f32_e32 v22, v1, v10
	v_mul_f32_e32 v10, v2, v10
	;; [unrolled: 1-line block ×4, first 2 shown]
	v_add_f32_e32 v18, v18, v169
	v_fmac_f32_e32 v22, v2, v9
	v_fma_f32 v129, v1, v9, -v10
	v_fmac_f32_e32 v128, v4, v11
	v_fma_f32 v130, v3, v11, -v12
	s_clause 0x1
	scratch_load_b128 v[1:4], off, off offset:352
	scratch_load_b128 v[9:12], off, off offset:368
	v_add_f32_e32 v18, v18, v171
	s_delay_alu instid0(VALU_DEP_1) | instskip(SKIP_3) | instid1(VALU_DEP_1)
	v_add_f32_e32 v24, v18, v173
	scratch_load_b128 v[17:20], off, off offset:384
	v_add_f32_e32 v24, v24, v175
	s_wait_loadcnt_dscnt 0x300
	v_dual_add_f32 v24, v24, v177 :: v_dual_mul_f32 v131, v13, v6
	v_mul_f32_e32 v6, v14, v6
	v_mul_f32_e32 v132, v15, v8
	s_delay_alu instid0(VALU_DEP_3) | instskip(NEXT) | instid1(VALU_DEP_3)
	v_dual_mul_f32 v8, v16, v8 :: v_dual_fmac_f32 v131, v14, v5
	v_fma_f32 v133, v13, v5, -v6
	v_dual_add_f32 v13, v24, v179 :: v_dual_add_f32 v24, v25, v182
	s_delay_alu instid0(VALU_DEP_4) | instskip(NEXT) | instid1(VALU_DEP_4)
	v_fmac_f32_e32 v132, v16, v7
	v_fma_f32 v134, v15, v7, -v8
	ds_load_b128 v[5:8], v21 offset:752
	v_add_f32_e32 v25, v13, v181
	v_add_f32_e32 v135, v24, v184
	ds_load_b128 v[13:16], v21 offset:768
	v_add_f32_e32 v138, v25, v183
	ds_load_b128 v[24:27], v21 offset:784
	v_add_f32_e32 v21, v135, v186
	v_add_f32_e32 v135, v138, v185
	s_delay_alu instid0(VALU_DEP_2) | instskip(NEXT) | instid1(VALU_DEP_2)
	v_add_f32_e32 v21, v21, v188
	v_add_f32_e32 v135, v135, v187
	s_delay_alu instid0(VALU_DEP_2) | instskip(SKIP_2) | instid1(VALU_DEP_3)
	v_add_f32_e32 v21, v21, v129
	s_wait_loadcnt_dscnt 0x202
	v_mul_f32_e32 v138, v5, v2
	v_add_f32_e32 v22, v135, v22
	v_mul_f32_e32 v2, v6, v2
	v_add_f32_e32 v21, v21, v130
	v_mul_f32_e32 v129, v7, v4
	v_mul_f32_e32 v4, v8, v4
	v_add_f32_e32 v22, v22, v128
	v_fma_f32 v2, v5, v1, -v2
	v_add_f32_e32 v21, v21, v133
	s_wait_loadcnt_dscnt 0x101
	v_dual_fmac_f32 v138, v6, v1 :: v_dual_mul_f32 v135, v13, v10
	v_add_f32_e32 v22, v22, v131
	v_mul_f32_e32 v6, v14, v10
	v_add_f32_e32 v1, v21, v134
	v_fmac_f32_e32 v129, v8, v3
	v_fma_f32 v3, v7, v3, -v4
	v_add_f32_e32 v5, v22, v132
	v_mul_f32_e32 v139, v15, v12
	v_dual_add_f32 v1, v1, v2 :: v_dual_mul_f32 v4, v16, v12
	s_delay_alu instid0(VALU_DEP_3) | instskip(SKIP_2) | instid1(VALU_DEP_3)
	v_dual_fmac_f32 v135, v14, v9 :: v_dual_add_f32 v2, v5, v138
	v_fma_f32 v5, v13, v9, -v6
	s_wait_loadcnt_dscnt 0x0
	v_dual_add_f32 v1, v1, v3 :: v_dual_mul_f32 v128, v24, v18
	s_delay_alu instid0(VALU_DEP_3) | instskip(SKIP_2) | instid1(VALU_DEP_4)
	v_dual_mul_f32 v3, v25, v18 :: v_dual_add_f32 v2, v2, v129
	v_fmac_f32_e32 v139, v16, v11
	v_fma_f32 v4, v15, v11, -v4
	v_dual_add_f32 v1, v1, v5 :: v_dual_mul_f32 v130, v26, v20
	s_delay_alu instid0(VALU_DEP_4) | instskip(SKIP_2) | instid1(VALU_DEP_3)
	v_dual_add_f32 v2, v2, v135 :: v_dual_mul_f32 v5, v27, v20
	v_fmac_f32_e32 v128, v25, v17
	v_fma_f32 v3, v24, v17, -v3
	v_dual_add_f32 v1, v1, v4 :: v_dual_add_f32 v2, v2, v139
	v_fmac_f32_e32 v130, v27, v19
	v_fma_f32 v4, v26, v19, -v5
	s_delay_alu instid0(VALU_DEP_3) | instskip(NEXT) | instid1(VALU_DEP_1)
	v_dual_add_f32 v1, v1, v3 :: v_dual_add_f32 v2, v2, v128
	v_dual_add_f32 v1, v1, v4 :: v_dual_add_f32 v2, v2, v130
	s_delay_alu instid0(VALU_DEP_1)
	v_dual_sub_f32 v1, v136, v1 :: v_dual_sub_f32 v2, v137, v2
	scratch_store_b64 off, v[1:2], off offset:24
	v_cmpx_lt_u32_e32 2, v0
	s_cbranch_execz .LBB113_309
; %bb.308:
	scratch_load_b64 v[1:2], off, off offset:16
	v_mov_b32_e32 v3, 0
	s_delay_alu instid0(VALU_DEP_1)
	v_mov_b32_e32 v4, v3
	scratch_store_b64 off, v[3:4], off offset:16
	s_wait_loadcnt 0x0
	ds_store_b64 v23, v[1:2]
.LBB113_309:
	s_wait_alu 0xfffe
	s_or_b32 exec_lo, exec_lo, s0
	s_wait_storecnt_dscnt 0x0
	s_barrier_signal -1
	s_barrier_wait -1
	global_inv scope:SCOPE_SE
	s_clause 0x4
	scratch_load_b128 v[5:8], off, off offset:24
	scratch_load_b128 v[1:4], off, off offset:40
	scratch_load_b128 v[9:12], off, off offset:56
	scratch_load_b128 v[13:16], off, off offset:72
	scratch_load_b128 v[17:20], off, off offset:88
	v_mov_b32_e32 v21, 0
	ds_load_2addr_b64 v[24:27], v21 offset0:53 offset1:54
	ds_load_2addr_b64 v[128:131], v21 offset0:55 offset1:56
	ds_load_2addr_b64 v[132:135], v21 offset0:57 offset1:58
	scratch_load_b64 v[136:137], off, off offset:16
	s_mov_b32 s0, exec_lo
	s_wait_loadcnt_dscnt 0x502
	v_mul_f32_e32 v22, v25, v6
	v_dual_mul_f32 v138, v24, v6 :: v_dual_mul_f32 v139, v26, v8
	v_mul_f32_e32 v6, v27, v8
	s_delay_alu instid0(VALU_DEP_3) | instskip(NEXT) | instid1(VALU_DEP_3)
	v_fma_f32 v22, v24, v5, -v22
	v_dual_fmac_f32 v138, v25, v5 :: v_dual_fmac_f32 v139, v27, v7
	s_wait_loadcnt_dscnt 0x401
	v_mul_f32_e32 v25, v128, v2
	v_fma_f32 v24, v26, v7, -v6
	ds_load_2addr_b64 v[5:8], v21 offset0:59 offset1:60
	s_wait_loadcnt_dscnt 0x301
	v_dual_mul_f32 v26, v130, v4 :: v_dual_mul_f32 v27, v132, v10
	v_dual_mul_f32 v4, v131, v4 :: v_dual_fmac_f32 v25, v129, v1
	v_mul_f32_e32 v10, v133, v10
	s_delay_alu instid0(VALU_DEP_3)
	v_dual_mul_f32 v140, v134, v12 :: v_dual_fmac_f32 v27, v133, v9
	v_mul_f32_e32 v12, v135, v12
	v_mul_f32_e32 v2, v129, v2
	v_fmac_f32_e32 v26, v131, v3
	v_fma_f32 v129, v130, v3, -v4
	v_fma_f32 v130, v132, v9, -v10
	v_fmac_f32_e32 v140, v135, v11
	v_fma_f32 v131, v134, v11, -v12
	ds_load_2addr_b64 v[9:12], v21 offset0:61 offset1:62
	s_wait_loadcnt_dscnt 0x201
	v_mul_f32_e32 v133, v7, v16
	v_fma_f32 v128, v128, v1, -v2
	scratch_load_b128 v[1:4], off, off offset:104
	v_mul_f32_e32 v132, v5, v14
	v_mul_f32_e32 v14, v6, v14
	;; [unrolled: 1-line block ×3, first 2 shown]
	s_delay_alu instid0(VALU_DEP_3) | instskip(NEXT) | instid1(VALU_DEP_3)
	v_dual_fmac_f32 v133, v8, v15 :: v_dual_fmac_f32 v132, v6, v13
	v_fma_f32 v13, v5, v13, -v14
	s_delay_alu instid0(VALU_DEP_3)
	v_fma_f32 v14, v7, v15, -v16
	ds_load_2addr_b64 v[5:8], v21 offset0:63 offset1:64
	s_wait_loadcnt_dscnt 0x201
	v_mul_f32_e32 v15, v9, v18
	v_mul_f32_e32 v16, v10, v18
	;; [unrolled: 1-line block ×3, first 2 shown]
	s_delay_alu instid0(VALU_DEP_3) | instskip(NEXT) | instid1(VALU_DEP_3)
	v_dual_mul_f32 v20, v12, v20 :: v_dual_fmac_f32 v15, v10, v17
	v_fma_f32 v16, v9, v17, -v16
	s_delay_alu instid0(VALU_DEP_3) | instskip(NEXT) | instid1(VALU_DEP_3)
	v_fmac_f32_e32 v18, v12, v19
	v_fma_f32 v17, v11, v19, -v20
	scratch_load_b128 v[9:12], off, off offset:120
	s_wait_loadcnt_dscnt 0x100
	v_mul_f32_e32 v19, v5, v2
	v_mul_f32_e32 v2, v6, v2
	v_mul_f32_e32 v20, v7, v4
	s_delay_alu instid0(VALU_DEP_3) | instskip(NEXT) | instid1(VALU_DEP_3)
	v_dual_mul_f32 v4, v8, v4 :: v_dual_fmac_f32 v19, v6, v1
	v_fma_f32 v134, v5, v1, -v2
	s_delay_alu instid0(VALU_DEP_3) | instskip(NEXT) | instid1(VALU_DEP_3)
	v_fmac_f32_e32 v20, v8, v3
	v_fma_f32 v135, v7, v3, -v4
	ds_load_2addr_b64 v[1:4], v21 offset0:65 offset1:66
	ds_load_2addr_b64 v[5:8], v21 offset0:67 offset1:68
	s_wait_loadcnt_dscnt 0x1
	v_mul_f32_e32 v141, v1, v10
	v_mul_f32_e32 v10, v2, v10
	s_delay_alu instid0(VALU_DEP_2) | instskip(NEXT) | instid1(VALU_DEP_2)
	v_dual_mul_f32 v142, v3, v12 :: v_dual_fmac_f32 v141, v2, v9
	v_fma_f32 v143, v1, v9, -v10
	v_mul_f32_e32 v1, v4, v12
	s_delay_alu instid0(VALU_DEP_3) | instskip(NEXT) | instid1(VALU_DEP_2)
	v_fmac_f32_e32 v142, v4, v11
	v_fma_f32 v144, v3, v11, -v1
	s_clause 0x1
	scratch_load_b128 v[1:4], off, off offset:136
	scratch_load_b128 v[9:12], off, off offset:152
	s_wait_loadcnt_dscnt 0x100
	v_mul_f32_e32 v145, v5, v2
	v_dual_mul_f32 v2, v6, v2 :: v_dual_mul_f32 v147, v7, v4
	s_delay_alu instid0(VALU_DEP_2) | instskip(NEXT) | instid1(VALU_DEP_2)
	v_fmac_f32_e32 v145, v6, v1
	v_fma_f32 v146, v5, v1, -v2
	v_mul_f32_e32 v1, v8, v4
	s_delay_alu instid0(VALU_DEP_4) | instskip(NEXT) | instid1(VALU_DEP_2)
	v_fmac_f32_e32 v147, v8, v3
	v_fma_f32 v148, v7, v3, -v1
	ds_load_2addr_b64 v[1:4], v21 offset0:69 offset1:70
	ds_load_2addr_b64 v[5:8], v21 offset0:71 offset1:72
	s_wait_loadcnt_dscnt 0x1
	v_mul_f32_e32 v149, v1, v10
	v_mul_f32_e32 v151, v3, v12
	s_delay_alu instid0(VALU_DEP_2) | instskip(NEXT) | instid1(VALU_DEP_2)
	v_fmac_f32_e32 v149, v2, v9
	v_dual_mul_f32 v2, v2, v10 :: v_dual_fmac_f32 v151, v4, v11
	s_delay_alu instid0(VALU_DEP_1) | instskip(SKIP_1) | instid1(VALU_DEP_1)
	v_fma_f32 v150, v1, v9, -v2
	v_mul_f32_e32 v1, v4, v12
	v_fma_f32 v152, v3, v11, -v1
	s_clause 0x1
	scratch_load_b128 v[1:4], off, off offset:168
	scratch_load_b128 v[9:12], off, off offset:184
	s_wait_loadcnt_dscnt 0x100
	v_mul_f32_e32 v153, v5, v2
	v_dual_mul_f32 v155, v7, v4 :: v_dual_mul_f32 v2, v6, v2
	s_delay_alu instid0(VALU_DEP_2) | instskip(NEXT) | instid1(VALU_DEP_2)
	v_fmac_f32_e32 v153, v6, v1
	v_fmac_f32_e32 v155, v8, v3
	s_delay_alu instid0(VALU_DEP_3) | instskip(SKIP_1) | instid1(VALU_DEP_1)
	v_fma_f32 v154, v5, v1, -v2
	v_mul_f32_e32 v1, v8, v4
	v_fma_f32 v156, v7, v3, -v1
	ds_load_2addr_b64 v[1:4], v21 offset0:73 offset1:74
	ds_load_2addr_b64 v[5:8], v21 offset0:75 offset1:76
	s_wait_loadcnt_dscnt 0x1
	v_mul_f32_e32 v157, v1, v10
	v_mul_f32_e32 v159, v3, v12
	s_delay_alu instid0(VALU_DEP_2) | instskip(NEXT) | instid1(VALU_DEP_2)
	v_fmac_f32_e32 v157, v2, v9
	v_dual_mul_f32 v2, v2, v10 :: v_dual_fmac_f32 v159, v4, v11
	s_delay_alu instid0(VALU_DEP_1) | instskip(SKIP_1) | instid1(VALU_DEP_1)
	v_fma_f32 v158, v1, v9, -v2
	v_mul_f32_e32 v1, v4, v12
	v_fma_f32 v160, v3, v11, -v1
	s_clause 0x1
	scratch_load_b128 v[1:4], off, off offset:200
	scratch_load_b128 v[9:12], off, off offset:216
	s_wait_loadcnt_dscnt 0x100
	v_mul_f32_e32 v161, v5, v2
	v_dual_mul_f32 v2, v6, v2 :: v_dual_mul_f32 v163, v7, v4
	s_delay_alu instid0(VALU_DEP_1) | instskip(NEXT) | instid1(VALU_DEP_3)
	v_fma_f32 v162, v5, v1, -v2
	v_fmac_f32_e32 v161, v6, v1
	v_mul_f32_e32 v1, v8, v4
	s_delay_alu instid0(VALU_DEP_4) | instskip(NEXT) | instid1(VALU_DEP_2)
	v_fmac_f32_e32 v163, v8, v3
	v_fma_f32 v164, v7, v3, -v1
	ds_load_2addr_b64 v[1:4], v21 offset0:77 offset1:78
	ds_load_2addr_b64 v[5:8], v21 offset0:79 offset1:80
	s_wait_loadcnt_dscnt 0x1
	v_mul_f32_e32 v165, v1, v10
	v_mul_f32_e32 v167, v3, v12
	s_delay_alu instid0(VALU_DEP_1) | instskip(NEXT) | instid1(VALU_DEP_3)
	v_fmac_f32_e32 v167, v4, v11
	v_fmac_f32_e32 v165, v2, v9
	v_mul_f32_e32 v2, v2, v10
	s_delay_alu instid0(VALU_DEP_1) | instskip(SKIP_1) | instid1(VALU_DEP_1)
	v_fma_f32 v166, v1, v9, -v2
	v_mul_f32_e32 v1, v4, v12
	v_fma_f32 v168, v3, v11, -v1
	s_clause 0x1
	scratch_load_b128 v[1:4], off, off offset:232
	scratch_load_b128 v[9:12], off, off offset:248
	s_wait_loadcnt_dscnt 0x100
	v_mul_f32_e32 v169, v5, v2
	v_dual_mul_f32 v2, v6, v2 :: v_dual_mul_f32 v171, v7, v4
	s_delay_alu instid0(VALU_DEP_2) | instskip(NEXT) | instid1(VALU_DEP_2)
	v_fmac_f32_e32 v169, v6, v1
	v_fma_f32 v170, v5, v1, -v2
	v_mul_f32_e32 v1, v8, v4
	s_delay_alu instid0(VALU_DEP_4) | instskip(NEXT) | instid1(VALU_DEP_2)
	v_fmac_f32_e32 v171, v8, v3
	v_fma_f32 v172, v7, v3, -v1
	ds_load_2addr_b64 v[1:4], v21 offset0:81 offset1:82
	ds_load_2addr_b64 v[5:8], v21 offset0:83 offset1:84
	s_wait_loadcnt_dscnt 0x1
	v_mul_f32_e32 v173, v1, v10
	v_mul_f32_e32 v175, v3, v12
	s_delay_alu instid0(VALU_DEP_2) | instskip(NEXT) | instid1(VALU_DEP_2)
	v_fmac_f32_e32 v173, v2, v9
	v_dual_mul_f32 v2, v2, v10 :: v_dual_fmac_f32 v175, v4, v11
	s_delay_alu instid0(VALU_DEP_1) | instskip(SKIP_1) | instid1(VALU_DEP_1)
	v_fma_f32 v174, v1, v9, -v2
	v_mul_f32_e32 v1, v4, v12
	v_fma_f32 v176, v3, v11, -v1
	s_clause 0x1
	scratch_load_b128 v[1:4], off, off offset:264
	scratch_load_b128 v[9:12], off, off offset:280
	s_wait_loadcnt_dscnt 0x100
	v_mul_f32_e32 v177, v5, v2
	v_dual_mul_f32 v2, v6, v2 :: v_dual_mul_f32 v179, v7, v4
	s_delay_alu instid0(VALU_DEP_2) | instskip(NEXT) | instid1(VALU_DEP_2)
	v_fmac_f32_e32 v177, v6, v1
	v_fma_f32 v178, v5, v1, -v2
	v_mul_f32_e32 v1, v8, v4
	s_delay_alu instid0(VALU_DEP_4) | instskip(NEXT) | instid1(VALU_DEP_2)
	v_fmac_f32_e32 v179, v8, v3
	v_fma_f32 v180, v7, v3, -v1
	ds_load_2addr_b64 v[1:4], v21 offset0:85 offset1:86
	ds_load_2addr_b64 v[5:8], v21 offset0:87 offset1:88
	s_wait_loadcnt_dscnt 0x1
	v_mul_f32_e32 v181, v1, v10
	v_mul_f32_e32 v183, v3, v12
	s_delay_alu instid0(VALU_DEP_2) | instskip(NEXT) | instid1(VALU_DEP_2)
	v_fmac_f32_e32 v181, v2, v9
	v_dual_mul_f32 v2, v2, v10 :: v_dual_fmac_f32 v183, v4, v11
	s_delay_alu instid0(VALU_DEP_1) | instskip(SKIP_1) | instid1(VALU_DEP_1)
	v_fma_f32 v182, v1, v9, -v2
	v_mul_f32_e32 v1, v4, v12
	v_fma_f32 v184, v3, v11, -v1
	s_clause 0x1
	scratch_load_b128 v[1:4], off, off offset:296
	scratch_load_b128 v[9:12], off, off offset:312
	s_wait_loadcnt_dscnt 0x100
	v_mul_f32_e32 v185, v5, v2
	v_dual_mul_f32 v2, v6, v2 :: v_dual_mul_f32 v187, v7, v4
	s_delay_alu instid0(VALU_DEP_1) | instskip(SKIP_1) | instid1(VALU_DEP_1)
	v_fma_f32 v186, v5, v1, -v2
	v_add_f32_e32 v2, 0, v138
	v_add_f32_e32 v2, v2, v139
	s_delay_alu instid0(VALU_DEP_1) | instskip(NEXT) | instid1(VALU_DEP_1)
	v_add_f32_e32 v2, v2, v25
	v_add_f32_e32 v2, v2, v26
	s_delay_alu instid0(VALU_DEP_1) | instskip(NEXT) | instid1(VALU_DEP_1)
	;; [unrolled: 3-line block ×5, first 2 shown]
	v_add_f32_e32 v2, v2, v19
	v_add_f32_e32 v2, v2, v20
	v_fmac_f32_e32 v185, v6, v1
	s_delay_alu instid0(VALU_DEP_2) | instskip(NEXT) | instid1(VALU_DEP_1)
	v_dual_mul_f32 v1, v8, v4 :: v_dual_add_f32 v2, v2, v141
	v_fma_f32 v188, v7, v3, -v1
	v_add_f32_e32 v1, 0, v22
	s_delay_alu instid0(VALU_DEP_1) | instskip(NEXT) | instid1(VALU_DEP_1)
	v_dual_add_f32 v2, v2, v142 :: v_dual_add_f32 v1, v1, v24
	v_dual_add_f32 v2, v2, v145 :: v_dual_add_f32 v1, v1, v128
	s_delay_alu instid0(VALU_DEP_1) | instskip(SKIP_2) | instid1(VALU_DEP_1)
	v_dual_add_f32 v2, v2, v147 :: v_dual_add_f32 v1, v1, v129
	scratch_load_b64 v[128:129], off, off offset:392
	v_dual_add_f32 v2, v2, v149 :: v_dual_add_f32 v1, v1, v130
	v_add_f32_e32 v2, v2, v151
	s_delay_alu instid0(VALU_DEP_1) | instskip(NEXT) | instid1(VALU_DEP_1)
	v_dual_add_f32 v1, v1, v131 :: v_dual_add_f32 v2, v2, v153
	v_dual_add_f32 v1, v1, v13 :: v_dual_add_f32 v2, v2, v155
	s_delay_alu instid0(VALU_DEP_1) | instskip(NEXT) | instid1(VALU_DEP_1)
	v_dual_add_f32 v1, v1, v14 :: v_dual_add_f32 v2, v2, v157
	v_add_f32_e32 v1, v1, v16
	s_delay_alu instid0(VALU_DEP_1) | instskip(NEXT) | instid1(VALU_DEP_1)
	v_add_f32_e32 v1, v1, v17
	v_add_f32_e32 v1, v1, v134
	s_delay_alu instid0(VALU_DEP_1) | instskip(NEXT) | instid1(VALU_DEP_1)
	v_add_f32_e32 v1, v1, v135
	;; [unrolled: 3-line block ×12, first 2 shown]
	v_add_f32_e32 v25, v25, v182
	v_add_f32_e32 v5, v2, v159
	s_delay_alu instid0(VALU_DEP_1) | instskip(NEXT) | instid1(VALU_DEP_1)
	v_add_f32_e32 v13, v5, v161
	v_add_f32_e32 v13, v13, v163
	s_delay_alu instid0(VALU_DEP_1) | instskip(NEXT) | instid1(VALU_DEP_1)
	v_add_f32_e32 v13, v13, v165
	v_add_f32_e32 v18, v13, v167
	v_fmac_f32_e32 v187, v8, v3
	scratch_load_b128 v[1:4], off, off offset:328
	ds_load_2addr_b64 v[5:8], v21 offset0:89 offset1:90
	ds_load_2addr_b64 v[13:16], v21 offset0:91 offset1:92
	s_wait_loadcnt_dscnt 0x201
	v_mul_f32_e32 v22, v5, v10
	v_mul_f32_e32 v10, v6, v10
	;; [unrolled: 1-line block ×4, first 2 shown]
	v_add_f32_e32 v18, v18, v169
	v_fmac_f32_e32 v22, v6, v9
	v_fma_f32 v133, v5, v9, -v10
	v_fmac_f32_e32 v132, v8, v11
	v_fma_f32 v134, v7, v11, -v12
	s_clause 0x1
	scratch_load_b128 v[5:8], off, off offset:344
	scratch_load_b128 v[9:12], off, off offset:360
	v_add_f32_e32 v18, v18, v171
	s_delay_alu instid0(VALU_DEP_1) | instskip(SKIP_2) | instid1(VALU_DEP_1)
	v_add_f32_e32 v24, v18, v173
	scratch_load_b128 v[17:20], off, off offset:376
	v_add_f32_e32 v24, v24, v175
	v_add_f32_e32 v24, v24, v177
	s_wait_loadcnt_dscnt 0x300
	s_delay_alu instid0(VALU_DEP_1) | instskip(SKIP_2) | instid1(VALU_DEP_3)
	v_dual_add_f32 v24, v24, v179 :: v_dual_mul_f32 v135, v13, v2
	v_mul_f32_e32 v2, v14, v2
	v_mul_f32_e32 v138, v15, v4
	v_dual_mul_f32 v4, v16, v4 :: v_dual_fmac_f32 v135, v14, v1
	s_delay_alu instid0(VALU_DEP_3) | instskip(SKIP_1) | instid1(VALU_DEP_4)
	v_fma_f32 v139, v13, v1, -v2
	v_dual_add_f32 v13, v24, v181 :: v_dual_add_f32 v14, v25, v184
	v_fmac_f32_e32 v138, v16, v3
	s_delay_alu instid0(VALU_DEP_4)
	v_fma_f32 v140, v15, v3, -v4
	ds_load_2addr_b64 v[1:4], v21 offset0:93 offset1:94
	v_add_f32_e32 v24, v13, v183
	v_add_f32_e32 v130, v14, v186
	ds_load_2addr_b64 v[13:16], v21 offset0:95 offset1:96
	v_add_f32_e32 v131, v24, v185
	v_add_f32_e32 v141, v130, v188
	ds_load_2addr_b64 v[24:27], v21 offset0:97 offset1:98
	v_dual_add_f32 v142, v131, v187 :: v_dual_add_f32 v133, v141, v133
	ds_load_b64 v[130:131], v21 offset:792
	v_add_f32_e32 v22, v142, v22
	v_add_f32_e32 v133, v133, v134
	s_wait_loadcnt_dscnt 0x203
	s_delay_alu instid0(VALU_DEP_2) | instskip(NEXT) | instid1(VALU_DEP_2)
	v_dual_mul_f32 v141, v1, v6 :: v_dual_add_f32 v22, v22, v132
	v_dual_mul_f32 v6, v2, v6 :: v_dual_add_f32 v133, v133, v139
	s_wait_loadcnt_dscnt 0x102
	v_mul_f32_e32 v134, v13, v10
	v_mul_f32_e32 v132, v3, v8
	v_add_f32_e32 v22, v22, v135
	v_mul_f32_e32 v8, v4, v8
	v_add_f32_e32 v133, v133, v140
	v_fma_f32 v1, v1, v5, -v6
	v_fmac_f32_e32 v141, v2, v5
	v_add_f32_e32 v22, v22, v138
	v_fmac_f32_e32 v132, v4, v7
	v_fma_f32 v2, v3, v7, -v8
	v_mul_f32_e32 v3, v14, v10
	v_add_f32_e32 v1, v133, v1
	v_dual_add_f32 v4, v22, v141 :: v_dual_mul_f32 v135, v15, v12
	v_dual_mul_f32 v5, v16, v12 :: v_dual_fmac_f32 v134, v14, v9
	s_delay_alu instid0(VALU_DEP_4) | instskip(NEXT) | instid1(VALU_DEP_3)
	v_fma_f32 v3, v13, v9, -v3
	v_dual_add_f32 v1, v1, v2 :: v_dual_add_f32 v2, v4, v132
	s_wait_loadcnt_dscnt 0x1
	v_mul_f32_e32 v139, v24, v18
	v_dual_mul_f32 v4, v25, v18 :: v_dual_fmac_f32 v135, v16, v11
	v_fma_f32 v5, v15, v11, -v5
	v_dual_add_f32 v1, v1, v3 :: v_dual_add_f32 v2, v2, v134
	v_mul_f32_e32 v140, v26, v20
	v_mul_f32_e32 v3, v27, v20
	v_fmac_f32_e32 v139, v25, v17
	v_fma_f32 v4, v24, v17, -v4
	v_dual_add_f32 v1, v1, v5 :: v_dual_add_f32 v2, v2, v135
	s_wait_dscnt 0x0
	v_mul_f32_e32 v138, v130, v129
	v_mul_f32_e32 v5, v131, v129
	v_fmac_f32_e32 v140, v27, v19
	v_fma_f32 v3, v26, v19, -v3
	v_dual_add_f32 v1, v1, v4 :: v_dual_add_f32 v2, v2, v139
	v_fmac_f32_e32 v138, v131, v128
	v_fma_f32 v4, v130, v128, -v5
	s_delay_alu instid0(VALU_DEP_3) | instskip(NEXT) | instid1(VALU_DEP_1)
	v_dual_add_f32 v1, v1, v3 :: v_dual_add_f32 v2, v2, v140
	v_dual_add_f32 v1, v1, v4 :: v_dual_add_f32 v2, v2, v138
	s_delay_alu instid0(VALU_DEP_1)
	v_dual_sub_f32 v1, v136, v1 :: v_dual_sub_f32 v2, v137, v2
	scratch_store_b64 off, v[1:2], off offset:16
	v_cmpx_lt_u32_e32 1, v0
	s_cbranch_execz .LBB113_311
; %bb.310:
	scratch_load_b64 v[1:2], off, off offset:8
	v_mov_b32_e32 v22, v21
	scratch_store_b64 off, v[21:22], off offset:8
	s_wait_loadcnt 0x0
	ds_store_b64 v23, v[1:2]
.LBB113_311:
	s_wait_alu 0xfffe
	s_or_b32 exec_lo, exec_lo, s0
	s_wait_storecnt_dscnt 0x0
	s_barrier_signal -1
	s_barrier_wait -1
	global_inv scope:SCOPE_SE
	s_clause 0x4
	scratch_load_b128 v[5:8], off, off offset:16
	scratch_load_b128 v[1:4], off, off offset:32
	;; [unrolled: 1-line block ×5, first 2 shown]
	ds_load_b128 v[24:27], v21 offset:416
	ds_load_b128 v[128:131], v21 offset:432
	;; [unrolled: 1-line block ×3, first 2 shown]
	scratch_load_b64 v[136:137], off, off offset:8
	s_mov_b32 s0, exec_lo
	s_wait_loadcnt_dscnt 0x502
	v_dual_mul_f32 v22, v25, v6 :: v_dual_mul_f32 v139, v26, v8
	v_mul_f32_e32 v138, v24, v6
	v_mul_f32_e32 v6, v27, v8
	s_wait_loadcnt_dscnt 0x300
	v_mul_f32_e32 v140, v134, v12
	v_fma_f32 v22, v24, v5, -v22
	v_dual_fmac_f32 v139, v27, v7 :: v_dual_fmac_f32 v138, v25, v5
	v_mul_f32_e32 v27, v132, v10
	v_mul_f32_e32 v25, v128, v2
	v_fma_f32 v24, v26, v7, -v6
	ds_load_b128 v[5:8], v21 offset:464
	v_mul_f32_e32 v26, v130, v4
	v_dual_mul_f32 v4, v131, v4 :: v_dual_fmac_f32 v27, v133, v9
	v_mul_f32_e32 v10, v133, v10
	v_mul_f32_e32 v12, v135, v12
	v_mul_f32_e32 v2, v129, v2
	v_dual_fmac_f32 v25, v129, v1 :: v_dual_fmac_f32 v26, v131, v3
	v_fma_f32 v129, v130, v3, -v4
	v_fma_f32 v130, v132, v9, -v10
	v_fmac_f32_e32 v140, v135, v11
	v_fma_f32 v131, v134, v11, -v12
	ds_load_b128 v[9:12], v21 offset:480
	s_wait_loadcnt_dscnt 0x201
	v_mul_f32_e32 v133, v7, v16
	v_fma_f32 v128, v128, v1, -v2
	scratch_load_b128 v[1:4], off, off offset:96
	v_mul_f32_e32 v132, v5, v14
	v_mul_f32_e32 v14, v6, v14
	;; [unrolled: 1-line block ×3, first 2 shown]
	s_delay_alu instid0(VALU_DEP_3) | instskip(NEXT) | instid1(VALU_DEP_3)
	v_dual_fmac_f32 v133, v8, v15 :: v_dual_fmac_f32 v132, v6, v13
	v_fma_f32 v13, v5, v13, -v14
	s_delay_alu instid0(VALU_DEP_3)
	v_fma_f32 v14, v7, v15, -v16
	ds_load_b128 v[5:8], v21 offset:496
	s_wait_loadcnt_dscnt 0x201
	v_mul_f32_e32 v15, v9, v18
	v_mul_f32_e32 v16, v10, v18
	;; [unrolled: 1-line block ×3, first 2 shown]
	s_delay_alu instid0(VALU_DEP_3) | instskip(NEXT) | instid1(VALU_DEP_3)
	v_dual_mul_f32 v20, v12, v20 :: v_dual_fmac_f32 v15, v10, v17
	v_fma_f32 v16, v9, v17, -v16
	s_delay_alu instid0(VALU_DEP_3) | instskip(NEXT) | instid1(VALU_DEP_3)
	v_fmac_f32_e32 v18, v12, v19
	v_fma_f32 v17, v11, v19, -v20
	scratch_load_b128 v[9:12], off, off offset:112
	s_wait_loadcnt_dscnt 0x100
	v_mul_f32_e32 v19, v5, v2
	v_mul_f32_e32 v2, v6, v2
	;; [unrolled: 1-line block ×3, first 2 shown]
	s_delay_alu instid0(VALU_DEP_3) | instskip(NEXT) | instid1(VALU_DEP_3)
	v_dual_mul_f32 v4, v8, v4 :: v_dual_fmac_f32 v19, v6, v1
	v_fma_f32 v134, v5, v1, -v2
	s_delay_alu instid0(VALU_DEP_3) | instskip(NEXT) | instid1(VALU_DEP_3)
	v_fmac_f32_e32 v20, v8, v3
	v_fma_f32 v135, v7, v3, -v4
	ds_load_b128 v[1:4], v21 offset:512
	ds_load_b128 v[5:8], v21 offset:528
	s_wait_loadcnt_dscnt 0x1
	v_mul_f32_e32 v141, v1, v10
	v_mul_f32_e32 v10, v2, v10
	s_delay_alu instid0(VALU_DEP_2) | instskip(NEXT) | instid1(VALU_DEP_2)
	v_dual_mul_f32 v142, v3, v12 :: v_dual_fmac_f32 v141, v2, v9
	v_fma_f32 v143, v1, v9, -v10
	v_mul_f32_e32 v1, v4, v12
	s_delay_alu instid0(VALU_DEP_3) | instskip(NEXT) | instid1(VALU_DEP_2)
	v_fmac_f32_e32 v142, v4, v11
	v_fma_f32 v144, v3, v11, -v1
	s_clause 0x1
	scratch_load_b128 v[1:4], off, off offset:128
	scratch_load_b128 v[9:12], off, off offset:144
	s_wait_loadcnt_dscnt 0x100
	v_mul_f32_e32 v145, v5, v2
	v_dual_mul_f32 v2, v6, v2 :: v_dual_mul_f32 v147, v7, v4
	s_delay_alu instid0(VALU_DEP_2) | instskip(NEXT) | instid1(VALU_DEP_2)
	v_fmac_f32_e32 v145, v6, v1
	v_fma_f32 v146, v5, v1, -v2
	v_mul_f32_e32 v1, v8, v4
	s_delay_alu instid0(VALU_DEP_4) | instskip(NEXT) | instid1(VALU_DEP_2)
	v_fmac_f32_e32 v147, v8, v3
	v_fma_f32 v148, v7, v3, -v1
	ds_load_b128 v[1:4], v21 offset:544
	ds_load_b128 v[5:8], v21 offset:560
	s_wait_loadcnt_dscnt 0x1
	v_mul_f32_e32 v149, v1, v10
	v_mul_f32_e32 v151, v3, v12
	s_delay_alu instid0(VALU_DEP_2) | instskip(NEXT) | instid1(VALU_DEP_2)
	v_fmac_f32_e32 v149, v2, v9
	v_dual_mul_f32 v2, v2, v10 :: v_dual_fmac_f32 v151, v4, v11
	s_delay_alu instid0(VALU_DEP_1) | instskip(SKIP_1) | instid1(VALU_DEP_1)
	v_fma_f32 v150, v1, v9, -v2
	v_mul_f32_e32 v1, v4, v12
	v_fma_f32 v152, v3, v11, -v1
	s_clause 0x1
	scratch_load_b128 v[1:4], off, off offset:160
	scratch_load_b128 v[9:12], off, off offset:176
	s_wait_loadcnt_dscnt 0x100
	v_mul_f32_e32 v153, v5, v2
	v_dual_mul_f32 v2, v6, v2 :: v_dual_mul_f32 v155, v7, v4
	s_delay_alu instid0(VALU_DEP_2) | instskip(NEXT) | instid1(VALU_DEP_2)
	v_fmac_f32_e32 v153, v6, v1
	v_fma_f32 v154, v5, v1, -v2
	v_mul_f32_e32 v1, v8, v4
	s_delay_alu instid0(VALU_DEP_4) | instskip(NEXT) | instid1(VALU_DEP_2)
	v_fmac_f32_e32 v155, v8, v3
	v_fma_f32 v156, v7, v3, -v1
	ds_load_b128 v[1:4], v21 offset:576
	ds_load_b128 v[5:8], v21 offset:592
	s_wait_loadcnt_dscnt 0x1
	v_mul_f32_e32 v157, v1, v10
	v_mul_f32_e32 v159, v3, v12
	s_delay_alu instid0(VALU_DEP_2) | instskip(NEXT) | instid1(VALU_DEP_2)
	v_fmac_f32_e32 v157, v2, v9
	v_dual_mul_f32 v2, v2, v10 :: v_dual_fmac_f32 v159, v4, v11
	s_delay_alu instid0(VALU_DEP_1) | instskip(SKIP_1) | instid1(VALU_DEP_1)
	v_fma_f32 v158, v1, v9, -v2
	v_mul_f32_e32 v1, v4, v12
	;; [unrolled: 25-line block ×6, first 2 shown]
	v_fma_f32 v192, v3, v11, -v1
	s_clause 0x1
	scratch_load_b128 v[1:4], off, off offset:320
	scratch_load_b128 v[9:12], off, off offset:336
	s_wait_loadcnt_dscnt 0x100
	v_mul_f32_e32 v193, v5, v2
	v_mul_f32_e32 v2, v6, v2
	s_delay_alu instid0(VALU_DEP_2) | instskip(NEXT) | instid1(VALU_DEP_2)
	v_fmac_f32_e32 v193, v6, v1
	v_fma_f32 v194, v5, v1, -v2
	v_dual_mul_f32 v1, v8, v4 :: v_dual_add_f32 v2, 0, v138
	s_delay_alu instid0(VALU_DEP_1) | instskip(NEXT) | instid1(VALU_DEP_2)
	v_fma_f32 v196, v7, v3, -v1
	v_dual_add_f32 v1, 0, v22 :: v_dual_add_f32 v2, v2, v139
	s_delay_alu instid0(VALU_DEP_1) | instskip(NEXT) | instid1(VALU_DEP_1)
	v_dual_add_f32 v1, v1, v24 :: v_dual_add_f32 v2, v2, v25
	v_dual_add_f32 v1, v1, v128 :: v_dual_add_f32 v2, v2, v26
	s_delay_alu instid0(VALU_DEP_1) | instskip(NEXT) | instid1(VALU_DEP_1)
	v_dual_add_f32 v1, v1, v129 :: v_dual_add_f32 v2, v2, v27
	;; [unrolled: 3-line block ×3, first 2 shown]
	v_add_f32_e32 v1, v1, v13
	s_delay_alu instid0(VALU_DEP_1) | instskip(NEXT) | instid1(VALU_DEP_1)
	v_dual_add_f32 v2, v2, v133 :: v_dual_add_f32 v1, v1, v14
	v_dual_add_f32 v2, v2, v15 :: v_dual_add_f32 v1, v1, v16
	s_delay_alu instid0(VALU_DEP_1) | instskip(NEXT) | instid1(VALU_DEP_1)
	v_dual_add_f32 v2, v2, v18 :: v_dual_mul_f32 v195, v7, v4
	v_dual_add_f32 v1, v1, v17 :: v_dual_add_f32 v2, v2, v19
	s_delay_alu instid0(VALU_DEP_1) | instskip(NEXT) | instid1(VALU_DEP_1)
	v_dual_add_f32 v1, v1, v134 :: v_dual_add_f32 v2, v2, v20
	v_dual_add_f32 v1, v1, v135 :: v_dual_add_f32 v2, v2, v141
	s_delay_alu instid0(VALU_DEP_1) | instskip(NEXT) | instid1(VALU_DEP_1)
	v_dual_add_f32 v1, v1, v143 :: v_dual_add_f32 v2, v2, v142
	;; [unrolled: 3-line block ×6, first 2 shown]
	v_add_f32_e32 v1, v1, v160
	s_delay_alu instid0(VALU_DEP_1) | instskip(NEXT) | instid1(VALU_DEP_1)
	v_add_f32_e32 v1, v1, v162
	v_add_f32_e32 v1, v1, v164
	s_delay_alu instid0(VALU_DEP_1) | instskip(NEXT) | instid1(VALU_DEP_1)
	v_add_f32_e32 v1, v1, v166
	v_add_f32_e32 v6, v1, v168
	;; [unrolled: 1-line block ×3, first 2 shown]
	s_delay_alu instid0(VALU_DEP_2) | instskip(NEXT) | instid1(VALU_DEP_2)
	v_add_f32_e32 v6, v6, v170
	v_add_f32_e32 v2, v2, v163
	s_delay_alu instid0(VALU_DEP_2) | instskip(NEXT) | instid1(VALU_DEP_2)
	v_add_f32_e32 v13, v6, v172
	v_add_f32_e32 v5, v2, v165
	;; [unrolled: 3-line block ×5, first 2 shown]
	s_delay_alu instid0(VALU_DEP_2) | instskip(SKIP_3) | instid1(VALU_DEP_1)
	v_dual_add_f32 v18, v13, v180 :: v_dual_fmac_f32 v195, v8, v3
	ds_load_b128 v[1:4], v21 offset:736
	ds_load_b128 v[5:8], v21 offset:752
	v_add_f32_e32 v18, v18, v182
	v_add_f32_e32 v18, v18, v184
	s_delay_alu instid0(VALU_DEP_1)
	v_add_f32_e32 v24, v18, v186
	s_wait_loadcnt_dscnt 0x1
	v_mul_f32_e32 v128, v3, v12
	v_add_f32_e32 v14, v14, v173
	v_mul_f32_e32 v12, v4, v12
	v_mul_f32_e32 v22, v1, v10
	;; [unrolled: 1-line block ×3, first 2 shown]
	v_fmac_f32_e32 v128, v4, v11
	v_add_f32_e32 v14, v14, v175
	v_fma_f32 v130, v3, v11, -v12
	v_fmac_f32_e32 v22, v2, v9
	v_fma_f32 v129, v1, v9, -v10
	s_clause 0x1
	scratch_load_b128 v[1:4], off, off offset:352
	scratch_load_b128 v[9:12], off, off offset:368
	v_add_f32_e32 v17, v14, v177
	scratch_load_b128 v[13:16], off, off offset:384
	v_add_f32_e32 v131, v24, v188
	v_add_f32_e32 v17, v17, v179
	s_delay_alu instid0(VALU_DEP_1) | instskip(NEXT) | instid1(VALU_DEP_1)
	v_add_f32_e32 v17, v17, v181
	v_add_f32_e32 v17, v17, v183
	s_delay_alu instid0(VALU_DEP_1)
	v_add_f32_e32 v25, v17, v185
	ds_load_b128 v[17:20], v21 offset:768
	v_add_f32_e32 v132, v25, v187
	ds_load_b128 v[24:27], v21 offset:784
	s_wait_loadcnt_dscnt 0x202
	v_mul_f32_e32 v133, v7, v4
	v_mul_f32_e32 v4, v8, v4
	s_wait_loadcnt_dscnt 0x101
	v_mul_f32_e32 v134, v17, v10
	s_wait_loadcnt_dscnt 0x0
	v_dual_mul_f32 v138, v24, v14 :: v_dual_mul_f32 v135, v19, v12
	v_fmac_f32_e32 v133, v8, v3
	v_fma_f32 v3, v7, v3, -v4
	v_mul_f32_e32 v4, v20, v12
	s_delay_alu instid0(VALU_DEP_4) | instskip(SKIP_2) | instid1(VALU_DEP_3)
	v_dual_fmac_f32 v138, v25, v13 :: v_dual_add_f32 v21, v131, v190
	v_dual_add_f32 v131, v132, v189 :: v_dual_mul_f32 v132, v5, v2
	v_mul_f32_e32 v2, v6, v2
	v_dual_fmac_f32 v134, v18, v9 :: v_dual_add_f32 v21, v21, v192
	s_delay_alu instid0(VALU_DEP_3) | instskip(NEXT) | instid1(VALU_DEP_3)
	v_dual_add_f32 v131, v131, v191 :: v_dual_fmac_f32 v132, v6, v1
	v_fma_f32 v2, v5, v1, -v2
	v_mul_f32_e32 v6, v18, v10
	s_delay_alu instid0(VALU_DEP_4) | instskip(NEXT) | instid1(VALU_DEP_4)
	v_add_f32_e32 v21, v21, v194
	v_add_f32_e32 v131, v131, v193
	v_fmac_f32_e32 v135, v20, v11
	v_fma_f32 v4, v19, v11, -v4
	s_delay_alu instid0(VALU_DEP_4) | instskip(NEXT) | instid1(VALU_DEP_4)
	v_add_f32_e32 v21, v21, v196
	v_add_f32_e32 v131, v131, v195
	s_delay_alu instid0(VALU_DEP_1) | instskip(SKIP_1) | instid1(VALU_DEP_2)
	v_dual_add_f32 v21, v21, v129 :: v_dual_add_f32 v22, v131, v22
	v_mul_f32_e32 v129, v26, v16
	v_add_f32_e32 v1, v21, v130
	s_delay_alu instid0(VALU_DEP_3) | instskip(NEXT) | instid1(VALU_DEP_3)
	v_add_f32_e32 v5, v22, v128
	v_fmac_f32_e32 v129, v27, v15
	s_delay_alu instid0(VALU_DEP_3) | instskip(NEXT) | instid1(VALU_DEP_3)
	v_add_f32_e32 v1, v1, v2
	v_add_f32_e32 v2, v5, v132
	v_fma_f32 v5, v17, v9, -v6
	s_delay_alu instid0(VALU_DEP_2) | instskip(SKIP_1) | instid1(VALU_DEP_2)
	v_dual_add_f32 v1, v1, v3 :: v_dual_add_f32 v2, v2, v133
	v_mul_f32_e32 v3, v25, v14
	v_dual_add_f32 v1, v1, v5 :: v_dual_add_f32 v2, v2, v134
	v_mul_f32_e32 v5, v27, v16
	s_delay_alu instid0(VALU_DEP_3) | instskip(NEXT) | instid1(VALU_DEP_3)
	v_fma_f32 v3, v24, v13, -v3
	v_dual_add_f32 v1, v1, v4 :: v_dual_add_f32 v2, v2, v135
	s_delay_alu instid0(VALU_DEP_3) | instskip(NEXT) | instid1(VALU_DEP_2)
	v_fma_f32 v4, v26, v15, -v5
	v_dual_add_f32 v1, v1, v3 :: v_dual_add_f32 v2, v2, v138
	s_delay_alu instid0(VALU_DEP_1) | instskip(NEXT) | instid1(VALU_DEP_1)
	v_dual_add_f32 v1, v1, v4 :: v_dual_add_f32 v2, v2, v129
	v_dual_sub_f32 v1, v136, v1 :: v_dual_sub_f32 v2, v137, v2
	scratch_store_b64 off, v[1:2], off offset:8
	v_cmpx_ne_u32_e32 0, v0
	s_cbranch_execz .LBB113_313
; %bb.312:
	scratch_load_b64 v[0:1], off, off
	v_mov_b32_e32 v2, 0
	s_delay_alu instid0(VALU_DEP_1)
	v_mov_b32_e32 v3, v2
	scratch_store_b64 off, v[2:3], off
	s_wait_loadcnt 0x0
	ds_store_b64 v23, v[0:1]
.LBB113_313:
	s_wait_alu 0xfffe
	s_or_b32 exec_lo, exec_lo, s0
	s_wait_storecnt_dscnt 0x0
	s_barrier_signal -1
	s_barrier_wait -1
	global_inv scope:SCOPE_SE
	s_clause 0x6
	scratch_load_b128 v[0:3], off, off offset:8
	scratch_load_b128 v[4:7], off, off offset:24
	scratch_load_b128 v[8:11], off, off offset:40
	scratch_load_b128 v[12:15], off, off offset:56
	scratch_load_b128 v[16:19], off, off offset:72
	scratch_load_b128 v[20:23], off, off offset:88
	scratch_load_b128 v[24:27], off, off offset:104
	v_mov_b32_e32 v128, 0
	scratch_load_b64 v[137:138], off, off
	s_and_b32 vcc_lo, exec_lo, s12
	ds_load_2addr_b64 v[129:132], v128 offset0:51 offset1:52
	ds_load_2addr_b64 v[133:136], v128 offset0:53 offset1:54
	s_wait_loadcnt_dscnt 0x701
	v_mul_f32_e32 v139, v130, v1
	v_dual_mul_f32 v140, v129, v1 :: v_dual_mul_f32 v141, v131, v3
	v_mul_f32_e32 v1, v132, v3
	s_delay_alu instid0(VALU_DEP_3) | instskip(NEXT) | instid1(VALU_DEP_3)
	v_fma_f32 v129, v129, v0, -v139
	v_dual_fmac_f32 v140, v130, v0 :: v_dual_fmac_f32 v141, v132, v2
	s_wait_loadcnt_dscnt 0x600
	v_mul_f32_e32 v132, v135, v7
	v_fma_f32 v130, v131, v2, -v1
	ds_load_2addr_b64 v[0:3], v128 offset0:55 offset1:56
	v_mul_f32_e32 v131, v133, v5
	v_mul_f32_e32 v5, v134, v5
	v_mul_f32_e32 v7, v136, v7
	s_delay_alu instid0(VALU_DEP_3) | instskip(NEXT) | instid1(VALU_DEP_3)
	v_dual_fmac_f32 v132, v136, v6 :: v_dual_fmac_f32 v131, v134, v4
	v_fma_f32 v133, v133, v4, -v5
	s_delay_alu instid0(VALU_DEP_3)
	v_fma_f32 v134, v135, v6, -v7
	ds_load_2addr_b64 v[4:7], v128 offset0:57 offset1:58
	s_wait_loadcnt_dscnt 0x501
	v_dual_mul_f32 v135, v0, v9 :: v_dual_mul_f32 v136, v2, v11
	v_mul_f32_e32 v9, v1, v9
	v_mul_f32_e32 v11, v3, v11
	s_delay_alu instid0(VALU_DEP_3) | instskip(NEXT) | instid1(VALU_DEP_3)
	v_dual_fmac_f32 v135, v1, v8 :: v_dual_fmac_f32 v136, v3, v10
	v_fma_f32 v139, v0, v8, -v9
	s_delay_alu instid0(VALU_DEP_3)
	v_fma_f32 v142, v2, v10, -v11
	ds_load_2addr_b64 v[0:3], v128 offset0:59 offset1:60
	s_wait_loadcnt_dscnt 0x401
	v_mul_f32_e32 v143, v4, v13
	v_dual_mul_f32 v8, v5, v13 :: v_dual_mul_f32 v13, v6, v15
	v_mul_f32_e32 v9, v7, v15
	s_delay_alu instid0(VALU_DEP_3) | instskip(NEXT) | instid1(VALU_DEP_3)
	v_fmac_f32_e32 v143, v5, v12
	v_fma_f32 v12, v4, v12, -v8
	s_delay_alu instid0(VALU_DEP_4) | instskip(NEXT) | instid1(VALU_DEP_4)
	v_fmac_f32_e32 v13, v7, v14
	v_fma_f32 v14, v6, v14, -v9
	ds_load_2addr_b64 v[4:7], v128 offset0:61 offset1:62
	s_wait_loadcnt_dscnt 0x301
	v_mul_f32_e32 v15, v0, v17
	v_dual_mul_f32 v8, v1, v17 :: v_dual_mul_f32 v17, v2, v19
	v_mul_f32_e32 v9, v3, v19
	s_delay_alu instid0(VALU_DEP_3) | instskip(NEXT) | instid1(VALU_DEP_3)
	v_fmac_f32_e32 v15, v1, v16
	v_fma_f32 v16, v0, v16, -v8
	s_delay_alu instid0(VALU_DEP_4) | instskip(NEXT) | instid1(VALU_DEP_4)
	v_fmac_f32_e32 v17, v3, v18
	;; [unrolled: 11-line block ×4, first 2 shown]
	v_fma_f32 v26, v2, v26, -v9
	s_clause 0x1
	scratch_load_b128 v[0:3], off, off offset:120
	scratch_load_b128 v[8:11], off, off offset:136
	s_wait_loadcnt_dscnt 0x100
	v_mul_f32_e32 v27, v4, v1
	v_mul_f32_e32 v1, v5, v1
	;; [unrolled: 1-line block ×3, first 2 shown]
	s_delay_alu instid0(VALU_DEP_3) | instskip(NEXT) | instid1(VALU_DEP_3)
	v_fmac_f32_e32 v27, v5, v0
	v_fma_f32 v144, v4, v0, -v1
	v_mul_f32_e32 v0, v7, v3
	s_delay_alu instid0(VALU_DEP_4) | instskip(NEXT) | instid1(VALU_DEP_2)
	v_fmac_f32_e32 v145, v7, v2
	v_fma_f32 v146, v6, v2, -v0
	ds_load_2addr_b64 v[0:3], v128 offset0:67 offset1:68
	ds_load_2addr_b64 v[4:7], v128 offset0:69 offset1:70
	s_wait_loadcnt_dscnt 0x1
	v_mul_f32_e32 v147, v0, v9
	v_mul_f32_e32 v149, v2, v11
	s_delay_alu instid0(VALU_DEP_2) | instskip(SKIP_1) | instid1(VALU_DEP_1)
	v_fmac_f32_e32 v147, v1, v8
	v_mul_f32_e32 v1, v1, v9
	v_fma_f32 v148, v0, v8, -v1
	v_mul_f32_e32 v0, v3, v11
	v_fmac_f32_e32 v149, v3, v10
	s_delay_alu instid0(VALU_DEP_2)
	v_fma_f32 v150, v2, v10, -v0
	s_clause 0x1
	scratch_load_b128 v[0:3], off, off offset:152
	scratch_load_b128 v[8:11], off, off offset:168
	s_wait_loadcnt_dscnt 0x100
	v_mul_f32_e32 v151, v4, v1
	v_mul_f32_e32 v1, v5, v1
	s_delay_alu instid0(VALU_DEP_2) | instskip(NEXT) | instid1(VALU_DEP_2)
	v_fmac_f32_e32 v151, v5, v0
	v_fma_f32 v152, v4, v0, -v1
	v_mul_f32_e32 v0, v7, v3
	s_delay_alu instid0(VALU_DEP_1) | instskip(SKIP_1) | instid1(VALU_DEP_1)
	v_fma_f32 v154, v6, v2, -v0
	v_mul_f32_e32 v153, v6, v3
	v_fmac_f32_e32 v153, v7, v2
	ds_load_2addr_b64 v[0:3], v128 offset0:71 offset1:72
	ds_load_2addr_b64 v[4:7], v128 offset0:73 offset1:74
	s_wait_loadcnt_dscnt 0x1
	v_mul_f32_e32 v155, v0, v9
	v_mul_f32_e32 v157, v2, v11
	s_delay_alu instid0(VALU_DEP_2) | instskip(SKIP_1) | instid1(VALU_DEP_3)
	v_fmac_f32_e32 v155, v1, v8
	v_mul_f32_e32 v1, v1, v9
	v_fmac_f32_e32 v157, v3, v10
	s_delay_alu instid0(VALU_DEP_2) | instskip(SKIP_1) | instid1(VALU_DEP_1)
	v_fma_f32 v156, v0, v8, -v1
	v_mul_f32_e32 v0, v3, v11
	v_fma_f32 v158, v2, v10, -v0
	s_clause 0x1
	scratch_load_b128 v[0:3], off, off offset:184
	scratch_load_b128 v[8:11], off, off offset:200
	s_wait_loadcnt_dscnt 0x100
	v_mul_f32_e32 v159, v4, v1
	v_mul_f32_e32 v1, v5, v1
	v_mul_f32_e32 v161, v6, v3
	s_delay_alu instid0(VALU_DEP_3) | instskip(NEXT) | instid1(VALU_DEP_3)
	v_fmac_f32_e32 v159, v5, v0
	v_fma_f32 v160, v4, v0, -v1
	v_mul_f32_e32 v0, v7, v3
	s_delay_alu instid0(VALU_DEP_4) | instskip(NEXT) | instid1(VALU_DEP_2)
	v_fmac_f32_e32 v161, v7, v2
	v_fma_f32 v162, v6, v2, -v0
	ds_load_2addr_b64 v[0:3], v128 offset0:75 offset1:76
	ds_load_2addr_b64 v[4:7], v128 offset0:77 offset1:78
	s_wait_loadcnt_dscnt 0x1
	v_mul_f32_e32 v163, v0, v9
	v_mul_f32_e32 v165, v2, v11
	s_delay_alu instid0(VALU_DEP_2) | instskip(SKIP_1) | instid1(VALU_DEP_3)
	v_fmac_f32_e32 v163, v1, v8
	v_mul_f32_e32 v1, v1, v9
	v_fmac_f32_e32 v165, v3, v10
	s_delay_alu instid0(VALU_DEP_2) | instskip(SKIP_1) | instid1(VALU_DEP_1)
	v_fma_f32 v164, v0, v8, -v1
	v_mul_f32_e32 v0, v3, v11
	v_fma_f32 v166, v2, v10, -v0
	s_clause 0x1
	scratch_load_b128 v[0:3], off, off offset:216
	scratch_load_b128 v[8:11], off, off offset:232
	s_wait_loadcnt_dscnt 0x100
	v_mul_f32_e32 v167, v4, v1
	v_mul_f32_e32 v1, v5, v1
	v_mul_f32_e32 v169, v6, v3
	s_delay_alu instid0(VALU_DEP_3) | instskip(NEXT) | instid1(VALU_DEP_3)
	v_fmac_f32_e32 v167, v5, v0
	v_fma_f32 v168, v4, v0, -v1
	v_mul_f32_e32 v0, v7, v3
	s_delay_alu instid0(VALU_DEP_4) | instskip(NEXT) | instid1(VALU_DEP_2)
	v_fmac_f32_e32 v169, v7, v2
	v_fma_f32 v170, v6, v2, -v0
	;; [unrolled: 27-line block ×4, first 2 shown]
	ds_load_2addr_b64 v[0:3], v128 offset0:87 offset1:88
	ds_load_2addr_b64 v[4:7], v128 offset0:89 offset1:90
	s_wait_loadcnt_dscnt 0x1
	v_mul_f32_e32 v187, v0, v9
	v_mul_f32_e32 v189, v2, v11
	s_delay_alu instid0(VALU_DEP_2) | instskip(SKIP_1) | instid1(VALU_DEP_3)
	v_fmac_f32_e32 v187, v1, v8
	v_mul_f32_e32 v1, v1, v9
	v_fmac_f32_e32 v189, v3, v10
	s_delay_alu instid0(VALU_DEP_2) | instskip(SKIP_1) | instid1(VALU_DEP_1)
	v_fma_f32 v188, v0, v8, -v1
	v_mul_f32_e32 v0, v3, v11
	v_fma_f32 v190, v2, v10, -v0
	s_clause 0x1
	scratch_load_b128 v[0:3], off, off offset:312
	scratch_load_b128 v[8:11], off, off offset:328
	s_wait_loadcnt_dscnt 0x100
	v_mul_f32_e32 v191, v4, v1
	v_mul_f32_e32 v1, v5, v1
	;; [unrolled: 1-line block ×3, first 2 shown]
	s_delay_alu instid0(VALU_DEP_3) | instskip(NEXT) | instid1(VALU_DEP_3)
	v_fmac_f32_e32 v191, v5, v0
	v_fma_f32 v192, v4, v0, -v1
	v_dual_mul_f32 v0, v7, v3 :: v_dual_add_f32 v1, 0, v140
	s_delay_alu instid0(VALU_DEP_4) | instskip(NEXT) | instid1(VALU_DEP_2)
	v_fmac_f32_e32 v193, v7, v2
	v_fma_f32 v194, v6, v2, -v0
	v_add_f32_e32 v0, 0, v129
	s_delay_alu instid0(VALU_DEP_1) | instskip(NEXT) | instid1(VALU_DEP_1)
	v_dual_add_f32 v1, v1, v141 :: v_dual_add_f32 v0, v0, v130
	v_dual_add_f32 v1, v1, v131 :: v_dual_add_f32 v0, v0, v133
	s_delay_alu instid0(VALU_DEP_1) | instskip(NEXT) | instid1(VALU_DEP_1)
	v_dual_add_f32 v1, v1, v132 :: v_dual_add_f32 v0, v0, v134
	v_add_f32_e32 v1, v1, v135
	s_delay_alu instid0(VALU_DEP_1) | instskip(NEXT) | instid1(VALU_DEP_1)
	v_dual_add_f32 v0, v0, v139 :: v_dual_add_f32 v1, v1, v136
	v_dual_add_f32 v0, v0, v142 :: v_dual_add_f32 v1, v1, v143
	s_delay_alu instid0(VALU_DEP_1) | instskip(NEXT) | instid1(VALU_DEP_1)
	v_dual_add_f32 v0, v0, v12 :: v_dual_add_f32 v1, v1, v13
	v_dual_add_f32 v0, v0, v14 :: v_dual_add_f32 v1, v1, v15
	;; [unrolled: 3-line block ×4, first 2 shown]
	s_delay_alu instid0(VALU_DEP_1) | instskip(SKIP_2) | instid1(VALU_DEP_1)
	v_dual_add_f32 v0, v0, v24 :: v_dual_add_f32 v1, v1, v25
	scratch_load_b64 v[24:25], off, off offset:392
	v_dual_add_f32 v0, v0, v26 :: v_dual_add_f32 v1, v1, v27
	v_dual_add_f32 v0, v0, v144 :: v_dual_add_f32 v1, v1, v145
	s_delay_alu instid0(VALU_DEP_1) | instskip(NEXT) | instid1(VALU_DEP_1)
	v_dual_add_f32 v0, v0, v146 :: v_dual_add_f32 v1, v1, v147
	v_dual_add_f32 v0, v0, v148 :: v_dual_add_f32 v1, v1, v149
	s_delay_alu instid0(VALU_DEP_1) | instskip(NEXT) | instid1(VALU_DEP_1)
	v_dual_add_f32 v0, v0, v150 :: v_dual_add_f32 v1, v1, v151
	v_add_f32_e32 v0, v0, v152
	s_delay_alu instid0(VALU_DEP_1) | instskip(NEXT) | instid1(VALU_DEP_1)
	v_add_f32_e32 v0, v0, v154
	v_dual_add_f32 v0, v0, v156 :: v_dual_add_f32 v1, v1, v153
	s_delay_alu instid0(VALU_DEP_1) | instskip(NEXT) | instid1(VALU_DEP_1)
	v_dual_add_f32 v0, v0, v158 :: v_dual_add_f32 v1, v1, v155
	v_dual_add_f32 v0, v0, v160 :: v_dual_add_f32 v1, v1, v157
	s_delay_alu instid0(VALU_DEP_1) | instskip(NEXT) | instid1(VALU_DEP_1)
	v_dual_add_f32 v0, v0, v162 :: v_dual_add_f32 v1, v1, v159
	v_add_f32_e32 v5, v0, v164
	s_delay_alu instid0(VALU_DEP_1) | instskip(NEXT) | instid1(VALU_DEP_1)
	v_add_f32_e32 v5, v5, v166
	v_add_f32_e32 v12, v5, v168
	s_delay_alu instid0(VALU_DEP_1) | instskip(NEXT) | instid1(VALU_DEP_1)
	v_add_f32_e32 v12, v12, v170
	v_add_f32_e32 v12, v12, v172
	;; [unrolled: 1-line block ×3, first 2 shown]
	ds_load_2addr_b64 v[0:3], v128 offset0:91 offset1:92
	v_add_f32_e32 v12, v12, v174
	v_add_f32_e32 v4, v4, v163
	s_delay_alu instid0(VALU_DEP_2) | instskip(NEXT) | instid1(VALU_DEP_1)
	v_add_f32_e32 v17, v12, v176
	v_dual_add_f32 v4, v4, v165 :: v_dual_add_f32 v17, v17, v178
	s_delay_alu instid0(VALU_DEP_1)
	v_add_f32_e32 v13, v4, v167
	ds_load_2addr_b64 v[4:7], v128 offset0:93 offset1:94
	v_add_f32_e32 v17, v17, v180
	v_add_f32_e32 v13, v13, v169
	s_wait_loadcnt_dscnt 0x101
	v_mul_f32_e32 v129, v0, v9
	v_dual_mul_f32 v9, v1, v9 :: v_dual_mul_f32 v130, v2, v11
	v_mul_f32_e32 v11, v3, v11
	v_add_f32_e32 v13, v13, v171
	s_delay_alu instid0(VALU_DEP_4) | instskip(NEXT) | instid1(VALU_DEP_4)
	v_fmac_f32_e32 v129, v1, v8
	v_fma_f32 v131, v0, v8, -v9
	v_fmac_f32_e32 v130, v3, v10
	v_fma_f32 v132, v2, v10, -v11
	s_clause 0x1
	scratch_load_b128 v[0:3], off, off offset:344
	scratch_load_b128 v[8:11], off, off offset:360
	v_add_f32_e32 v16, v13, v173
	scratch_load_b128 v[12:15], off, off offset:376
	v_add_f32_e32 v17, v17, v182
	s_delay_alu instid0(VALU_DEP_1) | instskip(NEXT) | instid1(VALU_DEP_1)
	v_add_f32_e32 v17, v17, v184
	v_add_f32_e32 v26, v17, v186
	s_delay_alu instid0(VALU_DEP_1) | instskip(NEXT) | instid1(VALU_DEP_1)
	v_add_f32_e32 v133, v26, v188
	;; [unrolled: 3-line block ×3, first 2 shown]
	v_add_f32_e32 v133, v133, v194
	s_delay_alu instid0(VALU_DEP_1) | instskip(SKIP_4) | instid1(VALU_DEP_3)
	v_add_f32_e32 v131, v133, v131
	s_wait_loadcnt_dscnt 0x200
	v_mul_f32_e32 v135, v4, v1
	v_dual_mul_f32 v1, v5, v1 :: v_dual_mul_f32 v136, v6, v3
	v_mul_f32_e32 v3, v7, v3
	v_fmac_f32_e32 v135, v5, v0
	s_delay_alu instid0(VALU_DEP_3) | instskip(SKIP_3) | instid1(VALU_DEP_3)
	v_fma_f32 v0, v4, v0, -v1
	v_add_f32_e32 v1, v131, v132
	v_fmac_f32_e32 v136, v7, v2
	v_fma_f32 v2, v6, v2, -v3
	v_add_f32_e32 v0, v1, v0
	s_delay_alu instid0(VALU_DEP_1) | instskip(SKIP_1) | instid1(VALU_DEP_1)
	v_add_f32_e32 v0, v0, v2
	v_add_f32_e32 v16, v16, v175
	;; [unrolled: 1-line block ×3, first 2 shown]
	s_delay_alu instid0(VALU_DEP_1) | instskip(NEXT) | instid1(VALU_DEP_1)
	v_add_f32_e32 v16, v16, v179
	v_add_f32_e32 v16, v16, v181
	s_delay_alu instid0(VALU_DEP_1)
	v_add_f32_e32 v20, v16, v183
	ds_load_2addr_b64 v[16:19], v128 offset0:95 offset1:96
	v_add_f32_e32 v27, v20, v185
	ds_load_2addr_b64 v[20:23], v128 offset0:97 offset1:98
	v_add_f32_e32 v134, v27, v187
	ds_load_b64 v[26:27], v128 offset:792
	v_add_f32_e32 v134, v134, v189
	s_wait_loadcnt_dscnt 0x102
	s_delay_alu instid0(VALU_DEP_1) | instskip(SKIP_1) | instid1(VALU_DEP_2)
	v_dual_add_f32 v134, v134, v191 :: v_dual_mul_f32 v139, v16, v9
	v_dual_mul_f32 v5, v17, v9 :: v_dual_mul_f32 v140, v18, v11
	v_dual_mul_f32 v3, v19, v11 :: v_dual_add_f32 v134, v134, v193
	s_delay_alu instid0(VALU_DEP_3)
	v_fmac_f32_e32 v139, v17, v8
	s_wait_loadcnt_dscnt 0x1
	v_mul_f32_e32 v141, v20, v13
	v_mul_f32_e32 v2, v21, v13
	v_dual_fmac_f32 v140, v19, v10 :: v_dual_add_f32 v129, v134, v129
	v_fma_f32 v3, v18, v10, -v3
	v_mul_f32_e32 v133, v22, v15
	v_fmac_f32_e32 v141, v21, v12
	v_fma_f32 v2, v20, v12, -v2
	v_add_f32_e32 v4, v129, v130
	s_wait_dscnt 0x0
	v_dual_mul_f32 v134, v26, v25 :: v_dual_fmac_f32 v133, v23, v14
	s_delay_alu instid0(VALU_DEP_2) | instskip(SKIP_1) | instid1(VALU_DEP_3)
	v_add_f32_e32 v1, v4, v135
	v_fma_f32 v4, v16, v8, -v5
	v_fmac_f32_e32 v134, v27, v24
	s_delay_alu instid0(VALU_DEP_3) | instskip(NEXT) | instid1(VALU_DEP_3)
	v_add_f32_e32 v1, v1, v136
	v_add_f32_e32 v0, v0, v4
	v_mul_f32_e32 v4, v23, v15
	s_delay_alu instid0(VALU_DEP_3) | instskip(NEXT) | instid1(VALU_DEP_3)
	v_add_f32_e32 v1, v1, v139
	v_dual_add_f32 v0, v0, v3 :: v_dual_mul_f32 v3, v27, v25
	s_delay_alu instid0(VALU_DEP_3) | instskip(NEXT) | instid1(VALU_DEP_2)
	v_fma_f32 v4, v22, v14, -v4
	v_dual_add_f32 v1, v1, v140 :: v_dual_add_f32 v0, v0, v2
	s_delay_alu instid0(VALU_DEP_3) | instskip(NEXT) | instid1(VALU_DEP_2)
	v_fma_f32 v2, v26, v24, -v3
	v_dual_add_f32 v1, v1, v141 :: v_dual_add_f32 v0, v0, v4
	s_delay_alu instid0(VALU_DEP_1) | instskip(NEXT) | instid1(VALU_DEP_1)
	v_dual_add_f32 v1, v1, v133 :: v_dual_add_f32 v0, v0, v2
	v_add_f32_e32 v1, v1, v134
	s_delay_alu instid0(VALU_DEP_1)
	v_dual_sub_f32 v0, v137, v0 :: v_dual_sub_f32 v1, v138, v1
	scratch_store_b64 off, v[0:1], off
	s_wait_alu 0xfffe
	s_cbranch_vccz .LBB113_412
; %bb.314:
	global_load_b32 v0, v128, s[2:3] offset:192
	s_wait_loadcnt 0x0
	v_cmp_ne_u32_e32 vcc_lo, 49, v0
	s_cbranch_vccz .LBB113_316
; %bb.315:
	v_lshlrev_b32_e32 v0, 3, v0
	s_delay_alu instid0(VALU_DEP_1)
	v_mov_b32_e32 v4, v0
	scratch_load_b64 v[0:1], v4, off offset:-8
	scratch_load_b64 v[2:3], off, off offset:384
	s_wait_loadcnt 0x1
	scratch_store_b64 off, v[0:1], off offset:384
	s_wait_loadcnt 0x0
	scratch_store_b64 v4, v[2:3], off offset:-8
.LBB113_316:
	v_mov_b32_e32 v0, 0
	global_load_b32 v1, v0, s[2:3] offset:188
	s_wait_loadcnt 0x0
	v_cmp_eq_u32_e32 vcc_lo, 48, v1
	s_cbranch_vccnz .LBB113_318
; %bb.317:
	v_lshlrev_b32_e32 v1, 3, v1
	s_delay_alu instid0(VALU_DEP_1)
	v_mov_b32_e32 v5, v1
	scratch_load_b64 v[1:2], v5, off offset:-8
	scratch_load_b64 v[3:4], off, off offset:376
	s_wait_loadcnt 0x1
	scratch_store_b64 off, v[1:2], off offset:376
	s_wait_loadcnt 0x0
	scratch_store_b64 v5, v[3:4], off offset:-8
.LBB113_318:
	global_load_b32 v0, v0, s[2:3] offset:184
	s_wait_loadcnt 0x0
	v_cmp_eq_u32_e32 vcc_lo, 47, v0
	s_cbranch_vccnz .LBB113_320
; %bb.319:
	v_lshlrev_b32_e32 v0, 3, v0
	s_delay_alu instid0(VALU_DEP_1)
	v_mov_b32_e32 v4, v0
	scratch_load_b64 v[0:1], v4, off offset:-8
	scratch_load_b64 v[2:3], off, off offset:368
	s_wait_loadcnt 0x1
	scratch_store_b64 off, v[0:1], off offset:368
	s_wait_loadcnt 0x0
	scratch_store_b64 v4, v[2:3], off offset:-8
.LBB113_320:
	v_mov_b32_e32 v0, 0
	global_load_b32 v1, v0, s[2:3] offset:180
	s_wait_loadcnt 0x0
	v_cmp_eq_u32_e32 vcc_lo, 46, v1
	s_cbranch_vccnz .LBB113_322
; %bb.321:
	v_lshlrev_b32_e32 v1, 3, v1
	s_delay_alu instid0(VALU_DEP_1)
	v_mov_b32_e32 v5, v1
	scratch_load_b64 v[1:2], v5, off offset:-8
	scratch_load_b64 v[3:4], off, off offset:360
	s_wait_loadcnt 0x1
	scratch_store_b64 off, v[1:2], off offset:360
	s_wait_loadcnt 0x0
	scratch_store_b64 v5, v[3:4], off offset:-8
.LBB113_322:
	global_load_b32 v0, v0, s[2:3] offset:176
	s_wait_loadcnt 0x0
	v_cmp_eq_u32_e32 vcc_lo, 45, v0
	s_cbranch_vccnz .LBB113_324
; %bb.323:
	v_lshlrev_b32_e32 v0, 3, v0
	s_delay_alu instid0(VALU_DEP_1)
	v_mov_b32_e32 v4, v0
	scratch_load_b64 v[0:1], v4, off offset:-8
	scratch_load_b64 v[2:3], off, off offset:352
	s_wait_loadcnt 0x1
	scratch_store_b64 off, v[0:1], off offset:352
	s_wait_loadcnt 0x0
	scratch_store_b64 v4, v[2:3], off offset:-8
.LBB113_324:
	;; [unrolled: 31-line block ×23, first 2 shown]
	v_mov_b32_e32 v0, 0
	global_load_b32 v1, v0, s[2:3] offset:4
	s_wait_loadcnt 0x0
	v_cmp_eq_u32_e32 vcc_lo, 2, v1
	s_cbranch_vccnz .LBB113_410
; %bb.409:
	v_lshlrev_b32_e32 v1, 3, v1
	s_delay_alu instid0(VALU_DEP_1)
	v_mov_b32_e32 v5, v1
	scratch_load_b64 v[1:2], v5, off offset:-8
	scratch_load_b64 v[3:4], off, off offset:8
	s_wait_loadcnt 0x1
	scratch_store_b64 off, v[1:2], off offset:8
	s_wait_loadcnt 0x0
	scratch_store_b64 v5, v[3:4], off offset:-8
.LBB113_410:
	global_load_b32 v0, v0, s[2:3]
	s_wait_loadcnt 0x0
	v_cmp_eq_u32_e32 vcc_lo, 1, v0
	s_cbranch_vccnz .LBB113_412
; %bb.411:
	v_lshlrev_b32_e32 v0, 3, v0
	s_delay_alu instid0(VALU_DEP_1)
	v_mov_b32_e32 v4, v0
	scratch_load_b64 v[0:1], v4, off offset:-8
	scratch_load_b64 v[2:3], off, off
	s_wait_loadcnt 0x1
	scratch_store_b64 off, v[0:1], off
	s_wait_loadcnt 0x0
	scratch_store_b64 v4, v[2:3], off offset:-8
.LBB113_412:
	scratch_load_b64 v[0:1], off, off
	s_wait_loadcnt 0x0
	flat_store_b64 v[28:29], v[0:1]
	scratch_load_b64 v[0:1], off, off offset:8
	s_wait_loadcnt 0x0
	flat_store_b64 v[30:31], v[0:1]
	scratch_load_b64 v[0:1], off, off offset:16
	;; [unrolled: 3-line block ×49, first 2 shown]
	s_wait_loadcnt 0x0
	flat_store_b64 v[126:127], v[0:1]
	s_nop 0
	s_sendmsg sendmsg(MSG_DEALLOC_VGPRS)
	s_endpgm
	.section	.rodata,"a",@progbits
	.p2align	6, 0x0
	.amdhsa_kernel _ZN9rocsolver6v33100L18getri_kernel_smallILi50E19rocblas_complex_numIfEPKPS3_EEvT1_iilPiilS8_bb
		.amdhsa_group_segment_fixed_size 804
		.amdhsa_private_segment_fixed_size 416
		.amdhsa_kernarg_size 60
		.amdhsa_user_sgpr_count 2
		.amdhsa_user_sgpr_dispatch_ptr 0
		.amdhsa_user_sgpr_queue_ptr 0
		.amdhsa_user_sgpr_kernarg_segment_ptr 1
		.amdhsa_user_sgpr_dispatch_id 0
		.amdhsa_user_sgpr_private_segment_size 0
		.amdhsa_wavefront_size32 1
		.amdhsa_uses_dynamic_stack 0
		.amdhsa_enable_private_segment 1
		.amdhsa_system_sgpr_workgroup_id_x 1
		.amdhsa_system_sgpr_workgroup_id_y 0
		.amdhsa_system_sgpr_workgroup_id_z 0
		.amdhsa_system_sgpr_workgroup_info 0
		.amdhsa_system_vgpr_workitem_id 0
		.amdhsa_next_free_vgpr 254
		.amdhsa_next_free_sgpr 19
		.amdhsa_reserve_vcc 1
		.amdhsa_float_round_mode_32 0
		.amdhsa_float_round_mode_16_64 0
		.amdhsa_float_denorm_mode_32 3
		.amdhsa_float_denorm_mode_16_64 3
		.amdhsa_fp16_overflow 0
		.amdhsa_workgroup_processor_mode 1
		.amdhsa_memory_ordered 1
		.amdhsa_forward_progress 1
		.amdhsa_inst_pref_size 255
		.amdhsa_round_robin_scheduling 0
		.amdhsa_exception_fp_ieee_invalid_op 0
		.amdhsa_exception_fp_denorm_src 0
		.amdhsa_exception_fp_ieee_div_zero 0
		.amdhsa_exception_fp_ieee_overflow 0
		.amdhsa_exception_fp_ieee_underflow 0
		.amdhsa_exception_fp_ieee_inexact 0
		.amdhsa_exception_int_div_zero 0
	.end_amdhsa_kernel
	.section	.text._ZN9rocsolver6v33100L18getri_kernel_smallILi50E19rocblas_complex_numIfEPKPS3_EEvT1_iilPiilS8_bb,"axG",@progbits,_ZN9rocsolver6v33100L18getri_kernel_smallILi50E19rocblas_complex_numIfEPKPS3_EEvT1_iilPiilS8_bb,comdat
.Lfunc_end113:
	.size	_ZN9rocsolver6v33100L18getri_kernel_smallILi50E19rocblas_complex_numIfEPKPS3_EEvT1_iilPiilS8_bb, .Lfunc_end113-_ZN9rocsolver6v33100L18getri_kernel_smallILi50E19rocblas_complex_numIfEPKPS3_EEvT1_iilPiilS8_bb
                                        ; -- End function
	.set _ZN9rocsolver6v33100L18getri_kernel_smallILi50E19rocblas_complex_numIfEPKPS3_EEvT1_iilPiilS8_bb.num_vgpr, 254
	.set _ZN9rocsolver6v33100L18getri_kernel_smallILi50E19rocblas_complex_numIfEPKPS3_EEvT1_iilPiilS8_bb.num_agpr, 0
	.set _ZN9rocsolver6v33100L18getri_kernel_smallILi50E19rocblas_complex_numIfEPKPS3_EEvT1_iilPiilS8_bb.numbered_sgpr, 19
	.set _ZN9rocsolver6v33100L18getri_kernel_smallILi50E19rocblas_complex_numIfEPKPS3_EEvT1_iilPiilS8_bb.num_named_barrier, 0
	.set _ZN9rocsolver6v33100L18getri_kernel_smallILi50E19rocblas_complex_numIfEPKPS3_EEvT1_iilPiilS8_bb.private_seg_size, 416
	.set _ZN9rocsolver6v33100L18getri_kernel_smallILi50E19rocblas_complex_numIfEPKPS3_EEvT1_iilPiilS8_bb.uses_vcc, 1
	.set _ZN9rocsolver6v33100L18getri_kernel_smallILi50E19rocblas_complex_numIfEPKPS3_EEvT1_iilPiilS8_bb.uses_flat_scratch, 1
	.set _ZN9rocsolver6v33100L18getri_kernel_smallILi50E19rocblas_complex_numIfEPKPS3_EEvT1_iilPiilS8_bb.has_dyn_sized_stack, 0
	.set _ZN9rocsolver6v33100L18getri_kernel_smallILi50E19rocblas_complex_numIfEPKPS3_EEvT1_iilPiilS8_bb.has_recursion, 0
	.set _ZN9rocsolver6v33100L18getri_kernel_smallILi50E19rocblas_complex_numIfEPKPS3_EEvT1_iilPiilS8_bb.has_indirect_call, 0
	.section	.AMDGPU.csdata,"",@progbits
; Kernel info:
; codeLenInByte = 85844
; TotalNumSgprs: 21
; NumVgprs: 254
; ScratchSize: 416
; MemoryBound: 0
; FloatMode: 240
; IeeeMode: 1
; LDSByteSize: 804 bytes/workgroup (compile time only)
; SGPRBlocks: 0
; VGPRBlocks: 31
; NumSGPRsForWavesPerEU: 21
; NumVGPRsForWavesPerEU: 254
; Occupancy: 5
; WaveLimiterHint : 1
; COMPUTE_PGM_RSRC2:SCRATCH_EN: 1
; COMPUTE_PGM_RSRC2:USER_SGPR: 2
; COMPUTE_PGM_RSRC2:TRAP_HANDLER: 0
; COMPUTE_PGM_RSRC2:TGID_X_EN: 1
; COMPUTE_PGM_RSRC2:TGID_Y_EN: 0
; COMPUTE_PGM_RSRC2:TGID_Z_EN: 0
; COMPUTE_PGM_RSRC2:TIDIG_COMP_CNT: 0
	.section	.text._ZN9rocsolver6v33100L18getri_kernel_smallILi51E19rocblas_complex_numIfEPKPS3_EEvT1_iilPiilS8_bb,"axG",@progbits,_ZN9rocsolver6v33100L18getri_kernel_smallILi51E19rocblas_complex_numIfEPKPS3_EEvT1_iilPiilS8_bb,comdat
	.globl	_ZN9rocsolver6v33100L18getri_kernel_smallILi51E19rocblas_complex_numIfEPKPS3_EEvT1_iilPiilS8_bb ; -- Begin function _ZN9rocsolver6v33100L18getri_kernel_smallILi51E19rocblas_complex_numIfEPKPS3_EEvT1_iilPiilS8_bb
	.p2align	8
	.type	_ZN9rocsolver6v33100L18getri_kernel_smallILi51E19rocblas_complex_numIfEPKPS3_EEvT1_iilPiilS8_bb,@function
_ZN9rocsolver6v33100L18getri_kernel_smallILi51E19rocblas_complex_numIfEPKPS3_EEvT1_iilPiilS8_bb: ; @_ZN9rocsolver6v33100L18getri_kernel_smallILi51E19rocblas_complex_numIfEPKPS3_EEvT1_iilPiilS8_bb
; %bb.0:
	s_mov_b32 s2, exec_lo
	v_cmpx_gt_u32_e32 51, v0
	s_cbranch_execz .LBB114_218
; %bb.1:
	s_clause 0x1
	s_load_b32 s13, s[0:1], 0x38
	s_load_b64 s[2:3], s[0:1], 0x0
	s_mov_b32 s8, ttmp9
	s_load_b128 s[4:7], s[0:1], 0x28
	s_wait_kmcnt 0x0
	s_bitcmp1_b32 s13, 8
	s_cselect_b32 s12, -1, 0
	s_ashr_i32 s9, ttmp9, 31
	s_delay_alu instid0(SALU_CYCLE_1) | instskip(NEXT) | instid1(SALU_CYCLE_1)
	s_lshl_b64 s[10:11], s[8:9], 3
	s_add_nc_u64 s[2:3], s[2:3], s[10:11]
	s_load_b64 s[10:11], s[2:3], 0x0
	s_bfe_u32 s2, s13, 0x10008
	s_delay_alu instid0(SALU_CYCLE_1)
	s_cmp_eq_u32 s2, 0
                                        ; implicit-def: $sgpr2_sgpr3
	s_cbranch_scc1 .LBB114_3
; %bb.2:
	s_load_b96 s[16:18], s[0:1], 0x18
	s_mul_u64 s[2:3], s[4:5], s[8:9]
	s_delay_alu instid0(SALU_CYCLE_1)
	s_lshl_b64 s[2:3], s[2:3], 2
	s_wait_kmcnt 0x0
	s_ashr_i32 s5, s18, 31
	s_mov_b32 s4, s18
	s_add_nc_u64 s[2:3], s[16:17], s[2:3]
	s_lshl_b64 s[4:5], s[4:5], 2
	s_delay_alu instid0(SALU_CYCLE_1)
	s_add_nc_u64 s[2:3], s[2:3], s[4:5]
.LBB114_3:
	s_clause 0x1
	s_load_b64 s[4:5], s[0:1], 0x8
	s_load_b32 s13, s[0:1], 0x38
	v_lshlrev_b32_e32 v7, 3, v0
	s_wait_kmcnt 0x0
	s_ashr_i32 s1, s4, 31
	s_mov_b32 s0, s4
	v_add3_u32 v3, s5, s5, v0
	s_lshl_b64 s[0:1], s[0:1], 3
	s_delay_alu instid0(SALU_CYCLE_1)
	s_add_nc_u64 s[0:1], s[10:11], s[0:1]
	s_ashr_i32 s11, s5, 31
	v_add_co_u32 v24, s4, s0, v7
	s_wait_alu 0xf1ff
	v_add_co_ci_u32_e64 v25, null, s1, 0, s4
	s_mov_b32 s10, s5
	v_ashrrev_i32_e32 v4, 31, v3
	s_lshl_b64 s[10:11], s[10:11], 3
	flat_load_b64 v[1:2], v[24:25]
	v_add_co_u32 v26, vcc_lo, v24, s10
	s_delay_alu instid0(VALU_DEP_1) | instskip(SKIP_3) | instid1(VALU_DEP_2)
	v_add_co_ci_u32_e64 v27, null, s11, v25, vcc_lo
	v_lshlrev_b64_e32 v[4:5], 3, v[3:4]
	v_add_nc_u32_e32 v3, s5, v3
	s_bitcmp0_b32 s13, 0
	v_add_co_u32 v28, vcc_lo, s0, v4
	s_wait_alu 0xfffd
	s_delay_alu instid0(VALU_DEP_3) | instskip(SKIP_1) | instid1(VALU_DEP_1)
	v_add_co_ci_u32_e64 v29, null, s1, v5, vcc_lo
	v_ashrrev_i32_e32 v4, 31, v3
	v_lshlrev_b64_e32 v[4:5], 3, v[3:4]
	v_add_nc_u32_e32 v3, s5, v3
	s_delay_alu instid0(VALU_DEP_2) | instskip(SKIP_1) | instid1(VALU_DEP_3)
	v_add_co_u32 v30, vcc_lo, s0, v4
	s_wait_alu 0xfffd
	v_add_co_ci_u32_e64 v31, null, s1, v5, vcc_lo
	s_delay_alu instid0(VALU_DEP_3) | instskip(NEXT) | instid1(VALU_DEP_1)
	v_ashrrev_i32_e32 v4, 31, v3
	v_lshlrev_b64_e32 v[4:5], 3, v[3:4]
	v_add_nc_u32_e32 v3, s5, v3
	s_delay_alu instid0(VALU_DEP_2) | instskip(SKIP_1) | instid1(VALU_DEP_3)
	v_add_co_u32 v32, vcc_lo, s0, v4
	s_wait_alu 0xfffd
	v_add_co_ci_u32_e64 v33, null, s1, v5, vcc_lo
	s_delay_alu instid0(VALU_DEP_3) | instskip(NEXT) | instid1(VALU_DEP_1)
	;; [unrolled: 8-line block ×20, first 2 shown]
	v_ashrrev_i32_e32 v4, 31, v3
	v_lshlrev_b64_e32 v[4:5], 3, v[3:4]
	s_wait_loadcnt_dscnt 0x0
	scratch_store_b64 off, v[1:2], off
	flat_load_b64 v[1:2], v[26:27]
	v_add_nc_u32_e32 v3, s5, v3
	v_add_co_u32 v70, vcc_lo, s0, v4
	s_wait_alu 0xfffd
	v_add_co_ci_u32_e64 v71, null, s1, v5, vcc_lo
	s_delay_alu instid0(VALU_DEP_3) | instskip(NEXT) | instid1(VALU_DEP_1)
	v_ashrrev_i32_e32 v4, 31, v3
	v_lshlrev_b64_e32 v[4:5], 3, v[3:4]
	v_add_nc_u32_e32 v3, s5, v3
	s_delay_alu instid0(VALU_DEP_2) | instskip(SKIP_1) | instid1(VALU_DEP_3)
	v_add_co_u32 v72, vcc_lo, s0, v4
	s_wait_alu 0xfffd
	v_add_co_ci_u32_e64 v73, null, s1, v5, vcc_lo
	s_delay_alu instid0(VALU_DEP_3) | instskip(NEXT) | instid1(VALU_DEP_1)
	v_ashrrev_i32_e32 v4, 31, v3
	v_lshlrev_b64_e32 v[4:5], 3, v[3:4]
	v_add_nc_u32_e32 v3, s5, v3
	s_delay_alu instid0(VALU_DEP_2) | instskip(SKIP_1) | instid1(VALU_DEP_3)
	;; [unrolled: 8-line block ×20, first 2 shown]
	v_add_co_u32 v110, vcc_lo, s0, v4
	s_wait_alu 0xfffd
	v_add_co_ci_u32_e64 v111, null, s1, v5, vcc_lo
	s_delay_alu instid0(VALU_DEP_3) | instskip(NEXT) | instid1(VALU_DEP_1)
	v_ashrrev_i32_e32 v4, 31, v3
	v_lshlrev_b64_e32 v[4:5], 3, v[3:4]
	v_add_nc_u32_e32 v3, s5, v3
	s_delay_alu instid0(VALU_DEP_2)
	v_add_co_u32 v112, vcc_lo, s0, v4
	s_wait_loadcnt_dscnt 0x0
	scratch_store_b64 off, v[1:2], off offset:8
	flat_load_b64 v[1:2], v[28:29]
	s_wait_alu 0xfffd
	v_add_co_ci_u32_e64 v113, null, s1, v5, vcc_lo
	v_ashrrev_i32_e32 v4, 31, v3
	s_delay_alu instid0(VALU_DEP_1) | instskip(SKIP_1) | instid1(VALU_DEP_2)
	v_lshlrev_b64_e32 v[4:5], 3, v[3:4]
	v_add_nc_u32_e32 v3, s5, v3
	v_add_co_u32 v114, vcc_lo, s0, v4
	s_wait_alu 0xfffd
	s_delay_alu instid0(VALU_DEP_3) | instskip(NEXT) | instid1(VALU_DEP_3)
	v_add_co_ci_u32_e64 v115, null, s1, v5, vcc_lo
	v_ashrrev_i32_e32 v4, 31, v3
	s_delay_alu instid0(VALU_DEP_1) | instskip(SKIP_1) | instid1(VALU_DEP_2)
	v_lshlrev_b64_e32 v[4:5], 3, v[3:4]
	v_add_nc_u32_e32 v3, s5, v3
	v_add_co_u32 v116, vcc_lo, s0, v4
	s_wait_alu 0xfffd
	s_delay_alu instid0(VALU_DEP_3) | instskip(NEXT) | instid1(VALU_DEP_3)
	;; [unrolled: 8-line block ×5, first 2 shown]
	v_add_co_ci_u32_e64 v123, null, s1, v5, vcc_lo
	v_ashrrev_i32_e32 v4, 31, v3
	s_delay_alu instid0(VALU_DEP_1) | instskip(NEXT) | instid1(VALU_DEP_1)
	v_lshlrev_b64_e32 v[3:4], 3, v[3:4]
	v_add_co_u32 v124, vcc_lo, s0, v3
	s_wait_alu 0xfffd
	s_delay_alu instid0(VALU_DEP_2)
	v_add_co_ci_u32_e64 v125, null, s1, v4, vcc_lo
	s_mov_b32 s1, -1
	s_wait_loadcnt_dscnt 0x0
	scratch_store_b64 off, v[1:2], off offset:16
	flat_load_b64 v[1:2], v[30:31]
	s_wait_loadcnt_dscnt 0x0
	scratch_store_b64 off, v[1:2], off offset:24
	flat_load_b64 v[1:2], v[32:33]
	;; [unrolled: 3-line block ×48, first 2 shown]
	s_wait_loadcnt_dscnt 0x0
	scratch_store_b64 off, v[1:2], off offset:400
	s_cbranch_scc1 .LBB114_216
; %bb.4:
	v_cmp_eq_u32_e64 s0, 0, v0
	s_and_saveexec_b32 s1, s0
; %bb.5:
	v_mov_b32_e32 v1, 0
	ds_store_b32 v1, v1 offset:408
; %bb.6:
	s_wait_alu 0xfffe
	s_or_b32 exec_lo, exec_lo, s1
	s_wait_storecnt_dscnt 0x0
	s_barrier_signal -1
	s_barrier_wait -1
	global_inv scope:SCOPE_SE
	scratch_load_b64 v[1:2], v7, off
	s_wait_loadcnt 0x0
	v_cmp_eq_f32_e32 vcc_lo, 0, v1
	v_cmp_eq_f32_e64 s1, 0, v2
	s_and_b32 s1, vcc_lo, s1
	s_wait_alu 0xfffe
	s_and_saveexec_b32 s4, s1
	s_cbranch_execz .LBB114_10
; %bb.7:
	v_mov_b32_e32 v1, 0
	s_mov_b32 s5, 0
	ds_load_b32 v2, v1 offset:408
	s_wait_dscnt 0x0
	v_readfirstlane_b32 s1, v2
	v_add_nc_u32_e32 v2, 1, v0
	s_cmp_eq_u32 s1, 0
	s_delay_alu instid0(VALU_DEP_1)
	v_cmp_gt_i32_e32 vcc_lo, s1, v2
	s_cselect_b32 s10, -1, 0
	s_wait_alu 0xfffe
	s_or_b32 s10, s10, vcc_lo
	s_wait_alu 0xfffe
	s_and_b32 exec_lo, exec_lo, s10
	s_cbranch_execz .LBB114_10
; %bb.8:
	v_mov_b32_e32 v3, s1
.LBB114_9:                              ; =>This Inner Loop Header: Depth=1
	ds_cmpstore_rtn_b32 v3, v1, v2, v3 offset:408
	s_wait_dscnt 0x0
	v_cmp_ne_u32_e32 vcc_lo, 0, v3
	v_cmp_le_i32_e64 s1, v3, v2
	s_and_b32 s1, vcc_lo, s1
	s_wait_alu 0xfffe
	s_and_b32 s1, exec_lo, s1
	s_wait_alu 0xfffe
	s_or_b32 s5, s1, s5
	s_wait_alu 0xfffe
	s_and_not1_b32 exec_lo, exec_lo, s5
	s_cbranch_execnz .LBB114_9
.LBB114_10:
	s_wait_alu 0xfffe
	s_or_b32 exec_lo, exec_lo, s4
	v_mov_b32_e32 v1, 0
	s_barrier_signal -1
	s_barrier_wait -1
	global_inv scope:SCOPE_SE
	ds_load_b32 v2, v1 offset:408
	s_and_saveexec_b32 s1, s0
	s_cbranch_execz .LBB114_12
; %bb.11:
	s_lshl_b64 s[4:5], s[8:9], 2
	s_wait_alu 0xfffe
	s_add_nc_u64 s[4:5], s[6:7], s[4:5]
	s_wait_dscnt 0x0
	global_store_b32 v1, v2, s[4:5]
.LBB114_12:
	s_wait_alu 0xfffe
	s_or_b32 exec_lo, exec_lo, s1
	s_wait_dscnt 0x0
	v_cmp_ne_u32_e32 vcc_lo, 0, v2
	s_mov_b32 s1, 0
	s_cbranch_vccnz .LBB114_216
; %bb.13:
	v_mov_b32_e32 v8, v7
                                        ; implicit-def: $vgpr3
                                        ; implicit-def: $vgpr5
	scratch_load_b64 v[1:2], v8, off
	s_wait_loadcnt 0x0
	v_cmp_ngt_f32_e64 s1, |v1|, |v2|
	s_wait_alu 0xfffe
	s_and_saveexec_b32 s4, s1
	s_wait_alu 0xfffe
	s_xor_b32 s1, exec_lo, s4
	s_cbranch_execz .LBB114_15
; %bb.14:
	v_div_scale_f32 v3, null, v2, v2, v1
	v_div_scale_f32 v6, vcc_lo, v1, v2, v1
	s_delay_alu instid0(VALU_DEP_2) | instskip(NEXT) | instid1(TRANS32_DEP_1)
	v_rcp_f32_e32 v4, v3
	v_fma_f32 v5, -v3, v4, 1.0
	s_delay_alu instid0(VALU_DEP_1) | instskip(NEXT) | instid1(VALU_DEP_1)
	v_fmac_f32_e32 v4, v5, v4
	v_mul_f32_e32 v5, v6, v4
	s_delay_alu instid0(VALU_DEP_1) | instskip(NEXT) | instid1(VALU_DEP_1)
	v_fma_f32 v9, -v3, v5, v6
	v_fmac_f32_e32 v5, v9, v4
	s_delay_alu instid0(VALU_DEP_1) | instskip(SKIP_1) | instid1(VALU_DEP_1)
	v_fma_f32 v3, -v3, v5, v6
	s_wait_alu 0xfffd
	v_div_fmas_f32 v3, v3, v4, v5
	s_delay_alu instid0(VALU_DEP_1) | instskip(NEXT) | instid1(VALU_DEP_1)
	v_div_fixup_f32 v3, v3, v2, v1
	v_fmac_f32_e32 v2, v1, v3
	s_delay_alu instid0(VALU_DEP_1) | instskip(NEXT) | instid1(VALU_DEP_1)
	v_div_scale_f32 v1, null, v2, v2, 1.0
	v_rcp_f32_e32 v4, v1
	s_delay_alu instid0(TRANS32_DEP_1) | instskip(NEXT) | instid1(VALU_DEP_1)
	v_fma_f32 v5, -v1, v4, 1.0
	v_fmac_f32_e32 v4, v5, v4
	v_div_scale_f32 v5, vcc_lo, 1.0, v2, 1.0
	s_delay_alu instid0(VALU_DEP_1) | instskip(NEXT) | instid1(VALU_DEP_1)
	v_mul_f32_e32 v6, v5, v4
	v_fma_f32 v9, -v1, v6, v5
	s_delay_alu instid0(VALU_DEP_1) | instskip(NEXT) | instid1(VALU_DEP_1)
	v_fmac_f32_e32 v6, v9, v4
	v_fma_f32 v1, -v1, v6, v5
	s_wait_alu 0xfffd
	s_delay_alu instid0(VALU_DEP_1) | instskip(NEXT) | instid1(VALU_DEP_1)
	v_div_fmas_f32 v1, v1, v4, v6
	v_div_fixup_f32 v1, v1, v2, 1.0
	s_delay_alu instid0(VALU_DEP_1) | instskip(SKIP_1) | instid1(VALU_DEP_2)
	v_mul_f32_e32 v3, v3, v1
	v_xor_b32_e32 v4, 0x80000000, v1
                                        ; implicit-def: $vgpr1_vgpr2
	v_xor_b32_e32 v5, 0x80000000, v3
.LBB114_15:
	s_wait_alu 0xfffe
	s_and_not1_saveexec_b32 s1, s1
	s_cbranch_execz .LBB114_17
; %bb.16:
	v_div_scale_f32 v3, null, v1, v1, v2
	v_div_scale_f32 v6, vcc_lo, v2, v1, v2
	s_delay_alu instid0(VALU_DEP_2) | instskip(NEXT) | instid1(TRANS32_DEP_1)
	v_rcp_f32_e32 v4, v3
	v_fma_f32 v5, -v3, v4, 1.0
	s_delay_alu instid0(VALU_DEP_1) | instskip(NEXT) | instid1(VALU_DEP_1)
	v_fmac_f32_e32 v4, v5, v4
	v_mul_f32_e32 v5, v6, v4
	s_delay_alu instid0(VALU_DEP_1) | instskip(NEXT) | instid1(VALU_DEP_1)
	v_fma_f32 v9, -v3, v5, v6
	v_fmac_f32_e32 v5, v9, v4
	s_delay_alu instid0(VALU_DEP_1) | instskip(SKIP_1) | instid1(VALU_DEP_1)
	v_fma_f32 v3, -v3, v5, v6
	s_wait_alu 0xfffd
	v_div_fmas_f32 v3, v3, v4, v5
	s_delay_alu instid0(VALU_DEP_1) | instskip(NEXT) | instid1(VALU_DEP_1)
	v_div_fixup_f32 v4, v3, v1, v2
	v_fmac_f32_e32 v1, v2, v4
	s_delay_alu instid0(VALU_DEP_1) | instskip(SKIP_1) | instid1(VALU_DEP_2)
	v_div_scale_f32 v2, null, v1, v1, 1.0
	v_div_scale_f32 v6, vcc_lo, 1.0, v1, 1.0
	v_rcp_f32_e32 v3, v2
	s_delay_alu instid0(TRANS32_DEP_1) | instskip(NEXT) | instid1(VALU_DEP_1)
	v_fma_f32 v5, -v2, v3, 1.0
	v_fmac_f32_e32 v3, v5, v3
	s_delay_alu instid0(VALU_DEP_1) | instskip(NEXT) | instid1(VALU_DEP_1)
	v_mul_f32_e32 v5, v6, v3
	v_fma_f32 v9, -v2, v5, v6
	s_delay_alu instid0(VALU_DEP_1) | instskip(NEXT) | instid1(VALU_DEP_1)
	v_fmac_f32_e32 v5, v9, v3
	v_fma_f32 v2, -v2, v5, v6
	s_wait_alu 0xfffd
	s_delay_alu instid0(VALU_DEP_1) | instskip(NEXT) | instid1(VALU_DEP_1)
	v_div_fmas_f32 v2, v2, v3, v5
	v_div_fixup_f32 v3, v2, v1, 1.0
	s_delay_alu instid0(VALU_DEP_1)
	v_xor_b32_e32 v5, 0x80000000, v3
	v_mul_f32_e64 v4, v4, -v3
.LBB114_17:
	s_wait_alu 0xfffe
	s_or_b32 exec_lo, exec_lo, s1
	scratch_store_b64 v8, v[3:4], off
	scratch_load_b64 v[2:3], off, off offset:8
	v_xor_b32_e32 v6, 0x80000000, v4
	v_add_nc_u32_e32 v1, 0x1a0, v7
	s_wait_loadcnt 0x0
	ds_store_2addr_b64 v7, v[5:6], v[2:3] offset1:52
	s_wait_storecnt_dscnt 0x0
	s_barrier_signal -1
	s_barrier_wait -1
	global_inv scope:SCOPE_SE
	s_and_saveexec_b32 s1, s0
	s_cbranch_execz .LBB114_19
; %bb.18:
	scratch_load_b64 v[2:3], v8, off
	ds_load_b64 v[4:5], v1
	v_mov_b32_e32 v6, 0
	ds_load_b64 v[9:10], v6 offset:8
	s_wait_loadcnt_dscnt 0x1
	v_mul_f32_e32 v6, v4, v3
	v_mul_f32_e32 v3, v5, v3
	s_delay_alu instid0(VALU_DEP_2) | instskip(NEXT) | instid1(VALU_DEP_2)
	v_fmac_f32_e32 v6, v5, v2
	v_fma_f32 v2, v4, v2, -v3
	s_delay_alu instid0(VALU_DEP_2) | instskip(NEXT) | instid1(VALU_DEP_2)
	v_add_f32_e32 v4, 0, v6
	v_add_f32_e32 v2, 0, v2
	s_wait_dscnt 0x0
	s_delay_alu instid0(VALU_DEP_2) | instskip(NEXT) | instid1(VALU_DEP_2)
	v_mul_f32_e32 v5, v4, v10
	v_mul_f32_e32 v3, v2, v10
	s_delay_alu instid0(VALU_DEP_2) | instskip(NEXT) | instid1(VALU_DEP_2)
	v_fma_f32 v2, v2, v9, -v5
	v_fmac_f32_e32 v3, v4, v9
	scratch_store_b64 off, v[2:3], off offset:8
.LBB114_19:
	s_wait_alu 0xfffe
	s_or_b32 exec_lo, exec_lo, s1
	s_wait_loadcnt 0x0
	s_wait_storecnt 0x0
	s_barrier_signal -1
	s_barrier_wait -1
	global_inv scope:SCOPE_SE
	scratch_load_b64 v[2:3], off, off offset:16
	s_mov_b32 s1, exec_lo
	s_wait_loadcnt 0x0
	ds_store_b64 v1, v[2:3]
	s_wait_dscnt 0x0
	s_barrier_signal -1
	s_barrier_wait -1
	global_inv scope:SCOPE_SE
	v_cmpx_gt_u32_e32 2, v0
	s_cbranch_execz .LBB114_23
; %bb.20:
	scratch_load_b64 v[2:3], v8, off
	ds_load_b64 v[4:5], v1
	s_wait_loadcnt_dscnt 0x0
	v_mul_f32_e32 v6, v5, v3
	v_mul_f32_e32 v9, v4, v3
	s_delay_alu instid0(VALU_DEP_2) | instskip(NEXT) | instid1(VALU_DEP_2)
	v_fma_f32 v3, v4, v2, -v6
	v_fmac_f32_e32 v9, v5, v2
	s_delay_alu instid0(VALU_DEP_1)
	v_dual_add_f32 v3, 0, v3 :: v_dual_add_f32 v2, 0, v9
	s_and_saveexec_b32 s4, s0
	s_cbranch_execz .LBB114_22
; %bb.21:
	scratch_load_b64 v[4:5], off, off offset:8
	v_mov_b32_e32 v6, 0
	ds_load_b64 v[9:10], v6 offset:424
	s_wait_loadcnt_dscnt 0x0
	v_mul_f32_e32 v6, v9, v5
	v_mul_f32_e32 v5, v10, v5
	s_delay_alu instid0(VALU_DEP_2) | instskip(NEXT) | instid1(VALU_DEP_2)
	v_fmac_f32_e32 v6, v10, v4
	v_fma_f32 v4, v9, v4, -v5
	s_delay_alu instid0(VALU_DEP_1)
	v_dual_add_f32 v2, v2, v6 :: v_dual_add_f32 v3, v3, v4
.LBB114_22:
	s_wait_alu 0xfffe
	s_or_b32 exec_lo, exec_lo, s4
	v_mov_b32_e32 v4, 0
	ds_load_b64 v[4:5], v4 offset:16
	s_wait_dscnt 0x0
	v_mul_f32_e32 v9, v2, v5
	v_mul_f32_e32 v6, v3, v5
	s_delay_alu instid0(VALU_DEP_2) | instskip(NEXT) | instid1(VALU_DEP_2)
	v_fma_f32 v5, v3, v4, -v9
	v_fmac_f32_e32 v6, v2, v4
	scratch_store_b64 off, v[5:6], off offset:16
.LBB114_23:
	s_wait_alu 0xfffe
	s_or_b32 exec_lo, exec_lo, s1
	s_wait_loadcnt 0x0
	s_wait_storecnt 0x0
	s_barrier_signal -1
	s_barrier_wait -1
	global_inv scope:SCOPE_SE
	scratch_load_b64 v[3:4], off, off offset:24
	v_add_nc_u32_e32 v2, -1, v0
	s_mov_b32 s0, exec_lo
	s_wait_loadcnt 0x0
	ds_store_b64 v1, v[3:4]
	s_wait_dscnt 0x0
	s_barrier_signal -1
	s_barrier_wait -1
	global_inv scope:SCOPE_SE
	v_cmpx_gt_u32_e32 3, v0
	s_cbranch_execz .LBB114_27
; %bb.24:
	v_dual_mov_b32 v3, 0 :: v_dual_add_nc_u32 v4, -1, v0
	v_dual_mov_b32 v6, v7 :: v_dual_add_nc_u32 v5, 0x1a0, v7
	v_mov_b32_e32 v9, 0
	s_mov_b32 s1, 0
.LBB114_25:                             ; =>This Inner Loop Header: Depth=1
	scratch_load_b64 v[10:11], v6, off
	ds_load_b64 v[12:13], v5
	v_add_nc_u32_e32 v4, 1, v4
	v_add_nc_u32_e32 v5, 8, v5
	s_delay_alu instid0(VALU_DEP_2)
	v_cmp_lt_u32_e32 vcc_lo, 1, v4
	s_wait_alu 0xfffe
	s_or_b32 s1, vcc_lo, s1
	s_wait_loadcnt_dscnt 0x0
	v_mul_f32_e32 v14, v13, v11
	v_mul_f32_e32 v11, v12, v11
	s_delay_alu instid0(VALU_DEP_2) | instskip(NEXT) | instid1(VALU_DEP_2)
	v_fma_f32 v12, v12, v10, -v14
	v_fmac_f32_e32 v11, v13, v10
	s_delay_alu instid0(VALU_DEP_2) | instskip(NEXT) | instid1(VALU_DEP_2)
	v_dual_add_f32 v9, v9, v12 :: v_dual_add_nc_u32 v6, 8, v6
	v_add_f32_e32 v3, v3, v11
	s_wait_alu 0xfffe
	s_and_not1_b32 exec_lo, exec_lo, s1
	s_cbranch_execnz .LBB114_25
; %bb.26:
	s_or_b32 exec_lo, exec_lo, s1
	v_mov_b32_e32 v4, 0
	ds_load_b64 v[4:5], v4 offset:24
	s_wait_dscnt 0x0
	v_mul_f32_e32 v10, v3, v5
	v_mul_f32_e32 v6, v9, v5
	s_delay_alu instid0(VALU_DEP_2) | instskip(NEXT) | instid1(VALU_DEP_2)
	v_fma_f32 v5, v9, v4, -v10
	v_fmac_f32_e32 v6, v3, v4
	scratch_store_b64 off, v[5:6], off offset:24
.LBB114_27:
	s_wait_alu 0xfffe
	s_or_b32 exec_lo, exec_lo, s0
	s_wait_loadcnt 0x0
	s_wait_storecnt 0x0
	s_barrier_signal -1
	s_barrier_wait -1
	global_inv scope:SCOPE_SE
	scratch_load_b64 v[3:4], off, off offset:32
	s_mov_b32 s0, exec_lo
	s_wait_loadcnt 0x0
	ds_store_b64 v1, v[3:4]
	s_wait_dscnt 0x0
	s_barrier_signal -1
	s_barrier_wait -1
	global_inv scope:SCOPE_SE
	v_cmpx_gt_u32_e32 4, v0
	s_cbranch_execz .LBB114_31
; %bb.28:
	v_dual_mov_b32 v3, 0 :: v_dual_add_nc_u32 v4, -1, v0
	v_dual_mov_b32 v6, v7 :: v_dual_add_nc_u32 v5, 0x1a0, v7
	v_mov_b32_e32 v9, 0
	s_mov_b32 s1, 0
.LBB114_29:                             ; =>This Inner Loop Header: Depth=1
	scratch_load_b64 v[10:11], v6, off
	ds_load_b64 v[12:13], v5
	v_add_nc_u32_e32 v4, 1, v4
	v_add_nc_u32_e32 v5, 8, v5
	s_delay_alu instid0(VALU_DEP_2)
	v_cmp_lt_u32_e32 vcc_lo, 2, v4
	s_wait_alu 0xfffe
	s_or_b32 s1, vcc_lo, s1
	s_wait_loadcnt_dscnt 0x0
	v_mul_f32_e32 v14, v13, v11
	v_mul_f32_e32 v11, v12, v11
	s_delay_alu instid0(VALU_DEP_2) | instskip(NEXT) | instid1(VALU_DEP_2)
	v_fma_f32 v12, v12, v10, -v14
	v_fmac_f32_e32 v11, v13, v10
	s_delay_alu instid0(VALU_DEP_2) | instskip(NEXT) | instid1(VALU_DEP_2)
	v_dual_add_f32 v9, v9, v12 :: v_dual_add_nc_u32 v6, 8, v6
	v_add_f32_e32 v3, v3, v11
	s_wait_alu 0xfffe
	s_and_not1_b32 exec_lo, exec_lo, s1
	s_cbranch_execnz .LBB114_29
; %bb.30:
	s_or_b32 exec_lo, exec_lo, s1
	v_mov_b32_e32 v4, 0
	ds_load_b64 v[4:5], v4 offset:32
	s_wait_dscnt 0x0
	v_mul_f32_e32 v10, v3, v5
	v_mul_f32_e32 v6, v9, v5
	s_delay_alu instid0(VALU_DEP_2) | instskip(NEXT) | instid1(VALU_DEP_2)
	v_fma_f32 v5, v9, v4, -v10
	v_fmac_f32_e32 v6, v3, v4
	scratch_store_b64 off, v[5:6], off offset:32
.LBB114_31:
	s_wait_alu 0xfffe
	s_or_b32 exec_lo, exec_lo, s0
	s_wait_loadcnt 0x0
	s_wait_storecnt 0x0
	s_barrier_signal -1
	s_barrier_wait -1
	global_inv scope:SCOPE_SE
	scratch_load_b64 v[3:4], off, off offset:40
	;; [unrolled: 55-line block ×19, first 2 shown]
	s_mov_b32 s0, exec_lo
	s_wait_loadcnt 0x0
	ds_store_b64 v1, v[3:4]
	s_wait_dscnt 0x0
	s_barrier_signal -1
	s_barrier_wait -1
	global_inv scope:SCOPE_SE
	v_cmpx_gt_u32_e32 22, v0
	s_cbranch_execz .LBB114_103
; %bb.100:
	v_dual_mov_b32 v3, 0 :: v_dual_add_nc_u32 v4, -1, v0
	v_dual_mov_b32 v6, v7 :: v_dual_add_nc_u32 v5, 0x1a0, v7
	v_mov_b32_e32 v9, 0
	s_mov_b32 s1, 0
.LBB114_101:                            ; =>This Inner Loop Header: Depth=1
	scratch_load_b64 v[10:11], v6, off
	ds_load_b64 v[12:13], v5
	v_add_nc_u32_e32 v4, 1, v4
	v_add_nc_u32_e32 v5, 8, v5
	s_delay_alu instid0(VALU_DEP_2)
	v_cmp_lt_u32_e32 vcc_lo, 20, v4
	s_wait_alu 0xfffe
	s_or_b32 s1, vcc_lo, s1
	s_wait_loadcnt_dscnt 0x0
	v_mul_f32_e32 v14, v13, v11
	v_mul_f32_e32 v11, v12, v11
	s_delay_alu instid0(VALU_DEP_2) | instskip(NEXT) | instid1(VALU_DEP_2)
	v_fma_f32 v12, v12, v10, -v14
	v_fmac_f32_e32 v11, v13, v10
	s_delay_alu instid0(VALU_DEP_2) | instskip(NEXT) | instid1(VALU_DEP_2)
	v_dual_add_f32 v9, v9, v12 :: v_dual_add_nc_u32 v6, 8, v6
	v_add_f32_e32 v3, v3, v11
	s_wait_alu 0xfffe
	s_and_not1_b32 exec_lo, exec_lo, s1
	s_cbranch_execnz .LBB114_101
; %bb.102:
	s_or_b32 exec_lo, exec_lo, s1
	v_mov_b32_e32 v4, 0
	ds_load_b64 v[4:5], v4 offset:176
	s_wait_dscnt 0x0
	v_mul_f32_e32 v10, v3, v5
	v_mul_f32_e32 v6, v9, v5
	s_delay_alu instid0(VALU_DEP_2) | instskip(NEXT) | instid1(VALU_DEP_2)
	v_fma_f32 v5, v9, v4, -v10
	v_fmac_f32_e32 v6, v3, v4
	scratch_store_b64 off, v[5:6], off offset:176
.LBB114_103:
	s_wait_alu 0xfffe
	s_or_b32 exec_lo, exec_lo, s0
	s_wait_loadcnt 0x0
	s_wait_storecnt 0x0
	s_barrier_signal -1
	s_barrier_wait -1
	global_inv scope:SCOPE_SE
	scratch_load_b64 v[3:4], off, off offset:184
	s_mov_b32 s0, exec_lo
	s_wait_loadcnt 0x0
	ds_store_b64 v1, v[3:4]
	s_wait_dscnt 0x0
	s_barrier_signal -1
	s_barrier_wait -1
	global_inv scope:SCOPE_SE
	v_cmpx_gt_u32_e32 23, v0
	s_cbranch_execz .LBB114_107
; %bb.104:
	v_dual_mov_b32 v3, 0 :: v_dual_add_nc_u32 v4, -1, v0
	v_dual_mov_b32 v6, v7 :: v_dual_add_nc_u32 v5, 0x1a0, v7
	v_mov_b32_e32 v9, 0
	s_mov_b32 s1, 0
.LBB114_105:                            ; =>This Inner Loop Header: Depth=1
	scratch_load_b64 v[10:11], v6, off
	ds_load_b64 v[12:13], v5
	v_add_nc_u32_e32 v4, 1, v4
	v_add_nc_u32_e32 v5, 8, v5
	s_delay_alu instid0(VALU_DEP_2)
	v_cmp_lt_u32_e32 vcc_lo, 21, v4
	s_wait_alu 0xfffe
	s_or_b32 s1, vcc_lo, s1
	s_wait_loadcnt_dscnt 0x0
	v_mul_f32_e32 v14, v13, v11
	v_mul_f32_e32 v11, v12, v11
	s_delay_alu instid0(VALU_DEP_2) | instskip(NEXT) | instid1(VALU_DEP_2)
	v_fma_f32 v12, v12, v10, -v14
	v_fmac_f32_e32 v11, v13, v10
	s_delay_alu instid0(VALU_DEP_2) | instskip(NEXT) | instid1(VALU_DEP_2)
	v_dual_add_f32 v9, v9, v12 :: v_dual_add_nc_u32 v6, 8, v6
	v_add_f32_e32 v3, v3, v11
	s_wait_alu 0xfffe
	s_and_not1_b32 exec_lo, exec_lo, s1
	s_cbranch_execnz .LBB114_105
; %bb.106:
	s_or_b32 exec_lo, exec_lo, s1
	v_mov_b32_e32 v4, 0
	ds_load_b64 v[4:5], v4 offset:184
	s_wait_dscnt 0x0
	v_mul_f32_e32 v10, v3, v5
	v_mul_f32_e32 v6, v9, v5
	s_delay_alu instid0(VALU_DEP_2) | instskip(NEXT) | instid1(VALU_DEP_2)
	v_fma_f32 v5, v9, v4, -v10
	v_fmac_f32_e32 v6, v3, v4
	scratch_store_b64 off, v[5:6], off offset:184
.LBB114_107:
	s_wait_alu 0xfffe
	s_or_b32 exec_lo, exec_lo, s0
	s_wait_loadcnt 0x0
	s_wait_storecnt 0x0
	s_barrier_signal -1
	s_barrier_wait -1
	global_inv scope:SCOPE_SE
	scratch_load_b64 v[3:4], off, off offset:192
	;; [unrolled: 55-line block ×27, first 2 shown]
	s_mov_b32 s0, exec_lo
	s_wait_loadcnt 0x0
	ds_store_b64 v1, v[3:4]
	s_wait_dscnt 0x0
	s_barrier_signal -1
	s_barrier_wait -1
	global_inv scope:SCOPE_SE
	v_cmpx_gt_u32_e32 49, v0
	s_cbranch_execz .LBB114_211
; %bb.208:
	v_dual_mov_b32 v3, 0 :: v_dual_add_nc_u32 v4, -1, v0
	v_dual_mov_b32 v6, v7 :: v_dual_add_nc_u32 v5, 0x1a0, v7
	v_mov_b32_e32 v7, 0
	s_mov_b32 s1, 0
.LBB114_209:                            ; =>This Inner Loop Header: Depth=1
	scratch_load_b64 v[9:10], v6, off
	ds_load_b64 v[11:12], v5
	v_add_nc_u32_e32 v6, 8, v6
	v_add_nc_u32_e32 v4, 1, v4
	;; [unrolled: 1-line block ×3, first 2 shown]
	s_delay_alu instid0(VALU_DEP_2)
	v_cmp_lt_u32_e32 vcc_lo, 47, v4
	s_wait_alu 0xfffe
	s_or_b32 s1, vcc_lo, s1
	s_wait_loadcnt_dscnt 0x0
	v_mul_f32_e32 v13, v12, v10
	v_mul_f32_e32 v10, v11, v10
	s_delay_alu instid0(VALU_DEP_2) | instskip(NEXT) | instid1(VALU_DEP_1)
	v_fma_f32 v11, v11, v9, -v13
	v_dual_fmac_f32 v10, v12, v9 :: v_dual_add_f32 v7, v7, v11
	s_delay_alu instid0(VALU_DEP_1)
	v_add_f32_e32 v3, v3, v10
	s_wait_alu 0xfffe
	s_and_not1_b32 exec_lo, exec_lo, s1
	s_cbranch_execnz .LBB114_209
; %bb.210:
	s_or_b32 exec_lo, exec_lo, s1
	v_mov_b32_e32 v4, 0
	ds_load_b64 v[4:5], v4 offset:392
	s_wait_dscnt 0x0
	v_mul_f32_e32 v9, v3, v5
	v_mul_f32_e32 v6, v7, v5
	s_delay_alu instid0(VALU_DEP_2) | instskip(NEXT) | instid1(VALU_DEP_2)
	v_fma_f32 v5, v7, v4, -v9
	v_fmac_f32_e32 v6, v3, v4
	scratch_store_b64 off, v[5:6], off offset:392
.LBB114_211:
	s_wait_alu 0xfffe
	s_or_b32 exec_lo, exec_lo, s0
	s_wait_loadcnt 0x0
	s_wait_storecnt 0x0
	s_barrier_signal -1
	s_barrier_wait -1
	global_inv scope:SCOPE_SE
	scratch_load_b64 v[3:4], off, off offset:400
	s_mov_b32 s0, exec_lo
	s_wait_loadcnt 0x0
	ds_store_b64 v1, v[3:4]
	s_wait_dscnt 0x0
	s_barrier_signal -1
	s_barrier_wait -1
	global_inv scope:SCOPE_SE
	v_cmpx_ne_u32_e32 50, v0
	s_cbranch_execz .LBB114_215
; %bb.212:
	v_dual_mov_b32 v3, 0 :: v_dual_mov_b32 v4, 0
	s_mov_b32 s1, 0
.LBB114_213:                            ; =>This Inner Loop Header: Depth=1
	scratch_load_b64 v[5:6], v8, off
	ds_load_b64 v[9:10], v1
	v_add_nc_u32_e32 v2, 1, v2
	v_add_nc_u32_e32 v1, 8, v1
	;; [unrolled: 1-line block ×3, first 2 shown]
	s_delay_alu instid0(VALU_DEP_3)
	v_cmp_lt_u32_e32 vcc_lo, 48, v2
	s_wait_alu 0xfffe
	s_or_b32 s1, vcc_lo, s1
	s_wait_loadcnt_dscnt 0x0
	v_mul_f32_e32 v7, v10, v6
	v_mul_f32_e32 v6, v9, v6
	s_delay_alu instid0(VALU_DEP_2) | instskip(NEXT) | instid1(VALU_DEP_2)
	v_fma_f32 v7, v9, v5, -v7
	v_fmac_f32_e32 v6, v10, v5
	s_delay_alu instid0(VALU_DEP_1)
	v_dual_add_f32 v4, v4, v7 :: v_dual_add_f32 v3, v3, v6
	s_wait_alu 0xfffe
	s_and_not1_b32 exec_lo, exec_lo, s1
	s_cbranch_execnz .LBB114_213
; %bb.214:
	s_or_b32 exec_lo, exec_lo, s1
	v_mov_b32_e32 v1, 0
	ds_load_b64 v[1:2], v1 offset:400
	s_wait_dscnt 0x0
	v_mul_f32_e32 v6, v3, v2
	v_mul_f32_e32 v5, v4, v2
	s_delay_alu instid0(VALU_DEP_2) | instskip(NEXT) | instid1(VALU_DEP_2)
	v_fma_f32 v4, v4, v1, -v6
	v_fmac_f32_e32 v5, v3, v1
	scratch_store_b64 off, v[4:5], off offset:400
.LBB114_215:
	s_wait_alu 0xfffe
	s_or_b32 exec_lo, exec_lo, s0
	s_mov_b32 s1, -1
	s_wait_loadcnt 0x0
	s_wait_storecnt 0x0
	s_barrier_signal -1
	s_barrier_wait -1
	global_inv scope:SCOPE_SE
.LBB114_216:
	s_wait_alu 0xfffe
	s_and_b32 vcc_lo, exec_lo, s1
	s_wait_alu 0xfffe
	s_cbranch_vccz .LBB114_218
; %bb.217:
	v_mov_b32_e32 v1, 0
	s_lshl_b64 s[0:1], s[8:9], 2
	s_wait_alu 0xfffe
	s_add_nc_u64 s[0:1], s[6:7], s[0:1]
	global_load_b32 v1, v1, s[0:1]
	s_wait_loadcnt 0x0
	v_cmp_ne_u32_e32 vcc_lo, 0, v1
	s_cbranch_vccz .LBB114_219
.LBB114_218:
	s_nop 0
	s_sendmsg sendmsg(MSG_DEALLOC_VGPRS)
	s_endpgm
.LBB114_219:
	v_lshl_add_u32 v23, v0, 3, 0x1a0
	s_mov_b32 s0, exec_lo
	v_cmpx_eq_u32_e32 50, v0
	s_cbranch_execz .LBB114_221
; %bb.220:
	scratch_load_b64 v[1:2], off, off offset:392
	v_mov_b32_e32 v3, 0
	s_delay_alu instid0(VALU_DEP_1)
	v_mov_b32_e32 v4, v3
	scratch_store_b64 off, v[3:4], off offset:392
	s_wait_loadcnt 0x0
	ds_store_b64 v23, v[1:2]
.LBB114_221:
	s_wait_alu 0xfffe
	s_or_b32 exec_lo, exec_lo, s0
	s_wait_storecnt_dscnt 0x0
	s_barrier_signal -1
	s_barrier_wait -1
	global_inv scope:SCOPE_SE
	s_clause 0x1
	scratch_load_b64 v[2:3], off, off offset:400
	scratch_load_b64 v[4:5], off, off offset:392
	v_mov_b32_e32 v1, 0
	s_mov_b32 s0, exec_lo
	ds_load_b64 v[6:7], v1 offset:816
	s_wait_loadcnt_dscnt 0x100
	v_mul_f32_e32 v8, v7, v3
	v_mul_f32_e32 v3, v6, v3
	s_delay_alu instid0(VALU_DEP_2) | instskip(NEXT) | instid1(VALU_DEP_2)
	v_fma_f32 v6, v6, v2, -v8
	v_fmac_f32_e32 v3, v7, v2
	s_delay_alu instid0(VALU_DEP_1) | instskip(SKIP_1) | instid1(VALU_DEP_1)
	v_dual_add_f32 v2, 0, v6 :: v_dual_add_f32 v3, 0, v3
	s_wait_loadcnt 0x0
	v_dual_sub_f32 v2, v4, v2 :: v_dual_sub_f32 v3, v5, v3
	scratch_store_b64 off, v[2:3], off offset:392
	v_cmpx_lt_u32_e32 48, v0
	s_cbranch_execz .LBB114_223
; %bb.222:
	scratch_load_b64 v[3:4], off, off offset:384
	v_mov_b32_e32 v2, v1
	scratch_store_b64 off, v[1:2], off offset:384
	s_wait_loadcnt 0x0
	ds_store_b64 v23, v[3:4]
.LBB114_223:
	s_wait_alu 0xfffe
	s_or_b32 exec_lo, exec_lo, s0
	s_wait_storecnt_dscnt 0x0
	s_barrier_signal -1
	s_barrier_wait -1
	global_inv scope:SCOPE_SE
	s_clause 0x1
	scratch_load_b128 v[2:5], off, off offset:392
	scratch_load_b64 v[10:11], off, off offset:384
	ds_load_2addr_b64 v[6:9], v1 offset0:101 offset1:102
	s_mov_b32 s0, exec_lo
	s_wait_loadcnt_dscnt 0x100
	v_dual_mul_f32 v1, v7, v3 :: v_dual_mul_f32 v12, v8, v5
	v_mul_f32_e32 v3, v6, v3
	s_delay_alu instid0(VALU_DEP_2) | instskip(NEXT) | instid1(VALU_DEP_2)
	v_fma_f32 v1, v6, v2, -v1
	v_dual_fmac_f32 v12, v9, v4 :: v_dual_fmac_f32 v3, v7, v2
	s_delay_alu instid0(VALU_DEP_2) | instskip(NEXT) | instid1(VALU_DEP_2)
	v_add_f32_e32 v1, 0, v1
	v_add_f32_e32 v3, 0, v3
	v_mul_f32_e32 v5, v9, v5
	s_delay_alu instid0(VALU_DEP_1) | instskip(NEXT) | instid1(VALU_DEP_1)
	v_fma_f32 v2, v8, v4, -v5
	v_dual_add_f32 v1, v1, v2 :: v_dual_add_f32 v2, v3, v12
	s_wait_loadcnt 0x0
	s_delay_alu instid0(VALU_DEP_1)
	v_dual_sub_f32 v1, v10, v1 :: v_dual_sub_f32 v2, v11, v2
	scratch_store_b64 off, v[1:2], off offset:384
	v_cmpx_lt_u32_e32 47, v0
	s_cbranch_execz .LBB114_225
; %bb.224:
	scratch_load_b64 v[1:2], off, off offset:376
	v_mov_b32_e32 v3, 0
	s_delay_alu instid0(VALU_DEP_1)
	v_mov_b32_e32 v4, v3
	scratch_store_b64 off, v[3:4], off offset:376
	s_wait_loadcnt 0x0
	ds_store_b64 v23, v[1:2]
.LBB114_225:
	s_wait_alu 0xfffe
	s_or_b32 exec_lo, exec_lo, s0
	s_wait_storecnt_dscnt 0x0
	s_barrier_signal -1
	s_barrier_wait -1
	global_inv scope:SCOPE_SE
	s_clause 0x2
	scratch_load_b128 v[2:5], off, off offset:384
	scratch_load_b64 v[10:11], off, off offset:400
	scratch_load_b64 v[12:13], off, off offset:376
	v_mov_b32_e32 v1, 0
	ds_load_b128 v[6:9], v1 offset:800
	ds_load_b64 v[14:15], v1 offset:816
	s_mov_b32 s0, exec_lo
	s_wait_loadcnt_dscnt 0x201
	v_dual_mul_f32 v16, v7, v3 :: v_dual_mul_f32 v17, v8, v5
	s_wait_loadcnt_dscnt 0x100
	v_mul_f32_e32 v18, v14, v11
	v_mul_f32_e32 v3, v6, v3
	;; [unrolled: 1-line block ×3, first 2 shown]
	v_fma_f32 v6, v6, v2, -v16
	s_delay_alu instid0(VALU_DEP_4) | instskip(NEXT) | instid1(VALU_DEP_4)
	v_fmac_f32_e32 v18, v15, v10
	v_fmac_f32_e32 v3, v7, v2
	v_mul_f32_e32 v2, v15, v11
	s_delay_alu instid0(VALU_DEP_1) | instskip(SKIP_3) | instid1(VALU_DEP_1)
	v_fma_f32 v2, v14, v10, -v2
	v_fmac_f32_e32 v17, v9, v4
	v_fma_f32 v4, v8, v4, -v5
	v_add_f32_e32 v5, 0, v6
	v_add_f32_e32 v4, v5, v4
	s_delay_alu instid0(VALU_DEP_1) | instskip(SKIP_1) | instid1(VALU_DEP_1)
	v_dual_add_f32 v2, v4, v2 :: v_dual_add_f32 v3, 0, v3
	s_wait_loadcnt 0x0
	v_dual_sub_f32 v2, v12, v2 :: v_dual_add_f32 v3, v3, v17
	s_delay_alu instid0(VALU_DEP_1) | instskip(NEXT) | instid1(VALU_DEP_1)
	v_add_f32_e32 v3, v3, v18
	v_sub_f32_e32 v3, v13, v3
	scratch_store_b64 off, v[2:3], off offset:376
	v_cmpx_lt_u32_e32 46, v0
	s_cbranch_execz .LBB114_227
; %bb.226:
	scratch_load_b64 v[3:4], off, off offset:368
	v_mov_b32_e32 v2, v1
	scratch_store_b64 off, v[1:2], off offset:368
	s_wait_loadcnt 0x0
	ds_store_b64 v23, v[3:4]
.LBB114_227:
	s_wait_alu 0xfffe
	s_or_b32 exec_lo, exec_lo, s0
	s_wait_storecnt_dscnt 0x0
	s_barrier_signal -1
	s_barrier_wait -1
	global_inv scope:SCOPE_SE
	s_clause 0x2
	scratch_load_b128 v[2:5], off, off offset:376
	scratch_load_b128 v[6:9], off, off offset:392
	scratch_load_b64 v[18:19], off, off offset:368
	ds_load_2addr_b64 v[10:13], v1 offset0:99 offset1:100
	ds_load_2addr_b64 v[14:17], v1 offset0:101 offset1:102
	s_mov_b32 s0, exec_lo
	s_wait_loadcnt_dscnt 0x201
	v_dual_mul_f32 v1, v10, v3 :: v_dual_mul_f32 v20, v12, v5
	s_wait_loadcnt_dscnt 0x100
	v_dual_mul_f32 v3, v11, v3 :: v_dual_mul_f32 v22, v16, v9
	v_mul_f32_e32 v5, v13, v5
	s_delay_alu instid0(VALU_DEP_3) | instskip(NEXT) | instid1(VALU_DEP_3)
	v_dual_mul_f32 v21, v14, v7 :: v_dual_fmac_f32 v20, v13, v4
	v_fma_f32 v3, v10, v2, -v3
	s_delay_alu instid0(VALU_DEP_4) | instskip(SKIP_2) | instid1(VALU_DEP_4)
	v_dual_fmac_f32 v1, v11, v2 :: v_dual_fmac_f32 v22, v17, v8
	v_mul_f32_e32 v2, v15, v7
	v_fma_f32 v4, v12, v4, -v5
	v_add_f32_e32 v3, 0, v3
	v_fmac_f32_e32 v21, v15, v6
	s_delay_alu instid0(VALU_DEP_4) | instskip(NEXT) | instid1(VALU_DEP_3)
	v_fma_f32 v2, v14, v6, -v2
	v_add_f32_e32 v3, v3, v4
	s_delay_alu instid0(VALU_DEP_1) | instskip(NEXT) | instid1(VALU_DEP_1)
	v_dual_add_f32 v1, 0, v1 :: v_dual_add_f32 v2, v3, v2
	v_add_f32_e32 v1, v1, v20
	s_delay_alu instid0(VALU_DEP_1) | instskip(NEXT) | instid1(VALU_DEP_1)
	v_add_f32_e32 v1, v1, v21
	v_add_f32_e32 v3, v1, v22
	v_mul_f32_e32 v5, v17, v9
	s_delay_alu instid0(VALU_DEP_1) | instskip(NEXT) | instid1(VALU_DEP_1)
	v_fma_f32 v4, v16, v8, -v5
	v_add_f32_e32 v2, v2, v4
	s_wait_loadcnt 0x0
	s_delay_alu instid0(VALU_DEP_1)
	v_dual_sub_f32 v1, v18, v2 :: v_dual_sub_f32 v2, v19, v3
	scratch_store_b64 off, v[1:2], off offset:368
	v_cmpx_lt_u32_e32 45, v0
	s_cbranch_execz .LBB114_229
; %bb.228:
	scratch_load_b64 v[1:2], off, off offset:360
	v_mov_b32_e32 v3, 0
	s_delay_alu instid0(VALU_DEP_1)
	v_mov_b32_e32 v4, v3
	scratch_store_b64 off, v[3:4], off offset:360
	s_wait_loadcnt 0x0
	ds_store_b64 v23, v[1:2]
.LBB114_229:
	s_wait_alu 0xfffe
	s_or_b32 exec_lo, exec_lo, s0
	s_wait_storecnt_dscnt 0x0
	s_barrier_signal -1
	s_barrier_wait -1
	global_inv scope:SCOPE_SE
	s_clause 0x3
	scratch_load_b128 v[2:5], off, off offset:368
	scratch_load_b128 v[6:9], off, off offset:384
	scratch_load_b64 v[18:19], off, off offset:400
	scratch_load_b64 v[20:21], off, off offset:360
	v_mov_b32_e32 v1, 0
	ds_load_b128 v[10:13], v1 offset:784
	ds_load_b128 v[14:17], v1 offset:800
	ds_load_b64 v[126:127], v1 offset:816
	s_mov_b32 s0, exec_lo
	s_wait_loadcnt_dscnt 0x302
	v_mul_f32_e32 v22, v10, v3
	v_dual_mul_f32 v128, v12, v5 :: v_dual_mul_f32 v3, v11, v3
	v_mul_f32_e32 v5, v13, v5
	s_wait_loadcnt_dscnt 0x100
	s_delay_alu instid0(VALU_DEP_3)
	v_dual_mul_f32 v131, v126, v19 :: v_dual_fmac_f32 v22, v11, v2
	v_dual_mul_f32 v129, v14, v7 :: v_dual_mul_f32 v130, v16, v9
	v_fma_f32 v3, v10, v2, -v3
	v_mul_f32_e32 v2, v15, v7
	v_fmac_f32_e32 v128, v13, v4
	v_fma_f32 v4, v12, v4, -v5
	v_dual_add_f32 v5, 0, v22 :: v_dual_fmac_f32 v130, v17, v8
	v_add_f32_e32 v3, 0, v3
	v_fma_f32 v2, v14, v6, -v2
	v_fmac_f32_e32 v129, v15, v6
	v_fmac_f32_e32 v131, v127, v18
	s_delay_alu instid0(VALU_DEP_4) | instskip(SKIP_2) | instid1(VALU_DEP_3)
	v_add_f32_e32 v3, v3, v4
	v_mul_f32_e32 v7, v17, v9
	v_add_f32_e32 v4, v5, v128
	v_add_f32_e32 v2, v3, v2
	s_delay_alu instid0(VALU_DEP_3) | instskip(NEXT) | instid1(VALU_DEP_1)
	v_fma_f32 v6, v16, v8, -v7
	v_dual_add_f32 v3, v4, v129 :: v_dual_add_f32 v2, v2, v6
	v_mul_f32_e32 v5, v127, v19
	s_delay_alu instid0(VALU_DEP_2) | instskip(NEXT) | instid1(VALU_DEP_2)
	v_add_f32_e32 v3, v3, v130
	v_fma_f32 v4, v126, v18, -v5
	s_delay_alu instid0(VALU_DEP_1) | instskip(SKIP_1) | instid1(VALU_DEP_1)
	v_dual_add_f32 v2, v2, v4 :: v_dual_add_f32 v3, v3, v131
	s_wait_loadcnt 0x0
	v_dual_sub_f32 v2, v20, v2 :: v_dual_sub_f32 v3, v21, v3
	scratch_store_b64 off, v[2:3], off offset:360
	v_cmpx_lt_u32_e32 44, v0
	s_cbranch_execz .LBB114_231
; %bb.230:
	scratch_load_b64 v[3:4], off, off offset:352
	v_mov_b32_e32 v2, v1
	scratch_store_b64 off, v[1:2], off offset:352
	s_wait_loadcnt 0x0
	ds_store_b64 v23, v[3:4]
.LBB114_231:
	s_wait_alu 0xfffe
	s_or_b32 exec_lo, exec_lo, s0
	s_wait_storecnt_dscnt 0x0
	s_barrier_signal -1
	s_barrier_wait -1
	global_inv scope:SCOPE_SE
	s_clause 0x3
	scratch_load_b128 v[2:5], off, off offset:360
	scratch_load_b128 v[6:9], off, off offset:376
	;; [unrolled: 1-line block ×3, first 2 shown]
	scratch_load_b64 v[130:131], off, off offset:352
	ds_load_2addr_b64 v[14:17], v1 offset0:97 offset1:98
	ds_load_2addr_b64 v[18:21], v1 offset0:99 offset1:100
	;; [unrolled: 1-line block ×3, first 2 shown]
	s_mov_b32 s0, exec_lo
	s_wait_loadcnt_dscnt 0x302
	v_dual_mul_f32 v1, v14, v3 :: v_dual_mul_f32 v22, v16, v5
	v_mul_f32_e32 v3, v15, v3
	s_wait_loadcnt_dscnt 0x201
	v_dual_mul_f32 v5, v17, v5 :: v_dual_mul_f32 v132, v18, v7
	s_delay_alu instid0(VALU_DEP_3) | instskip(NEXT) | instid1(VALU_DEP_3)
	v_dual_mul_f32 v133, v20, v9 :: v_dual_fmac_f32 v22, v17, v4
	v_fma_f32 v3, v14, v2, -v3
	v_fmac_f32_e32 v1, v15, v2
	v_mul_f32_e32 v2, v19, v7
	v_fma_f32 v4, v16, v4, -v5
	s_delay_alu instid0(VALU_DEP_4)
	v_dual_fmac_f32 v132, v19, v6 :: v_dual_add_f32 v3, 0, v3
	s_wait_loadcnt_dscnt 0x100
	v_dual_mul_f32 v134, v126, v11 :: v_dual_mul_f32 v135, v128, v13
	v_fma_f32 v2, v18, v6, -v2
	v_fmac_f32_e32 v133, v21, v8
	v_add_f32_e32 v3, v3, v4
	s_delay_alu instid0(VALU_DEP_4) | instskip(SKIP_1) | instid1(VALU_DEP_3)
	v_dual_mul_f32 v5, v21, v9 :: v_dual_fmac_f32 v134, v127, v10
	v_dual_fmac_f32 v135, v129, v12 :: v_dual_mul_f32 v4, v127, v11
	v_add_f32_e32 v2, v3, v2
	s_delay_alu instid0(VALU_DEP_3) | instskip(SKIP_1) | instid1(VALU_DEP_4)
	v_fma_f32 v5, v20, v8, -v5
	v_mul_f32_e32 v3, v129, v13
	v_fma_f32 v4, v126, v10, -v4
	s_delay_alu instid0(VALU_DEP_3) | instskip(SKIP_1) | instid1(VALU_DEP_4)
	v_add_f32_e32 v2, v2, v5
	v_add_f32_e32 v1, 0, v1
	v_fma_f32 v3, v128, v12, -v3
	s_delay_alu instid0(VALU_DEP_2) | instskip(NEXT) | instid1(VALU_DEP_1)
	v_dual_add_f32 v2, v2, v4 :: v_dual_add_f32 v1, v1, v22
	v_dual_add_f32 v2, v2, v3 :: v_dual_add_f32 v1, v1, v132
	s_delay_alu instid0(VALU_DEP_1) | instskip(NEXT) | instid1(VALU_DEP_1)
	v_add_f32_e32 v1, v1, v133
	v_add_f32_e32 v1, v1, v134
	s_delay_alu instid0(VALU_DEP_1) | instskip(SKIP_1) | instid1(VALU_DEP_1)
	v_add_f32_e32 v3, v1, v135
	s_wait_loadcnt 0x0
	v_dual_sub_f32 v1, v130, v2 :: v_dual_sub_f32 v2, v131, v3
	scratch_store_b64 off, v[1:2], off offset:352
	v_cmpx_lt_u32_e32 43, v0
	s_cbranch_execz .LBB114_233
; %bb.232:
	scratch_load_b64 v[1:2], off, off offset:344
	v_mov_b32_e32 v3, 0
	s_delay_alu instid0(VALU_DEP_1)
	v_mov_b32_e32 v4, v3
	scratch_store_b64 off, v[3:4], off offset:344
	s_wait_loadcnt 0x0
	ds_store_b64 v23, v[1:2]
.LBB114_233:
	s_wait_alu 0xfffe
	s_or_b32 exec_lo, exec_lo, s0
	s_wait_storecnt_dscnt 0x0
	s_barrier_signal -1
	s_barrier_wait -1
	global_inv scope:SCOPE_SE
	s_clause 0x4
	scratch_load_b128 v[2:5], off, off offset:352
	scratch_load_b128 v[6:9], off, off offset:368
	scratch_load_b128 v[10:13], off, off offset:384
	scratch_load_b64 v[130:131], off, off offset:400
	scratch_load_b64 v[132:133], off, off offset:344
	v_mov_b32_e32 v1, 0
	ds_load_b128 v[14:17], v1 offset:768
	ds_load_b128 v[18:21], v1 offset:784
	;; [unrolled: 1-line block ×3, first 2 shown]
	ds_load_b64 v[134:135], v1 offset:816
	s_mov_b32 s0, exec_lo
	s_wait_loadcnt_dscnt 0x403
	v_mul_f32_e32 v22, v14, v3
	s_wait_loadcnt_dscnt 0x302
	v_dual_mul_f32 v138, v20, v9 :: v_dual_mul_f32 v3, v15, v3
	v_dual_mul_f32 v136, v16, v5 :: v_dual_mul_f32 v137, v18, v7
	v_mul_f32_e32 v5, v17, v5
	s_wait_loadcnt_dscnt 0x100
	v_dual_mul_f32 v141, v134, v131 :: v_dual_fmac_f32 v22, v15, v2
	v_fma_f32 v3, v14, v2, -v3
	v_mul_f32_e32 v2, v19, v7
	v_fmac_f32_e32 v136, v17, v4
	v_fma_f32 v4, v16, v4, -v5
	v_dual_add_f32 v5, 0, v22 :: v_dual_fmac_f32 v138, v21, v8
	v_add_f32_e32 v3, 0, v3
	v_fma_f32 v2, v18, v6, -v2
	v_fmac_f32_e32 v137, v19, v6
	v_dual_mul_f32 v139, v126, v11 :: v_dual_mul_f32 v140, v128, v13
	s_delay_alu instid0(VALU_DEP_4) | instskip(SKIP_1) | instid1(VALU_DEP_3)
	v_add_f32_e32 v3, v3, v4
	v_mul_f32_e32 v7, v21, v9
	v_dual_add_f32 v4, v5, v136 :: v_dual_fmac_f32 v139, v127, v10
	s_delay_alu instid0(VALU_DEP_4) | instskip(NEXT) | instid1(VALU_DEP_4)
	v_fmac_f32_e32 v140, v129, v12
	v_add_f32_e32 v2, v3, v2
	s_delay_alu instid0(VALU_DEP_4) | instskip(SKIP_3) | instid1(VALU_DEP_4)
	v_fma_f32 v6, v20, v8, -v7
	v_mul_f32_e32 v5, v127, v11
	v_add_f32_e32 v3, v4, v137
	v_mul_f32_e32 v4, v129, v13
	v_add_f32_e32 v2, v2, v6
	s_delay_alu instid0(VALU_DEP_4) | instskip(SKIP_3) | instid1(VALU_DEP_4)
	v_fma_f32 v5, v126, v10, -v5
	v_mul_f32_e32 v6, v135, v131
	v_add_f32_e32 v3, v3, v138
	v_fma_f32 v4, v128, v12, -v4
	v_add_f32_e32 v2, v2, v5
	s_delay_alu instid0(VALU_DEP_4) | instskip(NEXT) | instid1(VALU_DEP_2)
	v_fma_f32 v5, v134, v130, -v6
	v_dual_add_f32 v3, v3, v139 :: v_dual_add_f32 v2, v2, v4
	s_delay_alu instid0(VALU_DEP_1) | instskip(SKIP_1) | instid1(VALU_DEP_1)
	v_dual_fmac_f32 v141, v135, v130 :: v_dual_add_f32 v2, v2, v5
	s_wait_loadcnt 0x0
	v_dual_add_f32 v3, v3, v140 :: v_dual_sub_f32 v2, v132, v2
	s_delay_alu instid0(VALU_DEP_1) | instskip(NEXT) | instid1(VALU_DEP_1)
	v_add_f32_e32 v3, v3, v141
	v_sub_f32_e32 v3, v133, v3
	scratch_store_b64 off, v[2:3], off offset:344
	v_cmpx_lt_u32_e32 42, v0
	s_cbranch_execz .LBB114_235
; %bb.234:
	scratch_load_b64 v[3:4], off, off offset:336
	v_mov_b32_e32 v2, v1
	scratch_store_b64 off, v[1:2], off offset:336
	s_wait_loadcnt 0x0
	ds_store_b64 v23, v[3:4]
.LBB114_235:
	s_wait_alu 0xfffe
	s_or_b32 exec_lo, exec_lo, s0
	s_wait_storecnt_dscnt 0x0
	s_barrier_signal -1
	s_barrier_wait -1
	global_inv scope:SCOPE_SE
	s_clause 0x4
	scratch_load_b128 v[2:5], off, off offset:344
	scratch_load_b128 v[6:9], off, off offset:360
	;; [unrolled: 1-line block ×4, first 2 shown]
	scratch_load_b64 v[138:139], off, off offset:336
	ds_load_2addr_b64 v[18:21], v1 offset0:95 offset1:96
	ds_load_2addr_b64 v[126:129], v1 offset0:97 offset1:98
	;; [unrolled: 1-line block ×4, first 2 shown]
	s_mov_b32 s0, exec_lo
	s_wait_loadcnt_dscnt 0x403
	v_dual_mul_f32 v1, v18, v3 :: v_dual_mul_f32 v22, v20, v5
	v_mul_f32_e32 v3, v19, v3
	s_wait_loadcnt_dscnt 0x302
	v_dual_mul_f32 v5, v21, v5 :: v_dual_mul_f32 v140, v126, v7
	s_delay_alu instid0(VALU_DEP_3) | instskip(NEXT) | instid1(VALU_DEP_3)
	v_dual_mul_f32 v141, v128, v9 :: v_dual_fmac_f32 v22, v21, v4
	v_fma_f32 v3, v18, v2, -v3
	v_fmac_f32_e32 v1, v19, v2
	v_mul_f32_e32 v2, v127, v7
	v_fma_f32 v4, v20, v4, -v5
	s_delay_alu instid0(VALU_DEP_4)
	v_dual_fmac_f32 v140, v127, v6 :: v_dual_add_f32 v3, 0, v3
	s_wait_loadcnt_dscnt 0x201
	v_dual_mul_f32 v142, v130, v11 :: v_dual_mul_f32 v143, v132, v13
	v_fma_f32 v2, v126, v6, -v2
	s_wait_loadcnt_dscnt 0x100
	v_dual_mul_f32 v144, v134, v15 :: v_dual_mul_f32 v145, v136, v17
	v_add_f32_e32 v3, v3, v4
	v_mul_f32_e32 v5, v129, v9
	v_dual_fmac_f32 v141, v129, v8 :: v_dual_fmac_f32 v142, v131, v10
	v_mul_f32_e32 v4, v131, v11
	s_delay_alu instid0(VALU_DEP_4) | instskip(NEXT) | instid1(VALU_DEP_4)
	v_add_f32_e32 v2, v3, v2
	v_fma_f32 v5, v128, v8, -v5
	v_mul_f32_e32 v3, v133, v13
	v_fmac_f32_e32 v145, v137, v16
	v_fma_f32 v4, v130, v10, -v4
	v_fmac_f32_e32 v144, v135, v14
	v_add_f32_e32 v2, v2, v5
	v_add_f32_e32 v1, 0, v1
	v_mul_f32_e32 v5, v135, v15
	v_fma_f32 v3, v132, v12, -v3
	s_delay_alu instid0(VALU_DEP_3) | instskip(SKIP_1) | instid1(VALU_DEP_4)
	v_dual_add_f32 v2, v2, v4 :: v_dual_add_f32 v1, v1, v22
	v_mul_f32_e32 v4, v137, v17
	v_fma_f32 v5, v134, v14, -v5
	s_delay_alu instid0(VALU_DEP_3) | instskip(SKIP_1) | instid1(VALU_DEP_4)
	v_dual_add_f32 v2, v2, v3 :: v_dual_add_f32 v1, v1, v140
	v_fmac_f32_e32 v143, v133, v12
	v_fma_f32 v3, v136, v16, -v4
	s_delay_alu instid0(VALU_DEP_3) | instskip(NEXT) | instid1(VALU_DEP_1)
	v_add_f32_e32 v2, v2, v5
	v_dual_add_f32 v1, v1, v141 :: v_dual_add_f32 v2, v2, v3
	s_delay_alu instid0(VALU_DEP_1) | instskip(NEXT) | instid1(VALU_DEP_1)
	v_add_f32_e32 v1, v1, v142
	v_add_f32_e32 v1, v1, v143
	s_delay_alu instid0(VALU_DEP_1) | instskip(NEXT) | instid1(VALU_DEP_1)
	v_add_f32_e32 v1, v1, v144
	v_add_f32_e32 v3, v1, v145
	s_wait_loadcnt 0x0
	s_delay_alu instid0(VALU_DEP_1)
	v_dual_sub_f32 v1, v138, v2 :: v_dual_sub_f32 v2, v139, v3
	scratch_store_b64 off, v[1:2], off offset:336
	v_cmpx_lt_u32_e32 41, v0
	s_cbranch_execz .LBB114_237
; %bb.236:
	scratch_load_b64 v[1:2], off, off offset:328
	v_mov_b32_e32 v3, 0
	s_delay_alu instid0(VALU_DEP_1)
	v_mov_b32_e32 v4, v3
	scratch_store_b64 off, v[3:4], off offset:328
	s_wait_loadcnt 0x0
	ds_store_b64 v23, v[1:2]
.LBB114_237:
	s_wait_alu 0xfffe
	s_or_b32 exec_lo, exec_lo, s0
	s_wait_storecnt_dscnt 0x0
	s_barrier_signal -1
	s_barrier_wait -1
	global_inv scope:SCOPE_SE
	s_clause 0x5
	scratch_load_b128 v[2:5], off, off offset:336
	scratch_load_b128 v[6:9], off, off offset:352
	;; [unrolled: 1-line block ×4, first 2 shown]
	scratch_load_b64 v[138:139], off, off offset:400
	scratch_load_b64 v[140:141], off, off offset:328
	v_mov_b32_e32 v1, 0
	ds_load_b128 v[18:21], v1 offset:752
	ds_load_b128 v[126:129], v1 offset:768
	;; [unrolled: 1-line block ×4, first 2 shown]
	ds_load_b64 v[142:143], v1 offset:816
	s_mov_b32 s0, exec_lo
	s_wait_loadcnt_dscnt 0x504
	v_mul_f32_e32 v22, v18, v3
	s_wait_loadcnt_dscnt 0x302
	v_dual_mul_f32 v3, v19, v3 :: v_dual_mul_f32 v148, v132, v13
	v_dual_mul_f32 v144, v20, v5 :: v_dual_mul_f32 v145, v126, v7
	v_mul_f32_e32 v5, v21, v5
	s_delay_alu instid0(VALU_DEP_3) | instskip(SKIP_3) | instid1(VALU_DEP_3)
	v_fma_f32 v3, v18, v2, -v3
	s_wait_loadcnt_dscnt 0x100
	v_dual_mul_f32 v151, v142, v139 :: v_dual_fmac_f32 v22, v19, v2
	v_mul_f32_e32 v2, v127, v7
	v_dual_fmac_f32 v144, v21, v4 :: v_dual_add_f32 v3, 0, v3
	v_fma_f32 v4, v20, v4, -v5
	v_dual_mul_f32 v146, v128, v9 :: v_dual_mul_f32 v147, v130, v11
	v_add_f32_e32 v5, 0, v22
	v_fma_f32 v2, v126, v6, -v2
	s_delay_alu instid0(VALU_DEP_4) | instskip(SKIP_3) | instid1(VALU_DEP_4)
	v_add_f32_e32 v3, v3, v4
	v_mul_f32_e32 v7, v129, v9
	v_dual_fmac_f32 v146, v129, v8 :: v_dual_fmac_f32 v145, v127, v6
	v_add_f32_e32 v4, v5, v144
	v_add_f32_e32 v2, v3, v2
	s_delay_alu instid0(VALU_DEP_4)
	v_fma_f32 v6, v128, v8, -v7
	v_mul_f32_e32 v5, v131, v11
	v_dual_fmac_f32 v147, v131, v10 :: v_dual_fmac_f32 v148, v133, v12
	v_add_f32_e32 v3, v4, v145
	v_mul_f32_e32 v4, v133, v13
	v_add_f32_e32 v2, v2, v6
	v_fma_f32 v5, v130, v10, -v5
	v_mul_f32_e32 v6, v135, v15
	v_add_f32_e32 v3, v3, v146
	v_fma_f32 v4, v132, v12, -v4
	v_dual_mul_f32 v149, v134, v15 :: v_dual_mul_f32 v150, v136, v17
	s_delay_alu instid0(VALU_DEP_3) | instskip(SKIP_2) | instid1(VALU_DEP_4)
	v_dual_add_f32 v2, v2, v5 :: v_dual_add_f32 v3, v3, v147
	v_mul_f32_e32 v5, v137, v17
	v_fma_f32 v6, v134, v14, -v6
	v_dual_fmac_f32 v149, v135, v14 :: v_dual_fmac_f32 v150, v137, v16
	s_delay_alu instid0(VALU_DEP_4) | instskip(SKIP_3) | instid1(VALU_DEP_4)
	v_add_f32_e32 v2, v2, v4
	v_add_f32_e32 v3, v3, v148
	v_mul_f32_e32 v4, v143, v139
	v_fma_f32 v5, v136, v16, -v5
	v_add_f32_e32 v2, v2, v6
	v_fmac_f32_e32 v151, v143, v138
	s_delay_alu instid0(VALU_DEP_4) | instskip(NEXT) | instid1(VALU_DEP_3)
	v_fma_f32 v4, v142, v138, -v4
	v_add_f32_e32 v2, v2, v5
	s_delay_alu instid0(VALU_DEP_1) | instskip(NEXT) | instid1(VALU_DEP_1)
	v_dual_add_f32 v3, v3, v149 :: v_dual_add_f32 v2, v2, v4
	v_add_f32_e32 v3, v3, v150
	s_wait_loadcnt 0x0
	s_delay_alu instid0(VALU_DEP_1) | instskip(NEXT) | instid1(VALU_DEP_1)
	v_dual_sub_f32 v2, v140, v2 :: v_dual_add_f32 v3, v3, v151
	v_sub_f32_e32 v3, v141, v3
	scratch_store_b64 off, v[2:3], off offset:328
	v_cmpx_lt_u32_e32 40, v0
	s_cbranch_execz .LBB114_239
; %bb.238:
	scratch_load_b64 v[3:4], off, off offset:320
	v_mov_b32_e32 v2, v1
	scratch_store_b64 off, v[1:2], off offset:320
	s_wait_loadcnt 0x0
	ds_store_b64 v23, v[3:4]
.LBB114_239:
	s_wait_alu 0xfffe
	s_or_b32 exec_lo, exec_lo, s0
	s_wait_storecnt_dscnt 0x0
	s_barrier_signal -1
	s_barrier_wait -1
	global_inv scope:SCOPE_SE
	s_clause 0x5
	scratch_load_b128 v[2:5], off, off offset:328
	scratch_load_b128 v[6:9], off, off offset:344
	;; [unrolled: 1-line block ×5, first 2 shown]
	scratch_load_b64 v[146:147], off, off offset:320
	ds_load_2addr_b64 v[126:129], v1 offset0:93 offset1:94
	ds_load_2addr_b64 v[130:133], v1 offset0:95 offset1:96
	;; [unrolled: 1-line block ×5, first 2 shown]
	s_mov_b32 s0, exec_lo
	s_wait_loadcnt_dscnt 0x504
	v_dual_mul_f32 v1, v126, v3 :: v_dual_mul_f32 v22, v128, v5
	v_mul_f32_e32 v3, v127, v3
	s_wait_loadcnt_dscnt 0x403
	v_dual_mul_f32 v5, v129, v5 :: v_dual_mul_f32 v148, v130, v7
	s_delay_alu instid0(VALU_DEP_3) | instskip(NEXT) | instid1(VALU_DEP_3)
	v_dual_mul_f32 v149, v132, v9 :: v_dual_fmac_f32 v22, v129, v4
	v_fma_f32 v3, v126, v2, -v3
	v_fmac_f32_e32 v1, v127, v2
	v_mul_f32_e32 v2, v131, v7
	v_fma_f32 v4, v128, v4, -v5
	s_delay_alu instid0(VALU_DEP_4)
	v_dual_fmac_f32 v148, v131, v6 :: v_dual_add_f32 v3, 0, v3
	s_wait_loadcnt_dscnt 0x100
	v_dual_mul_f32 v154, v142, v19 :: v_dual_mul_f32 v155, v144, v21
	v_fma_f32 v2, v130, v6, -v2
	v_dual_mul_f32 v150, v134, v11 :: v_dual_mul_f32 v151, v136, v13
	v_add_f32_e32 v3, v3, v4
	v_dual_mul_f32 v5, v133, v9 :: v_dual_mul_f32 v152, v138, v15
	v_dual_mul_f32 v153, v140, v17 :: v_dual_mul_f32 v4, v135, v11
	s_delay_alu instid0(VALU_DEP_3) | instskip(NEXT) | instid1(VALU_DEP_3)
	v_add_f32_e32 v2, v3, v2
	v_fma_f32 v5, v132, v8, -v5
	v_dual_mul_f32 v3, v137, v13 :: v_dual_fmac_f32 v154, v143, v18
	s_delay_alu instid0(VALU_DEP_4) | instskip(SKIP_1) | instid1(VALU_DEP_4)
	v_fma_f32 v4, v134, v10, -v4
	v_dual_fmac_f32 v149, v133, v8 :: v_dual_fmac_f32 v150, v135, v10
	v_add_f32_e32 v2, v2, v5
	v_add_f32_e32 v1, 0, v1
	v_fma_f32 v3, v136, v12, -v3
	v_dual_fmac_f32 v152, v139, v14 :: v_dual_fmac_f32 v153, v141, v16
	s_delay_alu instid0(VALU_DEP_3) | instskip(SKIP_1) | instid1(VALU_DEP_2)
	v_dual_add_f32 v2, v2, v4 :: v_dual_add_f32 v1, v1, v22
	v_mul_f32_e32 v4, v141, v17
	v_dual_fmac_f32 v155, v145, v20 :: v_dual_add_f32 v2, v2, v3
	s_delay_alu instid0(VALU_DEP_3) | instskip(NEXT) | instid1(VALU_DEP_3)
	v_add_f32_e32 v1, v1, v148
	v_fma_f32 v4, v140, v16, -v4
	v_mul_f32_e32 v5, v139, v15
	v_mul_f32_e32 v3, v143, v19
	s_delay_alu instid0(VALU_DEP_4) | instskip(NEXT) | instid1(VALU_DEP_3)
	v_add_f32_e32 v1, v1, v149
	v_fma_f32 v5, v138, v14, -v5
	v_fmac_f32_e32 v151, v137, v12
	s_delay_alu instid0(VALU_DEP_4) | instskip(NEXT) | instid1(VALU_DEP_3)
	v_fma_f32 v3, v142, v18, -v3
	v_add_f32_e32 v2, v2, v5
	s_delay_alu instid0(VALU_DEP_1) | instskip(SKIP_1) | instid1(VALU_DEP_2)
	v_dual_mul_f32 v5, v145, v21 :: v_dual_add_f32 v2, v2, v4
	v_add_f32_e32 v1, v1, v150
	v_fma_f32 v4, v144, v20, -v5
	s_delay_alu instid0(VALU_DEP_3) | instskip(NEXT) | instid1(VALU_DEP_1)
	v_add_f32_e32 v2, v2, v3
	v_dual_add_f32 v1, v1, v151 :: v_dual_add_f32 v2, v2, v4
	s_delay_alu instid0(VALU_DEP_1) | instskip(NEXT) | instid1(VALU_DEP_1)
	v_add_f32_e32 v1, v1, v152
	v_add_f32_e32 v1, v1, v153
	s_delay_alu instid0(VALU_DEP_1) | instskip(NEXT) | instid1(VALU_DEP_1)
	v_add_f32_e32 v1, v1, v154
	v_add_f32_e32 v3, v1, v155
	s_wait_loadcnt 0x0
	s_delay_alu instid0(VALU_DEP_1)
	v_dual_sub_f32 v1, v146, v2 :: v_dual_sub_f32 v2, v147, v3
	scratch_store_b64 off, v[1:2], off offset:320
	v_cmpx_lt_u32_e32 39, v0
	s_cbranch_execz .LBB114_241
; %bb.240:
	scratch_load_b64 v[1:2], off, off offset:312
	v_mov_b32_e32 v3, 0
	s_delay_alu instid0(VALU_DEP_1)
	v_mov_b32_e32 v4, v3
	scratch_store_b64 off, v[3:4], off offset:312
	s_wait_loadcnt 0x0
	ds_store_b64 v23, v[1:2]
.LBB114_241:
	s_wait_alu 0xfffe
	s_or_b32 exec_lo, exec_lo, s0
	s_wait_storecnt_dscnt 0x0
	s_barrier_signal -1
	s_barrier_wait -1
	global_inv scope:SCOPE_SE
	s_clause 0x6
	scratch_load_b128 v[2:5], off, off offset:320
	scratch_load_b128 v[6:9], off, off offset:336
	;; [unrolled: 1-line block ×5, first 2 shown]
	scratch_load_b64 v[146:147], off, off offset:400
	scratch_load_b64 v[148:149], off, off offset:312
	v_mov_b32_e32 v1, 0
	ds_load_b128 v[126:129], v1 offset:736
	ds_load_b128 v[130:133], v1 offset:752
	;; [unrolled: 1-line block ×5, first 2 shown]
	ds_load_b64 v[150:151], v1 offset:816
	s_mov_b32 s0, exec_lo
	s_wait_loadcnt_dscnt 0x605
	v_mul_f32_e32 v22, v126, v3
	v_dual_mul_f32 v3, v127, v3 :: v_dual_mul_f32 v152, v128, v5
	s_wait_loadcnt_dscnt 0x302
	v_dual_mul_f32 v153, v130, v7 :: v_dual_mul_f32 v158, v140, v17
	v_mul_f32_e32 v5, v129, v5
	s_delay_alu instid0(VALU_DEP_3) | instskip(SKIP_3) | instid1(VALU_DEP_3)
	v_fma_f32 v3, v126, v2, -v3
	s_wait_loadcnt_dscnt 0x100
	v_dual_mul_f32 v161, v150, v147 :: v_dual_fmac_f32 v22, v127, v2
	v_mul_f32_e32 v2, v131, v7
	v_dual_fmac_f32 v152, v129, v4 :: v_dual_add_f32 v3, 0, v3
	v_fma_f32 v4, v128, v4, -v5
	v_dual_mul_f32 v154, v132, v9 :: v_dual_mul_f32 v155, v134, v11
	v_add_f32_e32 v5, 0, v22
	v_fma_f32 v2, v130, v6, -v2
	s_delay_alu instid0(VALU_DEP_4) | instskip(SKIP_3) | instid1(VALU_DEP_4)
	v_add_f32_e32 v3, v3, v4
	v_mul_f32_e32 v7, v133, v9
	v_dual_fmac_f32 v154, v133, v8 :: v_dual_fmac_f32 v153, v131, v6
	v_add_f32_e32 v4, v5, v152
	v_add_f32_e32 v2, v3, v2
	s_delay_alu instid0(VALU_DEP_4)
	v_fma_f32 v6, v132, v8, -v7
	v_dual_mul_f32 v5, v135, v11 :: v_dual_mul_f32 v156, v136, v13
	v_mul_f32_e32 v157, v138, v15
	v_add_f32_e32 v3, v4, v153
	v_mul_f32_e32 v4, v137, v13
	v_add_f32_e32 v2, v2, v6
	v_fma_f32 v5, v134, v10, -v5
	v_dual_fmac_f32 v155, v135, v10 :: v_dual_fmac_f32 v156, v137, v12
	v_mul_f32_e32 v6, v139, v15
	s_delay_alu instid0(VALU_DEP_3) | instskip(SKIP_2) | instid1(VALU_DEP_4)
	v_dual_add_f32 v3, v3, v154 :: v_dual_add_f32 v2, v2, v5
	v_fma_f32 v4, v136, v12, -v4
	v_mul_f32_e32 v5, v141, v17
	v_fma_f32 v6, v138, v14, -v6
	s_delay_alu instid0(VALU_DEP_4) | instskip(SKIP_3) | instid1(VALU_DEP_4)
	v_add_f32_e32 v3, v3, v155
	v_dual_mul_f32 v159, v142, v19 :: v_dual_mul_f32 v160, v144, v21
	v_dual_add_f32 v2, v2, v4 :: v_dual_fmac_f32 v157, v139, v14
	v_fmac_f32_e32 v158, v141, v16
	v_add_f32_e32 v3, v3, v156
	v_mul_f32_e32 v4, v143, v19
	v_fma_f32 v5, v140, v16, -v5
	v_add_f32_e32 v2, v2, v6
	v_dual_mul_f32 v6, v145, v21 :: v_dual_fmac_f32 v159, v143, v18
	v_dual_add_f32 v3, v3, v157 :: v_dual_fmac_f32 v160, v145, v20
	v_fma_f32 v4, v142, v18, -v4
	s_delay_alu instid0(VALU_DEP_4) | instskip(NEXT) | instid1(VALU_DEP_4)
	v_add_f32_e32 v2, v2, v5
	v_fma_f32 v6, v144, v20, -v6
	s_delay_alu instid0(VALU_DEP_4) | instskip(NEXT) | instid1(VALU_DEP_3)
	v_add_f32_e32 v3, v3, v158
	v_dual_mul_f32 v5, v151, v147 :: v_dual_add_f32 v2, v2, v4
	s_delay_alu instid0(VALU_DEP_2) | instskip(NEXT) | instid1(VALU_DEP_2)
	v_add_f32_e32 v3, v3, v159
	v_fma_f32 v4, v150, v146, -v5
	s_delay_alu instid0(VALU_DEP_3) | instskip(NEXT) | instid1(VALU_DEP_1)
	v_add_f32_e32 v2, v2, v6
	v_dual_fmac_f32 v161, v151, v146 :: v_dual_add_f32 v2, v2, v4
	s_wait_loadcnt 0x0
	s_delay_alu instid0(VALU_DEP_1) | instskip(NEXT) | instid1(VALU_DEP_1)
	v_dual_add_f32 v3, v3, v160 :: v_dual_sub_f32 v2, v148, v2
	v_add_f32_e32 v3, v3, v161
	s_delay_alu instid0(VALU_DEP_1)
	v_sub_f32_e32 v3, v149, v3
	scratch_store_b64 off, v[2:3], off offset:312
	v_cmpx_lt_u32_e32 38, v0
	s_cbranch_execz .LBB114_243
; %bb.242:
	scratch_load_b64 v[3:4], off, off offset:304
	v_mov_b32_e32 v2, v1
	scratch_store_b64 off, v[1:2], off offset:304
	s_wait_loadcnt 0x0
	ds_store_b64 v23, v[3:4]
.LBB114_243:
	s_wait_alu 0xfffe
	s_or_b32 exec_lo, exec_lo, s0
	s_wait_storecnt_dscnt 0x0
	s_barrier_signal -1
	s_barrier_wait -1
	global_inv scope:SCOPE_SE
	s_clause 0x6
	scratch_load_b128 v[2:5], off, off offset:312
	scratch_load_b128 v[6:9], off, off offset:328
	;; [unrolled: 1-line block ×6, first 2 shown]
	scratch_load_b64 v[154:155], off, off offset:304
	ds_load_2addr_b64 v[130:133], v1 offset0:91 offset1:92
	ds_load_2addr_b64 v[134:137], v1 offset0:93 offset1:94
	ds_load_2addr_b64 v[138:141], v1 offset0:95 offset1:96
	ds_load_2addr_b64 v[142:145], v1 offset0:97 offset1:98
	ds_load_2addr_b64 v[146:149], v1 offset0:99 offset1:100
	ds_load_2addr_b64 v[150:153], v1 offset0:101 offset1:102
	s_mov_b32 s0, exec_lo
	s_wait_loadcnt_dscnt 0x605
	v_dual_mul_f32 v1, v130, v3 :: v_dual_mul_f32 v22, v132, v5
	v_mul_f32_e32 v3, v131, v3
	s_wait_loadcnt_dscnt 0x504
	v_dual_mul_f32 v5, v133, v5 :: v_dual_mul_f32 v156, v134, v7
	s_delay_alu instid0(VALU_DEP_3) | instskip(NEXT) | instid1(VALU_DEP_3)
	v_dual_mul_f32 v157, v136, v9 :: v_dual_fmac_f32 v22, v133, v4
	v_fma_f32 v3, v130, v2, -v3
	v_fmac_f32_e32 v1, v131, v2
	v_mul_f32_e32 v2, v135, v7
	v_fma_f32 v4, v132, v4, -v5
	s_delay_alu instid0(VALU_DEP_4)
	v_dual_fmac_f32 v156, v135, v6 :: v_dual_add_f32 v3, 0, v3
	s_wait_loadcnt_dscnt 0x201
	v_dual_mul_f32 v162, v146, v19 :: v_dual_mul_f32 v163, v148, v21
	v_fma_f32 v2, v134, v6, -v2
	v_dual_mul_f32 v158, v138, v11 :: v_dual_mul_f32 v159, v140, v13
	v_add_f32_e32 v3, v3, v4
	v_dual_mul_f32 v5, v137, v9 :: v_dual_mul_f32 v160, v142, v15
	v_dual_mul_f32 v161, v144, v17 :: v_dual_mul_f32 v4, v139, v11
	s_delay_alu instid0(VALU_DEP_3) | instskip(NEXT) | instid1(VALU_DEP_3)
	v_add_f32_e32 v2, v3, v2
	v_fma_f32 v5, v136, v8, -v5
	v_dual_mul_f32 v3, v141, v13 :: v_dual_fmac_f32 v162, v147, v18
	s_delay_alu instid0(VALU_DEP_4) | instskip(SKIP_1) | instid1(VALU_DEP_4)
	v_fma_f32 v4, v138, v10, -v4
	v_dual_fmac_f32 v157, v137, v8 :: v_dual_fmac_f32 v158, v139, v10
	v_add_f32_e32 v2, v2, v5
	v_add_f32_e32 v1, 0, v1
	v_fma_f32 v3, v140, v12, -v3
	v_fmac_f32_e32 v160, v143, v14
	s_wait_loadcnt_dscnt 0x100
	v_dual_mul_f32 v164, v150, v127 :: v_dual_mul_f32 v165, v152, v129
	v_dual_add_f32 v1, v1, v22 :: v_dual_add_f32 v2, v2, v4
	v_mul_f32_e32 v4, v145, v17
	v_fmac_f32_e32 v163, v149, v20
	s_delay_alu instid0(VALU_DEP_4) | instskip(NEXT) | instid1(VALU_DEP_4)
	v_fmac_f32_e32 v165, v153, v128
	v_dual_add_f32 v1, v1, v156 :: v_dual_add_f32 v2, v2, v3
	s_delay_alu instid0(VALU_DEP_4) | instskip(SKIP_1) | instid1(VALU_DEP_3)
	v_fma_f32 v4, v144, v16, -v4
	v_mul_f32_e32 v5, v143, v15
	v_dual_fmac_f32 v164, v151, v126 :: v_dual_add_f32 v1, v1, v157
	s_delay_alu instid0(VALU_DEP_2) | instskip(SKIP_1) | instid1(VALU_DEP_2)
	v_fma_f32 v5, v142, v14, -v5
	v_fmac_f32_e32 v159, v141, v12
	v_dual_add_f32 v1, v1, v158 :: v_dual_add_f32 v2, v2, v5
	s_delay_alu instid0(VALU_DEP_1) | instskip(SKIP_1) | instid1(VALU_DEP_3)
	v_add_f32_e32 v2, v2, v4
	v_mul_f32_e32 v4, v151, v127
	v_add_f32_e32 v1, v1, v159
	s_delay_alu instid0(VALU_DEP_2) | instskip(SKIP_1) | instid1(VALU_DEP_1)
	v_fma_f32 v4, v150, v126, -v4
	v_mul_f32_e32 v5, v149, v21
	v_fma_f32 v5, v148, v20, -v5
	v_mul_f32_e32 v3, v147, v19
	s_delay_alu instid0(VALU_DEP_1) | instskip(NEXT) | instid1(VALU_DEP_1)
	v_fma_f32 v3, v146, v18, -v3
	v_dual_fmac_f32 v161, v145, v16 :: v_dual_add_f32 v2, v2, v3
	v_mul_f32_e32 v3, v153, v129
	s_delay_alu instid0(VALU_DEP_2) | instskip(NEXT) | instid1(VALU_DEP_2)
	v_add_f32_e32 v2, v2, v5
	v_fma_f32 v3, v152, v128, -v3
	s_delay_alu instid0(VALU_DEP_2) | instskip(NEXT) | instid1(VALU_DEP_1)
	v_add_f32_e32 v2, v2, v4
	v_dual_add_f32 v1, v1, v160 :: v_dual_add_f32 v2, v2, v3
	s_delay_alu instid0(VALU_DEP_1) | instskip(NEXT) | instid1(VALU_DEP_1)
	v_add_f32_e32 v1, v1, v161
	v_add_f32_e32 v1, v1, v162
	s_delay_alu instid0(VALU_DEP_1) | instskip(NEXT) | instid1(VALU_DEP_1)
	v_add_f32_e32 v1, v1, v163
	v_add_f32_e32 v1, v1, v164
	s_delay_alu instid0(VALU_DEP_1) | instskip(SKIP_1) | instid1(VALU_DEP_1)
	v_add_f32_e32 v3, v1, v165
	s_wait_loadcnt 0x0
	v_dual_sub_f32 v1, v154, v2 :: v_dual_sub_f32 v2, v155, v3
	scratch_store_b64 off, v[1:2], off offset:304
	v_cmpx_lt_u32_e32 37, v0
	s_cbranch_execz .LBB114_245
; %bb.244:
	scratch_load_b64 v[1:2], off, off offset:296
	v_mov_b32_e32 v3, 0
	s_delay_alu instid0(VALU_DEP_1)
	v_mov_b32_e32 v4, v3
	scratch_store_b64 off, v[3:4], off offset:296
	s_wait_loadcnt 0x0
	ds_store_b64 v23, v[1:2]
.LBB114_245:
	s_wait_alu 0xfffe
	s_or_b32 exec_lo, exec_lo, s0
	s_wait_storecnt_dscnt 0x0
	s_barrier_signal -1
	s_barrier_wait -1
	global_inv scope:SCOPE_SE
	s_clause 0x7
	scratch_load_b128 v[2:5], off, off offset:304
	scratch_load_b128 v[6:9], off, off offset:320
	;; [unrolled: 1-line block ×6, first 2 shown]
	scratch_load_b64 v[154:155], off, off offset:400
	scratch_load_b64 v[156:157], off, off offset:296
	v_mov_b32_e32 v1, 0
	ds_load_b128 v[130:133], v1 offset:720
	ds_load_b128 v[134:137], v1 offset:736
	;; [unrolled: 1-line block ×6, first 2 shown]
	ds_load_b64 v[158:159], v1 offset:816
	s_mov_b32 s0, exec_lo
	s_wait_loadcnt_dscnt 0x706
	v_mul_f32_e32 v22, v130, v3
	v_dual_mul_f32 v3, v131, v3 :: v_dual_mul_f32 v160, v132, v5
	s_wait_loadcnt_dscnt 0x302
	v_dual_mul_f32 v161, v134, v7 :: v_dual_mul_f32 v168, v148, v21
	v_mul_f32_e32 v5, v133, v5
	s_wait_loadcnt_dscnt 0x100
	v_dual_mul_f32 v171, v158, v155 :: v_dual_fmac_f32 v22, v131, v2
	v_fma_f32 v3, v130, v2, -v3
	v_dual_mul_f32 v162, v136, v9 :: v_dual_mul_f32 v163, v138, v11
	v_mul_f32_e32 v2, v135, v7
	s_delay_alu instid0(VALU_DEP_3) | instskip(SKIP_1) | instid1(VALU_DEP_4)
	v_dual_fmac_f32 v160, v133, v4 :: v_dual_add_f32 v3, 0, v3
	v_fma_f32 v4, v132, v4, -v5
	v_dual_add_f32 v5, 0, v22 :: v_dual_fmac_f32 v162, v137, v8
	v_fmac_f32_e32 v161, v135, v6
	v_fma_f32 v2, v134, v6, -v2
	s_delay_alu instid0(VALU_DEP_4) | instskip(SKIP_3) | instid1(VALU_DEP_4)
	v_add_f32_e32 v3, v3, v4
	v_mul_f32_e32 v7, v137, v9
	v_add_f32_e32 v4, v5, v160
	v_dual_mul_f32 v164, v140, v13 :: v_dual_mul_f32 v165, v142, v15
	v_add_f32_e32 v2, v3, v2
	s_delay_alu instid0(VALU_DEP_4)
	v_fma_f32 v6, v136, v8, -v7
	v_mul_f32_e32 v5, v139, v11
	v_add_f32_e32 v3, v4, v161
	v_dual_mul_f32 v4, v141, v13 :: v_dual_fmac_f32 v163, v139, v10
	v_fmac_f32_e32 v164, v141, v12
	v_add_f32_e32 v2, v2, v6
	v_fma_f32 v5, v138, v10, -v5
	v_mul_f32_e32 v6, v143, v15
	v_add_f32_e32 v3, v3, v162
	v_fma_f32 v4, v140, v12, -v4
	v_dual_mul_f32 v166, v144, v17 :: v_dual_mul_f32 v167, v146, v19
	s_delay_alu instid0(VALU_DEP_3) | instskip(SKIP_1) | instid1(VALU_DEP_3)
	v_dual_add_f32 v2, v2, v5 :: v_dual_add_f32 v3, v3, v163
	v_mul_f32_e32 v5, v145, v17
	v_dual_fmac_f32 v165, v143, v14 :: v_dual_fmac_f32 v166, v145, v16
	v_fma_f32 v6, v142, v14, -v6
	s_delay_alu instid0(VALU_DEP_4) | instskip(SKIP_4) | instid1(VALU_DEP_4)
	v_add_f32_e32 v2, v2, v4
	v_add_f32_e32 v3, v3, v164
	v_mul_f32_e32 v4, v147, v19
	v_fma_f32 v5, v144, v16, -v5
	v_fmac_f32_e32 v167, v147, v18
	v_dual_add_f32 v2, v2, v6 :: v_dual_add_f32 v3, v3, v165
	v_fmac_f32_e32 v168, v149, v20
	v_mul_f32_e32 v6, v149, v21
	v_fma_f32 v4, v146, v18, -v4
	s_delay_alu instid0(VALU_DEP_4) | instskip(SKIP_1) | instid1(VALU_DEP_2)
	v_dual_add_f32 v2, v2, v5 :: v_dual_add_f32 v3, v3, v166
	v_dual_mul_f32 v169, v150, v127 :: v_dual_mul_f32 v170, v152, v129
	v_dual_mul_f32 v5, v151, v127 :: v_dual_add_f32 v2, v2, v4
	v_fma_f32 v6, v148, v20, -v6
	s_delay_alu instid0(VALU_DEP_4) | instskip(NEXT) | instid1(VALU_DEP_4)
	v_dual_add_f32 v3, v3, v167 :: v_dual_mul_f32 v4, v153, v129
	v_dual_fmac_f32 v169, v151, v126 :: v_dual_fmac_f32 v170, v153, v128
	s_delay_alu instid0(VALU_DEP_4) | instskip(NEXT) | instid1(VALU_DEP_3)
	v_fma_f32 v5, v150, v126, -v5
	v_dual_add_f32 v2, v2, v6 :: v_dual_add_f32 v3, v3, v168
	v_mul_f32_e32 v6, v159, v155
	v_fma_f32 v4, v152, v128, -v4
	s_delay_alu instid0(VALU_DEP_3) | instskip(NEXT) | instid1(VALU_DEP_4)
	v_dual_fmac_f32 v171, v159, v154 :: v_dual_add_f32 v2, v2, v5
	v_add_f32_e32 v3, v3, v169
	s_delay_alu instid0(VALU_DEP_4) | instskip(NEXT) | instid1(VALU_DEP_2)
	v_fma_f32 v5, v158, v154, -v6
	v_dual_add_f32 v2, v2, v4 :: v_dual_add_f32 v3, v3, v170
	s_delay_alu instid0(VALU_DEP_1) | instskip(SKIP_1) | instid1(VALU_DEP_1)
	v_dual_add_f32 v2, v2, v5 :: v_dual_add_f32 v3, v3, v171
	s_wait_loadcnt 0x0
	v_dual_sub_f32 v2, v156, v2 :: v_dual_sub_f32 v3, v157, v3
	scratch_store_b64 off, v[2:3], off offset:296
	v_cmpx_lt_u32_e32 36, v0
	s_cbranch_execz .LBB114_247
; %bb.246:
	scratch_load_b64 v[3:4], off, off offset:288
	v_mov_b32_e32 v2, v1
	scratch_store_b64 off, v[1:2], off offset:288
	s_wait_loadcnt 0x0
	ds_store_b64 v23, v[3:4]
.LBB114_247:
	s_wait_alu 0xfffe
	s_or_b32 exec_lo, exec_lo, s0
	s_wait_storecnt_dscnt 0x0
	s_barrier_signal -1
	s_barrier_wait -1
	global_inv scope:SCOPE_SE
	s_clause 0x7
	scratch_load_b128 v[2:5], off, off offset:296
	scratch_load_b128 v[6:9], off, off offset:312
	;; [unrolled: 1-line block ×7, first 2 shown]
	scratch_load_b64 v[162:163], off, off offset:288
	ds_load_2addr_b64 v[134:137], v1 offset0:89 offset1:90
	ds_load_2addr_b64 v[138:141], v1 offset0:91 offset1:92
	;; [unrolled: 1-line block ×7, first 2 shown]
	s_mov_b32 s0, exec_lo
	s_wait_loadcnt_dscnt 0x706
	v_dual_mul_f32 v1, v134, v3 :: v_dual_mul_f32 v22, v136, v5
	v_mul_f32_e32 v3, v135, v3
	s_wait_loadcnt_dscnt 0x605
	v_dual_mul_f32 v5, v137, v5 :: v_dual_mul_f32 v164, v138, v7
	s_delay_alu instid0(VALU_DEP_3) | instskip(NEXT) | instid1(VALU_DEP_3)
	v_dual_mul_f32 v165, v140, v9 :: v_dual_fmac_f32 v22, v137, v4
	v_fma_f32 v3, v134, v2, -v3
	v_fmac_f32_e32 v1, v135, v2
	v_mul_f32_e32 v2, v139, v7
	v_fma_f32 v4, v136, v4, -v5
	s_delay_alu instid0(VALU_DEP_4)
	v_dual_fmac_f32 v164, v139, v6 :: v_dual_add_f32 v3, 0, v3
	s_wait_loadcnt_dscnt 0x302
	v_dual_mul_f32 v170, v150, v19 :: v_dual_mul_f32 v171, v152, v21
	v_fma_f32 v2, v138, v6, -v2
	v_dual_mul_f32 v166, v142, v11 :: v_dual_mul_f32 v167, v144, v13
	v_add_f32_e32 v3, v3, v4
	v_dual_mul_f32 v5, v141, v9 :: v_dual_mul_f32 v168, v146, v15
	v_dual_mul_f32 v169, v148, v17 :: v_dual_mul_f32 v4, v143, v11
	s_delay_alu instid0(VALU_DEP_3) | instskip(NEXT) | instid1(VALU_DEP_3)
	v_add_f32_e32 v2, v3, v2
	v_fma_f32 v5, v140, v8, -v5
	v_dual_mul_f32 v3, v145, v13 :: v_dual_fmac_f32 v170, v151, v18
	s_delay_alu instid0(VALU_DEP_4) | instskip(SKIP_1) | instid1(VALU_DEP_4)
	v_fma_f32 v4, v142, v10, -v4
	v_dual_fmac_f32 v165, v141, v8 :: v_dual_fmac_f32 v166, v143, v10
	v_add_f32_e32 v2, v2, v5
	v_add_f32_e32 v1, 0, v1
	v_fma_f32 v3, v144, v12, -v3
	v_fmac_f32_e32 v168, v147, v14
	s_wait_loadcnt_dscnt 0x201
	v_dual_mul_f32 v172, v154, v127 :: v_dual_mul_f32 v173, v156, v129
	v_dual_add_f32 v1, v1, v22 :: v_dual_add_f32 v2, v2, v4
	v_mul_f32_e32 v4, v149, v17
	s_wait_loadcnt_dscnt 0x100
	v_dual_mul_f32 v174, v158, v131 :: v_dual_mul_f32 v175, v160, v133
	s_delay_alu instid0(VALU_DEP_3) | instskip(NEXT) | instid1(VALU_DEP_3)
	v_dual_add_f32 v1, v1, v164 :: v_dual_add_f32 v2, v2, v3
	v_fma_f32 v4, v148, v16, -v4
	v_mul_f32_e32 v5, v147, v15
	v_fmac_f32_e32 v173, v157, v128
	s_delay_alu instid0(VALU_DEP_4) | instskip(SKIP_1) | instid1(VALU_DEP_4)
	v_add_f32_e32 v1, v1, v165
	v_dual_fmac_f32 v175, v161, v132 :: v_dual_fmac_f32 v172, v155, v126
	v_fma_f32 v5, v146, v14, -v5
	v_fmac_f32_e32 v167, v145, v12
	s_delay_alu instid0(VALU_DEP_4) | instskip(SKIP_1) | instid1(VALU_DEP_4)
	v_add_f32_e32 v1, v1, v166
	v_fmac_f32_e32 v174, v159, v130
	v_add_f32_e32 v2, v2, v5
	s_delay_alu instid0(VALU_DEP_1) | instskip(SKIP_2) | instid1(VALU_DEP_2)
	v_add_f32_e32 v2, v2, v4
	v_mul_f32_e32 v4, v155, v127
	v_add_f32_e32 v1, v1, v167
	v_fma_f32 v4, v154, v126, -v4
	v_mul_f32_e32 v5, v153, v21
	s_delay_alu instid0(VALU_DEP_3) | instskip(NEXT) | instid1(VALU_DEP_2)
	v_add_f32_e32 v1, v1, v168
	v_fma_f32 v5, v152, v20, -v5
	v_mul_f32_e32 v3, v151, v19
	s_delay_alu instid0(VALU_DEP_1) | instskip(NEXT) | instid1(VALU_DEP_1)
	v_fma_f32 v3, v150, v18, -v3
	v_dual_fmac_f32 v169, v149, v16 :: v_dual_add_f32 v2, v2, v3
	v_mul_f32_e32 v3, v157, v129
	s_delay_alu instid0(VALU_DEP_2) | instskip(NEXT) | instid1(VALU_DEP_2)
	v_dual_add_f32 v2, v2, v5 :: v_dual_mul_f32 v5, v159, v131
	v_fma_f32 v3, v156, v128, -v3
	s_delay_alu instid0(VALU_DEP_2) | instskip(SKIP_1) | instid1(VALU_DEP_4)
	v_dual_add_f32 v2, v2, v4 :: v_dual_add_f32 v1, v1, v169
	v_mul_f32_e32 v4, v161, v133
	v_fma_f32 v5, v158, v130, -v5
	s_delay_alu instid0(VALU_DEP_3) | instskip(NEXT) | instid1(VALU_DEP_3)
	v_dual_add_f32 v2, v2, v3 :: v_dual_fmac_f32 v171, v153, v20
	v_fma_f32 v3, v160, v132, -v4
	s_delay_alu instid0(VALU_DEP_2) | instskip(NEXT) | instid1(VALU_DEP_1)
	v_dual_add_f32 v2, v2, v5 :: v_dual_add_f32 v1, v1, v170
	v_add_f32_e32 v2, v2, v3
	s_delay_alu instid0(VALU_DEP_2) | instskip(NEXT) | instid1(VALU_DEP_1)
	v_add_f32_e32 v1, v1, v171
	v_add_f32_e32 v1, v1, v172
	s_delay_alu instid0(VALU_DEP_1) | instskip(NEXT) | instid1(VALU_DEP_1)
	v_add_f32_e32 v1, v1, v173
	v_add_f32_e32 v1, v1, v174
	s_delay_alu instid0(VALU_DEP_1) | instskip(SKIP_1) | instid1(VALU_DEP_1)
	v_add_f32_e32 v3, v1, v175
	s_wait_loadcnt 0x0
	v_dual_sub_f32 v1, v162, v2 :: v_dual_sub_f32 v2, v163, v3
	scratch_store_b64 off, v[1:2], off offset:288
	v_cmpx_lt_u32_e32 35, v0
	s_cbranch_execz .LBB114_249
; %bb.248:
	scratch_load_b64 v[1:2], off, off offset:280
	v_mov_b32_e32 v3, 0
	s_delay_alu instid0(VALU_DEP_1)
	v_mov_b32_e32 v4, v3
	scratch_store_b64 off, v[3:4], off offset:280
	s_wait_loadcnt 0x0
	ds_store_b64 v23, v[1:2]
.LBB114_249:
	s_wait_alu 0xfffe
	s_or_b32 exec_lo, exec_lo, s0
	s_wait_storecnt_dscnt 0x0
	s_barrier_signal -1
	s_barrier_wait -1
	global_inv scope:SCOPE_SE
	s_clause 0x8
	scratch_load_b128 v[2:5], off, off offset:288
	scratch_load_b128 v[6:9], off, off offset:304
	;; [unrolled: 1-line block ×7, first 2 shown]
	scratch_load_b64 v[162:163], off, off offset:400
	scratch_load_b64 v[164:165], off, off offset:280
	v_mov_b32_e32 v1, 0
	ds_load_b128 v[134:137], v1 offset:704
	ds_load_b128 v[138:141], v1 offset:720
	;; [unrolled: 1-line block ×7, first 2 shown]
	ds_load_b64 v[166:167], v1 offset:816
	s_mov_b32 s0, exec_lo
	s_wait_loadcnt_dscnt 0x807
	v_mul_f32_e32 v22, v134, v3
	v_dual_mul_f32 v3, v135, v3 :: v_dual_mul_f32 v168, v136, v5
	s_wait_loadcnt_dscnt 0x706
	v_mul_f32_e32 v169, v138, v7
	v_mul_f32_e32 v5, v137, v5
	s_wait_loadcnt_dscnt 0x302
	v_mul_f32_e32 v178, v156, v129
	v_fma_f32 v3, v134, v2, -v3
	s_wait_loadcnt_dscnt 0x100
	v_dual_mul_f32 v181, v166, v163 :: v_dual_fmac_f32 v22, v135, v2
	v_mul_f32_e32 v2, v139, v7
	s_delay_alu instid0(VALU_DEP_3) | instskip(SKIP_4) | instid1(VALU_DEP_4)
	v_dual_fmac_f32 v168, v137, v4 :: v_dual_add_f32 v3, 0, v3
	v_fma_f32 v4, v136, v4, -v5
	v_dual_mul_f32 v170, v140, v9 :: v_dual_mul_f32 v171, v142, v11
	v_add_f32_e32 v5, 0, v22
	v_fma_f32 v2, v138, v6, -v2
	v_add_f32_e32 v3, v3, v4
	v_mul_f32_e32 v7, v141, v9
	v_dual_fmac_f32 v170, v141, v8 :: v_dual_fmac_f32 v169, v139, v6
	v_add_f32_e32 v4, v5, v168
	s_delay_alu instid0(VALU_DEP_4) | instskip(NEXT) | instid1(VALU_DEP_4)
	v_add_f32_e32 v2, v3, v2
	v_fma_f32 v6, v140, v8, -v7
	v_dual_mul_f32 v5, v143, v11 :: v_dual_mul_f32 v172, v144, v13
	v_mul_f32_e32 v173, v146, v15
	v_add_f32_e32 v3, v4, v169
	v_mul_f32_e32 v4, v145, v13
	v_add_f32_e32 v2, v2, v6
	v_fma_f32 v5, v142, v10, -v5
	v_dual_fmac_f32 v171, v143, v10 :: v_dual_fmac_f32 v172, v145, v12
	v_mul_f32_e32 v6, v147, v15
	s_delay_alu instid0(VALU_DEP_3) | instskip(SKIP_2) | instid1(VALU_DEP_4)
	v_dual_add_f32 v3, v3, v170 :: v_dual_add_f32 v2, v2, v5
	v_fma_f32 v4, v144, v12, -v4
	v_mul_f32_e32 v5, v149, v17
	v_fma_f32 v6, v146, v14, -v6
	s_delay_alu instid0(VALU_DEP_4) | instskip(SKIP_3) | instid1(VALU_DEP_4)
	v_dual_add_f32 v3, v3, v171 :: v_dual_mul_f32 v174, v148, v17
	v_mul_f32_e32 v175, v150, v19
	v_add_f32_e32 v2, v2, v4
	v_dual_mul_f32 v176, v152, v21 :: v_dual_mul_f32 v177, v154, v127
	v_dual_fmac_f32 v173, v147, v14 :: v_dual_fmac_f32 v174, v149, v16
	s_delay_alu instid0(VALU_DEP_3) | instskip(SKIP_3) | instid1(VALU_DEP_4)
	v_dual_add_f32 v3, v3, v172 :: v_dual_add_f32 v2, v2, v6
	v_mul_f32_e32 v4, v151, v19
	v_fma_f32 v5, v148, v16, -v5
	v_dual_mul_f32 v6, v153, v21 :: v_dual_fmac_f32 v175, v151, v18
	v_dual_add_f32 v3, v3, v173 :: v_dual_fmac_f32 v176, v153, v20
	s_delay_alu instid0(VALU_DEP_4) | instskip(NEXT) | instid1(VALU_DEP_4)
	v_fma_f32 v4, v150, v18, -v4
	v_add_f32_e32 v2, v2, v5
	s_delay_alu instid0(VALU_DEP_4) | instskip(NEXT) | instid1(VALU_DEP_4)
	v_fma_f32 v6, v152, v20, -v6
	v_add_f32_e32 v3, v3, v174
	v_mul_f32_e32 v5, v155, v127
	v_dual_mul_f32 v179, v158, v131 :: v_dual_mul_f32 v180, v160, v133
	s_delay_alu instid0(VALU_DEP_3) | instskip(SKIP_1) | instid1(VALU_DEP_4)
	v_dual_add_f32 v2, v2, v4 :: v_dual_add_f32 v3, v3, v175
	v_mul_f32_e32 v4, v157, v129
	v_fma_f32 v5, v154, v126, -v5
	v_dual_fmac_f32 v177, v155, v126 :: v_dual_fmac_f32 v178, v157, v128
	s_delay_alu instid0(VALU_DEP_4) | instskip(SKIP_2) | instid1(VALU_DEP_3)
	v_dual_add_f32 v2, v2, v6 :: v_dual_add_f32 v3, v3, v176
	v_mul_f32_e32 v6, v159, v131
	v_fma_f32 v4, v156, v128, -v4
	v_dual_fmac_f32 v179, v159, v130 :: v_dual_add_f32 v2, v2, v5
	s_delay_alu instid0(VALU_DEP_4) | instskip(SKIP_3) | instid1(VALU_DEP_4)
	v_add_f32_e32 v3, v3, v177
	v_mul_f32_e32 v5, v161, v133
	v_fma_f32 v6, v158, v130, -v6
	v_fmac_f32_e32 v180, v161, v132
	v_dual_add_f32 v2, v2, v4 :: v_dual_add_f32 v3, v3, v178
	v_mul_f32_e32 v4, v167, v163
	v_fma_f32 v5, v160, v132, -v5
	s_delay_alu instid0(VALU_DEP_3) | instskip(SKIP_1) | instid1(VALU_DEP_4)
	v_dual_add_f32 v2, v2, v6 :: v_dual_add_f32 v3, v3, v179
	v_fmac_f32_e32 v181, v167, v162
	v_fma_f32 v4, v166, v162, -v4
	s_delay_alu instid0(VALU_DEP_3) | instskip(NEXT) | instid1(VALU_DEP_1)
	v_add_f32_e32 v2, v2, v5
	v_add_f32_e32 v2, v2, v4
	s_wait_loadcnt 0x0
	s_delay_alu instid0(VALU_DEP_1) | instskip(NEXT) | instid1(VALU_DEP_1)
	v_dual_add_f32 v3, v3, v180 :: v_dual_sub_f32 v2, v164, v2
	v_add_f32_e32 v3, v3, v181
	s_delay_alu instid0(VALU_DEP_1)
	v_sub_f32_e32 v3, v165, v3
	scratch_store_b64 off, v[2:3], off offset:280
	v_cmpx_lt_u32_e32 34, v0
	s_cbranch_execz .LBB114_251
; %bb.250:
	scratch_load_b64 v[3:4], off, off offset:272
	v_mov_b32_e32 v2, v1
	scratch_store_b64 off, v[1:2], off offset:272
	s_wait_loadcnt 0x0
	ds_store_b64 v23, v[3:4]
.LBB114_251:
	s_wait_alu 0xfffe
	s_or_b32 exec_lo, exec_lo, s0
	s_wait_storecnt_dscnt 0x0
	s_barrier_signal -1
	s_barrier_wait -1
	global_inv scope:SCOPE_SE
	s_clause 0x8
	scratch_load_b128 v[2:5], off, off offset:280
	scratch_load_b128 v[6:9], off, off offset:296
	;; [unrolled: 1-line block ×8, first 2 shown]
	scratch_load_b64 v[170:171], off, off offset:272
	ds_load_2addr_b64 v[138:141], v1 offset0:87 offset1:88
	ds_load_2addr_b64 v[142:145], v1 offset0:89 offset1:90
	;; [unrolled: 1-line block ×8, first 2 shown]
	s_mov_b32 s0, exec_lo
	s_wait_loadcnt_dscnt 0x807
	v_dual_mul_f32 v1, v138, v3 :: v_dual_mul_f32 v22, v140, v5
	v_mul_f32_e32 v3, v139, v3
	s_wait_loadcnt_dscnt 0x706
	v_dual_mul_f32 v5, v141, v5 :: v_dual_mul_f32 v172, v142, v7
	s_delay_alu instid0(VALU_DEP_3) | instskip(NEXT) | instid1(VALU_DEP_3)
	v_dual_mul_f32 v173, v144, v9 :: v_dual_fmac_f32 v22, v141, v4
	v_fma_f32 v3, v138, v2, -v3
	v_fmac_f32_e32 v1, v139, v2
	v_mul_f32_e32 v2, v143, v7
	v_fma_f32 v4, v140, v4, -v5
	s_delay_alu instid0(VALU_DEP_4)
	v_dual_fmac_f32 v172, v143, v6 :: v_dual_add_f32 v3, 0, v3
	s_wait_loadcnt_dscnt 0x403
	v_dual_mul_f32 v178, v154, v19 :: v_dual_mul_f32 v179, v156, v21
	v_fma_f32 v2, v142, v6, -v2
	v_dual_mul_f32 v174, v146, v11 :: v_dual_mul_f32 v175, v148, v13
	v_add_f32_e32 v3, v3, v4
	v_dual_mul_f32 v5, v145, v9 :: v_dual_mul_f32 v176, v150, v15
	v_dual_mul_f32 v177, v152, v17 :: v_dual_mul_f32 v4, v147, v11
	s_delay_alu instid0(VALU_DEP_3) | instskip(NEXT) | instid1(VALU_DEP_3)
	v_add_f32_e32 v2, v3, v2
	v_fma_f32 v5, v144, v8, -v5
	v_dual_mul_f32 v3, v149, v13 :: v_dual_fmac_f32 v178, v155, v18
	s_delay_alu instid0(VALU_DEP_4) | instskip(SKIP_1) | instid1(VALU_DEP_4)
	v_fma_f32 v4, v146, v10, -v4
	v_dual_fmac_f32 v173, v145, v8 :: v_dual_fmac_f32 v174, v147, v10
	v_add_f32_e32 v2, v2, v5
	v_add_f32_e32 v1, 0, v1
	v_fma_f32 v3, v148, v12, -v3
	v_fmac_f32_e32 v176, v151, v14
	s_wait_loadcnt_dscnt 0x302
	v_dual_mul_f32 v180, v158, v127 :: v_dual_mul_f32 v181, v160, v129
	v_dual_add_f32 v1, v1, v22 :: v_dual_add_f32 v2, v2, v4
	v_mul_f32_e32 v4, v153, v17
	s_wait_loadcnt_dscnt 0x100
	v_dual_mul_f32 v184, v166, v135 :: v_dual_mul_f32 v185, v168, v137
	s_delay_alu instid0(VALU_DEP_3) | instskip(NEXT) | instid1(VALU_DEP_3)
	v_dual_add_f32 v1, v1, v172 :: v_dual_add_f32 v2, v2, v3
	v_fma_f32 v4, v152, v16, -v4
	v_mul_f32_e32 v5, v151, v15
	v_dual_mul_f32 v182, v162, v131 :: v_dual_mul_f32 v183, v164, v133
	s_delay_alu instid0(VALU_DEP_4) | instskip(SKIP_1) | instid1(VALU_DEP_4)
	v_add_f32_e32 v1, v1, v173
	v_fmac_f32_e32 v185, v169, v136
	v_fma_f32 v5, v150, v14, -v5
	v_dual_fmac_f32 v175, v149, v12 :: v_dual_fmac_f32 v180, v159, v126
	s_delay_alu instid0(VALU_DEP_4) | instskip(NEXT) | instid1(VALU_DEP_3)
	v_add_f32_e32 v1, v1, v174
	v_dual_fmac_f32 v183, v165, v132 :: v_dual_add_f32 v2, v2, v5
	v_fmac_f32_e32 v182, v163, v130
	v_fmac_f32_e32 v184, v167, v134
	s_delay_alu instid0(VALU_DEP_3) | instskip(SKIP_2) | instid1(VALU_DEP_2)
	v_add_f32_e32 v2, v2, v4
	v_mul_f32_e32 v4, v159, v127
	v_add_f32_e32 v1, v1, v175
	v_fma_f32 v4, v158, v126, -v4
	v_mul_f32_e32 v5, v157, v21
	s_delay_alu instid0(VALU_DEP_3) | instskip(NEXT) | instid1(VALU_DEP_2)
	v_add_f32_e32 v1, v1, v176
	v_fma_f32 v5, v156, v20, -v5
	v_mul_f32_e32 v3, v155, v19
	s_delay_alu instid0(VALU_DEP_1) | instskip(NEXT) | instid1(VALU_DEP_1)
	v_fma_f32 v3, v154, v18, -v3
	v_dual_fmac_f32 v177, v153, v16 :: v_dual_add_f32 v2, v2, v3
	v_mul_f32_e32 v3, v161, v129
	s_delay_alu instid0(VALU_DEP_2) | instskip(NEXT) | instid1(VALU_DEP_2)
	v_dual_add_f32 v2, v2, v5 :: v_dual_mul_f32 v5, v163, v131
	v_fma_f32 v3, v160, v128, -v3
	s_delay_alu instid0(VALU_DEP_2) | instskip(SKIP_1) | instid1(VALU_DEP_4)
	v_dual_add_f32 v2, v2, v4 :: v_dual_add_f32 v1, v1, v177
	v_mul_f32_e32 v4, v165, v133
	v_fma_f32 v5, v162, v130, -v5
	s_delay_alu instid0(VALU_DEP_3) | instskip(SKIP_1) | instid1(VALU_DEP_4)
	v_dual_add_f32 v2, v2, v3 :: v_dual_fmac_f32 v179, v157, v20
	v_mul_f32_e32 v3, v167, v135
	v_fma_f32 v4, v164, v132, -v4
	s_delay_alu instid0(VALU_DEP_3) | instskip(SKIP_1) | instid1(VALU_DEP_4)
	v_dual_add_f32 v2, v2, v5 :: v_dual_add_f32 v1, v1, v178
	v_mul_f32_e32 v5, v169, v137
	v_fma_f32 v3, v166, v134, -v3
	s_delay_alu instid0(VALU_DEP_3) | instskip(SKIP_1) | instid1(VALU_DEP_4)
	v_add_f32_e32 v2, v2, v4
	v_fmac_f32_e32 v181, v161, v128
	v_fma_f32 v4, v168, v136, -v5
	s_delay_alu instid0(VALU_DEP_3) | instskip(NEXT) | instid1(VALU_DEP_1)
	v_add_f32_e32 v2, v2, v3
	v_dual_add_f32 v1, v1, v179 :: v_dual_add_f32 v2, v2, v4
	s_delay_alu instid0(VALU_DEP_1) | instskip(NEXT) | instid1(VALU_DEP_1)
	v_add_f32_e32 v1, v1, v180
	v_add_f32_e32 v1, v1, v181
	s_delay_alu instid0(VALU_DEP_1) | instskip(NEXT) | instid1(VALU_DEP_1)
	v_add_f32_e32 v1, v1, v182
	v_add_f32_e32 v1, v1, v183
	;; [unrolled: 3-line block ×3, first 2 shown]
	s_wait_loadcnt 0x0
	s_delay_alu instid0(VALU_DEP_1)
	v_dual_sub_f32 v1, v170, v2 :: v_dual_sub_f32 v2, v171, v3
	scratch_store_b64 off, v[1:2], off offset:272
	v_cmpx_lt_u32_e32 33, v0
	s_cbranch_execz .LBB114_253
; %bb.252:
	scratch_load_b64 v[1:2], off, off offset:264
	v_mov_b32_e32 v3, 0
	s_delay_alu instid0(VALU_DEP_1)
	v_mov_b32_e32 v4, v3
	scratch_store_b64 off, v[3:4], off offset:264
	s_wait_loadcnt 0x0
	ds_store_b64 v23, v[1:2]
.LBB114_253:
	s_wait_alu 0xfffe
	s_or_b32 exec_lo, exec_lo, s0
	s_wait_storecnt_dscnt 0x0
	s_barrier_signal -1
	s_barrier_wait -1
	global_inv scope:SCOPE_SE
	s_clause 0x9
	scratch_load_b128 v[2:5], off, off offset:272
	scratch_load_b128 v[6:9], off, off offset:288
	scratch_load_b128 v[10:13], off, off offset:304
	scratch_load_b128 v[14:17], off, off offset:320
	scratch_load_b128 v[18:21], off, off offset:336
	scratch_load_b128 v[126:129], off, off offset:352
	scratch_load_b128 v[130:133], off, off offset:368
	scratch_load_b128 v[134:137], off, off offset:384
	scratch_load_b64 v[170:171], off, off offset:400
	scratch_load_b64 v[172:173], off, off offset:264
	v_mov_b32_e32 v1, 0
	ds_load_b128 v[138:141], v1 offset:688
	ds_load_b128 v[142:145], v1 offset:704
	;; [unrolled: 1-line block ×8, first 2 shown]
	ds_load_b64 v[174:175], v1 offset:816
	s_mov_b32 s0, exec_lo
	s_wait_loadcnt_dscnt 0x908
	v_mul_f32_e32 v22, v138, v3
	s_wait_loadcnt_dscnt 0x807
	v_dual_mul_f32 v176, v140, v5 :: v_dual_mul_f32 v177, v142, v7
	v_mul_f32_e32 v3, v139, v3
	s_delay_alu instid0(VALU_DEP_3)
	v_dual_mul_f32 v5, v141, v5 :: v_dual_fmac_f32 v22, v139, v2
	s_wait_loadcnt_dscnt 0x302
	v_mul_f32_e32 v188, v164, v133
	v_dual_mul_f32 v178, v144, v9 :: v_dual_mul_f32 v179, v146, v11
	s_wait_loadcnt_dscnt 0x100
	v_mul_f32_e32 v191, v174, v171
	v_fma_f32 v3, v138, v2, -v3
	v_mul_f32_e32 v2, v143, v7
	v_fmac_f32_e32 v176, v141, v4
	v_fma_f32 v4, v140, v4, -v5
	v_dual_add_f32 v5, 0, v22 :: v_dual_fmac_f32 v178, v145, v8
	v_add_f32_e32 v3, 0, v3
	v_fmac_f32_e32 v177, v143, v6
	v_fma_f32 v2, v142, v6, -v2
	v_dual_mul_f32 v180, v148, v13 :: v_dual_mul_f32 v181, v150, v15
	s_delay_alu instid0(VALU_DEP_4) | instskip(SKIP_2) | instid1(VALU_DEP_4)
	v_add_f32_e32 v3, v3, v4
	v_mul_f32_e32 v7, v145, v9
	v_dual_add_f32 v4, v5, v176 :: v_dual_fmac_f32 v179, v147, v10
	v_fmac_f32_e32 v180, v149, v12
	s_delay_alu instid0(VALU_DEP_4) | instskip(NEXT) | instid1(VALU_DEP_4)
	v_add_f32_e32 v2, v3, v2
	v_fma_f32 v6, v144, v8, -v7
	v_mul_f32_e32 v5, v147, v11
	v_add_f32_e32 v3, v4, v177
	v_mul_f32_e32 v4, v149, v13
	v_dual_mul_f32 v182, v152, v17 :: v_dual_mul_f32 v183, v154, v19
	v_add_f32_e32 v2, v2, v6
	v_fma_f32 v5, v146, v10, -v5
	v_mul_f32_e32 v6, v151, v15
	v_add_f32_e32 v3, v3, v178
	v_fma_f32 v4, v148, v12, -v4
	v_dual_fmac_f32 v181, v151, v14 :: v_dual_fmac_f32 v182, v153, v16
	s_delay_alu instid0(VALU_DEP_3) | instskip(SKIP_3) | instid1(VALU_DEP_4)
	v_dual_add_f32 v2, v2, v5 :: v_dual_add_f32 v3, v3, v179
	v_mul_f32_e32 v5, v153, v17
	v_fma_f32 v6, v150, v14, -v6
	v_dual_mul_f32 v184, v156, v21 :: v_dual_mul_f32 v185, v158, v127
	v_add_f32_e32 v2, v2, v4
	v_add_f32_e32 v3, v3, v180
	v_mul_f32_e32 v4, v155, v19
	v_fma_f32 v5, v152, v16, -v5
	v_fmac_f32_e32 v183, v155, v18
	s_delay_alu instid0(VALU_DEP_4) | instskip(SKIP_3) | instid1(VALU_DEP_4)
	v_dual_add_f32 v2, v2, v6 :: v_dual_add_f32 v3, v3, v181
	v_fmac_f32_e32 v184, v157, v20
	v_mul_f32_e32 v6, v157, v21
	v_fma_f32 v4, v154, v18, -v4
	v_dual_add_f32 v2, v2, v5 :: v_dual_add_f32 v3, v3, v182
	v_mul_f32_e32 v5, v159, v127
	s_delay_alu instid0(VALU_DEP_4) | instskip(SKIP_1) | instid1(VALU_DEP_4)
	v_fma_f32 v6, v156, v20, -v6
	v_dual_mul_f32 v186, v160, v129 :: v_dual_mul_f32 v187, v162, v131
	v_dual_add_f32 v2, v2, v4 :: v_dual_add_f32 v3, v3, v183
	v_dual_mul_f32 v4, v161, v129 :: v_dual_fmac_f32 v185, v159, v126
	s_delay_alu instid0(VALU_DEP_3) | instskip(SKIP_1) | instid1(VALU_DEP_4)
	v_fmac_f32_e32 v186, v161, v128
	v_fma_f32 v5, v158, v126, -v5
	v_dual_add_f32 v2, v2, v6 :: v_dual_add_f32 v3, v3, v184
	v_mul_f32_e32 v6, v163, v131
	v_fma_f32 v4, v160, v128, -v4
	s_delay_alu instid0(VALU_DEP_3) | instskip(NEXT) | instid1(VALU_DEP_4)
	v_dual_fmac_f32 v187, v163, v130 :: v_dual_add_f32 v2, v2, v5
	v_add_f32_e32 v3, v3, v185
	v_mul_f32_e32 v5, v165, v133
	v_fma_f32 v6, v162, v130, -v6
	v_dual_mul_f32 v189, v166, v135 :: v_dual_mul_f32 v190, v168, v137
	s_delay_alu instid0(VALU_DEP_4) | instskip(SKIP_3) | instid1(VALU_DEP_4)
	v_dual_add_f32 v2, v2, v4 :: v_dual_add_f32 v3, v3, v186
	v_fmac_f32_e32 v188, v165, v132
	v_mul_f32_e32 v4, v167, v135
	v_fma_f32 v5, v164, v132, -v5
	v_dual_add_f32 v2, v2, v6 :: v_dual_add_f32 v3, v3, v187
	v_dual_mul_f32 v6, v169, v137 :: v_dual_fmac_f32 v189, v167, v134
	s_delay_alu instid0(VALU_DEP_4) | instskip(NEXT) | instid1(VALU_DEP_3)
	v_fma_f32 v4, v166, v134, -v4
	v_dual_add_f32 v2, v2, v5 :: v_dual_add_f32 v3, v3, v188
	v_dual_mul_f32 v5, v175, v171 :: v_dual_fmac_f32 v190, v169, v136
	s_delay_alu instid0(VALU_DEP_4) | instskip(NEXT) | instid1(VALU_DEP_3)
	v_fma_f32 v6, v168, v136, -v6
	v_dual_add_f32 v2, v2, v4 :: v_dual_add_f32 v3, v3, v189
	s_delay_alu instid0(VALU_DEP_3) | instskip(NEXT) | instid1(VALU_DEP_2)
	v_fma_f32 v4, v174, v170, -v5
	v_add_f32_e32 v3, v3, v190
	s_delay_alu instid0(VALU_DEP_3) | instskip(NEXT) | instid1(VALU_DEP_1)
	v_add_f32_e32 v2, v2, v6
	v_dual_fmac_f32 v191, v175, v170 :: v_dual_add_f32 v2, v2, v4
	s_wait_loadcnt 0x0
	s_delay_alu instid0(VALU_DEP_1) | instskip(NEXT) | instid1(VALU_DEP_1)
	v_dual_add_f32 v3, v3, v191 :: v_dual_sub_f32 v2, v172, v2
	v_sub_f32_e32 v3, v173, v3
	scratch_store_b64 off, v[2:3], off offset:264
	v_cmpx_lt_u32_e32 32, v0
	s_cbranch_execz .LBB114_255
; %bb.254:
	scratch_load_b64 v[3:4], off, off offset:256
	v_mov_b32_e32 v2, v1
	scratch_store_b64 off, v[1:2], off offset:256
	s_wait_loadcnt 0x0
	ds_store_b64 v23, v[3:4]
.LBB114_255:
	s_wait_alu 0xfffe
	s_or_b32 exec_lo, exec_lo, s0
	s_wait_storecnt_dscnt 0x0
	s_barrier_signal -1
	s_barrier_wait -1
	global_inv scope:SCOPE_SE
	s_clause 0x9
	scratch_load_b128 v[2:5], off, off offset:264
	scratch_load_b128 v[6:9], off, off offset:280
	scratch_load_b128 v[10:13], off, off offset:296
	scratch_load_b128 v[14:17], off, off offset:312
	scratch_load_b128 v[18:21], off, off offset:328
	scratch_load_b128 v[126:129], off, off offset:344
	scratch_load_b128 v[130:133], off, off offset:360
	scratch_load_b128 v[134:137], off, off offset:376
	scratch_load_b128 v[138:141], off, off offset:392
	scratch_load_b64 v[178:179], off, off offset:256
	ds_load_2addr_b64 v[142:145], v1 offset0:85 offset1:86
	ds_load_2addr_b64 v[146:149], v1 offset0:87 offset1:88
	;; [unrolled: 1-line block ×9, first 2 shown]
	s_mov_b32 s0, exec_lo
	s_wait_loadcnt_dscnt 0x908
	v_dual_mul_f32 v1, v142, v3 :: v_dual_mul_f32 v22, v144, v5
	v_mul_f32_e32 v3, v143, v3
	s_wait_loadcnt_dscnt 0x807
	v_dual_mul_f32 v5, v145, v5 :: v_dual_mul_f32 v180, v146, v7
	s_delay_alu instid0(VALU_DEP_3) | instskip(NEXT) | instid1(VALU_DEP_3)
	v_dual_mul_f32 v181, v148, v9 :: v_dual_fmac_f32 v22, v145, v4
	v_fma_f32 v3, v142, v2, -v3
	v_fmac_f32_e32 v1, v143, v2
	v_mul_f32_e32 v2, v147, v7
	v_fma_f32 v4, v144, v4, -v5
	s_delay_alu instid0(VALU_DEP_4)
	v_dual_fmac_f32 v180, v147, v6 :: v_dual_add_f32 v3, 0, v3
	s_wait_loadcnt_dscnt 0x504
	v_dual_mul_f32 v186, v158, v19 :: v_dual_mul_f32 v187, v160, v21
	v_fma_f32 v2, v146, v6, -v2
	v_dual_mul_f32 v182, v150, v11 :: v_dual_mul_f32 v183, v152, v13
	v_add_f32_e32 v3, v3, v4
	v_dual_mul_f32 v5, v149, v9 :: v_dual_mul_f32 v184, v154, v15
	v_dual_mul_f32 v185, v156, v17 :: v_dual_mul_f32 v4, v151, v11
	s_delay_alu instid0(VALU_DEP_3) | instskip(NEXT) | instid1(VALU_DEP_3)
	v_add_f32_e32 v2, v3, v2
	v_fma_f32 v5, v148, v8, -v5
	v_dual_mul_f32 v3, v153, v13 :: v_dual_fmac_f32 v186, v159, v18
	s_delay_alu instid0(VALU_DEP_4) | instskip(SKIP_1) | instid1(VALU_DEP_4)
	v_fma_f32 v4, v150, v10, -v4
	v_dual_fmac_f32 v181, v149, v8 :: v_dual_fmac_f32 v182, v151, v10
	v_add_f32_e32 v2, v2, v5
	v_add_f32_e32 v1, 0, v1
	v_fma_f32 v3, v152, v12, -v3
	v_fmac_f32_e32 v184, v155, v14
	s_wait_loadcnt_dscnt 0x403
	v_dual_mul_f32 v188, v162, v127 :: v_dual_mul_f32 v189, v164, v129
	v_dual_add_f32 v1, v1, v22 :: v_dual_add_f32 v2, v2, v4
	v_mul_f32_e32 v4, v157, v17
	s_wait_loadcnt_dscnt 0x201
	v_dual_mul_f32 v192, v170, v135 :: v_dual_mul_f32 v193, v172, v137
	s_delay_alu instid0(VALU_DEP_3) | instskip(NEXT) | instid1(VALU_DEP_3)
	v_dual_add_f32 v1, v1, v180 :: v_dual_add_f32 v2, v2, v3
	v_fma_f32 v4, v156, v16, -v4
	v_mul_f32_e32 v5, v155, v15
	v_dual_mul_f32 v190, v166, v131 :: v_dual_mul_f32 v191, v168, v133
	s_wait_loadcnt_dscnt 0x100
	v_dual_add_f32 v1, v1, v181 :: v_dual_mul_f32 v194, v174, v139
	v_mul_f32_e32 v195, v176, v141
	v_fma_f32 v5, v154, v14, -v5
	v_fmac_f32_e32 v183, v153, v12
	s_delay_alu instid0(VALU_DEP_4) | instskip(SKIP_1) | instid1(VALU_DEP_4)
	v_add_f32_e32 v1, v1, v182
	v_dual_fmac_f32 v188, v163, v126 :: v_dual_fmac_f32 v189, v165, v128
	v_add_f32_e32 v2, v2, v5
	v_dual_fmac_f32 v190, v167, v130 :: v_dual_fmac_f32 v193, v173, v136
	v_dual_fmac_f32 v195, v177, v140 :: v_dual_fmac_f32 v192, v171, v134
	s_delay_alu instid0(VALU_DEP_3) | instskip(SKIP_2) | instid1(VALU_DEP_2)
	v_add_f32_e32 v2, v2, v4
	v_mul_f32_e32 v4, v163, v127
	v_dual_add_f32 v1, v1, v183 :: v_dual_fmac_f32 v194, v175, v138
	v_fma_f32 v4, v162, v126, -v4
	v_mul_f32_e32 v5, v161, v21
	s_delay_alu instid0(VALU_DEP_3) | instskip(NEXT) | instid1(VALU_DEP_2)
	v_add_f32_e32 v1, v1, v184
	v_fma_f32 v5, v160, v20, -v5
	v_mul_f32_e32 v3, v159, v19
	s_delay_alu instid0(VALU_DEP_1) | instskip(NEXT) | instid1(VALU_DEP_1)
	v_fma_f32 v3, v158, v18, -v3
	v_dual_fmac_f32 v185, v157, v16 :: v_dual_add_f32 v2, v2, v3
	v_mul_f32_e32 v3, v165, v129
	s_delay_alu instid0(VALU_DEP_2) | instskip(NEXT) | instid1(VALU_DEP_2)
	v_dual_add_f32 v2, v2, v5 :: v_dual_mul_f32 v5, v167, v131
	v_fma_f32 v3, v164, v128, -v3
	s_delay_alu instid0(VALU_DEP_2) | instskip(SKIP_1) | instid1(VALU_DEP_4)
	v_dual_add_f32 v2, v2, v4 :: v_dual_add_f32 v1, v1, v185
	v_mul_f32_e32 v4, v169, v133
	v_fma_f32 v5, v166, v130, -v5
	s_delay_alu instid0(VALU_DEP_3) | instskip(NEXT) | instid1(VALU_DEP_3)
	v_dual_add_f32 v2, v2, v3 :: v_dual_fmac_f32 v187, v161, v20
	v_fma_f32 v4, v168, v132, -v4
	s_delay_alu instid0(VALU_DEP_2) | instskip(SKIP_1) | instid1(VALU_DEP_2)
	v_add_f32_e32 v2, v2, v5
	v_mul_f32_e32 v5, v173, v137
	v_dual_add_f32 v1, v1, v186 :: v_dual_add_f32 v2, v2, v4
	s_delay_alu instid0(VALU_DEP_2) | instskip(SKIP_1) | instid1(VALU_DEP_3)
	v_fma_f32 v5, v172, v136, -v5
	v_mul_f32_e32 v3, v171, v135
	v_add_f32_e32 v1, v1, v187
	v_mul_f32_e32 v4, v175, v139
	s_delay_alu instid0(VALU_DEP_3) | instskip(NEXT) | instid1(VALU_DEP_3)
	v_fma_f32 v3, v170, v134, -v3
	v_add_f32_e32 v1, v1, v188
	s_delay_alu instid0(VALU_DEP_3) | instskip(NEXT) | instid1(VALU_DEP_3)
	v_fma_f32 v4, v174, v138, -v4
	v_dual_add_f32 v2, v2, v3 :: v_dual_mul_f32 v3, v177, v141
	s_delay_alu instid0(VALU_DEP_1) | instskip(NEXT) | instid1(VALU_DEP_4)
	v_add_f32_e32 v2, v2, v5
	v_add_f32_e32 v1, v1, v189
	s_delay_alu instid0(VALU_DEP_3) | instskip(NEXT) | instid1(VALU_DEP_3)
	v_fma_f32 v3, v176, v140, -v3
	v_add_f32_e32 v2, v2, v4
	v_fmac_f32_e32 v191, v169, v132
	s_delay_alu instid0(VALU_DEP_2) | instskip(NEXT) | instid1(VALU_DEP_1)
	v_dual_add_f32 v1, v1, v190 :: v_dual_add_f32 v2, v2, v3
	v_add_f32_e32 v1, v1, v191
	s_delay_alu instid0(VALU_DEP_1) | instskip(NEXT) | instid1(VALU_DEP_1)
	v_add_f32_e32 v1, v1, v192
	v_add_f32_e32 v1, v1, v193
	s_delay_alu instid0(VALU_DEP_1) | instskip(NEXT) | instid1(VALU_DEP_1)
	v_add_f32_e32 v1, v1, v194
	v_add_f32_e32 v3, v1, v195
	s_wait_loadcnt 0x0
	s_delay_alu instid0(VALU_DEP_1)
	v_dual_sub_f32 v1, v178, v2 :: v_dual_sub_f32 v2, v179, v3
	scratch_store_b64 off, v[1:2], off offset:256
	v_cmpx_lt_u32_e32 31, v0
	s_cbranch_execz .LBB114_257
; %bb.256:
	scratch_load_b64 v[1:2], off, off offset:248
	v_mov_b32_e32 v3, 0
	s_delay_alu instid0(VALU_DEP_1)
	v_mov_b32_e32 v4, v3
	scratch_store_b64 off, v[3:4], off offset:248
	s_wait_loadcnt 0x0
	ds_store_b64 v23, v[1:2]
.LBB114_257:
	s_wait_alu 0xfffe
	s_or_b32 exec_lo, exec_lo, s0
	s_wait_storecnt_dscnt 0x0
	s_barrier_signal -1
	s_barrier_wait -1
	global_inv scope:SCOPE_SE
	s_clause 0xa
	scratch_load_b128 v[2:5], off, off offset:256
	scratch_load_b128 v[6:9], off, off offset:272
	;; [unrolled: 1-line block ×9, first 2 shown]
	scratch_load_b64 v[178:179], off, off offset:400
	scratch_load_b64 v[180:181], off, off offset:248
	v_mov_b32_e32 v1, 0
	ds_load_b128 v[142:145], v1 offset:672
	ds_load_b128 v[146:149], v1 offset:688
	;; [unrolled: 1-line block ×9, first 2 shown]
	ds_load_b64 v[182:183], v1 offset:816
	s_mov_b32 s0, exec_lo
	s_wait_loadcnt_dscnt 0xa09
	v_mul_f32_e32 v22, v142, v3
	s_wait_loadcnt_dscnt 0x908
	v_dual_mul_f32 v184, v144, v5 :: v_dual_mul_f32 v185, v146, v7
	v_mul_f32_e32 v3, v143, v3
	s_delay_alu instid0(VALU_DEP_3)
	v_dual_mul_f32 v5, v145, v5 :: v_dual_fmac_f32 v22, v143, v2
	s_wait_loadcnt_dscnt 0x807
	v_dual_mul_f32 v186, v148, v9 :: v_dual_mul_f32 v187, v150, v11
	s_wait_loadcnt_dscnt 0x100
	v_dual_mul_f32 v198, v172, v137 :: v_dual_mul_f32 v201, v182, v179
	v_fma_f32 v3, v142, v2, -v3
	v_mul_f32_e32 v2, v147, v7
	v_fmac_f32_e32 v184, v145, v4
	v_fma_f32 v4, v144, v4, -v5
	v_dual_add_f32 v5, 0, v22 :: v_dual_fmac_f32 v186, v149, v8
	v_add_f32_e32 v3, 0, v3
	v_fmac_f32_e32 v185, v147, v6
	v_fma_f32 v2, v146, v6, -v2
	v_dual_mul_f32 v188, v152, v13 :: v_dual_mul_f32 v189, v154, v15
	s_delay_alu instid0(VALU_DEP_4) | instskip(SKIP_2) | instid1(VALU_DEP_4)
	v_add_f32_e32 v3, v3, v4
	v_mul_f32_e32 v7, v149, v9
	v_dual_add_f32 v4, v5, v184 :: v_dual_fmac_f32 v187, v151, v10
	v_fmac_f32_e32 v188, v153, v12
	s_delay_alu instid0(VALU_DEP_4) | instskip(NEXT) | instid1(VALU_DEP_4)
	v_add_f32_e32 v2, v3, v2
	v_fma_f32 v6, v148, v8, -v7
	v_mul_f32_e32 v5, v151, v11
	v_add_f32_e32 v3, v4, v185
	v_mul_f32_e32 v4, v153, v13
	v_dual_mul_f32 v190, v156, v17 :: v_dual_mul_f32 v191, v158, v19
	v_add_f32_e32 v2, v2, v6
	v_fma_f32 v5, v150, v10, -v5
	v_mul_f32_e32 v6, v155, v15
	v_add_f32_e32 v3, v3, v186
	v_fma_f32 v4, v152, v12, -v4
	v_dual_fmac_f32 v189, v155, v14 :: v_dual_fmac_f32 v190, v157, v16
	s_delay_alu instid0(VALU_DEP_3) | instskip(SKIP_3) | instid1(VALU_DEP_4)
	v_dual_add_f32 v2, v2, v5 :: v_dual_add_f32 v3, v3, v187
	v_mul_f32_e32 v5, v157, v17
	v_fma_f32 v6, v154, v14, -v6
	v_dual_mul_f32 v192, v160, v21 :: v_dual_mul_f32 v193, v162, v127
	v_add_f32_e32 v2, v2, v4
	v_add_f32_e32 v3, v3, v188
	v_mul_f32_e32 v4, v159, v19
	v_fma_f32 v5, v156, v16, -v5
	v_fmac_f32_e32 v191, v159, v18
	s_delay_alu instid0(VALU_DEP_4) | instskip(SKIP_3) | instid1(VALU_DEP_4)
	v_dual_add_f32 v2, v2, v6 :: v_dual_add_f32 v3, v3, v189
	v_fmac_f32_e32 v192, v161, v20
	v_mul_f32_e32 v6, v161, v21
	v_fma_f32 v4, v158, v18, -v4
	v_dual_add_f32 v2, v2, v5 :: v_dual_add_f32 v3, v3, v190
	v_mul_f32_e32 v5, v163, v127
	s_delay_alu instid0(VALU_DEP_4) | instskip(SKIP_1) | instid1(VALU_DEP_4)
	v_fma_f32 v6, v160, v20, -v6
	v_dual_mul_f32 v194, v164, v129 :: v_dual_mul_f32 v195, v166, v131
	v_dual_add_f32 v2, v2, v4 :: v_dual_add_f32 v3, v3, v191
	v_dual_mul_f32 v4, v165, v129 :: v_dual_fmac_f32 v193, v163, v126
	s_delay_alu instid0(VALU_DEP_3) | instskip(SKIP_1) | instid1(VALU_DEP_4)
	v_fmac_f32_e32 v194, v165, v128
	v_fma_f32 v5, v162, v126, -v5
	v_dual_add_f32 v2, v2, v6 :: v_dual_add_f32 v3, v3, v192
	v_mul_f32_e32 v6, v167, v131
	v_fma_f32 v4, v164, v128, -v4
	s_delay_alu instid0(VALU_DEP_3) | instskip(NEXT) | instid1(VALU_DEP_4)
	v_dual_fmac_f32 v195, v167, v130 :: v_dual_add_f32 v2, v2, v5
	v_add_f32_e32 v3, v3, v193
	v_dual_mul_f32 v196, v168, v133 :: v_dual_mul_f32 v197, v170, v135
	v_mul_f32_e32 v5, v169, v133
	v_fma_f32 v6, v166, v130, -v6
	s_delay_alu instid0(VALU_DEP_4) | instskip(NEXT) | instid1(VALU_DEP_4)
	v_dual_add_f32 v2, v2, v4 :: v_dual_add_f32 v3, v3, v194
	v_fmac_f32_e32 v196, v169, v132
	v_mul_f32_e32 v4, v171, v135
	v_fma_f32 v5, v168, v132, -v5
	s_delay_alu instid0(VALU_DEP_4) | instskip(SKIP_1) | instid1(VALU_DEP_4)
	v_dual_add_f32 v2, v2, v6 :: v_dual_add_f32 v3, v3, v195
	v_dual_mul_f32 v6, v173, v137 :: v_dual_fmac_f32 v197, v171, v134
	v_fma_f32 v4, v170, v134, -v4
	s_delay_alu instid0(VALU_DEP_3) | instskip(SKIP_3) | instid1(VALU_DEP_4)
	v_dual_add_f32 v2, v2, v5 :: v_dual_add_f32 v3, v3, v196
	v_dual_mul_f32 v199, v174, v139 :: v_dual_mul_f32 v200, v176, v141
	v_dual_mul_f32 v5, v175, v139 :: v_dual_fmac_f32 v198, v173, v136
	v_fma_f32 v6, v172, v136, -v6
	v_dual_add_f32 v2, v2, v4 :: v_dual_add_f32 v3, v3, v197
	s_delay_alu instid0(VALU_DEP_4) | instskip(NEXT) | instid1(VALU_DEP_4)
	v_dual_mul_f32 v4, v177, v141 :: v_dual_fmac_f32 v199, v175, v138
	v_fma_f32 v5, v174, v138, -v5
	s_delay_alu instid0(VALU_DEP_3) | instskip(NEXT) | instid1(VALU_DEP_4)
	v_dual_fmac_f32 v200, v177, v140 :: v_dual_add_f32 v3, v3, v198
	v_add_f32_e32 v2, v2, v6
	v_mul_f32_e32 v6, v183, v179
	v_fma_f32 v4, v176, v140, -v4
	v_fmac_f32_e32 v201, v183, v178
	s_delay_alu instid0(VALU_DEP_4) | instskip(NEXT) | instid1(VALU_DEP_4)
	v_dual_add_f32 v3, v3, v199 :: v_dual_add_f32 v2, v2, v5
	v_fma_f32 v5, v182, v178, -v6
	s_delay_alu instid0(VALU_DEP_2) | instskip(NEXT) | instid1(VALU_DEP_1)
	v_add_f32_e32 v3, v3, v200
	v_dual_add_f32 v2, v2, v4 :: v_dual_add_f32 v3, v3, v201
	s_wait_loadcnt 0x0
	s_delay_alu instid0(VALU_DEP_1) | instskip(NEXT) | instid1(VALU_DEP_1)
	v_dual_add_f32 v2, v2, v5 :: v_dual_sub_f32 v3, v181, v3
	v_sub_f32_e32 v2, v180, v2
	scratch_store_b64 off, v[2:3], off offset:248
	v_cmpx_lt_u32_e32 30, v0
	s_cbranch_execz .LBB114_259
; %bb.258:
	scratch_load_b64 v[3:4], off, off offset:240
	v_mov_b32_e32 v2, v1
	scratch_store_b64 off, v[1:2], off offset:240
	s_wait_loadcnt 0x0
	ds_store_b64 v23, v[3:4]
.LBB114_259:
	s_wait_alu 0xfffe
	s_or_b32 exec_lo, exec_lo, s0
	s_wait_storecnt_dscnt 0x0
	s_barrier_signal -1
	s_barrier_wait -1
	global_inv scope:SCOPE_SE
	s_clause 0xa
	scratch_load_b128 v[2:5], off, off offset:248
	scratch_load_b128 v[6:9], off, off offset:264
	;; [unrolled: 1-line block ×10, first 2 shown]
	scratch_load_b64 v[186:187], off, off offset:240
	ds_load_2addr_b64 v[146:149], v1 offset0:83 offset1:84
	ds_load_2addr_b64 v[150:153], v1 offset0:85 offset1:86
	;; [unrolled: 1-line block ×10, first 2 shown]
	s_mov_b32 s0, exec_lo
	s_wait_loadcnt_dscnt 0xa09
	v_dual_mul_f32 v1, v146, v3 :: v_dual_mul_f32 v22, v148, v5
	v_mul_f32_e32 v3, v147, v3
	s_wait_loadcnt_dscnt 0x908
	v_dual_mul_f32 v5, v149, v5 :: v_dual_mul_f32 v188, v150, v7
	s_delay_alu instid0(VALU_DEP_3) | instskip(NEXT) | instid1(VALU_DEP_3)
	v_dual_mul_f32 v189, v152, v9 :: v_dual_fmac_f32 v22, v149, v4
	v_fma_f32 v3, v146, v2, -v3
	v_fmac_f32_e32 v1, v147, v2
	v_mul_f32_e32 v2, v151, v7
	v_fma_f32 v4, v148, v4, -v5
	s_delay_alu instid0(VALU_DEP_4)
	v_dual_fmac_f32 v188, v151, v6 :: v_dual_add_f32 v3, 0, v3
	s_wait_loadcnt_dscnt 0x605
	v_dual_mul_f32 v194, v162, v19 :: v_dual_mul_f32 v195, v164, v21
	v_fma_f32 v2, v150, v6, -v2
	v_dual_mul_f32 v190, v154, v11 :: v_dual_mul_f32 v191, v156, v13
	v_add_f32_e32 v3, v3, v4
	v_dual_mul_f32 v5, v153, v9 :: v_dual_mul_f32 v192, v158, v15
	v_dual_mul_f32 v193, v160, v17 :: v_dual_mul_f32 v4, v155, v11
	s_delay_alu instid0(VALU_DEP_3) | instskip(NEXT) | instid1(VALU_DEP_3)
	v_add_f32_e32 v2, v3, v2
	v_fma_f32 v5, v152, v8, -v5
	v_dual_mul_f32 v3, v157, v13 :: v_dual_fmac_f32 v194, v163, v18
	s_delay_alu instid0(VALU_DEP_4) | instskip(SKIP_1) | instid1(VALU_DEP_4)
	v_fma_f32 v4, v154, v10, -v4
	v_dual_fmac_f32 v189, v153, v8 :: v_dual_fmac_f32 v190, v155, v10
	v_add_f32_e32 v2, v2, v5
	v_add_f32_e32 v1, 0, v1
	v_fma_f32 v3, v156, v12, -v3
	v_fmac_f32_e32 v192, v159, v14
	s_wait_loadcnt_dscnt 0x504
	v_dual_mul_f32 v196, v166, v127 :: v_dual_mul_f32 v197, v168, v129
	v_dual_add_f32 v1, v1, v22 :: v_dual_add_f32 v2, v2, v4
	v_mul_f32_e32 v4, v161, v17
	s_wait_loadcnt_dscnt 0x302
	v_dual_mul_f32 v200, v174, v135 :: v_dual_mul_f32 v201, v176, v137
	s_delay_alu instid0(VALU_DEP_3) | instskip(NEXT) | instid1(VALU_DEP_3)
	v_dual_add_f32 v1, v1, v188 :: v_dual_add_f32 v2, v2, v3
	v_fma_f32 v4, v160, v16, -v4
	v_mul_f32_e32 v5, v159, v15
	v_dual_mul_f32 v198, v170, v131 :: v_dual_mul_f32 v199, v172, v133
	s_wait_loadcnt_dscnt 0x201
	v_dual_add_f32 v1, v1, v189 :: v_dual_mul_f32 v202, v178, v139
	v_mul_f32_e32 v203, v180, v141
	v_fma_f32 v5, v158, v14, -v5
	v_fmac_f32_e32 v191, v157, v12
	s_delay_alu instid0(VALU_DEP_4) | instskip(SKIP_1) | instid1(VALU_DEP_4)
	v_add_f32_e32 v1, v1, v190
	v_dual_fmac_f32 v196, v167, v126 :: v_dual_fmac_f32 v197, v169, v128
	v_add_f32_e32 v2, v2, v5
	v_fmac_f32_e32 v198, v171, v130
	s_wait_loadcnt_dscnt 0x100
	v_dual_mul_f32 v204, v182, v143 :: v_dual_mul_f32 v205, v184, v145
	v_fmac_f32_e32 v199, v173, v132
	v_add_f32_e32 v2, v2, v4
	v_mul_f32_e32 v4, v167, v127
	s_delay_alu instid0(VALU_DEP_4) | instskip(SKIP_2) | instid1(VALU_DEP_4)
	v_dual_add_f32 v1, v1, v191 :: v_dual_fmac_f32 v204, v183, v142
	v_fmac_f32_e32 v201, v177, v136
	v_fmac_f32_e32 v203, v181, v140
	v_fma_f32 v4, v166, v126, -v4
	v_mul_f32_e32 v5, v165, v21
	v_add_f32_e32 v1, v1, v192
	v_dual_fmac_f32 v205, v185, v144 :: v_dual_fmac_f32 v200, v175, v134
	v_fmac_f32_e32 v202, v179, v138
	s_delay_alu instid0(VALU_DEP_4) | instskip(SKIP_1) | instid1(VALU_DEP_1)
	v_fma_f32 v5, v164, v20, -v5
	v_mul_f32_e32 v3, v163, v19
	v_fma_f32 v3, v162, v18, -v3
	s_delay_alu instid0(VALU_DEP_1) | instskip(SKIP_1) | instid1(VALU_DEP_2)
	v_dual_fmac_f32 v193, v161, v16 :: v_dual_add_f32 v2, v2, v3
	v_mul_f32_e32 v3, v169, v129
	v_dual_add_f32 v2, v2, v5 :: v_dual_mul_f32 v5, v171, v131
	s_delay_alu instid0(VALU_DEP_2) | instskip(NEXT) | instid1(VALU_DEP_2)
	v_fma_f32 v3, v168, v128, -v3
	v_dual_add_f32 v2, v2, v4 :: v_dual_add_f32 v1, v1, v193
	v_mul_f32_e32 v4, v173, v133
	s_delay_alu instid0(VALU_DEP_4) | instskip(NEXT) | instid1(VALU_DEP_3)
	v_fma_f32 v5, v170, v130, -v5
	v_dual_add_f32 v2, v2, v3 :: v_dual_fmac_f32 v195, v165, v20
	s_delay_alu instid0(VALU_DEP_3) | instskip(NEXT) | instid1(VALU_DEP_2)
	v_fma_f32 v4, v172, v132, -v4
	v_add_f32_e32 v2, v2, v5
	v_mul_f32_e32 v5, v177, v137
	s_delay_alu instid0(VALU_DEP_2) | instskip(NEXT) | instid1(VALU_DEP_2)
	v_dual_add_f32 v1, v1, v194 :: v_dual_add_f32 v2, v2, v4
	v_fma_f32 v5, v176, v136, -v5
	v_mul_f32_e32 v3, v175, v135
	s_delay_alu instid0(VALU_DEP_3) | instskip(SKIP_1) | instid1(VALU_DEP_3)
	v_add_f32_e32 v1, v1, v195
	v_mul_f32_e32 v4, v179, v139
	v_fma_f32 v3, v174, v134, -v3
	s_delay_alu instid0(VALU_DEP_3) | instskip(NEXT) | instid1(VALU_DEP_3)
	v_add_f32_e32 v1, v1, v196
	v_fma_f32 v4, v178, v138, -v4
	s_delay_alu instid0(VALU_DEP_3) | instskip(NEXT) | instid1(VALU_DEP_1)
	v_dual_add_f32 v2, v2, v3 :: v_dual_mul_f32 v3, v181, v141
	v_add_f32_e32 v2, v2, v5
	s_delay_alu instid0(VALU_DEP_4) | instskip(SKIP_1) | instid1(VALU_DEP_4)
	v_add_f32_e32 v1, v1, v197
	v_mul_f32_e32 v5, v183, v143
	v_fma_f32 v3, v180, v140, -v3
	s_delay_alu instid0(VALU_DEP_3) | instskip(SKIP_1) | instid1(VALU_DEP_4)
	v_dual_add_f32 v2, v2, v4 :: v_dual_add_f32 v1, v1, v198
	v_mul_f32_e32 v4, v185, v145
	v_fma_f32 v5, v182, v142, -v5
	s_delay_alu instid0(VALU_DEP_3) | instskip(NEXT) | instid1(VALU_DEP_4)
	v_add_f32_e32 v2, v2, v3
	v_add_f32_e32 v1, v1, v199
	s_delay_alu instid0(VALU_DEP_4) | instskip(NEXT) | instid1(VALU_DEP_2)
	v_fma_f32 v3, v184, v144, -v4
	v_dual_add_f32 v2, v2, v5 :: v_dual_add_f32 v1, v1, v200
	s_delay_alu instid0(VALU_DEP_1) | instskip(NEXT) | instid1(VALU_DEP_1)
	v_dual_add_f32 v2, v2, v3 :: v_dual_add_f32 v1, v1, v201
	v_add_f32_e32 v1, v1, v202
	s_delay_alu instid0(VALU_DEP_1) | instskip(NEXT) | instid1(VALU_DEP_1)
	v_add_f32_e32 v1, v1, v203
	v_add_f32_e32 v1, v1, v204
	s_delay_alu instid0(VALU_DEP_1) | instskip(SKIP_1) | instid1(VALU_DEP_1)
	v_add_f32_e32 v3, v1, v205
	s_wait_loadcnt 0x0
	v_dual_sub_f32 v1, v186, v2 :: v_dual_sub_f32 v2, v187, v3
	scratch_store_b64 off, v[1:2], off offset:240
	v_cmpx_lt_u32_e32 29, v0
	s_cbranch_execz .LBB114_261
; %bb.260:
	scratch_load_b64 v[1:2], off, off offset:232
	v_mov_b32_e32 v3, 0
	s_delay_alu instid0(VALU_DEP_1)
	v_mov_b32_e32 v4, v3
	scratch_store_b64 off, v[3:4], off offset:232
	s_wait_loadcnt 0x0
	ds_store_b64 v23, v[1:2]
.LBB114_261:
	s_wait_alu 0xfffe
	s_or_b32 exec_lo, exec_lo, s0
	s_wait_storecnt_dscnt 0x0
	s_barrier_signal -1
	s_barrier_wait -1
	global_inv scope:SCOPE_SE
	s_clause 0xb
	scratch_load_b128 v[2:5], off, off offset:240
	scratch_load_b128 v[6:9], off, off offset:256
	;; [unrolled: 1-line block ×10, first 2 shown]
	scratch_load_b64 v[186:187], off, off offset:400
	scratch_load_b64 v[188:189], off, off offset:232
	v_mov_b32_e32 v1, 0
	ds_load_b128 v[146:149], v1 offset:656
	ds_load_b128 v[150:153], v1 offset:672
	;; [unrolled: 1-line block ×10, first 2 shown]
	ds_load_b64 v[190:191], v1 offset:816
	s_mov_b32 s0, exec_lo
	s_wait_loadcnt_dscnt 0xb0a
	v_mul_f32_e32 v22, v146, v3
	s_wait_loadcnt_dscnt 0xa09
	v_dual_mul_f32 v192, v148, v5 :: v_dual_mul_f32 v193, v150, v7
	v_mul_f32_e32 v5, v149, v5
	v_dual_mul_f32 v3, v147, v3 :: v_dual_mul_f32 v194, v152, v9
	s_wait_loadcnt_dscnt 0x908
	v_dual_mul_f32 v195, v154, v11 :: v_dual_fmac_f32 v22, v147, v2
	s_wait_loadcnt_dscnt 0x302
	v_mul_f32_e32 v208, v180, v141
	v_fma_f32 v3, v146, v2, -v3
	s_wait_loadcnt_dscnt 0x100
	v_mul_f32_e32 v211, v190, v187
	v_mul_f32_e32 v2, v151, v7
	v_fmac_f32_e32 v192, v149, v4
	v_fma_f32 v4, v148, v4, -v5
	v_add_f32_e32 v3, 0, v3
	v_dual_add_f32 v5, 0, v22 :: v_dual_fmac_f32 v194, v153, v8
	v_fmac_f32_e32 v193, v151, v6
	v_fma_f32 v2, v150, v6, -v2
	s_delay_alu instid0(VALU_DEP_4) | instskip(SKIP_3) | instid1(VALU_DEP_4)
	v_add_f32_e32 v3, v3, v4
	v_mul_f32_e32 v7, v153, v9
	v_add_f32_e32 v4, v5, v192
	v_dual_mul_f32 v196, v156, v13 :: v_dual_mul_f32 v197, v158, v15
	v_add_f32_e32 v2, v3, v2
	s_delay_alu instid0(VALU_DEP_4)
	v_fma_f32 v6, v152, v8, -v7
	v_mul_f32_e32 v5, v155, v11
	v_add_f32_e32 v3, v4, v193
	v_dual_mul_f32 v4, v157, v13 :: v_dual_fmac_f32 v195, v155, v10
	v_fmac_f32_e32 v196, v157, v12
	v_add_f32_e32 v2, v2, v6
	v_fma_f32 v5, v154, v10, -v5
	v_mul_f32_e32 v6, v159, v15
	v_add_f32_e32 v3, v3, v194
	v_fma_f32 v4, v156, v12, -v4
	v_dual_mul_f32 v198, v160, v17 :: v_dual_mul_f32 v199, v162, v19
	s_delay_alu instid0(VALU_DEP_3) | instskip(SKIP_1) | instid1(VALU_DEP_3)
	v_dual_add_f32 v2, v2, v5 :: v_dual_add_f32 v3, v3, v195
	v_mul_f32_e32 v5, v161, v17
	v_dual_fmac_f32 v197, v159, v14 :: v_dual_fmac_f32 v198, v161, v16
	v_fma_f32 v6, v158, v14, -v6
	s_delay_alu instid0(VALU_DEP_4) | instskip(SKIP_4) | instid1(VALU_DEP_4)
	v_add_f32_e32 v2, v2, v4
	v_dual_add_f32 v3, v3, v196 :: v_dual_mul_f32 v200, v164, v21
	v_mul_f32_e32 v201, v166, v127
	v_mul_f32_e32 v4, v163, v19
	v_fma_f32 v5, v160, v16, -v5
	v_dual_add_f32 v2, v2, v6 :: v_dual_add_f32 v3, v3, v197
	v_fmac_f32_e32 v200, v165, v20
	v_dual_mul_f32 v6, v165, v21 :: v_dual_fmac_f32 v199, v163, v18
	v_fma_f32 v4, v162, v18, -v4
	s_delay_alu instid0(VALU_DEP_4) | instskip(SKIP_1) | instid1(VALU_DEP_4)
	v_dual_add_f32 v2, v2, v5 :: v_dual_add_f32 v3, v3, v198
	v_mul_f32_e32 v5, v167, v127
	v_fma_f32 v6, v164, v20, -v6
	v_dual_mul_f32 v202, v168, v129 :: v_dual_mul_f32 v203, v170, v131
	s_delay_alu instid0(VALU_DEP_4) | instskip(SKIP_1) | instid1(VALU_DEP_3)
	v_dual_add_f32 v2, v2, v4 :: v_dual_add_f32 v3, v3, v199
	v_dual_mul_f32 v4, v169, v129 :: v_dual_fmac_f32 v201, v167, v126
	v_fmac_f32_e32 v202, v169, v128
	v_fma_f32 v5, v166, v126, -v5
	s_delay_alu instid0(VALU_DEP_4) | instskip(SKIP_2) | instid1(VALU_DEP_3)
	v_dual_add_f32 v2, v2, v6 :: v_dual_add_f32 v3, v3, v200
	v_mul_f32_e32 v6, v171, v131
	v_fma_f32 v4, v168, v128, -v4
	v_dual_fmac_f32 v203, v171, v130 :: v_dual_add_f32 v2, v2, v5
	s_delay_alu instid0(VALU_DEP_4) | instskip(SKIP_3) | instid1(VALU_DEP_4)
	v_add_f32_e32 v3, v3, v201
	v_dual_mul_f32 v204, v172, v133 :: v_dual_mul_f32 v205, v174, v135
	v_mul_f32_e32 v5, v173, v133
	v_fma_f32 v6, v170, v130, -v6
	v_dual_add_f32 v2, v2, v4 :: v_dual_add_f32 v3, v3, v202
	s_delay_alu instid0(VALU_DEP_4) | instskip(SKIP_2) | instid1(VALU_DEP_4)
	v_fmac_f32_e32 v204, v173, v132
	v_mul_f32_e32 v4, v175, v135
	v_fma_f32 v5, v172, v132, -v5
	v_dual_add_f32 v2, v2, v6 :: v_dual_add_f32 v3, v3, v203
	v_dual_mul_f32 v206, v176, v137 :: v_dual_mul_f32 v207, v178, v139
	v_dual_mul_f32 v6, v177, v137 :: v_dual_fmac_f32 v205, v175, v134
	v_fma_f32 v4, v174, v134, -v4
	s_delay_alu instid0(VALU_DEP_4) | instskip(NEXT) | instid1(VALU_DEP_4)
	v_dual_add_f32 v2, v2, v5 :: v_dual_add_f32 v3, v3, v204
	v_dual_mul_f32 v5, v179, v139 :: v_dual_fmac_f32 v206, v177, v136
	s_delay_alu instid0(VALU_DEP_4) | instskip(NEXT) | instid1(VALU_DEP_3)
	v_fma_f32 v6, v176, v136, -v6
	v_dual_add_f32 v2, v2, v4 :: v_dual_add_f32 v3, v3, v205
	v_dual_mul_f32 v4, v181, v141 :: v_dual_fmac_f32 v207, v179, v138
	s_delay_alu instid0(VALU_DEP_4) | instskip(NEXT) | instid1(VALU_DEP_3)
	v_fma_f32 v5, v178, v138, -v5
	v_dual_fmac_f32 v208, v181, v140 :: v_dual_add_f32 v3, v3, v206
	s_delay_alu instid0(VALU_DEP_4) | instskip(SKIP_3) | instid1(VALU_DEP_4)
	v_add_f32_e32 v2, v2, v6
	v_dual_mul_f32 v209, v182, v143 :: v_dual_mul_f32 v210, v184, v145
	v_mul_f32_e32 v6, v183, v143
	v_fma_f32 v4, v180, v140, -v4
	v_dual_add_f32 v3, v3, v207 :: v_dual_add_f32 v2, v2, v5
	s_delay_alu instid0(VALU_DEP_4) | instskip(SKIP_2) | instid1(VALU_DEP_4)
	v_fmac_f32_e32 v209, v183, v142
	v_mul_f32_e32 v5, v185, v145
	v_fma_f32 v6, v182, v142, -v6
	v_add_f32_e32 v3, v3, v208
	v_add_f32_e32 v2, v2, v4
	v_mul_f32_e32 v4, v191, v187
	v_dual_fmac_f32 v210, v185, v144 :: v_dual_fmac_f32 v211, v191, v186
	v_fma_f32 v5, v184, v144, -v5
	s_delay_alu instid0(VALU_DEP_4) | instskip(NEXT) | instid1(VALU_DEP_4)
	v_dual_add_f32 v3, v3, v209 :: v_dual_add_f32 v2, v2, v6
	v_fma_f32 v4, v190, v186, -v4
	s_delay_alu instid0(VALU_DEP_2) | instskip(NEXT) | instid1(VALU_DEP_1)
	v_dual_add_f32 v3, v3, v210 :: v_dual_add_f32 v2, v2, v5
	v_dual_add_f32 v3, v3, v211 :: v_dual_add_f32 v2, v2, v4
	s_wait_loadcnt 0x0
	s_delay_alu instid0(VALU_DEP_1)
	v_dual_sub_f32 v3, v189, v3 :: v_dual_sub_f32 v2, v188, v2
	scratch_store_b64 off, v[2:3], off offset:232
	v_cmpx_lt_u32_e32 28, v0
	s_cbranch_execz .LBB114_263
; %bb.262:
	scratch_load_b64 v[3:4], off, off offset:224
	v_mov_b32_e32 v2, v1
	scratch_store_b64 off, v[1:2], off offset:224
	s_wait_loadcnt 0x0
	ds_store_b64 v23, v[3:4]
.LBB114_263:
	s_wait_alu 0xfffe
	s_or_b32 exec_lo, exec_lo, s0
	s_wait_storecnt_dscnt 0x0
	s_barrier_signal -1
	s_barrier_wait -1
	global_inv scope:SCOPE_SE
	s_clause 0xb
	scratch_load_b128 v[2:5], off, off offset:232
	scratch_load_b128 v[6:9], off, off offset:248
	;; [unrolled: 1-line block ×11, first 2 shown]
	scratch_load_b64 v[194:195], off, off offset:224
	ds_load_2addr_b64 v[150:153], v1 offset0:81 offset1:82
	ds_load_2addr_b64 v[154:157], v1 offset0:83 offset1:84
	;; [unrolled: 1-line block ×11, first 2 shown]
	s_mov_b32 s0, exec_lo
	s_wait_loadcnt_dscnt 0xb0a
	v_dual_mul_f32 v1, v150, v3 :: v_dual_mul_f32 v22, v152, v5
	v_mul_f32_e32 v3, v151, v3
	s_wait_loadcnt_dscnt 0xa09
	v_dual_mul_f32 v5, v153, v5 :: v_dual_mul_f32 v196, v154, v7
	s_delay_alu instid0(VALU_DEP_3) | instskip(NEXT) | instid1(VALU_DEP_3)
	v_dual_mul_f32 v197, v156, v9 :: v_dual_fmac_f32 v22, v153, v4
	v_fma_f32 v3, v150, v2, -v3
	v_fmac_f32_e32 v1, v151, v2
	v_mul_f32_e32 v2, v155, v7
	v_fma_f32 v4, v152, v4, -v5
	s_delay_alu instid0(VALU_DEP_4)
	v_dual_fmac_f32 v196, v155, v6 :: v_dual_add_f32 v3, 0, v3
	s_wait_loadcnt_dscnt 0x706
	v_dual_mul_f32 v202, v166, v19 :: v_dual_mul_f32 v203, v168, v21
	v_fma_f32 v2, v154, v6, -v2
	v_dual_mul_f32 v198, v158, v11 :: v_dual_mul_f32 v199, v160, v13
	v_add_f32_e32 v3, v3, v4
	v_dual_mul_f32 v5, v157, v9 :: v_dual_mul_f32 v200, v162, v15
	v_dual_mul_f32 v201, v164, v17 :: v_dual_mul_f32 v4, v159, v11
	s_delay_alu instid0(VALU_DEP_3) | instskip(NEXT) | instid1(VALU_DEP_3)
	v_add_f32_e32 v2, v3, v2
	v_fma_f32 v5, v156, v8, -v5
	v_dual_mul_f32 v3, v161, v13 :: v_dual_fmac_f32 v202, v167, v18
	s_delay_alu instid0(VALU_DEP_4) | instskip(SKIP_1) | instid1(VALU_DEP_4)
	v_fma_f32 v4, v158, v10, -v4
	v_dual_fmac_f32 v197, v157, v8 :: v_dual_fmac_f32 v198, v159, v10
	v_add_f32_e32 v2, v2, v5
	v_add_f32_e32 v1, 0, v1
	v_fma_f32 v3, v160, v12, -v3
	v_fmac_f32_e32 v200, v163, v14
	s_wait_loadcnt_dscnt 0x605
	v_dual_mul_f32 v204, v170, v127 :: v_dual_mul_f32 v205, v172, v129
	v_dual_add_f32 v1, v1, v22 :: v_dual_add_f32 v2, v2, v4
	v_mul_f32_e32 v4, v165, v17
	s_wait_loadcnt_dscnt 0x403
	v_dual_mul_f32 v208, v178, v135 :: v_dual_mul_f32 v209, v180, v137
	s_delay_alu instid0(VALU_DEP_3) | instskip(NEXT) | instid1(VALU_DEP_3)
	v_dual_add_f32 v1, v1, v196 :: v_dual_add_f32 v2, v2, v3
	v_fma_f32 v4, v164, v16, -v4
	v_mul_f32_e32 v5, v163, v15
	v_dual_mul_f32 v206, v174, v131 :: v_dual_mul_f32 v207, v176, v133
	s_wait_loadcnt_dscnt 0x100
	v_dual_add_f32 v1, v1, v197 :: v_dual_mul_f32 v214, v190, v147
	v_mul_f32_e32 v215, v192, v149
	v_fma_f32 v5, v162, v14, -v5
	v_fmac_f32_e32 v199, v161, v12
	s_delay_alu instid0(VALU_DEP_4)
	v_add_f32_e32 v1, v1, v198
	v_fmac_f32_e32 v204, v171, v126
	v_dual_mul_f32 v210, v182, v139 :: v_dual_mul_f32 v211, v184, v141
	v_add_f32_e32 v2, v2, v5
	v_dual_fmac_f32 v206, v175, v130 :: v_dual_fmac_f32 v205, v173, v128
	v_dual_mul_f32 v212, v186, v143 :: v_dual_mul_f32 v213, v188, v145
	s_delay_alu instid0(VALU_DEP_3) | instskip(SKIP_2) | instid1(VALU_DEP_4)
	v_add_f32_e32 v2, v2, v4
	v_mul_f32_e32 v4, v171, v127
	v_add_f32_e32 v1, v1, v199
	v_dual_fmac_f32 v207, v177, v132 :: v_dual_fmac_f32 v212, v187, v142
	v_fmac_f32_e32 v211, v185, v140
	s_delay_alu instid0(VALU_DEP_4) | instskip(SKIP_4) | instid1(VALU_DEP_4)
	v_fma_f32 v4, v170, v126, -v4
	v_mul_f32_e32 v5, v169, v21
	v_add_f32_e32 v1, v1, v200
	v_dual_fmac_f32 v213, v189, v144 :: v_dual_fmac_f32 v208, v179, v134
	v_fmac_f32_e32 v215, v193, v148
	v_fma_f32 v5, v168, v20, -v5
	v_mul_f32_e32 v3, v167, v19
	v_fmac_f32_e32 v214, v191, v146
	v_fmac_f32_e32 v210, v183, v138
	s_delay_alu instid0(VALU_DEP_3) | instskip(NEXT) | instid1(VALU_DEP_1)
	v_fma_f32 v3, v166, v18, -v3
	v_dual_fmac_f32 v201, v165, v16 :: v_dual_add_f32 v2, v2, v3
	v_mul_f32_e32 v3, v173, v129
	s_delay_alu instid0(VALU_DEP_2) | instskip(NEXT) | instid1(VALU_DEP_2)
	v_dual_add_f32 v2, v2, v5 :: v_dual_mul_f32 v5, v175, v131
	v_fma_f32 v3, v172, v128, -v3
	s_delay_alu instid0(VALU_DEP_2) | instskip(SKIP_1) | instid1(VALU_DEP_4)
	v_dual_add_f32 v2, v2, v4 :: v_dual_add_f32 v1, v1, v201
	v_mul_f32_e32 v4, v177, v133
	v_fma_f32 v5, v174, v130, -v5
	s_delay_alu instid0(VALU_DEP_3) | instskip(NEXT) | instid1(VALU_DEP_3)
	v_dual_add_f32 v2, v2, v3 :: v_dual_fmac_f32 v203, v169, v20
	v_fma_f32 v4, v176, v132, -v4
	s_delay_alu instid0(VALU_DEP_2) | instskip(SKIP_1) | instid1(VALU_DEP_2)
	v_add_f32_e32 v2, v2, v5
	v_mul_f32_e32 v5, v181, v137
	v_dual_add_f32 v1, v1, v202 :: v_dual_add_f32 v2, v2, v4
	s_delay_alu instid0(VALU_DEP_2) | instskip(SKIP_1) | instid1(VALU_DEP_3)
	v_fma_f32 v5, v180, v136, -v5
	v_mul_f32_e32 v3, v179, v135
	v_add_f32_e32 v1, v1, v203
	v_mul_f32_e32 v4, v183, v139
	s_delay_alu instid0(VALU_DEP_3) | instskip(NEXT) | instid1(VALU_DEP_3)
	v_fma_f32 v3, v178, v134, -v3
	v_add_f32_e32 v1, v1, v204
	s_delay_alu instid0(VALU_DEP_3) | instskip(NEXT) | instid1(VALU_DEP_3)
	v_fma_f32 v4, v182, v138, -v4
	v_add_f32_e32 v2, v2, v3
	s_delay_alu instid0(VALU_DEP_1) | instskip(NEXT) | instid1(VALU_DEP_4)
	v_add_f32_e32 v2, v2, v5
	v_add_f32_e32 v1, v1, v205
	s_delay_alu instid0(VALU_DEP_2) | instskip(SKIP_1) | instid1(VALU_DEP_2)
	v_dual_mul_f32 v5, v187, v143 :: v_dual_add_f32 v2, v2, v4
	v_mul_f32_e32 v4, v189, v145
	v_fma_f32 v5, v186, v142, -v5
	s_delay_alu instid0(VALU_DEP_2) | instskip(SKIP_1) | instid1(VALU_DEP_1)
	v_fma_f32 v4, v188, v144, -v4
	v_mul_f32_e32 v3, v185, v141
	v_fma_f32 v3, v184, v140, -v3
	s_delay_alu instid0(VALU_DEP_1) | instskip(NEXT) | instid1(VALU_DEP_1)
	v_dual_add_f32 v1, v1, v206 :: v_dual_add_f32 v2, v2, v3
	v_add_f32_e32 v1, v1, v207
	s_delay_alu instid0(VALU_DEP_2) | instskip(NEXT) | instid1(VALU_DEP_2)
	v_dual_mul_f32 v3, v191, v147 :: v_dual_add_f32 v2, v2, v5
	v_add_f32_e32 v1, v1, v208
	v_mul_f32_e32 v5, v193, v149
	s_delay_alu instid0(VALU_DEP_3) | instskip(NEXT) | instid1(VALU_DEP_4)
	v_fma_f32 v3, v190, v146, -v3
	v_add_f32_e32 v2, v2, v4
	v_fmac_f32_e32 v209, v181, v136
	s_delay_alu instid0(VALU_DEP_4) | instskip(NEXT) | instid1(VALU_DEP_2)
	v_fma_f32 v4, v192, v148, -v5
	v_dual_add_f32 v2, v2, v3 :: v_dual_add_f32 v1, v1, v209
	s_delay_alu instid0(VALU_DEP_1) | instskip(NEXT) | instid1(VALU_DEP_1)
	v_dual_add_f32 v2, v2, v4 :: v_dual_add_f32 v1, v1, v210
	v_add_f32_e32 v1, v1, v211
	s_delay_alu instid0(VALU_DEP_1) | instskip(NEXT) | instid1(VALU_DEP_1)
	v_add_f32_e32 v1, v1, v212
	v_add_f32_e32 v1, v1, v213
	s_delay_alu instid0(VALU_DEP_1) | instskip(NEXT) | instid1(VALU_DEP_1)
	v_add_f32_e32 v1, v1, v214
	v_add_f32_e32 v3, v1, v215
	s_wait_loadcnt 0x0
	s_delay_alu instid0(VALU_DEP_1)
	v_dual_sub_f32 v1, v194, v2 :: v_dual_sub_f32 v2, v195, v3
	scratch_store_b64 off, v[1:2], off offset:224
	v_cmpx_lt_u32_e32 27, v0
	s_cbranch_execz .LBB114_265
; %bb.264:
	scratch_load_b64 v[1:2], off, off offset:216
	v_mov_b32_e32 v3, 0
	s_delay_alu instid0(VALU_DEP_1)
	v_mov_b32_e32 v4, v3
	scratch_store_b64 off, v[3:4], off offset:216
	s_wait_loadcnt 0x0
	ds_store_b64 v23, v[1:2]
.LBB114_265:
	s_wait_alu 0xfffe
	s_or_b32 exec_lo, exec_lo, s0
	s_wait_storecnt_dscnt 0x0
	s_barrier_signal -1
	s_barrier_wait -1
	global_inv scope:SCOPE_SE
	s_clause 0xc
	scratch_load_b128 v[2:5], off, off offset:224
	scratch_load_b128 v[6:9], off, off offset:240
	;; [unrolled: 1-line block ×11, first 2 shown]
	scratch_load_b64 v[194:195], off, off offset:400
	scratch_load_b64 v[196:197], off, off offset:216
	v_mov_b32_e32 v1, 0
	ds_load_b128 v[150:153], v1 offset:640
	ds_load_b128 v[154:157], v1 offset:656
	;; [unrolled: 1-line block ×11, first 2 shown]
	ds_load_b64 v[198:199], v1 offset:816
	s_mov_b32 s0, exec_lo
	s_wait_loadcnt_dscnt 0xc0b
	v_mul_f32_e32 v22, v150, v3
	s_wait_loadcnt_dscnt 0xb0a
	v_dual_mul_f32 v200, v152, v5 :: v_dual_mul_f32 v201, v154, v7
	v_mul_f32_e32 v5, v153, v5
	s_wait_loadcnt_dscnt 0xa09
	v_dual_mul_f32 v202, v156, v9 :: v_dual_mul_f32 v203, v158, v11
	v_mul_f32_e32 v3, v151, v3
	v_fmac_f32_e32 v22, v151, v2
	s_wait_loadcnt_dscnt 0x908
	v_dual_mul_f32 v204, v160, v13 :: v_dual_mul_f32 v205, v162, v15
	s_wait_loadcnt_dscnt 0x100
	v_dual_mul_f32 v218, v188, v145 :: v_dual_mul_f32 v221, v198, v195
	v_fma_f32 v3, v150, v2, -v3
	v_mul_f32_e32 v2, v155, v7
	v_fmac_f32_e32 v200, v153, v4
	v_fma_f32 v4, v152, v4, -v5
	v_dual_add_f32 v5, 0, v22 :: v_dual_fmac_f32 v202, v157, v8
	v_add_f32_e32 v3, 0, v3
	v_fmac_f32_e32 v201, v155, v6
	v_fma_f32 v2, v154, v6, -v2
	v_dual_fmac_f32 v203, v159, v10 :: v_dual_fmac_f32 v204, v161, v12
	s_delay_alu instid0(VALU_DEP_4) | instskip(SKIP_3) | instid1(VALU_DEP_4)
	v_add_f32_e32 v3, v3, v4
	v_mul_f32_e32 v7, v157, v9
	v_add_f32_e32 v4, v5, v200
	v_dual_mul_f32 v206, v164, v17 :: v_dual_mul_f32 v207, v166, v19
	v_add_f32_e32 v2, v3, v2
	s_delay_alu instid0(VALU_DEP_4)
	v_fma_f32 v6, v156, v8, -v7
	v_mul_f32_e32 v5, v159, v11
	v_add_f32_e32 v3, v4, v201
	v_dual_mul_f32 v4, v161, v13 :: v_dual_fmac_f32 v205, v163, v14
	v_fmac_f32_e32 v206, v165, v16
	v_add_f32_e32 v2, v2, v6
	v_fma_f32 v5, v158, v10, -v5
	v_mul_f32_e32 v6, v163, v15
	v_add_f32_e32 v3, v3, v202
	v_fma_f32 v4, v160, v12, -v4
	v_dual_mul_f32 v208, v168, v21 :: v_dual_mul_f32 v209, v170, v127
	s_delay_alu instid0(VALU_DEP_3) | instskip(SKIP_2) | instid1(VALU_DEP_3)
	v_dual_add_f32 v2, v2, v5 :: v_dual_add_f32 v3, v3, v203
	v_mul_f32_e32 v5, v165, v17
	v_fma_f32 v6, v162, v14, -v6
	v_dual_fmac_f32 v207, v167, v18 :: v_dual_add_f32 v2, v2, v4
	s_delay_alu instid0(VALU_DEP_4) | instskip(SKIP_3) | instid1(VALU_DEP_4)
	v_add_f32_e32 v3, v3, v204
	v_mul_f32_e32 v4, v167, v19
	v_fma_f32 v5, v164, v16, -v5
	v_fmac_f32_e32 v208, v169, v20
	v_dual_add_f32 v2, v2, v6 :: v_dual_add_f32 v3, v3, v205
	v_mul_f32_e32 v6, v169, v21
	v_fma_f32 v4, v166, v18, -v4
	v_dual_mul_f32 v210, v172, v129 :: v_dual_mul_f32 v211, v174, v131
	s_delay_alu instid0(VALU_DEP_4) | instskip(SKIP_2) | instid1(VALU_DEP_4)
	v_dual_add_f32 v2, v2, v5 :: v_dual_add_f32 v3, v3, v206
	v_mul_f32_e32 v5, v171, v127
	v_fma_f32 v6, v168, v20, -v6
	v_dual_fmac_f32 v209, v171, v126 :: v_dual_fmac_f32 v210, v173, v128
	s_delay_alu instid0(VALU_DEP_4) | instskip(SKIP_3) | instid1(VALU_DEP_4)
	v_dual_add_f32 v2, v2, v4 :: v_dual_add_f32 v3, v3, v207
	v_mul_f32_e32 v4, v173, v129
	v_fma_f32 v5, v170, v126, -v5
	v_fmac_f32_e32 v211, v175, v130
	v_dual_add_f32 v2, v2, v6 :: v_dual_add_f32 v3, v3, v208
	v_mul_f32_e32 v6, v175, v131
	v_fma_f32 v4, v172, v128, -v4
	v_dual_mul_f32 v212, v176, v133 :: v_dual_mul_f32 v213, v178, v135
	s_delay_alu instid0(VALU_DEP_4) | instskip(SKIP_4) | instid1(VALU_DEP_4)
	v_add_f32_e32 v2, v2, v5
	v_add_f32_e32 v3, v3, v209
	v_mul_f32_e32 v5, v177, v133
	v_fma_f32 v6, v174, v130, -v6
	v_fmac_f32_e32 v212, v177, v132
	v_dual_add_f32 v2, v2, v4 :: v_dual_add_f32 v3, v3, v210
	v_mul_f32_e32 v4, v179, v135
	v_fma_f32 v5, v176, v132, -v5
	v_dual_mul_f32 v214, v180, v137 :: v_dual_mul_f32 v215, v182, v139
	s_delay_alu instid0(VALU_DEP_4) | instskip(SKIP_2) | instid1(VALU_DEP_3)
	v_dual_add_f32 v2, v2, v6 :: v_dual_add_f32 v3, v3, v211
	v_dual_mul_f32 v6, v181, v137 :: v_dual_fmac_f32 v213, v179, v134
	v_fma_f32 v4, v178, v134, -v4
	v_dual_add_f32 v2, v2, v5 :: v_dual_add_f32 v3, v3, v212
	v_dual_mul_f32 v216, v184, v141 :: v_dual_mul_f32 v217, v186, v143
	v_dual_mul_f32 v5, v183, v139 :: v_dual_fmac_f32 v214, v181, v136
	v_fma_f32 v6, v180, v136, -v6
	s_delay_alu instid0(VALU_DEP_4) | instskip(SKIP_1) | instid1(VALU_DEP_4)
	v_dual_add_f32 v2, v2, v4 :: v_dual_add_f32 v3, v3, v213
	v_dual_mul_f32 v4, v185, v141 :: v_dual_fmac_f32 v215, v183, v138
	v_fma_f32 v5, v182, v138, -v5
	s_delay_alu instid0(VALU_DEP_3) | instskip(NEXT) | instid1(VALU_DEP_4)
	v_dual_fmac_f32 v216, v185, v140 :: v_dual_add_f32 v3, v3, v214
	v_add_f32_e32 v2, v2, v6
	v_mul_f32_e32 v6, v187, v143
	v_fma_f32 v4, v184, v140, -v4
	v_fmac_f32_e32 v217, v187, v142
	s_delay_alu instid0(VALU_DEP_4) | instskip(SKIP_3) | instid1(VALU_DEP_4)
	v_dual_add_f32 v3, v3, v215 :: v_dual_add_f32 v2, v2, v5
	v_mul_f32_e32 v5, v189, v145
	v_fma_f32 v6, v186, v142, -v6
	v_dual_mul_f32 v219, v190, v147 :: v_dual_mul_f32 v220, v192, v149
	v_add_f32_e32 v3, v3, v216
	v_add_f32_e32 v2, v2, v4
	v_mul_f32_e32 v4, v191, v147
	s_delay_alu instid0(VALU_DEP_4) | instskip(SKIP_1) | instid1(VALU_DEP_4)
	v_dual_fmac_f32 v218, v189, v144 :: v_dual_fmac_f32 v219, v191, v146
	v_fma_f32 v5, v188, v144, -v5
	v_dual_add_f32 v3, v3, v217 :: v_dual_add_f32 v2, v2, v6
	v_mul_f32_e32 v6, v193, v149
	v_fma_f32 v4, v190, v146, -v4
	v_fmac_f32_e32 v221, v199, v194
	s_delay_alu instid0(VALU_DEP_4) | instskip(SKIP_2) | instid1(VALU_DEP_3)
	v_dual_add_f32 v3, v3, v218 :: v_dual_add_f32 v2, v2, v5
	v_dual_mul_f32 v5, v199, v195 :: v_dual_fmac_f32 v220, v193, v148
	v_fma_f32 v6, v192, v148, -v6
	v_dual_add_f32 v3, v3, v219 :: v_dual_add_f32 v2, v2, v4
	s_delay_alu instid0(VALU_DEP_3) | instskip(NEXT) | instid1(VALU_DEP_2)
	v_fma_f32 v4, v198, v194, -v5
	v_dual_add_f32 v3, v3, v220 :: v_dual_add_f32 v2, v2, v6
	s_delay_alu instid0(VALU_DEP_1) | instskip(SKIP_1) | instid1(VALU_DEP_1)
	v_dual_add_f32 v3, v3, v221 :: v_dual_add_f32 v2, v2, v4
	s_wait_loadcnt 0x0
	v_dual_sub_f32 v3, v197, v3 :: v_dual_sub_f32 v2, v196, v2
	scratch_store_b64 off, v[2:3], off offset:216
	v_cmpx_lt_u32_e32 26, v0
	s_cbranch_execz .LBB114_267
; %bb.266:
	scratch_load_b64 v[3:4], off, off offset:208
	v_mov_b32_e32 v2, v1
	scratch_store_b64 off, v[1:2], off offset:208
	s_wait_loadcnt 0x0
	ds_store_b64 v23, v[3:4]
.LBB114_267:
	s_wait_alu 0xfffe
	s_or_b32 exec_lo, exec_lo, s0
	s_wait_storecnt_dscnt 0x0
	s_barrier_signal -1
	s_barrier_wait -1
	global_inv scope:SCOPE_SE
	s_clause 0xc
	scratch_load_b128 v[2:5], off, off offset:216
	scratch_load_b128 v[6:9], off, off offset:232
	;; [unrolled: 1-line block ×12, first 2 shown]
	scratch_load_b64 v[202:203], off, off offset:208
	ds_load_2addr_b64 v[154:157], v1 offset0:79 offset1:80
	ds_load_2addr_b64 v[158:161], v1 offset0:81 offset1:82
	;; [unrolled: 1-line block ×12, first 2 shown]
	s_mov_b32 s0, exec_lo
	s_wait_loadcnt_dscnt 0xc0b
	v_dual_mul_f32 v1, v154, v3 :: v_dual_mul_f32 v22, v156, v5
	v_mul_f32_e32 v3, v155, v3
	s_wait_loadcnt_dscnt 0xb0a
	v_dual_mul_f32 v5, v157, v5 :: v_dual_mul_f32 v204, v158, v7
	s_delay_alu instid0(VALU_DEP_3) | instskip(NEXT) | instid1(VALU_DEP_3)
	v_dual_mul_f32 v205, v160, v9 :: v_dual_fmac_f32 v22, v157, v4
	v_fma_f32 v3, v154, v2, -v3
	v_fmac_f32_e32 v1, v155, v2
	v_mul_f32_e32 v2, v159, v7
	v_fma_f32 v4, v156, v4, -v5
	s_delay_alu instid0(VALU_DEP_4)
	v_dual_fmac_f32 v204, v159, v6 :: v_dual_add_f32 v3, 0, v3
	s_wait_loadcnt_dscnt 0x807
	v_dual_mul_f32 v210, v170, v19 :: v_dual_mul_f32 v211, v172, v21
	v_fma_f32 v2, v158, v6, -v2
	v_dual_mul_f32 v206, v162, v11 :: v_dual_mul_f32 v207, v164, v13
	v_add_f32_e32 v3, v3, v4
	v_dual_mul_f32 v5, v161, v9 :: v_dual_mul_f32 v208, v166, v15
	v_dual_mul_f32 v209, v168, v17 :: v_dual_mul_f32 v4, v163, v11
	s_delay_alu instid0(VALU_DEP_3) | instskip(NEXT) | instid1(VALU_DEP_3)
	v_add_f32_e32 v2, v3, v2
	v_fma_f32 v5, v160, v8, -v5
	v_dual_mul_f32 v3, v165, v13 :: v_dual_fmac_f32 v210, v171, v18
	s_delay_alu instid0(VALU_DEP_4) | instskip(SKIP_1) | instid1(VALU_DEP_4)
	v_fma_f32 v4, v162, v10, -v4
	v_dual_fmac_f32 v205, v161, v8 :: v_dual_fmac_f32 v206, v163, v10
	v_add_f32_e32 v2, v2, v5
	v_add_f32_e32 v1, 0, v1
	v_fma_f32 v3, v164, v12, -v3
	v_fmac_f32_e32 v208, v167, v14
	s_wait_loadcnt_dscnt 0x706
	v_dual_mul_f32 v212, v174, v127 :: v_dual_mul_f32 v213, v176, v129
	v_dual_add_f32 v1, v1, v22 :: v_dual_add_f32 v2, v2, v4
	v_mul_f32_e32 v4, v169, v17
	s_wait_loadcnt_dscnt 0x504
	v_dual_mul_f32 v216, v182, v135 :: v_dual_mul_f32 v217, v184, v137
	s_delay_alu instid0(VALU_DEP_3) | instskip(NEXT) | instid1(VALU_DEP_3)
	v_dual_add_f32 v1, v1, v204 :: v_dual_add_f32 v2, v2, v3
	v_fma_f32 v4, v168, v16, -v4
	v_mul_f32_e32 v5, v167, v15
	v_dual_mul_f32 v214, v178, v131 :: v_dual_mul_f32 v215, v180, v133
	s_wait_loadcnt_dscnt 0x201
	v_dual_add_f32 v1, v1, v205 :: v_dual_mul_f32 v222, v194, v147
	v_mul_f32_e32 v223, v196, v149
	v_fma_f32 v5, v166, v14, -v5
	v_fmac_f32_e32 v207, v165, v12
	s_delay_alu instid0(VALU_DEP_4)
	v_add_f32_e32 v1, v1, v206
	v_fmac_f32_e32 v212, v175, v126
	v_dual_mul_f32 v218, v186, v139 :: v_dual_mul_f32 v219, v188, v141
	v_add_f32_e32 v2, v2, v5
	v_dual_fmac_f32 v214, v179, v130 :: v_dual_fmac_f32 v213, v177, v128
	v_dual_mul_f32 v220, v190, v143 :: v_dual_mul_f32 v221, v192, v145
	s_delay_alu instid0(VALU_DEP_3) | instskip(SKIP_2) | instid1(VALU_DEP_4)
	v_add_f32_e32 v2, v2, v4
	v_mul_f32_e32 v4, v175, v127
	v_add_f32_e32 v1, v1, v207
	v_dual_fmac_f32 v215, v181, v132 :: v_dual_fmac_f32 v220, v191, v142
	v_fmac_f32_e32 v217, v185, v136
	s_delay_alu instid0(VALU_DEP_4) | instskip(SKIP_4) | instid1(VALU_DEP_3)
	v_fma_f32 v4, v174, v126, -v4
	v_mul_f32_e32 v5, v173, v21
	s_wait_loadcnt_dscnt 0x100
	v_dual_add_f32 v1, v1, v208 :: v_dual_mul_f32 v224, v198, v151
	v_dual_mul_f32 v225, v200, v153 :: v_dual_fmac_f32 v216, v183, v134
	v_fma_f32 v5, v172, v20, -v5
	v_mul_f32_e32 v3, v171, v19
	v_fmac_f32_e32 v223, v197, v148
	s_delay_alu instid0(VALU_DEP_4) | instskip(SKIP_1) | instid1(VALU_DEP_4)
	v_dual_fmac_f32 v225, v201, v152 :: v_dual_fmac_f32 v222, v195, v146
	v_fmac_f32_e32 v218, v187, v138
	v_fma_f32 v3, v170, v18, -v3
	v_dual_fmac_f32 v209, v169, v16 :: v_dual_fmac_f32 v224, v199, v150
	s_delay_alu instid0(VALU_DEP_2) | instskip(NEXT) | instid1(VALU_DEP_1)
	v_dual_add_f32 v2, v2, v3 :: v_dual_mul_f32 v3, v177, v129
	v_dual_add_f32 v2, v2, v5 :: v_dual_mul_f32 v5, v179, v131
	s_delay_alu instid0(VALU_DEP_2) | instskip(NEXT) | instid1(VALU_DEP_2)
	v_fma_f32 v3, v176, v128, -v3
	v_dual_add_f32 v2, v2, v4 :: v_dual_add_f32 v1, v1, v209
	v_mul_f32_e32 v4, v181, v133
	s_delay_alu instid0(VALU_DEP_4) | instskip(NEXT) | instid1(VALU_DEP_3)
	v_fma_f32 v5, v178, v130, -v5
	v_dual_add_f32 v2, v2, v3 :: v_dual_fmac_f32 v211, v173, v20
	s_delay_alu instid0(VALU_DEP_3) | instskip(NEXT) | instid1(VALU_DEP_2)
	v_fma_f32 v4, v180, v132, -v4
	v_add_f32_e32 v2, v2, v5
	v_mul_f32_e32 v5, v185, v137
	s_delay_alu instid0(VALU_DEP_2) | instskip(NEXT) | instid1(VALU_DEP_2)
	v_dual_add_f32 v1, v1, v210 :: v_dual_add_f32 v2, v2, v4
	v_fma_f32 v5, v184, v136, -v5
	v_mul_f32_e32 v3, v183, v135
	s_delay_alu instid0(VALU_DEP_3) | instskip(SKIP_1) | instid1(VALU_DEP_3)
	v_add_f32_e32 v1, v1, v211
	v_mul_f32_e32 v4, v187, v139
	v_fma_f32 v3, v182, v134, -v3
	s_delay_alu instid0(VALU_DEP_3) | instskip(NEXT) | instid1(VALU_DEP_3)
	v_add_f32_e32 v1, v1, v212
	v_fma_f32 v4, v186, v138, -v4
	s_delay_alu instid0(VALU_DEP_3) | instskip(NEXT) | instid1(VALU_DEP_1)
	v_add_f32_e32 v2, v2, v3
	v_add_f32_e32 v2, v2, v5
	s_delay_alu instid0(VALU_DEP_4) | instskip(NEXT) | instid1(VALU_DEP_2)
	v_add_f32_e32 v1, v1, v213
	v_dual_mul_f32 v5, v191, v143 :: v_dual_add_f32 v2, v2, v4
	v_mul_f32_e32 v4, v193, v145
	s_delay_alu instid0(VALU_DEP_2) | instskip(NEXT) | instid1(VALU_DEP_2)
	v_fma_f32 v5, v190, v142, -v5
	v_fma_f32 v4, v192, v144, -v4
	v_mul_f32_e32 v3, v189, v141
	s_delay_alu instid0(VALU_DEP_1) | instskip(NEXT) | instid1(VALU_DEP_1)
	v_fma_f32 v3, v188, v140, -v3
	v_dual_add_f32 v1, v1, v214 :: v_dual_add_f32 v2, v2, v3
	s_delay_alu instid0(VALU_DEP_1) | instskip(NEXT) | instid1(VALU_DEP_2)
	v_add_f32_e32 v1, v1, v215
	v_dual_mul_f32 v3, v195, v147 :: v_dual_add_f32 v2, v2, v5
	v_mul_f32_e32 v5, v197, v149
	s_delay_alu instid0(VALU_DEP_2) | instskip(NEXT) | instid1(VALU_DEP_3)
	v_fma_f32 v3, v194, v146, -v3
	v_add_f32_e32 v2, v2, v4
	v_dual_add_f32 v1, v1, v216 :: v_dual_mul_f32 v4, v199, v151
	s_delay_alu instid0(VALU_DEP_4) | instskip(NEXT) | instid1(VALU_DEP_2)
	v_fma_f32 v5, v196, v148, -v5
	v_dual_add_f32 v2, v2, v3 :: v_dual_add_f32 v1, v1, v217
	v_fmac_f32_e32 v219, v189, v140
	s_delay_alu instid0(VALU_DEP_4) | instskip(SKIP_1) | instid1(VALU_DEP_4)
	v_fma_f32 v4, v198, v150, -v4
	v_mul_f32_e32 v3, v201, v153
	v_dual_add_f32 v2, v2, v5 :: v_dual_add_f32 v1, v1, v218
	s_delay_alu instid0(VALU_DEP_2) | instskip(NEXT) | instid1(VALU_DEP_2)
	v_fma_f32 v3, v200, v152, -v3
	v_dual_add_f32 v2, v2, v4 :: v_dual_add_f32 v1, v1, v219
	s_delay_alu instid0(VALU_DEP_1) | instskip(NEXT) | instid1(VALU_DEP_2)
	v_dual_fmac_f32 v221, v193, v144 :: v_dual_add_f32 v2, v2, v3
	v_add_f32_e32 v1, v1, v220
	s_delay_alu instid0(VALU_DEP_1) | instskip(NEXT) | instid1(VALU_DEP_1)
	v_add_f32_e32 v1, v1, v221
	v_add_f32_e32 v1, v1, v222
	s_delay_alu instid0(VALU_DEP_1) | instskip(NEXT) | instid1(VALU_DEP_1)
	v_add_f32_e32 v1, v1, v223
	v_add_f32_e32 v1, v1, v224
	s_delay_alu instid0(VALU_DEP_1) | instskip(SKIP_1) | instid1(VALU_DEP_1)
	v_add_f32_e32 v3, v1, v225
	s_wait_loadcnt 0x0
	v_dual_sub_f32 v1, v202, v2 :: v_dual_sub_f32 v2, v203, v3
	scratch_store_b64 off, v[1:2], off offset:208
	v_cmpx_lt_u32_e32 25, v0
	s_cbranch_execz .LBB114_269
; %bb.268:
	scratch_load_b64 v[1:2], off, off offset:200
	v_mov_b32_e32 v3, 0
	s_delay_alu instid0(VALU_DEP_1)
	v_mov_b32_e32 v4, v3
	scratch_store_b64 off, v[3:4], off offset:200
	s_wait_loadcnt 0x0
	ds_store_b64 v23, v[1:2]
.LBB114_269:
	s_wait_alu 0xfffe
	s_or_b32 exec_lo, exec_lo, s0
	s_wait_storecnt_dscnt 0x0
	s_barrier_signal -1
	s_barrier_wait -1
	global_inv scope:SCOPE_SE
	s_clause 0xd
	scratch_load_b128 v[2:5], off, off offset:208
	scratch_load_b128 v[6:9], off, off offset:224
	;; [unrolled: 1-line block ×12, first 2 shown]
	scratch_load_b64 v[202:203], off, off offset:400
	scratch_load_b64 v[204:205], off, off offset:200
	v_mov_b32_e32 v1, 0
	ds_load_b128 v[154:157], v1 offset:624
	ds_load_b128 v[158:161], v1 offset:640
	;; [unrolled: 1-line block ×12, first 2 shown]
	ds_load_b64 v[206:207], v1 offset:816
	s_mov_b32 s0, exec_lo
	s_wait_loadcnt_dscnt 0xd0c
	v_mul_f32_e32 v22, v154, v3
	s_wait_loadcnt_dscnt 0xc0b
	v_dual_mul_f32 v208, v156, v5 :: v_dual_mul_f32 v209, v158, v7
	v_mul_f32_e32 v5, v157, v5
	s_wait_loadcnt_dscnt 0xb0a
	v_dual_mul_f32 v210, v160, v9 :: v_dual_mul_f32 v211, v162, v11
	v_dual_mul_f32 v3, v155, v3 :: v_dual_mul_f32 v212, v164, v13
	s_wait_loadcnt_dscnt 0xa09
	v_dual_mul_f32 v213, v166, v15 :: v_dual_fmac_f32 v22, v155, v2
	s_wait_loadcnt_dscnt 0x302
	v_mul_f32_e32 v228, v196, v149
	v_fma_f32 v3, v154, v2, -v3
	s_wait_loadcnt_dscnt 0x100
	v_mul_f32_e32 v231, v206, v203
	v_mul_f32_e32 v2, v159, v7
	v_fmac_f32_e32 v208, v157, v4
	v_fma_f32 v4, v156, v4, -v5
	v_add_f32_e32 v3, 0, v3
	v_dual_add_f32 v5, 0, v22 :: v_dual_fmac_f32 v210, v161, v8
	v_fmac_f32_e32 v209, v159, v6
	v_fma_f32 v2, v158, v6, -v2
	s_delay_alu instid0(VALU_DEP_4) | instskip(SKIP_3) | instid1(VALU_DEP_4)
	v_add_f32_e32 v3, v3, v4
	v_mul_f32_e32 v7, v161, v9
	v_dual_add_f32 v4, v5, v208 :: v_dual_fmac_f32 v211, v163, v10
	v_fmac_f32_e32 v212, v165, v12
	v_add_f32_e32 v2, v3, v2
	s_delay_alu instid0(VALU_DEP_4)
	v_fma_f32 v6, v160, v8, -v7
	v_mul_f32_e32 v5, v163, v11
	v_add_f32_e32 v3, v4, v209
	v_mul_f32_e32 v4, v165, v13
	v_dual_mul_f32 v214, v168, v17 :: v_dual_mul_f32 v215, v170, v19
	v_add_f32_e32 v2, v2, v6
	v_fma_f32 v5, v162, v10, -v5
	v_mul_f32_e32 v6, v167, v15
	v_add_f32_e32 v3, v3, v210
	v_fma_f32 v4, v164, v12, -v4
	v_dual_fmac_f32 v213, v167, v14 :: v_dual_fmac_f32 v214, v169, v16
	s_delay_alu instid0(VALU_DEP_3) | instskip(SKIP_3) | instid1(VALU_DEP_4)
	v_dual_add_f32 v2, v2, v5 :: v_dual_add_f32 v3, v3, v211
	v_mul_f32_e32 v5, v169, v17
	v_fma_f32 v6, v166, v14, -v6
	v_dual_mul_f32 v216, v172, v21 :: v_dual_mul_f32 v217, v174, v127
	v_add_f32_e32 v2, v2, v4
	v_add_f32_e32 v3, v3, v212
	v_mul_f32_e32 v4, v171, v19
	v_fma_f32 v5, v168, v16, -v5
	v_fmac_f32_e32 v215, v171, v18
	s_delay_alu instid0(VALU_DEP_4) | instskip(SKIP_3) | instid1(VALU_DEP_4)
	v_dual_add_f32 v2, v2, v6 :: v_dual_add_f32 v3, v3, v213
	v_fmac_f32_e32 v216, v173, v20
	v_mul_f32_e32 v6, v173, v21
	v_fma_f32 v4, v170, v18, -v4
	v_dual_add_f32 v2, v2, v5 :: v_dual_add_f32 v3, v3, v214
	v_mul_f32_e32 v5, v175, v127
	s_delay_alu instid0(VALU_DEP_4) | instskip(SKIP_1) | instid1(VALU_DEP_4)
	v_fma_f32 v6, v172, v20, -v6
	v_dual_mul_f32 v218, v176, v129 :: v_dual_mul_f32 v219, v178, v131
	v_dual_add_f32 v2, v2, v4 :: v_dual_add_f32 v3, v3, v215
	v_dual_mul_f32 v4, v177, v129 :: v_dual_fmac_f32 v217, v175, v126
	s_delay_alu instid0(VALU_DEP_3) | instskip(SKIP_1) | instid1(VALU_DEP_4)
	v_fmac_f32_e32 v218, v177, v128
	v_fma_f32 v5, v174, v126, -v5
	v_dual_add_f32 v2, v2, v6 :: v_dual_add_f32 v3, v3, v216
	v_mul_f32_e32 v6, v179, v131
	v_fma_f32 v4, v176, v128, -v4
	s_delay_alu instid0(VALU_DEP_3) | instskip(NEXT) | instid1(VALU_DEP_4)
	v_dual_fmac_f32 v219, v179, v130 :: v_dual_add_f32 v2, v2, v5
	v_add_f32_e32 v3, v3, v217
	v_dual_mul_f32 v220, v180, v133 :: v_dual_mul_f32 v221, v182, v135
	v_mul_f32_e32 v5, v181, v133
	v_fma_f32 v6, v178, v130, -v6
	s_delay_alu instid0(VALU_DEP_4) | instskip(NEXT) | instid1(VALU_DEP_4)
	v_dual_add_f32 v2, v2, v4 :: v_dual_add_f32 v3, v3, v218
	v_fmac_f32_e32 v220, v181, v132
	v_mul_f32_e32 v4, v183, v135
	v_fma_f32 v5, v180, v132, -v5
	s_delay_alu instid0(VALU_DEP_4) | instskip(SKIP_3) | instid1(VALU_DEP_4)
	v_dual_add_f32 v2, v2, v6 :: v_dual_add_f32 v3, v3, v219
	v_dual_mul_f32 v222, v184, v137 :: v_dual_mul_f32 v223, v186, v139
	v_dual_mul_f32 v6, v185, v137 :: v_dual_fmac_f32 v221, v183, v134
	v_fma_f32 v4, v182, v134, -v4
	v_dual_add_f32 v2, v2, v5 :: v_dual_add_f32 v3, v3, v220
	v_dual_mul_f32 v224, v188, v141 :: v_dual_mul_f32 v225, v190, v143
	v_dual_mul_f32 v5, v187, v139 :: v_dual_fmac_f32 v222, v185, v136
	v_fma_f32 v6, v184, v136, -v6
	s_delay_alu instid0(VALU_DEP_4) | instskip(SKIP_1) | instid1(VALU_DEP_4)
	v_dual_add_f32 v2, v2, v4 :: v_dual_add_f32 v3, v3, v221
	v_dual_mul_f32 v4, v189, v141 :: v_dual_fmac_f32 v223, v187, v138
	v_fma_f32 v5, v186, v138, -v5
	s_delay_alu instid0(VALU_DEP_3) | instskip(NEXT) | instid1(VALU_DEP_4)
	v_dual_fmac_f32 v224, v189, v140 :: v_dual_add_f32 v3, v3, v222
	v_add_f32_e32 v2, v2, v6
	v_mul_f32_e32 v6, v191, v143
	v_fma_f32 v4, v188, v140, -v4
	v_dual_mul_f32 v226, v192, v145 :: v_dual_mul_f32 v227, v194, v147
	s_delay_alu instid0(VALU_DEP_4) | instskip(SKIP_3) | instid1(VALU_DEP_4)
	v_dual_add_f32 v3, v3, v223 :: v_dual_add_f32 v2, v2, v5
	v_fmac_f32_e32 v225, v191, v142
	v_mul_f32_e32 v5, v193, v145
	v_fma_f32 v6, v190, v142, -v6
	v_add_f32_e32 v3, v3, v224
	v_add_f32_e32 v2, v2, v4
	v_mul_f32_e32 v4, v195, v147
	v_dual_fmac_f32 v226, v193, v144 :: v_dual_fmac_f32 v227, v195, v146
	v_fma_f32 v5, v192, v144, -v5
	s_delay_alu instid0(VALU_DEP_4) | instskip(SKIP_3) | instid1(VALU_DEP_4)
	v_dual_add_f32 v3, v3, v225 :: v_dual_add_f32 v2, v2, v6
	v_mul_f32_e32 v6, v197, v149
	v_fma_f32 v4, v194, v146, -v4
	v_dual_mul_f32 v229, v198, v151 :: v_dual_mul_f32 v230, v200, v153
	v_dual_add_f32 v2, v2, v5 :: v_dual_mul_f32 v5, v199, v151
	v_dual_add_f32 v3, v3, v226 :: v_dual_fmac_f32 v228, v197, v148
	v_fma_f32 v6, v196, v148, -v6
	s_delay_alu instid0(VALU_DEP_3) | instskip(NEXT) | instid1(VALU_DEP_3)
	v_dual_add_f32 v2, v2, v4 :: v_dual_fmac_f32 v229, v199, v150
	v_dual_add_f32 v3, v3, v227 :: v_dual_mul_f32 v4, v201, v153
	v_fma_f32 v5, v198, v150, -v5
	v_dual_fmac_f32 v230, v201, v152 :: v_dual_fmac_f32 v231, v207, v202
	s_delay_alu instid0(VALU_DEP_3) | instskip(SKIP_2) | instid1(VALU_DEP_3)
	v_dual_add_f32 v3, v3, v228 :: v_dual_add_f32 v2, v2, v6
	v_mul_f32_e32 v6, v207, v203
	v_fma_f32 v4, v200, v152, -v4
	v_add_f32_e32 v3, v3, v229
	s_delay_alu instid0(VALU_DEP_4) | instskip(NEXT) | instid1(VALU_DEP_4)
	v_add_f32_e32 v2, v2, v5
	v_fma_f32 v5, v206, v202, -v6
	s_delay_alu instid0(VALU_DEP_2) | instskip(NEXT) | instid1(VALU_DEP_1)
	v_dual_add_f32 v3, v3, v230 :: v_dual_add_f32 v2, v2, v4
	v_dual_add_f32 v3, v3, v231 :: v_dual_add_f32 v2, v2, v5
	s_wait_loadcnt 0x0
	s_delay_alu instid0(VALU_DEP_1)
	v_dual_sub_f32 v3, v205, v3 :: v_dual_sub_f32 v2, v204, v2
	scratch_store_b64 off, v[2:3], off offset:200
	v_cmpx_lt_u32_e32 24, v0
	s_cbranch_execz .LBB114_271
; %bb.270:
	scratch_load_b64 v[3:4], off, off offset:192
	v_mov_b32_e32 v2, v1
	scratch_store_b64 off, v[1:2], off offset:192
	s_wait_loadcnt 0x0
	ds_store_b64 v23, v[3:4]
.LBB114_271:
	s_wait_alu 0xfffe
	s_or_b32 exec_lo, exec_lo, s0
	s_wait_storecnt_dscnt 0x0
	s_barrier_signal -1
	s_barrier_wait -1
	global_inv scope:SCOPE_SE
	s_clause 0xd
	scratch_load_b128 v[2:5], off, off offset:200
	scratch_load_b128 v[6:9], off, off offset:216
	;; [unrolled: 1-line block ×13, first 2 shown]
	scratch_load_b64 v[210:211], off, off offset:192
	ds_load_2addr_b64 v[158:161], v1 offset0:77 offset1:78
	ds_load_2addr_b64 v[162:165], v1 offset0:79 offset1:80
	;; [unrolled: 1-line block ×13, first 2 shown]
	s_mov_b32 s0, exec_lo
	s_wait_loadcnt_dscnt 0xd0c
	v_dual_mul_f32 v1, v158, v3 :: v_dual_mul_f32 v22, v160, v5
	v_mul_f32_e32 v3, v159, v3
	s_wait_loadcnt_dscnt 0xc0b
	v_dual_mul_f32 v5, v161, v5 :: v_dual_mul_f32 v212, v162, v7
	s_delay_alu instid0(VALU_DEP_3) | instskip(NEXT) | instid1(VALU_DEP_3)
	v_dual_mul_f32 v213, v164, v9 :: v_dual_fmac_f32 v22, v161, v4
	v_fma_f32 v3, v158, v2, -v3
	v_fmac_f32_e32 v1, v159, v2
	v_mul_f32_e32 v2, v163, v7
	v_fma_f32 v4, v160, v4, -v5
	s_delay_alu instid0(VALU_DEP_4)
	v_dual_fmac_f32 v212, v163, v6 :: v_dual_add_f32 v3, 0, v3
	s_wait_loadcnt_dscnt 0x908
	v_dual_mul_f32 v218, v174, v19 :: v_dual_mul_f32 v219, v176, v21
	v_fma_f32 v2, v162, v6, -v2
	v_dual_mul_f32 v214, v166, v11 :: v_dual_mul_f32 v215, v168, v13
	v_add_f32_e32 v3, v3, v4
	v_dual_mul_f32 v5, v165, v9 :: v_dual_mul_f32 v216, v170, v15
	v_dual_mul_f32 v217, v172, v17 :: v_dual_mul_f32 v4, v167, v11
	s_delay_alu instid0(VALU_DEP_3) | instskip(NEXT) | instid1(VALU_DEP_3)
	v_add_f32_e32 v2, v3, v2
	v_fma_f32 v5, v164, v8, -v5
	v_dual_mul_f32 v3, v169, v13 :: v_dual_fmac_f32 v218, v175, v18
	s_delay_alu instid0(VALU_DEP_4) | instskip(SKIP_1) | instid1(VALU_DEP_4)
	v_fma_f32 v4, v166, v10, -v4
	v_dual_fmac_f32 v213, v165, v8 :: v_dual_fmac_f32 v214, v167, v10
	v_add_f32_e32 v2, v2, v5
	v_add_f32_e32 v1, 0, v1
	v_fma_f32 v3, v168, v12, -v3
	v_fmac_f32_e32 v216, v171, v14
	s_wait_loadcnt_dscnt 0x807
	v_dual_mul_f32 v220, v178, v127 :: v_dual_mul_f32 v221, v180, v129
	v_dual_add_f32 v1, v1, v22 :: v_dual_add_f32 v2, v2, v4
	v_mul_f32_e32 v4, v173, v17
	s_wait_loadcnt_dscnt 0x605
	v_dual_mul_f32 v224, v186, v135 :: v_dual_mul_f32 v225, v188, v137
	s_delay_alu instid0(VALU_DEP_3) | instskip(NEXT) | instid1(VALU_DEP_3)
	v_dual_add_f32 v1, v1, v212 :: v_dual_add_f32 v2, v2, v3
	v_fma_f32 v4, v172, v16, -v4
	v_mul_f32_e32 v5, v171, v15
	v_dual_mul_f32 v222, v182, v131 :: v_dual_mul_f32 v223, v184, v133
	s_wait_loadcnt_dscnt 0x302
	v_dual_add_f32 v1, v1, v213 :: v_dual_mul_f32 v230, v198, v147
	v_mul_f32_e32 v231, v200, v149
	v_fma_f32 v5, v170, v14, -v5
	v_fmac_f32_e32 v215, v169, v12
	s_delay_alu instid0(VALU_DEP_4)
	v_add_f32_e32 v1, v1, v214
	v_fmac_f32_e32 v220, v179, v126
	v_dual_mul_f32 v226, v190, v139 :: v_dual_mul_f32 v227, v192, v141
	v_add_f32_e32 v2, v2, v5
	v_dual_fmac_f32 v222, v183, v130 :: v_dual_fmac_f32 v221, v181, v128
	v_dual_mul_f32 v228, v194, v143 :: v_dual_mul_f32 v229, v196, v145
	s_delay_alu instid0(VALU_DEP_3) | instskip(SKIP_2) | instid1(VALU_DEP_4)
	v_add_f32_e32 v2, v2, v4
	v_mul_f32_e32 v4, v179, v127
	v_add_f32_e32 v1, v1, v215
	v_dual_fmac_f32 v223, v185, v132 :: v_dual_fmac_f32 v228, v195, v142
	v_fmac_f32_e32 v225, v189, v136
	s_delay_alu instid0(VALU_DEP_4) | instskip(SKIP_4) | instid1(VALU_DEP_3)
	v_fma_f32 v4, v178, v126, -v4
	v_mul_f32_e32 v5, v177, v21
	s_wait_loadcnt_dscnt 0x201
	v_dual_add_f32 v1, v1, v216 :: v_dual_mul_f32 v232, v202, v151
	v_dual_mul_f32 v233, v204, v153 :: v_dual_fmac_f32 v224, v187, v134
	v_fma_f32 v5, v176, v20, -v5
	v_mul_f32_e32 v3, v175, v19
	s_wait_loadcnt_dscnt 0x100
	v_dual_mul_f32 v234, v206, v155 :: v_dual_mul_f32 v235, v208, v157
	v_fmac_f32_e32 v231, v201, v148
	v_fmac_f32_e32 v233, v205, v152
	v_fma_f32 v3, v174, v18, -v3
	v_fmac_f32_e32 v217, v173, v16
	v_dual_fmac_f32 v235, v209, v156 :: v_dual_fmac_f32 v230, v199, v146
	v_fmac_f32_e32 v226, v191, v138
	s_delay_alu instid0(VALU_DEP_4) | instskip(SKIP_2) | instid1(VALU_DEP_3)
	v_dual_add_f32 v2, v2, v3 :: v_dual_mul_f32 v3, v181, v129
	v_fmac_f32_e32 v232, v203, v150
	v_fmac_f32_e32 v234, v207, v154
	v_dual_add_f32 v2, v2, v5 :: v_dual_mul_f32 v5, v183, v131
	s_delay_alu instid0(VALU_DEP_4) | instskip(NEXT) | instid1(VALU_DEP_2)
	v_fma_f32 v3, v180, v128, -v3
	v_dual_add_f32 v2, v2, v4 :: v_dual_add_f32 v1, v1, v217
	v_mul_f32_e32 v4, v185, v133
	s_delay_alu instid0(VALU_DEP_4) | instskip(NEXT) | instid1(VALU_DEP_3)
	v_fma_f32 v5, v182, v130, -v5
	v_dual_add_f32 v2, v2, v3 :: v_dual_fmac_f32 v219, v177, v20
	s_delay_alu instid0(VALU_DEP_3) | instskip(NEXT) | instid1(VALU_DEP_2)
	v_fma_f32 v4, v184, v132, -v4
	v_add_f32_e32 v2, v2, v5
	v_mul_f32_e32 v5, v189, v137
	s_delay_alu instid0(VALU_DEP_2) | instskip(NEXT) | instid1(VALU_DEP_2)
	v_dual_add_f32 v1, v1, v218 :: v_dual_add_f32 v2, v2, v4
	v_fma_f32 v5, v188, v136, -v5
	v_mul_f32_e32 v3, v187, v135
	s_delay_alu instid0(VALU_DEP_3) | instskip(SKIP_1) | instid1(VALU_DEP_3)
	v_add_f32_e32 v1, v1, v219
	v_mul_f32_e32 v4, v191, v139
	v_fma_f32 v3, v186, v134, -v3
	s_delay_alu instid0(VALU_DEP_3) | instskip(NEXT) | instid1(VALU_DEP_3)
	v_add_f32_e32 v1, v1, v220
	v_fma_f32 v4, v190, v138, -v4
	s_delay_alu instid0(VALU_DEP_3) | instskip(NEXT) | instid1(VALU_DEP_1)
	v_add_f32_e32 v2, v2, v3
	v_add_f32_e32 v2, v2, v5
	s_delay_alu instid0(VALU_DEP_4) | instskip(NEXT) | instid1(VALU_DEP_2)
	v_add_f32_e32 v1, v1, v221
	v_dual_mul_f32 v5, v195, v143 :: v_dual_add_f32 v2, v2, v4
	v_mul_f32_e32 v4, v197, v145
	s_delay_alu instid0(VALU_DEP_2) | instskip(NEXT) | instid1(VALU_DEP_2)
	v_fma_f32 v5, v194, v142, -v5
	v_fma_f32 v4, v196, v144, -v4
	v_mul_f32_e32 v3, v193, v141
	s_delay_alu instid0(VALU_DEP_1) | instskip(NEXT) | instid1(VALU_DEP_1)
	v_fma_f32 v3, v192, v140, -v3
	v_dual_add_f32 v1, v1, v222 :: v_dual_add_f32 v2, v2, v3
	s_delay_alu instid0(VALU_DEP_1) | instskip(NEXT) | instid1(VALU_DEP_2)
	v_add_f32_e32 v1, v1, v223
	v_dual_mul_f32 v3, v199, v147 :: v_dual_add_f32 v2, v2, v5
	v_mul_f32_e32 v5, v201, v149
	s_delay_alu instid0(VALU_DEP_2) | instskip(NEXT) | instid1(VALU_DEP_3)
	v_fma_f32 v3, v198, v146, -v3
	v_add_f32_e32 v2, v2, v4
	v_dual_add_f32 v1, v1, v224 :: v_dual_mul_f32 v4, v203, v151
	s_delay_alu instid0(VALU_DEP_4) | instskip(NEXT) | instid1(VALU_DEP_2)
	v_fma_f32 v5, v200, v148, -v5
	v_dual_add_f32 v2, v2, v3 :: v_dual_add_f32 v1, v1, v225
	v_fmac_f32_e32 v227, v193, v140
	v_mul_f32_e32 v3, v205, v153
	v_fma_f32 v4, v202, v150, -v4
	s_delay_alu instid0(VALU_DEP_4) | instskip(SKIP_1) | instid1(VALU_DEP_4)
	v_dual_add_f32 v2, v2, v5 :: v_dual_add_f32 v1, v1, v226
	v_mul_f32_e32 v5, v207, v155
	v_fma_f32 v3, v204, v152, -v3
	s_delay_alu instid0(VALU_DEP_3) | instskip(SKIP_1) | instid1(VALU_DEP_4)
	v_dual_add_f32 v2, v2, v4 :: v_dual_add_f32 v1, v1, v227
	v_fmac_f32_e32 v229, v197, v144
	v_fma_f32 v5, v206, v154, -v5
	v_mul_f32_e32 v4, v209, v157
	s_delay_alu instid0(VALU_DEP_4) | instskip(NEXT) | instid1(VALU_DEP_2)
	v_dual_add_f32 v2, v2, v3 :: v_dual_add_f32 v1, v1, v228
	v_fma_f32 v3, v208, v156, -v4
	s_delay_alu instid0(VALU_DEP_2) | instskip(NEXT) | instid1(VALU_DEP_1)
	v_add_f32_e32 v2, v2, v5
	v_dual_add_f32 v1, v1, v229 :: v_dual_add_f32 v2, v2, v3
	s_delay_alu instid0(VALU_DEP_1) | instskip(NEXT) | instid1(VALU_DEP_1)
	v_add_f32_e32 v1, v1, v230
	v_add_f32_e32 v1, v1, v231
	s_delay_alu instid0(VALU_DEP_1) | instskip(NEXT) | instid1(VALU_DEP_1)
	v_add_f32_e32 v1, v1, v232
	v_add_f32_e32 v1, v1, v233
	;; [unrolled: 3-line block ×3, first 2 shown]
	s_wait_loadcnt 0x0
	s_delay_alu instid0(VALU_DEP_1)
	v_dual_sub_f32 v1, v210, v2 :: v_dual_sub_f32 v2, v211, v3
	scratch_store_b64 off, v[1:2], off offset:192
	v_cmpx_lt_u32_e32 23, v0
	s_cbranch_execz .LBB114_273
; %bb.272:
	scratch_load_b64 v[1:2], off, off offset:184
	v_mov_b32_e32 v3, 0
	s_delay_alu instid0(VALU_DEP_1)
	v_mov_b32_e32 v4, v3
	scratch_store_b64 off, v[3:4], off offset:184
	s_wait_loadcnt 0x0
	ds_store_b64 v23, v[1:2]
.LBB114_273:
	s_wait_alu 0xfffe
	s_or_b32 exec_lo, exec_lo, s0
	s_wait_storecnt_dscnt 0x0
	s_barrier_signal -1
	s_barrier_wait -1
	global_inv scope:SCOPE_SE
	s_clause 0xe
	scratch_load_b128 v[2:5], off, off offset:192
	scratch_load_b128 v[6:9], off, off offset:208
	;; [unrolled: 1-line block ×13, first 2 shown]
	scratch_load_b64 v[210:211], off, off offset:400
	scratch_load_b64 v[212:213], off, off offset:184
	v_mov_b32_e32 v1, 0
	ds_load_b128 v[158:161], v1 offset:608
	ds_load_b128 v[162:165], v1 offset:624
	;; [unrolled: 1-line block ×13, first 2 shown]
	ds_load_b64 v[214:215], v1 offset:816
	s_mov_b32 s0, exec_lo
	s_wait_loadcnt_dscnt 0xe0d
	v_mul_f32_e32 v22, v158, v3
	s_wait_loadcnt_dscnt 0xd0c
	v_dual_mul_f32 v216, v160, v5 :: v_dual_mul_f32 v217, v162, v7
	v_mul_f32_e32 v5, v161, v5
	s_wait_loadcnt_dscnt 0xc0b
	v_dual_mul_f32 v218, v164, v9 :: v_dual_mul_f32 v219, v166, v11
	s_wait_loadcnt_dscnt 0xb0a
	v_dual_mul_f32 v220, v168, v13 :: v_dual_mul_f32 v221, v170, v15
	v_mul_f32_e32 v3, v159, v3
	v_fmac_f32_e32 v22, v159, v2
	s_delay_alu instid0(VALU_DEP_3)
	v_dual_fmac_f32 v219, v167, v10 :: v_dual_fmac_f32 v220, v169, v12
	s_wait_loadcnt_dscnt 0x100
	v_dual_mul_f32 v238, v204, v153 :: v_dual_mul_f32 v241, v214, v211
	v_fma_f32 v3, v158, v2, -v3
	v_mul_f32_e32 v2, v163, v7
	v_fmac_f32_e32 v216, v161, v4
	v_fma_f32 v4, v160, v4, -v5
	v_dual_add_f32 v5, 0, v22 :: v_dual_fmac_f32 v218, v165, v8
	v_add_f32_e32 v3, 0, v3
	v_fmac_f32_e32 v217, v163, v6
	v_fma_f32 v2, v162, v6, -v2
	v_dual_mul_f32 v222, v172, v17 :: v_dual_mul_f32 v223, v174, v19
	s_delay_alu instid0(VALU_DEP_4) | instskip(SKIP_2) | instid1(VALU_DEP_4)
	v_add_f32_e32 v3, v3, v4
	v_mul_f32_e32 v7, v165, v9
	v_dual_add_f32 v4, v5, v216 :: v_dual_fmac_f32 v221, v171, v14
	v_fmac_f32_e32 v222, v173, v16
	s_delay_alu instid0(VALU_DEP_4) | instskip(NEXT) | instid1(VALU_DEP_4)
	v_add_f32_e32 v2, v3, v2
	v_fma_f32 v6, v164, v8, -v7
	v_mul_f32_e32 v5, v167, v11
	v_add_f32_e32 v3, v4, v217
	v_mul_f32_e32 v4, v169, v13
	v_dual_mul_f32 v224, v176, v21 :: v_dual_mul_f32 v225, v178, v127
	v_add_f32_e32 v2, v2, v6
	v_fma_f32 v5, v166, v10, -v5
	v_mul_f32_e32 v6, v171, v15
	v_add_f32_e32 v3, v3, v218
	v_fma_f32 v4, v168, v12, -v4
	v_dual_mul_f32 v226, v180, v129 :: v_dual_mul_f32 v227, v182, v131
	s_delay_alu instid0(VALU_DEP_3) | instskip(SKIP_2) | instid1(VALU_DEP_3)
	v_dual_add_f32 v2, v2, v5 :: v_dual_add_f32 v3, v3, v219
	v_mul_f32_e32 v5, v173, v17
	v_fma_f32 v6, v170, v14, -v6
	v_dual_fmac_f32 v223, v175, v18 :: v_dual_add_f32 v2, v2, v4
	s_delay_alu instid0(VALU_DEP_4) | instskip(SKIP_3) | instid1(VALU_DEP_4)
	v_add_f32_e32 v3, v3, v220
	v_mul_f32_e32 v4, v175, v19
	v_fma_f32 v5, v172, v16, -v5
	v_fmac_f32_e32 v224, v177, v20
	v_dual_add_f32 v2, v2, v6 :: v_dual_add_f32 v3, v3, v221
	v_mul_f32_e32 v6, v177, v21
	v_fma_f32 v4, v174, v18, -v4
	v_dual_fmac_f32 v225, v179, v126 :: v_dual_fmac_f32 v226, v181, v128
	s_delay_alu instid0(VALU_DEP_4) | instskip(SKIP_3) | instid1(VALU_DEP_4)
	v_dual_add_f32 v2, v2, v5 :: v_dual_add_f32 v3, v3, v222
	v_mul_f32_e32 v5, v179, v127
	v_fma_f32 v6, v176, v20, -v6
	v_dual_mul_f32 v228, v184, v133 :: v_dual_mul_f32 v229, v186, v135
	v_dual_add_f32 v2, v2, v4 :: v_dual_add_f32 v3, v3, v223
	v_mul_f32_e32 v4, v181, v129
	v_fma_f32 v5, v178, v126, -v5
	v_fmac_f32_e32 v227, v183, v130
	s_delay_alu instid0(VALU_DEP_4) | instskip(SKIP_3) | instid1(VALU_DEP_4)
	v_dual_add_f32 v2, v2, v6 :: v_dual_add_f32 v3, v3, v224
	v_mul_f32_e32 v6, v183, v131
	v_fma_f32 v4, v180, v128, -v4
	v_fmac_f32_e32 v228, v185, v132
	v_add_f32_e32 v2, v2, v5
	v_add_f32_e32 v3, v3, v225
	v_mul_f32_e32 v5, v185, v133
	v_fma_f32 v6, v182, v130, -v6
	v_dual_mul_f32 v230, v188, v137 :: v_dual_mul_f32 v231, v190, v139
	s_delay_alu instid0(VALU_DEP_4) | instskip(SKIP_3) | instid1(VALU_DEP_4)
	v_dual_add_f32 v2, v2, v4 :: v_dual_add_f32 v3, v3, v226
	v_mul_f32_e32 v4, v187, v135
	v_fma_f32 v5, v184, v132, -v5
	v_fmac_f32_e32 v229, v187, v134
	v_dual_add_f32 v2, v2, v6 :: v_dual_add_f32 v3, v3, v227
	v_mul_f32_e32 v6, v189, v137
	v_fma_f32 v4, v186, v134, -v4
	v_fmac_f32_e32 v230, v189, v136
	s_delay_alu instid0(VALU_DEP_4) | instskip(SKIP_2) | instid1(VALU_DEP_3)
	v_dual_add_f32 v2, v2, v5 :: v_dual_add_f32 v3, v3, v228
	v_dual_mul_f32 v5, v191, v139 :: v_dual_mul_f32 v232, v192, v141
	v_mul_f32_e32 v233, v194, v143
	v_dual_add_f32 v2, v2, v4 :: v_dual_add_f32 v3, v3, v229
	v_fma_f32 v6, v188, v136, -v6
	v_dual_mul_f32 v4, v193, v141 :: v_dual_fmac_f32 v231, v191, v138
	v_fma_f32 v5, v190, v138, -v5
	s_delay_alu instid0(VALU_DEP_4) | instskip(NEXT) | instid1(VALU_DEP_4)
	v_dual_add_f32 v3, v3, v230 :: v_dual_fmac_f32 v232, v193, v140
	v_add_f32_e32 v2, v2, v6
	v_mul_f32_e32 v6, v195, v143
	v_dual_mul_f32 v234, v196, v145 :: v_dual_mul_f32 v235, v198, v147
	s_delay_alu instid0(VALU_DEP_4) | instskip(SKIP_3) | instid1(VALU_DEP_4)
	v_add_f32_e32 v3, v3, v231
	v_fma_f32 v4, v192, v140, -v4
	v_dual_add_f32 v2, v2, v5 :: v_dual_fmac_f32 v233, v195, v142
	v_fma_f32 v6, v194, v142, -v6
	v_add_f32_e32 v3, v3, v232
	s_delay_alu instid0(VALU_DEP_3) | instskip(SKIP_1) | instid1(VALU_DEP_3)
	v_dual_mul_f32 v5, v197, v145 :: v_dual_add_f32 v2, v2, v4
	v_dual_fmac_f32 v234, v197, v144 :: v_dual_fmac_f32 v235, v199, v146
	v_add_f32_e32 v3, v3, v233
	v_dual_mul_f32 v236, v200, v149 :: v_dual_mul_f32 v237, v202, v151
	v_mul_f32_e32 v4, v199, v147
	v_fma_f32 v5, v196, v144, -v5
	v_add_f32_e32 v2, v2, v6
	v_dual_mul_f32 v6, v201, v149 :: v_dual_add_f32 v3, v3, v234
	s_delay_alu instid0(VALU_DEP_4) | instskip(SKIP_1) | instid1(VALU_DEP_4)
	v_fma_f32 v4, v198, v146, -v4
	v_fmac_f32_e32 v236, v201, v148
	v_dual_add_f32 v2, v2, v5 :: v_dual_mul_f32 v5, v203, v151
	s_delay_alu instid0(VALU_DEP_4) | instskip(SKIP_1) | instid1(VALU_DEP_3)
	v_add_f32_e32 v3, v3, v235
	v_fma_f32 v6, v200, v148, -v6
	v_dual_fmac_f32 v237, v203, v150 :: v_dual_add_f32 v2, v2, v4
	s_delay_alu instid0(VALU_DEP_3) | instskip(SKIP_2) | instid1(VALU_DEP_3)
	v_dual_mul_f32 v4, v205, v153 :: v_dual_add_f32 v3, v3, v236
	v_dual_mul_f32 v239, v206, v155 :: v_dual_mul_f32 v240, v208, v157
	v_fma_f32 v5, v202, v150, -v5
	v_dual_add_f32 v2, v2, v6 :: v_dual_add_f32 v3, v3, v237
	s_delay_alu instid0(VALU_DEP_3) | instskip(SKIP_2) | instid1(VALU_DEP_3)
	v_dual_fmac_f32 v238, v205, v152 :: v_dual_fmac_f32 v239, v207, v154
	v_mul_f32_e32 v6, v207, v155
	v_fma_f32 v4, v204, v152, -v4
	v_dual_add_f32 v2, v2, v5 :: v_dual_add_f32 v3, v3, v238
	v_mul_f32_e32 v5, v209, v157
	s_delay_alu instid0(VALU_DEP_4) | instskip(SKIP_1) | instid1(VALU_DEP_4)
	v_fma_f32 v6, v206, v154, -v6
	v_dual_fmac_f32 v240, v209, v156 :: v_dual_fmac_f32 v241, v215, v210
	v_dual_add_f32 v2, v2, v4 :: v_dual_add_f32 v3, v3, v239
	v_mul_f32_e32 v4, v215, v211
	v_fma_f32 v5, v208, v156, -v5
	s_delay_alu instid0(VALU_DEP_3) | instskip(NEXT) | instid1(VALU_DEP_3)
	v_dual_add_f32 v2, v2, v6 :: v_dual_add_f32 v3, v3, v240
	v_fma_f32 v4, v214, v210, -v4
	s_delay_alu instid0(VALU_DEP_2) | instskip(SKIP_1) | instid1(VALU_DEP_1)
	v_add_f32_e32 v3, v3, v241
	s_wait_loadcnt 0x0
	v_dual_add_f32 v2, v2, v5 :: v_dual_sub_f32 v3, v213, v3
	s_delay_alu instid0(VALU_DEP_1) | instskip(NEXT) | instid1(VALU_DEP_1)
	v_add_f32_e32 v2, v2, v4
	v_sub_f32_e32 v2, v212, v2
	scratch_store_b64 off, v[2:3], off offset:184
	v_cmpx_lt_u32_e32 22, v0
	s_cbranch_execz .LBB114_275
; %bb.274:
	scratch_load_b64 v[3:4], off, off offset:176
	v_mov_b32_e32 v2, v1
	scratch_store_b64 off, v[1:2], off offset:176
	s_wait_loadcnt 0x0
	ds_store_b64 v23, v[3:4]
.LBB114_275:
	s_wait_alu 0xfffe
	s_or_b32 exec_lo, exec_lo, s0
	s_wait_storecnt_dscnt 0x0
	s_barrier_signal -1
	s_barrier_wait -1
	global_inv scope:SCOPE_SE
	s_clause 0xe
	scratch_load_b128 v[2:5], off, off offset:184
	scratch_load_b128 v[6:9], off, off offset:200
	;; [unrolled: 1-line block ×14, first 2 shown]
	scratch_load_b64 v[218:219], off, off offset:176
	ds_load_2addr_b64 v[162:165], v1 offset0:75 offset1:76
	ds_load_2addr_b64 v[166:169], v1 offset0:77 offset1:78
	;; [unrolled: 1-line block ×14, first 2 shown]
	s_mov_b32 s0, exec_lo
	s_wait_loadcnt_dscnt 0xe0d
	v_dual_mul_f32 v1, v162, v3 :: v_dual_mul_f32 v22, v164, v5
	v_mul_f32_e32 v3, v163, v3
	s_wait_loadcnt_dscnt 0xd0c
	v_dual_mul_f32 v5, v165, v5 :: v_dual_mul_f32 v220, v166, v7
	s_delay_alu instid0(VALU_DEP_3) | instskip(NEXT) | instid1(VALU_DEP_3)
	v_dual_mul_f32 v221, v168, v9 :: v_dual_fmac_f32 v22, v165, v4
	v_fma_f32 v3, v162, v2, -v3
	v_fmac_f32_e32 v1, v163, v2
	v_mul_f32_e32 v2, v167, v7
	v_fma_f32 v4, v164, v4, -v5
	s_delay_alu instid0(VALU_DEP_4)
	v_dual_fmac_f32 v220, v167, v6 :: v_dual_add_f32 v3, 0, v3
	s_wait_loadcnt_dscnt 0xa09
	v_dual_mul_f32 v226, v178, v19 :: v_dual_mul_f32 v227, v180, v21
	v_fma_f32 v2, v166, v6, -v2
	v_dual_mul_f32 v222, v170, v11 :: v_dual_mul_f32 v223, v172, v13
	v_add_f32_e32 v3, v3, v4
	v_dual_mul_f32 v5, v169, v9 :: v_dual_mul_f32 v224, v174, v15
	v_dual_mul_f32 v225, v176, v17 :: v_dual_mul_f32 v4, v171, v11
	s_delay_alu instid0(VALU_DEP_3) | instskip(NEXT) | instid1(VALU_DEP_3)
	v_add_f32_e32 v2, v3, v2
	v_fma_f32 v5, v168, v8, -v5
	v_dual_mul_f32 v3, v173, v13 :: v_dual_fmac_f32 v226, v179, v18
	s_delay_alu instid0(VALU_DEP_4) | instskip(SKIP_1) | instid1(VALU_DEP_4)
	v_fma_f32 v4, v170, v10, -v4
	v_dual_fmac_f32 v221, v169, v8 :: v_dual_fmac_f32 v222, v171, v10
	v_add_f32_e32 v2, v2, v5
	v_add_f32_e32 v1, 0, v1
	v_fma_f32 v3, v172, v12, -v3
	v_fmac_f32_e32 v224, v175, v14
	s_wait_loadcnt_dscnt 0x908
	v_dual_mul_f32 v228, v182, v127 :: v_dual_mul_f32 v229, v184, v129
	v_dual_add_f32 v1, v1, v22 :: v_dual_add_f32 v2, v2, v4
	v_mul_f32_e32 v4, v177, v17
	s_wait_loadcnt_dscnt 0x706
	v_dual_mul_f32 v232, v190, v135 :: v_dual_mul_f32 v233, v192, v137
	s_delay_alu instid0(VALU_DEP_3) | instskip(NEXT) | instid1(VALU_DEP_3)
	v_dual_add_f32 v1, v1, v220 :: v_dual_add_f32 v2, v2, v3
	v_fma_f32 v4, v176, v16, -v4
	v_mul_f32_e32 v5, v175, v15
	v_dual_mul_f32 v230, v186, v131 :: v_dual_mul_f32 v231, v188, v133
	s_wait_loadcnt_dscnt 0x403
	v_dual_add_f32 v1, v1, v221 :: v_dual_mul_f32 v238, v202, v147
	v_mul_f32_e32 v239, v204, v149
	v_fma_f32 v5, v174, v14, -v5
	v_fmac_f32_e32 v223, v173, v12
	s_delay_alu instid0(VALU_DEP_4)
	v_add_f32_e32 v1, v1, v222
	v_fmac_f32_e32 v228, v183, v126
	v_dual_mul_f32 v234, v194, v139 :: v_dual_mul_f32 v235, v196, v141
	v_add_f32_e32 v2, v2, v5
	v_dual_fmac_f32 v230, v187, v130 :: v_dual_fmac_f32 v229, v185, v128
	v_dual_mul_f32 v236, v198, v143 :: v_dual_mul_f32 v237, v200, v145
	s_delay_alu instid0(VALU_DEP_3) | instskip(SKIP_2) | instid1(VALU_DEP_4)
	v_add_f32_e32 v2, v2, v4
	v_mul_f32_e32 v4, v183, v127
	v_add_f32_e32 v1, v1, v223
	v_dual_fmac_f32 v231, v189, v132 :: v_dual_fmac_f32 v236, v199, v142
	s_wait_loadcnt_dscnt 0x100
	v_dual_mul_f32 v244, v214, v159 :: v_dual_mul_f32 v245, v216, v161
	v_fma_f32 v4, v182, v126, -v4
	v_mul_f32_e32 v5, v181, v21
	v_dual_add_f32 v1, v1, v224 :: v_dual_fmac_f32 v232, v191, v134
	v_dual_fmac_f32 v233, v193, v136 :: v_dual_mul_f32 v240, v206, v151
	v_mul_f32_e32 v241, v208, v153
	s_delay_alu instid0(VALU_DEP_4) | instskip(SKIP_2) | instid1(VALU_DEP_4)
	v_fma_f32 v5, v180, v20, -v5
	v_mul_f32_e32 v3, v179, v19
	v_dual_mul_f32 v242, v210, v155 :: v_dual_mul_f32 v243, v212, v157
	v_fmac_f32_e32 v241, v209, v152
	v_fmac_f32_e32 v245, v217, v160
	s_delay_alu instid0(VALU_DEP_4) | instskip(SKIP_3) | instid1(VALU_DEP_4)
	v_fma_f32 v3, v178, v18, -v3
	v_fmac_f32_e32 v225, v177, v16
	v_dual_fmac_f32 v243, v213, v156 :: v_dual_fmac_f32 v238, v203, v146
	v_fmac_f32_e32 v234, v195, v138
	v_dual_add_f32 v2, v2, v3 :: v_dual_mul_f32 v3, v185, v129
	v_fmac_f32_e32 v244, v215, v158
	v_fmac_f32_e32 v240, v207, v150
	;; [unrolled: 1-line block ×3, first 2 shown]
	s_delay_alu instid0(VALU_DEP_4) | instskip(SKIP_1) | instid1(VALU_DEP_2)
	v_dual_add_f32 v2, v2, v5 :: v_dual_mul_f32 v5, v187, v131
	v_fma_f32 v3, v184, v128, -v3
	v_dual_add_f32 v2, v2, v4 :: v_dual_add_f32 v1, v1, v225
	v_mul_f32_e32 v4, v189, v133
	s_delay_alu instid0(VALU_DEP_4) | instskip(NEXT) | instid1(VALU_DEP_3)
	v_fma_f32 v5, v186, v130, -v5
	v_dual_add_f32 v2, v2, v3 :: v_dual_fmac_f32 v227, v181, v20
	s_delay_alu instid0(VALU_DEP_3) | instskip(NEXT) | instid1(VALU_DEP_2)
	v_fma_f32 v4, v188, v132, -v4
	v_add_f32_e32 v2, v2, v5
	v_mul_f32_e32 v5, v193, v137
	s_delay_alu instid0(VALU_DEP_2) | instskip(NEXT) | instid1(VALU_DEP_2)
	v_dual_add_f32 v1, v1, v226 :: v_dual_add_f32 v2, v2, v4
	v_fma_f32 v5, v192, v136, -v5
	v_mul_f32_e32 v3, v191, v135
	s_delay_alu instid0(VALU_DEP_3) | instskip(SKIP_1) | instid1(VALU_DEP_3)
	v_add_f32_e32 v1, v1, v227
	v_mul_f32_e32 v4, v195, v139
	v_fma_f32 v3, v190, v134, -v3
	s_delay_alu instid0(VALU_DEP_3) | instskip(NEXT) | instid1(VALU_DEP_3)
	v_add_f32_e32 v1, v1, v228
	v_fma_f32 v4, v194, v138, -v4
	s_delay_alu instid0(VALU_DEP_3) | instskip(NEXT) | instid1(VALU_DEP_1)
	v_add_f32_e32 v2, v2, v3
	v_add_f32_e32 v2, v2, v5
	s_delay_alu instid0(VALU_DEP_4) | instskip(NEXT) | instid1(VALU_DEP_2)
	v_add_f32_e32 v1, v1, v229
	v_dual_mul_f32 v5, v199, v143 :: v_dual_add_f32 v2, v2, v4
	v_mul_f32_e32 v4, v201, v145
	s_delay_alu instid0(VALU_DEP_2) | instskip(NEXT) | instid1(VALU_DEP_2)
	v_fma_f32 v5, v198, v142, -v5
	v_fma_f32 v4, v200, v144, -v4
	v_mul_f32_e32 v3, v197, v141
	s_delay_alu instid0(VALU_DEP_1) | instskip(NEXT) | instid1(VALU_DEP_1)
	v_fma_f32 v3, v196, v140, -v3
	v_dual_add_f32 v1, v1, v230 :: v_dual_add_f32 v2, v2, v3
	s_delay_alu instid0(VALU_DEP_1) | instskip(NEXT) | instid1(VALU_DEP_2)
	v_add_f32_e32 v1, v1, v231
	v_dual_mul_f32 v3, v203, v147 :: v_dual_add_f32 v2, v2, v5
	v_mul_f32_e32 v5, v205, v149
	s_delay_alu instid0(VALU_DEP_2) | instskip(NEXT) | instid1(VALU_DEP_3)
	v_fma_f32 v3, v202, v146, -v3
	v_add_f32_e32 v2, v2, v4
	v_dual_add_f32 v1, v1, v232 :: v_dual_mul_f32 v4, v207, v151
	s_delay_alu instid0(VALU_DEP_4) | instskip(NEXT) | instid1(VALU_DEP_2)
	v_fma_f32 v5, v204, v148, -v5
	v_dual_add_f32 v2, v2, v3 :: v_dual_add_f32 v1, v1, v233
	v_fmac_f32_e32 v235, v197, v140
	v_mul_f32_e32 v3, v209, v153
	v_fma_f32 v4, v206, v150, -v4
	s_delay_alu instid0(VALU_DEP_4) | instskip(SKIP_1) | instid1(VALU_DEP_4)
	v_dual_add_f32 v2, v2, v5 :: v_dual_add_f32 v1, v1, v234
	v_mul_f32_e32 v5, v211, v155
	v_fma_f32 v3, v208, v152, -v3
	s_delay_alu instid0(VALU_DEP_3) | instskip(SKIP_3) | instid1(VALU_DEP_4)
	v_dual_add_f32 v2, v2, v4 :: v_dual_add_f32 v1, v1, v235
	v_fmac_f32_e32 v237, v201, v144
	v_mul_f32_e32 v4, v213, v157
	v_fma_f32 v5, v210, v154, -v5
	v_dual_add_f32 v2, v2, v3 :: v_dual_add_f32 v1, v1, v236
	v_mul_f32_e32 v3, v215, v159
	s_delay_alu instid0(VALU_DEP_4) | instskip(NEXT) | instid1(VALU_DEP_3)
	v_fma_f32 v4, v212, v156, -v4
	v_add_f32_e32 v2, v2, v5
	s_delay_alu instid0(VALU_DEP_4) | instskip(SKIP_2) | instid1(VALU_DEP_4)
	v_add_f32_e32 v1, v1, v237
	v_mul_f32_e32 v5, v217, v161
	v_fma_f32 v3, v214, v158, -v3
	v_add_f32_e32 v2, v2, v4
	v_fmac_f32_e32 v239, v205, v148
	s_delay_alu instid0(VALU_DEP_4) | instskip(NEXT) | instid1(VALU_DEP_3)
	v_fma_f32 v4, v216, v160, -v5
	v_dual_add_f32 v2, v2, v3 :: v_dual_add_f32 v1, v1, v238
	s_delay_alu instid0(VALU_DEP_1) | instskip(NEXT) | instid1(VALU_DEP_1)
	v_dual_add_f32 v2, v2, v4 :: v_dual_add_f32 v1, v1, v239
	v_add_f32_e32 v1, v1, v240
	s_delay_alu instid0(VALU_DEP_1) | instskip(NEXT) | instid1(VALU_DEP_1)
	v_add_f32_e32 v1, v1, v241
	v_add_f32_e32 v1, v1, v242
	s_delay_alu instid0(VALU_DEP_1) | instskip(NEXT) | instid1(VALU_DEP_1)
	v_add_f32_e32 v1, v1, v243
	v_add_f32_e32 v1, v1, v244
	s_delay_alu instid0(VALU_DEP_1) | instskip(SKIP_1) | instid1(VALU_DEP_1)
	v_add_f32_e32 v3, v1, v245
	s_wait_loadcnt 0x0
	v_dual_sub_f32 v1, v218, v2 :: v_dual_sub_f32 v2, v219, v3
	scratch_store_b64 off, v[1:2], off offset:176
	v_cmpx_lt_u32_e32 21, v0
	s_cbranch_execz .LBB114_277
; %bb.276:
	scratch_load_b64 v[1:2], off, off offset:168
	v_mov_b32_e32 v3, 0
	s_delay_alu instid0(VALU_DEP_1)
	v_mov_b32_e32 v4, v3
	scratch_store_b64 off, v[3:4], off offset:168
	s_wait_loadcnt 0x0
	ds_store_b64 v23, v[1:2]
.LBB114_277:
	s_wait_alu 0xfffe
	s_or_b32 exec_lo, exec_lo, s0
	s_wait_storecnt_dscnt 0x0
	s_barrier_signal -1
	s_barrier_wait -1
	global_inv scope:SCOPE_SE
	s_clause 0xf
	scratch_load_b128 v[2:5], off, off offset:176
	scratch_load_b128 v[6:9], off, off offset:192
	;; [unrolled: 1-line block ×14, first 2 shown]
	scratch_load_b64 v[218:219], off, off offset:400
	scratch_load_b64 v[220:221], off, off offset:168
	v_mov_b32_e32 v1, 0
	ds_load_b128 v[162:165], v1 offset:592
	ds_load_b128 v[166:169], v1 offset:608
	;; [unrolled: 1-line block ×14, first 2 shown]
	ds_load_b64 v[222:223], v1 offset:816
	s_mov_b32 s0, exec_lo
	s_wait_loadcnt_dscnt 0xf0e
	v_mul_f32_e32 v22, v162, v3
	s_wait_loadcnt_dscnt 0xe0d
	v_dual_mul_f32 v224, v164, v5 :: v_dual_mul_f32 v225, v166, v7
	v_mul_f32_e32 v5, v165, v5
	s_wait_loadcnt_dscnt 0xd0c
	v_dual_mul_f32 v226, v168, v9 :: v_dual_mul_f32 v227, v170, v11
	s_wait_loadcnt_dscnt 0xc0b
	v_dual_mul_f32 v228, v172, v13 :: v_dual_mul_f32 v229, v174, v15
	v_dual_mul_f32 v3, v163, v3 :: v_dual_mul_f32 v230, v176, v17
	s_wait_loadcnt_dscnt 0xb0a
	v_dual_mul_f32 v231, v178, v19 :: v_dual_fmac_f32 v22, v163, v2
	s_wait_loadcnt_dscnt 0x302
	v_mul_f32_e32 v248, v212, v157
	v_fma_f32 v3, v162, v2, -v3
	s_wait_loadcnt_dscnt 0x100
	v_mul_f32_e32 v251, v222, v219
	v_mul_f32_e32 v2, v167, v7
	v_fmac_f32_e32 v224, v165, v4
	v_fma_f32 v4, v164, v4, -v5
	v_add_f32_e32 v3, 0, v3
	v_dual_add_f32 v5, 0, v22 :: v_dual_fmac_f32 v226, v169, v8
	v_fmac_f32_e32 v225, v167, v6
	v_fma_f32 v2, v166, v6, -v2
	s_delay_alu instid0(VALU_DEP_4) | instskip(SKIP_3) | instid1(VALU_DEP_4)
	v_add_f32_e32 v3, v3, v4
	v_mul_f32_e32 v7, v169, v9
	v_dual_add_f32 v4, v5, v224 :: v_dual_fmac_f32 v227, v171, v10
	v_fmac_f32_e32 v228, v173, v12
	v_add_f32_e32 v2, v3, v2
	s_delay_alu instid0(VALU_DEP_4)
	v_fma_f32 v6, v168, v8, -v7
	v_mul_f32_e32 v5, v171, v11
	v_add_f32_e32 v3, v4, v225
	v_dual_mul_f32 v4, v173, v13 :: v_dual_fmac_f32 v229, v175, v14
	v_fmac_f32_e32 v230, v177, v16
	v_add_f32_e32 v2, v2, v6
	v_fma_f32 v5, v170, v10, -v5
	v_mul_f32_e32 v6, v175, v15
	v_add_f32_e32 v3, v3, v226
	v_fma_f32 v4, v172, v12, -v4
	v_dual_mul_f32 v232, v180, v21 :: v_dual_mul_f32 v233, v182, v127
	s_delay_alu instid0(VALU_DEP_3) | instskip(SKIP_3) | instid1(VALU_DEP_4)
	v_dual_add_f32 v2, v2, v5 :: v_dual_add_f32 v3, v3, v227
	v_mul_f32_e32 v5, v177, v17
	v_fma_f32 v6, v174, v14, -v6
	v_dual_mul_f32 v234, v184, v129 :: v_dual_mul_f32 v235, v186, v131
	v_add_f32_e32 v2, v2, v4
	v_add_f32_e32 v3, v3, v228
	v_mul_f32_e32 v4, v179, v19
	v_fma_f32 v5, v176, v16, -v5
	v_fmac_f32_e32 v231, v179, v18
	s_delay_alu instid0(VALU_DEP_4) | instskip(SKIP_3) | instid1(VALU_DEP_4)
	v_dual_add_f32 v2, v2, v6 :: v_dual_add_f32 v3, v3, v229
	v_fmac_f32_e32 v232, v181, v20
	v_mul_f32_e32 v6, v181, v21
	v_fma_f32 v4, v178, v18, -v4
	v_dual_add_f32 v2, v2, v5 :: v_dual_add_f32 v3, v3, v230
	v_mul_f32_e32 v5, v183, v127
	s_delay_alu instid0(VALU_DEP_4) | instskip(SKIP_1) | instid1(VALU_DEP_4)
	v_fma_f32 v6, v180, v20, -v6
	v_dual_fmac_f32 v233, v183, v126 :: v_dual_fmac_f32 v234, v185, v128
	v_dual_add_f32 v2, v2, v4 :: v_dual_add_f32 v3, v3, v231
	v_mul_f32_e32 v4, v185, v129
	v_fma_f32 v5, v182, v126, -v5
	v_fmac_f32_e32 v235, v187, v130
	s_delay_alu instid0(VALU_DEP_4) | instskip(SKIP_3) | instid1(VALU_DEP_4)
	v_dual_add_f32 v2, v2, v6 :: v_dual_add_f32 v3, v3, v232
	v_mul_f32_e32 v6, v187, v131
	v_fma_f32 v4, v184, v128, -v4
	v_dual_mul_f32 v236, v188, v133 :: v_dual_mul_f32 v237, v190, v135
	v_add_f32_e32 v2, v2, v5
	v_add_f32_e32 v3, v3, v233
	v_mul_f32_e32 v5, v189, v133
	v_fma_f32 v6, v186, v130, -v6
	v_fmac_f32_e32 v236, v189, v132
	s_delay_alu instid0(VALU_DEP_4) | instskip(SKIP_3) | instid1(VALU_DEP_4)
	v_dual_add_f32 v2, v2, v4 :: v_dual_add_f32 v3, v3, v234
	v_mul_f32_e32 v4, v191, v135
	v_fma_f32 v5, v188, v132, -v5
	v_dual_mul_f32 v238, v192, v137 :: v_dual_mul_f32 v239, v194, v139
	v_dual_add_f32 v2, v2, v6 :: v_dual_add_f32 v3, v3, v235
	v_dual_mul_f32 v6, v193, v137 :: v_dual_fmac_f32 v237, v191, v134
	v_fma_f32 v4, v190, v134, -v4
	s_delay_alu instid0(VALU_DEP_3) | instskip(SKIP_3) | instid1(VALU_DEP_4)
	v_dual_add_f32 v2, v2, v5 :: v_dual_add_f32 v3, v3, v236
	v_dual_mul_f32 v240, v196, v141 :: v_dual_mul_f32 v241, v198, v143
	v_dual_mul_f32 v5, v195, v139 :: v_dual_fmac_f32 v238, v193, v136
	v_fma_f32 v6, v192, v136, -v6
	v_dual_add_f32 v2, v2, v4 :: v_dual_add_f32 v3, v3, v237
	v_dual_mul_f32 v4, v197, v141 :: v_dual_fmac_f32 v239, v195, v138
	s_delay_alu instid0(VALU_DEP_4) | instskip(NEXT) | instid1(VALU_DEP_3)
	v_fma_f32 v5, v194, v138, -v5
	v_dual_fmac_f32 v240, v197, v140 :: v_dual_add_f32 v3, v3, v238
	s_delay_alu instid0(VALU_DEP_4) | instskip(SKIP_3) | instid1(VALU_DEP_4)
	v_add_f32_e32 v2, v2, v6
	v_mul_f32_e32 v6, v199, v143
	v_fma_f32 v4, v196, v140, -v4
	v_dual_mul_f32 v242, v200, v145 :: v_dual_mul_f32 v243, v202, v147
	v_dual_add_f32 v3, v3, v239 :: v_dual_add_f32 v2, v2, v5
	v_fmac_f32_e32 v241, v199, v142
	v_mul_f32_e32 v5, v201, v145
	v_fma_f32 v6, v198, v142, -v6
	s_delay_alu instid0(VALU_DEP_4) | instskip(SKIP_4) | instid1(VALU_DEP_4)
	v_add_f32_e32 v3, v3, v240
	v_add_f32_e32 v2, v2, v4
	v_mul_f32_e32 v4, v203, v147
	v_dual_fmac_f32 v242, v201, v144 :: v_dual_fmac_f32 v243, v203, v146
	v_fma_f32 v5, v200, v144, -v5
	v_dual_add_f32 v3, v3, v241 :: v_dual_add_f32 v2, v2, v6
	v_dual_mul_f32 v244, v204, v149 :: v_dual_mul_f32 v245, v206, v151
	s_delay_alu instid0(VALU_DEP_2) | instskip(SKIP_1) | instid1(VALU_DEP_4)
	v_dual_mul_f32 v6, v205, v149 :: v_dual_add_f32 v3, v3, v242
	v_fma_f32 v4, v202, v146, -v4
	v_dual_add_f32 v2, v2, v5 :: v_dual_mul_f32 v5, v207, v151
	s_delay_alu instid0(VALU_DEP_3) | instskip(NEXT) | instid1(VALU_DEP_4)
	v_dual_fmac_f32 v244, v205, v148 :: v_dual_add_f32 v3, v3, v243
	v_fma_f32 v6, v204, v148, -v6
	s_delay_alu instid0(VALU_DEP_3) | instskip(SKIP_1) | instid1(VALU_DEP_4)
	v_dual_add_f32 v2, v2, v4 :: v_dual_fmac_f32 v245, v207, v150
	v_dual_mul_f32 v246, v208, v153 :: v_dual_mul_f32 v247, v210, v155
	v_dual_mul_f32 v4, v209, v153 :: v_dual_add_f32 v3, v3, v244
	v_fma_f32 v5, v206, v150, -v5
	s_delay_alu instid0(VALU_DEP_4)
	v_add_f32_e32 v2, v2, v6
	v_mul_f32_e32 v6, v211, v155
	v_dual_fmac_f32 v246, v209, v152 :: v_dual_fmac_f32 v247, v211, v154
	v_fma_f32 v4, v208, v152, -v4
	v_add_f32_e32 v3, v3, v245
	v_add_f32_e32 v2, v2, v5
	v_dual_mul_f32 v249, v214, v159 :: v_dual_mul_f32 v250, v216, v161
	v_mul_f32_e32 v5, v213, v157
	v_fma_f32 v6, v210, v154, -v6
	s_delay_alu instid0(VALU_DEP_4) | instskip(SKIP_3) | instid1(VALU_DEP_4)
	v_dual_add_f32 v3, v3, v246 :: v_dual_add_f32 v2, v2, v4
	v_mul_f32_e32 v4, v215, v159
	v_dual_fmac_f32 v248, v213, v156 :: v_dual_fmac_f32 v249, v215, v158
	v_fma_f32 v5, v212, v156, -v5
	v_dual_add_f32 v3, v3, v247 :: v_dual_add_f32 v2, v2, v6
	v_mul_f32_e32 v6, v217, v161
	v_fma_f32 v4, v214, v158, -v4
	v_fmac_f32_e32 v251, v223, v218
	s_delay_alu instid0(VALU_DEP_4) | instskip(SKIP_2) | instid1(VALU_DEP_3)
	v_dual_add_f32 v3, v3, v248 :: v_dual_add_f32 v2, v2, v5
	v_dual_mul_f32 v5, v223, v219 :: v_dual_fmac_f32 v250, v217, v160
	v_fma_f32 v6, v216, v160, -v6
	v_dual_add_f32 v3, v3, v249 :: v_dual_add_f32 v2, v2, v4
	s_delay_alu instid0(VALU_DEP_3) | instskip(NEXT) | instid1(VALU_DEP_2)
	v_fma_f32 v4, v222, v218, -v5
	v_add_f32_e32 v3, v3, v250
	s_delay_alu instid0(VALU_DEP_1) | instskip(SKIP_1) | instid1(VALU_DEP_1)
	v_dual_add_f32 v2, v2, v6 :: v_dual_add_f32 v3, v3, v251
	s_wait_loadcnt 0x0
	v_dual_add_f32 v2, v2, v4 :: v_dual_sub_f32 v3, v221, v3
	s_delay_alu instid0(VALU_DEP_1)
	v_sub_f32_e32 v2, v220, v2
	scratch_store_b64 off, v[2:3], off offset:168
	v_cmpx_lt_u32_e32 20, v0
	s_cbranch_execz .LBB114_279
; %bb.278:
	scratch_load_b64 v[3:4], off, off offset:160
	v_mov_b32_e32 v2, v1
	scratch_store_b64 off, v[1:2], off offset:160
	s_wait_loadcnt 0x0
	ds_store_b64 v23, v[3:4]
.LBB114_279:
	s_wait_alu 0xfffe
	s_or_b32 exec_lo, exec_lo, s0
	s_wait_storecnt_dscnt 0x0
	s_barrier_signal -1
	s_barrier_wait -1
	global_inv scope:SCOPE_SE
	s_clause 0x4
	scratch_load_b128 v[2:5], off, off offset:168
	scratch_load_b128 v[6:9], off, off offset:184
	;; [unrolled: 1-line block ×5, first 2 shown]
	ds_load_2addr_b64 v[126:129], v1 offset0:73 offset1:74
	ds_load_2addr_b64 v[130:133], v1 offset0:75 offset1:76
	;; [unrolled: 1-line block ×3, first 2 shown]
	scratch_load_b64 v[138:139], off, off offset:160
	s_mov_b32 s0, exec_lo
	s_wait_loadcnt_dscnt 0x502
	v_dual_mul_f32 v22, v127, v3 :: v_dual_mul_f32 v141, v128, v5
	v_dual_mul_f32 v140, v126, v3 :: v_dual_mul_f32 v3, v129, v5
	s_wait_loadcnt_dscnt 0x300
	v_mul_f32_e32 v142, v136, v13
	s_delay_alu instid0(VALU_DEP_3) | instskip(NEXT) | instid1(VALU_DEP_3)
	v_fma_f32 v22, v126, v2, -v22
	v_dual_fmac_f32 v141, v129, v4 :: v_dual_fmac_f32 v140, v127, v2
	v_fma_f32 v126, v128, v4, -v3
	ds_load_2addr_b64 v[2:5], v1 offset0:79 offset1:80
	v_dual_mul_f32 v127, v130, v7 :: v_dual_mul_f32 v128, v132, v9
	v_mul_f32_e32 v7, v131, v7
	v_mul_f32_e32 v9, v133, v9
	;; [unrolled: 1-line block ×3, first 2 shown]
	v_dual_mul_f32 v11, v135, v11 :: v_dual_fmac_f32 v142, v137, v12
	v_mul_f32_e32 v13, v137, v13
	v_fmac_f32_e32 v127, v131, v6
	v_fma_f32 v130, v130, v6, -v7
	v_fmac_f32_e32 v128, v133, v8
	v_fma_f32 v131, v132, v8, -v9
	scratch_load_b128 v[6:9], off, off offset:248
	v_fmac_f32_e32 v129, v135, v10
	v_fma_f32 v132, v134, v10, -v11
	v_fma_f32 v133, v136, v12, -v13
	ds_load_2addr_b64 v[10:13], v1 offset0:81 offset1:82
	s_wait_loadcnt_dscnt 0x301
	v_mul_f32_e32 v134, v2, v15
	v_mul_f32_e32 v15, v3, v15
	;; [unrolled: 1-line block ×3, first 2 shown]
	s_delay_alu instid0(VALU_DEP_3) | instskip(NEXT) | instid1(VALU_DEP_3)
	v_dual_mul_f32 v17, v5, v17 :: v_dual_fmac_f32 v134, v3, v14
	v_fma_f32 v14, v2, v14, -v15
	s_delay_alu instid0(VALU_DEP_3) | instskip(NEXT) | instid1(VALU_DEP_3)
	v_fmac_f32_e32 v135, v5, v16
	v_fma_f32 v15, v4, v16, -v17
	ds_load_2addr_b64 v[2:5], v1 offset0:83 offset1:84
	s_wait_loadcnt_dscnt 0x201
	v_mul_f32_e32 v16, v10, v19
	v_mul_f32_e32 v17, v11, v19
	v_mul_f32_e32 v19, v12, v21
	s_delay_alu instid0(VALU_DEP_3) | instskip(NEXT) | instid1(VALU_DEP_3)
	v_dual_mul_f32 v21, v13, v21 :: v_dual_fmac_f32 v16, v11, v18
	v_fma_f32 v17, v10, v18, -v17
	s_delay_alu instid0(VALU_DEP_3) | instskip(NEXT) | instid1(VALU_DEP_3)
	v_fmac_f32_e32 v19, v13, v20
	v_fma_f32 v18, v12, v20, -v21
	scratch_load_b128 v[10:13], off, off offset:264
	s_wait_loadcnt_dscnt 0x100
	v_mul_f32_e32 v20, v2, v7
	v_mul_f32_e32 v7, v3, v7
	;; [unrolled: 1-line block ×3, first 2 shown]
	s_delay_alu instid0(VALU_DEP_3) | instskip(NEXT) | instid1(VALU_DEP_3)
	v_dual_mul_f32 v9, v5, v9 :: v_dual_fmac_f32 v20, v3, v6
	v_fma_f32 v136, v2, v6, -v7
	s_delay_alu instid0(VALU_DEP_3) | instskip(NEXT) | instid1(VALU_DEP_3)
	v_fmac_f32_e32 v21, v5, v8
	v_fma_f32 v137, v4, v8, -v9
	ds_load_2addr_b64 v[2:5], v1 offset0:85 offset1:86
	ds_load_2addr_b64 v[6:9], v1 offset0:87 offset1:88
	s_wait_loadcnt_dscnt 0x1
	v_mul_f32_e32 v143, v2, v11
	v_dual_mul_f32 v11, v3, v11 :: v_dual_mul_f32 v144, v4, v13
	s_delay_alu instid0(VALU_DEP_2) | instskip(NEXT) | instid1(VALU_DEP_2)
	v_fmac_f32_e32 v143, v3, v10
	v_fma_f32 v145, v2, v10, -v11
	v_mul_f32_e32 v2, v5, v13
	s_delay_alu instid0(VALU_DEP_4) | instskip(NEXT) | instid1(VALU_DEP_2)
	v_fmac_f32_e32 v144, v5, v12
	v_fma_f32 v146, v4, v12, -v2
	s_clause 0x1
	scratch_load_b128 v[2:5], off, off offset:280
	scratch_load_b128 v[10:13], off, off offset:296
	s_wait_loadcnt_dscnt 0x100
	v_mul_f32_e32 v147, v6, v3
	v_mul_f32_e32 v3, v7, v3
	;; [unrolled: 1-line block ×3, first 2 shown]
	s_delay_alu instid0(VALU_DEP_3) | instskip(NEXT) | instid1(VALU_DEP_3)
	v_fmac_f32_e32 v147, v7, v2
	v_fma_f32 v148, v6, v2, -v3
	v_mul_f32_e32 v2, v9, v5
	s_delay_alu instid0(VALU_DEP_4) | instskip(NEXT) | instid1(VALU_DEP_2)
	v_fmac_f32_e32 v149, v9, v4
	v_fma_f32 v150, v8, v4, -v2
	ds_load_2addr_b64 v[2:5], v1 offset0:89 offset1:90
	ds_load_2addr_b64 v[6:9], v1 offset0:91 offset1:92
	s_wait_loadcnt_dscnt 0x1
	v_mul_f32_e32 v151, v2, v11
	v_mul_f32_e32 v153, v4, v13
	s_delay_alu instid0(VALU_DEP_2) | instskip(SKIP_1) | instid1(VALU_DEP_3)
	v_fmac_f32_e32 v151, v3, v10
	v_mul_f32_e32 v3, v3, v11
	v_fmac_f32_e32 v153, v5, v12
	s_delay_alu instid0(VALU_DEP_2) | instskip(SKIP_1) | instid1(VALU_DEP_1)
	v_fma_f32 v152, v2, v10, -v3
	v_mul_f32_e32 v2, v5, v13
	v_fma_f32 v154, v4, v12, -v2
	s_clause 0x1
	scratch_load_b128 v[2:5], off, off offset:312
	scratch_load_b128 v[10:13], off, off offset:328
	s_wait_loadcnt_dscnt 0x100
	v_mul_f32_e32 v155, v6, v3
	v_mul_f32_e32 v3, v7, v3
	s_delay_alu instid0(VALU_DEP_2) | instskip(NEXT) | instid1(VALU_DEP_2)
	v_fmac_f32_e32 v155, v7, v2
	v_fma_f32 v156, v6, v2, -v3
	v_dual_mul_f32 v2, v9, v5 :: v_dual_add_f32 v3, 0, v140
	s_delay_alu instid0(VALU_DEP_1) | instskip(NEXT) | instid1(VALU_DEP_2)
	v_fma_f32 v158, v8, v4, -v2
	v_dual_add_f32 v2, 0, v22 :: v_dual_add_f32 v3, v3, v141
	s_delay_alu instid0(VALU_DEP_1) | instskip(NEXT) | instid1(VALU_DEP_1)
	v_dual_add_f32 v2, v2, v126 :: v_dual_add_f32 v3, v3, v127
	v_dual_add_f32 v2, v2, v130 :: v_dual_add_f32 v3, v3, v128
	s_delay_alu instid0(VALU_DEP_1) | instskip(NEXT) | instid1(VALU_DEP_1)
	v_dual_add_f32 v2, v2, v131 :: v_dual_add_f32 v3, v3, v129
	v_add_f32_e32 v2, v2, v132
	s_delay_alu instid0(VALU_DEP_2) | instskip(NEXT) | instid1(VALU_DEP_2)
	v_add_f32_e32 v6, v3, v142
	v_add_f32_e32 v2, v2, v133
	s_delay_alu instid0(VALU_DEP_1) | instskip(NEXT) | instid1(VALU_DEP_1)
	v_add_f32_e32 v7, v2, v14
	v_dual_add_f32 v14, v6, v134 :: v_dual_add_f32 v15, v7, v15
	s_delay_alu instid0(VALU_DEP_1) | instskip(NEXT) | instid1(VALU_DEP_1)
	v_dual_add_f32 v14, v14, v135 :: v_dual_add_f32 v15, v15, v17
	v_add_f32_e32 v14, v14, v16
	s_delay_alu instid0(VALU_DEP_2) | instskip(NEXT) | instid1(VALU_DEP_1)
	v_add_f32_e32 v18, v15, v18
	v_add_f32_e32 v18, v18, v136
	s_delay_alu instid0(VALU_DEP_1) | instskip(NEXT) | instid1(VALU_DEP_1)
	v_add_f32_e32 v18, v18, v137
	v_add_f32_e32 v18, v18, v145
	;; [unrolled: 1-line block ×3, first 2 shown]
	ds_load_2addr_b64 v[14:17], v1 offset0:95 offset1:96
	v_add_f32_e32 v19, v19, v20
	s_delay_alu instid0(VALU_DEP_1) | instskip(NEXT) | instid1(VALU_DEP_1)
	v_add_f32_e32 v19, v19, v21
	v_dual_mul_f32 v157, v8, v5 :: v_dual_add_f32 v126, v19, v143
	s_delay_alu instid0(VALU_DEP_1) | instskip(NEXT) | instid1(VALU_DEP_2)
	v_add_f32_e32 v126, v126, v144
	v_fmac_f32_e32 v157, v9, v4
	scratch_load_b128 v[6:9], off, off offset:344
	ds_load_2addr_b64 v[2:5], v1 offset0:93 offset1:94
	v_add_f32_e32 v126, v126, v147
	s_wait_loadcnt_dscnt 0x100
	v_mul_f32_e32 v22, v2, v11
	v_dual_mul_f32 v11, v3, v11 :: v_dual_mul_f32 v130, v4, v13
	s_delay_alu instid0(VALU_DEP_2) | instskip(NEXT) | instid1(VALU_DEP_2)
	v_dual_mul_f32 v13, v5, v13 :: v_dual_fmac_f32 v22, v3, v10
	v_fma_f32 v131, v2, v10, -v11
	s_delay_alu instid0(VALU_DEP_3) | instskip(NEXT) | instid1(VALU_DEP_3)
	v_fmac_f32_e32 v130, v5, v12
	v_fma_f32 v132, v4, v12, -v13
	scratch_load_b128 v[10:13], off, off offset:376
	v_add_f32_e32 v127, v18, v146
	s_clause 0x1
	scratch_load_b128 v[18:21], off, off offset:392
	scratch_load_b128 v[2:5], off, off offset:360
	v_add_f32_e32 v127, v127, v148
	s_delay_alu instid0(VALU_DEP_1) | instskip(SKIP_3) | instid1(VALU_DEP_1)
	v_add_f32_e32 v127, v127, v150
	s_wait_loadcnt 0x3
	v_mul_f32_e32 v133, v14, v7
	v_dual_mul_f32 v7, v15, v7 :: v_dual_mul_f32 v134, v16, v9
	v_fma_f32 v135, v14, v6, -v7
	v_add_f32_e32 v14, v126, v149
	v_add_f32_e32 v126, v127, v152
	s_delay_alu instid0(VALU_DEP_2) | instskip(NEXT) | instid1(VALU_DEP_1)
	v_dual_fmac_f32 v134, v17, v8 :: v_dual_add_f32 v127, v14, v151
	v_dual_add_f32 v137, v126, v154 :: v_dual_add_f32 v140, v127, v153
	ds_load_2addr_b64 v[126:129], v1 offset0:101 offset1:102
	v_mul_f32_e32 v9, v17, v9
	v_fmac_f32_e32 v133, v15, v6
	s_delay_alu instid0(VALU_DEP_2) | instskip(SKIP_3) | instid1(VALU_DEP_1)
	v_fma_f32 v136, v16, v8, -v9
	ds_load_2addr_b64 v[6:9], v1 offset0:97 offset1:98
	ds_load_2addr_b64 v[14:17], v1 offset0:99 offset1:100
	v_add_f32_e32 v1, v137, v156
	v_add_f32_e32 v1, v1, v158
	s_delay_alu instid0(VALU_DEP_1) | instskip(SKIP_1) | instid1(VALU_DEP_1)
	v_add_f32_e32 v1, v1, v131
	s_wait_loadcnt_dscnt 0x102
	v_dual_add_f32 v1, v1, v132 :: v_dual_mul_f32 v132, v128, v21
	s_wait_loadcnt_dscnt 0x1
	v_mul_f32_e32 v131, v8, v5
	v_mul_f32_e32 v5, v9, v5
	s_delay_alu instid0(VALU_DEP_3) | instskip(SKIP_3) | instid1(VALU_DEP_4)
	v_add_f32_e32 v1, v1, v135
	v_dual_fmac_f32 v132, v129, v20 :: v_dual_add_f32 v137, v140, v155
	v_mul_f32_e32 v140, v6, v3
	v_mul_f32_e32 v3, v7, v3
	v_add_f32_e32 v1, v1, v136
	v_fmac_f32_e32 v131, v9, v4
	s_delay_alu instid0(VALU_DEP_4) | instskip(NEXT) | instid1(VALU_DEP_4)
	v_dual_add_f32 v137, v137, v157 :: v_dual_fmac_f32 v140, v7, v2
	v_fma_f32 v3, v6, v2, -v3
	s_wait_dscnt 0x0
	v_mul_f32_e32 v6, v15, v11
	v_fma_f32 v4, v8, v4, -v5
	v_dual_add_f32 v22, v137, v22 :: v_dual_mul_f32 v137, v14, v11
	v_add_f32_e32 v1, v1, v3
	v_mul_f32_e32 v141, v16, v13
	s_delay_alu instid0(VALU_DEP_3) | instskip(NEXT) | instid1(VALU_DEP_4)
	v_dual_mul_f32 v3, v17, v13 :: v_dual_add_f32 v22, v22, v130
	v_fmac_f32_e32 v137, v15, v10
	v_fma_f32 v5, v14, v10, -v6
	v_dual_add_f32 v1, v1, v4 :: v_dual_mul_f32 v130, v126, v19
	s_delay_alu instid0(VALU_DEP_4) | instskip(SKIP_2) | instid1(VALU_DEP_3)
	v_add_f32_e32 v22, v22, v133
	v_dual_mul_f32 v4, v127, v19 :: v_dual_fmac_f32 v141, v17, v12
	v_fma_f32 v3, v16, v12, -v3
	v_dual_add_f32 v1, v1, v5 :: v_dual_add_f32 v2, v22, v134
	v_dual_mul_f32 v5, v129, v21 :: v_dual_fmac_f32 v130, v127, v18
	s_delay_alu instid0(VALU_DEP_4) | instskip(NEXT) | instid1(VALU_DEP_3)
	v_fma_f32 v4, v126, v18, -v4
	v_dual_add_f32 v1, v1, v3 :: v_dual_add_f32 v2, v2, v140
	s_delay_alu instid0(VALU_DEP_3) | instskip(NEXT) | instid1(VALU_DEP_2)
	v_fma_f32 v3, v128, v20, -v5
	v_dual_add_f32 v1, v1, v4 :: v_dual_add_f32 v2, v2, v131
	s_delay_alu instid0(VALU_DEP_1) | instskip(NEXT) | instid1(VALU_DEP_1)
	v_dual_add_f32 v1, v1, v3 :: v_dual_add_f32 v2, v2, v137
	v_sub_f32_e32 v1, v138, v1
	s_delay_alu instid0(VALU_DEP_2) | instskip(NEXT) | instid1(VALU_DEP_1)
	v_add_f32_e32 v2, v2, v141
	v_add_f32_e32 v2, v2, v130
	s_delay_alu instid0(VALU_DEP_1) | instskip(NEXT) | instid1(VALU_DEP_1)
	v_add_f32_e32 v2, v2, v132
	v_sub_f32_e32 v2, v139, v2
	scratch_store_b64 off, v[1:2], off offset:160
	v_cmpx_lt_u32_e32 19, v0
	s_cbranch_execz .LBB114_281
; %bb.280:
	scratch_load_b64 v[1:2], off, off offset:152
	v_mov_b32_e32 v3, 0
	s_delay_alu instid0(VALU_DEP_1)
	v_mov_b32_e32 v4, v3
	scratch_store_b64 off, v[3:4], off offset:152
	s_wait_loadcnt 0x0
	ds_store_b64 v23, v[1:2]
.LBB114_281:
	s_wait_alu 0xfffe
	s_or_b32 exec_lo, exec_lo, s0
	s_wait_storecnt_dscnt 0x0
	s_barrier_signal -1
	s_barrier_wait -1
	global_inv scope:SCOPE_SE
	s_clause 0x4
	scratch_load_b128 v[5:8], off, off offset:160
	scratch_load_b128 v[1:4], off, off offset:176
	scratch_load_b128 v[9:12], off, off offset:192
	scratch_load_b128 v[13:16], off, off offset:208
	scratch_load_b128 v[17:20], off, off offset:224
	v_mov_b32_e32 v21, 0
	ds_load_b128 v[126:129], v21 offset:576
	ds_load_b128 v[130:133], v21 offset:592
	ds_load_b128 v[134:137], v21 offset:608
	scratch_load_b64 v[138:139], off, off offset:152
	s_mov_b32 s0, exec_lo
	s_wait_loadcnt_dscnt 0x502
	v_mul_f32_e32 v22, v127, v6
	v_dual_mul_f32 v140, v126, v6 :: v_dual_mul_f32 v141, v128, v8
	v_mul_f32_e32 v6, v129, v8
	s_delay_alu instid0(VALU_DEP_3) | instskip(NEXT) | instid1(VALU_DEP_3)
	v_fma_f32 v22, v126, v5, -v22
	v_dual_fmac_f32 v140, v127, v5 :: v_dual_fmac_f32 v141, v129, v7
	s_wait_loadcnt_dscnt 0x401
	v_mul_f32_e32 v127, v130, v2
	v_fma_f32 v126, v128, v7, -v6
	ds_load_b128 v[5:8], v21 offset:624
	s_wait_loadcnt_dscnt 0x301
	v_dual_mul_f32 v128, v132, v4 :: v_dual_mul_f32 v129, v134, v10
	v_dual_mul_f32 v4, v133, v4 :: v_dual_fmac_f32 v127, v131, v1
	v_mul_f32_e32 v10, v135, v10
	s_delay_alu instid0(VALU_DEP_3)
	v_dual_mul_f32 v142, v136, v12 :: v_dual_fmac_f32 v129, v135, v9
	v_mul_f32_e32 v12, v137, v12
	v_mul_f32_e32 v2, v131, v2
	v_fmac_f32_e32 v128, v133, v3
	v_fma_f32 v131, v132, v3, -v4
	v_fma_f32 v132, v134, v9, -v10
	v_fmac_f32_e32 v142, v137, v11
	v_fma_f32 v133, v136, v11, -v12
	ds_load_b128 v[9:12], v21 offset:640
	s_wait_loadcnt_dscnt 0x201
	v_dual_mul_f32 v135, v7, v16 :: v_dual_mul_f32 v134, v5, v14
	v_mul_f32_e32 v14, v6, v14
	v_mul_f32_e32 v16, v8, v16
	s_delay_alu instid0(VALU_DEP_3)
	v_fmac_f32_e32 v135, v8, v15
	v_fma_f32 v130, v130, v1, -v2
	scratch_load_b128 v[1:4], off, off offset:240
	v_fmac_f32_e32 v134, v6, v13
	v_fma_f32 v13, v5, v13, -v14
	v_fma_f32 v14, v7, v15, -v16
	ds_load_b128 v[5:8], v21 offset:656
	s_wait_loadcnt_dscnt 0x201
	v_mul_f32_e32 v15, v9, v18
	v_mul_f32_e32 v16, v10, v18
	;; [unrolled: 1-line block ×3, first 2 shown]
	s_delay_alu instid0(VALU_DEP_3) | instskip(NEXT) | instid1(VALU_DEP_3)
	v_dual_mul_f32 v20, v12, v20 :: v_dual_fmac_f32 v15, v10, v17
	v_fma_f32 v16, v9, v17, -v16
	s_delay_alu instid0(VALU_DEP_3) | instskip(NEXT) | instid1(VALU_DEP_3)
	v_fmac_f32_e32 v18, v12, v19
	v_fma_f32 v17, v11, v19, -v20
	scratch_load_b128 v[9:12], off, off offset:256
	s_wait_loadcnt_dscnt 0x100
	v_mul_f32_e32 v19, v5, v2
	v_mul_f32_e32 v2, v6, v2
	;; [unrolled: 1-line block ×3, first 2 shown]
	s_delay_alu instid0(VALU_DEP_3) | instskip(NEXT) | instid1(VALU_DEP_3)
	v_dual_mul_f32 v4, v8, v4 :: v_dual_fmac_f32 v19, v6, v1
	v_fma_f32 v136, v5, v1, -v2
	s_delay_alu instid0(VALU_DEP_3) | instskip(NEXT) | instid1(VALU_DEP_3)
	v_fmac_f32_e32 v20, v8, v3
	v_fma_f32 v137, v7, v3, -v4
	ds_load_b128 v[1:4], v21 offset:672
	ds_load_b128 v[5:8], v21 offset:688
	s_wait_loadcnt_dscnt 0x1
	v_mul_f32_e32 v143, v1, v10
	v_mul_f32_e32 v10, v2, v10
	s_delay_alu instid0(VALU_DEP_2) | instskip(NEXT) | instid1(VALU_DEP_2)
	v_dual_mul_f32 v144, v3, v12 :: v_dual_fmac_f32 v143, v2, v9
	v_fma_f32 v145, v1, v9, -v10
	v_mul_f32_e32 v1, v4, v12
	s_delay_alu instid0(VALU_DEP_3) | instskip(NEXT) | instid1(VALU_DEP_2)
	v_fmac_f32_e32 v144, v4, v11
	v_fma_f32 v146, v3, v11, -v1
	s_clause 0x1
	scratch_load_b128 v[1:4], off, off offset:272
	scratch_load_b128 v[9:12], off, off offset:288
	s_wait_loadcnt_dscnt 0x100
	v_mul_f32_e32 v147, v5, v2
	v_dual_mul_f32 v2, v6, v2 :: v_dual_mul_f32 v149, v7, v4
	s_delay_alu instid0(VALU_DEP_2) | instskip(NEXT) | instid1(VALU_DEP_2)
	v_fmac_f32_e32 v147, v6, v1
	v_fma_f32 v148, v5, v1, -v2
	v_mul_f32_e32 v1, v8, v4
	s_delay_alu instid0(VALU_DEP_4) | instskip(NEXT) | instid1(VALU_DEP_2)
	v_fmac_f32_e32 v149, v8, v3
	v_fma_f32 v150, v7, v3, -v1
	ds_load_b128 v[1:4], v21 offset:704
	ds_load_b128 v[5:8], v21 offset:720
	s_wait_loadcnt_dscnt 0x1
	v_mul_f32_e32 v151, v1, v10
	v_mul_f32_e32 v153, v3, v12
	s_delay_alu instid0(VALU_DEP_2) | instskip(NEXT) | instid1(VALU_DEP_2)
	v_fmac_f32_e32 v151, v2, v9
	v_dual_mul_f32 v2, v2, v10 :: v_dual_fmac_f32 v153, v4, v11
	s_delay_alu instid0(VALU_DEP_1) | instskip(SKIP_1) | instid1(VALU_DEP_1)
	v_fma_f32 v152, v1, v9, -v2
	v_mul_f32_e32 v1, v4, v12
	v_fma_f32 v154, v3, v11, -v1
	s_clause 0x1
	scratch_load_b128 v[1:4], off, off offset:304
	scratch_load_b128 v[9:12], off, off offset:320
	s_wait_loadcnt_dscnt 0x100
	v_mul_f32_e32 v155, v5, v2
	v_dual_mul_f32 v157, v7, v4 :: v_dual_mul_f32 v2, v6, v2
	s_delay_alu instid0(VALU_DEP_2) | instskip(NEXT) | instid1(VALU_DEP_2)
	v_fmac_f32_e32 v155, v6, v1
	v_fmac_f32_e32 v157, v8, v3
	s_delay_alu instid0(VALU_DEP_3) | instskip(SKIP_1) | instid1(VALU_DEP_1)
	v_fma_f32 v156, v5, v1, -v2
	v_add_f32_e32 v2, 0, v140
	v_dual_mul_f32 v1, v8, v4 :: v_dual_add_f32 v2, v2, v141
	s_delay_alu instid0(VALU_DEP_1) | instskip(NEXT) | instid1(VALU_DEP_2)
	v_fma_f32 v158, v7, v3, -v1
	v_dual_add_f32 v1, 0, v22 :: v_dual_add_f32 v2, v2, v127
	s_delay_alu instid0(VALU_DEP_1) | instskip(NEXT) | instid1(VALU_DEP_1)
	v_dual_add_f32 v1, v1, v126 :: v_dual_add_f32 v2, v2, v128
	v_dual_add_f32 v1, v1, v130 :: v_dual_add_f32 v2, v2, v129
	s_delay_alu instid0(VALU_DEP_1) | instskip(SKIP_2) | instid1(VALU_DEP_1)
	v_add_f32_e32 v1, v1, v131
	scratch_load_b64 v[130:131], off, off offset:400
	v_add_f32_e32 v1, v1, v132
	v_add_f32_e32 v1, v1, v133
	s_delay_alu instid0(VALU_DEP_1)
	v_dual_add_f32 v5, v2, v142 :: v_dual_add_f32 v6, v1, v13
	scratch_load_b128 v[1:4], off, off offset:336
	v_add_f32_e32 v13, v5, v134
	v_add_f32_e32 v14, v6, v14
	ds_load_b128 v[5:8], v21 offset:736
	v_dual_add_f32 v13, v13, v135 :: v_dual_add_f32 v14, v14, v16
	s_delay_alu instid0(VALU_DEP_1) | instskip(NEXT) | instid1(VALU_DEP_1)
	v_add_f32_e32 v13, v13, v15
	v_dual_add_f32 v17, v14, v17 :: v_dual_add_f32 v18, v13, v18
	ds_load_b128 v[13:16], v21 offset:752
	v_add_f32_e32 v18, v18, v19
	s_wait_loadcnt_dscnt 0x201
	v_mul_f32_e32 v22, v5, v10
	v_dual_add_f32 v17, v17, v136 :: v_dual_mul_f32 v10, v6, v10
	v_mul_f32_e32 v134, v7, v12
	v_mul_f32_e32 v12, v8, v12
	s_delay_alu instid0(VALU_DEP_4) | instskip(NEXT) | instid1(VALU_DEP_4)
	v_fmac_f32_e32 v22, v6, v9
	v_add_f32_e32 v17, v17, v137
	v_fma_f32 v135, v5, v9, -v10
	v_fmac_f32_e32 v134, v8, v11
	v_fma_f32 v136, v7, v11, -v12
	scratch_load_b128 v[5:8], off, off offset:352
	v_dual_add_f32 v17, v17, v145 :: v_dual_add_f32 v18, v18, v20
	scratch_load_b128 v[9:12], off, off offset:368
	v_add_f32_e32 v127, v17, v146
	s_delay_alu instid0(VALU_DEP_1) | instskip(SKIP_2) | instid1(VALU_DEP_1)
	v_dual_add_f32 v127, v127, v148 :: v_dual_add_f32 v126, v18, v143
	scratch_load_b128 v[17:20], off, off offset:384
	v_dual_add_f32 v127, v127, v150 :: v_dual_add_f32 v126, v126, v144
	v_add_f32_e32 v127, v127, v152
	s_wait_loadcnt_dscnt 0x300
	s_delay_alu instid0(VALU_DEP_2) | instskip(SKIP_1) | instid1(VALU_DEP_2)
	v_dual_mul_f32 v137, v13, v2 :: v_dual_add_f32 v126, v126, v147
	v_mul_f32_e32 v2, v14, v2
	v_dual_mul_f32 v140, v15, v4 :: v_dual_fmac_f32 v137, v14, v1
	v_add_f32_e32 v14, v127, v154
	s_delay_alu instid0(VALU_DEP_2) | instskip(NEXT) | instid1(VALU_DEP_2)
	v_fmac_f32_e32 v140, v16, v3
	v_add_f32_e32 v132, v14, v156
	s_delay_alu instid0(VALU_DEP_1) | instskip(NEXT) | instid1(VALU_DEP_1)
	v_dual_add_f32 v126, v126, v149 :: v_dual_add_f32 v143, v132, v158
	v_dual_mul_f32 v4, v16, v4 :: v_dual_add_f32 v135, v143, v135
	v_fma_f32 v141, v13, v1, -v2
	s_delay_alu instid0(VALU_DEP_3) | instskip(NEXT) | instid1(VALU_DEP_3)
	v_add_f32_e32 v13, v126, v151
	v_fma_f32 v142, v15, v3, -v4
	ds_load_b128 v[1:4], v21 offset:768
	v_dual_add_f32 v135, v135, v136 :: v_dual_add_f32 v126, v13, v153
	ds_load_b128 v[13:16], v21 offset:784
	v_add_f32_e32 v135, v135, v141
	v_add_f32_e32 v133, v126, v155
	ds_load_b128 v[126:129], v21 offset:800
	v_dual_add_f32 v135, v135, v142 :: v_dual_add_f32 v144, v133, v157
	ds_load_b64 v[132:133], v21 offset:816
	s_wait_loadcnt_dscnt 0x203
	v_mul_f32_e32 v143, v1, v6
	v_add_f32_e32 v22, v144, v22
	v_mul_f32_e32 v6, v2, v6
	s_delay_alu instid0(VALU_DEP_3) | instskip(NEXT) | instid1(VALU_DEP_3)
	v_fmac_f32_e32 v143, v2, v5
	v_add_f32_e32 v22, v22, v134
	v_mul_f32_e32 v134, v3, v8
	v_mul_f32_e32 v8, v4, v8
	v_fma_f32 v1, v1, v5, -v6
	s_wait_loadcnt_dscnt 0x1
	v_mul_f32_e32 v142, v128, v20
	v_mul_f32_e32 v5, v16, v12
	;; [unrolled: 1-line block ×3, first 2 shown]
	v_fma_f32 v2, v3, v7, -v8
	v_mul_f32_e32 v3, v14, v10
	v_add_f32_e32 v1, v135, v1
	v_add_f32_e32 v22, v22, v137
	v_dual_fmac_f32 v134, v4, v7 :: v_dual_fmac_f32 v141, v127, v17
	s_delay_alu instid0(VALU_DEP_4) | instskip(NEXT) | instid1(VALU_DEP_3)
	v_fma_f32 v3, v13, v9, -v3
	v_dual_add_f32 v1, v1, v2 :: v_dual_add_f32 v22, v22, v140
	s_wait_dscnt 0x0
	v_mul_f32_e32 v140, v132, v131
	v_fma_f32 v5, v15, v11, -v5
	v_mul_f32_e32 v137, v15, v12
	v_add_f32_e32 v1, v1, v3
	v_dual_add_f32 v4, v22, v143 :: v_dual_mul_f32 v3, v129, v20
	s_delay_alu instid0(VALU_DEP_3) | instskip(NEXT) | instid1(VALU_DEP_2)
	v_dual_mul_f32 v136, v13, v10 :: v_dual_fmac_f32 v137, v16, v11
	v_dual_add_f32 v1, v1, v5 :: v_dual_add_f32 v2, v4, v134
	s_delay_alu instid0(VALU_DEP_3) | instskip(SKIP_1) | instid1(VALU_DEP_4)
	v_fma_f32 v3, v128, v19, -v3
	v_mul_f32_e32 v4, v127, v18
	v_dual_fmac_f32 v136, v14, v9 :: v_dual_mul_f32 v5, v133, v131
	v_fmac_f32_e32 v140, v133, v130
	s_delay_alu instid0(VALU_DEP_3) | instskip(NEXT) | instid1(VALU_DEP_1)
	v_fma_f32 v4, v126, v17, -v4
	v_add_f32_e32 v1, v1, v4
	s_delay_alu instid0(VALU_DEP_4) | instskip(SKIP_1) | instid1(VALU_DEP_2)
	v_add_f32_e32 v2, v2, v136
	v_fma_f32 v4, v132, v130, -v5
	v_dual_add_f32 v1, v1, v3 :: v_dual_add_f32 v2, v2, v137
	s_delay_alu instid0(VALU_DEP_1) | instskip(SKIP_1) | instid1(VALU_DEP_3)
	v_add_f32_e32 v1, v1, v4
	v_fmac_f32_e32 v142, v129, v19
	v_add_f32_e32 v2, v2, v141
	s_delay_alu instid0(VALU_DEP_3) | instskip(NEXT) | instid1(VALU_DEP_2)
	v_sub_f32_e32 v1, v138, v1
	v_add_f32_e32 v2, v2, v142
	s_delay_alu instid0(VALU_DEP_1) | instskip(NEXT) | instid1(VALU_DEP_1)
	v_add_f32_e32 v2, v2, v140
	v_sub_f32_e32 v2, v139, v2
	scratch_store_b64 off, v[1:2], off offset:152
	v_cmpx_lt_u32_e32 18, v0
	s_cbranch_execz .LBB114_283
; %bb.282:
	scratch_load_b64 v[1:2], off, off offset:144
	v_mov_b32_e32 v22, v21
	scratch_store_b64 off, v[21:22], off offset:144
	s_wait_loadcnt 0x0
	ds_store_b64 v23, v[1:2]
.LBB114_283:
	s_wait_alu 0xfffe
	s_or_b32 exec_lo, exec_lo, s0
	s_wait_storecnt_dscnt 0x0
	s_barrier_signal -1
	s_barrier_wait -1
	global_inv scope:SCOPE_SE
	s_clause 0x4
	scratch_load_b128 v[5:8], off, off offset:152
	scratch_load_b128 v[1:4], off, off offset:168
	;; [unrolled: 1-line block ×5, first 2 shown]
	ds_load_2addr_b64 v[126:129], v21 offset0:71 offset1:72
	ds_load_2addr_b64 v[130:133], v21 offset0:73 offset1:74
	;; [unrolled: 1-line block ×3, first 2 shown]
	scratch_load_b64 v[138:139], off, off offset:144
	s_mov_b32 s0, exec_lo
	s_wait_loadcnt_dscnt 0x502
	v_dual_mul_f32 v22, v127, v6 :: v_dual_mul_f32 v141, v128, v8
	v_mul_f32_e32 v140, v126, v6
	v_mul_f32_e32 v6, v129, v8
	s_wait_loadcnt_dscnt 0x300
	v_mul_f32_e32 v142, v136, v12
	v_fma_f32 v22, v126, v5, -v22
	v_dual_fmac_f32 v141, v129, v7 :: v_dual_fmac_f32 v140, v127, v5
	v_mul_f32_e32 v129, v134, v10
	v_mul_f32_e32 v127, v130, v2
	v_fma_f32 v126, v128, v7, -v6
	ds_load_2addr_b64 v[5:8], v21 offset0:77 offset1:78
	v_mul_f32_e32 v128, v132, v4
	v_dual_mul_f32 v4, v133, v4 :: v_dual_fmac_f32 v129, v135, v9
	v_mul_f32_e32 v10, v135, v10
	v_mul_f32_e32 v12, v137, v12
	;; [unrolled: 1-line block ×3, first 2 shown]
	v_dual_fmac_f32 v127, v131, v1 :: v_dual_fmac_f32 v128, v133, v3
	v_fma_f32 v131, v132, v3, -v4
	v_fma_f32 v132, v134, v9, -v10
	v_fmac_f32_e32 v142, v137, v11
	v_fma_f32 v133, v136, v11, -v12
	ds_load_2addr_b64 v[9:12], v21 offset0:79 offset1:80
	s_wait_loadcnt_dscnt 0x201
	v_dual_mul_f32 v135, v7, v16 :: v_dual_mul_f32 v134, v5, v14
	s_delay_alu instid0(VALU_DEP_1)
	v_dual_mul_f32 v14, v6, v14 :: v_dual_fmac_f32 v135, v8, v15
	v_fma_f32 v130, v130, v1, -v2
	scratch_load_b128 v[1:4], off, off offset:232
	v_mul_f32_e32 v16, v8, v16
	v_fmac_f32_e32 v134, v6, v13
	v_fma_f32 v13, v5, v13, -v14
	s_delay_alu instid0(VALU_DEP_3)
	v_fma_f32 v14, v7, v15, -v16
	s_wait_loadcnt_dscnt 0x200
	v_mul_f32_e32 v15, v9, v18
	v_mul_f32_e32 v16, v10, v18
	;; [unrolled: 1-line block ×4, first 2 shown]
	ds_load_2addr_b64 v[5:8], v21 offset0:81 offset1:82
	v_fmac_f32_e32 v15, v10, v17
	v_fma_f32 v16, v9, v17, -v16
	v_fmac_f32_e32 v18, v12, v19
	v_fma_f32 v17, v11, v19, -v20
	scratch_load_b128 v[9:12], off, off offset:248
	s_wait_loadcnt_dscnt 0x100
	v_mul_f32_e32 v19, v5, v2
	v_mul_f32_e32 v2, v6, v2
	v_mul_f32_e32 v20, v7, v4
	s_delay_alu instid0(VALU_DEP_3) | instskip(NEXT) | instid1(VALU_DEP_3)
	v_dual_mul_f32 v4, v8, v4 :: v_dual_fmac_f32 v19, v6, v1
	v_fma_f32 v136, v5, v1, -v2
	s_delay_alu instid0(VALU_DEP_3) | instskip(NEXT) | instid1(VALU_DEP_3)
	v_fmac_f32_e32 v20, v8, v3
	v_fma_f32 v137, v7, v3, -v4
	ds_load_2addr_b64 v[1:4], v21 offset0:83 offset1:84
	ds_load_2addr_b64 v[5:8], v21 offset0:85 offset1:86
	s_wait_loadcnt_dscnt 0x1
	v_mul_f32_e32 v143, v1, v10
	v_mul_f32_e32 v10, v2, v10
	s_delay_alu instid0(VALU_DEP_2) | instskip(NEXT) | instid1(VALU_DEP_2)
	v_dual_mul_f32 v144, v3, v12 :: v_dual_fmac_f32 v143, v2, v9
	v_fma_f32 v145, v1, v9, -v10
	v_mul_f32_e32 v1, v4, v12
	s_delay_alu instid0(VALU_DEP_3) | instskip(NEXT) | instid1(VALU_DEP_2)
	v_fmac_f32_e32 v144, v4, v11
	v_fma_f32 v146, v3, v11, -v1
	s_clause 0x1
	scratch_load_b128 v[1:4], off, off offset:264
	scratch_load_b128 v[9:12], off, off offset:280
	s_wait_loadcnt_dscnt 0x100
	v_mul_f32_e32 v147, v5, v2
	v_dual_mul_f32 v2, v6, v2 :: v_dual_mul_f32 v149, v7, v4
	s_delay_alu instid0(VALU_DEP_2) | instskip(NEXT) | instid1(VALU_DEP_2)
	v_fmac_f32_e32 v147, v6, v1
	v_fma_f32 v148, v5, v1, -v2
	v_mul_f32_e32 v1, v8, v4
	s_delay_alu instid0(VALU_DEP_4) | instskip(NEXT) | instid1(VALU_DEP_2)
	v_fmac_f32_e32 v149, v8, v3
	v_fma_f32 v150, v7, v3, -v1
	ds_load_2addr_b64 v[1:4], v21 offset0:87 offset1:88
	ds_load_2addr_b64 v[5:8], v21 offset0:89 offset1:90
	s_wait_loadcnt_dscnt 0x1
	v_mul_f32_e32 v151, v1, v10
	v_mul_f32_e32 v153, v3, v12
	s_delay_alu instid0(VALU_DEP_2) | instskip(NEXT) | instid1(VALU_DEP_2)
	v_fmac_f32_e32 v151, v2, v9
	v_dual_mul_f32 v2, v2, v10 :: v_dual_fmac_f32 v153, v4, v11
	s_delay_alu instid0(VALU_DEP_1) | instskip(SKIP_1) | instid1(VALU_DEP_1)
	v_fma_f32 v152, v1, v9, -v2
	v_mul_f32_e32 v1, v4, v12
	v_fma_f32 v154, v3, v11, -v1
	s_clause 0x1
	scratch_load_b128 v[1:4], off, off offset:296
	scratch_load_b128 v[9:12], off, off offset:312
	s_wait_loadcnt_dscnt 0x100
	v_mul_f32_e32 v155, v5, v2
	v_dual_mul_f32 v2, v6, v2 :: v_dual_mul_f32 v157, v7, v4
	s_delay_alu instid0(VALU_DEP_2) | instskip(NEXT) | instid1(VALU_DEP_2)
	v_fmac_f32_e32 v155, v6, v1
	v_fma_f32 v156, v5, v1, -v2
	v_mul_f32_e32 v1, v8, v4
	s_delay_alu instid0(VALU_DEP_4) | instskip(NEXT) | instid1(VALU_DEP_2)
	v_fmac_f32_e32 v157, v8, v3
	v_fma_f32 v158, v7, v3, -v1
	ds_load_2addr_b64 v[1:4], v21 offset0:91 offset1:92
	ds_load_2addr_b64 v[5:8], v21 offset0:93 offset1:94
	s_wait_loadcnt_dscnt 0x1
	v_mul_f32_e32 v159, v1, v10
	v_mul_f32_e32 v161, v3, v12
	s_delay_alu instid0(VALU_DEP_2) | instskip(NEXT) | instid1(VALU_DEP_2)
	v_fmac_f32_e32 v159, v2, v9
	v_dual_mul_f32 v2, v2, v10 :: v_dual_fmac_f32 v161, v4, v11
	s_delay_alu instid0(VALU_DEP_1) | instskip(SKIP_1) | instid1(VALU_DEP_1)
	v_fma_f32 v160, v1, v9, -v2
	v_mul_f32_e32 v1, v4, v12
	v_fma_f32 v162, v3, v11, -v1
	s_clause 0x1
	scratch_load_b128 v[1:4], off, off offset:328
	scratch_load_b128 v[9:12], off, off offset:344
	s_wait_loadcnt_dscnt 0x100
	v_mul_f32_e32 v163, v5, v2
	v_mul_f32_e32 v2, v6, v2
	s_delay_alu instid0(VALU_DEP_1) | instskip(SKIP_1) | instid1(VALU_DEP_1)
	v_fma_f32 v164, v5, v1, -v2
	v_add_f32_e32 v2, 0, v140
	v_add_f32_e32 v2, v2, v141
	s_delay_alu instid0(VALU_DEP_1) | instskip(SKIP_1) | instid1(VALU_DEP_2)
	v_add_f32_e32 v2, v2, v127
	v_fmac_f32_e32 v163, v6, v1
	v_add_f32_e32 v2, v2, v128
	s_delay_alu instid0(VALU_DEP_1) | instskip(NEXT) | instid1(VALU_DEP_1)
	v_dual_mul_f32 v165, v7, v4 :: v_dual_add_f32 v2, v2, v129
	v_dual_fmac_f32 v165, v8, v3 :: v_dual_add_f32 v2, v2, v142
	s_delay_alu instid0(VALU_DEP_1) | instskip(NEXT) | instid1(VALU_DEP_1)
	v_dual_mul_f32 v1, v8, v4 :: v_dual_add_f32 v2, v2, v134
	v_fma_f32 v166, v7, v3, -v1
	s_delay_alu instid0(VALU_DEP_2) | instskip(NEXT) | instid1(VALU_DEP_1)
	v_dual_add_f32 v1, 0, v22 :: v_dual_add_f32 v2, v2, v135
	v_add_f32_e32 v1, v1, v126
	s_delay_alu instid0(VALU_DEP_1) | instskip(NEXT) | instid1(VALU_DEP_1)
	v_add_f32_e32 v1, v1, v130
	v_add_f32_e32 v1, v1, v131
	s_delay_alu instid0(VALU_DEP_1) | instskip(NEXT) | instid1(VALU_DEP_1)
	v_add_f32_e32 v1, v1, v132
	v_add_f32_e32 v1, v1, v133
	s_delay_alu instid0(VALU_DEP_1) | instskip(NEXT) | instid1(VALU_DEP_1)
	v_add_f32_e32 v1, v1, v13
	v_add_f32_e32 v1, v1, v14
	s_delay_alu instid0(VALU_DEP_1) | instskip(NEXT) | instid1(VALU_DEP_1)
	v_add_f32_e32 v1, v1, v16
	v_dual_add_f32 v5, v2, v15 :: v_dual_add_f32 v6, v1, v17
	ds_load_2addr_b64 v[1:4], v21 offset0:95 offset1:96
	v_dual_add_f32 v5, v5, v18 :: v_dual_add_f32 v6, v6, v136
	s_delay_alu instid0(VALU_DEP_1) | instskip(NEXT) | instid1(VALU_DEP_1)
	v_add_f32_e32 v13, v6, v137
	v_add_f32_e32 v13, v13, v145
	s_delay_alu instid0(VALU_DEP_1) | instskip(NEXT) | instid1(VALU_DEP_1)
	v_add_f32_e32 v13, v13, v146
	v_add_f32_e32 v13, v13, v148
	s_delay_alu instid0(VALU_DEP_1) | instskip(NEXT) | instid1(VALU_DEP_1)
	v_add_f32_e32 v18, v13, v150
	v_dual_add_f32 v5, v5, v19 :: v_dual_add_f32 v18, v18, v152
	s_delay_alu instid0(VALU_DEP_1)
	v_add_f32_e32 v14, v5, v20
	ds_load_2addr_b64 v[5:8], v21 offset0:97 offset1:98
	s_wait_loadcnt_dscnt 0x1
	v_mul_f32_e32 v22, v1, v10
	v_mul_f32_e32 v130, v3, v12
	;; [unrolled: 1-line block ×4, first 2 shown]
	v_add_f32_e32 v14, v14, v143
	v_fmac_f32_e32 v22, v2, v9
	v_fmac_f32_e32 v130, v4, v11
	v_fma_f32 v131, v1, v9, -v10
	v_fma_f32 v132, v3, v11, -v12
	s_clause 0x1
	scratch_load_b128 v[1:4], off, off offset:360
	scratch_load_b128 v[9:12], off, off offset:376
	v_add_f32_e32 v14, v14, v144
	v_add_f32_e32 v18, v18, v154
	s_delay_alu instid0(VALU_DEP_2)
	v_add_f32_e32 v17, v14, v147
	scratch_load_b128 v[13:16], off, off offset:392
	v_add_f32_e32 v126, v18, v156
	s_wait_loadcnt_dscnt 0x200
	v_mul_f32_e32 v135, v7, v4
	v_dual_mul_f32 v4, v8, v4 :: v_dual_add_f32 v17, v17, v149
	s_delay_alu instid0(VALU_DEP_1) | instskip(NEXT) | instid1(VALU_DEP_1)
	v_add_f32_e32 v17, v17, v151
	v_add_f32_e32 v17, v17, v153
	s_delay_alu instid0(VALU_DEP_1)
	v_add_f32_e32 v127, v17, v155
	ds_load_2addr_b64 v[17:20], v21 offset0:99 offset1:100
	v_dual_add_f32 v133, v126, v158 :: v_dual_add_f32 v134, v127, v157
	ds_load_2addr_b64 v[126:129], v21 offset0:101 offset1:102
	s_wait_loadcnt_dscnt 0x101
	v_dual_mul_f32 v136, v17, v10 :: v_dual_fmac_f32 v135, v8, v3
	v_fma_f32 v3, v7, v3, -v4
	v_mul_f32_e32 v4, v20, v12
	s_delay_alu instid0(VALU_DEP_3)
	v_dual_add_f32 v21, v133, v160 :: v_dual_fmac_f32 v136, v18, v9
	v_add_f32_e32 v133, v134, v159
	s_wait_loadcnt_dscnt 0x0
	v_mul_f32_e32 v140, v126, v14
	v_mul_f32_e32 v134, v5, v2
	v_add_f32_e32 v21, v21, v162
	v_mul_f32_e32 v137, v19, v12
	v_add_f32_e32 v133, v133, v161
	v_fmac_f32_e32 v140, v127, v13
	s_delay_alu instid0(VALU_DEP_4) | instskip(NEXT) | instid1(VALU_DEP_4)
	v_dual_fmac_f32 v134, v6, v1 :: v_dual_add_f32 v21, v21, v164
	v_fmac_f32_e32 v137, v20, v11
	s_delay_alu instid0(VALU_DEP_4) | instskip(SKIP_1) | instid1(VALU_DEP_4)
	v_dual_add_f32 v133, v133, v163 :: v_dual_mul_f32 v2, v6, v2
	v_mul_f32_e32 v6, v18, v10
	v_add_f32_e32 v21, v21, v166
	v_fma_f32 v4, v19, v11, -v4
	s_delay_alu instid0(VALU_DEP_4) | instskip(NEXT) | instid1(VALU_DEP_3)
	v_fma_f32 v2, v5, v1, -v2
	v_add_f32_e32 v21, v21, v131
	v_mul_f32_e32 v131, v128, v16
	s_delay_alu instid0(VALU_DEP_2) | instskip(NEXT) | instid1(VALU_DEP_2)
	v_add_f32_e32 v1, v21, v132
	v_fmac_f32_e32 v131, v129, v15
	v_add_f32_e32 v133, v133, v165
	s_delay_alu instid0(VALU_DEP_3) | instskip(NEXT) | instid1(VALU_DEP_2)
	v_add_f32_e32 v1, v1, v2
	v_add_f32_e32 v22, v133, v22
	s_delay_alu instid0(VALU_DEP_2) | instskip(SKIP_1) | instid1(VALU_DEP_3)
	v_add_f32_e32 v1, v1, v3
	v_mul_f32_e32 v3, v127, v14
	v_add_f32_e32 v5, v22, v130
	s_delay_alu instid0(VALU_DEP_2) | instskip(NEXT) | instid1(VALU_DEP_2)
	v_fma_f32 v3, v126, v13, -v3
	v_add_f32_e32 v2, v5, v134
	v_fma_f32 v5, v17, v9, -v6
	s_delay_alu instid0(VALU_DEP_1) | instskip(SKIP_1) | instid1(VALU_DEP_2)
	v_dual_add_f32 v2, v2, v135 :: v_dual_add_f32 v1, v1, v5
	v_mul_f32_e32 v5, v129, v16
	v_add_f32_e32 v2, v2, v136
	s_delay_alu instid0(VALU_DEP_3) | instskip(NEXT) | instid1(VALU_DEP_3)
	v_add_f32_e32 v1, v1, v4
	v_fma_f32 v4, v128, v15, -v5
	s_delay_alu instid0(VALU_DEP_2) | instskip(NEXT) | instid1(VALU_DEP_1)
	v_dual_add_f32 v2, v2, v137 :: v_dual_add_f32 v1, v1, v3
	v_add_f32_e32 v2, v2, v140
	s_delay_alu instid0(VALU_DEP_1) | instskip(NEXT) | instid1(VALU_DEP_1)
	v_dual_add_f32 v1, v1, v4 :: v_dual_add_f32 v2, v2, v131
	v_dual_sub_f32 v1, v138, v1 :: v_dual_sub_f32 v2, v139, v2
	scratch_store_b64 off, v[1:2], off offset:144
	v_cmpx_lt_u32_e32 17, v0
	s_cbranch_execz .LBB114_285
; %bb.284:
	scratch_load_b64 v[1:2], off, off offset:136
	v_mov_b32_e32 v3, 0
	s_delay_alu instid0(VALU_DEP_1)
	v_mov_b32_e32 v4, v3
	scratch_store_b64 off, v[3:4], off offset:136
	s_wait_loadcnt 0x0
	ds_store_b64 v23, v[1:2]
.LBB114_285:
	s_wait_alu 0xfffe
	s_or_b32 exec_lo, exec_lo, s0
	s_wait_storecnt_dscnt 0x0
	s_barrier_signal -1
	s_barrier_wait -1
	global_inv scope:SCOPE_SE
	s_clause 0x4
	scratch_load_b128 v[5:8], off, off offset:144
	scratch_load_b128 v[1:4], off, off offset:160
	;; [unrolled: 1-line block ×5, first 2 shown]
	v_mov_b32_e32 v21, 0
	ds_load_b128 v[126:129], v21 offset:560
	ds_load_b128 v[130:133], v21 offset:576
	;; [unrolled: 1-line block ×3, first 2 shown]
	scratch_load_b64 v[138:139], off, off offset:136
	s_mov_b32 s0, exec_lo
	s_wait_loadcnt_dscnt 0x502
	v_mul_f32_e32 v22, v127, v6
	v_dual_mul_f32 v140, v126, v6 :: v_dual_mul_f32 v141, v128, v8
	v_mul_f32_e32 v6, v129, v8
	s_delay_alu instid0(VALU_DEP_3) | instskip(NEXT) | instid1(VALU_DEP_3)
	v_fma_f32 v22, v126, v5, -v22
	v_dual_fmac_f32 v140, v127, v5 :: v_dual_fmac_f32 v141, v129, v7
	s_wait_loadcnt_dscnt 0x401
	v_mul_f32_e32 v127, v130, v2
	v_fma_f32 v126, v128, v7, -v6
	ds_load_b128 v[5:8], v21 offset:608
	s_wait_loadcnt_dscnt 0x301
	v_dual_mul_f32 v128, v132, v4 :: v_dual_mul_f32 v129, v134, v10
	v_dual_mul_f32 v4, v133, v4 :: v_dual_fmac_f32 v127, v131, v1
	v_mul_f32_e32 v10, v135, v10
	s_delay_alu instid0(VALU_DEP_3)
	v_dual_mul_f32 v142, v136, v12 :: v_dual_fmac_f32 v129, v135, v9
	v_mul_f32_e32 v12, v137, v12
	v_mul_f32_e32 v2, v131, v2
	v_fmac_f32_e32 v128, v133, v3
	v_fma_f32 v131, v132, v3, -v4
	v_fma_f32 v132, v134, v9, -v10
	v_fmac_f32_e32 v142, v137, v11
	v_fma_f32 v133, v136, v11, -v12
	ds_load_b128 v[9:12], v21 offset:624
	s_wait_loadcnt_dscnt 0x201
	v_dual_mul_f32 v135, v7, v16 :: v_dual_mul_f32 v134, v5, v14
	v_mul_f32_e32 v14, v6, v14
	v_mul_f32_e32 v16, v8, v16
	s_delay_alu instid0(VALU_DEP_3)
	v_fmac_f32_e32 v135, v8, v15
	v_fma_f32 v130, v130, v1, -v2
	scratch_load_b128 v[1:4], off, off offset:224
	v_fmac_f32_e32 v134, v6, v13
	v_fma_f32 v13, v5, v13, -v14
	v_fma_f32 v14, v7, v15, -v16
	ds_load_b128 v[5:8], v21 offset:640
	s_wait_loadcnt_dscnt 0x201
	v_mul_f32_e32 v15, v9, v18
	v_mul_f32_e32 v16, v10, v18
	v_mul_f32_e32 v18, v11, v20
	s_delay_alu instid0(VALU_DEP_3) | instskip(NEXT) | instid1(VALU_DEP_3)
	v_dual_mul_f32 v20, v12, v20 :: v_dual_fmac_f32 v15, v10, v17
	v_fma_f32 v16, v9, v17, -v16
	s_delay_alu instid0(VALU_DEP_3) | instskip(NEXT) | instid1(VALU_DEP_3)
	v_fmac_f32_e32 v18, v12, v19
	v_fma_f32 v17, v11, v19, -v20
	scratch_load_b128 v[9:12], off, off offset:240
	s_wait_loadcnt_dscnt 0x100
	v_mul_f32_e32 v19, v5, v2
	v_mul_f32_e32 v2, v6, v2
	;; [unrolled: 1-line block ×3, first 2 shown]
	s_delay_alu instid0(VALU_DEP_3) | instskip(NEXT) | instid1(VALU_DEP_3)
	v_dual_mul_f32 v4, v8, v4 :: v_dual_fmac_f32 v19, v6, v1
	v_fma_f32 v136, v5, v1, -v2
	s_delay_alu instid0(VALU_DEP_3) | instskip(NEXT) | instid1(VALU_DEP_3)
	v_fmac_f32_e32 v20, v8, v3
	v_fma_f32 v137, v7, v3, -v4
	ds_load_b128 v[1:4], v21 offset:656
	ds_load_b128 v[5:8], v21 offset:672
	s_wait_loadcnt_dscnt 0x1
	v_mul_f32_e32 v143, v1, v10
	v_mul_f32_e32 v10, v2, v10
	s_delay_alu instid0(VALU_DEP_2) | instskip(NEXT) | instid1(VALU_DEP_2)
	v_dual_mul_f32 v144, v3, v12 :: v_dual_fmac_f32 v143, v2, v9
	v_fma_f32 v145, v1, v9, -v10
	v_mul_f32_e32 v1, v4, v12
	s_delay_alu instid0(VALU_DEP_3) | instskip(NEXT) | instid1(VALU_DEP_2)
	v_fmac_f32_e32 v144, v4, v11
	v_fma_f32 v146, v3, v11, -v1
	s_clause 0x1
	scratch_load_b128 v[1:4], off, off offset:256
	scratch_load_b128 v[9:12], off, off offset:272
	s_wait_loadcnt_dscnt 0x100
	v_mul_f32_e32 v147, v5, v2
	v_dual_mul_f32 v2, v6, v2 :: v_dual_mul_f32 v149, v7, v4
	s_delay_alu instid0(VALU_DEP_2) | instskip(NEXT) | instid1(VALU_DEP_2)
	v_fmac_f32_e32 v147, v6, v1
	v_fma_f32 v148, v5, v1, -v2
	v_mul_f32_e32 v1, v8, v4
	s_delay_alu instid0(VALU_DEP_4) | instskip(NEXT) | instid1(VALU_DEP_2)
	v_fmac_f32_e32 v149, v8, v3
	v_fma_f32 v150, v7, v3, -v1
	ds_load_b128 v[1:4], v21 offset:688
	ds_load_b128 v[5:8], v21 offset:704
	s_wait_loadcnt_dscnt 0x1
	v_mul_f32_e32 v151, v1, v10
	v_mul_f32_e32 v153, v3, v12
	s_delay_alu instid0(VALU_DEP_2) | instskip(NEXT) | instid1(VALU_DEP_2)
	v_fmac_f32_e32 v151, v2, v9
	v_dual_mul_f32 v2, v2, v10 :: v_dual_fmac_f32 v153, v4, v11
	s_delay_alu instid0(VALU_DEP_1) | instskip(SKIP_1) | instid1(VALU_DEP_1)
	v_fma_f32 v152, v1, v9, -v2
	v_mul_f32_e32 v1, v4, v12
	v_fma_f32 v154, v3, v11, -v1
	s_clause 0x1
	scratch_load_b128 v[1:4], off, off offset:288
	scratch_load_b128 v[9:12], off, off offset:304
	s_wait_loadcnt_dscnt 0x100
	v_mul_f32_e32 v155, v5, v2
	v_dual_mul_f32 v157, v7, v4 :: v_dual_mul_f32 v2, v6, v2
	s_delay_alu instid0(VALU_DEP_2) | instskip(NEXT) | instid1(VALU_DEP_2)
	v_fmac_f32_e32 v155, v6, v1
	v_fmac_f32_e32 v157, v8, v3
	s_delay_alu instid0(VALU_DEP_3) | instskip(SKIP_1) | instid1(VALU_DEP_1)
	v_fma_f32 v156, v5, v1, -v2
	v_mul_f32_e32 v1, v8, v4
	v_fma_f32 v158, v7, v3, -v1
	ds_load_b128 v[1:4], v21 offset:720
	ds_load_b128 v[5:8], v21 offset:736
	s_wait_loadcnt_dscnt 0x1
	v_mul_f32_e32 v159, v1, v10
	v_mul_f32_e32 v161, v3, v12
	s_delay_alu instid0(VALU_DEP_2) | instskip(NEXT) | instid1(VALU_DEP_2)
	v_fmac_f32_e32 v159, v2, v9
	v_dual_mul_f32 v2, v2, v10 :: v_dual_fmac_f32 v161, v4, v11
	s_delay_alu instid0(VALU_DEP_1) | instskip(SKIP_1) | instid1(VALU_DEP_1)
	v_fma_f32 v160, v1, v9, -v2
	v_mul_f32_e32 v1, v4, v12
	v_fma_f32 v162, v3, v11, -v1
	s_clause 0x1
	scratch_load_b128 v[1:4], off, off offset:320
	scratch_load_b128 v[9:12], off, off offset:336
	s_wait_loadcnt_dscnt 0x100
	v_mul_f32_e32 v163, v5, v2
	v_mul_f32_e32 v2, v6, v2
	s_delay_alu instid0(VALU_DEP_1) | instskip(SKIP_1) | instid1(VALU_DEP_1)
	v_fma_f32 v164, v5, v1, -v2
	v_add_f32_e32 v2, 0, v140
	v_add_f32_e32 v2, v2, v141
	s_delay_alu instid0(VALU_DEP_1) | instskip(NEXT) | instid1(VALU_DEP_1)
	v_add_f32_e32 v2, v2, v127
	v_add_f32_e32 v2, v2, v128
	v_mul_f32_e32 v165, v7, v4
	v_fmac_f32_e32 v163, v6, v1
	s_delay_alu instid0(VALU_DEP_2) | instskip(NEXT) | instid1(VALU_DEP_1)
	v_dual_add_f32 v2, v2, v129 :: v_dual_fmac_f32 v165, v8, v3
	v_dual_add_f32 v2, v2, v142 :: v_dual_mul_f32 v1, v8, v4
	s_delay_alu instid0(VALU_DEP_1) | instskip(NEXT) | instid1(VALU_DEP_2)
	v_add_f32_e32 v2, v2, v134
	v_fma_f32 v166, v7, v3, -v1
	s_delay_alu instid0(VALU_DEP_2) | instskip(NEXT) | instid1(VALU_DEP_1)
	v_dual_add_f32 v1, 0, v22 :: v_dual_add_f32 v2, v2, v135
	v_add_f32_e32 v1, v1, v126
	s_delay_alu instid0(VALU_DEP_1) | instskip(NEXT) | instid1(VALU_DEP_1)
	v_add_f32_e32 v1, v1, v130
	v_add_f32_e32 v1, v1, v131
	scratch_load_b64 v[130:131], off, off offset:400
	v_add_f32_e32 v1, v1, v132
	s_delay_alu instid0(VALU_DEP_1) | instskip(NEXT) | instid1(VALU_DEP_1)
	v_add_f32_e32 v1, v1, v133
	v_add_f32_e32 v1, v1, v13
	s_delay_alu instid0(VALU_DEP_1) | instskip(NEXT) | instid1(VALU_DEP_1)
	v_add_f32_e32 v1, v1, v14
	v_add_f32_e32 v1, v1, v16
	s_delay_alu instid0(VALU_DEP_1) | instskip(SKIP_2) | instid1(VALU_DEP_1)
	v_dual_add_f32 v5, v2, v15 :: v_dual_add_f32 v6, v1, v17
	ds_load_b128 v[1:4], v21 offset:752
	v_dual_add_f32 v5, v5, v18 :: v_dual_add_f32 v6, v6, v136
	v_add_f32_e32 v13, v6, v137
	s_delay_alu instid0(VALU_DEP_1) | instskip(NEXT) | instid1(VALU_DEP_1)
	v_add_f32_e32 v13, v13, v145
	v_add_f32_e32 v13, v13, v146
	s_delay_alu instid0(VALU_DEP_1) | instskip(NEXT) | instid1(VALU_DEP_1)
	v_add_f32_e32 v13, v13, v148
	v_add_f32_e32 v18, v13, v150
	s_delay_alu instid0(VALU_DEP_1) | instskip(NEXT) | instid1(VALU_DEP_1)
	v_dual_add_f32 v5, v5, v19 :: v_dual_add_f32 v18, v18, v152
	v_add_f32_e32 v14, v5, v20
	ds_load_b128 v[5:8], v21 offset:768
	s_wait_loadcnt_dscnt 0x101
	v_mul_f32_e32 v22, v1, v10
	v_mul_f32_e32 v10, v2, v10
	;; [unrolled: 1-line block ×4, first 2 shown]
	v_add_f32_e32 v14, v14, v143
	v_fmac_f32_e32 v22, v2, v9
	v_fma_f32 v135, v1, v9, -v10
	v_fmac_f32_e32 v134, v4, v11
	v_fma_f32 v136, v3, v11, -v12
	s_clause 0x1
	scratch_load_b128 v[1:4], off, off offset:352
	scratch_load_b128 v[9:12], off, off offset:368
	v_add_f32_e32 v14, v14, v144
	v_add_f32_e32 v18, v18, v154
	s_delay_alu instid0(VALU_DEP_2) | instskip(SKIP_2) | instid1(VALU_DEP_1)
	v_add_f32_e32 v17, v14, v147
	scratch_load_b128 v[13:16], off, off offset:384
	v_dual_add_f32 v18, v18, v156 :: v_dual_add_f32 v17, v17, v149
	v_add_f32_e32 v18, v18, v158
	s_delay_alu instid0(VALU_DEP_1) | instskip(NEXT) | instid1(VALU_DEP_1)
	v_add_f32_e32 v132, v18, v160
	v_add_f32_e32 v137, v132, v162
	s_wait_loadcnt_dscnt 0x200
	v_mul_f32_e32 v141, v5, v2
	v_dual_mul_f32 v2, v6, v2 :: v_dual_add_f32 v17, v17, v151
	v_mul_f32_e32 v142, v7, v4
	v_mul_f32_e32 v4, v8, v4
	s_delay_alu instid0(VALU_DEP_3) | instskip(NEXT) | instid1(VALU_DEP_3)
	v_fma_f32 v2, v5, v1, -v2
	v_dual_add_f32 v17, v17, v153 :: v_dual_fmac_f32 v142, v8, v3
	s_delay_alu instid0(VALU_DEP_1) | instskip(NEXT) | instid1(VALU_DEP_1)
	v_add_f32_e32 v17, v17, v155
	v_add_f32_e32 v126, v17, v157
	ds_load_b128 v[17:20], v21 offset:784
	v_add_f32_e32 v133, v126, v159
	ds_load_b128 v[126:129], v21 offset:800
	v_add_f32_e32 v140, v133, v161
	ds_load_b64 v[132:133], v21 offset:816
	v_add_f32_e32 v140, v140, v163
	s_delay_alu instid0(VALU_DEP_1) | instskip(SKIP_2) | instid1(VALU_DEP_2)
	v_dual_add_f32 v140, v140, v165 :: v_dual_add_f32 v137, v137, v164
	s_wait_loadcnt_dscnt 0x102
	v_mul_f32_e32 v5, v20, v12
	v_add_f32_e32 v22, v140, v22
	s_delay_alu instid0(VALU_DEP_3) | instskip(SKIP_3) | instid1(VALU_DEP_3)
	v_dual_add_f32 v137, v137, v166 :: v_dual_mul_f32 v140, v19, v12
	v_fmac_f32_e32 v141, v6, v1
	s_wait_loadcnt_dscnt 0x1
	v_mul_f32_e32 v143, v126, v14
	v_dual_add_f32 v22, v22, v134 :: v_dual_add_f32 v135, v137, v135
	s_wait_dscnt 0x0
	v_dual_mul_f32 v137, v17, v10 :: v_dual_mul_f32 v134, v132, v131
	v_fma_f32 v1, v7, v3, -v4
	v_dual_mul_f32 v3, v18, v10 :: v_dual_fmac_f32 v140, v20, v11
	v_dual_add_f32 v135, v135, v136 :: v_dual_add_f32 v4, v22, v141
	s_delay_alu instid0(VALU_DEP_4) | instskip(NEXT) | instid1(VALU_DEP_3)
	v_dual_mul_f32 v136, v128, v16 :: v_dual_fmac_f32 v137, v18, v9
	v_fma_f32 v3, v17, v9, -v3
	s_delay_alu instid0(VALU_DEP_3) | instskip(SKIP_1) | instid1(VALU_DEP_2)
	v_add_f32_e32 v2, v135, v2
	v_fmac_f32_e32 v134, v133, v130
	v_dual_fmac_f32 v136, v129, v15 :: v_dual_add_f32 v1, v2, v1
	v_add_f32_e32 v2, v4, v142
	v_mul_f32_e32 v4, v127, v14
	v_fma_f32 v5, v19, v11, -v5
	s_delay_alu instid0(VALU_DEP_3) | instskip(SKIP_1) | instid1(VALU_DEP_4)
	v_dual_add_f32 v1, v1, v3 :: v_dual_add_f32 v2, v2, v137
	v_fmac_f32_e32 v143, v127, v13
	v_fma_f32 v4, v126, v13, -v4
	s_delay_alu instid0(VALU_DEP_3) | instskip(NEXT) | instid1(VALU_DEP_1)
	v_add_f32_e32 v2, v2, v140
	v_dual_mul_f32 v3, v129, v16 :: v_dual_add_f32 v2, v2, v143
	v_add_f32_e32 v1, v1, v5
	s_delay_alu instid0(VALU_DEP_2) | instskip(NEXT) | instid1(VALU_DEP_3)
	v_fma_f32 v3, v128, v15, -v3
	v_dual_add_f32 v2, v2, v136 :: v_dual_mul_f32 v5, v133, v131
	s_delay_alu instid0(VALU_DEP_1) | instskip(NEXT) | instid1(VALU_DEP_2)
	v_dual_add_f32 v2, v2, v134 :: v_dual_add_f32 v1, v1, v4
	v_fma_f32 v4, v132, v130, -v5
	s_delay_alu instid0(VALU_DEP_2) | instskip(NEXT) | instid1(VALU_DEP_1)
	v_dual_sub_f32 v2, v139, v2 :: v_dual_add_f32 v1, v1, v3
	v_add_f32_e32 v1, v1, v4
	s_delay_alu instid0(VALU_DEP_1)
	v_sub_f32_e32 v1, v138, v1
	scratch_store_b64 off, v[1:2], off offset:136
	v_cmpx_lt_u32_e32 16, v0
	s_cbranch_execz .LBB114_287
; %bb.286:
	scratch_load_b64 v[1:2], off, off offset:128
	v_mov_b32_e32 v22, v21
	scratch_store_b64 off, v[21:22], off offset:128
	s_wait_loadcnt 0x0
	ds_store_b64 v23, v[1:2]
.LBB114_287:
	s_wait_alu 0xfffe
	s_or_b32 exec_lo, exec_lo, s0
	s_wait_storecnt_dscnt 0x0
	s_barrier_signal -1
	s_barrier_wait -1
	global_inv scope:SCOPE_SE
	s_clause 0x4
	scratch_load_b128 v[5:8], off, off offset:136
	scratch_load_b128 v[1:4], off, off offset:152
	;; [unrolled: 1-line block ×5, first 2 shown]
	ds_load_2addr_b64 v[126:129], v21 offset0:69 offset1:70
	ds_load_2addr_b64 v[130:133], v21 offset0:71 offset1:72
	;; [unrolled: 1-line block ×3, first 2 shown]
	scratch_load_b64 v[138:139], off, off offset:128
	s_mov_b32 s0, exec_lo
	s_wait_loadcnt_dscnt 0x502
	v_dual_mul_f32 v22, v127, v6 :: v_dual_mul_f32 v141, v128, v8
	v_mul_f32_e32 v140, v126, v6
	v_mul_f32_e32 v6, v129, v8
	s_wait_loadcnt_dscnt 0x300
	v_mul_f32_e32 v142, v136, v12
	v_fma_f32 v22, v126, v5, -v22
	v_dual_fmac_f32 v141, v129, v7 :: v_dual_fmac_f32 v140, v127, v5
	v_mul_f32_e32 v129, v134, v10
	v_mul_f32_e32 v127, v130, v2
	v_fma_f32 v126, v128, v7, -v6
	ds_load_2addr_b64 v[5:8], v21 offset0:75 offset1:76
	v_mul_f32_e32 v128, v132, v4
	v_dual_mul_f32 v4, v133, v4 :: v_dual_fmac_f32 v129, v135, v9
	v_mul_f32_e32 v10, v135, v10
	v_mul_f32_e32 v12, v137, v12
	;; [unrolled: 1-line block ×3, first 2 shown]
	v_dual_fmac_f32 v127, v131, v1 :: v_dual_fmac_f32 v128, v133, v3
	v_fma_f32 v131, v132, v3, -v4
	v_fma_f32 v132, v134, v9, -v10
	v_fmac_f32_e32 v142, v137, v11
	v_fma_f32 v133, v136, v11, -v12
	ds_load_2addr_b64 v[9:12], v21 offset0:77 offset1:78
	s_wait_loadcnt_dscnt 0x201
	v_dual_mul_f32 v135, v7, v16 :: v_dual_mul_f32 v134, v5, v14
	s_delay_alu instid0(VALU_DEP_1)
	v_dual_mul_f32 v14, v6, v14 :: v_dual_fmac_f32 v135, v8, v15
	v_fma_f32 v130, v130, v1, -v2
	scratch_load_b128 v[1:4], off, off offset:216
	v_mul_f32_e32 v16, v8, v16
	v_fmac_f32_e32 v134, v6, v13
	v_fma_f32 v13, v5, v13, -v14
	s_delay_alu instid0(VALU_DEP_3)
	v_fma_f32 v14, v7, v15, -v16
	s_wait_loadcnt_dscnt 0x200
	v_mul_f32_e32 v15, v9, v18
	v_mul_f32_e32 v16, v10, v18
	;; [unrolled: 1-line block ×4, first 2 shown]
	ds_load_2addr_b64 v[5:8], v21 offset0:79 offset1:80
	v_fmac_f32_e32 v15, v10, v17
	v_fma_f32 v16, v9, v17, -v16
	v_fmac_f32_e32 v18, v12, v19
	v_fma_f32 v17, v11, v19, -v20
	scratch_load_b128 v[9:12], off, off offset:232
	s_wait_loadcnt_dscnt 0x100
	v_mul_f32_e32 v19, v5, v2
	v_mul_f32_e32 v2, v6, v2
	;; [unrolled: 1-line block ×3, first 2 shown]
	s_delay_alu instid0(VALU_DEP_3) | instskip(NEXT) | instid1(VALU_DEP_3)
	v_dual_mul_f32 v4, v8, v4 :: v_dual_fmac_f32 v19, v6, v1
	v_fma_f32 v136, v5, v1, -v2
	s_delay_alu instid0(VALU_DEP_3) | instskip(NEXT) | instid1(VALU_DEP_3)
	v_fmac_f32_e32 v20, v8, v3
	v_fma_f32 v137, v7, v3, -v4
	ds_load_2addr_b64 v[1:4], v21 offset0:81 offset1:82
	ds_load_2addr_b64 v[5:8], v21 offset0:83 offset1:84
	s_wait_loadcnt_dscnt 0x1
	v_mul_f32_e32 v143, v1, v10
	v_mul_f32_e32 v10, v2, v10
	s_delay_alu instid0(VALU_DEP_2) | instskip(NEXT) | instid1(VALU_DEP_2)
	v_dual_mul_f32 v144, v3, v12 :: v_dual_fmac_f32 v143, v2, v9
	v_fma_f32 v145, v1, v9, -v10
	v_mul_f32_e32 v1, v4, v12
	s_delay_alu instid0(VALU_DEP_3) | instskip(NEXT) | instid1(VALU_DEP_2)
	v_fmac_f32_e32 v144, v4, v11
	v_fma_f32 v146, v3, v11, -v1
	s_clause 0x1
	scratch_load_b128 v[1:4], off, off offset:248
	scratch_load_b128 v[9:12], off, off offset:264
	s_wait_loadcnt_dscnt 0x100
	v_mul_f32_e32 v147, v5, v2
	v_dual_mul_f32 v2, v6, v2 :: v_dual_mul_f32 v149, v7, v4
	s_delay_alu instid0(VALU_DEP_2) | instskip(NEXT) | instid1(VALU_DEP_2)
	v_fmac_f32_e32 v147, v6, v1
	v_fma_f32 v148, v5, v1, -v2
	v_mul_f32_e32 v1, v8, v4
	s_delay_alu instid0(VALU_DEP_4) | instskip(NEXT) | instid1(VALU_DEP_2)
	v_fmac_f32_e32 v149, v8, v3
	v_fma_f32 v150, v7, v3, -v1
	ds_load_2addr_b64 v[1:4], v21 offset0:85 offset1:86
	ds_load_2addr_b64 v[5:8], v21 offset0:87 offset1:88
	s_wait_loadcnt_dscnt 0x1
	v_mul_f32_e32 v151, v1, v10
	v_mul_f32_e32 v153, v3, v12
	s_delay_alu instid0(VALU_DEP_2) | instskip(NEXT) | instid1(VALU_DEP_2)
	v_fmac_f32_e32 v151, v2, v9
	v_dual_mul_f32 v2, v2, v10 :: v_dual_fmac_f32 v153, v4, v11
	s_delay_alu instid0(VALU_DEP_1) | instskip(SKIP_1) | instid1(VALU_DEP_1)
	v_fma_f32 v152, v1, v9, -v2
	v_mul_f32_e32 v1, v4, v12
	v_fma_f32 v154, v3, v11, -v1
	s_clause 0x1
	scratch_load_b128 v[1:4], off, off offset:280
	scratch_load_b128 v[9:12], off, off offset:296
	s_wait_loadcnt_dscnt 0x100
	v_mul_f32_e32 v155, v5, v2
	v_dual_mul_f32 v2, v6, v2 :: v_dual_mul_f32 v157, v7, v4
	s_delay_alu instid0(VALU_DEP_2) | instskip(NEXT) | instid1(VALU_DEP_2)
	v_fmac_f32_e32 v155, v6, v1
	v_fma_f32 v156, v5, v1, -v2
	v_mul_f32_e32 v1, v8, v4
	s_delay_alu instid0(VALU_DEP_4) | instskip(NEXT) | instid1(VALU_DEP_2)
	v_fmac_f32_e32 v157, v8, v3
	v_fma_f32 v158, v7, v3, -v1
	ds_load_2addr_b64 v[1:4], v21 offset0:89 offset1:90
	ds_load_2addr_b64 v[5:8], v21 offset0:91 offset1:92
	s_wait_loadcnt_dscnt 0x1
	v_mul_f32_e32 v159, v1, v10
	v_mul_f32_e32 v161, v3, v12
	s_delay_alu instid0(VALU_DEP_2) | instskip(NEXT) | instid1(VALU_DEP_2)
	v_fmac_f32_e32 v159, v2, v9
	v_dual_mul_f32 v2, v2, v10 :: v_dual_fmac_f32 v161, v4, v11
	s_delay_alu instid0(VALU_DEP_1) | instskip(SKIP_1) | instid1(VALU_DEP_1)
	v_fma_f32 v160, v1, v9, -v2
	v_mul_f32_e32 v1, v4, v12
	v_fma_f32 v162, v3, v11, -v1
	s_clause 0x1
	scratch_load_b128 v[1:4], off, off offset:312
	scratch_load_b128 v[9:12], off, off offset:328
	s_wait_loadcnt_dscnt 0x100
	v_mul_f32_e32 v163, v5, v2
	v_mul_f32_e32 v2, v6, v2
	s_delay_alu instid0(VALU_DEP_1) | instskip(SKIP_1) | instid1(VALU_DEP_1)
	v_fma_f32 v164, v5, v1, -v2
	v_add_f32_e32 v2, 0, v140
	v_add_f32_e32 v2, v2, v141
	s_delay_alu instid0(VALU_DEP_1) | instskip(SKIP_1) | instid1(VALU_DEP_2)
	v_add_f32_e32 v2, v2, v127
	v_fmac_f32_e32 v163, v6, v1
	v_add_f32_e32 v2, v2, v128
	s_delay_alu instid0(VALU_DEP_1) | instskip(NEXT) | instid1(VALU_DEP_1)
	v_dual_mul_f32 v165, v7, v4 :: v_dual_add_f32 v2, v2, v129
	v_dual_fmac_f32 v165, v8, v3 :: v_dual_add_f32 v2, v2, v142
	s_delay_alu instid0(VALU_DEP_1) | instskip(NEXT) | instid1(VALU_DEP_1)
	v_dual_mul_f32 v1, v8, v4 :: v_dual_add_f32 v2, v2, v134
	v_fma_f32 v166, v7, v3, -v1
	s_delay_alu instid0(VALU_DEP_2) | instskip(NEXT) | instid1(VALU_DEP_1)
	v_dual_add_f32 v1, 0, v22 :: v_dual_add_f32 v2, v2, v135
	v_dual_add_f32 v1, v1, v126 :: v_dual_add_f32 v2, v2, v15
	s_delay_alu instid0(VALU_DEP_1) | instskip(NEXT) | instid1(VALU_DEP_2)
	v_add_f32_e32 v1, v1, v130
	v_add_f32_e32 v5, v2, v18
	s_delay_alu instid0(VALU_DEP_2) | instskip(NEXT) | instid1(VALU_DEP_1)
	v_add_f32_e32 v1, v1, v131
	v_add_f32_e32 v1, v1, v132
	s_delay_alu instid0(VALU_DEP_1) | instskip(NEXT) | instid1(VALU_DEP_1)
	v_add_f32_e32 v1, v1, v133
	v_add_f32_e32 v1, v1, v13
	;; [unrolled: 1-line block ×3, first 2 shown]
	s_delay_alu instid0(VALU_DEP_1) | instskip(NEXT) | instid1(VALU_DEP_1)
	v_add_f32_e32 v13, v13, v20
	v_add_f32_e32 v13, v13, v143
	s_delay_alu instid0(VALU_DEP_1) | instskip(NEXT) | instid1(VALU_DEP_1)
	v_add_f32_e32 v18, v13, v144
	v_dual_add_f32 v18, v18, v147 :: v_dual_add_f32 v1, v1, v14
	s_delay_alu instid0(VALU_DEP_1) | instskip(NEXT) | instid1(VALU_DEP_1)
	v_dual_add_f32 v18, v18, v149 :: v_dual_add_f32 v1, v1, v16
	v_dual_add_f32 v126, v18, v151 :: v_dual_add_f32 v1, v1, v17
	s_delay_alu instid0(VALU_DEP_1) | instskip(NEXT) | instid1(VALU_DEP_2)
	v_add_f32_e32 v126, v126, v153
	v_add_f32_e32 v6, v1, v136
	ds_load_2addr_b64 v[1:4], v21 offset0:93 offset1:94
	v_add_f32_e32 v126, v126, v155
	v_add_f32_e32 v14, v6, v137
	scratch_load_b128 v[5:8], off, off offset:344
	v_add_f32_e32 v14, v14, v145
	s_delay_alu instid0(VALU_DEP_1)
	v_add_f32_e32 v17, v14, v146
	ds_load_2addr_b64 v[13:16], v21 offset0:95 offset1:96
	s_wait_loadcnt_dscnt 0x101
	v_mul_f32_e32 v22, v1, v10
	v_mul_f32_e32 v10, v2, v10
	;; [unrolled: 1-line block ×4, first 2 shown]
	s_delay_alu instid0(VALU_DEP_4) | instskip(NEXT) | instid1(VALU_DEP_4)
	v_fmac_f32_e32 v22, v2, v9
	v_fma_f32 v131, v1, v9, -v10
	s_delay_alu instid0(VALU_DEP_4) | instskip(NEXT) | instid1(VALU_DEP_4)
	v_fmac_f32_e32 v130, v4, v11
	v_fma_f32 v132, v3, v11, -v12
	s_clause 0x1
	scratch_load_b128 v[1:4], off, off offset:360
	scratch_load_b128 v[9:12], off, off offset:376
	s_wait_loadcnt_dscnt 0x200
	v_mul_f32_e32 v134, v15, v8
	v_add_f32_e32 v17, v17, v148
	v_mul_f32_e32 v133, v13, v6
	v_mul_f32_e32 v6, v14, v6
	;; [unrolled: 1-line block ×3, first 2 shown]
	s_delay_alu instid0(VALU_DEP_4) | instskip(NEXT) | instid1(VALU_DEP_3)
	v_dual_fmac_f32 v134, v16, v7 :: v_dual_add_f32 v17, v17, v150
	v_fma_f32 v135, v13, v5, -v6
	v_add_f32_e32 v13, v126, v157
	s_delay_alu instid0(VALU_DEP_4) | instskip(NEXT) | instid1(VALU_DEP_4)
	v_fma_f32 v136, v15, v7, -v8
	v_add_f32_e32 v17, v17, v152
	s_delay_alu instid0(VALU_DEP_1) | instskip(SKIP_2) | instid1(VALU_DEP_1)
	v_add_f32_e32 v127, v17, v154
	scratch_load_b128 v[17:20], off, off offset:392
	v_add_f32_e32 v127, v127, v156
	v_add_f32_e32 v127, v127, v158
	s_delay_alu instid0(VALU_DEP_1)
	v_dual_add_f32 v126, v127, v160 :: v_dual_fmac_f32 v133, v14, v5
	ds_load_2addr_b64 v[5:8], v21 offset0:97 offset1:98
	v_add_f32_e32 v127, v13, v159
	ds_load_2addr_b64 v[13:16], v21 offset0:99 offset1:100
	v_dual_add_f32 v137, v126, v162 :: v_dual_add_f32 v140, v127, v161
	ds_load_2addr_b64 v[126:129], v21 offset0:101 offset1:102
	v_add_f32_e32 v21, v137, v164
	s_wait_loadcnt_dscnt 0x202
	v_dual_add_f32 v137, v140, v163 :: v_dual_mul_f32 v140, v5, v2
	s_delay_alu instid0(VALU_DEP_1) | instskip(NEXT) | instid1(VALU_DEP_2)
	v_dual_mul_f32 v2, v6, v2 :: v_dual_add_f32 v137, v137, v165
	v_fmac_f32_e32 v140, v6, v1
	s_wait_loadcnt_dscnt 0x101
	v_mul_f32_e32 v6, v14, v10
	s_delay_alu instid0(VALU_DEP_3) | instskip(SKIP_2) | instid1(VALU_DEP_3)
	v_add_f32_e32 v22, v137, v22
	v_mul_f32_e32 v137, v13, v10
	v_fma_f32 v2, v5, v1, -v2
	v_add_f32_e32 v22, v22, v130
	s_delay_alu instid0(VALU_DEP_1) | instskip(SKIP_2) | instid1(VALU_DEP_1)
	v_add_f32_e32 v22, v22, v133
	s_wait_loadcnt_dscnt 0x0
	v_mul_f32_e32 v130, v126, v18
	v_dual_add_f32 v21, v21, v166 :: v_dual_fmac_f32 v130, v127, v17
	s_delay_alu instid0(VALU_DEP_1) | instskip(SKIP_2) | instid1(VALU_DEP_2)
	v_add_f32_e32 v21, v21, v131
	v_mul_f32_e32 v131, v7, v4
	v_mul_f32_e32 v4, v8, v4
	v_fmac_f32_e32 v131, v8, v3
	s_delay_alu instid0(VALU_DEP_2) | instskip(SKIP_3) | instid1(VALU_DEP_3)
	v_fma_f32 v3, v7, v3, -v4
	v_dual_mul_f32 v4, v16, v12 :: v_dual_fmac_f32 v137, v14, v9
	v_add_f32_e32 v21, v21, v132
	v_dual_mul_f32 v132, v128, v20 :: v_dual_add_f32 v5, v22, v134
	v_fma_f32 v4, v15, v11, -v4
	s_delay_alu instid0(VALU_DEP_3) | instskip(NEXT) | instid1(VALU_DEP_3)
	v_add_f32_e32 v21, v21, v135
	v_fmac_f32_e32 v132, v129, v19
	s_delay_alu instid0(VALU_DEP_2) | instskip(NEXT) | instid1(VALU_DEP_1)
	v_add_f32_e32 v1, v21, v136
	v_add_f32_e32 v1, v1, v2
	;; [unrolled: 1-line block ×3, first 2 shown]
	v_mul_f32_e32 v141, v15, v12
	v_fma_f32 v5, v13, v9, -v6
	s_delay_alu instid0(VALU_DEP_3) | instskip(NEXT) | instid1(VALU_DEP_1)
	v_add_f32_e32 v2, v2, v131
	v_dual_fmac_f32 v141, v16, v11 :: v_dual_add_f32 v2, v2, v137
	s_delay_alu instid0(VALU_DEP_1) | instskip(NEXT) | instid1(VALU_DEP_1)
	v_add_f32_e32 v2, v2, v141
	v_add_f32_e32 v2, v2, v130
	s_delay_alu instid0(VALU_DEP_1) | instskip(SKIP_1) | instid1(VALU_DEP_2)
	v_dual_add_f32 v2, v2, v132 :: v_dual_add_f32 v1, v1, v3
	v_mul_f32_e32 v3, v127, v18
	v_dual_sub_f32 v2, v139, v2 :: v_dual_add_f32 v1, v1, v5
	v_mul_f32_e32 v5, v129, v20
	s_delay_alu instid0(VALU_DEP_3) | instskip(NEXT) | instid1(VALU_DEP_3)
	v_fma_f32 v3, v126, v17, -v3
	v_add_f32_e32 v1, v1, v4
	s_delay_alu instid0(VALU_DEP_3) | instskip(NEXT) | instid1(VALU_DEP_2)
	v_fma_f32 v4, v128, v19, -v5
	v_add_f32_e32 v1, v1, v3
	s_delay_alu instid0(VALU_DEP_1) | instskip(NEXT) | instid1(VALU_DEP_1)
	v_add_f32_e32 v1, v1, v4
	v_sub_f32_e32 v1, v138, v1
	scratch_store_b64 off, v[1:2], off offset:128
	v_cmpx_lt_u32_e32 15, v0
	s_cbranch_execz .LBB114_289
; %bb.288:
	scratch_load_b64 v[1:2], off, off offset:120
	v_mov_b32_e32 v3, 0
	s_delay_alu instid0(VALU_DEP_1)
	v_mov_b32_e32 v4, v3
	scratch_store_b64 off, v[3:4], off offset:120
	s_wait_loadcnt 0x0
	ds_store_b64 v23, v[1:2]
.LBB114_289:
	s_wait_alu 0xfffe
	s_or_b32 exec_lo, exec_lo, s0
	s_wait_storecnt_dscnt 0x0
	s_barrier_signal -1
	s_barrier_wait -1
	global_inv scope:SCOPE_SE
	s_clause 0x4
	scratch_load_b128 v[5:8], off, off offset:128
	scratch_load_b128 v[1:4], off, off offset:144
	;; [unrolled: 1-line block ×5, first 2 shown]
	v_mov_b32_e32 v21, 0
	ds_load_b128 v[126:129], v21 offset:544
	ds_load_b128 v[130:133], v21 offset:560
	ds_load_b128 v[134:137], v21 offset:576
	scratch_load_b64 v[138:139], off, off offset:120
	s_mov_b32 s0, exec_lo
	s_wait_loadcnt_dscnt 0x502
	v_mul_f32_e32 v22, v127, v6
	v_dual_mul_f32 v140, v126, v6 :: v_dual_mul_f32 v141, v128, v8
	v_mul_f32_e32 v6, v129, v8
	s_delay_alu instid0(VALU_DEP_3) | instskip(NEXT) | instid1(VALU_DEP_3)
	v_fma_f32 v22, v126, v5, -v22
	v_dual_fmac_f32 v140, v127, v5 :: v_dual_fmac_f32 v141, v129, v7
	s_wait_loadcnt_dscnt 0x401
	v_mul_f32_e32 v127, v130, v2
	v_fma_f32 v126, v128, v7, -v6
	ds_load_b128 v[5:8], v21 offset:592
	s_wait_loadcnt_dscnt 0x301
	v_dual_mul_f32 v128, v132, v4 :: v_dual_mul_f32 v129, v134, v10
	v_dual_mul_f32 v4, v133, v4 :: v_dual_fmac_f32 v127, v131, v1
	v_mul_f32_e32 v10, v135, v10
	s_delay_alu instid0(VALU_DEP_3)
	v_dual_mul_f32 v142, v136, v12 :: v_dual_fmac_f32 v129, v135, v9
	v_mul_f32_e32 v12, v137, v12
	v_mul_f32_e32 v2, v131, v2
	v_fmac_f32_e32 v128, v133, v3
	v_fma_f32 v131, v132, v3, -v4
	v_fma_f32 v132, v134, v9, -v10
	v_fmac_f32_e32 v142, v137, v11
	v_fma_f32 v133, v136, v11, -v12
	ds_load_b128 v[9:12], v21 offset:608
	s_wait_loadcnt_dscnt 0x201
	v_dual_mul_f32 v135, v7, v16 :: v_dual_mul_f32 v134, v5, v14
	v_mul_f32_e32 v14, v6, v14
	v_mul_f32_e32 v16, v8, v16
	s_delay_alu instid0(VALU_DEP_3)
	v_fmac_f32_e32 v135, v8, v15
	v_fma_f32 v130, v130, v1, -v2
	scratch_load_b128 v[1:4], off, off offset:208
	v_fmac_f32_e32 v134, v6, v13
	v_fma_f32 v13, v5, v13, -v14
	v_fma_f32 v14, v7, v15, -v16
	ds_load_b128 v[5:8], v21 offset:624
	s_wait_loadcnt_dscnt 0x201
	v_mul_f32_e32 v15, v9, v18
	v_mul_f32_e32 v16, v10, v18
	;; [unrolled: 1-line block ×3, first 2 shown]
	s_delay_alu instid0(VALU_DEP_3) | instskip(NEXT) | instid1(VALU_DEP_3)
	v_dual_mul_f32 v20, v12, v20 :: v_dual_fmac_f32 v15, v10, v17
	v_fma_f32 v16, v9, v17, -v16
	s_delay_alu instid0(VALU_DEP_3) | instskip(NEXT) | instid1(VALU_DEP_3)
	v_fmac_f32_e32 v18, v12, v19
	v_fma_f32 v17, v11, v19, -v20
	scratch_load_b128 v[9:12], off, off offset:224
	s_wait_loadcnt_dscnt 0x100
	v_mul_f32_e32 v19, v5, v2
	v_mul_f32_e32 v2, v6, v2
	;; [unrolled: 1-line block ×3, first 2 shown]
	s_delay_alu instid0(VALU_DEP_3) | instskip(NEXT) | instid1(VALU_DEP_3)
	v_dual_mul_f32 v4, v8, v4 :: v_dual_fmac_f32 v19, v6, v1
	v_fma_f32 v136, v5, v1, -v2
	s_delay_alu instid0(VALU_DEP_3) | instskip(NEXT) | instid1(VALU_DEP_3)
	v_fmac_f32_e32 v20, v8, v3
	v_fma_f32 v137, v7, v3, -v4
	ds_load_b128 v[1:4], v21 offset:640
	ds_load_b128 v[5:8], v21 offset:656
	s_wait_loadcnt_dscnt 0x1
	v_mul_f32_e32 v143, v1, v10
	v_mul_f32_e32 v10, v2, v10
	s_delay_alu instid0(VALU_DEP_2) | instskip(NEXT) | instid1(VALU_DEP_2)
	v_dual_mul_f32 v144, v3, v12 :: v_dual_fmac_f32 v143, v2, v9
	v_fma_f32 v145, v1, v9, -v10
	v_mul_f32_e32 v1, v4, v12
	s_delay_alu instid0(VALU_DEP_3) | instskip(NEXT) | instid1(VALU_DEP_2)
	v_fmac_f32_e32 v144, v4, v11
	v_fma_f32 v146, v3, v11, -v1
	s_clause 0x1
	scratch_load_b128 v[1:4], off, off offset:240
	scratch_load_b128 v[9:12], off, off offset:256
	s_wait_loadcnt_dscnt 0x100
	v_mul_f32_e32 v147, v5, v2
	v_dual_mul_f32 v2, v6, v2 :: v_dual_mul_f32 v149, v7, v4
	s_delay_alu instid0(VALU_DEP_2) | instskip(NEXT) | instid1(VALU_DEP_2)
	v_fmac_f32_e32 v147, v6, v1
	v_fma_f32 v148, v5, v1, -v2
	v_mul_f32_e32 v1, v8, v4
	s_delay_alu instid0(VALU_DEP_4) | instskip(NEXT) | instid1(VALU_DEP_2)
	v_fmac_f32_e32 v149, v8, v3
	v_fma_f32 v150, v7, v3, -v1
	ds_load_b128 v[1:4], v21 offset:672
	ds_load_b128 v[5:8], v21 offset:688
	s_wait_loadcnt_dscnt 0x1
	v_mul_f32_e32 v151, v1, v10
	v_mul_f32_e32 v153, v3, v12
	s_delay_alu instid0(VALU_DEP_2) | instskip(NEXT) | instid1(VALU_DEP_2)
	v_fmac_f32_e32 v151, v2, v9
	v_dual_mul_f32 v2, v2, v10 :: v_dual_fmac_f32 v153, v4, v11
	s_delay_alu instid0(VALU_DEP_1) | instskip(SKIP_1) | instid1(VALU_DEP_1)
	v_fma_f32 v152, v1, v9, -v2
	v_mul_f32_e32 v1, v4, v12
	v_fma_f32 v154, v3, v11, -v1
	s_clause 0x1
	scratch_load_b128 v[1:4], off, off offset:272
	scratch_load_b128 v[9:12], off, off offset:288
	s_wait_loadcnt_dscnt 0x100
	v_mul_f32_e32 v155, v5, v2
	v_dual_mul_f32 v157, v7, v4 :: v_dual_mul_f32 v2, v6, v2
	s_delay_alu instid0(VALU_DEP_2) | instskip(NEXT) | instid1(VALU_DEP_2)
	v_fmac_f32_e32 v155, v6, v1
	v_fmac_f32_e32 v157, v8, v3
	s_delay_alu instid0(VALU_DEP_3) | instskip(SKIP_1) | instid1(VALU_DEP_1)
	v_fma_f32 v156, v5, v1, -v2
	v_mul_f32_e32 v1, v8, v4
	v_fma_f32 v158, v7, v3, -v1
	ds_load_b128 v[1:4], v21 offset:704
	ds_load_b128 v[5:8], v21 offset:720
	s_wait_loadcnt_dscnt 0x1
	v_mul_f32_e32 v159, v1, v10
	v_mul_f32_e32 v161, v3, v12
	s_delay_alu instid0(VALU_DEP_2) | instskip(NEXT) | instid1(VALU_DEP_2)
	v_fmac_f32_e32 v159, v2, v9
	v_dual_mul_f32 v2, v2, v10 :: v_dual_fmac_f32 v161, v4, v11
	s_delay_alu instid0(VALU_DEP_1) | instskip(SKIP_1) | instid1(VALU_DEP_1)
	v_fma_f32 v160, v1, v9, -v2
	v_mul_f32_e32 v1, v4, v12
	v_fma_f32 v162, v3, v11, -v1
	s_clause 0x1
	scratch_load_b128 v[1:4], off, off offset:304
	scratch_load_b128 v[9:12], off, off offset:320
	s_wait_loadcnt_dscnt 0x100
	v_mul_f32_e32 v163, v5, v2
	v_mul_f32_e32 v2, v6, v2
	s_delay_alu instid0(VALU_DEP_1) | instskip(SKIP_1) | instid1(VALU_DEP_1)
	v_fma_f32 v164, v5, v1, -v2
	v_add_f32_e32 v2, 0, v140
	v_add_f32_e32 v2, v2, v141
	s_delay_alu instid0(VALU_DEP_1) | instskip(NEXT) | instid1(VALU_DEP_1)
	v_add_f32_e32 v2, v2, v127
	v_add_f32_e32 v2, v2, v128
	v_mul_f32_e32 v165, v7, v4
	v_fmac_f32_e32 v163, v6, v1
	s_delay_alu instid0(VALU_DEP_2) | instskip(NEXT) | instid1(VALU_DEP_1)
	v_dual_add_f32 v2, v2, v129 :: v_dual_fmac_f32 v165, v8, v3
	v_dual_add_f32 v2, v2, v142 :: v_dual_mul_f32 v1, v8, v4
	s_delay_alu instid0(VALU_DEP_1) | instskip(NEXT) | instid1(VALU_DEP_2)
	v_add_f32_e32 v2, v2, v134
	v_fma_f32 v166, v7, v3, -v1
	s_delay_alu instid0(VALU_DEP_2) | instskip(NEXT) | instid1(VALU_DEP_1)
	v_dual_add_f32 v1, 0, v22 :: v_dual_add_f32 v2, v2, v135
	v_dual_add_f32 v1, v1, v126 :: v_dual_add_f32 v2, v2, v15
	s_delay_alu instid0(VALU_DEP_1) | instskip(NEXT) | instid1(VALU_DEP_2)
	v_add_f32_e32 v1, v1, v130
	v_add_f32_e32 v5, v2, v18
	s_delay_alu instid0(VALU_DEP_2) | instskip(SKIP_2) | instid1(VALU_DEP_1)
	v_add_f32_e32 v1, v1, v131
	scratch_load_b64 v[130:131], off, off offset:400
	v_add_f32_e32 v1, v1, v132
	v_add_f32_e32 v1, v1, v133
	s_delay_alu instid0(VALU_DEP_1) | instskip(SKIP_1) | instid1(VALU_DEP_2)
	v_add_f32_e32 v1, v1, v13
	v_add_f32_e32 v13, v5, v19
	v_add_f32_e32 v1, v1, v14
	s_delay_alu instid0(VALU_DEP_2) | instskip(NEXT) | instid1(VALU_DEP_2)
	v_add_f32_e32 v13, v13, v20
	v_add_f32_e32 v1, v1, v16
	s_delay_alu instid0(VALU_DEP_2) | instskip(NEXT) | instid1(VALU_DEP_2)
	v_add_f32_e32 v13, v13, v143
	v_add_f32_e32 v1, v1, v17
	;; [unrolled: 3-line block ×3, first 2 shown]
	scratch_load_b128 v[1:4], off, off offset:336
	v_add_f32_e32 v18, v18, v147
	v_add_f32_e32 v14, v6, v137
	ds_load_b128 v[5:8], v21 offset:736
	v_add_f32_e32 v18, v18, v149
	v_add_f32_e32 v14, v14, v145
	s_delay_alu instid0(VALU_DEP_2) | instskip(NEXT) | instid1(VALU_DEP_2)
	v_add_f32_e32 v126, v18, v151
	v_add_f32_e32 v17, v14, v146
	ds_load_b128 v[13:16], v21 offset:752
	v_add_f32_e32 v126, v126, v153
	s_delay_alu instid0(VALU_DEP_1)
	v_add_f32_e32 v126, v126, v155
	s_wait_loadcnt_dscnt 0x201
	v_mul_f32_e32 v22, v5, v10
	v_mul_f32_e32 v10, v6, v10
	;; [unrolled: 1-line block ×4, first 2 shown]
	v_add_f32_e32 v126, v126, v157
	v_fmac_f32_e32 v22, v6, v9
	v_fma_f32 v135, v5, v9, -v10
	v_fmac_f32_e32 v134, v8, v11
	v_fma_f32 v136, v7, v11, -v12
	s_clause 0x1
	scratch_load_b128 v[5:8], off, off offset:352
	scratch_load_b128 v[9:12], off, off offset:368
	s_wait_loadcnt_dscnt 0x200
	v_mul_f32_e32 v140, v15, v4
	v_mul_f32_e32 v4, v16, v4
	v_add_f32_e32 v17, v17, v148
	v_mul_f32_e32 v137, v13, v2
	v_mul_f32_e32 v2, v14, v2
	v_fmac_f32_e32 v140, v16, v3
	v_fma_f32 v142, v15, v3, -v4
	v_add_f32_e32 v17, v17, v150
	s_delay_alu instid0(VALU_DEP_4) | instskip(SKIP_1) | instid1(VALU_DEP_3)
	v_fma_f32 v141, v13, v1, -v2
	v_add_f32_e32 v13, v126, v159
	v_add_f32_e32 v17, v17, v152
	s_delay_alu instid0(VALU_DEP_2) | instskip(NEXT) | instid1(VALU_DEP_2)
	v_add_f32_e32 v126, v13, v161
	v_add_f32_e32 v127, v17, v154
	scratch_load_b128 v[17:20], off, off offset:384
	v_add_f32_e32 v133, v126, v163
	s_delay_alu instid0(VALU_DEP_1) | instskip(NEXT) | instid1(VALU_DEP_1)
	v_dual_add_f32 v127, v127, v156 :: v_dual_add_f32 v144, v133, v165
	v_add_f32_e32 v127, v127, v158
	s_delay_alu instid0(VALU_DEP_1)
	v_dual_add_f32 v22, v144, v22 :: v_dual_add_f32 v127, v127, v160
	v_fmac_f32_e32 v137, v14, v1
	ds_load_b128 v[1:4], v21 offset:768
	v_add_f32_e32 v22, v22, v134
	v_add_f32_e32 v14, v127, v162
	ds_load_b128 v[126:129], v21 offset:800
	v_add_f32_e32 v22, v22, v137
	v_add_f32_e32 v132, v14, v164
	ds_load_b128 v[13:16], v21 offset:784
	v_dual_add_f32 v22, v22, v140 :: v_dual_add_f32 v143, v132, v166
	ds_load_b64 v[132:133], v21 offset:816
	v_add_f32_e32 v135, v143, v135
	s_wait_loadcnt_dscnt 0x203
	v_mul_f32_e32 v143, v1, v6
	v_mul_f32_e32 v6, v2, v6
	;; [unrolled: 1-line block ×3, first 2 shown]
	v_add_f32_e32 v135, v135, v136
	s_delay_alu instid0(VALU_DEP_4) | instskip(NEXT) | instid1(VALU_DEP_4)
	v_dual_mul_f32 v8, v4, v8 :: v_dual_fmac_f32 v143, v2, v5
	v_fma_f32 v1, v1, v5, -v6
	s_delay_alu instid0(VALU_DEP_4)
	v_fmac_f32_e32 v134, v4, v7
	s_wait_loadcnt_dscnt 0x101
	v_dual_mul_f32 v136, v13, v10 :: v_dual_add_f32 v135, v135, v141
	v_fma_f32 v2, v3, v7, -v8
	v_dual_add_f32 v4, v22, v143 :: v_dual_mul_f32 v137, v15, v12
	s_wait_dscnt 0x0
	s_delay_alu instid0(VALU_DEP_3) | instskip(SKIP_1) | instid1(VALU_DEP_2)
	v_dual_mul_f32 v140, v132, v131 :: v_dual_add_f32 v135, v135, v142
	v_dual_mul_f32 v5, v16, v12 :: v_dual_fmac_f32 v136, v14, v9
	v_dual_fmac_f32 v137, v16, v11 :: v_dual_fmac_f32 v140, v133, v130
	s_delay_alu instid0(VALU_DEP_3) | instskip(NEXT) | instid1(VALU_DEP_3)
	v_add_f32_e32 v1, v135, v1
	v_fma_f32 v5, v15, v11, -v5
	s_delay_alu instid0(VALU_DEP_2) | instskip(SKIP_3) | instid1(VALU_DEP_2)
	v_add_f32_e32 v1, v1, v2
	s_wait_loadcnt 0x0
	v_dual_mul_f32 v141, v126, v18 :: v_dual_mul_f32 v142, v128, v20
	v_mul_f32_e32 v3, v14, v10
	v_dual_fmac_f32 v141, v127, v17 :: v_dual_fmac_f32 v142, v129, v19
	s_delay_alu instid0(VALU_DEP_2) | instskip(SKIP_2) | instid1(VALU_DEP_2)
	v_fma_f32 v3, v13, v9, -v3
	v_add_f32_e32 v2, v4, v134
	v_mul_f32_e32 v4, v127, v18
	v_dual_add_f32 v2, v2, v136 :: v_dual_add_f32 v1, v1, v3
	v_mul_f32_e32 v3, v129, v20
	s_delay_alu instid0(VALU_DEP_3) | instskip(NEXT) | instid1(VALU_DEP_3)
	v_fma_f32 v4, v126, v17, -v4
	v_add_f32_e32 v2, v2, v137
	s_delay_alu instid0(VALU_DEP_3) | instskip(NEXT) | instid1(VALU_DEP_2)
	v_fma_f32 v3, v128, v19, -v3
	v_add_f32_e32 v2, v2, v141
	s_delay_alu instid0(VALU_DEP_1) | instskip(NEXT) | instid1(VALU_DEP_1)
	v_dual_add_f32 v1, v1, v5 :: v_dual_add_f32 v2, v2, v142
	v_dual_mul_f32 v5, v133, v131 :: v_dual_add_f32 v2, v2, v140
	s_delay_alu instid0(VALU_DEP_2) | instskip(NEXT) | instid1(VALU_DEP_2)
	v_add_f32_e32 v1, v1, v4
	v_fma_f32 v4, v132, v130, -v5
	s_delay_alu instid0(VALU_DEP_2) | instskip(NEXT) | instid1(VALU_DEP_1)
	v_dual_sub_f32 v2, v139, v2 :: v_dual_add_f32 v1, v1, v3
	v_add_f32_e32 v1, v1, v4
	s_delay_alu instid0(VALU_DEP_1)
	v_sub_f32_e32 v1, v138, v1
	scratch_store_b64 off, v[1:2], off offset:120
	v_cmpx_lt_u32_e32 14, v0
	s_cbranch_execz .LBB114_291
; %bb.290:
	scratch_load_b64 v[1:2], off, off offset:112
	v_mov_b32_e32 v22, v21
	scratch_store_b64 off, v[21:22], off offset:112
	s_wait_loadcnt 0x0
	ds_store_b64 v23, v[1:2]
.LBB114_291:
	s_wait_alu 0xfffe
	s_or_b32 exec_lo, exec_lo, s0
	s_wait_storecnt_dscnt 0x0
	s_barrier_signal -1
	s_barrier_wait -1
	global_inv scope:SCOPE_SE
	s_clause 0x4
	scratch_load_b128 v[5:8], off, off offset:120
	scratch_load_b128 v[1:4], off, off offset:136
	scratch_load_b128 v[9:12], off, off offset:152
	scratch_load_b128 v[13:16], off, off offset:168
	scratch_load_b128 v[17:20], off, off offset:184
	ds_load_2addr_b64 v[126:129], v21 offset0:67 offset1:68
	ds_load_2addr_b64 v[130:133], v21 offset0:69 offset1:70
	;; [unrolled: 1-line block ×3, first 2 shown]
	scratch_load_b64 v[138:139], off, off offset:112
	s_mov_b32 s0, exec_lo
	s_wait_loadcnt_dscnt 0x502
	v_dual_mul_f32 v22, v127, v6 :: v_dual_mul_f32 v141, v128, v8
	v_mul_f32_e32 v140, v126, v6
	v_mul_f32_e32 v6, v129, v8
	s_wait_loadcnt_dscnt 0x300
	v_mul_f32_e32 v142, v136, v12
	v_fma_f32 v22, v126, v5, -v22
	v_dual_fmac_f32 v141, v129, v7 :: v_dual_fmac_f32 v140, v127, v5
	v_mul_f32_e32 v129, v134, v10
	v_mul_f32_e32 v127, v130, v2
	v_fma_f32 v126, v128, v7, -v6
	ds_load_2addr_b64 v[5:8], v21 offset0:73 offset1:74
	v_mul_f32_e32 v128, v132, v4
	v_dual_mul_f32 v4, v133, v4 :: v_dual_fmac_f32 v129, v135, v9
	v_mul_f32_e32 v10, v135, v10
	v_mul_f32_e32 v12, v137, v12
	;; [unrolled: 1-line block ×3, first 2 shown]
	v_dual_fmac_f32 v127, v131, v1 :: v_dual_fmac_f32 v128, v133, v3
	v_fma_f32 v131, v132, v3, -v4
	v_fma_f32 v132, v134, v9, -v10
	v_fmac_f32_e32 v142, v137, v11
	v_fma_f32 v133, v136, v11, -v12
	ds_load_2addr_b64 v[9:12], v21 offset0:75 offset1:76
	s_wait_loadcnt_dscnt 0x201
	v_dual_mul_f32 v135, v7, v16 :: v_dual_mul_f32 v134, v5, v14
	s_delay_alu instid0(VALU_DEP_1)
	v_dual_mul_f32 v14, v6, v14 :: v_dual_fmac_f32 v135, v8, v15
	v_fma_f32 v130, v130, v1, -v2
	scratch_load_b128 v[1:4], off, off offset:200
	v_mul_f32_e32 v16, v8, v16
	v_fmac_f32_e32 v134, v6, v13
	v_fma_f32 v13, v5, v13, -v14
	s_delay_alu instid0(VALU_DEP_3)
	v_fma_f32 v14, v7, v15, -v16
	s_wait_loadcnt_dscnt 0x200
	v_mul_f32_e32 v15, v9, v18
	v_mul_f32_e32 v16, v10, v18
	;; [unrolled: 1-line block ×4, first 2 shown]
	ds_load_2addr_b64 v[5:8], v21 offset0:77 offset1:78
	v_fmac_f32_e32 v15, v10, v17
	v_fma_f32 v16, v9, v17, -v16
	v_fmac_f32_e32 v18, v12, v19
	v_fma_f32 v17, v11, v19, -v20
	scratch_load_b128 v[9:12], off, off offset:216
	s_wait_loadcnt_dscnt 0x100
	v_mul_f32_e32 v19, v5, v2
	v_mul_f32_e32 v2, v6, v2
	;; [unrolled: 1-line block ×3, first 2 shown]
	s_delay_alu instid0(VALU_DEP_3) | instskip(NEXT) | instid1(VALU_DEP_3)
	v_dual_mul_f32 v4, v8, v4 :: v_dual_fmac_f32 v19, v6, v1
	v_fma_f32 v136, v5, v1, -v2
	s_delay_alu instid0(VALU_DEP_3) | instskip(NEXT) | instid1(VALU_DEP_3)
	v_fmac_f32_e32 v20, v8, v3
	v_fma_f32 v137, v7, v3, -v4
	ds_load_2addr_b64 v[1:4], v21 offset0:79 offset1:80
	ds_load_2addr_b64 v[5:8], v21 offset0:81 offset1:82
	s_wait_loadcnt_dscnt 0x1
	v_mul_f32_e32 v143, v1, v10
	v_mul_f32_e32 v10, v2, v10
	s_delay_alu instid0(VALU_DEP_2) | instskip(NEXT) | instid1(VALU_DEP_2)
	v_dual_mul_f32 v144, v3, v12 :: v_dual_fmac_f32 v143, v2, v9
	v_fma_f32 v145, v1, v9, -v10
	v_mul_f32_e32 v1, v4, v12
	s_delay_alu instid0(VALU_DEP_3) | instskip(NEXT) | instid1(VALU_DEP_2)
	v_fmac_f32_e32 v144, v4, v11
	v_fma_f32 v146, v3, v11, -v1
	s_clause 0x1
	scratch_load_b128 v[1:4], off, off offset:232
	scratch_load_b128 v[9:12], off, off offset:248
	s_wait_loadcnt_dscnt 0x100
	v_mul_f32_e32 v147, v5, v2
	v_dual_mul_f32 v2, v6, v2 :: v_dual_mul_f32 v149, v7, v4
	s_delay_alu instid0(VALU_DEP_2) | instskip(NEXT) | instid1(VALU_DEP_2)
	v_fmac_f32_e32 v147, v6, v1
	v_fma_f32 v148, v5, v1, -v2
	v_mul_f32_e32 v1, v8, v4
	s_delay_alu instid0(VALU_DEP_4) | instskip(NEXT) | instid1(VALU_DEP_2)
	v_fmac_f32_e32 v149, v8, v3
	v_fma_f32 v150, v7, v3, -v1
	ds_load_2addr_b64 v[1:4], v21 offset0:83 offset1:84
	ds_load_2addr_b64 v[5:8], v21 offset0:85 offset1:86
	s_wait_loadcnt_dscnt 0x1
	v_mul_f32_e32 v151, v1, v10
	v_mul_f32_e32 v153, v3, v12
	s_delay_alu instid0(VALU_DEP_2) | instskip(NEXT) | instid1(VALU_DEP_2)
	v_fmac_f32_e32 v151, v2, v9
	v_dual_mul_f32 v2, v2, v10 :: v_dual_fmac_f32 v153, v4, v11
	s_delay_alu instid0(VALU_DEP_1) | instskip(SKIP_1) | instid1(VALU_DEP_1)
	v_fma_f32 v152, v1, v9, -v2
	v_mul_f32_e32 v1, v4, v12
	v_fma_f32 v154, v3, v11, -v1
	s_clause 0x1
	scratch_load_b128 v[1:4], off, off offset:264
	scratch_load_b128 v[9:12], off, off offset:280
	s_wait_loadcnt_dscnt 0x100
	v_mul_f32_e32 v155, v5, v2
	v_dual_mul_f32 v2, v6, v2 :: v_dual_mul_f32 v157, v7, v4
	s_delay_alu instid0(VALU_DEP_2) | instskip(NEXT) | instid1(VALU_DEP_2)
	v_fmac_f32_e32 v155, v6, v1
	v_fma_f32 v156, v5, v1, -v2
	v_mul_f32_e32 v1, v8, v4
	s_delay_alu instid0(VALU_DEP_4) | instskip(NEXT) | instid1(VALU_DEP_2)
	v_fmac_f32_e32 v157, v8, v3
	v_fma_f32 v158, v7, v3, -v1
	ds_load_2addr_b64 v[1:4], v21 offset0:87 offset1:88
	ds_load_2addr_b64 v[5:8], v21 offset0:89 offset1:90
	s_wait_loadcnt_dscnt 0x1
	v_mul_f32_e32 v159, v1, v10
	v_mul_f32_e32 v161, v3, v12
	s_delay_alu instid0(VALU_DEP_2) | instskip(NEXT) | instid1(VALU_DEP_2)
	v_fmac_f32_e32 v159, v2, v9
	v_dual_mul_f32 v2, v2, v10 :: v_dual_fmac_f32 v161, v4, v11
	s_delay_alu instid0(VALU_DEP_1) | instskip(SKIP_1) | instid1(VALU_DEP_1)
	v_fma_f32 v160, v1, v9, -v2
	v_mul_f32_e32 v1, v4, v12
	;; [unrolled: 25-line block ×3, first 2 shown]
	v_fma_f32 v170, v3, v11, -v1
	s_clause 0x1
	scratch_load_b128 v[1:4], off, off offset:328
	scratch_load_b128 v[9:12], off, off offset:344
	s_wait_loadcnt_dscnt 0x100
	v_mul_f32_e32 v171, v5, v2
	v_mul_f32_e32 v2, v6, v2
	s_delay_alu instid0(VALU_DEP_1) | instskip(SKIP_1) | instid1(VALU_DEP_1)
	v_fma_f32 v172, v5, v1, -v2
	v_add_f32_e32 v2, 0, v140
	v_add_f32_e32 v2, v2, v141
	s_delay_alu instid0(VALU_DEP_1) | instskip(NEXT) | instid1(VALU_DEP_1)
	v_add_f32_e32 v2, v2, v127
	v_add_f32_e32 v2, v2, v128
	s_delay_alu instid0(VALU_DEP_1) | instskip(NEXT) | instid1(VALU_DEP_1)
	;; [unrolled: 3-line block ×3, first 2 shown]
	v_add_f32_e32 v2, v2, v134
	v_add_f32_e32 v2, v2, v135
	s_delay_alu instid0(VALU_DEP_1) | instskip(SKIP_1) | instid1(VALU_DEP_2)
	v_add_f32_e32 v2, v2, v15
	v_fmac_f32_e32 v171, v6, v1
	v_dual_mul_f32 v173, v7, v4 :: v_dual_add_f32 v2, v2, v18
	s_delay_alu instid0(VALU_DEP_1) | instskip(NEXT) | instid1(VALU_DEP_1)
	v_dual_mul_f32 v1, v8, v4 :: v_dual_add_f32 v2, v2, v19
	v_fma_f32 v174, v7, v3, -v1
	v_add_f32_e32 v1, 0, v22
	s_delay_alu instid0(VALU_DEP_3) | instskip(NEXT) | instid1(VALU_DEP_2)
	v_dual_fmac_f32 v173, v8, v3 :: v_dual_add_f32 v2, v2, v20
	v_add_f32_e32 v1, v1, v126
	s_delay_alu instid0(VALU_DEP_2) | instskip(NEXT) | instid1(VALU_DEP_2)
	v_add_f32_e32 v5, v2, v143
	v_add_f32_e32 v1, v1, v130
	s_delay_alu instid0(VALU_DEP_2) | instskip(NEXT) | instid1(VALU_DEP_2)
	v_add_f32_e32 v5, v5, v144
	;; [unrolled: 3-line block ×3, first 2 shown]
	v_add_f32_e32 v1, v1, v132
	s_delay_alu instid0(VALU_DEP_1) | instskip(NEXT) | instid1(VALU_DEP_1)
	v_add_f32_e32 v1, v1, v133
	v_add_f32_e32 v1, v1, v13
	s_delay_alu instid0(VALU_DEP_1) | instskip(SKIP_1) | instid1(VALU_DEP_1)
	v_add_f32_e32 v1, v1, v14
	v_add_f32_e32 v14, v5, v149
	v_add_f32_e32 v14, v14, v151
	s_delay_alu instid0(VALU_DEP_1) | instskip(NEXT) | instid1(VALU_DEP_1)
	v_dual_add_f32 v14, v14, v153 :: v_dual_add_f32 v1, v1, v16
	v_add_f32_e32 v1, v1, v17
	s_delay_alu instid0(VALU_DEP_1) | instskip(NEXT) | instid1(VALU_DEP_1)
	v_add_f32_e32 v1, v1, v136
	v_add_f32_e32 v1, v1, v137
	s_delay_alu instid0(VALU_DEP_1) | instskip(NEXT) | instid1(VALU_DEP_1)
	v_add_f32_e32 v1, v1, v145
	v_add_f32_e32 v6, v1, v146
	ds_load_2addr_b64 v[1:4], v21 offset0:95 offset1:96
	v_add_f32_e32 v6, v6, v148
	s_delay_alu instid0(VALU_DEP_1)
	v_add_f32_e32 v13, v6, v150
	ds_load_2addr_b64 v[5:8], v21 offset0:97 offset1:98
	s_wait_loadcnt_dscnt 0x1
	v_mul_f32_e32 v22, v1, v10
	v_mul_f32_e32 v130, v3, v12
	;; [unrolled: 1-line block ×4, first 2 shown]
	s_delay_alu instid0(VALU_DEP_4) | instskip(NEXT) | instid1(VALU_DEP_4)
	v_fmac_f32_e32 v22, v2, v9
	v_fmac_f32_e32 v130, v4, v11
	s_delay_alu instid0(VALU_DEP_4) | instskip(NEXT) | instid1(VALU_DEP_4)
	v_fma_f32 v131, v1, v9, -v10
	v_fma_f32 v132, v3, v11, -v12
	s_clause 0x1
	scratch_load_b128 v[1:4], off, off offset:360
	scratch_load_b128 v[9:12], off, off offset:376
	v_add_f32_e32 v13, v13, v152
	v_add_f32_e32 v17, v14, v155
	s_delay_alu instid0(VALU_DEP_1) | instskip(SKIP_3) | instid1(VALU_DEP_2)
	v_add_f32_e32 v17, v17, v157
	s_wait_loadcnt_dscnt 0x100
	v_mul_f32_e32 v135, v7, v4
	v_mul_f32_e32 v4, v8, v4
	v_fmac_f32_e32 v135, v8, v3
	v_add_f32_e32 v13, v13, v154
	s_delay_alu instid0(VALU_DEP_3) | instskip(NEXT) | instid1(VALU_DEP_2)
	v_fma_f32 v3, v7, v3, -v4
	v_add_f32_e32 v13, v13, v156
	s_delay_alu instid0(VALU_DEP_1) | instskip(SKIP_2) | instid1(VALU_DEP_1)
	v_add_f32_e32 v18, v13, v158
	scratch_load_b128 v[13:16], off, off offset:392
	v_dual_add_f32 v17, v17, v159 :: v_dual_add_f32 v18, v18, v160
	v_dual_add_f32 v17, v17, v161 :: v_dual_add_f32 v18, v18, v162
	s_delay_alu instid0(VALU_DEP_1)
	v_dual_add_f32 v127, v17, v163 :: v_dual_add_f32 v126, v18, v164
	ds_load_2addr_b64 v[17:20], v21 offset0:99 offset1:100
	v_dual_add_f32 v134, v127, v165 :: v_dual_add_f32 v133, v126, v166
	ds_load_2addr_b64 v[126:129], v21 offset0:101 offset1:102
	v_add_f32_e32 v21, v133, v168
	v_dual_add_f32 v133, v134, v167 :: v_dual_mul_f32 v134, v5, v2
	v_mul_f32_e32 v2, v6, v2
	s_delay_alu instid0(VALU_DEP_2) | instskip(NEXT) | instid1(VALU_DEP_2)
	v_dual_add_f32 v21, v21, v170 :: v_dual_fmac_f32 v134, v6, v1
	v_fma_f32 v2, v5, v1, -v2
	s_delay_alu instid0(VALU_DEP_2) | instskip(SKIP_3) | instid1(VALU_DEP_3)
	v_add_f32_e32 v21, v21, v172
	s_wait_loadcnt_dscnt 0x101
	v_mul_f32_e32 v136, v17, v10
	v_dual_add_f32 v133, v133, v169 :: v_dual_mul_f32 v6, v18, v10
	v_dual_mul_f32 v4, v20, v12 :: v_dual_add_f32 v21, v21, v174
	s_delay_alu instid0(VALU_DEP_2) | instskip(NEXT) | instid1(VALU_DEP_2)
	v_dual_fmac_f32 v136, v18, v9 :: v_dual_add_f32 v133, v133, v171
	v_fma_f32 v4, v19, v11, -v4
	s_delay_alu instid0(VALU_DEP_3) | instskip(NEXT) | instid1(VALU_DEP_3)
	v_add_f32_e32 v21, v21, v131
	v_add_f32_e32 v133, v133, v173
	s_delay_alu instid0(VALU_DEP_2) | instskip(NEXT) | instid1(VALU_DEP_2)
	v_add_f32_e32 v1, v21, v132
	v_add_f32_e32 v22, v133, v22
	s_delay_alu instid0(VALU_DEP_2) | instskip(NEXT) | instid1(VALU_DEP_2)
	v_add_f32_e32 v1, v1, v2
	v_add_f32_e32 v5, v22, v130
	v_mul_f32_e32 v137, v19, v12
	s_delay_alu instid0(VALU_DEP_3) | instskip(NEXT) | instid1(VALU_DEP_3)
	v_add_f32_e32 v1, v1, v3
	v_add_f32_e32 v2, v5, v134
	v_fma_f32 v5, v17, v9, -v6
	s_delay_alu instid0(VALU_DEP_4) | instskip(NEXT) | instid1(VALU_DEP_2)
	v_fmac_f32_e32 v137, v20, v11
	v_dual_add_f32 v2, v2, v135 :: v_dual_add_f32 v1, v1, v5
	s_delay_alu instid0(VALU_DEP_1) | instskip(NEXT) | instid1(VALU_DEP_1)
	v_add_f32_e32 v2, v2, v136
	v_dual_add_f32 v1, v1, v4 :: v_dual_add_f32 v2, v2, v137
	s_wait_loadcnt_dscnt 0x0
	v_mul_f32_e32 v140, v126, v14
	v_mul_f32_e32 v3, v127, v14
	;; [unrolled: 1-line block ×3, first 2 shown]
	s_delay_alu instid0(VALU_DEP_3) | instskip(NEXT) | instid1(VALU_DEP_3)
	v_dual_mul_f32 v5, v129, v16 :: v_dual_fmac_f32 v140, v127, v13
	v_fma_f32 v3, v126, v13, -v3
	s_delay_alu instid0(VALU_DEP_3) | instskip(NEXT) | instid1(VALU_DEP_3)
	v_fmac_f32_e32 v131, v129, v15
	v_fma_f32 v4, v128, v15, -v5
	s_delay_alu instid0(VALU_DEP_3) | instskip(NEXT) | instid1(VALU_DEP_1)
	v_dual_add_f32 v2, v2, v140 :: v_dual_add_f32 v1, v1, v3
	v_dual_add_f32 v2, v2, v131 :: v_dual_add_f32 v1, v1, v4
	s_delay_alu instid0(VALU_DEP_1)
	v_dual_sub_f32 v2, v139, v2 :: v_dual_sub_f32 v1, v138, v1
	scratch_store_b64 off, v[1:2], off offset:112
	v_cmpx_lt_u32_e32 13, v0
	s_cbranch_execz .LBB114_293
; %bb.292:
	scratch_load_b64 v[1:2], off, off offset:104
	v_mov_b32_e32 v3, 0
	s_delay_alu instid0(VALU_DEP_1)
	v_mov_b32_e32 v4, v3
	scratch_store_b64 off, v[3:4], off offset:104
	s_wait_loadcnt 0x0
	ds_store_b64 v23, v[1:2]
.LBB114_293:
	s_wait_alu 0xfffe
	s_or_b32 exec_lo, exec_lo, s0
	s_wait_storecnt_dscnt 0x0
	s_barrier_signal -1
	s_barrier_wait -1
	global_inv scope:SCOPE_SE
	s_clause 0x4
	scratch_load_b128 v[5:8], off, off offset:112
	scratch_load_b128 v[1:4], off, off offset:128
	;; [unrolled: 1-line block ×5, first 2 shown]
	v_mov_b32_e32 v21, 0
	ds_load_b128 v[126:129], v21 offset:528
	ds_load_b128 v[130:133], v21 offset:544
	;; [unrolled: 1-line block ×3, first 2 shown]
	scratch_load_b64 v[138:139], off, off offset:104
	s_mov_b32 s0, exec_lo
	s_wait_loadcnt_dscnt 0x502
	v_mul_f32_e32 v22, v127, v6
	v_dual_mul_f32 v140, v126, v6 :: v_dual_mul_f32 v141, v128, v8
	v_mul_f32_e32 v6, v129, v8
	s_delay_alu instid0(VALU_DEP_3) | instskip(NEXT) | instid1(VALU_DEP_3)
	v_fma_f32 v22, v126, v5, -v22
	v_dual_fmac_f32 v140, v127, v5 :: v_dual_fmac_f32 v141, v129, v7
	s_wait_loadcnt_dscnt 0x401
	v_mul_f32_e32 v127, v130, v2
	v_fma_f32 v126, v128, v7, -v6
	ds_load_b128 v[5:8], v21 offset:576
	s_wait_loadcnt_dscnt 0x301
	v_dual_mul_f32 v128, v132, v4 :: v_dual_mul_f32 v129, v134, v10
	v_dual_mul_f32 v4, v133, v4 :: v_dual_fmac_f32 v127, v131, v1
	v_mul_f32_e32 v10, v135, v10
	s_delay_alu instid0(VALU_DEP_3)
	v_dual_mul_f32 v142, v136, v12 :: v_dual_fmac_f32 v129, v135, v9
	v_mul_f32_e32 v12, v137, v12
	v_mul_f32_e32 v2, v131, v2
	v_fmac_f32_e32 v128, v133, v3
	v_fma_f32 v131, v132, v3, -v4
	v_fma_f32 v132, v134, v9, -v10
	v_fmac_f32_e32 v142, v137, v11
	v_fma_f32 v133, v136, v11, -v12
	ds_load_b128 v[9:12], v21 offset:592
	s_wait_loadcnt_dscnt 0x201
	v_dual_mul_f32 v135, v7, v16 :: v_dual_mul_f32 v134, v5, v14
	v_mul_f32_e32 v14, v6, v14
	v_mul_f32_e32 v16, v8, v16
	s_delay_alu instid0(VALU_DEP_3)
	v_fmac_f32_e32 v135, v8, v15
	v_fma_f32 v130, v130, v1, -v2
	scratch_load_b128 v[1:4], off, off offset:192
	v_fmac_f32_e32 v134, v6, v13
	v_fma_f32 v13, v5, v13, -v14
	v_fma_f32 v14, v7, v15, -v16
	ds_load_b128 v[5:8], v21 offset:608
	s_wait_loadcnt_dscnt 0x201
	v_mul_f32_e32 v15, v9, v18
	v_mul_f32_e32 v16, v10, v18
	;; [unrolled: 1-line block ×3, first 2 shown]
	s_delay_alu instid0(VALU_DEP_3) | instskip(NEXT) | instid1(VALU_DEP_3)
	v_dual_mul_f32 v20, v12, v20 :: v_dual_fmac_f32 v15, v10, v17
	v_fma_f32 v16, v9, v17, -v16
	s_delay_alu instid0(VALU_DEP_3) | instskip(NEXT) | instid1(VALU_DEP_3)
	v_fmac_f32_e32 v18, v12, v19
	v_fma_f32 v17, v11, v19, -v20
	scratch_load_b128 v[9:12], off, off offset:208
	s_wait_loadcnt_dscnt 0x100
	v_mul_f32_e32 v19, v5, v2
	v_mul_f32_e32 v2, v6, v2
	;; [unrolled: 1-line block ×3, first 2 shown]
	s_delay_alu instid0(VALU_DEP_3) | instskip(NEXT) | instid1(VALU_DEP_3)
	v_dual_mul_f32 v4, v8, v4 :: v_dual_fmac_f32 v19, v6, v1
	v_fma_f32 v136, v5, v1, -v2
	s_delay_alu instid0(VALU_DEP_3) | instskip(NEXT) | instid1(VALU_DEP_3)
	v_fmac_f32_e32 v20, v8, v3
	v_fma_f32 v137, v7, v3, -v4
	ds_load_b128 v[1:4], v21 offset:624
	ds_load_b128 v[5:8], v21 offset:640
	s_wait_loadcnt_dscnt 0x1
	v_mul_f32_e32 v143, v1, v10
	v_mul_f32_e32 v10, v2, v10
	s_delay_alu instid0(VALU_DEP_2) | instskip(NEXT) | instid1(VALU_DEP_2)
	v_dual_mul_f32 v144, v3, v12 :: v_dual_fmac_f32 v143, v2, v9
	v_fma_f32 v145, v1, v9, -v10
	v_mul_f32_e32 v1, v4, v12
	s_delay_alu instid0(VALU_DEP_3) | instskip(NEXT) | instid1(VALU_DEP_2)
	v_fmac_f32_e32 v144, v4, v11
	v_fma_f32 v146, v3, v11, -v1
	s_clause 0x1
	scratch_load_b128 v[1:4], off, off offset:224
	scratch_load_b128 v[9:12], off, off offset:240
	s_wait_loadcnt_dscnt 0x100
	v_mul_f32_e32 v147, v5, v2
	v_dual_mul_f32 v2, v6, v2 :: v_dual_mul_f32 v149, v7, v4
	s_delay_alu instid0(VALU_DEP_2) | instskip(NEXT) | instid1(VALU_DEP_2)
	v_fmac_f32_e32 v147, v6, v1
	v_fma_f32 v148, v5, v1, -v2
	v_mul_f32_e32 v1, v8, v4
	s_delay_alu instid0(VALU_DEP_4) | instskip(NEXT) | instid1(VALU_DEP_2)
	v_fmac_f32_e32 v149, v8, v3
	v_fma_f32 v150, v7, v3, -v1
	ds_load_b128 v[1:4], v21 offset:656
	ds_load_b128 v[5:8], v21 offset:672
	s_wait_loadcnt_dscnt 0x1
	v_mul_f32_e32 v151, v1, v10
	v_mul_f32_e32 v153, v3, v12
	s_delay_alu instid0(VALU_DEP_2) | instskip(NEXT) | instid1(VALU_DEP_2)
	v_fmac_f32_e32 v151, v2, v9
	v_dual_mul_f32 v2, v2, v10 :: v_dual_fmac_f32 v153, v4, v11
	s_delay_alu instid0(VALU_DEP_1) | instskip(SKIP_1) | instid1(VALU_DEP_1)
	v_fma_f32 v152, v1, v9, -v2
	v_mul_f32_e32 v1, v4, v12
	v_fma_f32 v154, v3, v11, -v1
	s_clause 0x1
	scratch_load_b128 v[1:4], off, off offset:256
	scratch_load_b128 v[9:12], off, off offset:272
	s_wait_loadcnt_dscnt 0x100
	v_mul_f32_e32 v155, v5, v2
	v_dual_mul_f32 v157, v7, v4 :: v_dual_mul_f32 v2, v6, v2
	s_delay_alu instid0(VALU_DEP_2) | instskip(NEXT) | instid1(VALU_DEP_2)
	v_fmac_f32_e32 v155, v6, v1
	v_fmac_f32_e32 v157, v8, v3
	s_delay_alu instid0(VALU_DEP_3) | instskip(SKIP_1) | instid1(VALU_DEP_1)
	v_fma_f32 v156, v5, v1, -v2
	v_mul_f32_e32 v1, v8, v4
	v_fma_f32 v158, v7, v3, -v1
	ds_load_b128 v[1:4], v21 offset:688
	ds_load_b128 v[5:8], v21 offset:704
	s_wait_loadcnt_dscnt 0x1
	v_mul_f32_e32 v159, v1, v10
	v_mul_f32_e32 v161, v3, v12
	s_delay_alu instid0(VALU_DEP_2) | instskip(NEXT) | instid1(VALU_DEP_2)
	v_fmac_f32_e32 v159, v2, v9
	v_dual_mul_f32 v2, v2, v10 :: v_dual_fmac_f32 v161, v4, v11
	s_delay_alu instid0(VALU_DEP_1) | instskip(SKIP_1) | instid1(VALU_DEP_1)
	v_fma_f32 v160, v1, v9, -v2
	v_mul_f32_e32 v1, v4, v12
	v_fma_f32 v162, v3, v11, -v1
	s_clause 0x1
	scratch_load_b128 v[1:4], off, off offset:288
	scratch_load_b128 v[9:12], off, off offset:304
	s_wait_loadcnt_dscnt 0x100
	v_mul_f32_e32 v163, v5, v2
	v_dual_mul_f32 v2, v6, v2 :: v_dual_mul_f32 v165, v7, v4
	s_delay_alu instid0(VALU_DEP_2) | instskip(NEXT) | instid1(VALU_DEP_2)
	v_fmac_f32_e32 v163, v6, v1
	v_fma_f32 v164, v5, v1, -v2
	v_mul_f32_e32 v1, v8, v4
	s_delay_alu instid0(VALU_DEP_4) | instskip(NEXT) | instid1(VALU_DEP_2)
	v_fmac_f32_e32 v165, v8, v3
	v_fma_f32 v166, v7, v3, -v1
	ds_load_b128 v[1:4], v21 offset:720
	ds_load_b128 v[5:8], v21 offset:736
	s_wait_loadcnt_dscnt 0x1
	v_mul_f32_e32 v167, v1, v10
	v_mul_f32_e32 v169, v3, v12
	s_delay_alu instid0(VALU_DEP_2) | instskip(NEXT) | instid1(VALU_DEP_2)
	v_fmac_f32_e32 v167, v2, v9
	v_dual_mul_f32 v2, v2, v10 :: v_dual_fmac_f32 v169, v4, v11
	s_delay_alu instid0(VALU_DEP_1) | instskip(SKIP_1) | instid1(VALU_DEP_1)
	v_fma_f32 v168, v1, v9, -v2
	v_mul_f32_e32 v1, v4, v12
	v_fma_f32 v170, v3, v11, -v1
	s_clause 0x1
	scratch_load_b128 v[1:4], off, off offset:320
	scratch_load_b128 v[9:12], off, off offset:336
	s_wait_loadcnt_dscnt 0x100
	v_mul_f32_e32 v171, v5, v2
	v_mul_f32_e32 v2, v6, v2
	s_delay_alu instid0(VALU_DEP_1) | instskip(SKIP_1) | instid1(VALU_DEP_1)
	v_fma_f32 v172, v5, v1, -v2
	v_add_f32_e32 v2, 0, v140
	v_add_f32_e32 v2, v2, v141
	s_delay_alu instid0(VALU_DEP_1) | instskip(NEXT) | instid1(VALU_DEP_1)
	v_add_f32_e32 v2, v2, v127
	v_add_f32_e32 v2, v2, v128
	s_delay_alu instid0(VALU_DEP_1) | instskip(NEXT) | instid1(VALU_DEP_1)
	;; [unrolled: 3-line block ×4, first 2 shown]
	v_dual_add_f32 v2, v2, v15 :: v_dual_mul_f32 v173, v7, v4
	v_add_f32_e32 v2, v2, v18
	s_delay_alu instid0(VALU_DEP_1) | instskip(NEXT) | instid1(VALU_DEP_3)
	v_add_f32_e32 v2, v2, v19
	v_fmac_f32_e32 v173, v8, v3
	v_fmac_f32_e32 v171, v6, v1
	s_delay_alu instid0(VALU_DEP_3) | instskip(NEXT) | instid1(VALU_DEP_1)
	v_add_f32_e32 v2, v2, v20
	v_add_f32_e32 v5, v2, v143
	s_delay_alu instid0(VALU_DEP_1) | instskip(NEXT) | instid1(VALU_DEP_1)
	v_add_f32_e32 v5, v5, v144
	v_add_f32_e32 v5, v5, v147
	v_mul_f32_e32 v1, v8, v4
	s_delay_alu instid0(VALU_DEP_1) | instskip(SKIP_1) | instid1(VALU_DEP_1)
	v_fma_f32 v174, v7, v3, -v1
	v_add_f32_e32 v1, 0, v22
	v_add_f32_e32 v1, v1, v126
	s_delay_alu instid0(VALU_DEP_1) | instskip(NEXT) | instid1(VALU_DEP_1)
	v_add_f32_e32 v1, v1, v130
	v_add_f32_e32 v1, v1, v131
	scratch_load_b64 v[130:131], off, off offset:400
	v_add_f32_e32 v1, v1, v132
	s_delay_alu instid0(VALU_DEP_1) | instskip(NEXT) | instid1(VALU_DEP_1)
	v_add_f32_e32 v1, v1, v133
	v_add_f32_e32 v1, v1, v13
	s_delay_alu instid0(VALU_DEP_1) | instskip(SKIP_1) | instid1(VALU_DEP_1)
	v_add_f32_e32 v1, v1, v14
	v_add_f32_e32 v14, v5, v149
	;; [unrolled: 1-line block ×3, first 2 shown]
	s_delay_alu instid0(VALU_DEP_1) | instskip(NEXT) | instid1(VALU_DEP_1)
	v_dual_add_f32 v14, v14, v153 :: v_dual_add_f32 v1, v1, v16
	v_add_f32_e32 v1, v1, v17
	s_delay_alu instid0(VALU_DEP_2) | instskip(NEXT) | instid1(VALU_DEP_2)
	v_add_f32_e32 v17, v14, v155
	v_add_f32_e32 v1, v1, v136
	s_delay_alu instid0(VALU_DEP_1) | instskip(NEXT) | instid1(VALU_DEP_1)
	v_add_f32_e32 v1, v1, v137
	v_add_f32_e32 v1, v1, v145
	s_delay_alu instid0(VALU_DEP_1) | instskip(SKIP_2) | instid1(VALU_DEP_1)
	v_add_f32_e32 v6, v1, v146
	ds_load_b128 v[1:4], v21 offset:752
	v_add_f32_e32 v6, v6, v148
	v_add_f32_e32 v13, v6, v150
	ds_load_b128 v[5:8], v21 offset:768
	s_wait_loadcnt_dscnt 0x101
	v_mul_f32_e32 v22, v1, v10
	v_mul_f32_e32 v10, v2, v10
	v_mul_f32_e32 v134, v3, v12
	v_mul_f32_e32 v12, v4, v12
	s_delay_alu instid0(VALU_DEP_4) | instskip(NEXT) | instid1(VALU_DEP_4)
	v_fmac_f32_e32 v22, v2, v9
	v_fma_f32 v135, v1, v9, -v10
	s_delay_alu instid0(VALU_DEP_4) | instskip(NEXT) | instid1(VALU_DEP_4)
	v_fmac_f32_e32 v134, v4, v11
	v_fma_f32 v136, v3, v11, -v12
	s_clause 0x1
	scratch_load_b128 v[1:4], off, off offset:352
	scratch_load_b128 v[9:12], off, off offset:368
	v_add_f32_e32 v17, v17, v157
	s_delay_alu instid0(VALU_DEP_1) | instskip(SKIP_1) | instid1(VALU_DEP_1)
	v_add_f32_e32 v17, v17, v159
	s_wait_loadcnt_dscnt 0x100
	v_dual_add_f32 v17, v17, v161 :: v_dual_mul_f32 v142, v7, v4
	v_mul_f32_e32 v141, v5, v2
	v_mul_f32_e32 v2, v6, v2
	;; [unrolled: 1-line block ×3, first 2 shown]
	s_delay_alu instid0(VALU_DEP_3) | instskip(NEXT) | instid1(VALU_DEP_3)
	v_dual_fmac_f32 v142, v8, v3 :: v_dual_fmac_f32 v141, v6, v1
	v_fma_f32 v2, v5, v1, -v2
	v_add_f32_e32 v17, v17, v163
	s_delay_alu instid0(VALU_DEP_4) | instskip(NEXT) | instid1(VALU_DEP_2)
	v_fma_f32 v1, v7, v3, -v4
	v_add_f32_e32 v126, v17, v165
	s_delay_alu instid0(VALU_DEP_1) | instskip(SKIP_2) | instid1(VALU_DEP_1)
	v_add_f32_e32 v133, v126, v167
	ds_load_b128 v[126:129], v21 offset:800
	v_add_f32_e32 v140, v133, v169
	v_add_f32_e32 v140, v140, v171
	s_delay_alu instid0(VALU_DEP_1) | instskip(NEXT) | instid1(VALU_DEP_1)
	v_dual_add_f32 v140, v140, v173 :: v_dual_add_f32 v13, v13, v152
	v_add_f32_e32 v22, v140, v22
	s_delay_alu instid0(VALU_DEP_2) | instskip(NEXT) | instid1(VALU_DEP_1)
	v_add_f32_e32 v13, v13, v154
	v_dual_add_f32 v22, v22, v134 :: v_dual_add_f32 v13, v13, v156
	s_delay_alu instid0(VALU_DEP_1) | instskip(SKIP_2) | instid1(VALU_DEP_1)
	v_add_f32_e32 v18, v13, v158
	scratch_load_b128 v[13:16], off, off offset:384
	v_add_f32_e32 v18, v18, v160
	v_add_f32_e32 v18, v18, v162
	s_delay_alu instid0(VALU_DEP_1) | instskip(NEXT) | instid1(VALU_DEP_1)
	v_add_f32_e32 v18, v18, v164
	v_add_f32_e32 v18, v18, v166
	s_delay_alu instid0(VALU_DEP_1)
	v_add_f32_e32 v132, v18, v168
	ds_load_b128 v[17:20], v21 offset:784
	v_add_f32_e32 v137, v132, v170
	ds_load_b64 v[132:133], v21 offset:816
	s_wait_loadcnt_dscnt 0x101
	v_dual_mul_f32 v140, v19, v12 :: v_dual_mul_f32 v3, v18, v10
	s_wait_dscnt 0x0
	v_mul_f32_e32 v134, v132, v131
	s_delay_alu instid0(VALU_DEP_2) | instskip(NEXT) | instid1(VALU_DEP_3)
	v_fma_f32 v3, v17, v9, -v3
	v_fmac_f32_e32 v140, v20, v11
	s_delay_alu instid0(VALU_DEP_3) | instskip(SKIP_1) | instid1(VALU_DEP_1)
	v_fmac_f32_e32 v134, v133, v130
	v_dual_add_f32 v4, v22, v141 :: v_dual_add_f32 v137, v137, v172
	v_add_f32_e32 v137, v137, v174
	s_delay_alu instid0(VALU_DEP_1) | instskip(SKIP_1) | instid1(VALU_DEP_2)
	v_add_f32_e32 v135, v137, v135
	v_mul_f32_e32 v137, v17, v10
	v_add_f32_e32 v135, v135, v136
	s_delay_alu instid0(VALU_DEP_1) | instskip(NEXT) | instid1(VALU_DEP_1)
	v_dual_fmac_f32 v137, v18, v9 :: v_dual_add_f32 v2, v135, v2
	v_dual_add_f32 v1, v2, v1 :: v_dual_add_f32 v2, v4, v142
	s_delay_alu instid0(VALU_DEP_1) | instskip(NEXT) | instid1(VALU_DEP_1)
	v_add_f32_e32 v2, v2, v137
	v_add_f32_e32 v2, v2, v140
	s_wait_loadcnt 0x0
	v_dual_mul_f32 v136, v128, v16 :: v_dual_mul_f32 v143, v126, v14
	v_mul_f32_e32 v4, v127, v14
	s_delay_alu instid0(VALU_DEP_2) | instskip(NEXT) | instid1(VALU_DEP_2)
	v_dual_fmac_f32 v136, v129, v15 :: v_dual_fmac_f32 v143, v127, v13
	v_fma_f32 v4, v126, v13, -v4
	s_delay_alu instid0(VALU_DEP_2) | instskip(SKIP_2) | instid1(VALU_DEP_3)
	v_add_f32_e32 v2, v2, v143
	v_add_f32_e32 v1, v1, v3
	v_mul_f32_e32 v3, v129, v16
	v_add_f32_e32 v2, v2, v136
	v_mul_f32_e32 v5, v20, v12
	s_delay_alu instid0(VALU_DEP_3) | instskip(NEXT) | instid1(VALU_DEP_3)
	v_fma_f32 v3, v128, v15, -v3
	v_add_f32_e32 v2, v2, v134
	s_delay_alu instid0(VALU_DEP_3) | instskip(NEXT) | instid1(VALU_DEP_1)
	v_fma_f32 v5, v19, v11, -v5
	v_dual_sub_f32 v2, v139, v2 :: v_dual_add_f32 v1, v1, v5
	v_mul_f32_e32 v5, v133, v131
	s_delay_alu instid0(VALU_DEP_2) | instskip(NEXT) | instid1(VALU_DEP_2)
	v_add_f32_e32 v1, v1, v4
	v_fma_f32 v4, v132, v130, -v5
	s_delay_alu instid0(VALU_DEP_2) | instskip(NEXT) | instid1(VALU_DEP_1)
	v_add_f32_e32 v1, v1, v3
	v_add_f32_e32 v1, v1, v4
	s_delay_alu instid0(VALU_DEP_1)
	v_sub_f32_e32 v1, v138, v1
	scratch_store_b64 off, v[1:2], off offset:104
	v_cmpx_lt_u32_e32 12, v0
	s_cbranch_execz .LBB114_295
; %bb.294:
	scratch_load_b64 v[1:2], off, off offset:96
	v_mov_b32_e32 v22, v21
	scratch_store_b64 off, v[21:22], off offset:96
	s_wait_loadcnt 0x0
	ds_store_b64 v23, v[1:2]
.LBB114_295:
	s_wait_alu 0xfffe
	s_or_b32 exec_lo, exec_lo, s0
	s_wait_storecnt_dscnt 0x0
	s_barrier_signal -1
	s_barrier_wait -1
	global_inv scope:SCOPE_SE
	s_clause 0x4
	scratch_load_b128 v[5:8], off, off offset:104
	scratch_load_b128 v[1:4], off, off offset:120
	;; [unrolled: 1-line block ×5, first 2 shown]
	ds_load_2addr_b64 v[126:129], v21 offset0:65 offset1:66
	ds_load_2addr_b64 v[130:133], v21 offset0:67 offset1:68
	;; [unrolled: 1-line block ×3, first 2 shown]
	scratch_load_b64 v[138:139], off, off offset:96
	s_mov_b32 s0, exec_lo
	s_wait_loadcnt_dscnt 0x502
	v_dual_mul_f32 v22, v127, v6 :: v_dual_mul_f32 v141, v128, v8
	v_mul_f32_e32 v140, v126, v6
	v_mul_f32_e32 v6, v129, v8
	s_wait_loadcnt_dscnt 0x300
	v_mul_f32_e32 v142, v136, v12
	v_fma_f32 v22, v126, v5, -v22
	v_dual_fmac_f32 v141, v129, v7 :: v_dual_fmac_f32 v140, v127, v5
	v_mul_f32_e32 v129, v134, v10
	v_mul_f32_e32 v127, v130, v2
	v_fma_f32 v126, v128, v7, -v6
	ds_load_2addr_b64 v[5:8], v21 offset0:71 offset1:72
	v_mul_f32_e32 v128, v132, v4
	v_dual_mul_f32 v4, v133, v4 :: v_dual_fmac_f32 v129, v135, v9
	v_mul_f32_e32 v10, v135, v10
	v_mul_f32_e32 v12, v137, v12
	;; [unrolled: 1-line block ×3, first 2 shown]
	v_dual_fmac_f32 v127, v131, v1 :: v_dual_fmac_f32 v128, v133, v3
	v_fma_f32 v131, v132, v3, -v4
	v_fma_f32 v132, v134, v9, -v10
	v_fmac_f32_e32 v142, v137, v11
	v_fma_f32 v133, v136, v11, -v12
	ds_load_2addr_b64 v[9:12], v21 offset0:73 offset1:74
	s_wait_loadcnt_dscnt 0x201
	v_dual_mul_f32 v135, v7, v16 :: v_dual_mul_f32 v134, v5, v14
	s_delay_alu instid0(VALU_DEP_1)
	v_dual_mul_f32 v14, v6, v14 :: v_dual_fmac_f32 v135, v8, v15
	v_fma_f32 v130, v130, v1, -v2
	scratch_load_b128 v[1:4], off, off offset:184
	v_mul_f32_e32 v16, v8, v16
	v_fmac_f32_e32 v134, v6, v13
	v_fma_f32 v13, v5, v13, -v14
	s_delay_alu instid0(VALU_DEP_3)
	v_fma_f32 v14, v7, v15, -v16
	s_wait_loadcnt_dscnt 0x200
	v_mul_f32_e32 v15, v9, v18
	v_mul_f32_e32 v16, v10, v18
	;; [unrolled: 1-line block ×4, first 2 shown]
	ds_load_2addr_b64 v[5:8], v21 offset0:75 offset1:76
	v_fmac_f32_e32 v15, v10, v17
	v_fma_f32 v16, v9, v17, -v16
	v_fmac_f32_e32 v18, v12, v19
	v_fma_f32 v17, v11, v19, -v20
	scratch_load_b128 v[9:12], off, off offset:200
	s_wait_loadcnt_dscnt 0x100
	v_mul_f32_e32 v19, v5, v2
	v_mul_f32_e32 v2, v6, v2
	;; [unrolled: 1-line block ×3, first 2 shown]
	s_delay_alu instid0(VALU_DEP_3) | instskip(NEXT) | instid1(VALU_DEP_3)
	v_dual_mul_f32 v4, v8, v4 :: v_dual_fmac_f32 v19, v6, v1
	v_fma_f32 v136, v5, v1, -v2
	s_delay_alu instid0(VALU_DEP_3) | instskip(NEXT) | instid1(VALU_DEP_3)
	v_fmac_f32_e32 v20, v8, v3
	v_fma_f32 v137, v7, v3, -v4
	ds_load_2addr_b64 v[1:4], v21 offset0:77 offset1:78
	ds_load_2addr_b64 v[5:8], v21 offset0:79 offset1:80
	s_wait_loadcnt_dscnt 0x1
	v_mul_f32_e32 v143, v1, v10
	v_mul_f32_e32 v10, v2, v10
	s_delay_alu instid0(VALU_DEP_2) | instskip(NEXT) | instid1(VALU_DEP_2)
	v_dual_mul_f32 v144, v3, v12 :: v_dual_fmac_f32 v143, v2, v9
	v_fma_f32 v145, v1, v9, -v10
	v_mul_f32_e32 v1, v4, v12
	s_delay_alu instid0(VALU_DEP_3) | instskip(NEXT) | instid1(VALU_DEP_2)
	v_fmac_f32_e32 v144, v4, v11
	v_fma_f32 v146, v3, v11, -v1
	s_clause 0x1
	scratch_load_b128 v[1:4], off, off offset:216
	scratch_load_b128 v[9:12], off, off offset:232
	s_wait_loadcnt_dscnt 0x100
	v_mul_f32_e32 v147, v5, v2
	v_dual_mul_f32 v2, v6, v2 :: v_dual_mul_f32 v149, v7, v4
	s_delay_alu instid0(VALU_DEP_2) | instskip(NEXT) | instid1(VALU_DEP_2)
	v_fmac_f32_e32 v147, v6, v1
	v_fma_f32 v148, v5, v1, -v2
	v_mul_f32_e32 v1, v8, v4
	s_delay_alu instid0(VALU_DEP_4) | instskip(NEXT) | instid1(VALU_DEP_2)
	v_fmac_f32_e32 v149, v8, v3
	v_fma_f32 v150, v7, v3, -v1
	ds_load_2addr_b64 v[1:4], v21 offset0:81 offset1:82
	ds_load_2addr_b64 v[5:8], v21 offset0:83 offset1:84
	s_wait_loadcnt_dscnt 0x1
	v_mul_f32_e32 v151, v1, v10
	v_mul_f32_e32 v153, v3, v12
	s_delay_alu instid0(VALU_DEP_2) | instskip(NEXT) | instid1(VALU_DEP_2)
	v_fmac_f32_e32 v151, v2, v9
	v_dual_mul_f32 v2, v2, v10 :: v_dual_fmac_f32 v153, v4, v11
	s_delay_alu instid0(VALU_DEP_1) | instskip(SKIP_1) | instid1(VALU_DEP_1)
	v_fma_f32 v152, v1, v9, -v2
	v_mul_f32_e32 v1, v4, v12
	v_fma_f32 v154, v3, v11, -v1
	s_clause 0x1
	scratch_load_b128 v[1:4], off, off offset:248
	scratch_load_b128 v[9:12], off, off offset:264
	s_wait_loadcnt_dscnt 0x100
	v_mul_f32_e32 v155, v5, v2
	v_dual_mul_f32 v2, v6, v2 :: v_dual_mul_f32 v157, v7, v4
	s_delay_alu instid0(VALU_DEP_2) | instskip(NEXT) | instid1(VALU_DEP_2)
	v_fmac_f32_e32 v155, v6, v1
	v_fma_f32 v156, v5, v1, -v2
	v_mul_f32_e32 v1, v8, v4
	s_delay_alu instid0(VALU_DEP_4) | instskip(NEXT) | instid1(VALU_DEP_2)
	v_fmac_f32_e32 v157, v8, v3
	v_fma_f32 v158, v7, v3, -v1
	ds_load_2addr_b64 v[1:4], v21 offset0:85 offset1:86
	ds_load_2addr_b64 v[5:8], v21 offset0:87 offset1:88
	s_wait_loadcnt_dscnt 0x1
	v_mul_f32_e32 v159, v1, v10
	v_mul_f32_e32 v161, v3, v12
	s_delay_alu instid0(VALU_DEP_2) | instskip(NEXT) | instid1(VALU_DEP_2)
	v_fmac_f32_e32 v159, v2, v9
	v_dual_mul_f32 v2, v2, v10 :: v_dual_fmac_f32 v161, v4, v11
	s_delay_alu instid0(VALU_DEP_1) | instskip(SKIP_1) | instid1(VALU_DEP_1)
	v_fma_f32 v160, v1, v9, -v2
	v_mul_f32_e32 v1, v4, v12
	;; [unrolled: 25-line block ×3, first 2 shown]
	v_fma_f32 v170, v3, v11, -v1
	s_clause 0x1
	scratch_load_b128 v[1:4], off, off offset:312
	scratch_load_b128 v[9:12], off, off offset:328
	s_wait_loadcnt_dscnt 0x100
	v_mul_f32_e32 v171, v5, v2
	v_mul_f32_e32 v2, v6, v2
	s_delay_alu instid0(VALU_DEP_1) | instskip(SKIP_1) | instid1(VALU_DEP_1)
	v_fma_f32 v172, v5, v1, -v2
	v_add_f32_e32 v2, 0, v140
	v_add_f32_e32 v2, v2, v141
	s_delay_alu instid0(VALU_DEP_1) | instskip(NEXT) | instid1(VALU_DEP_1)
	v_add_f32_e32 v2, v2, v127
	v_add_f32_e32 v2, v2, v128
	s_delay_alu instid0(VALU_DEP_1) | instskip(NEXT) | instid1(VALU_DEP_1)
	;; [unrolled: 3-line block ×3, first 2 shown]
	v_add_f32_e32 v2, v2, v134
	v_add_f32_e32 v2, v2, v135
	s_delay_alu instid0(VALU_DEP_1) | instskip(SKIP_1) | instid1(VALU_DEP_2)
	v_dual_add_f32 v2, v2, v15 :: v_dual_mul_f32 v173, v7, v4
	v_fmac_f32_e32 v171, v6, v1
	v_dual_add_f32 v2, v2, v18 :: v_dual_mul_f32 v1, v8, v4
	s_delay_alu instid0(VALU_DEP_1) | instskip(NEXT) | instid1(VALU_DEP_4)
	v_add_f32_e32 v2, v2, v19
	v_fmac_f32_e32 v173, v8, v3
	s_delay_alu instid0(VALU_DEP_3) | instskip(NEXT) | instid1(VALU_DEP_3)
	v_fma_f32 v174, v7, v3, -v1
	v_dual_add_f32 v2, v2, v20 :: v_dual_add_f32 v1, 0, v22
	s_delay_alu instid0(VALU_DEP_1) | instskip(NEXT) | instid1(VALU_DEP_1)
	v_dual_add_f32 v2, v2, v143 :: v_dual_add_f32 v1, v1, v126
	v_add_f32_e32 v5, v2, v144
	s_delay_alu instid0(VALU_DEP_2) | instskip(NEXT) | instid1(VALU_DEP_1)
	v_add_f32_e32 v1, v1, v130
	v_add_f32_e32 v1, v1, v131
	s_delay_alu instid0(VALU_DEP_1) | instskip(NEXT) | instid1(VALU_DEP_1)
	v_add_f32_e32 v1, v1, v132
	v_add_f32_e32 v1, v1, v133
	s_delay_alu instid0(VALU_DEP_1) | instskip(SKIP_1) | instid1(VALU_DEP_2)
	v_add_f32_e32 v1, v1, v13
	v_add_f32_e32 v13, v5, v147
	;; [unrolled: 1-line block ×3, first 2 shown]
	s_delay_alu instid0(VALU_DEP_2) | instskip(NEXT) | instid1(VALU_DEP_1)
	v_add_f32_e32 v13, v13, v149
	v_add_f32_e32 v13, v13, v151
	s_delay_alu instid0(VALU_DEP_1) | instskip(NEXT) | instid1(VALU_DEP_1)
	v_add_f32_e32 v18, v13, v153
	v_dual_add_f32 v18, v18, v155 :: v_dual_add_f32 v1, v1, v16
	s_delay_alu instid0(VALU_DEP_1) | instskip(NEXT) | instid1(VALU_DEP_2)
	v_add_f32_e32 v18, v18, v157
	v_add_f32_e32 v1, v1, v17
	s_delay_alu instid0(VALU_DEP_1) | instskip(NEXT) | instid1(VALU_DEP_1)
	v_add_f32_e32 v1, v1, v136
	v_add_f32_e32 v1, v1, v137
	s_delay_alu instid0(VALU_DEP_1) | instskip(NEXT) | instid1(VALU_DEP_1)
	v_add_f32_e32 v1, v1, v145
	v_add_f32_e32 v1, v1, v146
	s_delay_alu instid0(VALU_DEP_1)
	v_add_f32_e32 v6, v1, v148
	ds_load_2addr_b64 v[1:4], v21 offset0:93 offset1:94
	v_add_f32_e32 v126, v18, v159
	v_add_f32_e32 v14, v6, v150
	scratch_load_b128 v[5:8], off, off offset:344
	v_add_f32_e32 v126, v126, v161
	v_add_f32_e32 v14, v14, v152
	s_delay_alu instid0(VALU_DEP_1)
	v_add_f32_e32 v17, v14, v154
	ds_load_2addr_b64 v[13:16], v21 offset0:95 offset1:96
	s_wait_loadcnt_dscnt 0x101
	v_mul_f32_e32 v22, v1, v10
	v_mul_f32_e32 v10, v2, v10
	;; [unrolled: 1-line block ×4, first 2 shown]
	v_add_f32_e32 v126, v126, v163
	v_fmac_f32_e32 v22, v2, v9
	v_fma_f32 v131, v1, v9, -v10
	v_fmac_f32_e32 v130, v4, v11
	v_fma_f32 v132, v3, v11, -v12
	s_clause 0x1
	scratch_load_b128 v[9:12], off, off offset:376
	scratch_load_b128 v[1:4], off, off offset:360
	v_add_f32_e32 v17, v17, v156
	s_wait_loadcnt_dscnt 0x200
	v_mul_f32_e32 v133, v13, v6
	v_mul_f32_e32 v6, v14, v6
	;; [unrolled: 1-line block ×3, first 2 shown]
	s_delay_alu instid0(VALU_DEP_3) | instskip(SKIP_1) | instid1(VALU_DEP_4)
	v_dual_mul_f32 v8, v16, v8 :: v_dual_fmac_f32 v133, v14, v5
	v_add_f32_e32 v17, v17, v158
	v_fma_f32 v135, v13, v5, -v6
	s_delay_alu instid0(VALU_DEP_4) | instskip(NEXT) | instid1(VALU_DEP_4)
	v_fmac_f32_e32 v134, v16, v7
	v_fma_f32 v136, v15, v7, -v8
	ds_load_2addr_b64 v[5:8], v21 offset0:97 offset1:98
	v_add_f32_e32 v17, v17, v160
	s_delay_alu instid0(VALU_DEP_1) | instskip(SKIP_3) | instid1(VALU_DEP_1)
	v_add_f32_e32 v127, v17, v162
	scratch_load_b128 v[17:20], off, off offset:392
	v_add_f32_e32 v13, v126, v165
	v_add_f32_e32 v127, v127, v164
	;; [unrolled: 1-line block ×3, first 2 shown]
	s_delay_alu instid0(VALU_DEP_1)
	v_dual_add_f32 v126, v127, v168 :: v_dual_add_f32 v127, v13, v167
	ds_load_2addr_b64 v[13:16], v21 offset0:99 offset1:100
	v_dual_add_f32 v137, v126, v170 :: v_dual_add_f32 v140, v127, v169
	ds_load_2addr_b64 v[126:129], v21 offset0:101 offset1:102
	v_add_f32_e32 v21, v137, v172
	s_wait_loadcnt_dscnt 0x201
	v_mul_f32_e32 v141, v15, v12
	s_delay_alu instid0(VALU_DEP_1) | instskip(SKIP_2) | instid1(VALU_DEP_1)
	v_fmac_f32_e32 v141, v16, v11
	s_wait_loadcnt 0x1
	v_dual_add_f32 v137, v140, v171 :: v_dual_mul_f32 v140, v5, v2
	v_dual_mul_f32 v2, v6, v2 :: v_dual_add_f32 v137, v137, v173
	s_delay_alu instid0(VALU_DEP_2) | instskip(SKIP_2) | instid1(VALU_DEP_4)
	v_fmac_f32_e32 v140, v6, v1
	v_mul_f32_e32 v6, v14, v10
	v_add_f32_e32 v21, v21, v174
	v_fma_f32 v2, v5, v1, -v2
	v_add_f32_e32 v22, v137, v22
	v_mul_f32_e32 v137, v13, v10
	s_delay_alu instid0(VALU_DEP_2) | instskip(NEXT) | instid1(VALU_DEP_2)
	v_add_f32_e32 v22, v22, v130
	v_fmac_f32_e32 v137, v14, v9
	s_delay_alu instid0(VALU_DEP_2) | instskip(NEXT) | instid1(VALU_DEP_1)
	v_dual_add_f32 v21, v21, v131 :: v_dual_add_f32 v22, v22, v133
	v_add_f32_e32 v21, v21, v132
	s_delay_alu instid0(VALU_DEP_2) | instskip(NEXT) | instid1(VALU_DEP_2)
	v_add_f32_e32 v5, v22, v134
	v_add_f32_e32 v21, v21, v135
	s_delay_alu instid0(VALU_DEP_1) | instskip(NEXT) | instid1(VALU_DEP_1)
	v_add_f32_e32 v1, v21, v136
	v_add_f32_e32 v1, v1, v2
	s_delay_alu instid0(VALU_DEP_4)
	v_add_f32_e32 v2, v5, v140
	v_fma_f32 v5, v13, v9, -v6
	s_wait_loadcnt_dscnt 0x0
	v_mul_f32_e32 v132, v128, v20
	v_mul_f32_e32 v131, v7, v4
	;; [unrolled: 1-line block ×4, first 2 shown]
	s_delay_alu instid0(VALU_DEP_4) | instskip(NEXT) | instid1(VALU_DEP_4)
	v_fmac_f32_e32 v132, v129, v19
	v_fmac_f32_e32 v131, v8, v3
	s_delay_alu instid0(VALU_DEP_4) | instskip(SKIP_2) | instid1(VALU_DEP_4)
	v_fma_f32 v3, v7, v3, -v4
	v_mul_f32_e32 v4, v16, v12
	v_fmac_f32_e32 v130, v127, v17
	v_add_f32_e32 v2, v2, v131
	s_delay_alu instid0(VALU_DEP_4) | instskip(SKIP_2) | instid1(VALU_DEP_4)
	v_add_f32_e32 v1, v1, v3
	v_mul_f32_e32 v3, v127, v18
	v_fma_f32 v4, v15, v11, -v4
	v_add_f32_e32 v2, v2, v137
	s_delay_alu instid0(VALU_DEP_4) | instskip(SKIP_2) | instid1(VALU_DEP_3)
	v_add_f32_e32 v1, v1, v5
	v_mul_f32_e32 v5, v129, v20
	v_fma_f32 v3, v126, v17, -v3
	v_dual_add_f32 v2, v2, v141 :: v_dual_add_f32 v1, v1, v4
	s_delay_alu instid0(VALU_DEP_3) | instskip(NEXT) | instid1(VALU_DEP_2)
	v_fma_f32 v4, v128, v19, -v5
	v_dual_add_f32 v2, v2, v130 :: v_dual_add_f32 v1, v1, v3
	s_delay_alu instid0(VALU_DEP_1) | instskip(NEXT) | instid1(VALU_DEP_1)
	v_add_f32_e32 v2, v2, v132
	v_dual_add_f32 v1, v1, v4 :: v_dual_sub_f32 v2, v139, v2
	s_delay_alu instid0(VALU_DEP_1)
	v_sub_f32_e32 v1, v138, v1
	scratch_store_b64 off, v[1:2], off offset:96
	v_cmpx_lt_u32_e32 11, v0
	s_cbranch_execz .LBB114_297
; %bb.296:
	scratch_load_b64 v[1:2], off, off offset:88
	v_mov_b32_e32 v3, 0
	s_delay_alu instid0(VALU_DEP_1)
	v_mov_b32_e32 v4, v3
	scratch_store_b64 off, v[3:4], off offset:88
	s_wait_loadcnt 0x0
	ds_store_b64 v23, v[1:2]
.LBB114_297:
	s_wait_alu 0xfffe
	s_or_b32 exec_lo, exec_lo, s0
	s_wait_storecnt_dscnt 0x0
	s_barrier_signal -1
	s_barrier_wait -1
	global_inv scope:SCOPE_SE
	s_clause 0x4
	scratch_load_b128 v[5:8], off, off offset:96
	scratch_load_b128 v[1:4], off, off offset:112
	;; [unrolled: 1-line block ×5, first 2 shown]
	v_mov_b32_e32 v21, 0
	ds_load_b128 v[126:129], v21 offset:512
	ds_load_b128 v[130:133], v21 offset:528
	;; [unrolled: 1-line block ×3, first 2 shown]
	scratch_load_b64 v[138:139], off, off offset:88
	s_mov_b32 s0, exec_lo
	s_wait_loadcnt_dscnt 0x502
	v_mul_f32_e32 v22, v127, v6
	v_dual_mul_f32 v140, v126, v6 :: v_dual_mul_f32 v141, v128, v8
	v_mul_f32_e32 v6, v129, v8
	s_delay_alu instid0(VALU_DEP_3) | instskip(NEXT) | instid1(VALU_DEP_3)
	v_fma_f32 v22, v126, v5, -v22
	v_dual_fmac_f32 v140, v127, v5 :: v_dual_fmac_f32 v141, v129, v7
	s_wait_loadcnt_dscnt 0x401
	v_mul_f32_e32 v127, v130, v2
	v_fma_f32 v126, v128, v7, -v6
	ds_load_b128 v[5:8], v21 offset:560
	s_wait_loadcnt_dscnt 0x301
	v_dual_mul_f32 v128, v132, v4 :: v_dual_mul_f32 v129, v134, v10
	v_dual_mul_f32 v4, v133, v4 :: v_dual_fmac_f32 v127, v131, v1
	v_mul_f32_e32 v10, v135, v10
	s_delay_alu instid0(VALU_DEP_3)
	v_dual_mul_f32 v142, v136, v12 :: v_dual_fmac_f32 v129, v135, v9
	v_mul_f32_e32 v12, v137, v12
	v_mul_f32_e32 v2, v131, v2
	v_fmac_f32_e32 v128, v133, v3
	v_fma_f32 v131, v132, v3, -v4
	v_fma_f32 v132, v134, v9, -v10
	v_fmac_f32_e32 v142, v137, v11
	v_fma_f32 v133, v136, v11, -v12
	ds_load_b128 v[9:12], v21 offset:576
	s_wait_loadcnt_dscnt 0x201
	v_dual_mul_f32 v135, v7, v16 :: v_dual_mul_f32 v134, v5, v14
	v_mul_f32_e32 v14, v6, v14
	v_mul_f32_e32 v16, v8, v16
	s_delay_alu instid0(VALU_DEP_3)
	v_fmac_f32_e32 v135, v8, v15
	v_fma_f32 v130, v130, v1, -v2
	scratch_load_b128 v[1:4], off, off offset:176
	v_fmac_f32_e32 v134, v6, v13
	v_fma_f32 v13, v5, v13, -v14
	v_fma_f32 v14, v7, v15, -v16
	ds_load_b128 v[5:8], v21 offset:592
	s_wait_loadcnt_dscnt 0x201
	v_mul_f32_e32 v15, v9, v18
	v_mul_f32_e32 v16, v10, v18
	;; [unrolled: 1-line block ×3, first 2 shown]
	s_delay_alu instid0(VALU_DEP_3) | instskip(NEXT) | instid1(VALU_DEP_3)
	v_dual_mul_f32 v20, v12, v20 :: v_dual_fmac_f32 v15, v10, v17
	v_fma_f32 v16, v9, v17, -v16
	s_delay_alu instid0(VALU_DEP_3) | instskip(NEXT) | instid1(VALU_DEP_3)
	v_fmac_f32_e32 v18, v12, v19
	v_fma_f32 v17, v11, v19, -v20
	scratch_load_b128 v[9:12], off, off offset:192
	s_wait_loadcnt_dscnt 0x100
	v_mul_f32_e32 v19, v5, v2
	v_mul_f32_e32 v2, v6, v2
	;; [unrolled: 1-line block ×3, first 2 shown]
	s_delay_alu instid0(VALU_DEP_3) | instskip(NEXT) | instid1(VALU_DEP_3)
	v_dual_mul_f32 v4, v8, v4 :: v_dual_fmac_f32 v19, v6, v1
	v_fma_f32 v136, v5, v1, -v2
	s_delay_alu instid0(VALU_DEP_3) | instskip(NEXT) | instid1(VALU_DEP_3)
	v_fmac_f32_e32 v20, v8, v3
	v_fma_f32 v137, v7, v3, -v4
	ds_load_b128 v[1:4], v21 offset:608
	ds_load_b128 v[5:8], v21 offset:624
	s_wait_loadcnt_dscnt 0x1
	v_mul_f32_e32 v143, v1, v10
	v_mul_f32_e32 v10, v2, v10
	s_delay_alu instid0(VALU_DEP_2) | instskip(NEXT) | instid1(VALU_DEP_2)
	v_dual_mul_f32 v144, v3, v12 :: v_dual_fmac_f32 v143, v2, v9
	v_fma_f32 v145, v1, v9, -v10
	v_mul_f32_e32 v1, v4, v12
	s_delay_alu instid0(VALU_DEP_3) | instskip(NEXT) | instid1(VALU_DEP_2)
	v_fmac_f32_e32 v144, v4, v11
	v_fma_f32 v146, v3, v11, -v1
	s_clause 0x1
	scratch_load_b128 v[1:4], off, off offset:208
	scratch_load_b128 v[9:12], off, off offset:224
	s_wait_loadcnt_dscnt 0x100
	v_mul_f32_e32 v147, v5, v2
	v_dual_mul_f32 v2, v6, v2 :: v_dual_mul_f32 v149, v7, v4
	s_delay_alu instid0(VALU_DEP_2) | instskip(NEXT) | instid1(VALU_DEP_2)
	v_fmac_f32_e32 v147, v6, v1
	v_fma_f32 v148, v5, v1, -v2
	v_mul_f32_e32 v1, v8, v4
	s_delay_alu instid0(VALU_DEP_4) | instskip(NEXT) | instid1(VALU_DEP_2)
	v_fmac_f32_e32 v149, v8, v3
	v_fma_f32 v150, v7, v3, -v1
	ds_load_b128 v[1:4], v21 offset:640
	ds_load_b128 v[5:8], v21 offset:656
	s_wait_loadcnt_dscnt 0x1
	v_mul_f32_e32 v151, v1, v10
	v_mul_f32_e32 v153, v3, v12
	s_delay_alu instid0(VALU_DEP_2) | instskip(NEXT) | instid1(VALU_DEP_2)
	v_fmac_f32_e32 v151, v2, v9
	v_dual_mul_f32 v2, v2, v10 :: v_dual_fmac_f32 v153, v4, v11
	s_delay_alu instid0(VALU_DEP_1) | instskip(SKIP_1) | instid1(VALU_DEP_1)
	v_fma_f32 v152, v1, v9, -v2
	v_mul_f32_e32 v1, v4, v12
	v_fma_f32 v154, v3, v11, -v1
	s_clause 0x1
	scratch_load_b128 v[1:4], off, off offset:240
	scratch_load_b128 v[9:12], off, off offset:256
	s_wait_loadcnt_dscnt 0x100
	v_mul_f32_e32 v155, v5, v2
	v_dual_mul_f32 v157, v7, v4 :: v_dual_mul_f32 v2, v6, v2
	s_delay_alu instid0(VALU_DEP_2) | instskip(NEXT) | instid1(VALU_DEP_2)
	v_fmac_f32_e32 v155, v6, v1
	v_fmac_f32_e32 v157, v8, v3
	s_delay_alu instid0(VALU_DEP_3) | instskip(SKIP_1) | instid1(VALU_DEP_1)
	v_fma_f32 v156, v5, v1, -v2
	v_mul_f32_e32 v1, v8, v4
	v_fma_f32 v158, v7, v3, -v1
	ds_load_b128 v[1:4], v21 offset:672
	ds_load_b128 v[5:8], v21 offset:688
	s_wait_loadcnt_dscnt 0x1
	v_mul_f32_e32 v159, v1, v10
	v_mul_f32_e32 v161, v3, v12
	s_delay_alu instid0(VALU_DEP_2) | instskip(NEXT) | instid1(VALU_DEP_2)
	v_fmac_f32_e32 v159, v2, v9
	v_dual_mul_f32 v2, v2, v10 :: v_dual_fmac_f32 v161, v4, v11
	s_delay_alu instid0(VALU_DEP_1) | instskip(SKIP_1) | instid1(VALU_DEP_1)
	v_fma_f32 v160, v1, v9, -v2
	v_mul_f32_e32 v1, v4, v12
	v_fma_f32 v162, v3, v11, -v1
	s_clause 0x1
	scratch_load_b128 v[1:4], off, off offset:272
	scratch_load_b128 v[9:12], off, off offset:288
	s_wait_loadcnt_dscnt 0x100
	v_mul_f32_e32 v163, v5, v2
	v_dual_mul_f32 v2, v6, v2 :: v_dual_mul_f32 v165, v7, v4
	s_delay_alu instid0(VALU_DEP_2) | instskip(NEXT) | instid1(VALU_DEP_2)
	v_fmac_f32_e32 v163, v6, v1
	v_fma_f32 v164, v5, v1, -v2
	v_mul_f32_e32 v1, v8, v4
	s_delay_alu instid0(VALU_DEP_4) | instskip(NEXT) | instid1(VALU_DEP_2)
	v_fmac_f32_e32 v165, v8, v3
	v_fma_f32 v166, v7, v3, -v1
	ds_load_b128 v[1:4], v21 offset:704
	ds_load_b128 v[5:8], v21 offset:720
	s_wait_loadcnt_dscnt 0x1
	v_mul_f32_e32 v167, v1, v10
	v_mul_f32_e32 v169, v3, v12
	s_delay_alu instid0(VALU_DEP_2) | instskip(NEXT) | instid1(VALU_DEP_2)
	v_fmac_f32_e32 v167, v2, v9
	v_dual_mul_f32 v2, v2, v10 :: v_dual_fmac_f32 v169, v4, v11
	s_delay_alu instid0(VALU_DEP_1) | instskip(SKIP_1) | instid1(VALU_DEP_1)
	v_fma_f32 v168, v1, v9, -v2
	v_mul_f32_e32 v1, v4, v12
	v_fma_f32 v170, v3, v11, -v1
	s_clause 0x1
	scratch_load_b128 v[1:4], off, off offset:304
	scratch_load_b128 v[9:12], off, off offset:320
	s_wait_loadcnt_dscnt 0x100
	v_mul_f32_e32 v171, v5, v2
	v_mul_f32_e32 v2, v6, v2
	s_delay_alu instid0(VALU_DEP_1) | instskip(SKIP_1) | instid1(VALU_DEP_1)
	v_fma_f32 v172, v5, v1, -v2
	v_add_f32_e32 v2, 0, v140
	v_add_f32_e32 v2, v2, v141
	s_delay_alu instid0(VALU_DEP_1) | instskip(NEXT) | instid1(VALU_DEP_1)
	v_add_f32_e32 v2, v2, v127
	v_add_f32_e32 v2, v2, v128
	s_delay_alu instid0(VALU_DEP_1) | instskip(NEXT) | instid1(VALU_DEP_1)
	;; [unrolled: 3-line block ×4, first 2 shown]
	v_dual_add_f32 v2, v2, v15 :: v_dual_mul_f32 v173, v7, v4
	v_add_f32_e32 v2, v2, v18
	s_delay_alu instid0(VALU_DEP_1) | instskip(SKIP_1) | instid1(VALU_DEP_2)
	v_add_f32_e32 v2, v2, v19
	v_fmac_f32_e32 v171, v6, v1
	v_dual_fmac_f32 v173, v8, v3 :: v_dual_add_f32 v2, v2, v20
	s_delay_alu instid0(VALU_DEP_1) | instskip(NEXT) | instid1(VALU_DEP_1)
	v_dual_mul_f32 v1, v8, v4 :: v_dual_add_f32 v2, v2, v143
	v_fma_f32 v174, v7, v3, -v1
	v_add_f32_e32 v1, 0, v22
	s_delay_alu instid0(VALU_DEP_3) | instskip(NEXT) | instid1(VALU_DEP_2)
	v_add_f32_e32 v5, v2, v144
	v_add_f32_e32 v1, v1, v126
	s_delay_alu instid0(VALU_DEP_1) | instskip(NEXT) | instid1(VALU_DEP_1)
	v_add_f32_e32 v1, v1, v130
	v_add_f32_e32 v1, v1, v131
	scratch_load_b64 v[130:131], off, off offset:400
	v_add_f32_e32 v1, v1, v132
	s_delay_alu instid0(VALU_DEP_1) | instskip(NEXT) | instid1(VALU_DEP_1)
	v_add_f32_e32 v1, v1, v133
	v_add_f32_e32 v1, v1, v13
	;; [unrolled: 1-line block ×3, first 2 shown]
	s_delay_alu instid0(VALU_DEP_1) | instskip(NEXT) | instid1(VALU_DEP_1)
	v_add_f32_e32 v13, v13, v149
	v_add_f32_e32 v13, v13, v151
	s_delay_alu instid0(VALU_DEP_1) | instskip(NEXT) | instid1(VALU_DEP_1)
	v_add_f32_e32 v18, v13, v153
	v_dual_add_f32 v18, v18, v155 :: v_dual_add_f32 v1, v1, v14
	s_delay_alu instid0(VALU_DEP_1) | instskip(NEXT) | instid1(VALU_DEP_1)
	v_dual_add_f32 v18, v18, v157 :: v_dual_add_f32 v1, v1, v16
	v_add_f32_e32 v1, v1, v17
	s_delay_alu instid0(VALU_DEP_1) | instskip(NEXT) | instid1(VALU_DEP_1)
	v_add_f32_e32 v1, v1, v136
	v_add_f32_e32 v1, v1, v137
	s_delay_alu instid0(VALU_DEP_1) | instskip(NEXT) | instid1(VALU_DEP_1)
	v_add_f32_e32 v1, v1, v145
	v_add_f32_e32 v1, v1, v146
	s_delay_alu instid0(VALU_DEP_1)
	v_add_f32_e32 v6, v1, v148
	scratch_load_b128 v[1:4], off, off offset:336
	v_add_f32_e32 v126, v18, v159
	v_add_f32_e32 v14, v6, v150
	ds_load_b128 v[5:8], v21 offset:736
	v_add_f32_e32 v126, v126, v161
	v_add_f32_e32 v14, v14, v152
	s_delay_alu instid0(VALU_DEP_1)
	v_add_f32_e32 v17, v14, v154
	ds_load_b128 v[13:16], v21 offset:752
	s_wait_loadcnt_dscnt 0x201
	v_mul_f32_e32 v22, v5, v10
	v_mul_f32_e32 v10, v6, v10
	;; [unrolled: 1-line block ×4, first 2 shown]
	v_add_f32_e32 v126, v126, v163
	v_fmac_f32_e32 v22, v6, v9
	v_fma_f32 v135, v5, v9, -v10
	v_fmac_f32_e32 v134, v8, v11
	v_fma_f32 v136, v7, v11, -v12
	scratch_load_b128 v[5:8], off, off offset:352
	v_add_f32_e32 v126, v126, v165
	scratch_load_b128 v[9:12], off, off offset:368
	s_wait_loadcnt_dscnt 0x200
	v_mul_f32_e32 v137, v13, v2
	v_mul_f32_e32 v2, v14, v2
	;; [unrolled: 1-line block ×3, first 2 shown]
	s_delay_alu instid0(VALU_DEP_3) | instskip(NEXT) | instid1(VALU_DEP_3)
	v_dual_mul_f32 v4, v16, v4 :: v_dual_fmac_f32 v137, v14, v1
	v_fma_f32 v141, v13, v1, -v2
	v_add_f32_e32 v13, v126, v167
	s_delay_alu instid0(VALU_DEP_4) | instskip(NEXT) | instid1(VALU_DEP_4)
	v_fmac_f32_e32 v140, v16, v3
	v_fma_f32 v142, v15, v3, -v4
	ds_load_b128 v[1:4], v21 offset:768
	v_add_f32_e32 v126, v13, v169
	s_delay_alu instid0(VALU_DEP_1) | instskip(NEXT) | instid1(VALU_DEP_1)
	v_add_f32_e32 v133, v126, v171
	v_add_f32_e32 v144, v133, v173
	s_delay_alu instid0(VALU_DEP_1) | instskip(NEXT) | instid1(VALU_DEP_1)
	v_dual_add_f32 v17, v17, v156 :: v_dual_add_f32 v22, v144, v22
	v_add_f32_e32 v17, v17, v158
	s_delay_alu instid0(VALU_DEP_1) | instskip(NEXT) | instid1(VALU_DEP_1)
	v_dual_add_f32 v22, v22, v134 :: v_dual_add_f32 v17, v17, v160
	v_dual_add_f32 v22, v22, v137 :: v_dual_add_f32 v127, v17, v162
	scratch_load_b128 v[17:20], off, off offset:384
	v_add_f32_e32 v22, v22, v140
	v_add_f32_e32 v127, v127, v164
	s_delay_alu instid0(VALU_DEP_1) | instskip(NEXT) | instid1(VALU_DEP_1)
	v_add_f32_e32 v127, v127, v166
	v_add_f32_e32 v127, v127, v168
	s_delay_alu instid0(VALU_DEP_1)
	v_add_f32_e32 v14, v127, v170
	ds_load_b128 v[126:129], v21 offset:800
	v_add_f32_e32 v132, v14, v172
	ds_load_b128 v[13:16], v21 offset:784
	s_wait_loadcnt_dscnt 0x202
	v_mul_f32_e32 v134, v3, v8
	v_mul_f32_e32 v8, v4, v8
	v_add_f32_e32 v143, v132, v174
	ds_load_b64 v[132:133], v21 offset:816
	v_fmac_f32_e32 v134, v4, v7
	v_add_f32_e32 v135, v143, v135
	v_mul_f32_e32 v143, v1, v6
	v_mul_f32_e32 v6, v2, v6
	s_delay_alu instid0(VALU_DEP_2) | instskip(NEXT) | instid1(VALU_DEP_4)
	v_fmac_f32_e32 v143, v2, v5
	v_add_f32_e32 v135, v135, v136
	s_delay_alu instid0(VALU_DEP_3)
	v_fma_f32 v1, v1, v5, -v6
	v_fma_f32 v2, v3, v7, -v8
	s_wait_loadcnt_dscnt 0x101
	v_mul_f32_e32 v136, v13, v10
	v_add_f32_e32 v4, v22, v143
	v_mul_f32_e32 v3, v14, v10
	s_delay_alu instid0(VALU_DEP_3) | instskip(SKIP_2) | instid1(VALU_DEP_3)
	v_fmac_f32_e32 v136, v14, v9
	s_wait_dscnt 0x0
	v_dual_add_f32 v135, v135, v141 :: v_dual_mul_f32 v140, v132, v131
	v_fma_f32 v3, v13, v9, -v3
	s_delay_alu instid0(VALU_DEP_2) | instskip(NEXT) | instid1(VALU_DEP_1)
	v_add_f32_e32 v135, v135, v142
	v_dual_fmac_f32 v140, v133, v130 :: v_dual_add_f32 v1, v135, v1
	s_delay_alu instid0(VALU_DEP_1) | instskip(SKIP_1) | instid1(VALU_DEP_1)
	v_add_f32_e32 v1, v1, v2
	v_add_f32_e32 v2, v4, v134
	;; [unrolled: 1-line block ×3, first 2 shown]
	s_wait_loadcnt 0x0
	v_mul_f32_e32 v142, v128, v20
	v_mul_f32_e32 v137, v15, v12
	;; [unrolled: 1-line block ×4, first 2 shown]
	s_delay_alu instid0(VALU_DEP_4) | instskip(NEXT) | instid1(VALU_DEP_4)
	v_fmac_f32_e32 v142, v129, v19
	v_fmac_f32_e32 v137, v16, v11
	s_delay_alu instid0(VALU_DEP_4) | instskip(NEXT) | instid1(VALU_DEP_4)
	v_fmac_f32_e32 v141, v127, v17
	v_fma_f32 v4, v126, v17, -v4
	s_delay_alu instid0(VALU_DEP_3) | instskip(NEXT) | instid1(VALU_DEP_1)
	v_dual_add_f32 v2, v2, v137 :: v_dual_mul_f32 v5, v16, v12
	v_add_f32_e32 v2, v2, v141
	s_delay_alu instid0(VALU_DEP_2) | instskip(NEXT) | instid1(VALU_DEP_2)
	v_fma_f32 v5, v15, v11, -v5
	v_add_f32_e32 v2, v2, v142
	s_delay_alu instid0(VALU_DEP_1) | instskip(NEXT) | instid1(VALU_DEP_1)
	v_dual_add_f32 v2, v2, v140 :: v_dual_add_f32 v1, v1, v3
	v_dual_mul_f32 v3, v129, v20 :: v_dual_sub_f32 v2, v139, v2
	s_delay_alu instid0(VALU_DEP_2) | instskip(SKIP_1) | instid1(VALU_DEP_3)
	v_add_f32_e32 v1, v1, v5
	v_mul_f32_e32 v5, v133, v131
	v_fma_f32 v3, v128, v19, -v3
	s_delay_alu instid0(VALU_DEP_3) | instskip(NEXT) | instid1(VALU_DEP_3)
	v_add_f32_e32 v1, v1, v4
	v_fma_f32 v4, v132, v130, -v5
	s_delay_alu instid0(VALU_DEP_2) | instskip(NEXT) | instid1(VALU_DEP_1)
	v_add_f32_e32 v1, v1, v3
	v_add_f32_e32 v1, v1, v4
	s_delay_alu instid0(VALU_DEP_1)
	v_sub_f32_e32 v1, v138, v1
	scratch_store_b64 off, v[1:2], off offset:88
	v_cmpx_lt_u32_e32 10, v0
	s_cbranch_execz .LBB114_299
; %bb.298:
	scratch_load_b64 v[1:2], off, off offset:80
	v_mov_b32_e32 v22, v21
	scratch_store_b64 off, v[21:22], off offset:80
	s_wait_loadcnt 0x0
	ds_store_b64 v23, v[1:2]
.LBB114_299:
	s_wait_alu 0xfffe
	s_or_b32 exec_lo, exec_lo, s0
	s_wait_storecnt_dscnt 0x0
	s_barrier_signal -1
	s_barrier_wait -1
	global_inv scope:SCOPE_SE
	s_clause 0x4
	scratch_load_b128 v[5:8], off, off offset:88
	scratch_load_b128 v[1:4], off, off offset:104
	;; [unrolled: 1-line block ×5, first 2 shown]
	ds_load_2addr_b64 v[126:129], v21 offset0:63 offset1:64
	ds_load_2addr_b64 v[130:133], v21 offset0:65 offset1:66
	;; [unrolled: 1-line block ×3, first 2 shown]
	scratch_load_b64 v[138:139], off, off offset:80
	s_mov_b32 s0, exec_lo
	s_wait_loadcnt_dscnt 0x502
	v_dual_mul_f32 v22, v127, v6 :: v_dual_mul_f32 v141, v128, v8
	v_mul_f32_e32 v140, v126, v6
	v_mul_f32_e32 v6, v129, v8
	s_wait_loadcnt_dscnt 0x300
	v_mul_f32_e32 v142, v136, v12
	v_fma_f32 v22, v126, v5, -v22
	v_dual_fmac_f32 v141, v129, v7 :: v_dual_fmac_f32 v140, v127, v5
	v_mul_f32_e32 v129, v134, v10
	v_mul_f32_e32 v127, v130, v2
	v_fma_f32 v126, v128, v7, -v6
	ds_load_2addr_b64 v[5:8], v21 offset0:69 offset1:70
	v_mul_f32_e32 v128, v132, v4
	v_dual_mul_f32 v4, v133, v4 :: v_dual_fmac_f32 v129, v135, v9
	v_mul_f32_e32 v10, v135, v10
	v_mul_f32_e32 v12, v137, v12
	;; [unrolled: 1-line block ×3, first 2 shown]
	v_dual_fmac_f32 v127, v131, v1 :: v_dual_fmac_f32 v128, v133, v3
	v_fma_f32 v131, v132, v3, -v4
	v_fma_f32 v132, v134, v9, -v10
	v_fmac_f32_e32 v142, v137, v11
	v_fma_f32 v133, v136, v11, -v12
	ds_load_2addr_b64 v[9:12], v21 offset0:71 offset1:72
	s_wait_loadcnt_dscnt 0x201
	v_dual_mul_f32 v135, v7, v16 :: v_dual_mul_f32 v134, v5, v14
	s_delay_alu instid0(VALU_DEP_1)
	v_dual_mul_f32 v14, v6, v14 :: v_dual_fmac_f32 v135, v8, v15
	v_fma_f32 v130, v130, v1, -v2
	scratch_load_b128 v[1:4], off, off offset:168
	v_mul_f32_e32 v16, v8, v16
	v_fmac_f32_e32 v134, v6, v13
	v_fma_f32 v13, v5, v13, -v14
	s_delay_alu instid0(VALU_DEP_3)
	v_fma_f32 v14, v7, v15, -v16
	s_wait_loadcnt_dscnt 0x200
	v_mul_f32_e32 v15, v9, v18
	v_mul_f32_e32 v16, v10, v18
	;; [unrolled: 1-line block ×4, first 2 shown]
	ds_load_2addr_b64 v[5:8], v21 offset0:73 offset1:74
	v_fmac_f32_e32 v15, v10, v17
	v_fma_f32 v16, v9, v17, -v16
	v_fmac_f32_e32 v18, v12, v19
	v_fma_f32 v17, v11, v19, -v20
	scratch_load_b128 v[9:12], off, off offset:184
	s_wait_loadcnt_dscnt 0x100
	v_mul_f32_e32 v19, v5, v2
	v_mul_f32_e32 v2, v6, v2
	;; [unrolled: 1-line block ×3, first 2 shown]
	s_delay_alu instid0(VALU_DEP_3) | instskip(NEXT) | instid1(VALU_DEP_3)
	v_dual_mul_f32 v4, v8, v4 :: v_dual_fmac_f32 v19, v6, v1
	v_fma_f32 v136, v5, v1, -v2
	s_delay_alu instid0(VALU_DEP_3) | instskip(NEXT) | instid1(VALU_DEP_3)
	v_fmac_f32_e32 v20, v8, v3
	v_fma_f32 v137, v7, v3, -v4
	ds_load_2addr_b64 v[1:4], v21 offset0:75 offset1:76
	ds_load_2addr_b64 v[5:8], v21 offset0:77 offset1:78
	s_wait_loadcnt_dscnt 0x1
	v_mul_f32_e32 v143, v1, v10
	v_mul_f32_e32 v10, v2, v10
	s_delay_alu instid0(VALU_DEP_2) | instskip(NEXT) | instid1(VALU_DEP_2)
	v_dual_mul_f32 v144, v3, v12 :: v_dual_fmac_f32 v143, v2, v9
	v_fma_f32 v145, v1, v9, -v10
	v_mul_f32_e32 v1, v4, v12
	s_delay_alu instid0(VALU_DEP_3) | instskip(NEXT) | instid1(VALU_DEP_2)
	v_fmac_f32_e32 v144, v4, v11
	v_fma_f32 v146, v3, v11, -v1
	s_clause 0x1
	scratch_load_b128 v[1:4], off, off offset:200
	scratch_load_b128 v[9:12], off, off offset:216
	s_wait_loadcnt_dscnt 0x100
	v_mul_f32_e32 v147, v5, v2
	v_dual_mul_f32 v2, v6, v2 :: v_dual_mul_f32 v149, v7, v4
	s_delay_alu instid0(VALU_DEP_2) | instskip(NEXT) | instid1(VALU_DEP_2)
	v_fmac_f32_e32 v147, v6, v1
	v_fma_f32 v148, v5, v1, -v2
	v_mul_f32_e32 v1, v8, v4
	s_delay_alu instid0(VALU_DEP_4) | instskip(NEXT) | instid1(VALU_DEP_2)
	v_fmac_f32_e32 v149, v8, v3
	v_fma_f32 v150, v7, v3, -v1
	ds_load_2addr_b64 v[1:4], v21 offset0:79 offset1:80
	ds_load_2addr_b64 v[5:8], v21 offset0:81 offset1:82
	s_wait_loadcnt_dscnt 0x1
	v_mul_f32_e32 v151, v1, v10
	v_mul_f32_e32 v153, v3, v12
	s_delay_alu instid0(VALU_DEP_2) | instskip(NEXT) | instid1(VALU_DEP_2)
	v_fmac_f32_e32 v151, v2, v9
	v_dual_mul_f32 v2, v2, v10 :: v_dual_fmac_f32 v153, v4, v11
	s_delay_alu instid0(VALU_DEP_1) | instskip(SKIP_1) | instid1(VALU_DEP_1)
	v_fma_f32 v152, v1, v9, -v2
	v_mul_f32_e32 v1, v4, v12
	v_fma_f32 v154, v3, v11, -v1
	s_clause 0x1
	scratch_load_b128 v[1:4], off, off offset:232
	scratch_load_b128 v[9:12], off, off offset:248
	s_wait_loadcnt_dscnt 0x100
	v_mul_f32_e32 v155, v5, v2
	v_dual_mul_f32 v2, v6, v2 :: v_dual_mul_f32 v157, v7, v4
	s_delay_alu instid0(VALU_DEP_2) | instskip(NEXT) | instid1(VALU_DEP_2)
	v_fmac_f32_e32 v155, v6, v1
	v_fma_f32 v156, v5, v1, -v2
	v_mul_f32_e32 v1, v8, v4
	s_delay_alu instid0(VALU_DEP_4) | instskip(NEXT) | instid1(VALU_DEP_2)
	v_fmac_f32_e32 v157, v8, v3
	v_fma_f32 v158, v7, v3, -v1
	ds_load_2addr_b64 v[1:4], v21 offset0:83 offset1:84
	ds_load_2addr_b64 v[5:8], v21 offset0:85 offset1:86
	s_wait_loadcnt_dscnt 0x1
	v_mul_f32_e32 v159, v1, v10
	v_mul_f32_e32 v161, v3, v12
	s_delay_alu instid0(VALU_DEP_2) | instskip(NEXT) | instid1(VALU_DEP_2)
	v_fmac_f32_e32 v159, v2, v9
	v_dual_mul_f32 v2, v2, v10 :: v_dual_fmac_f32 v161, v4, v11
	s_delay_alu instid0(VALU_DEP_1) | instskip(SKIP_1) | instid1(VALU_DEP_1)
	v_fma_f32 v160, v1, v9, -v2
	v_mul_f32_e32 v1, v4, v12
	;; [unrolled: 25-line block ×4, first 2 shown]
	v_fma_f32 v178, v3, v11, -v1
	s_clause 0x1
	scratch_load_b128 v[1:4], off, off offset:328
	scratch_load_b128 v[9:12], off, off offset:344
	s_wait_loadcnt_dscnt 0x100
	v_mul_f32_e32 v179, v5, v2
	v_mul_f32_e32 v2, v6, v2
	s_delay_alu instid0(VALU_DEP_1) | instskip(SKIP_1) | instid1(VALU_DEP_1)
	v_fma_f32 v180, v5, v1, -v2
	v_add_f32_e32 v2, 0, v140
	v_add_f32_e32 v2, v2, v141
	s_delay_alu instid0(VALU_DEP_1) | instskip(NEXT) | instid1(VALU_DEP_1)
	v_add_f32_e32 v2, v2, v127
	v_add_f32_e32 v2, v2, v128
	s_delay_alu instid0(VALU_DEP_1) | instskip(NEXT) | instid1(VALU_DEP_1)
	;; [unrolled: 3-line block ×6, first 2 shown]
	v_add_f32_e32 v2, v2, v143
	v_add_f32_e32 v2, v2, v144
	v_fmac_f32_e32 v179, v6, v1
	s_delay_alu instid0(VALU_DEP_2) | instskip(NEXT) | instid1(VALU_DEP_1)
	v_dual_add_f32 v2, v2, v147 :: v_dual_mul_f32 v181, v7, v4
	v_add_f32_e32 v2, v2, v149
	s_delay_alu instid0(VALU_DEP_1) | instskip(NEXT) | instid1(VALU_DEP_1)
	v_add_f32_e32 v5, v2, v151
	v_add_f32_e32 v5, v5, v153
	s_delay_alu instid0(VALU_DEP_1) | instskip(SKIP_1) | instid1(VALU_DEP_1)
	v_add_f32_e32 v5, v5, v155
	v_mul_f32_e32 v1, v8, v4
	v_fma_f32 v182, v7, v3, -v1
	v_add_f32_e32 v1, 0, v22
	s_delay_alu instid0(VALU_DEP_1) | instskip(NEXT) | instid1(VALU_DEP_1)
	v_add_f32_e32 v1, v1, v126
	v_add_f32_e32 v1, v1, v130
	s_delay_alu instid0(VALU_DEP_1) | instskip(NEXT) | instid1(VALU_DEP_1)
	v_add_f32_e32 v1, v1, v131
	;; [unrolled: 3-line block ×3, first 2 shown]
	v_add_f32_e32 v1, v1, v13
	s_delay_alu instid0(VALU_DEP_1) | instskip(SKIP_1) | instid1(VALU_DEP_2)
	v_add_f32_e32 v1, v1, v14
	v_add_f32_e32 v14, v5, v157
	;; [unrolled: 1-line block ×3, first 2 shown]
	s_delay_alu instid0(VALU_DEP_1) | instskip(NEXT) | instid1(VALU_DEP_1)
	v_add_f32_e32 v1, v1, v17
	v_add_f32_e32 v1, v1, v136
	s_delay_alu instid0(VALU_DEP_1) | instskip(NEXT) | instid1(VALU_DEP_1)
	v_add_f32_e32 v1, v1, v137
	v_add_f32_e32 v1, v1, v145
	;; [unrolled: 3-line block ×4, first 2 shown]
	s_delay_alu instid0(VALU_DEP_1) | instskip(SKIP_3) | instid1(VALU_DEP_2)
	v_dual_add_f32 v6, v1, v154 :: v_dual_fmac_f32 v181, v8, v3
	ds_load_2addr_b64 v[1:4], v21 offset0:95 offset1:96
	v_add_f32_e32 v14, v14, v159
	v_add_f32_e32 v6, v6, v156
	;; [unrolled: 1-line block ×3, first 2 shown]
	s_delay_alu instid0(VALU_DEP_2) | instskip(SKIP_2) | instid1(VALU_DEP_1)
	v_add_f32_e32 v13, v6, v158
	ds_load_2addr_b64 v[5:8], v21 offset0:97 offset1:98
	v_add_f32_e32 v13, v13, v160
	v_add_f32_e32 v13, v13, v162
	s_wait_loadcnt_dscnt 0x1
	v_mul_f32_e32 v22, v1, v10
	v_mul_f32_e32 v130, v3, v12
	;; [unrolled: 1-line block ×4, first 2 shown]
	s_delay_alu instid0(VALU_DEP_4) | instskip(NEXT) | instid1(VALU_DEP_4)
	v_dual_add_f32 v13, v13, v164 :: v_dual_fmac_f32 v22, v2, v9
	v_fmac_f32_e32 v130, v4, v11
	s_delay_alu instid0(VALU_DEP_4) | instskip(NEXT) | instid1(VALU_DEP_4)
	v_fma_f32 v131, v1, v9, -v10
	v_fma_f32 v132, v3, v11, -v12
	s_clause 0x1
	scratch_load_b128 v[1:4], off, off offset:360
	scratch_load_b128 v[9:12], off, off offset:376
	v_dual_add_f32 v17, v14, v163 :: v_dual_add_f32 v18, v13, v166
	scratch_load_b128 v[13:16], off, off offset:392
	v_dual_add_f32 v17, v17, v165 :: v_dual_add_f32 v18, v18, v168
	s_delay_alu instid0(VALU_DEP_1) | instskip(NEXT) | instid1(VALU_DEP_1)
	v_dual_add_f32 v17, v17, v167 :: v_dual_add_f32 v18, v18, v170
	v_dual_add_f32 v17, v17, v169 :: v_dual_add_f32 v126, v18, v172
	s_delay_alu instid0(VALU_DEP_1) | instskip(NEXT) | instid1(VALU_DEP_2)
	v_add_f32_e32 v127, v17, v171
	v_add_f32_e32 v133, v126, v174
	ds_load_2addr_b64 v[17:20], v21 offset0:99 offset1:100
	v_add_f32_e32 v134, v127, v173
	ds_load_2addr_b64 v[126:129], v21 offset0:101 offset1:102
	v_add_f32_e32 v21, v133, v176
	v_add_f32_e32 v133, v134, v175
	s_delay_alu instid0(VALU_DEP_2) | instskip(NEXT) | instid1(VALU_DEP_2)
	v_add_f32_e32 v21, v21, v178
	v_add_f32_e32 v133, v133, v177
	s_delay_alu instid0(VALU_DEP_2) | instskip(NEXT) | instid1(VALU_DEP_2)
	;; [unrolled: 3-line block ×3, first 2 shown]
	v_add_f32_e32 v21, v21, v182
	v_add_f32_e32 v133, v133, v181
	s_delay_alu instid0(VALU_DEP_2) | instskip(SKIP_1) | instid1(VALU_DEP_2)
	v_add_f32_e32 v21, v21, v131
	s_wait_loadcnt_dscnt 0x202
	v_dual_add_f32 v22, v133, v22 :: v_dual_mul_f32 v135, v7, v4
	v_mul_f32_e32 v134, v5, v2
	v_mul_f32_e32 v2, v6, v2
	;; [unrolled: 1-line block ×3, first 2 shown]
	s_wait_loadcnt_dscnt 0x101
	v_dual_mul_f32 v136, v17, v10 :: v_dual_fmac_f32 v135, v8, v3
	v_fmac_f32_e32 v134, v6, v1
	v_fma_f32 v2, v5, v1, -v2
	v_add_f32_e32 v1, v21, v132
	v_add_f32_e32 v5, v22, v130
	v_mul_f32_e32 v6, v18, v10
	v_fma_f32 v3, v7, v3, -v4
	v_mul_f32_e32 v137, v19, v12
	v_add_f32_e32 v1, v1, v2
	v_add_f32_e32 v2, v5, v134
	v_mul_f32_e32 v4, v20, v12
	v_fmac_f32_e32 v136, v18, v9
	v_fma_f32 v5, v17, v9, -v6
	v_add_f32_e32 v1, v1, v3
	v_add_f32_e32 v2, v2, v135
	s_wait_loadcnt_dscnt 0x0
	v_mul_f32_e32 v140, v126, v14
	v_mul_f32_e32 v3, v127, v14
	v_fmac_f32_e32 v137, v20, v11
	v_fma_f32 v4, v19, v11, -v4
	v_dual_add_f32 v1, v1, v5 :: v_dual_add_f32 v2, v2, v136
	v_mul_f32_e32 v131, v128, v16
	v_dual_mul_f32 v5, v129, v16 :: v_dual_fmac_f32 v140, v127, v13
	v_fma_f32 v3, v126, v13, -v3
	s_delay_alu instid0(VALU_DEP_4) | instskip(NEXT) | instid1(VALU_DEP_4)
	v_dual_add_f32 v1, v1, v4 :: v_dual_add_f32 v2, v2, v137
	v_fmac_f32_e32 v131, v129, v15
	s_delay_alu instid0(VALU_DEP_4) | instskip(NEXT) | instid1(VALU_DEP_3)
	v_fma_f32 v4, v128, v15, -v5
	v_dual_add_f32 v1, v1, v3 :: v_dual_add_f32 v2, v2, v140
	s_delay_alu instid0(VALU_DEP_1) | instskip(NEXT) | instid1(VALU_DEP_1)
	v_dual_add_f32 v1, v1, v4 :: v_dual_add_f32 v2, v2, v131
	v_dual_sub_f32 v1, v138, v1 :: v_dual_sub_f32 v2, v139, v2
	scratch_store_b64 off, v[1:2], off offset:80
	v_cmpx_lt_u32_e32 9, v0
	s_cbranch_execz .LBB114_301
; %bb.300:
	scratch_load_b64 v[1:2], off, off offset:72
	v_mov_b32_e32 v3, 0
	s_delay_alu instid0(VALU_DEP_1)
	v_mov_b32_e32 v4, v3
	scratch_store_b64 off, v[3:4], off offset:72
	s_wait_loadcnt 0x0
	ds_store_b64 v23, v[1:2]
.LBB114_301:
	s_wait_alu 0xfffe
	s_or_b32 exec_lo, exec_lo, s0
	s_wait_storecnt_dscnt 0x0
	s_barrier_signal -1
	s_barrier_wait -1
	global_inv scope:SCOPE_SE
	s_clause 0x4
	scratch_load_b128 v[5:8], off, off offset:80
	scratch_load_b128 v[1:4], off, off offset:96
	;; [unrolled: 1-line block ×5, first 2 shown]
	v_mov_b32_e32 v21, 0
	ds_load_b128 v[126:129], v21 offset:496
	ds_load_b128 v[130:133], v21 offset:512
	;; [unrolled: 1-line block ×3, first 2 shown]
	scratch_load_b64 v[138:139], off, off offset:72
	s_mov_b32 s0, exec_lo
	s_wait_loadcnt_dscnt 0x502
	v_mul_f32_e32 v22, v127, v6
	v_dual_mul_f32 v140, v126, v6 :: v_dual_mul_f32 v141, v128, v8
	v_mul_f32_e32 v6, v129, v8
	s_delay_alu instid0(VALU_DEP_3) | instskip(NEXT) | instid1(VALU_DEP_3)
	v_fma_f32 v22, v126, v5, -v22
	v_dual_fmac_f32 v140, v127, v5 :: v_dual_fmac_f32 v141, v129, v7
	s_wait_loadcnt_dscnt 0x401
	v_mul_f32_e32 v127, v130, v2
	v_fma_f32 v126, v128, v7, -v6
	ds_load_b128 v[5:8], v21 offset:544
	s_wait_loadcnt_dscnt 0x301
	v_dual_mul_f32 v128, v132, v4 :: v_dual_mul_f32 v129, v134, v10
	v_dual_mul_f32 v4, v133, v4 :: v_dual_fmac_f32 v127, v131, v1
	v_mul_f32_e32 v10, v135, v10
	s_delay_alu instid0(VALU_DEP_3)
	v_dual_mul_f32 v142, v136, v12 :: v_dual_fmac_f32 v129, v135, v9
	v_mul_f32_e32 v12, v137, v12
	v_mul_f32_e32 v2, v131, v2
	v_fmac_f32_e32 v128, v133, v3
	v_fma_f32 v131, v132, v3, -v4
	v_fma_f32 v132, v134, v9, -v10
	v_fmac_f32_e32 v142, v137, v11
	v_fma_f32 v133, v136, v11, -v12
	ds_load_b128 v[9:12], v21 offset:560
	s_wait_loadcnt_dscnt 0x201
	v_dual_mul_f32 v135, v7, v16 :: v_dual_mul_f32 v134, v5, v14
	v_mul_f32_e32 v14, v6, v14
	v_mul_f32_e32 v16, v8, v16
	s_delay_alu instid0(VALU_DEP_3)
	v_fmac_f32_e32 v135, v8, v15
	v_fma_f32 v130, v130, v1, -v2
	scratch_load_b128 v[1:4], off, off offset:160
	v_fmac_f32_e32 v134, v6, v13
	v_fma_f32 v13, v5, v13, -v14
	v_fma_f32 v14, v7, v15, -v16
	ds_load_b128 v[5:8], v21 offset:576
	s_wait_loadcnt_dscnt 0x201
	v_mul_f32_e32 v15, v9, v18
	v_mul_f32_e32 v16, v10, v18
	;; [unrolled: 1-line block ×3, first 2 shown]
	s_delay_alu instid0(VALU_DEP_3) | instskip(NEXT) | instid1(VALU_DEP_3)
	v_dual_mul_f32 v20, v12, v20 :: v_dual_fmac_f32 v15, v10, v17
	v_fma_f32 v16, v9, v17, -v16
	s_delay_alu instid0(VALU_DEP_3) | instskip(NEXT) | instid1(VALU_DEP_3)
	v_fmac_f32_e32 v18, v12, v19
	v_fma_f32 v17, v11, v19, -v20
	scratch_load_b128 v[9:12], off, off offset:176
	s_wait_loadcnt_dscnt 0x100
	v_mul_f32_e32 v19, v5, v2
	v_mul_f32_e32 v2, v6, v2
	;; [unrolled: 1-line block ×3, first 2 shown]
	s_delay_alu instid0(VALU_DEP_3) | instskip(NEXT) | instid1(VALU_DEP_3)
	v_dual_mul_f32 v4, v8, v4 :: v_dual_fmac_f32 v19, v6, v1
	v_fma_f32 v136, v5, v1, -v2
	s_delay_alu instid0(VALU_DEP_3) | instskip(NEXT) | instid1(VALU_DEP_3)
	v_fmac_f32_e32 v20, v8, v3
	v_fma_f32 v137, v7, v3, -v4
	ds_load_b128 v[1:4], v21 offset:592
	ds_load_b128 v[5:8], v21 offset:608
	s_wait_loadcnt_dscnt 0x1
	v_mul_f32_e32 v143, v1, v10
	v_mul_f32_e32 v10, v2, v10
	s_delay_alu instid0(VALU_DEP_2) | instskip(NEXT) | instid1(VALU_DEP_2)
	v_dual_mul_f32 v144, v3, v12 :: v_dual_fmac_f32 v143, v2, v9
	v_fma_f32 v145, v1, v9, -v10
	v_mul_f32_e32 v1, v4, v12
	s_delay_alu instid0(VALU_DEP_3) | instskip(NEXT) | instid1(VALU_DEP_2)
	v_fmac_f32_e32 v144, v4, v11
	v_fma_f32 v146, v3, v11, -v1
	s_clause 0x1
	scratch_load_b128 v[1:4], off, off offset:192
	scratch_load_b128 v[9:12], off, off offset:208
	s_wait_loadcnt_dscnt 0x100
	v_mul_f32_e32 v147, v5, v2
	v_dual_mul_f32 v2, v6, v2 :: v_dual_mul_f32 v149, v7, v4
	s_delay_alu instid0(VALU_DEP_2) | instskip(NEXT) | instid1(VALU_DEP_2)
	v_fmac_f32_e32 v147, v6, v1
	v_fma_f32 v148, v5, v1, -v2
	v_mul_f32_e32 v1, v8, v4
	s_delay_alu instid0(VALU_DEP_4) | instskip(NEXT) | instid1(VALU_DEP_2)
	v_fmac_f32_e32 v149, v8, v3
	v_fma_f32 v150, v7, v3, -v1
	ds_load_b128 v[1:4], v21 offset:624
	ds_load_b128 v[5:8], v21 offset:640
	s_wait_loadcnt_dscnt 0x1
	v_mul_f32_e32 v151, v1, v10
	v_mul_f32_e32 v153, v3, v12
	s_delay_alu instid0(VALU_DEP_2) | instskip(NEXT) | instid1(VALU_DEP_2)
	v_fmac_f32_e32 v151, v2, v9
	v_dual_mul_f32 v2, v2, v10 :: v_dual_fmac_f32 v153, v4, v11
	s_delay_alu instid0(VALU_DEP_1) | instskip(SKIP_1) | instid1(VALU_DEP_1)
	v_fma_f32 v152, v1, v9, -v2
	v_mul_f32_e32 v1, v4, v12
	v_fma_f32 v154, v3, v11, -v1
	s_clause 0x1
	scratch_load_b128 v[1:4], off, off offset:224
	scratch_load_b128 v[9:12], off, off offset:240
	s_wait_loadcnt_dscnt 0x100
	v_mul_f32_e32 v155, v5, v2
	v_dual_mul_f32 v157, v7, v4 :: v_dual_mul_f32 v2, v6, v2
	s_delay_alu instid0(VALU_DEP_2) | instskip(NEXT) | instid1(VALU_DEP_2)
	v_fmac_f32_e32 v155, v6, v1
	v_fmac_f32_e32 v157, v8, v3
	s_delay_alu instid0(VALU_DEP_3) | instskip(SKIP_1) | instid1(VALU_DEP_1)
	v_fma_f32 v156, v5, v1, -v2
	v_mul_f32_e32 v1, v8, v4
	v_fma_f32 v158, v7, v3, -v1
	ds_load_b128 v[1:4], v21 offset:656
	ds_load_b128 v[5:8], v21 offset:672
	s_wait_loadcnt_dscnt 0x1
	v_mul_f32_e32 v159, v1, v10
	v_mul_f32_e32 v161, v3, v12
	s_delay_alu instid0(VALU_DEP_2) | instskip(NEXT) | instid1(VALU_DEP_2)
	v_fmac_f32_e32 v159, v2, v9
	v_dual_mul_f32 v2, v2, v10 :: v_dual_fmac_f32 v161, v4, v11
	s_delay_alu instid0(VALU_DEP_1) | instskip(SKIP_1) | instid1(VALU_DEP_1)
	v_fma_f32 v160, v1, v9, -v2
	v_mul_f32_e32 v1, v4, v12
	v_fma_f32 v162, v3, v11, -v1
	s_clause 0x1
	scratch_load_b128 v[1:4], off, off offset:256
	scratch_load_b128 v[9:12], off, off offset:272
	s_wait_loadcnt_dscnt 0x100
	v_mul_f32_e32 v163, v5, v2
	v_dual_mul_f32 v2, v6, v2 :: v_dual_mul_f32 v165, v7, v4
	s_delay_alu instid0(VALU_DEP_2) | instskip(NEXT) | instid1(VALU_DEP_2)
	v_fmac_f32_e32 v163, v6, v1
	v_fma_f32 v164, v5, v1, -v2
	v_mul_f32_e32 v1, v8, v4
	s_delay_alu instid0(VALU_DEP_4) | instskip(NEXT) | instid1(VALU_DEP_2)
	v_fmac_f32_e32 v165, v8, v3
	v_fma_f32 v166, v7, v3, -v1
	ds_load_b128 v[1:4], v21 offset:688
	ds_load_b128 v[5:8], v21 offset:704
	s_wait_loadcnt_dscnt 0x1
	v_mul_f32_e32 v167, v1, v10
	v_mul_f32_e32 v169, v3, v12
	s_delay_alu instid0(VALU_DEP_2) | instskip(NEXT) | instid1(VALU_DEP_2)
	v_fmac_f32_e32 v167, v2, v9
	v_dual_mul_f32 v2, v2, v10 :: v_dual_fmac_f32 v169, v4, v11
	s_delay_alu instid0(VALU_DEP_1) | instskip(SKIP_1) | instid1(VALU_DEP_1)
	v_fma_f32 v168, v1, v9, -v2
	v_mul_f32_e32 v1, v4, v12
	v_fma_f32 v170, v3, v11, -v1
	s_clause 0x1
	scratch_load_b128 v[1:4], off, off offset:288
	scratch_load_b128 v[9:12], off, off offset:304
	s_wait_loadcnt_dscnt 0x100
	v_mul_f32_e32 v171, v5, v2
	v_dual_mul_f32 v2, v6, v2 :: v_dual_mul_f32 v173, v7, v4
	s_delay_alu instid0(VALU_DEP_2) | instskip(NEXT) | instid1(VALU_DEP_2)
	v_fmac_f32_e32 v171, v6, v1
	v_fma_f32 v172, v5, v1, -v2
	v_mul_f32_e32 v1, v8, v4
	s_delay_alu instid0(VALU_DEP_4) | instskip(NEXT) | instid1(VALU_DEP_2)
	v_fmac_f32_e32 v173, v8, v3
	v_fma_f32 v174, v7, v3, -v1
	ds_load_b128 v[1:4], v21 offset:720
	ds_load_b128 v[5:8], v21 offset:736
	s_wait_loadcnt_dscnt 0x1
	v_mul_f32_e32 v175, v1, v10
	v_mul_f32_e32 v177, v3, v12
	s_delay_alu instid0(VALU_DEP_2) | instskip(NEXT) | instid1(VALU_DEP_2)
	v_fmac_f32_e32 v175, v2, v9
	v_dual_mul_f32 v2, v2, v10 :: v_dual_fmac_f32 v177, v4, v11
	s_delay_alu instid0(VALU_DEP_1) | instskip(SKIP_1) | instid1(VALU_DEP_1)
	v_fma_f32 v176, v1, v9, -v2
	v_mul_f32_e32 v1, v4, v12
	v_fma_f32 v178, v3, v11, -v1
	s_clause 0x1
	scratch_load_b128 v[1:4], off, off offset:320
	scratch_load_b128 v[9:12], off, off offset:336
	s_wait_loadcnt_dscnt 0x100
	v_mul_f32_e32 v179, v5, v2
	v_mul_f32_e32 v2, v6, v2
	s_delay_alu instid0(VALU_DEP_1) | instskip(SKIP_1) | instid1(VALU_DEP_1)
	v_fma_f32 v180, v5, v1, -v2
	v_add_f32_e32 v2, 0, v140
	v_add_f32_e32 v2, v2, v141
	s_delay_alu instid0(VALU_DEP_1) | instskip(NEXT) | instid1(VALU_DEP_1)
	v_add_f32_e32 v2, v2, v127
	v_add_f32_e32 v2, v2, v128
	s_delay_alu instid0(VALU_DEP_1) | instskip(NEXT) | instid1(VALU_DEP_1)
	;; [unrolled: 3-line block ×7, first 2 shown]
	v_add_f32_e32 v2, v2, v147
	v_add_f32_e32 v2, v2, v149
	v_fmac_f32_e32 v179, v6, v1
	v_mul_f32_e32 v1, v8, v4
	s_delay_alu instid0(VALU_DEP_3) | instskip(NEXT) | instid1(VALU_DEP_2)
	v_add_f32_e32 v5, v2, v151
	v_fma_f32 v182, v7, v3, -v1
	v_add_f32_e32 v1, 0, v22
	s_delay_alu instid0(VALU_DEP_3) | instskip(NEXT) | instid1(VALU_DEP_2)
	v_add_f32_e32 v5, v5, v153
	v_add_f32_e32 v1, v1, v126
	s_delay_alu instid0(VALU_DEP_2) | instskip(SKIP_1) | instid1(VALU_DEP_3)
	v_add_f32_e32 v5, v5, v155
	v_mul_f32_e32 v181, v7, v4
	v_add_f32_e32 v1, v1, v130
	s_delay_alu instid0(VALU_DEP_1) | instskip(SKIP_2) | instid1(VALU_DEP_1)
	v_add_f32_e32 v1, v1, v131
	scratch_load_b64 v[130:131], off, off offset:400
	v_add_f32_e32 v1, v1, v132
	v_add_f32_e32 v1, v1, v133
	s_delay_alu instid0(VALU_DEP_1) | instskip(NEXT) | instid1(VALU_DEP_1)
	v_add_f32_e32 v1, v1, v13
	v_add_f32_e32 v1, v1, v14
	;; [unrolled: 1-line block ×3, first 2 shown]
	s_delay_alu instid0(VALU_DEP_2) | instskip(NEXT) | instid1(VALU_DEP_1)
	v_add_f32_e32 v1, v1, v16
	v_add_f32_e32 v1, v1, v17
	s_delay_alu instid0(VALU_DEP_1) | instskip(NEXT) | instid1(VALU_DEP_1)
	v_add_f32_e32 v1, v1, v136
	v_add_f32_e32 v1, v1, v137
	s_delay_alu instid0(VALU_DEP_1) | instskip(NEXT) | instid1(VALU_DEP_1)
	;; [unrolled: 3-line block ×4, first 2 shown]
	v_add_f32_e32 v1, v1, v152
	v_dual_add_f32 v6, v1, v154 :: v_dual_fmac_f32 v181, v8, v3
	ds_load_b128 v[1:4], v21 offset:752
	v_add_f32_e32 v14, v14, v159
	v_add_f32_e32 v6, v6, v156
	s_delay_alu instid0(VALU_DEP_2) | instskip(NEXT) | instid1(VALU_DEP_2)
	v_add_f32_e32 v14, v14, v161
	v_add_f32_e32 v13, v6, v158
	ds_load_b128 v[5:8], v21 offset:768
	s_wait_loadcnt_dscnt 0x101
	v_mul_f32_e32 v22, v1, v10
	v_mul_f32_e32 v10, v2, v10
	;; [unrolled: 1-line block ×3, first 2 shown]
	v_dual_mul_f32 v12, v4, v12 :: v_dual_add_f32 v17, v14, v163
	s_delay_alu instid0(VALU_DEP_4) | instskip(NEXT) | instid1(VALU_DEP_4)
	v_fmac_f32_e32 v22, v2, v9
	v_fma_f32 v135, v1, v9, -v10
	s_delay_alu instid0(VALU_DEP_4) | instskip(NEXT) | instid1(VALU_DEP_4)
	v_fmac_f32_e32 v134, v4, v11
	v_fma_f32 v136, v3, v11, -v12
	s_clause 0x1
	scratch_load_b128 v[1:4], off, off offset:352
	scratch_load_b128 v[9:12], off, off offset:368
	v_add_f32_e32 v17, v17, v165
	s_delay_alu instid0(VALU_DEP_1) | instskip(NEXT) | instid1(VALU_DEP_1)
	v_add_f32_e32 v17, v17, v167
	v_add_f32_e32 v17, v17, v169
	s_delay_alu instid0(VALU_DEP_1) | instskip(NEXT) | instid1(VALU_DEP_1)
	v_add_f32_e32 v17, v17, v171
	v_add_f32_e32 v126, v17, v173
	s_delay_alu instid0(VALU_DEP_1)
	v_add_f32_e32 v133, v126, v175
	ds_load_b128 v[126:129], v21 offset:800
	v_add_f32_e32 v140, v133, v177
	s_wait_loadcnt_dscnt 0x101
	v_dual_mul_f32 v141, v5, v2 :: v_dual_mul_f32 v142, v7, v4
	v_dual_add_f32 v13, v13, v160 :: v_dual_mul_f32 v2, v6, v2
	s_delay_alu instid0(VALU_DEP_2) | instskip(NEXT) | instid1(VALU_DEP_2)
	v_dual_mul_f32 v4, v8, v4 :: v_dual_fmac_f32 v141, v6, v1
	v_dual_fmac_f32 v142, v8, v3 :: v_dual_add_f32 v13, v13, v162
	s_delay_alu instid0(VALU_DEP_3) | instskip(NEXT) | instid1(VALU_DEP_3)
	v_fma_f32 v2, v5, v1, -v2
	v_fma_f32 v1, v7, v3, -v4
	s_delay_alu instid0(VALU_DEP_3) | instskip(NEXT) | instid1(VALU_DEP_1)
	v_add_f32_e32 v13, v13, v164
	v_add_f32_e32 v18, v13, v166
	scratch_load_b128 v[13:16], off, off offset:384
	v_add_f32_e32 v140, v140, v179
	v_add_f32_e32 v18, v18, v168
	s_delay_alu instid0(VALU_DEP_2) | instskip(NEXT) | instid1(VALU_DEP_2)
	v_add_f32_e32 v140, v140, v181
	v_add_f32_e32 v18, v18, v170
	s_delay_alu instid0(VALU_DEP_2) | instskip(NEXT) | instid1(VALU_DEP_2)
	;; [unrolled: 3-line block ×3, first 2 shown]
	v_add_f32_e32 v22, v22, v134
	v_add_f32_e32 v18, v18, v174
	s_delay_alu instid0(VALU_DEP_1)
	v_add_f32_e32 v132, v18, v176
	ds_load_b128 v[17:20], v21 offset:784
	v_add_f32_e32 v137, v132, v178
	ds_load_b64 v[132:133], v21 offset:816
	s_wait_loadcnt_dscnt 0x101
	v_dual_mul_f32 v3, v18, v10 :: v_dual_mul_f32 v140, v19, v12
	v_mul_f32_e32 v5, v20, v12
	s_delay_alu instid0(VALU_DEP_2) | instskip(NEXT) | instid1(VALU_DEP_3)
	v_fma_f32 v3, v17, v9, -v3
	v_fmac_f32_e32 v140, v20, v11
	s_delay_alu instid0(VALU_DEP_3) | instskip(SKIP_2) | instid1(VALU_DEP_1)
	v_fma_f32 v5, v19, v11, -v5
	s_wait_dscnt 0x0
	v_mul_f32_e32 v134, v132, v131
	v_fmac_f32_e32 v134, v133, v130
	v_add_f32_e32 v4, v22, v141
	s_wait_loadcnt 0x0
	v_mul_f32_e32 v143, v126, v14
	s_delay_alu instid0(VALU_DEP_1) | instskip(SKIP_1) | instid1(VALU_DEP_1)
	v_fmac_f32_e32 v143, v127, v13
	v_add_f32_e32 v137, v137, v180
	v_add_f32_e32 v137, v137, v182
	s_delay_alu instid0(VALU_DEP_1) | instskip(SKIP_1) | instid1(VALU_DEP_2)
	v_add_f32_e32 v135, v137, v135
	v_mul_f32_e32 v137, v17, v10
	v_add_f32_e32 v135, v135, v136
	s_delay_alu instid0(VALU_DEP_2) | instskip(NEXT) | instid1(VALU_DEP_2)
	v_dual_fmac_f32 v137, v18, v9 :: v_dual_mul_f32 v136, v128, v16
	v_add_f32_e32 v2, v135, v2
	s_delay_alu instid0(VALU_DEP_1) | instskip(SKIP_1) | instid1(VALU_DEP_2)
	v_dual_fmac_f32 v136, v129, v15 :: v_dual_add_f32 v1, v2, v1
	v_add_f32_e32 v2, v4, v142
	v_dual_mul_f32 v4, v127, v14 :: v_dual_add_f32 v1, v1, v3
	s_delay_alu instid0(VALU_DEP_2) | instskip(NEXT) | instid1(VALU_DEP_2)
	v_dual_add_f32 v2, v2, v137 :: v_dual_mul_f32 v3, v129, v16
	v_fma_f32 v4, v126, v13, -v4
	s_delay_alu instid0(VALU_DEP_2) | instskip(SKIP_1) | instid1(VALU_DEP_4)
	v_dual_add_f32 v1, v1, v5 :: v_dual_add_f32 v2, v2, v140
	v_mul_f32_e32 v5, v133, v131
	v_fma_f32 v3, v128, v15, -v3
	s_delay_alu instid0(VALU_DEP_3) | instskip(NEXT) | instid1(VALU_DEP_3)
	v_dual_add_f32 v1, v1, v4 :: v_dual_add_f32 v2, v2, v143
	v_fma_f32 v4, v132, v130, -v5
	s_delay_alu instid0(VALU_DEP_2) | instskip(NEXT) | instid1(VALU_DEP_1)
	v_dual_add_f32 v1, v1, v3 :: v_dual_add_f32 v2, v2, v136
	v_dual_add_f32 v1, v1, v4 :: v_dual_add_f32 v2, v2, v134
	s_delay_alu instid0(VALU_DEP_1)
	v_dual_sub_f32 v1, v138, v1 :: v_dual_sub_f32 v2, v139, v2
	scratch_store_b64 off, v[1:2], off offset:72
	v_cmpx_lt_u32_e32 8, v0
	s_cbranch_execz .LBB114_303
; %bb.302:
	scratch_load_b64 v[1:2], off, off offset:64
	v_mov_b32_e32 v22, v21
	scratch_store_b64 off, v[21:22], off offset:64
	s_wait_loadcnt 0x0
	ds_store_b64 v23, v[1:2]
.LBB114_303:
	s_wait_alu 0xfffe
	s_or_b32 exec_lo, exec_lo, s0
	s_wait_storecnt_dscnt 0x0
	s_barrier_signal -1
	s_barrier_wait -1
	global_inv scope:SCOPE_SE
	s_clause 0x4
	scratch_load_b128 v[5:8], off, off offset:72
	scratch_load_b128 v[1:4], off, off offset:88
	;; [unrolled: 1-line block ×5, first 2 shown]
	ds_load_2addr_b64 v[126:129], v21 offset0:61 offset1:62
	ds_load_2addr_b64 v[130:133], v21 offset0:63 offset1:64
	;; [unrolled: 1-line block ×3, first 2 shown]
	scratch_load_b64 v[138:139], off, off offset:64
	s_mov_b32 s0, exec_lo
	s_wait_loadcnt_dscnt 0x502
	v_dual_mul_f32 v22, v127, v6 :: v_dual_mul_f32 v141, v128, v8
	v_mul_f32_e32 v140, v126, v6
	v_mul_f32_e32 v6, v129, v8
	s_wait_loadcnt_dscnt 0x300
	v_mul_f32_e32 v142, v136, v12
	v_fma_f32 v22, v126, v5, -v22
	v_dual_fmac_f32 v141, v129, v7 :: v_dual_fmac_f32 v140, v127, v5
	v_mul_f32_e32 v129, v134, v10
	v_mul_f32_e32 v127, v130, v2
	v_fma_f32 v126, v128, v7, -v6
	ds_load_2addr_b64 v[5:8], v21 offset0:67 offset1:68
	v_mul_f32_e32 v128, v132, v4
	v_dual_mul_f32 v4, v133, v4 :: v_dual_fmac_f32 v129, v135, v9
	v_mul_f32_e32 v10, v135, v10
	v_mul_f32_e32 v12, v137, v12
	;; [unrolled: 1-line block ×3, first 2 shown]
	v_dual_fmac_f32 v127, v131, v1 :: v_dual_fmac_f32 v128, v133, v3
	v_fma_f32 v131, v132, v3, -v4
	v_fma_f32 v132, v134, v9, -v10
	v_fmac_f32_e32 v142, v137, v11
	v_fma_f32 v133, v136, v11, -v12
	ds_load_2addr_b64 v[9:12], v21 offset0:69 offset1:70
	s_wait_loadcnt_dscnt 0x201
	v_dual_mul_f32 v135, v7, v16 :: v_dual_mul_f32 v134, v5, v14
	s_delay_alu instid0(VALU_DEP_1)
	v_dual_mul_f32 v14, v6, v14 :: v_dual_fmac_f32 v135, v8, v15
	v_fma_f32 v130, v130, v1, -v2
	scratch_load_b128 v[1:4], off, off offset:152
	v_mul_f32_e32 v16, v8, v16
	v_fmac_f32_e32 v134, v6, v13
	v_fma_f32 v13, v5, v13, -v14
	s_delay_alu instid0(VALU_DEP_3)
	v_fma_f32 v14, v7, v15, -v16
	s_wait_loadcnt_dscnt 0x200
	v_mul_f32_e32 v15, v9, v18
	v_mul_f32_e32 v16, v10, v18
	;; [unrolled: 1-line block ×4, first 2 shown]
	ds_load_2addr_b64 v[5:8], v21 offset0:71 offset1:72
	v_fmac_f32_e32 v15, v10, v17
	v_fma_f32 v16, v9, v17, -v16
	v_fmac_f32_e32 v18, v12, v19
	v_fma_f32 v17, v11, v19, -v20
	scratch_load_b128 v[9:12], off, off offset:168
	s_wait_loadcnt_dscnt 0x100
	v_mul_f32_e32 v19, v5, v2
	v_mul_f32_e32 v2, v6, v2
	;; [unrolled: 1-line block ×3, first 2 shown]
	s_delay_alu instid0(VALU_DEP_3) | instskip(NEXT) | instid1(VALU_DEP_3)
	v_dual_mul_f32 v4, v8, v4 :: v_dual_fmac_f32 v19, v6, v1
	v_fma_f32 v136, v5, v1, -v2
	s_delay_alu instid0(VALU_DEP_3) | instskip(NEXT) | instid1(VALU_DEP_3)
	v_fmac_f32_e32 v20, v8, v3
	v_fma_f32 v137, v7, v3, -v4
	ds_load_2addr_b64 v[1:4], v21 offset0:73 offset1:74
	ds_load_2addr_b64 v[5:8], v21 offset0:75 offset1:76
	s_wait_loadcnt_dscnt 0x1
	v_mul_f32_e32 v143, v1, v10
	v_mul_f32_e32 v10, v2, v10
	s_delay_alu instid0(VALU_DEP_2) | instskip(NEXT) | instid1(VALU_DEP_2)
	v_dual_mul_f32 v144, v3, v12 :: v_dual_fmac_f32 v143, v2, v9
	v_fma_f32 v145, v1, v9, -v10
	v_mul_f32_e32 v1, v4, v12
	s_delay_alu instid0(VALU_DEP_3) | instskip(NEXT) | instid1(VALU_DEP_2)
	v_fmac_f32_e32 v144, v4, v11
	v_fma_f32 v146, v3, v11, -v1
	s_clause 0x1
	scratch_load_b128 v[1:4], off, off offset:184
	scratch_load_b128 v[9:12], off, off offset:200
	s_wait_loadcnt_dscnt 0x100
	v_mul_f32_e32 v147, v5, v2
	v_dual_mul_f32 v2, v6, v2 :: v_dual_mul_f32 v149, v7, v4
	s_delay_alu instid0(VALU_DEP_2) | instskip(NEXT) | instid1(VALU_DEP_2)
	v_fmac_f32_e32 v147, v6, v1
	v_fma_f32 v148, v5, v1, -v2
	v_mul_f32_e32 v1, v8, v4
	s_delay_alu instid0(VALU_DEP_4) | instskip(NEXT) | instid1(VALU_DEP_2)
	v_fmac_f32_e32 v149, v8, v3
	v_fma_f32 v150, v7, v3, -v1
	ds_load_2addr_b64 v[1:4], v21 offset0:77 offset1:78
	ds_load_2addr_b64 v[5:8], v21 offset0:79 offset1:80
	s_wait_loadcnt_dscnt 0x1
	v_mul_f32_e32 v151, v1, v10
	v_mul_f32_e32 v153, v3, v12
	s_delay_alu instid0(VALU_DEP_2) | instskip(NEXT) | instid1(VALU_DEP_2)
	v_fmac_f32_e32 v151, v2, v9
	v_dual_mul_f32 v2, v2, v10 :: v_dual_fmac_f32 v153, v4, v11
	s_delay_alu instid0(VALU_DEP_1) | instskip(SKIP_1) | instid1(VALU_DEP_1)
	v_fma_f32 v152, v1, v9, -v2
	v_mul_f32_e32 v1, v4, v12
	v_fma_f32 v154, v3, v11, -v1
	s_clause 0x1
	scratch_load_b128 v[1:4], off, off offset:216
	scratch_load_b128 v[9:12], off, off offset:232
	s_wait_loadcnt_dscnt 0x100
	v_mul_f32_e32 v155, v5, v2
	v_dual_mul_f32 v2, v6, v2 :: v_dual_mul_f32 v157, v7, v4
	s_delay_alu instid0(VALU_DEP_2) | instskip(NEXT) | instid1(VALU_DEP_2)
	v_fmac_f32_e32 v155, v6, v1
	v_fma_f32 v156, v5, v1, -v2
	v_mul_f32_e32 v1, v8, v4
	s_delay_alu instid0(VALU_DEP_4) | instskip(NEXT) | instid1(VALU_DEP_2)
	v_fmac_f32_e32 v157, v8, v3
	v_fma_f32 v158, v7, v3, -v1
	ds_load_2addr_b64 v[1:4], v21 offset0:81 offset1:82
	ds_load_2addr_b64 v[5:8], v21 offset0:83 offset1:84
	s_wait_loadcnt_dscnt 0x1
	v_mul_f32_e32 v159, v1, v10
	v_mul_f32_e32 v161, v3, v12
	s_delay_alu instid0(VALU_DEP_2) | instskip(NEXT) | instid1(VALU_DEP_2)
	v_fmac_f32_e32 v159, v2, v9
	v_dual_mul_f32 v2, v2, v10 :: v_dual_fmac_f32 v161, v4, v11
	s_delay_alu instid0(VALU_DEP_1) | instskip(SKIP_1) | instid1(VALU_DEP_1)
	v_fma_f32 v160, v1, v9, -v2
	v_mul_f32_e32 v1, v4, v12
	;; [unrolled: 25-line block ×4, first 2 shown]
	v_fma_f32 v178, v3, v11, -v1
	s_clause 0x1
	scratch_load_b128 v[1:4], off, off offset:312
	scratch_load_b128 v[9:12], off, off offset:328
	s_wait_loadcnt_dscnt 0x100
	v_mul_f32_e32 v179, v5, v2
	v_mul_f32_e32 v2, v6, v2
	s_delay_alu instid0(VALU_DEP_1) | instskip(SKIP_1) | instid1(VALU_DEP_1)
	v_fma_f32 v180, v5, v1, -v2
	v_add_f32_e32 v2, 0, v140
	v_add_f32_e32 v2, v2, v141
	s_delay_alu instid0(VALU_DEP_1) | instskip(NEXT) | instid1(VALU_DEP_1)
	v_add_f32_e32 v2, v2, v127
	v_add_f32_e32 v2, v2, v128
	s_delay_alu instid0(VALU_DEP_1) | instskip(NEXT) | instid1(VALU_DEP_1)
	;; [unrolled: 3-line block ×6, first 2 shown]
	v_add_f32_e32 v2, v2, v143
	v_add_f32_e32 v2, v2, v144
	v_fmac_f32_e32 v179, v6, v1
	s_delay_alu instid0(VALU_DEP_2) | instskip(NEXT) | instid1(VALU_DEP_1)
	v_dual_add_f32 v2, v2, v147 :: v_dual_mul_f32 v181, v7, v4
	v_dual_add_f32 v2, v2, v149 :: v_dual_mul_f32 v1, v8, v4
	s_delay_alu instid0(VALU_DEP_1) | instskip(NEXT) | instid1(VALU_DEP_2)
	v_add_f32_e32 v2, v2, v151
	v_fma_f32 v182, v7, v3, -v1
	v_add_f32_e32 v1, 0, v22
	s_delay_alu instid0(VALU_DEP_3) | instskip(NEXT) | instid1(VALU_DEP_2)
	v_add_f32_e32 v5, v2, v153
	v_add_f32_e32 v1, v1, v126
	s_delay_alu instid0(VALU_DEP_1) | instskip(NEXT) | instid1(VALU_DEP_1)
	v_add_f32_e32 v1, v1, v130
	v_add_f32_e32 v1, v1, v131
	s_delay_alu instid0(VALU_DEP_1) | instskip(NEXT) | instid1(VALU_DEP_1)
	v_add_f32_e32 v1, v1, v132
	v_add_f32_e32 v1, v1, v133
	s_delay_alu instid0(VALU_DEP_1) | instskip(SKIP_1) | instid1(VALU_DEP_2)
	v_add_f32_e32 v1, v1, v13
	v_add_f32_e32 v13, v5, v155
	;; [unrolled: 1-line block ×3, first 2 shown]
	s_delay_alu instid0(VALU_DEP_2) | instskip(NEXT) | instid1(VALU_DEP_2)
	v_add_f32_e32 v13, v13, v157
	v_add_f32_e32 v1, v1, v16
	s_delay_alu instid0(VALU_DEP_1) | instskip(NEXT) | instid1(VALU_DEP_1)
	v_add_f32_e32 v1, v1, v17
	v_add_f32_e32 v1, v1, v136
	s_delay_alu instid0(VALU_DEP_1) | instskip(NEXT) | instid1(VALU_DEP_1)
	;; [unrolled: 3-line block ×5, first 2 shown]
	v_add_f32_e32 v1, v1, v154
	v_dual_add_f32 v6, v1, v156 :: v_dual_fmac_f32 v181, v8, v3
	ds_load_2addr_b64 v[1:4], v21 offset0:93 offset1:94
	v_dual_add_f32 v13, v13, v159 :: v_dual_add_f32 v14, v6, v158
	scratch_load_b128 v[5:8], off, off offset:344
	v_add_f32_e32 v18, v13, v161
	v_add_f32_e32 v14, v14, v160
	s_delay_alu instid0(VALU_DEP_1)
	v_add_f32_e32 v17, v14, v162
	ds_load_2addr_b64 v[13:16], v21 offset0:95 offset1:96
	v_add_f32_e32 v17, v17, v164
	s_wait_loadcnt_dscnt 0x101
	v_mul_f32_e32 v22, v1, v10
	v_mul_f32_e32 v10, v2, v10
	;; [unrolled: 1-line block ×4, first 2 shown]
	v_add_f32_e32 v18, v18, v163
	v_fmac_f32_e32 v22, v2, v9
	v_fma_f32 v131, v1, v9, -v10
	v_fmac_f32_e32 v130, v4, v11
	v_fma_f32 v132, v3, v11, -v12
	scratch_load_b128 v[9:12], off, off offset:376
	v_dual_add_f32 v17, v17, v166 :: v_dual_add_f32 v18, v18, v165
	scratch_load_b128 v[1:4], off, off offset:360
	v_dual_add_f32 v17, v17, v168 :: v_dual_add_f32 v126, v18, v167
	s_delay_alu instid0(VALU_DEP_1) | instskip(SKIP_3) | instid1(VALU_DEP_1)
	v_add_f32_e32 v127, v17, v170
	scratch_load_b128 v[17:20], off, off offset:392
	v_add_f32_e32 v126, v126, v169
	s_wait_loadcnt_dscnt 0x300
	v_dual_add_f32 v126, v126, v171 :: v_dual_mul_f32 v133, v13, v6
	v_mul_f32_e32 v6, v14, v6
	v_mul_f32_e32 v134, v15, v8
	s_delay_alu instid0(VALU_DEP_3) | instskip(NEXT) | instid1(VALU_DEP_3)
	v_dual_mul_f32 v8, v16, v8 :: v_dual_fmac_f32 v133, v14, v5
	v_fma_f32 v135, v13, v5, -v6
	s_delay_alu instid0(VALU_DEP_3) | instskip(NEXT) | instid1(VALU_DEP_3)
	v_fmac_f32_e32 v134, v16, v7
	v_fma_f32 v136, v15, v7, -v8
	ds_load_2addr_b64 v[5:8], v21 offset0:97 offset1:98
	v_add_f32_e32 v127, v127, v172
	v_add_f32_e32 v13, v126, v173
	s_delay_alu instid0(VALU_DEP_2) | instskip(NEXT) | instid1(VALU_DEP_1)
	v_add_f32_e32 v127, v127, v174
	v_dual_add_f32 v126, v127, v176 :: v_dual_add_f32 v127, v13, v175
	ds_load_2addr_b64 v[13:16], v21 offset0:99 offset1:100
	v_dual_add_f32 v137, v126, v178 :: v_dual_add_f32 v140, v127, v177
	ds_load_2addr_b64 v[126:129], v21 offset0:101 offset1:102
	v_add_f32_e32 v21, v137, v180
	s_delay_alu instid0(VALU_DEP_1) | instskip(NEXT) | instid1(VALU_DEP_1)
	v_add_f32_e32 v21, v21, v182
	v_add_f32_e32 v21, v21, v131
	s_wait_loadcnt_dscnt 0x102
	v_mul_f32_e32 v131, v7, v4
	v_mul_f32_e32 v4, v8, v4
	s_wait_dscnt 0x1
	v_mul_f32_e32 v141, v15, v12
	v_add_f32_e32 v21, v21, v132
	v_fmac_f32_e32 v131, v8, v3
	s_wait_loadcnt_dscnt 0x0
	v_mul_f32_e32 v132, v128, v20
	v_fma_f32 v3, v7, v3, -v4
	v_dual_mul_f32 v4, v16, v12 :: v_dual_add_f32 v21, v21, v135
	v_fmac_f32_e32 v141, v16, v11
	s_delay_alu instid0(VALU_DEP_4) | instskip(SKIP_3) | instid1(VALU_DEP_3)
	v_fmac_f32_e32 v132, v129, v19
	v_dual_add_f32 v137, v140, v179 :: v_dual_mul_f32 v140, v5, v2
	v_mul_f32_e32 v2, v6, v2
	v_fma_f32 v4, v15, v11, -v4
	v_add_f32_e32 v137, v137, v181
	s_delay_alu instid0(VALU_DEP_4) | instskip(NEXT) | instid1(VALU_DEP_4)
	v_fmac_f32_e32 v140, v6, v1
	v_fma_f32 v2, v5, v1, -v2
	v_dual_add_f32 v1, v21, v136 :: v_dual_mul_f32 v6, v14, v10
	s_delay_alu instid0(VALU_DEP_4) | instskip(SKIP_1) | instid1(VALU_DEP_3)
	v_add_f32_e32 v22, v137, v22
	v_mul_f32_e32 v137, v13, v10
	v_add_f32_e32 v1, v1, v2
	s_delay_alu instid0(VALU_DEP_3) | instskip(NEXT) | instid1(VALU_DEP_3)
	v_add_f32_e32 v22, v22, v130
	v_fmac_f32_e32 v137, v14, v9
	s_delay_alu instid0(VALU_DEP_3) | instskip(NEXT) | instid1(VALU_DEP_3)
	v_dual_mul_f32 v130, v126, v18 :: v_dual_add_f32 v1, v1, v3
	v_dual_mul_f32 v3, v127, v18 :: v_dual_add_f32 v22, v22, v133
	s_delay_alu instid0(VALU_DEP_2) | instskip(NEXT) | instid1(VALU_DEP_2)
	v_fmac_f32_e32 v130, v127, v17
	v_fma_f32 v3, v126, v17, -v3
	s_delay_alu instid0(VALU_DEP_3) | instskip(NEXT) | instid1(VALU_DEP_1)
	v_add_f32_e32 v5, v22, v134
	v_add_f32_e32 v2, v5, v140
	v_fma_f32 v5, v13, v9, -v6
	s_delay_alu instid0(VALU_DEP_1) | instskip(NEXT) | instid1(VALU_DEP_1)
	v_dual_add_f32 v2, v2, v131 :: v_dual_add_f32 v1, v1, v5
	v_dual_mul_f32 v5, v129, v20 :: v_dual_add_f32 v2, v2, v137
	s_delay_alu instid0(VALU_DEP_2) | instskip(NEXT) | instid1(VALU_DEP_2)
	v_add_f32_e32 v1, v1, v4
	v_fma_f32 v4, v128, v19, -v5
	s_delay_alu instid0(VALU_DEP_2) | instskip(NEXT) | instid1(VALU_DEP_1)
	v_dual_add_f32 v2, v2, v141 :: v_dual_add_f32 v1, v1, v3
	v_dual_add_f32 v2, v2, v130 :: v_dual_add_f32 v1, v1, v4
	s_delay_alu instid0(VALU_DEP_1) | instskip(NEXT) | instid1(VALU_DEP_1)
	v_add_f32_e32 v2, v2, v132
	v_dual_sub_f32 v1, v138, v1 :: v_dual_sub_f32 v2, v139, v2
	scratch_store_b64 off, v[1:2], off offset:64
	v_cmpx_lt_u32_e32 7, v0
	s_cbranch_execz .LBB114_305
; %bb.304:
	scratch_load_b64 v[1:2], off, off offset:56
	v_mov_b32_e32 v3, 0
	s_delay_alu instid0(VALU_DEP_1)
	v_mov_b32_e32 v4, v3
	scratch_store_b64 off, v[3:4], off offset:56
	s_wait_loadcnt 0x0
	ds_store_b64 v23, v[1:2]
.LBB114_305:
	s_wait_alu 0xfffe
	s_or_b32 exec_lo, exec_lo, s0
	s_wait_storecnt_dscnt 0x0
	s_barrier_signal -1
	s_barrier_wait -1
	global_inv scope:SCOPE_SE
	s_clause 0x4
	scratch_load_b128 v[5:8], off, off offset:64
	scratch_load_b128 v[1:4], off, off offset:80
	;; [unrolled: 1-line block ×5, first 2 shown]
	v_mov_b32_e32 v21, 0
	ds_load_b128 v[126:129], v21 offset:480
	ds_load_b128 v[130:133], v21 offset:496
	;; [unrolled: 1-line block ×3, first 2 shown]
	scratch_load_b64 v[138:139], off, off offset:56
	s_mov_b32 s0, exec_lo
	s_wait_loadcnt_dscnt 0x502
	v_mul_f32_e32 v22, v127, v6
	v_dual_mul_f32 v140, v126, v6 :: v_dual_mul_f32 v141, v128, v8
	v_mul_f32_e32 v6, v129, v8
	s_delay_alu instid0(VALU_DEP_3) | instskip(NEXT) | instid1(VALU_DEP_3)
	v_fma_f32 v22, v126, v5, -v22
	v_dual_fmac_f32 v140, v127, v5 :: v_dual_fmac_f32 v141, v129, v7
	s_wait_loadcnt_dscnt 0x401
	v_mul_f32_e32 v127, v130, v2
	v_fma_f32 v126, v128, v7, -v6
	ds_load_b128 v[5:8], v21 offset:528
	s_wait_loadcnt_dscnt 0x301
	v_dual_mul_f32 v128, v132, v4 :: v_dual_mul_f32 v129, v134, v10
	v_dual_mul_f32 v4, v133, v4 :: v_dual_fmac_f32 v127, v131, v1
	v_mul_f32_e32 v10, v135, v10
	s_delay_alu instid0(VALU_DEP_3)
	v_dual_mul_f32 v142, v136, v12 :: v_dual_fmac_f32 v129, v135, v9
	v_mul_f32_e32 v12, v137, v12
	v_mul_f32_e32 v2, v131, v2
	v_fmac_f32_e32 v128, v133, v3
	v_fma_f32 v131, v132, v3, -v4
	v_fma_f32 v132, v134, v9, -v10
	v_fmac_f32_e32 v142, v137, v11
	v_fma_f32 v133, v136, v11, -v12
	ds_load_b128 v[9:12], v21 offset:544
	s_wait_loadcnt_dscnt 0x201
	v_dual_mul_f32 v135, v7, v16 :: v_dual_mul_f32 v134, v5, v14
	v_mul_f32_e32 v14, v6, v14
	v_mul_f32_e32 v16, v8, v16
	s_delay_alu instid0(VALU_DEP_3)
	v_fmac_f32_e32 v135, v8, v15
	v_fma_f32 v130, v130, v1, -v2
	scratch_load_b128 v[1:4], off, off offset:144
	v_fmac_f32_e32 v134, v6, v13
	v_fma_f32 v13, v5, v13, -v14
	v_fma_f32 v14, v7, v15, -v16
	ds_load_b128 v[5:8], v21 offset:560
	s_wait_loadcnt_dscnt 0x201
	v_mul_f32_e32 v15, v9, v18
	v_mul_f32_e32 v16, v10, v18
	;; [unrolled: 1-line block ×3, first 2 shown]
	s_delay_alu instid0(VALU_DEP_3) | instskip(NEXT) | instid1(VALU_DEP_3)
	v_dual_mul_f32 v20, v12, v20 :: v_dual_fmac_f32 v15, v10, v17
	v_fma_f32 v16, v9, v17, -v16
	s_delay_alu instid0(VALU_DEP_3) | instskip(NEXT) | instid1(VALU_DEP_3)
	v_fmac_f32_e32 v18, v12, v19
	v_fma_f32 v17, v11, v19, -v20
	scratch_load_b128 v[9:12], off, off offset:160
	s_wait_loadcnt_dscnt 0x100
	v_mul_f32_e32 v19, v5, v2
	v_mul_f32_e32 v2, v6, v2
	;; [unrolled: 1-line block ×3, first 2 shown]
	s_delay_alu instid0(VALU_DEP_3) | instskip(NEXT) | instid1(VALU_DEP_3)
	v_dual_mul_f32 v4, v8, v4 :: v_dual_fmac_f32 v19, v6, v1
	v_fma_f32 v136, v5, v1, -v2
	s_delay_alu instid0(VALU_DEP_3) | instskip(NEXT) | instid1(VALU_DEP_3)
	v_fmac_f32_e32 v20, v8, v3
	v_fma_f32 v137, v7, v3, -v4
	ds_load_b128 v[1:4], v21 offset:576
	ds_load_b128 v[5:8], v21 offset:592
	s_wait_loadcnt_dscnt 0x1
	v_mul_f32_e32 v143, v1, v10
	v_mul_f32_e32 v10, v2, v10
	s_delay_alu instid0(VALU_DEP_2) | instskip(NEXT) | instid1(VALU_DEP_2)
	v_dual_mul_f32 v144, v3, v12 :: v_dual_fmac_f32 v143, v2, v9
	v_fma_f32 v145, v1, v9, -v10
	v_mul_f32_e32 v1, v4, v12
	s_delay_alu instid0(VALU_DEP_3) | instskip(NEXT) | instid1(VALU_DEP_2)
	v_fmac_f32_e32 v144, v4, v11
	v_fma_f32 v146, v3, v11, -v1
	s_clause 0x1
	scratch_load_b128 v[1:4], off, off offset:176
	scratch_load_b128 v[9:12], off, off offset:192
	s_wait_loadcnt_dscnt 0x100
	v_mul_f32_e32 v147, v5, v2
	v_dual_mul_f32 v2, v6, v2 :: v_dual_mul_f32 v149, v7, v4
	s_delay_alu instid0(VALU_DEP_2) | instskip(NEXT) | instid1(VALU_DEP_2)
	v_fmac_f32_e32 v147, v6, v1
	v_fma_f32 v148, v5, v1, -v2
	v_mul_f32_e32 v1, v8, v4
	s_delay_alu instid0(VALU_DEP_4) | instskip(NEXT) | instid1(VALU_DEP_2)
	v_fmac_f32_e32 v149, v8, v3
	v_fma_f32 v150, v7, v3, -v1
	ds_load_b128 v[1:4], v21 offset:608
	ds_load_b128 v[5:8], v21 offset:624
	s_wait_loadcnt_dscnt 0x1
	v_mul_f32_e32 v151, v1, v10
	v_mul_f32_e32 v153, v3, v12
	s_delay_alu instid0(VALU_DEP_2) | instskip(NEXT) | instid1(VALU_DEP_2)
	v_fmac_f32_e32 v151, v2, v9
	v_dual_mul_f32 v2, v2, v10 :: v_dual_fmac_f32 v153, v4, v11
	s_delay_alu instid0(VALU_DEP_1) | instskip(SKIP_1) | instid1(VALU_DEP_1)
	v_fma_f32 v152, v1, v9, -v2
	v_mul_f32_e32 v1, v4, v12
	v_fma_f32 v154, v3, v11, -v1
	s_clause 0x1
	scratch_load_b128 v[1:4], off, off offset:208
	scratch_load_b128 v[9:12], off, off offset:224
	s_wait_loadcnt_dscnt 0x100
	v_mul_f32_e32 v155, v5, v2
	v_dual_mul_f32 v157, v7, v4 :: v_dual_mul_f32 v2, v6, v2
	s_delay_alu instid0(VALU_DEP_2) | instskip(NEXT) | instid1(VALU_DEP_2)
	v_fmac_f32_e32 v155, v6, v1
	v_fmac_f32_e32 v157, v8, v3
	s_delay_alu instid0(VALU_DEP_3) | instskip(SKIP_1) | instid1(VALU_DEP_1)
	v_fma_f32 v156, v5, v1, -v2
	v_mul_f32_e32 v1, v8, v4
	v_fma_f32 v158, v7, v3, -v1
	ds_load_b128 v[1:4], v21 offset:640
	ds_load_b128 v[5:8], v21 offset:656
	s_wait_loadcnt_dscnt 0x1
	v_mul_f32_e32 v159, v1, v10
	v_mul_f32_e32 v161, v3, v12
	s_delay_alu instid0(VALU_DEP_2) | instskip(NEXT) | instid1(VALU_DEP_2)
	v_fmac_f32_e32 v159, v2, v9
	v_dual_mul_f32 v2, v2, v10 :: v_dual_fmac_f32 v161, v4, v11
	s_delay_alu instid0(VALU_DEP_1) | instskip(SKIP_1) | instid1(VALU_DEP_1)
	v_fma_f32 v160, v1, v9, -v2
	v_mul_f32_e32 v1, v4, v12
	v_fma_f32 v162, v3, v11, -v1
	s_clause 0x1
	scratch_load_b128 v[1:4], off, off offset:240
	scratch_load_b128 v[9:12], off, off offset:256
	s_wait_loadcnt_dscnt 0x100
	v_mul_f32_e32 v163, v5, v2
	v_dual_mul_f32 v2, v6, v2 :: v_dual_mul_f32 v165, v7, v4
	s_delay_alu instid0(VALU_DEP_2) | instskip(NEXT) | instid1(VALU_DEP_2)
	v_fmac_f32_e32 v163, v6, v1
	v_fma_f32 v164, v5, v1, -v2
	v_mul_f32_e32 v1, v8, v4
	s_delay_alu instid0(VALU_DEP_4) | instskip(NEXT) | instid1(VALU_DEP_2)
	v_fmac_f32_e32 v165, v8, v3
	v_fma_f32 v166, v7, v3, -v1
	ds_load_b128 v[1:4], v21 offset:672
	ds_load_b128 v[5:8], v21 offset:688
	s_wait_loadcnt_dscnt 0x1
	v_mul_f32_e32 v167, v1, v10
	v_mul_f32_e32 v169, v3, v12
	s_delay_alu instid0(VALU_DEP_2) | instskip(NEXT) | instid1(VALU_DEP_2)
	v_fmac_f32_e32 v167, v2, v9
	v_dual_mul_f32 v2, v2, v10 :: v_dual_fmac_f32 v169, v4, v11
	s_delay_alu instid0(VALU_DEP_1) | instskip(SKIP_1) | instid1(VALU_DEP_1)
	v_fma_f32 v168, v1, v9, -v2
	v_mul_f32_e32 v1, v4, v12
	v_fma_f32 v170, v3, v11, -v1
	s_clause 0x1
	scratch_load_b128 v[1:4], off, off offset:272
	scratch_load_b128 v[9:12], off, off offset:288
	s_wait_loadcnt_dscnt 0x100
	v_mul_f32_e32 v171, v5, v2
	v_dual_mul_f32 v2, v6, v2 :: v_dual_mul_f32 v173, v7, v4
	s_delay_alu instid0(VALU_DEP_2) | instskip(NEXT) | instid1(VALU_DEP_2)
	v_fmac_f32_e32 v171, v6, v1
	v_fma_f32 v172, v5, v1, -v2
	v_mul_f32_e32 v1, v8, v4
	s_delay_alu instid0(VALU_DEP_4) | instskip(NEXT) | instid1(VALU_DEP_2)
	v_fmac_f32_e32 v173, v8, v3
	v_fma_f32 v174, v7, v3, -v1
	ds_load_b128 v[1:4], v21 offset:704
	ds_load_b128 v[5:8], v21 offset:720
	s_wait_loadcnt_dscnt 0x1
	v_mul_f32_e32 v175, v1, v10
	v_mul_f32_e32 v177, v3, v12
	s_delay_alu instid0(VALU_DEP_2) | instskip(NEXT) | instid1(VALU_DEP_2)
	v_fmac_f32_e32 v175, v2, v9
	v_dual_mul_f32 v2, v2, v10 :: v_dual_fmac_f32 v177, v4, v11
	s_delay_alu instid0(VALU_DEP_1) | instskip(SKIP_1) | instid1(VALU_DEP_1)
	v_fma_f32 v176, v1, v9, -v2
	v_mul_f32_e32 v1, v4, v12
	v_fma_f32 v178, v3, v11, -v1
	s_clause 0x1
	scratch_load_b128 v[1:4], off, off offset:304
	scratch_load_b128 v[9:12], off, off offset:320
	s_wait_loadcnt_dscnt 0x100
	v_mul_f32_e32 v179, v5, v2
	v_mul_f32_e32 v2, v6, v2
	s_delay_alu instid0(VALU_DEP_1) | instskip(SKIP_1) | instid1(VALU_DEP_1)
	v_fma_f32 v180, v5, v1, -v2
	v_add_f32_e32 v2, 0, v140
	v_add_f32_e32 v2, v2, v141
	s_delay_alu instid0(VALU_DEP_1) | instskip(NEXT) | instid1(VALU_DEP_1)
	v_add_f32_e32 v2, v2, v127
	v_add_f32_e32 v2, v2, v128
	s_delay_alu instid0(VALU_DEP_1) | instskip(NEXT) | instid1(VALU_DEP_1)
	;; [unrolled: 3-line block ×7, first 2 shown]
	v_add_f32_e32 v2, v2, v147
	v_add_f32_e32 v2, v2, v149
	v_fmac_f32_e32 v179, v6, v1
	v_mul_f32_e32 v1, v8, v4
	s_delay_alu instid0(VALU_DEP_3) | instskip(NEXT) | instid1(VALU_DEP_2)
	v_dual_mul_f32 v181, v7, v4 :: v_dual_add_f32 v2, v2, v151
	v_fma_f32 v182, v7, v3, -v1
	v_add_f32_e32 v1, 0, v22
	s_delay_alu instid0(VALU_DEP_3) | instskip(NEXT) | instid1(VALU_DEP_2)
	v_add_f32_e32 v5, v2, v153
	v_add_f32_e32 v1, v1, v126
	s_delay_alu instid0(VALU_DEP_1) | instskip(NEXT) | instid1(VALU_DEP_1)
	v_add_f32_e32 v1, v1, v130
	v_add_f32_e32 v1, v1, v131
	scratch_load_b64 v[130:131], off, off offset:400
	v_add_f32_e32 v1, v1, v132
	s_delay_alu instid0(VALU_DEP_1) | instskip(NEXT) | instid1(VALU_DEP_1)
	v_add_f32_e32 v1, v1, v133
	v_add_f32_e32 v1, v1, v13
	;; [unrolled: 1-line block ×3, first 2 shown]
	s_delay_alu instid0(VALU_DEP_2) | instskip(NEXT) | instid1(VALU_DEP_2)
	v_add_f32_e32 v1, v1, v14
	v_add_f32_e32 v13, v13, v157
	s_delay_alu instid0(VALU_DEP_2) | instskip(NEXT) | instid1(VALU_DEP_1)
	v_add_f32_e32 v1, v1, v16
	v_add_f32_e32 v1, v1, v17
	s_delay_alu instid0(VALU_DEP_1) | instskip(NEXT) | instid1(VALU_DEP_1)
	v_add_f32_e32 v1, v1, v136
	v_add_f32_e32 v1, v1, v137
	s_delay_alu instid0(VALU_DEP_1) | instskip(NEXT) | instid1(VALU_DEP_1)
	;; [unrolled: 3-line block ×4, first 2 shown]
	v_add_f32_e32 v1, v1, v152
	v_add_f32_e32 v1, v1, v154
	s_delay_alu instid0(VALU_DEP_1)
	v_dual_add_f32 v6, v1, v156 :: v_dual_fmac_f32 v181, v8, v3
	scratch_load_b128 v[1:4], off, off offset:336
	v_dual_add_f32 v13, v13, v159 :: v_dual_add_f32 v14, v6, v158
	ds_load_b128 v[5:8], v21 offset:736
	v_add_f32_e32 v18, v13, v161
	v_add_f32_e32 v14, v14, v160
	s_delay_alu instid0(VALU_DEP_1)
	v_add_f32_e32 v17, v14, v162
	ds_load_b128 v[13:16], v21 offset:752
	s_wait_loadcnt_dscnt 0x201
	v_mul_f32_e32 v22, v5, v10
	v_add_f32_e32 v18, v18, v163
	v_mul_f32_e32 v10, v6, v10
	v_mul_f32_e32 v134, v7, v12
	;; [unrolled: 1-line block ×3, first 2 shown]
	v_fmac_f32_e32 v22, v6, v9
	v_add_f32_e32 v18, v18, v165
	v_fma_f32 v135, v5, v9, -v10
	v_fmac_f32_e32 v134, v8, v11
	v_fma_f32 v136, v7, v11, -v12
	scratch_load_b128 v[9:12], off, off offset:368
	v_add_f32_e32 v126, v18, v167
	scratch_load_b128 v[5:8], off, off offset:352
	v_add_f32_e32 v126, v126, v169
	s_delay_alu instid0(VALU_DEP_1) | instskip(SKIP_1) | instid1(VALU_DEP_1)
	v_add_f32_e32 v126, v126, v171
	s_wait_loadcnt_dscnt 0x200
	v_dual_add_f32 v126, v126, v173 :: v_dual_mul_f32 v137, v13, v2
	v_mul_f32_e32 v2, v14, v2
	v_mul_f32_e32 v140, v15, v4
	s_delay_alu instid0(VALU_DEP_3) | instskip(NEXT) | instid1(VALU_DEP_3)
	v_dual_mul_f32 v4, v16, v4 :: v_dual_fmac_f32 v137, v14, v1
	v_fma_f32 v141, v13, v1, -v2
	v_add_f32_e32 v13, v126, v175
	s_delay_alu instid0(VALU_DEP_4) | instskip(NEXT) | instid1(VALU_DEP_4)
	v_fmac_f32_e32 v140, v16, v3
	v_fma_f32 v142, v15, v3, -v4
	ds_load_b128 v[1:4], v21 offset:768
	v_add_f32_e32 v126, v13, v177
	v_add_f32_e32 v17, v17, v164
	s_delay_alu instid0(VALU_DEP_2) | instskip(NEXT) | instid1(VALU_DEP_1)
	v_add_f32_e32 v133, v126, v179
	v_add_f32_e32 v144, v133, v181
	s_delay_alu instid0(VALU_DEP_1) | instskip(NEXT) | instid1(VALU_DEP_1)
	v_add_f32_e32 v22, v144, v22
	v_add_f32_e32 v22, v22, v134
	s_delay_alu instid0(VALU_DEP_1) | instskip(NEXT) | instid1(VALU_DEP_1)
	v_dual_add_f32 v22, v22, v137 :: v_dual_add_f32 v17, v17, v166
	v_add_f32_e32 v22, v22, v140
	s_delay_alu instid0(VALU_DEP_2) | instskip(NEXT) | instid1(VALU_DEP_1)
	v_add_f32_e32 v17, v17, v168
	v_add_f32_e32 v127, v17, v170
	scratch_load_b128 v[17:20], off, off offset:384
	v_add_f32_e32 v127, v127, v172
	s_delay_alu instid0(VALU_DEP_1) | instskip(NEXT) | instid1(VALU_DEP_1)
	v_add_f32_e32 v127, v127, v174
	v_add_f32_e32 v127, v127, v176
	s_delay_alu instid0(VALU_DEP_1)
	v_add_f32_e32 v14, v127, v178
	ds_load_b128 v[126:129], v21 offset:800
	v_add_f32_e32 v132, v14, v180
	ds_load_b128 v[13:16], v21 offset:784
	s_wait_loadcnt_dscnt 0x102
	v_mul_f32_e32 v134, v3, v8
	v_mul_f32_e32 v8, v4, v8
	s_wait_dscnt 0x0
	s_delay_alu instid0(VALU_DEP_2) | instskip(NEXT) | instid1(VALU_DEP_1)
	v_dual_fmac_f32 v134, v4, v7 :: v_dual_mul_f32 v137, v15, v12
	v_fmac_f32_e32 v137, v16, v11
	v_add_f32_e32 v143, v132, v182
	ds_load_b64 v[132:133], v21 offset:816
	s_wait_dscnt 0x0
	v_mul_f32_e32 v140, v132, v131
	s_delay_alu instid0(VALU_DEP_1) | instskip(NEXT) | instid1(VALU_DEP_1)
	v_dual_add_f32 v135, v143, v135 :: v_dual_fmac_f32 v140, v133, v130
	v_add_f32_e32 v135, v135, v136
	v_mul_f32_e32 v143, v1, v6
	v_mul_f32_e32 v6, v2, v6
	s_delay_alu instid0(VALU_DEP_3) | instskip(NEXT) | instid1(VALU_DEP_3)
	v_dual_mul_f32 v136, v13, v10 :: v_dual_add_f32 v135, v135, v141
	v_fmac_f32_e32 v143, v2, v5
	s_delay_alu instid0(VALU_DEP_3) | instskip(SKIP_2) | instid1(VALU_DEP_4)
	v_fma_f32 v1, v1, v5, -v6
	v_fma_f32 v2, v3, v7, -v8
	v_mul_f32_e32 v3, v14, v10
	v_dual_add_f32 v135, v135, v142 :: v_dual_add_f32 v4, v22, v143
	v_dual_mul_f32 v5, v16, v12 :: v_dual_fmac_f32 v136, v14, v9
	s_delay_alu instid0(VALU_DEP_3) | instskip(NEXT) | instid1(VALU_DEP_3)
	v_fma_f32 v3, v13, v9, -v3
	v_add_f32_e32 v1, v135, v1
	s_delay_alu instid0(VALU_DEP_3) | instskip(NEXT) | instid1(VALU_DEP_2)
	v_fma_f32 v5, v15, v11, -v5
	v_add_f32_e32 v1, v1, v2
	s_delay_alu instid0(VALU_DEP_1) | instskip(NEXT) | instid1(VALU_DEP_1)
	v_dual_add_f32 v2, v4, v134 :: v_dual_add_f32 v1, v1, v3
	v_dual_add_f32 v2, v2, v136 :: v_dual_add_f32 v1, v1, v5
	s_delay_alu instid0(VALU_DEP_1)
	v_dual_add_f32 v2, v2, v137 :: v_dual_mul_f32 v5, v133, v131
	s_wait_loadcnt 0x0
	v_mul_f32_e32 v141, v126, v18
	v_mul_f32_e32 v4, v127, v18
	;; [unrolled: 1-line block ×4, first 2 shown]
	s_delay_alu instid0(VALU_DEP_4) | instskip(NEXT) | instid1(VALU_DEP_4)
	v_fmac_f32_e32 v141, v127, v17
	v_fma_f32 v4, v126, v17, -v4
	s_delay_alu instid0(VALU_DEP_4) | instskip(NEXT) | instid1(VALU_DEP_4)
	v_fmac_f32_e32 v142, v129, v19
	v_fma_f32 v3, v128, v19, -v3
	s_delay_alu instid0(VALU_DEP_3) | instskip(SKIP_1) | instid1(VALU_DEP_2)
	v_dual_add_f32 v2, v2, v141 :: v_dual_add_f32 v1, v1, v4
	v_fma_f32 v4, v132, v130, -v5
	v_dual_add_f32 v2, v2, v142 :: v_dual_add_f32 v1, v1, v3
	s_delay_alu instid0(VALU_DEP_1) | instskip(NEXT) | instid1(VALU_DEP_1)
	v_add_f32_e32 v2, v2, v140
	v_dual_add_f32 v1, v1, v4 :: v_dual_sub_f32 v2, v139, v2
	s_delay_alu instid0(VALU_DEP_1)
	v_sub_f32_e32 v1, v138, v1
	scratch_store_b64 off, v[1:2], off offset:56
	v_cmpx_lt_u32_e32 6, v0
	s_cbranch_execz .LBB114_307
; %bb.306:
	scratch_load_b64 v[1:2], off, off offset:48
	v_mov_b32_e32 v22, v21
	scratch_store_b64 off, v[21:22], off offset:48
	s_wait_loadcnt 0x0
	ds_store_b64 v23, v[1:2]
.LBB114_307:
	s_wait_alu 0xfffe
	s_or_b32 exec_lo, exec_lo, s0
	s_wait_storecnt_dscnt 0x0
	s_barrier_signal -1
	s_barrier_wait -1
	global_inv scope:SCOPE_SE
	s_clause 0x4
	scratch_load_b128 v[5:8], off, off offset:56
	scratch_load_b128 v[1:4], off, off offset:72
	;; [unrolled: 1-line block ×5, first 2 shown]
	ds_load_2addr_b64 v[126:129], v21 offset0:59 offset1:60
	ds_load_2addr_b64 v[130:133], v21 offset0:61 offset1:62
	;; [unrolled: 1-line block ×3, first 2 shown]
	scratch_load_b64 v[138:139], off, off offset:48
	s_mov_b32 s0, exec_lo
	s_wait_loadcnt_dscnt 0x502
	v_dual_mul_f32 v22, v127, v6 :: v_dual_mul_f32 v141, v128, v8
	v_mul_f32_e32 v140, v126, v6
	v_mul_f32_e32 v6, v129, v8
	s_wait_loadcnt_dscnt 0x300
	v_mul_f32_e32 v142, v136, v12
	v_fma_f32 v22, v126, v5, -v22
	v_dual_fmac_f32 v141, v129, v7 :: v_dual_fmac_f32 v140, v127, v5
	v_mul_f32_e32 v129, v134, v10
	v_mul_f32_e32 v127, v130, v2
	v_fma_f32 v126, v128, v7, -v6
	ds_load_2addr_b64 v[5:8], v21 offset0:65 offset1:66
	v_mul_f32_e32 v128, v132, v4
	v_dual_mul_f32 v4, v133, v4 :: v_dual_fmac_f32 v129, v135, v9
	v_mul_f32_e32 v10, v135, v10
	v_mul_f32_e32 v12, v137, v12
	v_mul_f32_e32 v2, v131, v2
	v_dual_fmac_f32 v127, v131, v1 :: v_dual_fmac_f32 v128, v133, v3
	v_fma_f32 v131, v132, v3, -v4
	v_fma_f32 v132, v134, v9, -v10
	v_fmac_f32_e32 v142, v137, v11
	v_fma_f32 v133, v136, v11, -v12
	ds_load_2addr_b64 v[9:12], v21 offset0:67 offset1:68
	s_wait_loadcnt_dscnt 0x201
	v_dual_mul_f32 v135, v7, v16 :: v_dual_mul_f32 v134, v5, v14
	s_delay_alu instid0(VALU_DEP_1)
	v_dual_mul_f32 v14, v6, v14 :: v_dual_fmac_f32 v135, v8, v15
	v_fma_f32 v130, v130, v1, -v2
	scratch_load_b128 v[1:4], off, off offset:136
	v_mul_f32_e32 v16, v8, v16
	v_fmac_f32_e32 v134, v6, v13
	v_fma_f32 v13, v5, v13, -v14
	s_delay_alu instid0(VALU_DEP_3)
	v_fma_f32 v14, v7, v15, -v16
	s_wait_loadcnt_dscnt 0x200
	v_mul_f32_e32 v15, v9, v18
	v_mul_f32_e32 v16, v10, v18
	;; [unrolled: 1-line block ×4, first 2 shown]
	ds_load_2addr_b64 v[5:8], v21 offset0:69 offset1:70
	v_fmac_f32_e32 v15, v10, v17
	v_fma_f32 v16, v9, v17, -v16
	v_fmac_f32_e32 v18, v12, v19
	v_fma_f32 v17, v11, v19, -v20
	scratch_load_b128 v[9:12], off, off offset:152
	s_wait_loadcnt_dscnt 0x100
	v_mul_f32_e32 v19, v5, v2
	v_mul_f32_e32 v2, v6, v2
	;; [unrolled: 1-line block ×3, first 2 shown]
	s_delay_alu instid0(VALU_DEP_3) | instskip(NEXT) | instid1(VALU_DEP_3)
	v_dual_mul_f32 v4, v8, v4 :: v_dual_fmac_f32 v19, v6, v1
	v_fma_f32 v136, v5, v1, -v2
	s_delay_alu instid0(VALU_DEP_3) | instskip(NEXT) | instid1(VALU_DEP_3)
	v_fmac_f32_e32 v20, v8, v3
	v_fma_f32 v137, v7, v3, -v4
	ds_load_2addr_b64 v[1:4], v21 offset0:71 offset1:72
	ds_load_2addr_b64 v[5:8], v21 offset0:73 offset1:74
	s_wait_loadcnt_dscnt 0x1
	v_mul_f32_e32 v143, v1, v10
	v_mul_f32_e32 v10, v2, v10
	s_delay_alu instid0(VALU_DEP_2) | instskip(NEXT) | instid1(VALU_DEP_2)
	v_dual_mul_f32 v144, v3, v12 :: v_dual_fmac_f32 v143, v2, v9
	v_fma_f32 v145, v1, v9, -v10
	v_mul_f32_e32 v1, v4, v12
	s_delay_alu instid0(VALU_DEP_3) | instskip(NEXT) | instid1(VALU_DEP_2)
	v_fmac_f32_e32 v144, v4, v11
	v_fma_f32 v146, v3, v11, -v1
	s_clause 0x1
	scratch_load_b128 v[1:4], off, off offset:168
	scratch_load_b128 v[9:12], off, off offset:184
	s_wait_loadcnt_dscnt 0x100
	v_mul_f32_e32 v147, v5, v2
	v_dual_mul_f32 v2, v6, v2 :: v_dual_mul_f32 v149, v7, v4
	s_delay_alu instid0(VALU_DEP_2) | instskip(NEXT) | instid1(VALU_DEP_2)
	v_fmac_f32_e32 v147, v6, v1
	v_fma_f32 v148, v5, v1, -v2
	v_mul_f32_e32 v1, v8, v4
	s_delay_alu instid0(VALU_DEP_4) | instskip(NEXT) | instid1(VALU_DEP_2)
	v_fmac_f32_e32 v149, v8, v3
	v_fma_f32 v150, v7, v3, -v1
	ds_load_2addr_b64 v[1:4], v21 offset0:75 offset1:76
	ds_load_2addr_b64 v[5:8], v21 offset0:77 offset1:78
	s_wait_loadcnt_dscnt 0x1
	v_mul_f32_e32 v151, v1, v10
	v_mul_f32_e32 v153, v3, v12
	s_delay_alu instid0(VALU_DEP_2) | instskip(NEXT) | instid1(VALU_DEP_2)
	v_fmac_f32_e32 v151, v2, v9
	v_dual_mul_f32 v2, v2, v10 :: v_dual_fmac_f32 v153, v4, v11
	s_delay_alu instid0(VALU_DEP_1) | instskip(SKIP_1) | instid1(VALU_DEP_1)
	v_fma_f32 v152, v1, v9, -v2
	v_mul_f32_e32 v1, v4, v12
	v_fma_f32 v154, v3, v11, -v1
	s_clause 0x1
	scratch_load_b128 v[1:4], off, off offset:200
	scratch_load_b128 v[9:12], off, off offset:216
	s_wait_loadcnt_dscnt 0x100
	v_mul_f32_e32 v155, v5, v2
	v_dual_mul_f32 v2, v6, v2 :: v_dual_mul_f32 v157, v7, v4
	s_delay_alu instid0(VALU_DEP_2) | instskip(NEXT) | instid1(VALU_DEP_2)
	v_fmac_f32_e32 v155, v6, v1
	v_fma_f32 v156, v5, v1, -v2
	v_mul_f32_e32 v1, v8, v4
	s_delay_alu instid0(VALU_DEP_4) | instskip(NEXT) | instid1(VALU_DEP_2)
	v_fmac_f32_e32 v157, v8, v3
	v_fma_f32 v158, v7, v3, -v1
	ds_load_2addr_b64 v[1:4], v21 offset0:79 offset1:80
	ds_load_2addr_b64 v[5:8], v21 offset0:81 offset1:82
	s_wait_loadcnt_dscnt 0x1
	v_mul_f32_e32 v159, v1, v10
	v_mul_f32_e32 v161, v3, v12
	s_delay_alu instid0(VALU_DEP_2) | instskip(NEXT) | instid1(VALU_DEP_2)
	v_fmac_f32_e32 v159, v2, v9
	v_dual_mul_f32 v2, v2, v10 :: v_dual_fmac_f32 v161, v4, v11
	s_delay_alu instid0(VALU_DEP_1) | instskip(SKIP_1) | instid1(VALU_DEP_1)
	v_fma_f32 v160, v1, v9, -v2
	v_mul_f32_e32 v1, v4, v12
	;; [unrolled: 25-line block ×5, first 2 shown]
	v_fma_f32 v186, v3, v11, -v1
	s_clause 0x1
	scratch_load_b128 v[1:4], off, off offset:328
	scratch_load_b128 v[9:12], off, off offset:344
	s_wait_loadcnt_dscnt 0x100
	v_mul_f32_e32 v187, v5, v2
	v_mul_f32_e32 v2, v6, v2
	s_delay_alu instid0(VALU_DEP_2) | instskip(NEXT) | instid1(VALU_DEP_2)
	v_fmac_f32_e32 v187, v6, v1
	v_fma_f32 v188, v5, v1, -v2
	v_add_f32_e32 v2, 0, v140
	s_delay_alu instid0(VALU_DEP_1) | instskip(NEXT) | instid1(VALU_DEP_1)
	v_dual_mul_f32 v1, v8, v4 :: v_dual_add_f32 v2, v2, v141
	v_fma_f32 v190, v7, v3, -v1
	s_delay_alu instid0(VALU_DEP_2) | instskip(NEXT) | instid1(VALU_DEP_1)
	v_dual_add_f32 v1, 0, v22 :: v_dual_add_f32 v2, v2, v127
	v_dual_add_f32 v1, v1, v126 :: v_dual_add_f32 v2, v2, v128
	s_delay_alu instid0(VALU_DEP_1) | instskip(NEXT) | instid1(VALU_DEP_1)
	v_dual_add_f32 v1, v1, v130 :: v_dual_add_f32 v2, v2, v129
	v_dual_add_f32 v1, v1, v131 :: v_dual_add_f32 v2, v2, v142
	s_delay_alu instid0(VALU_DEP_1) | instskip(NEXT) | instid1(VALU_DEP_1)
	v_add_f32_e32 v2, v2, v134
	v_add_f32_e32 v2, v2, v135
	s_delay_alu instid0(VALU_DEP_1) | instskip(NEXT) | instid1(VALU_DEP_1)
	v_add_f32_e32 v2, v2, v15
	v_add_f32_e32 v2, v2, v18
	;; [unrolled: 3-line block ×4, first 2 shown]
	s_delay_alu instid0(VALU_DEP_1) | instskip(NEXT) | instid1(VALU_DEP_1)
	v_dual_add_f32 v1, v1, v132 :: v_dual_add_f32 v2, v2, v147
	v_add_f32_e32 v1, v1, v133
	s_delay_alu instid0(VALU_DEP_2) | instskip(NEXT) | instid1(VALU_DEP_1)
	v_add_f32_e32 v2, v2, v149
	v_dual_add_f32 v1, v1, v13 :: v_dual_add_f32 v2, v2, v151
	s_delay_alu instid0(VALU_DEP_1) | instskip(NEXT) | instid1(VALU_DEP_1)
	v_dual_add_f32 v1, v1, v14 :: v_dual_add_f32 v2, v2, v153
	v_dual_add_f32 v1, v1, v16 :: v_dual_add_f32 v2, v2, v155
	s_delay_alu instid0(VALU_DEP_1) | instskip(NEXT) | instid1(VALU_DEP_1)
	v_add_f32_e32 v1, v1, v17
	v_dual_add_f32 v2, v2, v157 :: v_dual_add_f32 v1, v1, v136
	s_delay_alu instid0(VALU_DEP_1) | instskip(NEXT) | instid1(VALU_DEP_1)
	v_add_f32_e32 v1, v1, v137
	v_add_f32_e32 v1, v1, v145
	s_delay_alu instid0(VALU_DEP_1) | instskip(NEXT) | instid1(VALU_DEP_1)
	v_add_f32_e32 v1, v1, v146
	v_add_f32_e32 v1, v1, v148
	;; [unrolled: 3-line block ×5, first 2 shown]
	s_delay_alu instid0(VALU_DEP_1) | instskip(NEXT) | instid1(VALU_DEP_1)
	v_dual_add_f32 v6, v1, v162 :: v_dual_add_f32 v5, v2, v159
	v_dual_add_f32 v6, v6, v164 :: v_dual_add_f32 v5, v5, v161
	s_delay_alu instid0(VALU_DEP_1) | instskip(NEXT) | instid1(VALU_DEP_2)
	v_add_f32_e32 v13, v6, v166
	v_add_f32_e32 v5, v5, v163
	v_mul_f32_e32 v189, v7, v4
	s_delay_alu instid0(VALU_DEP_3) | instskip(NEXT) | instid1(VALU_DEP_2)
	v_add_f32_e32 v13, v13, v168
	v_dual_add_f32 v14, v5, v165 :: v_dual_fmac_f32 v189, v8, v3
	ds_load_2addr_b64 v[1:4], v21 offset0:95 offset1:96
	ds_load_2addr_b64 v[5:8], v21 offset0:97 offset1:98
	v_add_f32_e32 v13, v13, v170
	s_delay_alu instid0(VALU_DEP_1) | instskip(NEXT) | instid1(VALU_DEP_1)
	v_add_f32_e32 v13, v13, v172
	v_add_f32_e32 v18, v13, v174
	s_delay_alu instid0(VALU_DEP_1)
	v_add_f32_e32 v18, v18, v176
	s_wait_loadcnt_dscnt 0x1
	v_mul_f32_e32 v22, v1, v10
	v_mul_f32_e32 v130, v3, v12
	;; [unrolled: 1-line block ×4, first 2 shown]
	v_add_f32_e32 v14, v14, v167
	v_fmac_f32_e32 v22, v2, v9
	v_fmac_f32_e32 v130, v4, v11
	v_fma_f32 v131, v1, v9, -v10
	v_fma_f32 v132, v3, v11, -v12
	s_clause 0x1
	scratch_load_b128 v[1:4], off, off offset:360
	scratch_load_b128 v[9:12], off, off offset:376
	v_add_f32_e32 v14, v14, v169
	v_add_f32_e32 v18, v18, v178
	s_delay_alu instid0(VALU_DEP_2) | instskip(SKIP_2) | instid1(VALU_DEP_1)
	v_add_f32_e32 v17, v14, v171
	scratch_load_b128 v[13:16], off, off offset:392
	v_dual_add_f32 v126, v18, v180 :: v_dual_add_f32 v17, v17, v173
	v_add_f32_e32 v133, v126, v182
	s_delay_alu instid0(VALU_DEP_2) | instskip(NEXT) | instid1(VALU_DEP_1)
	v_add_f32_e32 v17, v17, v175
	v_add_f32_e32 v17, v17, v177
	s_delay_alu instid0(VALU_DEP_1)
	v_add_f32_e32 v127, v17, v179
	ds_load_2addr_b64 v[17:20], v21 offset0:99 offset1:100
	v_add_f32_e32 v134, v127, v181
	ds_load_2addr_b64 v[126:129], v21 offset0:101 offset1:102
	v_add_f32_e32 v21, v133, v184
	v_add_f32_e32 v133, v134, v183
	s_delay_alu instid0(VALU_DEP_2) | instskip(NEXT) | instid1(VALU_DEP_2)
	v_add_f32_e32 v21, v21, v186
	v_add_f32_e32 v133, v133, v185
	s_delay_alu instid0(VALU_DEP_2) | instskip(NEXT) | instid1(VALU_DEP_1)
	v_add_f32_e32 v21, v21, v188
	v_add_f32_e32 v21, v21, v190
	s_delay_alu instid0(VALU_DEP_1)
	v_add_f32_e32 v21, v21, v131
	s_wait_loadcnt_dscnt 0x202
	v_mul_f32_e32 v134, v5, v2
	s_wait_loadcnt_dscnt 0x101
	v_mul_f32_e32 v136, v17, v10
	v_dual_add_f32 v133, v133, v187 :: v_dual_mul_f32 v2, v6, v2
	v_mul_f32_e32 v135, v7, v4
	v_mul_f32_e32 v4, v8, v4
	v_fmac_f32_e32 v134, v6, v1
	s_delay_alu instid0(VALU_DEP_4) | instskip(SKIP_2) | instid1(VALU_DEP_3)
	v_add_f32_e32 v133, v133, v189
	v_fma_f32 v2, v5, v1, -v2
	v_dual_add_f32 v1, v21, v132 :: v_dual_mul_f32 v6, v18, v10
	v_dual_fmac_f32 v135, v8, v3 :: v_dual_add_f32 v22, v133, v22
	v_fma_f32 v3, v7, v3, -v4
	s_delay_alu instid0(VALU_DEP_3) | instskip(SKIP_1) | instid1(VALU_DEP_4)
	v_add_f32_e32 v1, v1, v2
	v_mul_f32_e32 v137, v19, v12
	v_dual_mul_f32 v4, v20, v12 :: v_dual_add_f32 v5, v22, v130
	s_delay_alu instid0(VALU_DEP_3)
	v_dual_fmac_f32 v136, v18, v9 :: v_dual_add_f32 v1, v1, v3
	s_wait_loadcnt_dscnt 0x0
	v_mul_f32_e32 v140, v126, v14
	v_mul_f32_e32 v3, v127, v14
	v_add_f32_e32 v2, v5, v134
	v_fma_f32 v5, v17, v9, -v6
	v_fmac_f32_e32 v137, v20, v11
	v_fma_f32 v4, v19, v11, -v4
	s_delay_alu instid0(VALU_DEP_4) | instskip(NEXT) | instid1(VALU_DEP_4)
	v_dual_mul_f32 v131, v128, v16 :: v_dual_add_f32 v2, v2, v135
	v_add_f32_e32 v1, v1, v5
	v_dual_mul_f32 v5, v129, v16 :: v_dual_fmac_f32 v140, v127, v13
	v_fma_f32 v3, v126, v13, -v3
	s_delay_alu instid0(VALU_DEP_4) | instskip(NEXT) | instid1(VALU_DEP_4)
	v_add_f32_e32 v2, v2, v136
	v_add_f32_e32 v1, v1, v4
	v_fmac_f32_e32 v131, v129, v15
	v_fma_f32 v4, v128, v15, -v5
	s_delay_alu instid0(VALU_DEP_3) | instskip(NEXT) | instid1(VALU_DEP_1)
	v_dual_add_f32 v2, v2, v137 :: v_dual_add_f32 v1, v1, v3
	v_add_f32_e32 v2, v2, v140
	s_delay_alu instid0(VALU_DEP_1) | instskip(NEXT) | instid1(VALU_DEP_1)
	v_dual_add_f32 v1, v1, v4 :: v_dual_add_f32 v2, v2, v131
	v_dual_sub_f32 v1, v138, v1 :: v_dual_sub_f32 v2, v139, v2
	scratch_store_b64 off, v[1:2], off offset:48
	v_cmpx_lt_u32_e32 5, v0
	s_cbranch_execz .LBB114_309
; %bb.308:
	scratch_load_b64 v[1:2], off, off offset:40
	v_mov_b32_e32 v3, 0
	s_delay_alu instid0(VALU_DEP_1)
	v_mov_b32_e32 v4, v3
	scratch_store_b64 off, v[3:4], off offset:40
	s_wait_loadcnt 0x0
	ds_store_b64 v23, v[1:2]
.LBB114_309:
	s_wait_alu 0xfffe
	s_or_b32 exec_lo, exec_lo, s0
	s_wait_storecnt_dscnt 0x0
	s_barrier_signal -1
	s_barrier_wait -1
	global_inv scope:SCOPE_SE
	s_clause 0x4
	scratch_load_b128 v[5:8], off, off offset:48
	scratch_load_b128 v[1:4], off, off offset:64
	;; [unrolled: 1-line block ×5, first 2 shown]
	v_mov_b32_e32 v21, 0
	ds_load_b128 v[126:129], v21 offset:464
	ds_load_b128 v[130:133], v21 offset:480
	;; [unrolled: 1-line block ×3, first 2 shown]
	scratch_load_b64 v[138:139], off, off offset:40
	s_mov_b32 s0, exec_lo
	s_wait_loadcnt_dscnt 0x502
	v_mul_f32_e32 v22, v127, v6
	v_dual_mul_f32 v140, v126, v6 :: v_dual_mul_f32 v141, v128, v8
	v_mul_f32_e32 v6, v129, v8
	s_delay_alu instid0(VALU_DEP_3) | instskip(NEXT) | instid1(VALU_DEP_3)
	v_fma_f32 v22, v126, v5, -v22
	v_dual_fmac_f32 v140, v127, v5 :: v_dual_fmac_f32 v141, v129, v7
	s_wait_loadcnt_dscnt 0x401
	v_mul_f32_e32 v127, v130, v2
	v_fma_f32 v126, v128, v7, -v6
	ds_load_b128 v[5:8], v21 offset:512
	s_wait_loadcnt_dscnt 0x301
	v_dual_mul_f32 v128, v132, v4 :: v_dual_mul_f32 v129, v134, v10
	v_dual_mul_f32 v4, v133, v4 :: v_dual_fmac_f32 v127, v131, v1
	v_mul_f32_e32 v10, v135, v10
	s_delay_alu instid0(VALU_DEP_3)
	v_dual_mul_f32 v142, v136, v12 :: v_dual_fmac_f32 v129, v135, v9
	v_mul_f32_e32 v12, v137, v12
	v_mul_f32_e32 v2, v131, v2
	v_fmac_f32_e32 v128, v133, v3
	v_fma_f32 v131, v132, v3, -v4
	v_fma_f32 v132, v134, v9, -v10
	v_fmac_f32_e32 v142, v137, v11
	v_fma_f32 v133, v136, v11, -v12
	ds_load_b128 v[9:12], v21 offset:528
	s_wait_loadcnt_dscnt 0x201
	v_dual_mul_f32 v135, v7, v16 :: v_dual_mul_f32 v134, v5, v14
	v_mul_f32_e32 v14, v6, v14
	v_mul_f32_e32 v16, v8, v16
	s_delay_alu instid0(VALU_DEP_3)
	v_fmac_f32_e32 v135, v8, v15
	v_fma_f32 v130, v130, v1, -v2
	scratch_load_b128 v[1:4], off, off offset:128
	v_fmac_f32_e32 v134, v6, v13
	v_fma_f32 v13, v5, v13, -v14
	v_fma_f32 v14, v7, v15, -v16
	ds_load_b128 v[5:8], v21 offset:544
	s_wait_loadcnt_dscnt 0x201
	v_mul_f32_e32 v15, v9, v18
	v_mul_f32_e32 v16, v10, v18
	;; [unrolled: 1-line block ×3, first 2 shown]
	s_delay_alu instid0(VALU_DEP_3) | instskip(NEXT) | instid1(VALU_DEP_3)
	v_dual_mul_f32 v20, v12, v20 :: v_dual_fmac_f32 v15, v10, v17
	v_fma_f32 v16, v9, v17, -v16
	s_delay_alu instid0(VALU_DEP_3) | instskip(NEXT) | instid1(VALU_DEP_3)
	v_fmac_f32_e32 v18, v12, v19
	v_fma_f32 v17, v11, v19, -v20
	scratch_load_b128 v[9:12], off, off offset:144
	s_wait_loadcnt_dscnt 0x100
	v_mul_f32_e32 v19, v5, v2
	v_mul_f32_e32 v2, v6, v2
	;; [unrolled: 1-line block ×3, first 2 shown]
	s_delay_alu instid0(VALU_DEP_3) | instskip(NEXT) | instid1(VALU_DEP_3)
	v_dual_mul_f32 v4, v8, v4 :: v_dual_fmac_f32 v19, v6, v1
	v_fma_f32 v136, v5, v1, -v2
	s_delay_alu instid0(VALU_DEP_3) | instskip(NEXT) | instid1(VALU_DEP_3)
	v_fmac_f32_e32 v20, v8, v3
	v_fma_f32 v137, v7, v3, -v4
	ds_load_b128 v[1:4], v21 offset:560
	ds_load_b128 v[5:8], v21 offset:576
	s_wait_loadcnt_dscnt 0x1
	v_mul_f32_e32 v143, v1, v10
	v_mul_f32_e32 v10, v2, v10
	s_delay_alu instid0(VALU_DEP_2) | instskip(NEXT) | instid1(VALU_DEP_2)
	v_dual_mul_f32 v144, v3, v12 :: v_dual_fmac_f32 v143, v2, v9
	v_fma_f32 v145, v1, v9, -v10
	v_mul_f32_e32 v1, v4, v12
	s_delay_alu instid0(VALU_DEP_3) | instskip(NEXT) | instid1(VALU_DEP_2)
	v_fmac_f32_e32 v144, v4, v11
	v_fma_f32 v146, v3, v11, -v1
	s_clause 0x1
	scratch_load_b128 v[1:4], off, off offset:160
	scratch_load_b128 v[9:12], off, off offset:176
	s_wait_loadcnt_dscnt 0x100
	v_mul_f32_e32 v147, v5, v2
	v_dual_mul_f32 v2, v6, v2 :: v_dual_mul_f32 v149, v7, v4
	s_delay_alu instid0(VALU_DEP_2) | instskip(NEXT) | instid1(VALU_DEP_2)
	v_fmac_f32_e32 v147, v6, v1
	v_fma_f32 v148, v5, v1, -v2
	v_mul_f32_e32 v1, v8, v4
	s_delay_alu instid0(VALU_DEP_4) | instskip(NEXT) | instid1(VALU_DEP_2)
	v_fmac_f32_e32 v149, v8, v3
	v_fma_f32 v150, v7, v3, -v1
	ds_load_b128 v[1:4], v21 offset:592
	ds_load_b128 v[5:8], v21 offset:608
	s_wait_loadcnt_dscnt 0x1
	v_mul_f32_e32 v151, v1, v10
	v_mul_f32_e32 v153, v3, v12
	s_delay_alu instid0(VALU_DEP_2) | instskip(NEXT) | instid1(VALU_DEP_2)
	v_fmac_f32_e32 v151, v2, v9
	v_dual_mul_f32 v2, v2, v10 :: v_dual_fmac_f32 v153, v4, v11
	s_delay_alu instid0(VALU_DEP_1) | instskip(SKIP_1) | instid1(VALU_DEP_1)
	v_fma_f32 v152, v1, v9, -v2
	v_mul_f32_e32 v1, v4, v12
	v_fma_f32 v154, v3, v11, -v1
	s_clause 0x1
	scratch_load_b128 v[1:4], off, off offset:192
	scratch_load_b128 v[9:12], off, off offset:208
	s_wait_loadcnt_dscnt 0x100
	v_mul_f32_e32 v155, v5, v2
	v_dual_mul_f32 v157, v7, v4 :: v_dual_mul_f32 v2, v6, v2
	s_delay_alu instid0(VALU_DEP_2) | instskip(NEXT) | instid1(VALU_DEP_2)
	v_fmac_f32_e32 v155, v6, v1
	v_fmac_f32_e32 v157, v8, v3
	s_delay_alu instid0(VALU_DEP_3) | instskip(SKIP_1) | instid1(VALU_DEP_1)
	v_fma_f32 v156, v5, v1, -v2
	v_mul_f32_e32 v1, v8, v4
	v_fma_f32 v158, v7, v3, -v1
	ds_load_b128 v[1:4], v21 offset:624
	ds_load_b128 v[5:8], v21 offset:640
	s_wait_loadcnt_dscnt 0x1
	v_mul_f32_e32 v159, v1, v10
	v_mul_f32_e32 v161, v3, v12
	s_delay_alu instid0(VALU_DEP_2) | instskip(NEXT) | instid1(VALU_DEP_2)
	v_fmac_f32_e32 v159, v2, v9
	v_dual_mul_f32 v2, v2, v10 :: v_dual_fmac_f32 v161, v4, v11
	s_delay_alu instid0(VALU_DEP_1) | instskip(SKIP_1) | instid1(VALU_DEP_1)
	v_fma_f32 v160, v1, v9, -v2
	v_mul_f32_e32 v1, v4, v12
	v_fma_f32 v162, v3, v11, -v1
	s_clause 0x1
	scratch_load_b128 v[1:4], off, off offset:224
	scratch_load_b128 v[9:12], off, off offset:240
	s_wait_loadcnt_dscnt 0x100
	v_mul_f32_e32 v163, v5, v2
	v_dual_mul_f32 v2, v6, v2 :: v_dual_mul_f32 v165, v7, v4
	s_delay_alu instid0(VALU_DEP_2) | instskip(NEXT) | instid1(VALU_DEP_2)
	v_fmac_f32_e32 v163, v6, v1
	v_fma_f32 v164, v5, v1, -v2
	v_mul_f32_e32 v1, v8, v4
	s_delay_alu instid0(VALU_DEP_4) | instskip(NEXT) | instid1(VALU_DEP_2)
	v_fmac_f32_e32 v165, v8, v3
	v_fma_f32 v166, v7, v3, -v1
	ds_load_b128 v[1:4], v21 offset:656
	ds_load_b128 v[5:8], v21 offset:672
	s_wait_loadcnt_dscnt 0x1
	v_mul_f32_e32 v167, v1, v10
	v_mul_f32_e32 v169, v3, v12
	s_delay_alu instid0(VALU_DEP_2) | instskip(NEXT) | instid1(VALU_DEP_2)
	v_fmac_f32_e32 v167, v2, v9
	v_dual_mul_f32 v2, v2, v10 :: v_dual_fmac_f32 v169, v4, v11
	s_delay_alu instid0(VALU_DEP_1) | instskip(SKIP_1) | instid1(VALU_DEP_1)
	v_fma_f32 v168, v1, v9, -v2
	v_mul_f32_e32 v1, v4, v12
	v_fma_f32 v170, v3, v11, -v1
	s_clause 0x1
	scratch_load_b128 v[1:4], off, off offset:256
	scratch_load_b128 v[9:12], off, off offset:272
	s_wait_loadcnt_dscnt 0x100
	v_mul_f32_e32 v171, v5, v2
	v_dual_mul_f32 v2, v6, v2 :: v_dual_mul_f32 v173, v7, v4
	s_delay_alu instid0(VALU_DEP_2) | instskip(NEXT) | instid1(VALU_DEP_2)
	v_fmac_f32_e32 v171, v6, v1
	v_fma_f32 v172, v5, v1, -v2
	v_mul_f32_e32 v1, v8, v4
	s_delay_alu instid0(VALU_DEP_4) | instskip(NEXT) | instid1(VALU_DEP_2)
	v_fmac_f32_e32 v173, v8, v3
	v_fma_f32 v174, v7, v3, -v1
	ds_load_b128 v[1:4], v21 offset:688
	ds_load_b128 v[5:8], v21 offset:704
	s_wait_loadcnt_dscnt 0x1
	v_mul_f32_e32 v175, v1, v10
	v_mul_f32_e32 v177, v3, v12
	s_delay_alu instid0(VALU_DEP_2) | instskip(NEXT) | instid1(VALU_DEP_2)
	v_fmac_f32_e32 v175, v2, v9
	v_dual_mul_f32 v2, v2, v10 :: v_dual_fmac_f32 v177, v4, v11
	s_delay_alu instid0(VALU_DEP_1) | instskip(SKIP_1) | instid1(VALU_DEP_1)
	v_fma_f32 v176, v1, v9, -v2
	v_mul_f32_e32 v1, v4, v12
	v_fma_f32 v178, v3, v11, -v1
	s_clause 0x1
	scratch_load_b128 v[1:4], off, off offset:288
	scratch_load_b128 v[9:12], off, off offset:304
	s_wait_loadcnt_dscnt 0x100
	v_mul_f32_e32 v179, v5, v2
	v_dual_mul_f32 v2, v6, v2 :: v_dual_mul_f32 v181, v7, v4
	s_delay_alu instid0(VALU_DEP_2) | instskip(NEXT) | instid1(VALU_DEP_2)
	v_fmac_f32_e32 v179, v6, v1
	v_fma_f32 v180, v5, v1, -v2
	v_mul_f32_e32 v1, v8, v4
	s_delay_alu instid0(VALU_DEP_4) | instskip(NEXT) | instid1(VALU_DEP_2)
	v_fmac_f32_e32 v181, v8, v3
	v_fma_f32 v182, v7, v3, -v1
	ds_load_b128 v[1:4], v21 offset:720
	ds_load_b128 v[5:8], v21 offset:736
	s_wait_loadcnt_dscnt 0x1
	v_mul_f32_e32 v183, v1, v10
	v_mul_f32_e32 v185, v3, v12
	s_delay_alu instid0(VALU_DEP_2) | instskip(NEXT) | instid1(VALU_DEP_2)
	v_fmac_f32_e32 v183, v2, v9
	v_dual_mul_f32 v2, v2, v10 :: v_dual_fmac_f32 v185, v4, v11
	s_delay_alu instid0(VALU_DEP_1) | instskip(SKIP_1) | instid1(VALU_DEP_1)
	v_fma_f32 v184, v1, v9, -v2
	v_mul_f32_e32 v1, v4, v12
	v_fma_f32 v186, v3, v11, -v1
	s_clause 0x1
	scratch_load_b128 v[1:4], off, off offset:320
	scratch_load_b128 v[9:12], off, off offset:336
	s_wait_loadcnt_dscnt 0x100
	v_mul_f32_e32 v187, v5, v2
	v_dual_mul_f32 v2, v6, v2 :: v_dual_mul_f32 v189, v7, v4
	s_delay_alu instid0(VALU_DEP_2) | instskip(NEXT) | instid1(VALU_DEP_2)
	v_fmac_f32_e32 v187, v6, v1
	v_fma_f32 v188, v5, v1, -v2
	v_add_f32_e32 v2, 0, v140
	v_mul_f32_e32 v1, v8, v4
	s_delay_alu instid0(VALU_DEP_2) | instskip(NEXT) | instid1(VALU_DEP_2)
	v_dual_fmac_f32 v189, v8, v3 :: v_dual_add_f32 v2, v2, v141
	v_fma_f32 v190, v7, v3, -v1
	s_delay_alu instid0(VALU_DEP_2) | instskip(NEXT) | instid1(VALU_DEP_1)
	v_add_f32_e32 v2, v2, v127
	v_dual_add_f32 v2, v2, v128 :: v_dual_add_f32 v1, 0, v22
	s_delay_alu instid0(VALU_DEP_1) | instskip(NEXT) | instid1(VALU_DEP_1)
	v_dual_add_f32 v2, v2, v129 :: v_dual_add_f32 v1, v1, v126
	v_add_f32_e32 v2, v2, v142
	s_delay_alu instid0(VALU_DEP_2) | instskip(NEXT) | instid1(VALU_DEP_1)
	v_add_f32_e32 v1, v1, v130
	v_dual_add_f32 v2, v2, v134 :: v_dual_add_f32 v1, v1, v131
	scratch_load_b64 v[130:131], off, off offset:400
	v_dual_add_f32 v2, v2, v135 :: v_dual_add_f32 v1, v1, v132
	s_delay_alu instid0(VALU_DEP_1) | instskip(NEXT) | instid1(VALU_DEP_1)
	v_dual_add_f32 v2, v2, v15 :: v_dual_add_f32 v1, v1, v133
	v_dual_add_f32 v2, v2, v18 :: v_dual_add_f32 v1, v1, v13
	s_delay_alu instid0(VALU_DEP_1) | instskip(NEXT) | instid1(VALU_DEP_1)
	v_dual_add_f32 v2, v2, v19 :: v_dual_add_f32 v1, v1, v14
	v_add_f32_e32 v2, v2, v20
	s_delay_alu instid0(VALU_DEP_1) | instskip(NEXT) | instid1(VALU_DEP_1)
	v_dual_add_f32 v1, v1, v16 :: v_dual_add_f32 v2, v2, v143
	v_dual_add_f32 v1, v1, v17 :: v_dual_add_f32 v2, v2, v144
	s_delay_alu instid0(VALU_DEP_1) | instskip(NEXT) | instid1(VALU_DEP_1)
	v_dual_add_f32 v1, v1, v136 :: v_dual_add_f32 v2, v2, v147
	v_add_f32_e32 v1, v1, v137
	s_delay_alu instid0(VALU_DEP_2) | instskip(NEXT) | instid1(VALU_DEP_1)
	v_add_f32_e32 v2, v2, v149
	v_dual_add_f32 v1, v1, v145 :: v_dual_add_f32 v2, v2, v151
	s_delay_alu instid0(VALU_DEP_1) | instskip(NEXT) | instid1(VALU_DEP_1)
	v_dual_add_f32 v1, v1, v146 :: v_dual_add_f32 v2, v2, v153
	v_dual_add_f32 v1, v1, v148 :: v_dual_add_f32 v2, v2, v155
	s_delay_alu instid0(VALU_DEP_1) | instskip(NEXT) | instid1(VALU_DEP_1)
	v_dual_add_f32 v1, v1, v150 :: v_dual_add_f32 v2, v2, v157
	v_add_f32_e32 v1, v1, v152
	s_delay_alu instid0(VALU_DEP_1) | instskip(NEXT) | instid1(VALU_DEP_1)
	v_add_f32_e32 v1, v1, v154
	v_add_f32_e32 v1, v1, v156
	s_delay_alu instid0(VALU_DEP_1) | instskip(NEXT) | instid1(VALU_DEP_1)
	v_add_f32_e32 v1, v1, v158
	v_add_f32_e32 v1, v1, v160
	s_delay_alu instid0(VALU_DEP_1) | instskip(SKIP_2) | instid1(VALU_DEP_1)
	v_dual_add_f32 v6, v1, v162 :: v_dual_add_f32 v5, v2, v159
	ds_load_b128 v[1:4], v21 offset:752
	v_dual_add_f32 v6, v6, v164 :: v_dual_add_f32 v5, v5, v161
	v_add_f32_e32 v13, v6, v166
	s_delay_alu instid0(VALU_DEP_2) | instskip(NEXT) | instid1(VALU_DEP_2)
	v_add_f32_e32 v5, v5, v163
	v_add_f32_e32 v13, v13, v168
	s_delay_alu instid0(VALU_DEP_2)
	v_add_f32_e32 v14, v5, v165
	ds_load_b128 v[5:8], v21 offset:768
	v_add_f32_e32 v13, v13, v170
	s_wait_loadcnt_dscnt 0x101
	v_mul_f32_e32 v22, v1, v10
	v_mul_f32_e32 v10, v2, v10
	;; [unrolled: 1-line block ×4, first 2 shown]
	v_add_f32_e32 v14, v14, v167
	v_fmac_f32_e32 v22, v2, v9
	v_fma_f32 v135, v1, v9, -v10
	v_fmac_f32_e32 v134, v4, v11
	v_fma_f32 v136, v3, v11, -v12
	s_clause 0x1
	scratch_load_b128 v[1:4], off, off offset:352
	scratch_load_b128 v[9:12], off, off offset:368
	v_dual_add_f32 v14, v14, v169 :: v_dual_add_f32 v13, v13, v172
	s_delay_alu instid0(VALU_DEP_1) | instskip(SKIP_2) | instid1(VALU_DEP_1)
	v_dual_add_f32 v17, v14, v171 :: v_dual_add_f32 v18, v13, v174
	scratch_load_b128 v[13:16], off, off offset:384
	v_dual_add_f32 v17, v17, v173 :: v_dual_add_f32 v18, v18, v176
	v_dual_add_f32 v17, v17, v175 :: v_dual_add_f32 v18, v18, v178
	s_delay_alu instid0(VALU_DEP_1) | instskip(NEXT) | instid1(VALU_DEP_1)
	v_dual_add_f32 v17, v17, v177 :: v_dual_add_f32 v18, v18, v180
	v_dual_add_f32 v17, v17, v179 :: v_dual_add_f32 v18, v18, v182
	s_delay_alu instid0(VALU_DEP_1) | instskip(NEXT) | instid1(VALU_DEP_2)
	v_add_f32_e32 v126, v17, v181
	v_add_f32_e32 v132, v18, v184
	ds_load_b128 v[17:20], v21 offset:784
	v_add_f32_e32 v133, v126, v183
	ds_load_b128 v[126:129], v21 offset:800
	v_dual_add_f32 v137, v132, v186 :: v_dual_add_f32 v140, v133, v185
	ds_load_b64 v[132:133], v21 offset:816
	v_add_f32_e32 v137, v137, v188
	s_delay_alu instid0(VALU_DEP_1) | instskip(NEXT) | instid1(VALU_DEP_1)
	v_add_f32_e32 v137, v137, v190
	v_add_f32_e32 v135, v137, v135
	s_delay_alu instid0(VALU_DEP_1)
	v_add_f32_e32 v135, v135, v136
	s_wait_loadcnt_dscnt 0x203
	v_mul_f32_e32 v142, v7, v4
	v_dual_add_f32 v140, v140, v187 :: v_dual_mul_f32 v141, v5, v2
	v_mul_f32_e32 v2, v6, v2
	s_wait_loadcnt_dscnt 0x102
	v_dual_mul_f32 v4, v8, v4 :: v_dual_mul_f32 v137, v17, v10
	s_delay_alu instid0(VALU_DEP_3)
	v_add_f32_e32 v140, v140, v189
	v_fmac_f32_e32 v141, v6, v1
	v_fma_f32 v2, v5, v1, -v2
	v_fmac_f32_e32 v142, v8, v3
	v_fma_f32 v1, v7, v3, -v4
	v_add_f32_e32 v22, v140, v22
	v_mul_f32_e32 v3, v18, v10
	v_add_f32_e32 v2, v135, v2
	v_mul_f32_e32 v140, v19, v12
	s_delay_alu instid0(VALU_DEP_4)
	v_dual_mul_f32 v5, v20, v12 :: v_dual_add_f32 v22, v22, v134
	v_fmac_f32_e32 v137, v18, v9
	v_fma_f32 v3, v17, v9, -v3
	v_add_f32_e32 v1, v2, v1
	s_wait_loadcnt_dscnt 0x1
	v_mul_f32_e32 v143, v126, v14
	v_add_f32_e32 v4, v22, v141
	v_fmac_f32_e32 v140, v20, v11
	v_fma_f32 v5, v19, v11, -v5
	v_dual_add_f32 v1, v1, v3 :: v_dual_mul_f32 v136, v128, v16
	s_delay_alu instid0(VALU_DEP_4) | instskip(SKIP_2) | instid1(VALU_DEP_4)
	v_add_f32_e32 v2, v4, v142
	v_dual_mul_f32 v4, v127, v14 :: v_dual_mul_f32 v3, v129, v16
	v_fmac_f32_e32 v143, v127, v13
	v_add_f32_e32 v1, v1, v5
	s_delay_alu instid0(VALU_DEP_4) | instskip(NEXT) | instid1(VALU_DEP_4)
	v_add_f32_e32 v2, v2, v137
	v_fma_f32 v4, v126, v13, -v4
	s_wait_dscnt 0x0
	v_mul_f32_e32 v134, v132, v131
	v_mul_f32_e32 v5, v133, v131
	v_fmac_f32_e32 v136, v129, v15
	v_add_f32_e32 v2, v2, v140
	v_fma_f32 v3, v128, v15, -v3
	v_add_f32_e32 v1, v1, v4
	v_fmac_f32_e32 v134, v133, v130
	v_fma_f32 v4, v132, v130, -v5
	v_add_f32_e32 v2, v2, v143
	s_delay_alu instid0(VALU_DEP_1) | instskip(NEXT) | instid1(VALU_DEP_1)
	v_dual_add_f32 v1, v1, v3 :: v_dual_add_f32 v2, v2, v136
	v_dual_add_f32 v1, v1, v4 :: v_dual_add_f32 v2, v2, v134
	s_delay_alu instid0(VALU_DEP_1)
	v_dual_sub_f32 v1, v138, v1 :: v_dual_sub_f32 v2, v139, v2
	scratch_store_b64 off, v[1:2], off offset:40
	v_cmpx_lt_u32_e32 4, v0
	s_cbranch_execz .LBB114_311
; %bb.310:
	scratch_load_b64 v[1:2], off, off offset:32
	v_mov_b32_e32 v22, v21
	scratch_store_b64 off, v[21:22], off offset:32
	s_wait_loadcnt 0x0
	ds_store_b64 v23, v[1:2]
.LBB114_311:
	s_wait_alu 0xfffe
	s_or_b32 exec_lo, exec_lo, s0
	s_wait_storecnt_dscnt 0x0
	s_barrier_signal -1
	s_barrier_wait -1
	global_inv scope:SCOPE_SE
	s_clause 0x4
	scratch_load_b128 v[5:8], off, off offset:40
	scratch_load_b128 v[1:4], off, off offset:56
	;; [unrolled: 1-line block ×5, first 2 shown]
	ds_load_2addr_b64 v[126:129], v21 offset0:57 offset1:58
	ds_load_2addr_b64 v[130:133], v21 offset0:59 offset1:60
	ds_load_2addr_b64 v[134:137], v21 offset0:61 offset1:62
	scratch_load_b64 v[138:139], off, off offset:32
	s_mov_b32 s0, exec_lo
	s_wait_loadcnt_dscnt 0x502
	v_dual_mul_f32 v22, v127, v6 :: v_dual_mul_f32 v141, v128, v8
	v_mul_f32_e32 v140, v126, v6
	v_mul_f32_e32 v6, v129, v8
	s_wait_loadcnt_dscnt 0x300
	v_mul_f32_e32 v142, v136, v12
	v_fma_f32 v22, v126, v5, -v22
	v_dual_fmac_f32 v141, v129, v7 :: v_dual_fmac_f32 v140, v127, v5
	v_mul_f32_e32 v129, v134, v10
	v_mul_f32_e32 v127, v130, v2
	v_fma_f32 v126, v128, v7, -v6
	ds_load_2addr_b64 v[5:8], v21 offset0:63 offset1:64
	v_mul_f32_e32 v128, v132, v4
	v_dual_mul_f32 v4, v133, v4 :: v_dual_fmac_f32 v129, v135, v9
	v_mul_f32_e32 v10, v135, v10
	v_mul_f32_e32 v12, v137, v12
	;; [unrolled: 1-line block ×3, first 2 shown]
	v_dual_fmac_f32 v127, v131, v1 :: v_dual_fmac_f32 v128, v133, v3
	v_fma_f32 v131, v132, v3, -v4
	v_fma_f32 v132, v134, v9, -v10
	v_fmac_f32_e32 v142, v137, v11
	v_fma_f32 v133, v136, v11, -v12
	ds_load_2addr_b64 v[9:12], v21 offset0:65 offset1:66
	s_wait_loadcnt_dscnt 0x201
	v_dual_mul_f32 v135, v7, v16 :: v_dual_mul_f32 v134, v5, v14
	s_delay_alu instid0(VALU_DEP_1)
	v_dual_mul_f32 v14, v6, v14 :: v_dual_fmac_f32 v135, v8, v15
	v_fma_f32 v130, v130, v1, -v2
	scratch_load_b128 v[1:4], off, off offset:120
	v_mul_f32_e32 v16, v8, v16
	v_fmac_f32_e32 v134, v6, v13
	v_fma_f32 v13, v5, v13, -v14
	s_delay_alu instid0(VALU_DEP_3)
	v_fma_f32 v14, v7, v15, -v16
	s_wait_loadcnt_dscnt 0x200
	v_mul_f32_e32 v15, v9, v18
	v_mul_f32_e32 v16, v10, v18
	;; [unrolled: 1-line block ×4, first 2 shown]
	ds_load_2addr_b64 v[5:8], v21 offset0:67 offset1:68
	v_fmac_f32_e32 v15, v10, v17
	v_fma_f32 v16, v9, v17, -v16
	v_fmac_f32_e32 v18, v12, v19
	v_fma_f32 v17, v11, v19, -v20
	scratch_load_b128 v[9:12], off, off offset:136
	s_wait_loadcnt_dscnt 0x100
	v_mul_f32_e32 v19, v5, v2
	v_mul_f32_e32 v2, v6, v2
	;; [unrolled: 1-line block ×3, first 2 shown]
	s_delay_alu instid0(VALU_DEP_3) | instskip(NEXT) | instid1(VALU_DEP_3)
	v_dual_mul_f32 v4, v8, v4 :: v_dual_fmac_f32 v19, v6, v1
	v_fma_f32 v136, v5, v1, -v2
	s_delay_alu instid0(VALU_DEP_3) | instskip(NEXT) | instid1(VALU_DEP_3)
	v_fmac_f32_e32 v20, v8, v3
	v_fma_f32 v137, v7, v3, -v4
	ds_load_2addr_b64 v[1:4], v21 offset0:69 offset1:70
	ds_load_2addr_b64 v[5:8], v21 offset0:71 offset1:72
	s_wait_loadcnt_dscnt 0x1
	v_mul_f32_e32 v143, v1, v10
	v_mul_f32_e32 v10, v2, v10
	s_delay_alu instid0(VALU_DEP_2) | instskip(NEXT) | instid1(VALU_DEP_2)
	v_dual_mul_f32 v144, v3, v12 :: v_dual_fmac_f32 v143, v2, v9
	v_fma_f32 v145, v1, v9, -v10
	v_mul_f32_e32 v1, v4, v12
	s_delay_alu instid0(VALU_DEP_3) | instskip(NEXT) | instid1(VALU_DEP_2)
	v_fmac_f32_e32 v144, v4, v11
	v_fma_f32 v146, v3, v11, -v1
	s_clause 0x1
	scratch_load_b128 v[1:4], off, off offset:152
	scratch_load_b128 v[9:12], off, off offset:168
	s_wait_loadcnt_dscnt 0x100
	v_mul_f32_e32 v147, v5, v2
	v_dual_mul_f32 v2, v6, v2 :: v_dual_mul_f32 v149, v7, v4
	s_delay_alu instid0(VALU_DEP_2) | instskip(NEXT) | instid1(VALU_DEP_2)
	v_fmac_f32_e32 v147, v6, v1
	v_fma_f32 v148, v5, v1, -v2
	v_mul_f32_e32 v1, v8, v4
	s_delay_alu instid0(VALU_DEP_4) | instskip(NEXT) | instid1(VALU_DEP_2)
	v_fmac_f32_e32 v149, v8, v3
	v_fma_f32 v150, v7, v3, -v1
	ds_load_2addr_b64 v[1:4], v21 offset0:73 offset1:74
	ds_load_2addr_b64 v[5:8], v21 offset0:75 offset1:76
	s_wait_loadcnt_dscnt 0x1
	v_mul_f32_e32 v151, v1, v10
	v_mul_f32_e32 v153, v3, v12
	s_delay_alu instid0(VALU_DEP_2) | instskip(NEXT) | instid1(VALU_DEP_2)
	v_fmac_f32_e32 v151, v2, v9
	v_dual_mul_f32 v2, v2, v10 :: v_dual_fmac_f32 v153, v4, v11
	s_delay_alu instid0(VALU_DEP_1) | instskip(SKIP_1) | instid1(VALU_DEP_1)
	v_fma_f32 v152, v1, v9, -v2
	v_mul_f32_e32 v1, v4, v12
	v_fma_f32 v154, v3, v11, -v1
	s_clause 0x1
	scratch_load_b128 v[1:4], off, off offset:184
	scratch_load_b128 v[9:12], off, off offset:200
	s_wait_loadcnt_dscnt 0x100
	v_mul_f32_e32 v155, v5, v2
	v_dual_mul_f32 v2, v6, v2 :: v_dual_mul_f32 v157, v7, v4
	s_delay_alu instid0(VALU_DEP_2) | instskip(NEXT) | instid1(VALU_DEP_2)
	v_fmac_f32_e32 v155, v6, v1
	v_fma_f32 v156, v5, v1, -v2
	v_mul_f32_e32 v1, v8, v4
	s_delay_alu instid0(VALU_DEP_4) | instskip(NEXT) | instid1(VALU_DEP_2)
	v_fmac_f32_e32 v157, v8, v3
	v_fma_f32 v158, v7, v3, -v1
	ds_load_2addr_b64 v[1:4], v21 offset0:77 offset1:78
	ds_load_2addr_b64 v[5:8], v21 offset0:79 offset1:80
	s_wait_loadcnt_dscnt 0x1
	v_mul_f32_e32 v159, v1, v10
	v_mul_f32_e32 v161, v3, v12
	s_delay_alu instid0(VALU_DEP_2) | instskip(NEXT) | instid1(VALU_DEP_2)
	v_fmac_f32_e32 v159, v2, v9
	v_dual_mul_f32 v2, v2, v10 :: v_dual_fmac_f32 v161, v4, v11
	s_delay_alu instid0(VALU_DEP_1) | instskip(SKIP_1) | instid1(VALU_DEP_1)
	v_fma_f32 v160, v1, v9, -v2
	v_mul_f32_e32 v1, v4, v12
	;; [unrolled: 25-line block ×5, first 2 shown]
	v_fma_f32 v186, v3, v11, -v1
	s_clause 0x1
	scratch_load_b128 v[1:4], off, off offset:312
	scratch_load_b128 v[9:12], off, off offset:328
	s_wait_loadcnt_dscnt 0x100
	v_mul_f32_e32 v187, v5, v2
	v_mul_f32_e32 v2, v6, v2
	s_delay_alu instid0(VALU_DEP_2) | instskip(NEXT) | instid1(VALU_DEP_2)
	v_fmac_f32_e32 v187, v6, v1
	v_fma_f32 v188, v5, v1, -v2
	v_add_f32_e32 v2, 0, v140
	s_delay_alu instid0(VALU_DEP_1) | instskip(NEXT) | instid1(VALU_DEP_1)
	v_dual_mul_f32 v1, v8, v4 :: v_dual_add_f32 v2, v2, v141
	v_fma_f32 v190, v7, v3, -v1
	s_delay_alu instid0(VALU_DEP_2) | instskip(NEXT) | instid1(VALU_DEP_1)
	v_dual_add_f32 v1, 0, v22 :: v_dual_add_f32 v2, v2, v127
	v_dual_add_f32 v1, v1, v126 :: v_dual_add_f32 v2, v2, v128
	s_delay_alu instid0(VALU_DEP_1) | instskip(NEXT) | instid1(VALU_DEP_1)
	v_add_f32_e32 v2, v2, v129
	v_add_f32_e32 v2, v2, v142
	s_delay_alu instid0(VALU_DEP_1) | instskip(NEXT) | instid1(VALU_DEP_1)
	v_add_f32_e32 v2, v2, v134
	v_dual_add_f32 v1, v1, v130 :: v_dual_add_f32 v2, v2, v135
	s_delay_alu instid0(VALU_DEP_1) | instskip(NEXT) | instid1(VALU_DEP_1)
	v_add_f32_e32 v1, v1, v131
	v_dual_add_f32 v2, v2, v15 :: v_dual_add_f32 v1, v1, v132
	s_delay_alu instid0(VALU_DEP_1) | instskip(NEXT) | instid1(VALU_DEP_1)
	v_dual_add_f32 v2, v2, v18 :: v_dual_add_f32 v1, v1, v133
	v_dual_add_f32 v2, v2, v19 :: v_dual_add_f32 v1, v1, v13
	s_delay_alu instid0(VALU_DEP_1) | instskip(NEXT) | instid1(VALU_DEP_1)
	v_dual_add_f32 v2, v2, v20 :: v_dual_add_f32 v1, v1, v14
	v_add_f32_e32 v2, v2, v143
	s_delay_alu instid0(VALU_DEP_1) | instskip(NEXT) | instid1(VALU_DEP_1)
	v_add_f32_e32 v2, v2, v144
	v_add_f32_e32 v2, v2, v147
	s_delay_alu instid0(VALU_DEP_1) | instskip(NEXT) | instid1(VALU_DEP_1)
	v_add_f32_e32 v2, v2, v149
	;; [unrolled: 3-line block ×3, first 2 shown]
	v_add_f32_e32 v2, v2, v155
	s_delay_alu instid0(VALU_DEP_1) | instskip(NEXT) | instid1(VALU_DEP_1)
	v_dual_add_f32 v2, v2, v157 :: v_dual_add_f32 v1, v1, v16
	v_add_f32_e32 v1, v1, v17
	s_delay_alu instid0(VALU_DEP_1) | instskip(NEXT) | instid1(VALU_DEP_1)
	v_add_f32_e32 v1, v1, v136
	v_add_f32_e32 v1, v1, v137
	s_delay_alu instid0(VALU_DEP_1) | instskip(NEXT) | instid1(VALU_DEP_1)
	v_add_f32_e32 v1, v1, v145
	;; [unrolled: 3-line block ×6, first 2 shown]
	v_add_f32_e32 v1, v1, v162
	s_delay_alu instid0(VALU_DEP_1) | instskip(SKIP_1) | instid1(VALU_DEP_2)
	v_add_f32_e32 v6, v1, v164
	v_dual_add_f32 v2, v2, v159 :: v_dual_mul_f32 v189, v7, v4
	v_add_f32_e32 v14, v6, v166
	s_delay_alu instid0(VALU_DEP_2) | instskip(NEXT) | instid1(VALU_DEP_3)
	v_add_f32_e32 v5, v2, v161
	v_fmac_f32_e32 v189, v8, v3
	ds_load_2addr_b64 v[1:4], v21 offset0:93 offset1:94
	v_dual_add_f32 v14, v14, v168 :: v_dual_add_f32 v13, v5, v163
	scratch_load_b128 v[5:8], off, off offset:344
	v_add_f32_e32 v17, v14, v170
	v_add_f32_e32 v13, v13, v165
	s_delay_alu instid0(VALU_DEP_2) | instskip(NEXT) | instid1(VALU_DEP_2)
	v_add_f32_e32 v17, v17, v172
	v_add_f32_e32 v13, v13, v167
	s_delay_alu instid0(VALU_DEP_2) | instskip(NEXT) | instid1(VALU_DEP_2)
	v_add_f32_e32 v17, v17, v174
	v_add_f32_e32 v18, v13, v169
	ds_load_2addr_b64 v[13:16], v21 offset0:95 offset1:96
	s_wait_loadcnt_dscnt 0x101
	v_mul_f32_e32 v22, v1, v10
	v_mul_f32_e32 v10, v2, v10
	;; [unrolled: 1-line block ×4, first 2 shown]
	v_add_f32_e32 v18, v18, v171
	v_fmac_f32_e32 v22, v2, v9
	v_fma_f32 v131, v1, v9, -v10
	v_fmac_f32_e32 v130, v4, v11
	v_fma_f32 v132, v3, v11, -v12
	s_clause 0x1
	scratch_load_b128 v[1:4], off, off offset:360
	scratch_load_b128 v[9:12], off, off offset:376
	v_dual_add_f32 v18, v18, v173 :: v_dual_add_f32 v17, v17, v176
	s_delay_alu instid0(VALU_DEP_1)
	v_dual_add_f32 v126, v18, v175 :: v_dual_add_f32 v127, v17, v178
	scratch_load_b128 v[17:20], off, off offset:392
	s_wait_loadcnt_dscnt 0x300
	v_dual_add_f32 v126, v126, v177 :: v_dual_mul_f32 v133, v13, v6
	v_mul_f32_e32 v6, v14, v6
	v_mul_f32_e32 v134, v15, v8
	;; [unrolled: 1-line block ×3, first 2 shown]
	s_delay_alu instid0(VALU_DEP_4)
	v_add_f32_e32 v126, v126, v179
	v_fmac_f32_e32 v133, v14, v5
	v_fma_f32 v135, v13, v5, -v6
	v_fmac_f32_e32 v134, v16, v7
	v_fma_f32 v136, v15, v7, -v8
	ds_load_2addr_b64 v[5:8], v21 offset0:97 offset1:98
	v_add_f32_e32 v127, v127, v180
	v_add_f32_e32 v13, v126, v181
	s_delay_alu instid0(VALU_DEP_2) | instskip(NEXT) | instid1(VALU_DEP_1)
	v_add_f32_e32 v127, v127, v182
	v_dual_add_f32 v126, v127, v184 :: v_dual_add_f32 v127, v13, v183
	ds_load_2addr_b64 v[13:16], v21 offset0:99 offset1:100
	v_dual_add_f32 v137, v126, v186 :: v_dual_add_f32 v140, v127, v185
	ds_load_2addr_b64 v[126:129], v21 offset0:101 offset1:102
	v_add_f32_e32 v21, v137, v188
	s_wait_loadcnt_dscnt 0x202
	v_dual_add_f32 v137, v140, v187 :: v_dual_mul_f32 v140, v5, v2
	v_mul_f32_e32 v2, v6, v2
	s_delay_alu instid0(VALU_DEP_3) | instskip(NEXT) | instid1(VALU_DEP_3)
	v_add_f32_e32 v21, v21, v190
	v_add_f32_e32 v137, v137, v189
	s_delay_alu instid0(VALU_DEP_4) | instskip(NEXT) | instid1(VALU_DEP_4)
	v_fmac_f32_e32 v140, v6, v1
	v_fma_f32 v2, v5, v1, -v2
	s_delay_alu instid0(VALU_DEP_4) | instskip(NEXT) | instid1(VALU_DEP_4)
	v_add_f32_e32 v21, v21, v131
	v_dual_add_f32 v22, v137, v22 :: v_dual_mul_f32 v131, v7, v4
	s_wait_loadcnt_dscnt 0x101
	v_dual_mul_f32 v4, v8, v4 :: v_dual_mul_f32 v137, v13, v10
	s_delay_alu instid0(VALU_DEP_2) | instskip(NEXT) | instid1(VALU_DEP_3)
	v_dual_add_f32 v21, v21, v132 :: v_dual_add_f32 v22, v22, v130
	v_dual_mul_f32 v6, v14, v10 :: v_dual_fmac_f32 v131, v8, v3
	s_delay_alu instid0(VALU_DEP_3) | instskip(NEXT) | instid1(VALU_DEP_3)
	v_fma_f32 v3, v7, v3, -v4
	v_dual_add_f32 v21, v21, v135 :: v_dual_add_f32 v22, v22, v133
	v_mul_f32_e32 v141, v15, v12
	v_dual_mul_f32 v4, v16, v12 :: v_dual_fmac_f32 v137, v14, v9
	s_delay_alu instid0(VALU_DEP_3) | instskip(NEXT) | instid1(VALU_DEP_4)
	v_add_f32_e32 v1, v21, v136
	v_add_f32_e32 v5, v22, v134
	s_wait_loadcnt_dscnt 0x0
	v_dual_mul_f32 v130, v126, v18 :: v_dual_fmac_f32 v141, v16, v11
	v_fma_f32 v4, v15, v11, -v4
	v_add_f32_e32 v1, v1, v2
	v_add_f32_e32 v2, v5, v140
	v_fma_f32 v5, v13, v9, -v6
	v_mul_f32_e32 v132, v128, v20
	s_delay_alu instid0(VALU_DEP_4) | instskip(NEXT) | instid1(VALU_DEP_4)
	v_dual_fmac_f32 v130, v127, v17 :: v_dual_add_f32 v1, v1, v3
	v_dual_add_f32 v2, v2, v131 :: v_dual_mul_f32 v3, v127, v18
	s_delay_alu instid0(VALU_DEP_3) | instskip(NEXT) | instid1(VALU_DEP_3)
	v_fmac_f32_e32 v132, v129, v19
	v_add_f32_e32 v1, v1, v5
	s_delay_alu instid0(VALU_DEP_3) | instskip(NEXT) | instid1(VALU_DEP_4)
	v_dual_add_f32 v2, v2, v137 :: v_dual_mul_f32 v5, v129, v20
	v_fma_f32 v3, v126, v17, -v3
	s_delay_alu instid0(VALU_DEP_2) | instskip(NEXT) | instid1(VALU_DEP_3)
	v_dual_add_f32 v1, v1, v4 :: v_dual_add_f32 v2, v2, v141
	v_fma_f32 v4, v128, v19, -v5
	s_delay_alu instid0(VALU_DEP_2) | instskip(NEXT) | instid1(VALU_DEP_1)
	v_dual_add_f32 v1, v1, v3 :: v_dual_add_f32 v2, v2, v130
	v_add_f32_e32 v1, v1, v4
	s_delay_alu instid0(VALU_DEP_2) | instskip(NEXT) | instid1(VALU_DEP_1)
	v_add_f32_e32 v2, v2, v132
	v_dual_sub_f32 v1, v138, v1 :: v_dual_sub_f32 v2, v139, v2
	scratch_store_b64 off, v[1:2], off offset:32
	v_cmpx_lt_u32_e32 3, v0
	s_cbranch_execz .LBB114_313
; %bb.312:
	scratch_load_b64 v[1:2], off, off offset:24
	v_mov_b32_e32 v3, 0
	s_delay_alu instid0(VALU_DEP_1)
	v_mov_b32_e32 v4, v3
	scratch_store_b64 off, v[3:4], off offset:24
	s_wait_loadcnt 0x0
	ds_store_b64 v23, v[1:2]
.LBB114_313:
	s_wait_alu 0xfffe
	s_or_b32 exec_lo, exec_lo, s0
	s_wait_storecnt_dscnt 0x0
	s_barrier_signal -1
	s_barrier_wait -1
	global_inv scope:SCOPE_SE
	s_clause 0x4
	scratch_load_b128 v[5:8], off, off offset:32
	scratch_load_b128 v[1:4], off, off offset:48
	;; [unrolled: 1-line block ×5, first 2 shown]
	v_mov_b32_e32 v21, 0
	ds_load_b128 v[126:129], v21 offset:448
	ds_load_b128 v[130:133], v21 offset:464
	;; [unrolled: 1-line block ×3, first 2 shown]
	scratch_load_b64 v[138:139], off, off offset:24
	s_mov_b32 s0, exec_lo
	s_wait_loadcnt_dscnt 0x502
	v_mul_f32_e32 v22, v127, v6
	v_dual_mul_f32 v140, v126, v6 :: v_dual_mul_f32 v141, v128, v8
	v_mul_f32_e32 v6, v129, v8
	s_delay_alu instid0(VALU_DEP_3) | instskip(NEXT) | instid1(VALU_DEP_3)
	v_fma_f32 v22, v126, v5, -v22
	v_dual_fmac_f32 v140, v127, v5 :: v_dual_fmac_f32 v141, v129, v7
	s_wait_loadcnt_dscnt 0x401
	v_mul_f32_e32 v127, v130, v2
	v_fma_f32 v126, v128, v7, -v6
	ds_load_b128 v[5:8], v21 offset:496
	s_wait_loadcnt_dscnt 0x301
	v_dual_mul_f32 v128, v132, v4 :: v_dual_mul_f32 v129, v134, v10
	v_dual_mul_f32 v4, v133, v4 :: v_dual_fmac_f32 v127, v131, v1
	v_mul_f32_e32 v10, v135, v10
	s_delay_alu instid0(VALU_DEP_3)
	v_dual_mul_f32 v142, v136, v12 :: v_dual_fmac_f32 v129, v135, v9
	v_mul_f32_e32 v12, v137, v12
	v_mul_f32_e32 v2, v131, v2
	v_fmac_f32_e32 v128, v133, v3
	v_fma_f32 v131, v132, v3, -v4
	v_fma_f32 v132, v134, v9, -v10
	v_fmac_f32_e32 v142, v137, v11
	v_fma_f32 v133, v136, v11, -v12
	ds_load_b128 v[9:12], v21 offset:512
	s_wait_loadcnt_dscnt 0x201
	v_dual_mul_f32 v135, v7, v16 :: v_dual_mul_f32 v134, v5, v14
	v_mul_f32_e32 v14, v6, v14
	v_mul_f32_e32 v16, v8, v16
	s_delay_alu instid0(VALU_DEP_3)
	v_fmac_f32_e32 v135, v8, v15
	v_fma_f32 v130, v130, v1, -v2
	scratch_load_b128 v[1:4], off, off offset:112
	v_fmac_f32_e32 v134, v6, v13
	v_fma_f32 v13, v5, v13, -v14
	v_fma_f32 v14, v7, v15, -v16
	ds_load_b128 v[5:8], v21 offset:528
	s_wait_loadcnt_dscnt 0x201
	v_mul_f32_e32 v15, v9, v18
	v_mul_f32_e32 v16, v10, v18
	;; [unrolled: 1-line block ×3, first 2 shown]
	s_delay_alu instid0(VALU_DEP_3) | instskip(NEXT) | instid1(VALU_DEP_3)
	v_dual_mul_f32 v20, v12, v20 :: v_dual_fmac_f32 v15, v10, v17
	v_fma_f32 v16, v9, v17, -v16
	s_delay_alu instid0(VALU_DEP_3) | instskip(NEXT) | instid1(VALU_DEP_3)
	v_fmac_f32_e32 v18, v12, v19
	v_fma_f32 v17, v11, v19, -v20
	scratch_load_b128 v[9:12], off, off offset:128
	s_wait_loadcnt_dscnt 0x100
	v_mul_f32_e32 v19, v5, v2
	v_mul_f32_e32 v2, v6, v2
	;; [unrolled: 1-line block ×3, first 2 shown]
	s_delay_alu instid0(VALU_DEP_3) | instskip(NEXT) | instid1(VALU_DEP_3)
	v_dual_mul_f32 v4, v8, v4 :: v_dual_fmac_f32 v19, v6, v1
	v_fma_f32 v136, v5, v1, -v2
	s_delay_alu instid0(VALU_DEP_3) | instskip(NEXT) | instid1(VALU_DEP_3)
	v_fmac_f32_e32 v20, v8, v3
	v_fma_f32 v137, v7, v3, -v4
	ds_load_b128 v[1:4], v21 offset:544
	ds_load_b128 v[5:8], v21 offset:560
	s_wait_loadcnt_dscnt 0x1
	v_mul_f32_e32 v143, v1, v10
	v_mul_f32_e32 v10, v2, v10
	s_delay_alu instid0(VALU_DEP_2) | instskip(NEXT) | instid1(VALU_DEP_2)
	v_dual_mul_f32 v144, v3, v12 :: v_dual_fmac_f32 v143, v2, v9
	v_fma_f32 v145, v1, v9, -v10
	v_mul_f32_e32 v1, v4, v12
	s_delay_alu instid0(VALU_DEP_3) | instskip(NEXT) | instid1(VALU_DEP_2)
	v_fmac_f32_e32 v144, v4, v11
	v_fma_f32 v146, v3, v11, -v1
	s_clause 0x1
	scratch_load_b128 v[1:4], off, off offset:144
	scratch_load_b128 v[9:12], off, off offset:160
	s_wait_loadcnt_dscnt 0x100
	v_mul_f32_e32 v147, v5, v2
	v_dual_mul_f32 v2, v6, v2 :: v_dual_mul_f32 v149, v7, v4
	s_delay_alu instid0(VALU_DEP_2) | instskip(NEXT) | instid1(VALU_DEP_2)
	v_fmac_f32_e32 v147, v6, v1
	v_fma_f32 v148, v5, v1, -v2
	v_mul_f32_e32 v1, v8, v4
	s_delay_alu instid0(VALU_DEP_4) | instskip(NEXT) | instid1(VALU_DEP_2)
	v_fmac_f32_e32 v149, v8, v3
	v_fma_f32 v150, v7, v3, -v1
	ds_load_b128 v[1:4], v21 offset:576
	ds_load_b128 v[5:8], v21 offset:592
	s_wait_loadcnt_dscnt 0x1
	v_mul_f32_e32 v151, v1, v10
	v_mul_f32_e32 v153, v3, v12
	s_delay_alu instid0(VALU_DEP_2) | instskip(NEXT) | instid1(VALU_DEP_2)
	v_fmac_f32_e32 v151, v2, v9
	v_dual_mul_f32 v2, v2, v10 :: v_dual_fmac_f32 v153, v4, v11
	s_delay_alu instid0(VALU_DEP_1) | instskip(SKIP_1) | instid1(VALU_DEP_1)
	v_fma_f32 v152, v1, v9, -v2
	v_mul_f32_e32 v1, v4, v12
	v_fma_f32 v154, v3, v11, -v1
	s_clause 0x1
	scratch_load_b128 v[1:4], off, off offset:176
	scratch_load_b128 v[9:12], off, off offset:192
	s_wait_loadcnt_dscnt 0x100
	v_mul_f32_e32 v155, v5, v2
	v_dual_mul_f32 v157, v7, v4 :: v_dual_mul_f32 v2, v6, v2
	s_delay_alu instid0(VALU_DEP_2) | instskip(NEXT) | instid1(VALU_DEP_2)
	v_fmac_f32_e32 v155, v6, v1
	v_fmac_f32_e32 v157, v8, v3
	s_delay_alu instid0(VALU_DEP_3) | instskip(SKIP_1) | instid1(VALU_DEP_1)
	v_fma_f32 v156, v5, v1, -v2
	v_mul_f32_e32 v1, v8, v4
	v_fma_f32 v158, v7, v3, -v1
	ds_load_b128 v[1:4], v21 offset:608
	ds_load_b128 v[5:8], v21 offset:624
	s_wait_loadcnt_dscnt 0x1
	v_mul_f32_e32 v159, v1, v10
	v_mul_f32_e32 v161, v3, v12
	s_delay_alu instid0(VALU_DEP_2) | instskip(NEXT) | instid1(VALU_DEP_2)
	v_fmac_f32_e32 v159, v2, v9
	v_dual_mul_f32 v2, v2, v10 :: v_dual_fmac_f32 v161, v4, v11
	s_delay_alu instid0(VALU_DEP_1) | instskip(SKIP_1) | instid1(VALU_DEP_1)
	v_fma_f32 v160, v1, v9, -v2
	v_mul_f32_e32 v1, v4, v12
	v_fma_f32 v162, v3, v11, -v1
	s_clause 0x1
	scratch_load_b128 v[1:4], off, off offset:208
	scratch_load_b128 v[9:12], off, off offset:224
	s_wait_loadcnt_dscnt 0x100
	v_mul_f32_e32 v163, v5, v2
	v_dual_mul_f32 v2, v6, v2 :: v_dual_mul_f32 v165, v7, v4
	s_delay_alu instid0(VALU_DEP_2) | instskip(NEXT) | instid1(VALU_DEP_2)
	v_fmac_f32_e32 v163, v6, v1
	v_fma_f32 v164, v5, v1, -v2
	v_mul_f32_e32 v1, v8, v4
	s_delay_alu instid0(VALU_DEP_4) | instskip(NEXT) | instid1(VALU_DEP_2)
	v_fmac_f32_e32 v165, v8, v3
	v_fma_f32 v166, v7, v3, -v1
	ds_load_b128 v[1:4], v21 offset:640
	ds_load_b128 v[5:8], v21 offset:656
	s_wait_loadcnt_dscnt 0x1
	v_mul_f32_e32 v167, v1, v10
	v_mul_f32_e32 v169, v3, v12
	s_delay_alu instid0(VALU_DEP_2) | instskip(NEXT) | instid1(VALU_DEP_2)
	v_fmac_f32_e32 v167, v2, v9
	v_dual_mul_f32 v2, v2, v10 :: v_dual_fmac_f32 v169, v4, v11
	s_delay_alu instid0(VALU_DEP_1) | instskip(SKIP_1) | instid1(VALU_DEP_1)
	v_fma_f32 v168, v1, v9, -v2
	v_mul_f32_e32 v1, v4, v12
	v_fma_f32 v170, v3, v11, -v1
	s_clause 0x1
	scratch_load_b128 v[1:4], off, off offset:240
	scratch_load_b128 v[9:12], off, off offset:256
	s_wait_loadcnt_dscnt 0x100
	v_mul_f32_e32 v171, v5, v2
	v_dual_mul_f32 v2, v6, v2 :: v_dual_mul_f32 v173, v7, v4
	s_delay_alu instid0(VALU_DEP_2) | instskip(NEXT) | instid1(VALU_DEP_2)
	v_fmac_f32_e32 v171, v6, v1
	v_fma_f32 v172, v5, v1, -v2
	v_mul_f32_e32 v1, v8, v4
	s_delay_alu instid0(VALU_DEP_4) | instskip(NEXT) | instid1(VALU_DEP_2)
	v_fmac_f32_e32 v173, v8, v3
	;; [unrolled: 25-line block ×3, first 2 shown]
	v_fma_f32 v182, v7, v3, -v1
	ds_load_b128 v[1:4], v21 offset:704
	ds_load_b128 v[5:8], v21 offset:720
	s_wait_loadcnt_dscnt 0x1
	v_mul_f32_e32 v183, v1, v10
	v_mul_f32_e32 v185, v3, v12
	s_delay_alu instid0(VALU_DEP_2) | instskip(NEXT) | instid1(VALU_DEP_2)
	v_fmac_f32_e32 v183, v2, v9
	v_dual_mul_f32 v2, v2, v10 :: v_dual_fmac_f32 v185, v4, v11
	s_delay_alu instid0(VALU_DEP_1) | instskip(SKIP_1) | instid1(VALU_DEP_1)
	v_fma_f32 v184, v1, v9, -v2
	v_mul_f32_e32 v1, v4, v12
	v_fma_f32 v186, v3, v11, -v1
	s_clause 0x1
	scratch_load_b128 v[1:4], off, off offset:304
	scratch_load_b128 v[9:12], off, off offset:320
	s_wait_loadcnt_dscnt 0x100
	v_mul_f32_e32 v187, v5, v2
	v_mul_f32_e32 v2, v6, v2
	s_delay_alu instid0(VALU_DEP_2) | instskip(NEXT) | instid1(VALU_DEP_2)
	v_fmac_f32_e32 v187, v6, v1
	v_fma_f32 v188, v5, v1, -v2
	v_add_f32_e32 v2, 0, v140
	s_delay_alu instid0(VALU_DEP_1) | instskip(NEXT) | instid1(VALU_DEP_1)
	v_dual_mul_f32 v1, v8, v4 :: v_dual_add_f32 v2, v2, v141
	v_fma_f32 v190, v7, v3, -v1
	s_delay_alu instid0(VALU_DEP_2) | instskip(NEXT) | instid1(VALU_DEP_1)
	v_dual_add_f32 v1, 0, v22 :: v_dual_add_f32 v2, v2, v127
	v_dual_add_f32 v1, v1, v126 :: v_dual_add_f32 v2, v2, v128
	s_delay_alu instid0(VALU_DEP_1) | instskip(NEXT) | instid1(VALU_DEP_1)
	v_add_f32_e32 v2, v2, v129
	v_add_f32_e32 v2, v2, v142
	s_delay_alu instid0(VALU_DEP_1) | instskip(NEXT) | instid1(VALU_DEP_1)
	v_add_f32_e32 v2, v2, v134
	v_dual_add_f32 v1, v1, v130 :: v_dual_add_f32 v2, v2, v135
	s_delay_alu instid0(VALU_DEP_1) | instskip(NEXT) | instid1(VALU_DEP_1)
	v_add_f32_e32 v2, v2, v15
	v_add_f32_e32 v2, v2, v18
	s_delay_alu instid0(VALU_DEP_1) | instskip(NEXT) | instid1(VALU_DEP_1)
	v_add_f32_e32 v2, v2, v19
	v_dual_add_f32 v2, v2, v20 :: v_dual_add_f32 v1, v1, v131
	scratch_load_b64 v[130:131], off, off offset:400
	v_dual_add_f32 v2, v2, v143 :: v_dual_add_f32 v1, v1, v132
	s_delay_alu instid0(VALU_DEP_1) | instskip(NEXT) | instid1(VALU_DEP_1)
	v_dual_add_f32 v2, v2, v144 :: v_dual_add_f32 v1, v1, v133
	v_dual_add_f32 v2, v2, v147 :: v_dual_add_f32 v1, v1, v13
	s_delay_alu instid0(VALU_DEP_1) | instskip(NEXT) | instid1(VALU_DEP_1)
	v_dual_add_f32 v2, v2, v149 :: v_dual_add_f32 v1, v1, v14
	v_dual_add_f32 v2, v2, v151 :: v_dual_add_f32 v1, v1, v16
	s_delay_alu instid0(VALU_DEP_1) | instskip(NEXT) | instid1(VALU_DEP_1)
	v_add_f32_e32 v2, v2, v153
	v_dual_add_f32 v1, v1, v17 :: v_dual_add_f32 v2, v2, v155
	s_delay_alu instid0(VALU_DEP_1) | instskip(NEXT) | instid1(VALU_DEP_1)
	v_dual_add_f32 v1, v1, v136 :: v_dual_add_f32 v2, v2, v157
	v_add_f32_e32 v1, v1, v137
	s_delay_alu instid0(VALU_DEP_1) | instskip(NEXT) | instid1(VALU_DEP_1)
	v_add_f32_e32 v1, v1, v145
	v_add_f32_e32 v1, v1, v146
	s_delay_alu instid0(VALU_DEP_1) | instskip(NEXT) | instid1(VALU_DEP_1)
	v_add_f32_e32 v1, v1, v148
	;; [unrolled: 3-line block ×5, first 2 shown]
	v_add_f32_e32 v1, v1, v162
	s_delay_alu instid0(VALU_DEP_1) | instskip(SKIP_1) | instid1(VALU_DEP_2)
	v_add_f32_e32 v6, v1, v164
	v_dual_add_f32 v2, v2, v159 :: v_dual_mul_f32 v189, v7, v4
	v_add_f32_e32 v14, v6, v166
	s_delay_alu instid0(VALU_DEP_2) | instskip(NEXT) | instid1(VALU_DEP_1)
	v_add_f32_e32 v5, v2, v161
	v_dual_add_f32 v14, v14, v168 :: v_dual_add_f32 v13, v5, v163
	s_delay_alu instid0(VALU_DEP_1) | instskip(NEXT) | instid1(VALU_DEP_2)
	v_add_f32_e32 v17, v14, v170
	v_add_f32_e32 v13, v13, v165
	s_delay_alu instid0(VALU_DEP_1)
	v_add_f32_e32 v13, v13, v167
	v_fmac_f32_e32 v189, v8, v3
	scratch_load_b128 v[1:4], off, off offset:336
	ds_load_b128 v[5:8], v21 offset:736
	v_add_f32_e32 v18, v13, v169
	ds_load_b128 v[13:16], v21 offset:752
	s_wait_loadcnt_dscnt 0x201
	v_mul_f32_e32 v134, v7, v12
	v_mul_f32_e32 v12, v8, v12
	v_add_f32_e32 v18, v18, v171
	v_mul_f32_e32 v22, v5, v10
	v_mul_f32_e32 v10, v6, v10
	v_fmac_f32_e32 v134, v8, v11
	v_fma_f32 v136, v7, v11, -v12
	v_add_f32_e32 v18, v18, v173
	v_fmac_f32_e32 v22, v6, v9
	v_fma_f32 v135, v5, v9, -v10
	s_clause 0x1
	scratch_load_b128 v[5:8], off, off offset:352
	scratch_load_b128 v[9:12], off, off offset:368
	v_add_f32_e32 v126, v18, v175
	s_delay_alu instid0(VALU_DEP_1) | instskip(SKIP_2) | instid1(VALU_DEP_2)
	v_add_f32_e32 v126, v126, v177
	s_wait_loadcnt_dscnt 0x200
	v_mul_f32_e32 v140, v15, v4
	v_dual_add_f32 v126, v126, v179 :: v_dual_mul_f32 v137, v13, v2
	v_mul_f32_e32 v2, v14, v2
	v_mul_f32_e32 v4, v16, v4
	s_delay_alu instid0(VALU_DEP_4) | instskip(NEXT) | instid1(VALU_DEP_4)
	v_fmac_f32_e32 v140, v16, v3
	v_add_f32_e32 v126, v126, v181
	v_fmac_f32_e32 v137, v14, v1
	v_fma_f32 v141, v13, v1, -v2
	v_fma_f32 v142, v15, v3, -v4
	ds_load_b128 v[1:4], v21 offset:768
	v_add_f32_e32 v13, v126, v183
	s_delay_alu instid0(VALU_DEP_1) | instskip(SKIP_1) | instid1(VALU_DEP_2)
	v_add_f32_e32 v126, v13, v185
	v_add_f32_e32 v17, v17, v172
	;; [unrolled: 1-line block ×3, first 2 shown]
	s_delay_alu instid0(VALU_DEP_2) | instskip(NEXT) | instid1(VALU_DEP_2)
	v_add_f32_e32 v17, v17, v174
	v_add_f32_e32 v144, v133, v189
	s_delay_alu instid0(VALU_DEP_1) | instskip(NEXT) | instid1(VALU_DEP_1)
	v_dual_add_f32 v17, v17, v176 :: v_dual_add_f32 v22, v144, v22
	v_add_f32_e32 v127, v17, v178
	scratch_load_b128 v[17:20], off, off offset:384
	v_dual_add_f32 v22, v22, v134 :: v_dual_add_f32 v127, v127, v180
	s_delay_alu instid0(VALU_DEP_1) | instskip(NEXT) | instid1(VALU_DEP_1)
	v_dual_add_f32 v22, v22, v137 :: v_dual_add_f32 v127, v127, v182
	v_add_f32_e32 v22, v22, v140
	s_delay_alu instid0(VALU_DEP_2) | instskip(NEXT) | instid1(VALU_DEP_1)
	v_add_f32_e32 v127, v127, v184
	v_add_f32_e32 v14, v127, v186
	ds_load_b128 v[126:129], v21 offset:800
	v_add_f32_e32 v132, v14, v188
	ds_load_b128 v[13:16], v21 offset:784
	s_wait_loadcnt_dscnt 0x202
	v_mul_f32_e32 v134, v3, v8
	v_mul_f32_e32 v8, v4, v8
	v_add_f32_e32 v143, v132, v190
	ds_load_b64 v[132:133], v21 offset:816
	v_fmac_f32_e32 v134, v4, v7
	v_add_f32_e32 v135, v143, v135
	v_mul_f32_e32 v143, v1, v6
	s_delay_alu instid0(VALU_DEP_2) | instskip(NEXT) | instid1(VALU_DEP_2)
	v_dual_mul_f32 v6, v2, v6 :: v_dual_add_f32 v135, v135, v136
	v_fmac_f32_e32 v143, v2, v5
	s_delay_alu instid0(VALU_DEP_2)
	v_fma_f32 v1, v1, v5, -v6
	v_fma_f32 v2, v3, v7, -v8
	s_wait_loadcnt_dscnt 0x101
	v_dual_add_f32 v135, v135, v141 :: v_dual_mul_f32 v136, v13, v10
	v_mul_f32_e32 v3, v14, v10
	v_dual_add_f32 v4, v22, v143 :: v_dual_mul_f32 v137, v15, v12
	s_delay_alu instid0(VALU_DEP_3) | instskip(NEXT) | instid1(VALU_DEP_4)
	v_add_f32_e32 v135, v135, v142
	v_dual_mul_f32 v5, v16, v12 :: v_dual_fmac_f32 v136, v14, v9
	s_delay_alu instid0(VALU_DEP_4) | instskip(NEXT) | instid1(VALU_DEP_4)
	v_fma_f32 v3, v13, v9, -v3
	v_fmac_f32_e32 v137, v16, v11
	s_delay_alu instid0(VALU_DEP_4) | instskip(NEXT) | instid1(VALU_DEP_4)
	v_add_f32_e32 v1, v135, v1
	v_fma_f32 v5, v15, v11, -v5
	s_wait_dscnt 0x0
	s_delay_alu instid0(VALU_DEP_2) | instskip(SKIP_1) | instid1(VALU_DEP_2)
	v_dual_mul_f32 v140, v132, v131 :: v_dual_add_f32 v1, v1, v2
	v_add_f32_e32 v2, v4, v134
	v_fmac_f32_e32 v140, v133, v130
	s_delay_alu instid0(VALU_DEP_2) | instskip(NEXT) | instid1(VALU_DEP_1)
	v_dual_add_f32 v1, v1, v3 :: v_dual_add_f32 v2, v2, v136
	v_add_f32_e32 v1, v1, v5
	s_delay_alu instid0(VALU_DEP_2)
	v_dual_add_f32 v2, v2, v137 :: v_dual_mul_f32 v5, v133, v131
	s_wait_loadcnt 0x0
	v_mul_f32_e32 v141, v126, v18
	v_mul_f32_e32 v4, v127, v18
	;; [unrolled: 1-line block ×4, first 2 shown]
	s_delay_alu instid0(VALU_DEP_4) | instskip(NEXT) | instid1(VALU_DEP_4)
	v_fmac_f32_e32 v141, v127, v17
	v_fma_f32 v4, v126, v17, -v4
	s_delay_alu instid0(VALU_DEP_4) | instskip(NEXT) | instid1(VALU_DEP_4)
	v_fmac_f32_e32 v142, v129, v19
	v_fma_f32 v3, v128, v19, -v3
	s_delay_alu instid0(VALU_DEP_3) | instskip(SKIP_1) | instid1(VALU_DEP_2)
	v_dual_add_f32 v2, v2, v141 :: v_dual_add_f32 v1, v1, v4
	v_fma_f32 v4, v132, v130, -v5
	v_dual_add_f32 v2, v2, v142 :: v_dual_add_f32 v1, v1, v3
	s_delay_alu instid0(VALU_DEP_1) | instskip(NEXT) | instid1(VALU_DEP_1)
	v_add_f32_e32 v2, v2, v140
	v_dual_add_f32 v1, v1, v4 :: v_dual_sub_f32 v2, v139, v2
	s_delay_alu instid0(VALU_DEP_1)
	v_sub_f32_e32 v1, v138, v1
	scratch_store_b64 off, v[1:2], off offset:24
	v_cmpx_lt_u32_e32 2, v0
	s_cbranch_execz .LBB114_315
; %bb.314:
	scratch_load_b64 v[1:2], off, off offset:16
	v_mov_b32_e32 v22, v21
	scratch_store_b64 off, v[21:22], off offset:16
	s_wait_loadcnt 0x0
	ds_store_b64 v23, v[1:2]
.LBB114_315:
	s_wait_alu 0xfffe
	s_or_b32 exec_lo, exec_lo, s0
	s_wait_storecnt_dscnt 0x0
	s_barrier_signal -1
	s_barrier_wait -1
	global_inv scope:SCOPE_SE
	s_clause 0x4
	scratch_load_b128 v[5:8], off, off offset:24
	scratch_load_b128 v[1:4], off, off offset:40
	;; [unrolled: 1-line block ×5, first 2 shown]
	ds_load_2addr_b64 v[126:129], v21 offset0:55 offset1:56
	ds_load_2addr_b64 v[130:133], v21 offset0:57 offset1:58
	;; [unrolled: 1-line block ×3, first 2 shown]
	scratch_load_b64 v[138:139], off, off offset:16
	s_mov_b32 s0, exec_lo
	s_wait_loadcnt_dscnt 0x502
	v_dual_mul_f32 v22, v127, v6 :: v_dual_mul_f32 v141, v128, v8
	v_mul_f32_e32 v140, v126, v6
	v_mul_f32_e32 v6, v129, v8
	s_wait_loadcnt_dscnt 0x300
	v_mul_f32_e32 v142, v136, v12
	v_fma_f32 v22, v126, v5, -v22
	v_dual_fmac_f32 v141, v129, v7 :: v_dual_fmac_f32 v140, v127, v5
	v_mul_f32_e32 v129, v134, v10
	v_mul_f32_e32 v127, v130, v2
	v_fma_f32 v126, v128, v7, -v6
	ds_load_2addr_b64 v[5:8], v21 offset0:61 offset1:62
	v_mul_f32_e32 v128, v132, v4
	v_dual_mul_f32 v4, v133, v4 :: v_dual_fmac_f32 v129, v135, v9
	v_mul_f32_e32 v10, v135, v10
	v_mul_f32_e32 v12, v137, v12
	;; [unrolled: 1-line block ×3, first 2 shown]
	v_dual_fmac_f32 v127, v131, v1 :: v_dual_fmac_f32 v128, v133, v3
	v_fma_f32 v131, v132, v3, -v4
	v_fma_f32 v132, v134, v9, -v10
	v_fmac_f32_e32 v142, v137, v11
	v_fma_f32 v133, v136, v11, -v12
	ds_load_2addr_b64 v[9:12], v21 offset0:63 offset1:64
	s_wait_loadcnt_dscnt 0x201
	v_dual_mul_f32 v135, v7, v16 :: v_dual_mul_f32 v134, v5, v14
	s_delay_alu instid0(VALU_DEP_1)
	v_dual_mul_f32 v14, v6, v14 :: v_dual_fmac_f32 v135, v8, v15
	v_fma_f32 v130, v130, v1, -v2
	scratch_load_b128 v[1:4], off, off offset:104
	v_mul_f32_e32 v16, v8, v16
	v_fmac_f32_e32 v134, v6, v13
	v_fma_f32 v13, v5, v13, -v14
	s_delay_alu instid0(VALU_DEP_3)
	v_fma_f32 v14, v7, v15, -v16
	s_wait_loadcnt_dscnt 0x200
	v_mul_f32_e32 v15, v9, v18
	v_mul_f32_e32 v16, v10, v18
	v_mul_f32_e32 v18, v11, v20
	v_mul_f32_e32 v20, v12, v20
	ds_load_2addr_b64 v[5:8], v21 offset0:65 offset1:66
	v_fmac_f32_e32 v15, v10, v17
	v_fma_f32 v16, v9, v17, -v16
	v_fmac_f32_e32 v18, v12, v19
	v_fma_f32 v17, v11, v19, -v20
	scratch_load_b128 v[9:12], off, off offset:120
	s_wait_loadcnt_dscnt 0x100
	v_mul_f32_e32 v19, v5, v2
	v_mul_f32_e32 v2, v6, v2
	;; [unrolled: 1-line block ×3, first 2 shown]
	s_delay_alu instid0(VALU_DEP_3) | instskip(NEXT) | instid1(VALU_DEP_3)
	v_dual_mul_f32 v4, v8, v4 :: v_dual_fmac_f32 v19, v6, v1
	v_fma_f32 v136, v5, v1, -v2
	s_delay_alu instid0(VALU_DEP_3) | instskip(NEXT) | instid1(VALU_DEP_3)
	v_fmac_f32_e32 v20, v8, v3
	v_fma_f32 v137, v7, v3, -v4
	ds_load_2addr_b64 v[1:4], v21 offset0:67 offset1:68
	ds_load_2addr_b64 v[5:8], v21 offset0:69 offset1:70
	s_wait_loadcnt_dscnt 0x1
	v_mul_f32_e32 v143, v1, v10
	v_mul_f32_e32 v10, v2, v10
	s_delay_alu instid0(VALU_DEP_2) | instskip(NEXT) | instid1(VALU_DEP_2)
	v_dual_mul_f32 v144, v3, v12 :: v_dual_fmac_f32 v143, v2, v9
	v_fma_f32 v145, v1, v9, -v10
	v_mul_f32_e32 v1, v4, v12
	s_delay_alu instid0(VALU_DEP_3) | instskip(NEXT) | instid1(VALU_DEP_2)
	v_fmac_f32_e32 v144, v4, v11
	v_fma_f32 v146, v3, v11, -v1
	s_clause 0x1
	scratch_load_b128 v[1:4], off, off offset:136
	scratch_load_b128 v[9:12], off, off offset:152
	s_wait_loadcnt_dscnt 0x100
	v_mul_f32_e32 v147, v5, v2
	v_dual_mul_f32 v2, v6, v2 :: v_dual_mul_f32 v149, v7, v4
	s_delay_alu instid0(VALU_DEP_2) | instskip(NEXT) | instid1(VALU_DEP_2)
	v_fmac_f32_e32 v147, v6, v1
	v_fma_f32 v148, v5, v1, -v2
	v_mul_f32_e32 v1, v8, v4
	s_delay_alu instid0(VALU_DEP_4) | instskip(NEXT) | instid1(VALU_DEP_2)
	v_fmac_f32_e32 v149, v8, v3
	v_fma_f32 v150, v7, v3, -v1
	ds_load_2addr_b64 v[1:4], v21 offset0:71 offset1:72
	ds_load_2addr_b64 v[5:8], v21 offset0:73 offset1:74
	s_wait_loadcnt_dscnt 0x1
	v_mul_f32_e32 v151, v1, v10
	v_mul_f32_e32 v153, v3, v12
	s_delay_alu instid0(VALU_DEP_2) | instskip(NEXT) | instid1(VALU_DEP_2)
	v_fmac_f32_e32 v151, v2, v9
	v_dual_mul_f32 v2, v2, v10 :: v_dual_fmac_f32 v153, v4, v11
	s_delay_alu instid0(VALU_DEP_1) | instskip(SKIP_1) | instid1(VALU_DEP_1)
	v_fma_f32 v152, v1, v9, -v2
	v_mul_f32_e32 v1, v4, v12
	v_fma_f32 v154, v3, v11, -v1
	s_clause 0x1
	scratch_load_b128 v[1:4], off, off offset:168
	scratch_load_b128 v[9:12], off, off offset:184
	s_wait_loadcnt_dscnt 0x100
	v_mul_f32_e32 v155, v5, v2
	v_dual_mul_f32 v2, v6, v2 :: v_dual_mul_f32 v157, v7, v4
	s_delay_alu instid0(VALU_DEP_2) | instskip(NEXT) | instid1(VALU_DEP_2)
	v_fmac_f32_e32 v155, v6, v1
	v_fma_f32 v156, v5, v1, -v2
	v_mul_f32_e32 v1, v8, v4
	s_delay_alu instid0(VALU_DEP_4) | instskip(NEXT) | instid1(VALU_DEP_2)
	v_fmac_f32_e32 v157, v8, v3
	v_fma_f32 v158, v7, v3, -v1
	ds_load_2addr_b64 v[1:4], v21 offset0:75 offset1:76
	ds_load_2addr_b64 v[5:8], v21 offset0:77 offset1:78
	s_wait_loadcnt_dscnt 0x1
	v_mul_f32_e32 v159, v1, v10
	v_mul_f32_e32 v161, v3, v12
	s_delay_alu instid0(VALU_DEP_2) | instskip(NEXT) | instid1(VALU_DEP_2)
	v_fmac_f32_e32 v159, v2, v9
	v_dual_mul_f32 v2, v2, v10 :: v_dual_fmac_f32 v161, v4, v11
	s_delay_alu instid0(VALU_DEP_1) | instskip(SKIP_1) | instid1(VALU_DEP_1)
	v_fma_f32 v160, v1, v9, -v2
	v_mul_f32_e32 v1, v4, v12
	;; [unrolled: 25-line block ×6, first 2 shown]
	v_fma_f32 v194, v3, v11, -v1
	s_clause 0x1
	scratch_load_b128 v[1:4], off, off offset:328
	scratch_load_b128 v[9:12], off, off offset:344
	s_wait_loadcnt_dscnt 0x100
	v_mul_f32_e32 v195, v5, v2
	v_dual_mul_f32 v2, v6, v2 :: v_dual_mul_f32 v197, v7, v4
	s_delay_alu instid0(VALU_DEP_2) | instskip(NEXT) | instid1(VALU_DEP_2)
	v_fmac_f32_e32 v195, v6, v1
	v_fma_f32 v196, v5, v1, -v2
	s_delay_alu instid0(VALU_DEP_3) | instskip(NEXT) | instid1(VALU_DEP_1)
	v_dual_add_f32 v2, 0, v140 :: v_dual_fmac_f32 v197, v8, v3
	v_add_f32_e32 v2, v2, v141
	s_delay_alu instid0(VALU_DEP_1) | instskip(NEXT) | instid1(VALU_DEP_1)
	v_add_f32_e32 v2, v2, v127
	v_add_f32_e32 v2, v2, v128
	s_delay_alu instid0(VALU_DEP_1) | instskip(NEXT) | instid1(VALU_DEP_1)
	v_add_f32_e32 v2, v2, v129
	;; [unrolled: 3-line block ×4, first 2 shown]
	v_dual_add_f32 v2, v2, v18 :: v_dual_mul_f32 v1, v8, v4
	s_delay_alu instid0(VALU_DEP_1) | instskip(NEXT) | instid1(VALU_DEP_2)
	v_add_f32_e32 v2, v2, v19
	v_fma_f32 v198, v7, v3, -v1
	s_delay_alu instid0(VALU_DEP_2) | instskip(NEXT) | instid1(VALU_DEP_1)
	v_dual_add_f32 v1, 0, v22 :: v_dual_add_f32 v2, v2, v20
	v_dual_add_f32 v1, v1, v126 :: v_dual_add_f32 v2, v2, v143
	s_delay_alu instid0(VALU_DEP_1) | instskip(NEXT) | instid1(VALU_DEP_1)
	v_dual_add_f32 v1, v1, v130 :: v_dual_add_f32 v2, v2, v144
	v_add_f32_e32 v1, v1, v131
	s_delay_alu instid0(VALU_DEP_1) | instskip(NEXT) | instid1(VALU_DEP_1)
	v_dual_add_f32 v2, v2, v147 :: v_dual_add_f32 v1, v1, v132
	v_add_f32_e32 v2, v2, v149
	s_delay_alu instid0(VALU_DEP_1) | instskip(NEXT) | instid1(VALU_DEP_1)
	v_dual_add_f32 v1, v1, v133 :: v_dual_add_f32 v2, v2, v151
	v_add_f32_e32 v1, v1, v13
	s_delay_alu instid0(VALU_DEP_1) | instskip(NEXT) | instid1(VALU_DEP_1)
	v_dual_add_f32 v2, v2, v153 :: v_dual_add_f32 v1, v1, v14
	v_dual_add_f32 v2, v2, v155 :: v_dual_add_f32 v1, v1, v16
	s_delay_alu instid0(VALU_DEP_1) | instskip(NEXT) | instid1(VALU_DEP_2)
	v_add_f32_e32 v2, v2, v157
	v_add_f32_e32 v1, v1, v17
	s_delay_alu instid0(VALU_DEP_1) | instskip(NEXT) | instid1(VALU_DEP_1)
	v_add_f32_e32 v1, v1, v136
	v_add_f32_e32 v1, v1, v137
	s_delay_alu instid0(VALU_DEP_1) | instskip(NEXT) | instid1(VALU_DEP_1)
	;; [unrolled: 3-line block ×8, first 2 shown]
	v_add_f32_e32 v1, v1, v168
	v_add_f32_e32 v6, v1, v170
	v_add_f32_e32 v2, v2, v159
	s_delay_alu instid0(VALU_DEP_2) | instskip(NEXT) | instid1(VALU_DEP_2)
	v_add_f32_e32 v6, v6, v172
	v_add_f32_e32 v2, v2, v161
	s_delay_alu instid0(VALU_DEP_2) | instskip(NEXT) | instid1(VALU_DEP_1)
	v_add_f32_e32 v13, v6, v174
	v_dual_add_f32 v2, v2, v163 :: v_dual_add_f32 v13, v13, v176
	s_delay_alu instid0(VALU_DEP_1) | instskip(NEXT) | instid1(VALU_DEP_1)
	v_dual_add_f32 v2, v2, v165 :: v_dual_add_f32 v13, v13, v178
	v_add_f32_e32 v5, v2, v167
	ds_load_2addr_b64 v[1:4], v21 offset0:95 offset1:96
	v_add_f32_e32 v13, v13, v180
	v_add_f32_e32 v5, v5, v169
	s_delay_alu instid0(VALU_DEP_2) | instskip(NEXT) | instid1(VALU_DEP_1)
	v_add_f32_e32 v18, v13, v182
	v_dual_add_f32 v5, v5, v171 :: v_dual_add_f32 v18, v18, v184
	s_delay_alu instid0(VALU_DEP_1)
	v_add_f32_e32 v14, v5, v173
	ds_load_2addr_b64 v[5:8], v21 offset0:97 offset1:98
	v_add_f32_e32 v18, v18, v186
	s_wait_loadcnt_dscnt 0x1
	v_mul_f32_e32 v22, v1, v10
	v_mul_f32_e32 v130, v3, v12
	;; [unrolled: 1-line block ×4, first 2 shown]
	v_add_f32_e32 v126, v18, v188
	v_fmac_f32_e32 v22, v2, v9
	v_fmac_f32_e32 v130, v4, v11
	v_fma_f32 v131, v1, v9, -v10
	v_fma_f32 v132, v3, v11, -v12
	s_clause 0x1
	scratch_load_b128 v[1:4], off, off offset:360
	scratch_load_b128 v[9:12], off, off offset:376
	v_add_f32_e32 v14, v14, v175
	v_add_f32_e32 v133, v126, v190
	s_delay_alu instid0(VALU_DEP_2) | instskip(NEXT) | instid1(VALU_DEP_1)
	v_add_f32_e32 v14, v14, v177
	v_add_f32_e32 v17, v14, v179
	scratch_load_b128 v[13:16], off, off offset:392
	v_add_f32_e32 v17, v17, v181
	s_delay_alu instid0(VALU_DEP_1) | instskip(NEXT) | instid1(VALU_DEP_1)
	v_add_f32_e32 v17, v17, v183
	v_add_f32_e32 v17, v17, v185
	s_delay_alu instid0(VALU_DEP_1) | instskip(SKIP_4) | instid1(VALU_DEP_1)
	v_add_f32_e32 v127, v17, v187
	ds_load_2addr_b64 v[17:20], v21 offset0:99 offset1:100
	v_add_f32_e32 v134, v127, v189
	ds_load_2addr_b64 v[126:129], v21 offset0:101 offset1:102
	v_add_f32_e32 v21, v133, v192
	v_add_f32_e32 v21, v21, v194
	s_delay_alu instid0(VALU_DEP_1) | instskip(NEXT) | instid1(VALU_DEP_1)
	v_add_f32_e32 v21, v21, v196
	v_add_f32_e32 v21, v21, v198
	s_delay_alu instid0(VALU_DEP_1)
	v_add_f32_e32 v21, v21, v131
	s_wait_loadcnt_dscnt 0x202
	v_mul_f32_e32 v135, v7, v4
	v_dual_mul_f32 v4, v8, v4 :: v_dual_add_f32 v133, v134, v191
	v_mul_f32_e32 v134, v5, v2
	v_mul_f32_e32 v2, v6, v2
	s_wait_loadcnt_dscnt 0x101
	v_dual_mul_f32 v136, v17, v10 :: v_dual_fmac_f32 v135, v8, v3
	v_add_f32_e32 v133, v133, v193
	v_fmac_f32_e32 v134, v6, v1
	v_fma_f32 v2, v5, v1, -v2
	v_dual_add_f32 v1, v21, v132 :: v_dual_mul_f32 v6, v18, v10
	s_delay_alu instid0(VALU_DEP_4) | instskip(SKIP_2) | instid1(VALU_DEP_4)
	v_add_f32_e32 v133, v133, v195
	v_fma_f32 v3, v7, v3, -v4
	v_mul_f32_e32 v137, v19, v12
	v_dual_add_f32 v1, v1, v2 :: v_dual_mul_f32 v4, v20, v12
	s_delay_alu instid0(VALU_DEP_4) | instskip(SKIP_2) | instid1(VALU_DEP_3)
	v_add_f32_e32 v133, v133, v197
	v_fmac_f32_e32 v136, v18, v9
	s_wait_loadcnt_dscnt 0x0
	v_dual_mul_f32 v140, v126, v14 :: v_dual_add_f32 v1, v1, v3
	v_mul_f32_e32 v3, v127, v14
	v_dual_add_f32 v22, v133, v22 :: v_dual_fmac_f32 v137, v20, v11
	v_fma_f32 v4, v19, v11, -v4
	s_delay_alu instid0(VALU_DEP_4) | instskip(NEXT) | instid1(VALU_DEP_3)
	v_dual_mul_f32 v131, v128, v16 :: v_dual_fmac_f32 v140, v127, v13
	v_add_f32_e32 v5, v22, v130
	v_fma_f32 v3, v126, v13, -v3
	s_delay_alu instid0(VALU_DEP_3) | instskip(NEXT) | instid1(VALU_DEP_3)
	v_fmac_f32_e32 v131, v129, v15
	v_add_f32_e32 v2, v5, v134
	v_fma_f32 v5, v17, v9, -v6
	s_delay_alu instid0(VALU_DEP_1) | instskip(SKIP_1) | instid1(VALU_DEP_2)
	v_dual_add_f32 v2, v2, v135 :: v_dual_add_f32 v1, v1, v5
	v_mul_f32_e32 v5, v129, v16
	v_add_f32_e32 v2, v2, v136
	s_delay_alu instid0(VALU_DEP_3) | instskip(NEXT) | instid1(VALU_DEP_3)
	v_add_f32_e32 v1, v1, v4
	v_fma_f32 v4, v128, v15, -v5
	s_delay_alu instid0(VALU_DEP_2) | instskip(NEXT) | instid1(VALU_DEP_1)
	v_dual_add_f32 v2, v2, v137 :: v_dual_add_f32 v1, v1, v3
	v_add_f32_e32 v2, v2, v140
	s_delay_alu instid0(VALU_DEP_1) | instskip(NEXT) | instid1(VALU_DEP_1)
	v_dual_add_f32 v1, v1, v4 :: v_dual_add_f32 v2, v2, v131
	v_dual_sub_f32 v1, v138, v1 :: v_dual_sub_f32 v2, v139, v2
	scratch_store_b64 off, v[1:2], off offset:16
	v_cmpx_lt_u32_e32 1, v0
	s_cbranch_execz .LBB114_317
; %bb.316:
	scratch_load_b64 v[1:2], off, off offset:8
	v_mov_b32_e32 v3, 0
	s_delay_alu instid0(VALU_DEP_1)
	v_mov_b32_e32 v4, v3
	scratch_store_b64 off, v[3:4], off offset:8
	s_wait_loadcnt 0x0
	ds_store_b64 v23, v[1:2]
.LBB114_317:
	s_wait_alu 0xfffe
	s_or_b32 exec_lo, exec_lo, s0
	s_wait_storecnt_dscnt 0x0
	s_barrier_signal -1
	s_barrier_wait -1
	global_inv scope:SCOPE_SE
	s_clause 0x4
	scratch_load_b128 v[5:8], off, off offset:16
	scratch_load_b128 v[1:4], off, off offset:32
	;; [unrolled: 1-line block ×5, first 2 shown]
	v_mov_b32_e32 v126, 0
	ds_load_b128 v[127:130], v126 offset:432
	ds_load_b128 v[131:134], v126 offset:448
	;; [unrolled: 1-line block ×3, first 2 shown]
	scratch_load_b64 v[21:22], off, off offset:8
	s_mov_b32 s0, exec_lo
	s_wait_loadcnt_dscnt 0x502
	v_mul_f32_e32 v139, v128, v6
	v_dual_mul_f32 v140, v127, v6 :: v_dual_mul_f32 v141, v129, v8
	v_mul_f32_e32 v6, v130, v8
	s_delay_alu instid0(VALU_DEP_3) | instskip(NEXT) | instid1(VALU_DEP_3)
	v_fma_f32 v127, v127, v5, -v139
	v_dual_fmac_f32 v140, v128, v5 :: v_dual_fmac_f32 v141, v130, v7
	s_delay_alu instid0(VALU_DEP_3)
	v_fma_f32 v128, v129, v7, -v6
	ds_load_b128 v[5:8], v126 offset:480
	s_wait_loadcnt_dscnt 0x402
	v_dual_mul_f32 v129, v131, v2 :: v_dual_mul_f32 v130, v133, v4
	s_wait_loadcnt_dscnt 0x301
	v_dual_mul_f32 v139, v135, v10 :: v_dual_mul_f32 v4, v134, v4
	v_mul_f32_e32 v10, v136, v10
	v_mul_f32_e32 v142, v137, v12
	v_mul_f32_e32 v12, v138, v12
	v_mul_f32_e32 v2, v132, v2
	v_dual_fmac_f32 v129, v132, v1 :: v_dual_fmac_f32 v130, v134, v3
	v_fma_f32 v132, v133, v3, -v4
	v_fmac_f32_e32 v139, v136, v9
	v_fma_f32 v133, v135, v9, -v10
	v_fmac_f32_e32 v142, v138, v11
	v_fma_f32 v134, v137, v11, -v12
	ds_load_b128 v[9:12], v126 offset:496
	s_wait_loadcnt_dscnt 0x201
	v_mul_f32_e32 v135, v5, v14
	v_mul_f32_e32 v14, v6, v14
	;; [unrolled: 1-line block ×3, first 2 shown]
	s_delay_alu instid0(VALU_DEP_3)
	v_dual_mul_f32 v16, v8, v16 :: v_dual_fmac_f32 v135, v6, v13
	v_fma_f32 v131, v131, v1, -v2
	scratch_load_b128 v[1:4], off, off offset:96
	v_fma_f32 v13, v5, v13, -v14
	v_fmac_f32_e32 v136, v8, v15
	v_fma_f32 v14, v7, v15, -v16
	ds_load_b128 v[5:8], v126 offset:512
	s_wait_loadcnt_dscnt 0x201
	v_mul_f32_e32 v15, v9, v18
	v_mul_f32_e32 v16, v10, v18
	;; [unrolled: 1-line block ×3, first 2 shown]
	s_delay_alu instid0(VALU_DEP_3) | instskip(NEXT) | instid1(VALU_DEP_3)
	v_dual_mul_f32 v20, v12, v20 :: v_dual_fmac_f32 v15, v10, v17
	v_fma_f32 v16, v9, v17, -v16
	s_delay_alu instid0(VALU_DEP_3) | instskip(NEXT) | instid1(VALU_DEP_3)
	v_fmac_f32_e32 v18, v12, v19
	v_fma_f32 v17, v11, v19, -v20
	scratch_load_b128 v[9:12], off, off offset:112
	s_wait_loadcnt_dscnt 0x100
	v_mul_f32_e32 v19, v5, v2
	v_mul_f32_e32 v2, v6, v2
	;; [unrolled: 1-line block ×3, first 2 shown]
	s_delay_alu instid0(VALU_DEP_3) | instskip(NEXT) | instid1(VALU_DEP_3)
	v_dual_mul_f32 v4, v8, v4 :: v_dual_fmac_f32 v19, v6, v1
	v_fma_f32 v137, v5, v1, -v2
	s_delay_alu instid0(VALU_DEP_3) | instskip(NEXT) | instid1(VALU_DEP_3)
	v_fmac_f32_e32 v20, v8, v3
	v_fma_f32 v138, v7, v3, -v4
	ds_load_b128 v[1:4], v126 offset:528
	ds_load_b128 v[5:8], v126 offset:544
	s_wait_loadcnt_dscnt 0x1
	v_mul_f32_e32 v143, v1, v10
	v_mul_f32_e32 v10, v2, v10
	s_delay_alu instid0(VALU_DEP_2) | instskip(NEXT) | instid1(VALU_DEP_2)
	v_dual_mul_f32 v144, v3, v12 :: v_dual_fmac_f32 v143, v2, v9
	v_fma_f32 v145, v1, v9, -v10
	v_mul_f32_e32 v1, v4, v12
	s_delay_alu instid0(VALU_DEP_3) | instskip(NEXT) | instid1(VALU_DEP_2)
	v_fmac_f32_e32 v144, v4, v11
	v_fma_f32 v146, v3, v11, -v1
	s_clause 0x1
	scratch_load_b128 v[1:4], off, off offset:128
	scratch_load_b128 v[9:12], off, off offset:144
	s_wait_loadcnt_dscnt 0x100
	v_mul_f32_e32 v147, v5, v2
	v_dual_mul_f32 v2, v6, v2 :: v_dual_mul_f32 v149, v7, v4
	s_delay_alu instid0(VALU_DEP_2) | instskip(NEXT) | instid1(VALU_DEP_2)
	v_fmac_f32_e32 v147, v6, v1
	v_fma_f32 v148, v5, v1, -v2
	v_mul_f32_e32 v1, v8, v4
	s_delay_alu instid0(VALU_DEP_4) | instskip(NEXT) | instid1(VALU_DEP_2)
	v_fmac_f32_e32 v149, v8, v3
	v_fma_f32 v150, v7, v3, -v1
	ds_load_b128 v[1:4], v126 offset:560
	ds_load_b128 v[5:8], v126 offset:576
	s_wait_loadcnt_dscnt 0x1
	v_mul_f32_e32 v151, v1, v10
	v_mul_f32_e32 v153, v3, v12
	s_delay_alu instid0(VALU_DEP_2) | instskip(NEXT) | instid1(VALU_DEP_2)
	v_fmac_f32_e32 v151, v2, v9
	v_dual_mul_f32 v2, v2, v10 :: v_dual_fmac_f32 v153, v4, v11
	s_delay_alu instid0(VALU_DEP_1) | instskip(SKIP_1) | instid1(VALU_DEP_1)
	v_fma_f32 v152, v1, v9, -v2
	v_mul_f32_e32 v1, v4, v12
	v_fma_f32 v154, v3, v11, -v1
	s_clause 0x1
	scratch_load_b128 v[1:4], off, off offset:160
	scratch_load_b128 v[9:12], off, off offset:176
	s_wait_loadcnt_dscnt 0x100
	v_mul_f32_e32 v155, v5, v2
	v_dual_mul_f32 v157, v7, v4 :: v_dual_mul_f32 v2, v6, v2
	s_delay_alu instid0(VALU_DEP_2) | instskip(NEXT) | instid1(VALU_DEP_2)
	v_fmac_f32_e32 v155, v6, v1
	v_fmac_f32_e32 v157, v8, v3
	s_delay_alu instid0(VALU_DEP_3) | instskip(SKIP_1) | instid1(VALU_DEP_1)
	v_fma_f32 v156, v5, v1, -v2
	v_mul_f32_e32 v1, v8, v4
	v_fma_f32 v158, v7, v3, -v1
	ds_load_b128 v[1:4], v126 offset:592
	ds_load_b128 v[5:8], v126 offset:608
	s_wait_loadcnt_dscnt 0x1
	v_mul_f32_e32 v159, v1, v10
	v_mul_f32_e32 v161, v3, v12
	s_delay_alu instid0(VALU_DEP_2) | instskip(NEXT) | instid1(VALU_DEP_2)
	v_fmac_f32_e32 v159, v2, v9
	v_dual_mul_f32 v2, v2, v10 :: v_dual_fmac_f32 v161, v4, v11
	s_delay_alu instid0(VALU_DEP_1) | instskip(SKIP_1) | instid1(VALU_DEP_1)
	v_fma_f32 v160, v1, v9, -v2
	v_mul_f32_e32 v1, v4, v12
	v_fma_f32 v162, v3, v11, -v1
	s_clause 0x1
	scratch_load_b128 v[1:4], off, off offset:192
	scratch_load_b128 v[9:12], off, off offset:208
	s_wait_loadcnt_dscnt 0x100
	v_mul_f32_e32 v163, v5, v2
	v_dual_mul_f32 v2, v6, v2 :: v_dual_mul_f32 v165, v7, v4
	s_delay_alu instid0(VALU_DEP_2) | instskip(NEXT) | instid1(VALU_DEP_2)
	v_fmac_f32_e32 v163, v6, v1
	v_fma_f32 v164, v5, v1, -v2
	v_mul_f32_e32 v1, v8, v4
	s_delay_alu instid0(VALU_DEP_4) | instskip(NEXT) | instid1(VALU_DEP_2)
	v_fmac_f32_e32 v165, v8, v3
	v_fma_f32 v166, v7, v3, -v1
	ds_load_b128 v[1:4], v126 offset:624
	ds_load_b128 v[5:8], v126 offset:640
	s_wait_loadcnt_dscnt 0x1
	v_mul_f32_e32 v167, v1, v10
	v_mul_f32_e32 v169, v3, v12
	s_delay_alu instid0(VALU_DEP_2) | instskip(NEXT) | instid1(VALU_DEP_2)
	v_fmac_f32_e32 v167, v2, v9
	v_dual_mul_f32 v2, v2, v10 :: v_dual_fmac_f32 v169, v4, v11
	s_delay_alu instid0(VALU_DEP_1) | instskip(SKIP_1) | instid1(VALU_DEP_1)
	v_fma_f32 v168, v1, v9, -v2
	v_mul_f32_e32 v1, v4, v12
	v_fma_f32 v170, v3, v11, -v1
	s_clause 0x1
	scratch_load_b128 v[1:4], off, off offset:224
	scratch_load_b128 v[9:12], off, off offset:240
	s_wait_loadcnt_dscnt 0x100
	v_mul_f32_e32 v171, v5, v2
	v_dual_mul_f32 v2, v6, v2 :: v_dual_mul_f32 v173, v7, v4
	s_delay_alu instid0(VALU_DEP_2) | instskip(NEXT) | instid1(VALU_DEP_2)
	v_fmac_f32_e32 v171, v6, v1
	v_fma_f32 v172, v5, v1, -v2
	v_mul_f32_e32 v1, v8, v4
	s_delay_alu instid0(VALU_DEP_4) | instskip(NEXT) | instid1(VALU_DEP_2)
	v_fmac_f32_e32 v173, v8, v3
	;; [unrolled: 25-line block ×4, first 2 shown]
	v_fma_f32 v190, v7, v3, -v1
	ds_load_b128 v[1:4], v126 offset:720
	ds_load_b128 v[5:8], v126 offset:736
	s_wait_loadcnt_dscnt 0x1
	v_mul_f32_e32 v191, v1, v10
	v_mul_f32_e32 v193, v3, v12
	s_delay_alu instid0(VALU_DEP_2) | instskip(NEXT) | instid1(VALU_DEP_2)
	v_fmac_f32_e32 v191, v2, v9
	v_dual_mul_f32 v2, v2, v10 :: v_dual_fmac_f32 v193, v4, v11
	s_delay_alu instid0(VALU_DEP_1) | instskip(SKIP_1) | instid1(VALU_DEP_1)
	v_fma_f32 v192, v1, v9, -v2
	v_mul_f32_e32 v1, v4, v12
	v_fma_f32 v194, v3, v11, -v1
	s_clause 0x1
	scratch_load_b128 v[1:4], off, off offset:320
	scratch_load_b128 v[9:12], off, off offset:336
	s_wait_loadcnt_dscnt 0x100
	v_mul_f32_e32 v195, v5, v2
	v_mul_f32_e32 v2, v6, v2
	s_delay_alu instid0(VALU_DEP_2) | instskip(NEXT) | instid1(VALU_DEP_2)
	v_fmac_f32_e32 v195, v6, v1
	v_fma_f32 v196, v5, v1, -v2
	v_mul_f32_e32 v1, v8, v4
	v_add_f32_e32 v2, 0, v140
	s_delay_alu instid0(VALU_DEP_2) | instskip(NEXT) | instid1(VALU_DEP_2)
	v_fma_f32 v198, v7, v3, -v1
	v_dual_add_f32 v1, 0, v127 :: v_dual_add_f32 v2, v2, v141
	s_delay_alu instid0(VALU_DEP_1) | instskip(NEXT) | instid1(VALU_DEP_1)
	v_dual_add_f32 v1, v1, v128 :: v_dual_add_f32 v2, v2, v129
	v_dual_add_f32 v1, v1, v131 :: v_dual_add_f32 v2, v2, v130
	s_delay_alu instid0(VALU_DEP_1) | instskip(SKIP_2) | instid1(VALU_DEP_1)
	v_dual_add_f32 v1, v1, v132 :: v_dual_add_f32 v2, v2, v139
	scratch_load_b64 v[131:132], off, off offset:400
	v_dual_add_f32 v1, v1, v133 :: v_dual_add_f32 v2, v2, v142
	v_dual_add_f32 v1, v1, v134 :: v_dual_add_f32 v2, v2, v135
	s_delay_alu instid0(VALU_DEP_1) | instskip(NEXT) | instid1(VALU_DEP_1)
	v_dual_add_f32 v1, v1, v13 :: v_dual_add_f32 v2, v2, v136
	v_dual_add_f32 v1, v1, v14 :: v_dual_add_f32 v2, v2, v15
	s_delay_alu instid0(VALU_DEP_1) | instskip(NEXT) | instid1(VALU_DEP_1)
	;; [unrolled: 3-line block ×7, first 2 shown]
	v_dual_add_f32 v1, v1, v156 :: v_dual_add_f32 v2, v2, v157
	v_add_f32_e32 v1, v1, v158
	s_delay_alu instid0(VALU_DEP_1) | instskip(NEXT) | instid1(VALU_DEP_1)
	v_add_f32_e32 v1, v1, v160
	v_add_f32_e32 v1, v1, v162
	s_delay_alu instid0(VALU_DEP_1) | instskip(NEXT) | instid1(VALU_DEP_1)
	v_add_f32_e32 v1, v1, v164
	;; [unrolled: 3-line block ×3, first 2 shown]
	v_add_f32_e32 v6, v1, v170
	v_add_f32_e32 v2, v2, v159
	s_delay_alu instid0(VALU_DEP_2) | instskip(NEXT) | instid1(VALU_DEP_2)
	v_add_f32_e32 v6, v6, v172
	v_add_f32_e32 v2, v2, v161
	s_delay_alu instid0(VALU_DEP_2) | instskip(NEXT) | instid1(VALU_DEP_1)
	v_add_f32_e32 v13, v6, v174
	v_dual_add_f32 v2, v2, v163 :: v_dual_add_f32 v13, v13, v176
	s_delay_alu instid0(VALU_DEP_1) | instskip(NEXT) | instid1(VALU_DEP_1)
	v_dual_add_f32 v2, v2, v165 :: v_dual_add_f32 v13, v13, v178
	v_add_f32_e32 v5, v2, v167
	s_delay_alu instid0(VALU_DEP_2) | instskip(NEXT) | instid1(VALU_DEP_2)
	v_add_f32_e32 v13, v13, v180
	v_add_f32_e32 v5, v5, v169
	s_delay_alu instid0(VALU_DEP_2) | instskip(NEXT) | instid1(VALU_DEP_1)
	v_add_f32_e32 v18, v13, v182
	v_dual_add_f32 v5, v5, v171 :: v_dual_add_f32 v18, v18, v184
	s_delay_alu instid0(VALU_DEP_1) | instskip(NEXT) | instid1(VALU_DEP_2)
	v_add_f32_e32 v14, v5, v173
	v_add_f32_e32 v18, v18, v186
	s_delay_alu instid0(VALU_DEP_2) | instskip(NEXT) | instid1(VALU_DEP_2)
	v_dual_add_f32 v14, v14, v175 :: v_dual_mul_f32 v197, v7, v4
	v_add_f32_e32 v18, v18, v188
	s_delay_alu instid0(VALU_DEP_2)
	v_dual_add_f32 v14, v14, v177 :: v_dual_fmac_f32 v197, v8, v3
	ds_load_b128 v[1:4], v126 offset:752
	ds_load_b128 v[5:8], v126 offset:768
	v_add_f32_e32 v18, v18, v190
	v_add_f32_e32 v17, v14, v179
	scratch_load_b128 v[13:16], off, off offset:384
	v_add_f32_e32 v133, v18, v192
	v_add_f32_e32 v17, v17, v181
	s_delay_alu instid0(VALU_DEP_2) | instskip(NEXT) | instid1(VALU_DEP_2)
	v_add_f32_e32 v139, v133, v194
	v_add_f32_e32 v17, v17, v183
	s_delay_alu instid0(VALU_DEP_2) | instskip(NEXT) | instid1(VALU_DEP_2)
	v_add_f32_e32 v139, v139, v196
	v_add_f32_e32 v17, v17, v185
	s_wait_loadcnt_dscnt 0x201
	v_mul_f32_e32 v135, v1, v10
	v_mul_f32_e32 v10, v2, v10
	;; [unrolled: 1-line block ×3, first 2 shown]
	v_dual_mul_f32 v12, v4, v12 :: v_dual_add_f32 v139, v139, v198
	s_delay_alu instid0(VALU_DEP_3) | instskip(NEXT) | instid1(VALU_DEP_3)
	v_fma_f32 v137, v1, v9, -v10
	v_fmac_f32_e32 v136, v4, v11
	s_delay_alu instid0(VALU_DEP_3) | instskip(NEXT) | instid1(VALU_DEP_3)
	v_fma_f32 v138, v3, v11, -v12
	v_add_f32_e32 v137, v139, v137
	s_delay_alu instid0(VALU_DEP_1)
	v_add_f32_e32 v137, v137, v138
	v_fmac_f32_e32 v135, v2, v9
	s_clause 0x1
	scratch_load_b128 v[1:4], off, off offset:352
	scratch_load_b128 v[9:12], off, off offset:368
	s_wait_loadcnt_dscnt 0x100
	v_dual_mul_f32 v142, v7, v4 :: v_dual_add_f32 v17, v17, v187
	v_dual_mul_f32 v4, v8, v4 :: v_dual_mul_f32 v141, v5, v2
	v_mul_f32_e32 v2, v6, v2
	s_delay_alu instid0(VALU_DEP_3)
	v_dual_fmac_f32 v142, v8, v3 :: v_dual_add_f32 v127, v17, v189
	ds_load_b128 v[17:20], v126 offset:784
	v_fmac_f32_e32 v141, v6, v1
	v_fma_f32 v2, v5, v1, -v2
	v_fma_f32 v1, v7, v3, -v4
	v_add_f32_e32 v134, v127, v191
	ds_load_b128 v[127:130], v126 offset:800
	v_add_f32_e32 v2, v137, v2
	v_add_f32_e32 v140, v134, v193
	ds_load_b64 v[133:134], v126 offset:816
	v_dual_add_f32 v1, v2, v1 :: v_dual_add_f32 v140, v140, v195
	s_wait_loadcnt_dscnt 0x2
	s_delay_alu instid0(VALU_DEP_1) | instskip(SKIP_2) | instid1(VALU_DEP_3)
	v_dual_add_f32 v140, v140, v197 :: v_dual_mul_f32 v139, v17, v10
	v_mul_f32_e32 v3, v18, v10
	v_mul_f32_e32 v5, v20, v12
	v_dual_add_f32 v135, v140, v135 :: v_dual_mul_f32 v140, v19, v12
	s_delay_alu instid0(VALU_DEP_4) | instskip(NEXT) | instid1(VALU_DEP_4)
	v_fmac_f32_e32 v139, v18, v9
	v_fma_f32 v3, v17, v9, -v3
	s_wait_dscnt 0x1
	v_mul_f32_e32 v143, v127, v14
	v_dual_add_f32 v135, v135, v136 :: v_dual_fmac_f32 v140, v20, v11
	v_fma_f32 v5, v19, v11, -v5
	v_add_f32_e32 v1, v1, v3
	v_mul_f32_e32 v138, v129, v16
	s_delay_alu instid0(VALU_DEP_4) | instskip(SKIP_1) | instid1(VALU_DEP_4)
	v_dual_add_f32 v4, v135, v141 :: v_dual_mul_f32 v3, v130, v16
	v_fmac_f32_e32 v143, v128, v13
	v_add_f32_e32 v1, v1, v5
	s_wait_dscnt 0x0
	v_mul_f32_e32 v136, v133, v132
	v_add_f32_e32 v2, v4, v142
	v_dual_mul_f32 v4, v128, v14 :: v_dual_mul_f32 v5, v134, v132
	v_fmac_f32_e32 v138, v130, v15
	v_fma_f32 v3, v129, v15, -v3
	s_delay_alu instid0(VALU_DEP_4) | instskip(NEXT) | instid1(VALU_DEP_4)
	v_add_f32_e32 v2, v2, v139
	v_fma_f32 v4, v127, v13, -v4
	v_fmac_f32_e32 v136, v134, v131
	s_delay_alu instid0(VALU_DEP_3) | instskip(NEXT) | instid1(VALU_DEP_3)
	v_add_f32_e32 v2, v2, v140
	v_add_f32_e32 v1, v1, v4
	v_fma_f32 v4, v133, v131, -v5
	s_delay_alu instid0(VALU_DEP_3) | instskip(NEXT) | instid1(VALU_DEP_1)
	v_add_f32_e32 v2, v2, v143
	v_dual_add_f32 v1, v1, v3 :: v_dual_add_f32 v2, v2, v138
	s_delay_alu instid0(VALU_DEP_1) | instskip(NEXT) | instid1(VALU_DEP_1)
	v_add_f32_e32 v1, v1, v4
	v_dual_add_f32 v2, v2, v136 :: v_dual_sub_f32 v1, v21, v1
	s_delay_alu instid0(VALU_DEP_1)
	v_sub_f32_e32 v2, v22, v2
	scratch_store_b64 off, v[1:2], off offset:8
	v_cmpx_ne_u32_e32 0, v0
	s_cbranch_execz .LBB114_319
; %bb.318:
	scratch_load_b64 v[0:1], off, off
	v_mov_b32_e32 v127, v126
	scratch_store_b64 off, v[126:127], off
	s_wait_loadcnt 0x0
	ds_store_b64 v23, v[0:1]
.LBB114_319:
	s_wait_alu 0xfffe
	s_or_b32 exec_lo, exec_lo, s0
	s_wait_storecnt_dscnt 0x0
	s_barrier_signal -1
	s_barrier_wait -1
	global_inv scope:SCOPE_SE
	s_clause 0x6
	scratch_load_b128 v[0:3], off, off offset:8
	scratch_load_b128 v[4:7], off, off offset:24
	;; [unrolled: 1-line block ×7, first 2 shown]
	ds_load_2addr_b64 v[131:134], v126 offset0:53 offset1:54
	ds_load_2addr_b64 v[135:138], v126 offset0:55 offset1:56
	scratch_load_b64 v[139:140], off, off
	s_and_b32 vcc_lo, exec_lo, s12
	s_wait_loadcnt_dscnt 0x701
	v_dual_mul_f32 v141, v131, v1 :: v_dual_mul_f32 v142, v133, v3
	v_mul_f32_e32 v1, v132, v1
	v_mul_f32_e32 v3, v134, v3
	s_delay_alu instid0(VALU_DEP_3) | instskip(NEXT) | instid1(VALU_DEP_3)
	v_dual_fmac_f32 v141, v132, v0 :: v_dual_fmac_f32 v142, v134, v2
	v_fma_f32 v131, v131, v0, -v1
	s_delay_alu instid0(VALU_DEP_3)
	v_fma_f32 v132, v133, v2, -v3
	ds_load_2addr_b64 v[0:3], v126 offset0:57 offset1:58
	s_wait_loadcnt_dscnt 0x601
	v_dual_mul_f32 v134, v137, v7 :: v_dual_mul_f32 v133, v135, v5
	v_mul_f32_e32 v5, v136, v5
	v_mul_f32_e32 v7, v138, v7
	s_delay_alu instid0(VALU_DEP_3) | instskip(NEXT) | instid1(VALU_DEP_3)
	v_dual_fmac_f32 v134, v138, v6 :: v_dual_fmac_f32 v133, v136, v4
	v_fma_f32 v135, v135, v4, -v5
	s_delay_alu instid0(VALU_DEP_3)
	v_fma_f32 v136, v137, v6, -v7
	ds_load_2addr_b64 v[4:7], v126 offset0:59 offset1:60
	s_wait_loadcnt_dscnt 0x501
	v_mul_f32_e32 v137, v0, v9
	v_dual_mul_f32 v9, v1, v9 :: v_dual_mul_f32 v138, v2, v11
	v_mul_f32_e32 v11, v3, v11
	s_delay_alu instid0(VALU_DEP_3) | instskip(NEXT) | instid1(VALU_DEP_3)
	v_fmac_f32_e32 v137, v1, v8
	v_fma_f32 v143, v0, v8, -v9
	s_delay_alu instid0(VALU_DEP_4) | instskip(NEXT) | instid1(VALU_DEP_4)
	v_fmac_f32_e32 v138, v3, v10
	v_fma_f32 v144, v2, v10, -v11
	ds_load_2addr_b64 v[0:3], v126 offset0:61 offset1:62
	s_wait_loadcnt_dscnt 0x401
	v_mul_f32_e32 v145, v4, v13
	v_dual_mul_f32 v8, v5, v13 :: v_dual_mul_f32 v13, v6, v15
	v_mul_f32_e32 v9, v7, v15
	s_delay_alu instid0(VALU_DEP_3) | instskip(NEXT) | instid1(VALU_DEP_3)
	v_fmac_f32_e32 v145, v5, v12
	v_fma_f32 v12, v4, v12, -v8
	s_delay_alu instid0(VALU_DEP_4) | instskip(NEXT) | instid1(VALU_DEP_4)
	v_fmac_f32_e32 v13, v7, v14
	;; [unrolled: 11-line block ×4, first 2 shown]
	v_fma_f32 v22, v6, v22, -v9
	ds_load_2addr_b64 v[4:7], v126 offset0:67 offset1:68
	s_wait_loadcnt_dscnt 0x101
	v_mul_f32_e32 v23, v0, v128
	v_mul_f32_e32 v8, v1, v128
	;; [unrolled: 1-line block ×4, first 2 shown]
	s_delay_alu instid0(VALU_DEP_4) | instskip(NEXT) | instid1(VALU_DEP_4)
	v_fmac_f32_e32 v23, v1, v127
	v_fma_f32 v127, v0, v127, -v8
	s_delay_alu instid0(VALU_DEP_4) | instskip(NEXT) | instid1(VALU_DEP_4)
	v_fmac_f32_e32 v128, v3, v129
	v_fma_f32 v129, v2, v129, -v9
	s_clause 0x1
	scratch_load_b128 v[0:3], off, off offset:120
	scratch_load_b128 v[8:11], off, off offset:136
	s_wait_loadcnt_dscnt 0x100
	v_mul_f32_e32 v130, v4, v1
	v_mul_f32_e32 v1, v5, v1
	s_delay_alu instid0(VALU_DEP_2) | instskip(NEXT) | instid1(VALU_DEP_2)
	v_dual_mul_f32 v147, v6, v3 :: v_dual_fmac_f32 v130, v5, v0
	v_fma_f32 v146, v4, v0, -v1
	v_mul_f32_e32 v0, v7, v3
	s_delay_alu instid0(VALU_DEP_3) | instskip(NEXT) | instid1(VALU_DEP_2)
	v_fmac_f32_e32 v147, v7, v2
	v_fma_f32 v148, v6, v2, -v0
	ds_load_2addr_b64 v[0:3], v126 offset0:69 offset1:70
	ds_load_2addr_b64 v[4:7], v126 offset0:71 offset1:72
	s_wait_loadcnt_dscnt 0x1
	v_mul_f32_e32 v149, v0, v9
	v_mul_f32_e32 v151, v2, v11
	s_delay_alu instid0(VALU_DEP_2) | instskip(SKIP_1) | instid1(VALU_DEP_3)
	v_fmac_f32_e32 v149, v1, v8
	v_mul_f32_e32 v1, v1, v9
	v_fmac_f32_e32 v151, v3, v10
	s_delay_alu instid0(VALU_DEP_2) | instskip(SKIP_1) | instid1(VALU_DEP_1)
	v_fma_f32 v150, v0, v8, -v1
	v_mul_f32_e32 v0, v3, v11
	v_fma_f32 v152, v2, v10, -v0
	s_clause 0x1
	scratch_load_b128 v[0:3], off, off offset:152
	scratch_load_b128 v[8:11], off, off offset:168
	s_wait_loadcnt_dscnt 0x100
	v_mul_f32_e32 v153, v4, v1
	v_mul_f32_e32 v1, v5, v1
	;; [unrolled: 1-line block ×3, first 2 shown]
	s_delay_alu instid0(VALU_DEP_3) | instskip(NEXT) | instid1(VALU_DEP_3)
	v_fmac_f32_e32 v153, v5, v0
	v_fma_f32 v154, v4, v0, -v1
	v_mul_f32_e32 v0, v7, v3
	s_delay_alu instid0(VALU_DEP_4) | instskip(NEXT) | instid1(VALU_DEP_2)
	v_fmac_f32_e32 v155, v7, v2
	v_fma_f32 v156, v6, v2, -v0
	ds_load_2addr_b64 v[0:3], v126 offset0:73 offset1:74
	ds_load_2addr_b64 v[4:7], v126 offset0:75 offset1:76
	s_wait_loadcnt_dscnt 0x1
	v_mul_f32_e32 v157, v0, v9
	v_mul_f32_e32 v159, v2, v11
	s_delay_alu instid0(VALU_DEP_2) | instskip(SKIP_1) | instid1(VALU_DEP_3)
	v_fmac_f32_e32 v157, v1, v8
	v_mul_f32_e32 v1, v1, v9
	v_fmac_f32_e32 v159, v3, v10
	s_delay_alu instid0(VALU_DEP_2) | instskip(SKIP_1) | instid1(VALU_DEP_1)
	v_fma_f32 v158, v0, v8, -v1
	v_mul_f32_e32 v0, v3, v11
	v_fma_f32 v160, v2, v10, -v0
	s_clause 0x1
	scratch_load_b128 v[0:3], off, off offset:184
	scratch_load_b128 v[8:11], off, off offset:200
	s_wait_loadcnt_dscnt 0x100
	v_mul_f32_e32 v161, v4, v1
	v_mul_f32_e32 v1, v5, v1
	s_delay_alu instid0(VALU_DEP_2) | instskip(NEXT) | instid1(VALU_DEP_2)
	v_fmac_f32_e32 v161, v5, v0
	v_fma_f32 v162, v4, v0, -v1
	v_mul_f32_e32 v163, v6, v3
	v_mul_f32_e32 v0, v7, v3
	s_delay_alu instid0(VALU_DEP_1) | instskip(NEXT) | instid1(VALU_DEP_3)
	v_fma_f32 v164, v6, v2, -v0
	v_fmac_f32_e32 v163, v7, v2
	ds_load_2addr_b64 v[0:3], v126 offset0:77 offset1:78
	ds_load_2addr_b64 v[4:7], v126 offset0:79 offset1:80
	s_wait_loadcnt_dscnt 0x1
	v_mul_f32_e32 v165, v0, v9
	v_mul_f32_e32 v167, v2, v11
	s_delay_alu instid0(VALU_DEP_2) | instskip(SKIP_1) | instid1(VALU_DEP_3)
	v_fmac_f32_e32 v165, v1, v8
	v_mul_f32_e32 v1, v1, v9
	v_fmac_f32_e32 v167, v3, v10
	s_delay_alu instid0(VALU_DEP_2) | instskip(SKIP_1) | instid1(VALU_DEP_1)
	v_fma_f32 v166, v0, v8, -v1
	v_mul_f32_e32 v0, v3, v11
	v_fma_f32 v168, v2, v10, -v0
	s_clause 0x1
	scratch_load_b128 v[0:3], off, off offset:216
	scratch_load_b128 v[8:11], off, off offset:232
	s_wait_loadcnt_dscnt 0x100
	v_mul_f32_e32 v169, v4, v1
	v_mul_f32_e32 v1, v5, v1
	;; [unrolled: 1-line block ×3, first 2 shown]
	s_delay_alu instid0(VALU_DEP_2) | instskip(NEXT) | instid1(VALU_DEP_2)
	v_fma_f32 v170, v4, v0, -v1
	v_fmac_f32_e32 v171, v7, v2
	v_dual_fmac_f32 v169, v5, v0 :: v_dual_mul_f32 v0, v7, v3
	s_delay_alu instid0(VALU_DEP_1)
	v_fma_f32 v172, v6, v2, -v0
	ds_load_2addr_b64 v[0:3], v126 offset0:81 offset1:82
	ds_load_2addr_b64 v[4:7], v126 offset0:83 offset1:84
	s_wait_loadcnt_dscnt 0x1
	v_mul_f32_e32 v173, v0, v9
	v_mul_f32_e32 v175, v2, v11
	s_delay_alu instid0(VALU_DEP_2) | instskip(SKIP_1) | instid1(VALU_DEP_3)
	v_fmac_f32_e32 v173, v1, v8
	v_mul_f32_e32 v1, v1, v9
	v_fmac_f32_e32 v175, v3, v10
	s_delay_alu instid0(VALU_DEP_2) | instskip(SKIP_1) | instid1(VALU_DEP_1)
	v_fma_f32 v174, v0, v8, -v1
	v_mul_f32_e32 v0, v3, v11
	v_fma_f32 v176, v2, v10, -v0
	s_clause 0x1
	scratch_load_b128 v[0:3], off, off offset:248
	scratch_load_b128 v[8:11], off, off offset:264
	s_wait_loadcnt_dscnt 0x100
	v_mul_f32_e32 v177, v4, v1
	v_mul_f32_e32 v1, v5, v1
	;; [unrolled: 1-line block ×3, first 2 shown]
	s_delay_alu instid0(VALU_DEP_3) | instskip(NEXT) | instid1(VALU_DEP_3)
	v_fmac_f32_e32 v177, v5, v0
	v_fma_f32 v178, v4, v0, -v1
	v_mul_f32_e32 v0, v7, v3
	s_delay_alu instid0(VALU_DEP_4) | instskip(NEXT) | instid1(VALU_DEP_2)
	v_fmac_f32_e32 v179, v7, v2
	v_fma_f32 v180, v6, v2, -v0
	ds_load_2addr_b64 v[0:3], v126 offset0:85 offset1:86
	ds_load_2addr_b64 v[4:7], v126 offset0:87 offset1:88
	s_wait_loadcnt_dscnt 0x1
	v_mul_f32_e32 v181, v0, v9
	v_mul_f32_e32 v183, v2, v11
	s_delay_alu instid0(VALU_DEP_2) | instskip(SKIP_1) | instid1(VALU_DEP_3)
	v_fmac_f32_e32 v181, v1, v8
	v_mul_f32_e32 v1, v1, v9
	v_fmac_f32_e32 v183, v3, v10
	s_delay_alu instid0(VALU_DEP_2) | instskip(SKIP_1) | instid1(VALU_DEP_1)
	v_fma_f32 v182, v0, v8, -v1
	v_mul_f32_e32 v0, v3, v11
	v_fma_f32 v184, v2, v10, -v0
	s_clause 0x1
	scratch_load_b128 v[0:3], off, off offset:280
	scratch_load_b128 v[8:11], off, off offset:296
	s_wait_loadcnt_dscnt 0x100
	v_mul_f32_e32 v185, v4, v1
	v_mul_f32_e32 v1, v5, v1
	;; [unrolled: 1-line block ×3, first 2 shown]
	s_delay_alu instid0(VALU_DEP_3) | instskip(NEXT) | instid1(VALU_DEP_3)
	v_fmac_f32_e32 v185, v5, v0
	v_fma_f32 v186, v4, v0, -v1
	v_mul_f32_e32 v0, v7, v3
	s_delay_alu instid0(VALU_DEP_4) | instskip(NEXT) | instid1(VALU_DEP_2)
	v_fmac_f32_e32 v187, v7, v2
	v_fma_f32 v188, v6, v2, -v0
	ds_load_2addr_b64 v[0:3], v126 offset0:89 offset1:90
	ds_load_2addr_b64 v[4:7], v126 offset0:91 offset1:92
	s_wait_loadcnt_dscnt 0x1
	v_mul_f32_e32 v189, v0, v9
	v_mul_f32_e32 v191, v2, v11
	s_delay_alu instid0(VALU_DEP_2) | instskip(SKIP_1) | instid1(VALU_DEP_3)
	v_fmac_f32_e32 v189, v1, v8
	v_mul_f32_e32 v1, v1, v9
	v_fmac_f32_e32 v191, v3, v10
	s_delay_alu instid0(VALU_DEP_2) | instskip(SKIP_1) | instid1(VALU_DEP_1)
	v_fma_f32 v190, v0, v8, -v1
	v_mul_f32_e32 v0, v3, v11
	v_fma_f32 v192, v2, v10, -v0
	s_clause 0x1
	scratch_load_b128 v[0:3], off, off offset:312
	scratch_load_b128 v[8:11], off, off offset:328
	s_wait_loadcnt_dscnt 0x100
	v_mul_f32_e32 v193, v4, v1
	v_mul_f32_e32 v1, v5, v1
	;; [unrolled: 1-line block ×3, first 2 shown]
	s_delay_alu instid0(VALU_DEP_3) | instskip(NEXT) | instid1(VALU_DEP_3)
	v_fmac_f32_e32 v193, v5, v0
	v_fma_f32 v194, v4, v0, -v1
	v_dual_mul_f32 v0, v7, v3 :: v_dual_add_f32 v1, 0, v141
	s_delay_alu instid0(VALU_DEP_4) | instskip(NEXT) | instid1(VALU_DEP_2)
	v_fmac_f32_e32 v195, v7, v2
	v_fma_f32 v196, v6, v2, -v0
	s_delay_alu instid0(VALU_DEP_3) | instskip(NEXT) | instid1(VALU_DEP_1)
	v_dual_add_f32 v0, 0, v131 :: v_dual_add_f32 v1, v1, v142
	v_dual_add_f32 v0, v0, v132 :: v_dual_add_f32 v1, v1, v133
	s_delay_alu instid0(VALU_DEP_1) | instskip(NEXT) | instid1(VALU_DEP_1)
	v_dual_add_f32 v0, v0, v135 :: v_dual_add_f32 v1, v1, v134
	v_dual_add_f32 v0, v0, v136 :: v_dual_add_f32 v1, v1, v137
	s_delay_alu instid0(VALU_DEP_1) | instskip(NEXT) | instid1(VALU_DEP_1)
	;; [unrolled: 3-line block ×11, first 2 shown]
	v_add_f32_e32 v0, v0, v162
	v_dual_add_f32 v0, v0, v164 :: v_dual_add_f32 v1, v1, v163
	s_delay_alu instid0(VALU_DEP_1) | instskip(SKIP_2) | instid1(VALU_DEP_1)
	v_dual_add_f32 v4, v0, v166 :: v_dual_add_f32 v5, v1, v165
	ds_load_2addr_b64 v[0:3], v126 offset0:93 offset1:94
	v_dual_add_f32 v4, v4, v168 :: v_dual_add_f32 v5, v5, v167
	v_add_f32_e32 v4, v4, v170
	s_delay_alu instid0(VALU_DEP_1)
	v_dual_add_f32 v12, v5, v169 :: v_dual_add_f32 v13, v4, v172
	ds_load_2addr_b64 v[4:7], v126 offset0:95 offset1:96
	v_dual_add_f32 v12, v12, v171 :: v_dual_add_f32 v13, v13, v174
	s_wait_loadcnt_dscnt 0x1
	v_mul_f32_e32 v135, v0, v9
	v_dual_mul_f32 v9, v1, v9 :: v_dual_mul_f32 v136, v2, v11
	s_delay_alu instid0(VALU_DEP_3) | instskip(SKIP_1) | instid1(VALU_DEP_4)
	v_add_f32_e32 v13, v13, v176
	v_mul_f32_e32 v11, v3, v11
	v_fmac_f32_e32 v135, v1, v8
	s_delay_alu instid0(VALU_DEP_4)
	v_fma_f32 v137, v0, v8, -v9
	v_fmac_f32_e32 v136, v3, v10
	v_add_f32_e32 v13, v13, v178
	v_fma_f32 v138, v2, v10, -v11
	s_clause 0x1
	scratch_load_b128 v[0:3], off, off offset:344
	scratch_load_b128 v[8:11], off, off offset:360
	v_add_f32_e32 v16, v13, v180
	s_delay_alu instid0(VALU_DEP_1) | instskip(SKIP_1) | instid1(VALU_DEP_2)
	v_add_f32_e32 v20, v16, v182
	v_add_f32_e32 v12, v12, v173
	;; [unrolled: 1-line block ×3, first 2 shown]
	s_delay_alu instid0(VALU_DEP_1) | instskip(NEXT) | instid1(VALU_DEP_1)
	v_add_f32_e32 v20, v20, v186
	v_add_f32_e32 v20, v20, v188
	s_delay_alu instid0(VALU_DEP_4) | instskip(NEXT) | instid1(VALU_DEP_2)
	v_add_f32_e32 v12, v12, v175
	v_add_f32_e32 v128, v20, v190
	s_delay_alu instid0(VALU_DEP_2) | instskip(NEXT) | instid1(VALU_DEP_2)
	v_add_f32_e32 v12, v12, v177
	v_add_f32_e32 v131, v128, v192
	s_delay_alu instid0(VALU_DEP_2)
	v_add_f32_e32 v17, v12, v179
	scratch_load_b128 v[12:15], off, off offset:376
	v_dual_add_f32 v142, v131, v194 :: v_dual_add_f32 v21, v17, v181
	scratch_load_b128 v[16:19], off, off offset:392
	ds_load_2addr_b64 v[131:134], v126 offset0:101 offset1:102
	v_dual_add_f32 v142, v142, v196 :: v_dual_add_f32 v21, v21, v183
	s_delay_alu instid0(VALU_DEP_1) | instskip(NEXT) | instid1(VALU_DEP_2)
	v_add_f32_e32 v137, v142, v137
	v_add_f32_e32 v21, v21, v185
	s_delay_alu instid0(VALU_DEP_1) | instskip(SKIP_2) | instid1(VALU_DEP_1)
	v_add_f32_e32 v127, v21, v187
	ds_load_2addr_b64 v[20:23], v126 offset0:97 offset1:98
	v_add_f32_e32 v127, v127, v189
	v_add_f32_e32 v141, v127, v191
	ds_load_2addr_b64 v[127:130], v126 offset0:99 offset1:100
	v_add_f32_e32 v126, v141, v193
	s_delay_alu instid0(VALU_DEP_1) | instskip(SKIP_1) | instid1(VALU_DEP_1)
	v_add_f32_e32 v126, v126, v195
	s_wait_loadcnt_dscnt 0x303
	v_dual_add_f32 v126, v126, v135 :: v_dual_mul_f32 v141, v4, v1
	v_mul_f32_e32 v1, v5, v1
	v_mul_f32_e32 v143, v6, v3
	s_wait_loadcnt_dscnt 0x201
	v_dual_mul_f32 v3, v7, v3 :: v_dual_mul_f32 v142, v20, v9
	v_fmac_f32_e32 v141, v5, v0
	v_fma_f32 v0, v4, v0, -v1
	v_dual_add_f32 v4, v137, v138 :: v_dual_add_f32 v5, v126, v136
	v_fmac_f32_e32 v143, v7, v2
	v_fma_f32 v1, v6, v2, -v3
	s_delay_alu instid0(VALU_DEP_3) | instskip(NEXT) | instid1(VALU_DEP_4)
	v_dual_mul_f32 v7, v21, v9 :: v_dual_add_f32 v0, v4, v0
	v_dual_add_f32 v4, v5, v141 :: v_dual_mul_f32 v135, v22, v11
	v_dual_mul_f32 v5, v23, v11 :: v_dual_fmac_f32 v142, v21, v8
	s_delay_alu instid0(VALU_DEP_3) | instskip(NEXT) | instid1(VALU_DEP_4)
	v_fma_f32 v7, v20, v8, -v7
	v_add_f32_e32 v0, v0, v1
	s_delay_alu instid0(VALU_DEP_4) | instskip(SKIP_2) | instid1(VALU_DEP_3)
	v_add_f32_e32 v1, v4, v143
	v_fmac_f32_e32 v135, v23, v10
	v_fma_f32 v5, v22, v10, -v5
	v_dual_add_f32 v0, v0, v7 :: v_dual_add_f32 v1, v1, v142
	s_delay_alu instid0(VALU_DEP_1) | instskip(SKIP_3) | instid1(VALU_DEP_2)
	v_dual_add_f32 v0, v0, v5 :: v_dual_add_f32 v1, v1, v135
	s_wait_loadcnt_dscnt 0x100
	v_mul_f32_e32 v2, v127, v13
	v_dual_mul_f32 v4, v128, v13 :: v_dual_mul_f32 v3, v129, v15
	v_dual_mul_f32 v7, v130, v15 :: v_dual_fmac_f32 v2, v128, v12
	s_delay_alu instid0(VALU_DEP_2)
	v_fma_f32 v4, v127, v12, -v4
	s_wait_loadcnt 0x0
	v_mul_f32_e32 v6, v131, v17
	v_mul_f32_e32 v5, v132, v17
	v_fmac_f32_e32 v3, v130, v14
	v_fma_f32 v7, v129, v14, -v7
	v_dual_add_f32 v0, v0, v4 :: v_dual_add_f32 v1, v1, v2
	v_mul_f32_e32 v9, v133, v19
	v_mul_f32_e32 v2, v134, v19
	v_fmac_f32_e32 v6, v132, v16
	v_fma_f32 v4, v131, v16, -v5
	v_add_f32_e32 v0, v0, v7
	v_add_f32_e32 v1, v1, v3
	v_fmac_f32_e32 v9, v134, v18
	v_fma_f32 v2, v133, v18, -v2
	s_delay_alu instid0(VALU_DEP_3) | instskip(NEXT) | instid1(VALU_DEP_1)
	v_dual_add_f32 v0, v0, v4 :: v_dual_add_f32 v1, v1, v6
	v_dual_add_f32 v0, v0, v2 :: v_dual_add_f32 v1, v1, v9
	s_delay_alu instid0(VALU_DEP_1)
	v_dual_sub_f32 v0, v139, v0 :: v_dual_sub_f32 v1, v140, v1
	scratch_store_b64 off, v[0:1], off
	s_wait_alu 0xfffe
	s_cbranch_vccz .LBB114_420
; %bb.320:
	v_mov_b32_e32 v0, 0
	global_load_b32 v1, v0, s[2:3] offset:196
	s_wait_loadcnt 0x0
	v_cmp_ne_u32_e32 vcc_lo, 50, v1
	s_cbranch_vccz .LBB114_322
; %bb.321:
	v_lshlrev_b32_e32 v1, 3, v1
	s_delay_alu instid0(VALU_DEP_1)
	v_mov_b32_e32 v5, v1
	scratch_load_b64 v[1:2], v5, off offset:-8
	scratch_load_b64 v[3:4], off, off offset:392
	s_wait_loadcnt 0x1
	scratch_store_b64 off, v[1:2], off offset:392
	s_wait_loadcnt 0x0
	scratch_store_b64 v5, v[3:4], off offset:-8
.LBB114_322:
	global_load_b32 v0, v0, s[2:3] offset:192
	s_wait_loadcnt 0x0
	v_cmp_eq_u32_e32 vcc_lo, 49, v0
	s_cbranch_vccnz .LBB114_324
; %bb.323:
	v_lshlrev_b32_e32 v0, 3, v0
	s_delay_alu instid0(VALU_DEP_1)
	v_mov_b32_e32 v4, v0
	scratch_load_b64 v[0:1], v4, off offset:-8
	scratch_load_b64 v[2:3], off, off offset:384
	s_wait_loadcnt 0x1
	scratch_store_b64 off, v[0:1], off offset:384
	s_wait_loadcnt 0x0
	scratch_store_b64 v4, v[2:3], off offset:-8
.LBB114_324:
	v_mov_b32_e32 v0, 0
	global_load_b32 v1, v0, s[2:3] offset:188
	s_wait_loadcnt 0x0
	v_cmp_eq_u32_e32 vcc_lo, 48, v1
	s_cbranch_vccnz .LBB114_326
; %bb.325:
	v_lshlrev_b32_e32 v1, 3, v1
	s_delay_alu instid0(VALU_DEP_1)
	v_mov_b32_e32 v5, v1
	scratch_load_b64 v[1:2], v5, off offset:-8
	scratch_load_b64 v[3:4], off, off offset:376
	s_wait_loadcnt 0x1
	scratch_store_b64 off, v[1:2], off offset:376
	s_wait_loadcnt 0x0
	scratch_store_b64 v5, v[3:4], off offset:-8
.LBB114_326:
	global_load_b32 v0, v0, s[2:3] offset:184
	s_wait_loadcnt 0x0
	v_cmp_eq_u32_e32 vcc_lo, 47, v0
	s_cbranch_vccnz .LBB114_328
; %bb.327:
	v_lshlrev_b32_e32 v0, 3, v0
	s_delay_alu instid0(VALU_DEP_1)
	v_mov_b32_e32 v4, v0
	scratch_load_b64 v[0:1], v4, off offset:-8
	scratch_load_b64 v[2:3], off, off offset:368
	s_wait_loadcnt 0x1
	scratch_store_b64 off, v[0:1], off offset:368
	s_wait_loadcnt 0x0
	scratch_store_b64 v4, v[2:3], off offset:-8
.LBB114_328:
	v_mov_b32_e32 v0, 0
	global_load_b32 v1, v0, s[2:3] offset:180
	s_wait_loadcnt 0x0
	v_cmp_eq_u32_e32 vcc_lo, 46, v1
	s_cbranch_vccnz .LBB114_330
; %bb.329:
	v_lshlrev_b32_e32 v1, 3, v1
	s_delay_alu instid0(VALU_DEP_1)
	v_mov_b32_e32 v5, v1
	scratch_load_b64 v[1:2], v5, off offset:-8
	scratch_load_b64 v[3:4], off, off offset:360
	s_wait_loadcnt 0x1
	scratch_store_b64 off, v[1:2], off offset:360
	s_wait_loadcnt 0x0
	scratch_store_b64 v5, v[3:4], off offset:-8
.LBB114_330:
	global_load_b32 v0, v0, s[2:3] offset:176
	s_wait_loadcnt 0x0
	v_cmp_eq_u32_e32 vcc_lo, 45, v0
	s_cbranch_vccnz .LBB114_332
; %bb.331:
	v_lshlrev_b32_e32 v0, 3, v0
	s_delay_alu instid0(VALU_DEP_1)
	v_mov_b32_e32 v4, v0
	scratch_load_b64 v[0:1], v4, off offset:-8
	scratch_load_b64 v[2:3], off, off offset:352
	s_wait_loadcnt 0x1
	scratch_store_b64 off, v[0:1], off offset:352
	s_wait_loadcnt 0x0
	scratch_store_b64 v4, v[2:3], off offset:-8
.LBB114_332:
	v_mov_b32_e32 v0, 0
	global_load_b32 v1, v0, s[2:3] offset:172
	s_wait_loadcnt 0x0
	v_cmp_eq_u32_e32 vcc_lo, 44, v1
	s_cbranch_vccnz .LBB114_334
; %bb.333:
	v_lshlrev_b32_e32 v1, 3, v1
	s_delay_alu instid0(VALU_DEP_1)
	v_mov_b32_e32 v5, v1
	scratch_load_b64 v[1:2], v5, off offset:-8
	scratch_load_b64 v[3:4], off, off offset:344
	s_wait_loadcnt 0x1
	scratch_store_b64 off, v[1:2], off offset:344
	s_wait_loadcnt 0x0
	scratch_store_b64 v5, v[3:4], off offset:-8
.LBB114_334:
	global_load_b32 v0, v0, s[2:3] offset:168
	s_wait_loadcnt 0x0
	v_cmp_eq_u32_e32 vcc_lo, 43, v0
	s_cbranch_vccnz .LBB114_336
; %bb.335:
	v_lshlrev_b32_e32 v0, 3, v0
	s_delay_alu instid0(VALU_DEP_1)
	v_mov_b32_e32 v4, v0
	scratch_load_b64 v[0:1], v4, off offset:-8
	scratch_load_b64 v[2:3], off, off offset:336
	s_wait_loadcnt 0x1
	scratch_store_b64 off, v[0:1], off offset:336
	s_wait_loadcnt 0x0
	scratch_store_b64 v4, v[2:3], off offset:-8
.LBB114_336:
	v_mov_b32_e32 v0, 0
	global_load_b32 v1, v0, s[2:3] offset:164
	s_wait_loadcnt 0x0
	v_cmp_eq_u32_e32 vcc_lo, 42, v1
	s_cbranch_vccnz .LBB114_338
; %bb.337:
	v_lshlrev_b32_e32 v1, 3, v1
	s_delay_alu instid0(VALU_DEP_1)
	v_mov_b32_e32 v5, v1
	scratch_load_b64 v[1:2], v5, off offset:-8
	scratch_load_b64 v[3:4], off, off offset:328
	s_wait_loadcnt 0x1
	scratch_store_b64 off, v[1:2], off offset:328
	s_wait_loadcnt 0x0
	scratch_store_b64 v5, v[3:4], off offset:-8
.LBB114_338:
	global_load_b32 v0, v0, s[2:3] offset:160
	s_wait_loadcnt 0x0
	v_cmp_eq_u32_e32 vcc_lo, 41, v0
	s_cbranch_vccnz .LBB114_340
; %bb.339:
	v_lshlrev_b32_e32 v0, 3, v0
	s_delay_alu instid0(VALU_DEP_1)
	v_mov_b32_e32 v4, v0
	scratch_load_b64 v[0:1], v4, off offset:-8
	scratch_load_b64 v[2:3], off, off offset:320
	s_wait_loadcnt 0x1
	scratch_store_b64 off, v[0:1], off offset:320
	s_wait_loadcnt 0x0
	scratch_store_b64 v4, v[2:3], off offset:-8
.LBB114_340:
	v_mov_b32_e32 v0, 0
	global_load_b32 v1, v0, s[2:3] offset:156
	s_wait_loadcnt 0x0
	v_cmp_eq_u32_e32 vcc_lo, 40, v1
	s_cbranch_vccnz .LBB114_342
; %bb.341:
	v_lshlrev_b32_e32 v1, 3, v1
	s_delay_alu instid0(VALU_DEP_1)
	v_mov_b32_e32 v5, v1
	scratch_load_b64 v[1:2], v5, off offset:-8
	scratch_load_b64 v[3:4], off, off offset:312
	s_wait_loadcnt 0x1
	scratch_store_b64 off, v[1:2], off offset:312
	s_wait_loadcnt 0x0
	scratch_store_b64 v5, v[3:4], off offset:-8
.LBB114_342:
	global_load_b32 v0, v0, s[2:3] offset:152
	s_wait_loadcnt 0x0
	v_cmp_eq_u32_e32 vcc_lo, 39, v0
	s_cbranch_vccnz .LBB114_344
; %bb.343:
	v_lshlrev_b32_e32 v0, 3, v0
	s_delay_alu instid0(VALU_DEP_1)
	v_mov_b32_e32 v4, v0
	scratch_load_b64 v[0:1], v4, off offset:-8
	scratch_load_b64 v[2:3], off, off offset:304
	s_wait_loadcnt 0x1
	scratch_store_b64 off, v[0:1], off offset:304
	s_wait_loadcnt 0x0
	scratch_store_b64 v4, v[2:3], off offset:-8
.LBB114_344:
	v_mov_b32_e32 v0, 0
	global_load_b32 v1, v0, s[2:3] offset:148
	s_wait_loadcnt 0x0
	v_cmp_eq_u32_e32 vcc_lo, 38, v1
	s_cbranch_vccnz .LBB114_346
; %bb.345:
	v_lshlrev_b32_e32 v1, 3, v1
	s_delay_alu instid0(VALU_DEP_1)
	v_mov_b32_e32 v5, v1
	scratch_load_b64 v[1:2], v5, off offset:-8
	scratch_load_b64 v[3:4], off, off offset:296
	s_wait_loadcnt 0x1
	scratch_store_b64 off, v[1:2], off offset:296
	s_wait_loadcnt 0x0
	scratch_store_b64 v5, v[3:4], off offset:-8
.LBB114_346:
	global_load_b32 v0, v0, s[2:3] offset:144
	s_wait_loadcnt 0x0
	v_cmp_eq_u32_e32 vcc_lo, 37, v0
	s_cbranch_vccnz .LBB114_348
; %bb.347:
	v_lshlrev_b32_e32 v0, 3, v0
	s_delay_alu instid0(VALU_DEP_1)
	v_mov_b32_e32 v4, v0
	scratch_load_b64 v[0:1], v4, off offset:-8
	scratch_load_b64 v[2:3], off, off offset:288
	s_wait_loadcnt 0x1
	scratch_store_b64 off, v[0:1], off offset:288
	s_wait_loadcnt 0x0
	scratch_store_b64 v4, v[2:3], off offset:-8
.LBB114_348:
	v_mov_b32_e32 v0, 0
	global_load_b32 v1, v0, s[2:3] offset:140
	s_wait_loadcnt 0x0
	v_cmp_eq_u32_e32 vcc_lo, 36, v1
	s_cbranch_vccnz .LBB114_350
; %bb.349:
	v_lshlrev_b32_e32 v1, 3, v1
	s_delay_alu instid0(VALU_DEP_1)
	v_mov_b32_e32 v5, v1
	scratch_load_b64 v[1:2], v5, off offset:-8
	scratch_load_b64 v[3:4], off, off offset:280
	s_wait_loadcnt 0x1
	scratch_store_b64 off, v[1:2], off offset:280
	s_wait_loadcnt 0x0
	scratch_store_b64 v5, v[3:4], off offset:-8
.LBB114_350:
	global_load_b32 v0, v0, s[2:3] offset:136
	s_wait_loadcnt 0x0
	v_cmp_eq_u32_e32 vcc_lo, 35, v0
	s_cbranch_vccnz .LBB114_352
; %bb.351:
	v_lshlrev_b32_e32 v0, 3, v0
	s_delay_alu instid0(VALU_DEP_1)
	v_mov_b32_e32 v4, v0
	scratch_load_b64 v[0:1], v4, off offset:-8
	scratch_load_b64 v[2:3], off, off offset:272
	s_wait_loadcnt 0x1
	scratch_store_b64 off, v[0:1], off offset:272
	s_wait_loadcnt 0x0
	scratch_store_b64 v4, v[2:3], off offset:-8
.LBB114_352:
	v_mov_b32_e32 v0, 0
	global_load_b32 v1, v0, s[2:3] offset:132
	s_wait_loadcnt 0x0
	v_cmp_eq_u32_e32 vcc_lo, 34, v1
	s_cbranch_vccnz .LBB114_354
; %bb.353:
	v_lshlrev_b32_e32 v1, 3, v1
	s_delay_alu instid0(VALU_DEP_1)
	v_mov_b32_e32 v5, v1
	scratch_load_b64 v[1:2], v5, off offset:-8
	scratch_load_b64 v[3:4], off, off offset:264
	s_wait_loadcnt 0x1
	scratch_store_b64 off, v[1:2], off offset:264
	s_wait_loadcnt 0x0
	scratch_store_b64 v5, v[3:4], off offset:-8
.LBB114_354:
	global_load_b32 v0, v0, s[2:3] offset:128
	s_wait_loadcnt 0x0
	v_cmp_eq_u32_e32 vcc_lo, 33, v0
	s_cbranch_vccnz .LBB114_356
; %bb.355:
	v_lshlrev_b32_e32 v0, 3, v0
	s_delay_alu instid0(VALU_DEP_1)
	v_mov_b32_e32 v4, v0
	scratch_load_b64 v[0:1], v4, off offset:-8
	scratch_load_b64 v[2:3], off, off offset:256
	s_wait_loadcnt 0x1
	scratch_store_b64 off, v[0:1], off offset:256
	s_wait_loadcnt 0x0
	scratch_store_b64 v4, v[2:3], off offset:-8
.LBB114_356:
	v_mov_b32_e32 v0, 0
	global_load_b32 v1, v0, s[2:3] offset:124
	s_wait_loadcnt 0x0
	v_cmp_eq_u32_e32 vcc_lo, 32, v1
	s_cbranch_vccnz .LBB114_358
; %bb.357:
	v_lshlrev_b32_e32 v1, 3, v1
	s_delay_alu instid0(VALU_DEP_1)
	v_mov_b32_e32 v5, v1
	scratch_load_b64 v[1:2], v5, off offset:-8
	scratch_load_b64 v[3:4], off, off offset:248
	s_wait_loadcnt 0x1
	scratch_store_b64 off, v[1:2], off offset:248
	s_wait_loadcnt 0x0
	scratch_store_b64 v5, v[3:4], off offset:-8
.LBB114_358:
	global_load_b32 v0, v0, s[2:3] offset:120
	s_wait_loadcnt 0x0
	v_cmp_eq_u32_e32 vcc_lo, 31, v0
	s_cbranch_vccnz .LBB114_360
; %bb.359:
	v_lshlrev_b32_e32 v0, 3, v0
	s_delay_alu instid0(VALU_DEP_1)
	v_mov_b32_e32 v4, v0
	scratch_load_b64 v[0:1], v4, off offset:-8
	scratch_load_b64 v[2:3], off, off offset:240
	s_wait_loadcnt 0x1
	scratch_store_b64 off, v[0:1], off offset:240
	s_wait_loadcnt 0x0
	scratch_store_b64 v4, v[2:3], off offset:-8
.LBB114_360:
	v_mov_b32_e32 v0, 0
	global_load_b32 v1, v0, s[2:3] offset:116
	s_wait_loadcnt 0x0
	v_cmp_eq_u32_e32 vcc_lo, 30, v1
	s_cbranch_vccnz .LBB114_362
; %bb.361:
	v_lshlrev_b32_e32 v1, 3, v1
	s_delay_alu instid0(VALU_DEP_1)
	v_mov_b32_e32 v5, v1
	scratch_load_b64 v[1:2], v5, off offset:-8
	scratch_load_b64 v[3:4], off, off offset:232
	s_wait_loadcnt 0x1
	scratch_store_b64 off, v[1:2], off offset:232
	s_wait_loadcnt 0x0
	scratch_store_b64 v5, v[3:4], off offset:-8
.LBB114_362:
	global_load_b32 v0, v0, s[2:3] offset:112
	s_wait_loadcnt 0x0
	v_cmp_eq_u32_e32 vcc_lo, 29, v0
	s_cbranch_vccnz .LBB114_364
; %bb.363:
	v_lshlrev_b32_e32 v0, 3, v0
	s_delay_alu instid0(VALU_DEP_1)
	v_mov_b32_e32 v4, v0
	scratch_load_b64 v[0:1], v4, off offset:-8
	scratch_load_b64 v[2:3], off, off offset:224
	s_wait_loadcnt 0x1
	scratch_store_b64 off, v[0:1], off offset:224
	s_wait_loadcnt 0x0
	scratch_store_b64 v4, v[2:3], off offset:-8
.LBB114_364:
	v_mov_b32_e32 v0, 0
	global_load_b32 v1, v0, s[2:3] offset:108
	s_wait_loadcnt 0x0
	v_cmp_eq_u32_e32 vcc_lo, 28, v1
	s_cbranch_vccnz .LBB114_366
; %bb.365:
	v_lshlrev_b32_e32 v1, 3, v1
	s_delay_alu instid0(VALU_DEP_1)
	v_mov_b32_e32 v5, v1
	scratch_load_b64 v[1:2], v5, off offset:-8
	scratch_load_b64 v[3:4], off, off offset:216
	s_wait_loadcnt 0x1
	scratch_store_b64 off, v[1:2], off offset:216
	s_wait_loadcnt 0x0
	scratch_store_b64 v5, v[3:4], off offset:-8
.LBB114_366:
	global_load_b32 v0, v0, s[2:3] offset:104
	s_wait_loadcnt 0x0
	v_cmp_eq_u32_e32 vcc_lo, 27, v0
	s_cbranch_vccnz .LBB114_368
; %bb.367:
	v_lshlrev_b32_e32 v0, 3, v0
	s_delay_alu instid0(VALU_DEP_1)
	v_mov_b32_e32 v4, v0
	scratch_load_b64 v[0:1], v4, off offset:-8
	scratch_load_b64 v[2:3], off, off offset:208
	s_wait_loadcnt 0x1
	scratch_store_b64 off, v[0:1], off offset:208
	s_wait_loadcnt 0x0
	scratch_store_b64 v4, v[2:3], off offset:-8
.LBB114_368:
	v_mov_b32_e32 v0, 0
	global_load_b32 v1, v0, s[2:3] offset:100
	s_wait_loadcnt 0x0
	v_cmp_eq_u32_e32 vcc_lo, 26, v1
	s_cbranch_vccnz .LBB114_370
; %bb.369:
	v_lshlrev_b32_e32 v1, 3, v1
	s_delay_alu instid0(VALU_DEP_1)
	v_mov_b32_e32 v5, v1
	scratch_load_b64 v[1:2], v5, off offset:-8
	scratch_load_b64 v[3:4], off, off offset:200
	s_wait_loadcnt 0x1
	scratch_store_b64 off, v[1:2], off offset:200
	s_wait_loadcnt 0x0
	scratch_store_b64 v5, v[3:4], off offset:-8
.LBB114_370:
	global_load_b32 v0, v0, s[2:3] offset:96
	s_wait_loadcnt 0x0
	v_cmp_eq_u32_e32 vcc_lo, 25, v0
	s_cbranch_vccnz .LBB114_372
; %bb.371:
	v_lshlrev_b32_e32 v0, 3, v0
	s_delay_alu instid0(VALU_DEP_1)
	v_mov_b32_e32 v4, v0
	scratch_load_b64 v[0:1], v4, off offset:-8
	scratch_load_b64 v[2:3], off, off offset:192
	s_wait_loadcnt 0x1
	scratch_store_b64 off, v[0:1], off offset:192
	s_wait_loadcnt 0x0
	scratch_store_b64 v4, v[2:3], off offset:-8
.LBB114_372:
	v_mov_b32_e32 v0, 0
	global_load_b32 v1, v0, s[2:3] offset:92
	s_wait_loadcnt 0x0
	v_cmp_eq_u32_e32 vcc_lo, 24, v1
	s_cbranch_vccnz .LBB114_374
; %bb.373:
	v_lshlrev_b32_e32 v1, 3, v1
	s_delay_alu instid0(VALU_DEP_1)
	v_mov_b32_e32 v5, v1
	scratch_load_b64 v[1:2], v5, off offset:-8
	scratch_load_b64 v[3:4], off, off offset:184
	s_wait_loadcnt 0x1
	scratch_store_b64 off, v[1:2], off offset:184
	s_wait_loadcnt 0x0
	scratch_store_b64 v5, v[3:4], off offset:-8
.LBB114_374:
	global_load_b32 v0, v0, s[2:3] offset:88
	s_wait_loadcnt 0x0
	v_cmp_eq_u32_e32 vcc_lo, 23, v0
	s_cbranch_vccnz .LBB114_376
; %bb.375:
	v_lshlrev_b32_e32 v0, 3, v0
	s_delay_alu instid0(VALU_DEP_1)
	v_mov_b32_e32 v4, v0
	scratch_load_b64 v[0:1], v4, off offset:-8
	scratch_load_b64 v[2:3], off, off offset:176
	s_wait_loadcnt 0x1
	scratch_store_b64 off, v[0:1], off offset:176
	s_wait_loadcnt 0x0
	scratch_store_b64 v4, v[2:3], off offset:-8
.LBB114_376:
	v_mov_b32_e32 v0, 0
	global_load_b32 v1, v0, s[2:3] offset:84
	s_wait_loadcnt 0x0
	v_cmp_eq_u32_e32 vcc_lo, 22, v1
	s_cbranch_vccnz .LBB114_378
; %bb.377:
	v_lshlrev_b32_e32 v1, 3, v1
	s_delay_alu instid0(VALU_DEP_1)
	v_mov_b32_e32 v5, v1
	scratch_load_b64 v[1:2], v5, off offset:-8
	scratch_load_b64 v[3:4], off, off offset:168
	s_wait_loadcnt 0x1
	scratch_store_b64 off, v[1:2], off offset:168
	s_wait_loadcnt 0x0
	scratch_store_b64 v5, v[3:4], off offset:-8
.LBB114_378:
	global_load_b32 v0, v0, s[2:3] offset:80
	s_wait_loadcnt 0x0
	v_cmp_eq_u32_e32 vcc_lo, 21, v0
	s_cbranch_vccnz .LBB114_380
; %bb.379:
	v_lshlrev_b32_e32 v0, 3, v0
	s_delay_alu instid0(VALU_DEP_1)
	v_mov_b32_e32 v4, v0
	scratch_load_b64 v[0:1], v4, off offset:-8
	scratch_load_b64 v[2:3], off, off offset:160
	s_wait_loadcnt 0x1
	scratch_store_b64 off, v[0:1], off offset:160
	s_wait_loadcnt 0x0
	scratch_store_b64 v4, v[2:3], off offset:-8
.LBB114_380:
	v_mov_b32_e32 v0, 0
	global_load_b32 v1, v0, s[2:3] offset:76
	s_wait_loadcnt 0x0
	v_cmp_eq_u32_e32 vcc_lo, 20, v1
	s_cbranch_vccnz .LBB114_382
; %bb.381:
	v_lshlrev_b32_e32 v1, 3, v1
	s_delay_alu instid0(VALU_DEP_1)
	v_mov_b32_e32 v5, v1
	scratch_load_b64 v[1:2], v5, off offset:-8
	scratch_load_b64 v[3:4], off, off offset:152
	s_wait_loadcnt 0x1
	scratch_store_b64 off, v[1:2], off offset:152
	s_wait_loadcnt 0x0
	scratch_store_b64 v5, v[3:4], off offset:-8
.LBB114_382:
	global_load_b32 v0, v0, s[2:3] offset:72
	s_wait_loadcnt 0x0
	v_cmp_eq_u32_e32 vcc_lo, 19, v0
	s_cbranch_vccnz .LBB114_384
; %bb.383:
	v_lshlrev_b32_e32 v0, 3, v0
	s_delay_alu instid0(VALU_DEP_1)
	v_mov_b32_e32 v4, v0
	scratch_load_b64 v[0:1], v4, off offset:-8
	scratch_load_b64 v[2:3], off, off offset:144
	s_wait_loadcnt 0x1
	scratch_store_b64 off, v[0:1], off offset:144
	s_wait_loadcnt 0x0
	scratch_store_b64 v4, v[2:3], off offset:-8
.LBB114_384:
	v_mov_b32_e32 v0, 0
	global_load_b32 v1, v0, s[2:3] offset:68
	s_wait_loadcnt 0x0
	v_cmp_eq_u32_e32 vcc_lo, 18, v1
	s_cbranch_vccnz .LBB114_386
; %bb.385:
	v_lshlrev_b32_e32 v1, 3, v1
	s_delay_alu instid0(VALU_DEP_1)
	v_mov_b32_e32 v5, v1
	scratch_load_b64 v[1:2], v5, off offset:-8
	scratch_load_b64 v[3:4], off, off offset:136
	s_wait_loadcnt 0x1
	scratch_store_b64 off, v[1:2], off offset:136
	s_wait_loadcnt 0x0
	scratch_store_b64 v5, v[3:4], off offset:-8
.LBB114_386:
	global_load_b32 v0, v0, s[2:3] offset:64
	s_wait_loadcnt 0x0
	v_cmp_eq_u32_e32 vcc_lo, 17, v0
	s_cbranch_vccnz .LBB114_388
; %bb.387:
	v_lshlrev_b32_e32 v0, 3, v0
	s_delay_alu instid0(VALU_DEP_1)
	v_mov_b32_e32 v4, v0
	scratch_load_b64 v[0:1], v4, off offset:-8
	scratch_load_b64 v[2:3], off, off offset:128
	s_wait_loadcnt 0x1
	scratch_store_b64 off, v[0:1], off offset:128
	s_wait_loadcnt 0x0
	scratch_store_b64 v4, v[2:3], off offset:-8
.LBB114_388:
	v_mov_b32_e32 v0, 0
	global_load_b32 v1, v0, s[2:3] offset:60
	s_wait_loadcnt 0x0
	v_cmp_eq_u32_e32 vcc_lo, 16, v1
	s_cbranch_vccnz .LBB114_390
; %bb.389:
	v_lshlrev_b32_e32 v1, 3, v1
	s_delay_alu instid0(VALU_DEP_1)
	v_mov_b32_e32 v5, v1
	scratch_load_b64 v[1:2], v5, off offset:-8
	scratch_load_b64 v[3:4], off, off offset:120
	s_wait_loadcnt 0x1
	scratch_store_b64 off, v[1:2], off offset:120
	s_wait_loadcnt 0x0
	scratch_store_b64 v5, v[3:4], off offset:-8
.LBB114_390:
	global_load_b32 v0, v0, s[2:3] offset:56
	s_wait_loadcnt 0x0
	v_cmp_eq_u32_e32 vcc_lo, 15, v0
	s_cbranch_vccnz .LBB114_392
; %bb.391:
	v_lshlrev_b32_e32 v0, 3, v0
	s_delay_alu instid0(VALU_DEP_1)
	v_mov_b32_e32 v4, v0
	scratch_load_b64 v[0:1], v4, off offset:-8
	scratch_load_b64 v[2:3], off, off offset:112
	s_wait_loadcnt 0x1
	scratch_store_b64 off, v[0:1], off offset:112
	s_wait_loadcnt 0x0
	scratch_store_b64 v4, v[2:3], off offset:-8
.LBB114_392:
	v_mov_b32_e32 v0, 0
	global_load_b32 v1, v0, s[2:3] offset:52
	s_wait_loadcnt 0x0
	v_cmp_eq_u32_e32 vcc_lo, 14, v1
	s_cbranch_vccnz .LBB114_394
; %bb.393:
	v_lshlrev_b32_e32 v1, 3, v1
	s_delay_alu instid0(VALU_DEP_1)
	v_mov_b32_e32 v5, v1
	scratch_load_b64 v[1:2], v5, off offset:-8
	scratch_load_b64 v[3:4], off, off offset:104
	s_wait_loadcnt 0x1
	scratch_store_b64 off, v[1:2], off offset:104
	s_wait_loadcnt 0x0
	scratch_store_b64 v5, v[3:4], off offset:-8
.LBB114_394:
	global_load_b32 v0, v0, s[2:3] offset:48
	s_wait_loadcnt 0x0
	v_cmp_eq_u32_e32 vcc_lo, 13, v0
	s_cbranch_vccnz .LBB114_396
; %bb.395:
	v_lshlrev_b32_e32 v0, 3, v0
	s_delay_alu instid0(VALU_DEP_1)
	v_mov_b32_e32 v4, v0
	scratch_load_b64 v[0:1], v4, off offset:-8
	scratch_load_b64 v[2:3], off, off offset:96
	s_wait_loadcnt 0x1
	scratch_store_b64 off, v[0:1], off offset:96
	s_wait_loadcnt 0x0
	scratch_store_b64 v4, v[2:3], off offset:-8
.LBB114_396:
	v_mov_b32_e32 v0, 0
	global_load_b32 v1, v0, s[2:3] offset:44
	s_wait_loadcnt 0x0
	v_cmp_eq_u32_e32 vcc_lo, 12, v1
	s_cbranch_vccnz .LBB114_398
; %bb.397:
	v_lshlrev_b32_e32 v1, 3, v1
	s_delay_alu instid0(VALU_DEP_1)
	v_mov_b32_e32 v5, v1
	scratch_load_b64 v[1:2], v5, off offset:-8
	scratch_load_b64 v[3:4], off, off offset:88
	s_wait_loadcnt 0x1
	scratch_store_b64 off, v[1:2], off offset:88
	s_wait_loadcnt 0x0
	scratch_store_b64 v5, v[3:4], off offset:-8
.LBB114_398:
	global_load_b32 v0, v0, s[2:3] offset:40
	s_wait_loadcnt 0x0
	v_cmp_eq_u32_e32 vcc_lo, 11, v0
	s_cbranch_vccnz .LBB114_400
; %bb.399:
	v_lshlrev_b32_e32 v0, 3, v0
	s_delay_alu instid0(VALU_DEP_1)
	v_mov_b32_e32 v4, v0
	scratch_load_b64 v[0:1], v4, off offset:-8
	scratch_load_b64 v[2:3], off, off offset:80
	s_wait_loadcnt 0x1
	scratch_store_b64 off, v[0:1], off offset:80
	s_wait_loadcnt 0x0
	scratch_store_b64 v4, v[2:3], off offset:-8
.LBB114_400:
	v_mov_b32_e32 v0, 0
	global_load_b32 v1, v0, s[2:3] offset:36
	s_wait_loadcnt 0x0
	v_cmp_eq_u32_e32 vcc_lo, 10, v1
	s_cbranch_vccnz .LBB114_402
; %bb.401:
	v_lshlrev_b32_e32 v1, 3, v1
	s_delay_alu instid0(VALU_DEP_1)
	v_mov_b32_e32 v5, v1
	scratch_load_b64 v[1:2], v5, off offset:-8
	scratch_load_b64 v[3:4], off, off offset:72
	s_wait_loadcnt 0x1
	scratch_store_b64 off, v[1:2], off offset:72
	s_wait_loadcnt 0x0
	scratch_store_b64 v5, v[3:4], off offset:-8
.LBB114_402:
	global_load_b32 v0, v0, s[2:3] offset:32
	s_wait_loadcnt 0x0
	v_cmp_eq_u32_e32 vcc_lo, 9, v0
	s_cbranch_vccnz .LBB114_404
; %bb.403:
	v_lshlrev_b32_e32 v0, 3, v0
	s_delay_alu instid0(VALU_DEP_1)
	v_mov_b32_e32 v4, v0
	scratch_load_b64 v[0:1], v4, off offset:-8
	scratch_load_b64 v[2:3], off, off offset:64
	s_wait_loadcnt 0x1
	scratch_store_b64 off, v[0:1], off offset:64
	s_wait_loadcnt 0x0
	scratch_store_b64 v4, v[2:3], off offset:-8
.LBB114_404:
	v_mov_b32_e32 v0, 0
	global_load_b32 v1, v0, s[2:3] offset:28
	s_wait_loadcnt 0x0
	v_cmp_eq_u32_e32 vcc_lo, 8, v1
	s_cbranch_vccnz .LBB114_406
; %bb.405:
	v_lshlrev_b32_e32 v1, 3, v1
	s_delay_alu instid0(VALU_DEP_1)
	v_mov_b32_e32 v5, v1
	scratch_load_b64 v[1:2], v5, off offset:-8
	scratch_load_b64 v[3:4], off, off offset:56
	s_wait_loadcnt 0x1
	scratch_store_b64 off, v[1:2], off offset:56
	s_wait_loadcnt 0x0
	scratch_store_b64 v5, v[3:4], off offset:-8
.LBB114_406:
	global_load_b32 v0, v0, s[2:3] offset:24
	s_wait_loadcnt 0x0
	v_cmp_eq_u32_e32 vcc_lo, 7, v0
	s_cbranch_vccnz .LBB114_408
; %bb.407:
	v_lshlrev_b32_e32 v0, 3, v0
	s_delay_alu instid0(VALU_DEP_1)
	v_mov_b32_e32 v4, v0
	scratch_load_b64 v[0:1], v4, off offset:-8
	scratch_load_b64 v[2:3], off, off offset:48
	s_wait_loadcnt 0x1
	scratch_store_b64 off, v[0:1], off offset:48
	s_wait_loadcnt 0x0
	scratch_store_b64 v4, v[2:3], off offset:-8
.LBB114_408:
	v_mov_b32_e32 v0, 0
	global_load_b32 v1, v0, s[2:3] offset:20
	s_wait_loadcnt 0x0
	v_cmp_eq_u32_e32 vcc_lo, 6, v1
	s_cbranch_vccnz .LBB114_410
; %bb.409:
	v_lshlrev_b32_e32 v1, 3, v1
	s_delay_alu instid0(VALU_DEP_1)
	v_mov_b32_e32 v5, v1
	scratch_load_b64 v[1:2], v5, off offset:-8
	scratch_load_b64 v[3:4], off, off offset:40
	s_wait_loadcnt 0x1
	scratch_store_b64 off, v[1:2], off offset:40
	s_wait_loadcnt 0x0
	scratch_store_b64 v5, v[3:4], off offset:-8
.LBB114_410:
	global_load_b32 v0, v0, s[2:3] offset:16
	s_wait_loadcnt 0x0
	v_cmp_eq_u32_e32 vcc_lo, 5, v0
	s_cbranch_vccnz .LBB114_412
; %bb.411:
	v_lshlrev_b32_e32 v0, 3, v0
	s_delay_alu instid0(VALU_DEP_1)
	v_mov_b32_e32 v4, v0
	scratch_load_b64 v[0:1], v4, off offset:-8
	scratch_load_b64 v[2:3], off, off offset:32
	s_wait_loadcnt 0x1
	scratch_store_b64 off, v[0:1], off offset:32
	s_wait_loadcnt 0x0
	scratch_store_b64 v4, v[2:3], off offset:-8
.LBB114_412:
	v_mov_b32_e32 v0, 0
	global_load_b32 v1, v0, s[2:3] offset:12
	s_wait_loadcnt 0x0
	v_cmp_eq_u32_e32 vcc_lo, 4, v1
	s_cbranch_vccnz .LBB114_414
; %bb.413:
	v_lshlrev_b32_e32 v1, 3, v1
	s_delay_alu instid0(VALU_DEP_1)
	v_mov_b32_e32 v5, v1
	scratch_load_b64 v[1:2], v5, off offset:-8
	scratch_load_b64 v[3:4], off, off offset:24
	s_wait_loadcnt 0x1
	scratch_store_b64 off, v[1:2], off offset:24
	s_wait_loadcnt 0x0
	scratch_store_b64 v5, v[3:4], off offset:-8
.LBB114_414:
	global_load_b32 v0, v0, s[2:3] offset:8
	s_wait_loadcnt 0x0
	v_cmp_eq_u32_e32 vcc_lo, 3, v0
	s_cbranch_vccnz .LBB114_416
; %bb.415:
	v_lshlrev_b32_e32 v0, 3, v0
	s_delay_alu instid0(VALU_DEP_1)
	v_mov_b32_e32 v4, v0
	scratch_load_b64 v[0:1], v4, off offset:-8
	scratch_load_b64 v[2:3], off, off offset:16
	s_wait_loadcnt 0x1
	scratch_store_b64 off, v[0:1], off offset:16
	s_wait_loadcnt 0x0
	scratch_store_b64 v4, v[2:3], off offset:-8
.LBB114_416:
	v_mov_b32_e32 v0, 0
	global_load_b32 v1, v0, s[2:3] offset:4
	s_wait_loadcnt 0x0
	v_cmp_eq_u32_e32 vcc_lo, 2, v1
	s_cbranch_vccnz .LBB114_418
; %bb.417:
	v_lshlrev_b32_e32 v1, 3, v1
	s_delay_alu instid0(VALU_DEP_1)
	v_mov_b32_e32 v5, v1
	scratch_load_b64 v[1:2], v5, off offset:-8
	scratch_load_b64 v[3:4], off, off offset:8
	s_wait_loadcnt 0x1
	scratch_store_b64 off, v[1:2], off offset:8
	s_wait_loadcnt 0x0
	scratch_store_b64 v5, v[3:4], off offset:-8
.LBB114_418:
	global_load_b32 v0, v0, s[2:3]
	s_wait_loadcnt 0x0
	v_cmp_eq_u32_e32 vcc_lo, 1, v0
	s_cbranch_vccnz .LBB114_420
; %bb.419:
	v_lshlrev_b32_e32 v0, 3, v0
	s_delay_alu instid0(VALU_DEP_1)
	v_mov_b32_e32 v4, v0
	scratch_load_b64 v[0:1], v4, off offset:-8
	scratch_load_b64 v[2:3], off, off
	s_wait_loadcnt 0x1
	scratch_store_b64 off, v[0:1], off
	s_wait_loadcnt 0x0
	scratch_store_b64 v4, v[2:3], off offset:-8
.LBB114_420:
	scratch_load_b64 v[0:1], off, off
	s_wait_loadcnt 0x0
	flat_store_b64 v[24:25], v[0:1]
	scratch_load_b64 v[0:1], off, off offset:8
	s_wait_loadcnt 0x0
	flat_store_b64 v[26:27], v[0:1]
	scratch_load_b64 v[0:1], off, off offset:16
	;; [unrolled: 3-line block ×50, first 2 shown]
	s_wait_loadcnt 0x0
	flat_store_b64 v[124:125], v[0:1]
	s_nop 0
	s_sendmsg sendmsg(MSG_DEALLOC_VGPRS)
	s_endpgm
	.section	.rodata,"a",@progbits
	.p2align	6, 0x0
	.amdhsa_kernel _ZN9rocsolver6v33100L18getri_kernel_smallILi51E19rocblas_complex_numIfEPKPS3_EEvT1_iilPiilS8_bb
		.amdhsa_group_segment_fixed_size 824
		.amdhsa_private_segment_fixed_size 416
		.amdhsa_kernarg_size 60
		.amdhsa_user_sgpr_count 2
		.amdhsa_user_sgpr_dispatch_ptr 0
		.amdhsa_user_sgpr_queue_ptr 0
		.amdhsa_user_sgpr_kernarg_segment_ptr 1
		.amdhsa_user_sgpr_dispatch_id 0
		.amdhsa_user_sgpr_private_segment_size 0
		.amdhsa_wavefront_size32 1
		.amdhsa_uses_dynamic_stack 0
		.amdhsa_enable_private_segment 1
		.amdhsa_system_sgpr_workgroup_id_x 1
		.amdhsa_system_sgpr_workgroup_id_y 0
		.amdhsa_system_sgpr_workgroup_id_z 0
		.amdhsa_system_sgpr_workgroup_info 0
		.amdhsa_system_vgpr_workitem_id 0
		.amdhsa_next_free_vgpr 252
		.amdhsa_next_free_sgpr 19
		.amdhsa_reserve_vcc 1
		.amdhsa_float_round_mode_32 0
		.amdhsa_float_round_mode_16_64 0
		.amdhsa_float_denorm_mode_32 3
		.amdhsa_float_denorm_mode_16_64 3
		.amdhsa_fp16_overflow 0
		.amdhsa_workgroup_processor_mode 1
		.amdhsa_memory_ordered 1
		.amdhsa_forward_progress 1
		.amdhsa_inst_pref_size 255
		.amdhsa_round_robin_scheduling 0
		.amdhsa_exception_fp_ieee_invalid_op 0
		.amdhsa_exception_fp_denorm_src 0
		.amdhsa_exception_fp_ieee_div_zero 0
		.amdhsa_exception_fp_ieee_overflow 0
		.amdhsa_exception_fp_ieee_underflow 0
		.amdhsa_exception_fp_ieee_inexact 0
		.amdhsa_exception_int_div_zero 0
	.end_amdhsa_kernel
	.section	.text._ZN9rocsolver6v33100L18getri_kernel_smallILi51E19rocblas_complex_numIfEPKPS3_EEvT1_iilPiilS8_bb,"axG",@progbits,_ZN9rocsolver6v33100L18getri_kernel_smallILi51E19rocblas_complex_numIfEPKPS3_EEvT1_iilPiilS8_bb,comdat
.Lfunc_end114:
	.size	_ZN9rocsolver6v33100L18getri_kernel_smallILi51E19rocblas_complex_numIfEPKPS3_EEvT1_iilPiilS8_bb, .Lfunc_end114-_ZN9rocsolver6v33100L18getri_kernel_smallILi51E19rocblas_complex_numIfEPKPS3_EEvT1_iilPiilS8_bb
                                        ; -- End function
	.set _ZN9rocsolver6v33100L18getri_kernel_smallILi51E19rocblas_complex_numIfEPKPS3_EEvT1_iilPiilS8_bb.num_vgpr, 252
	.set _ZN9rocsolver6v33100L18getri_kernel_smallILi51E19rocblas_complex_numIfEPKPS3_EEvT1_iilPiilS8_bb.num_agpr, 0
	.set _ZN9rocsolver6v33100L18getri_kernel_smallILi51E19rocblas_complex_numIfEPKPS3_EEvT1_iilPiilS8_bb.numbered_sgpr, 19
	.set _ZN9rocsolver6v33100L18getri_kernel_smallILi51E19rocblas_complex_numIfEPKPS3_EEvT1_iilPiilS8_bb.num_named_barrier, 0
	.set _ZN9rocsolver6v33100L18getri_kernel_smallILi51E19rocblas_complex_numIfEPKPS3_EEvT1_iilPiilS8_bb.private_seg_size, 416
	.set _ZN9rocsolver6v33100L18getri_kernel_smallILi51E19rocblas_complex_numIfEPKPS3_EEvT1_iilPiilS8_bb.uses_vcc, 1
	.set _ZN9rocsolver6v33100L18getri_kernel_smallILi51E19rocblas_complex_numIfEPKPS3_EEvT1_iilPiilS8_bb.uses_flat_scratch, 1
	.set _ZN9rocsolver6v33100L18getri_kernel_smallILi51E19rocblas_complex_numIfEPKPS3_EEvT1_iilPiilS8_bb.has_dyn_sized_stack, 0
	.set _ZN9rocsolver6v33100L18getri_kernel_smallILi51E19rocblas_complex_numIfEPKPS3_EEvT1_iilPiilS8_bb.has_recursion, 0
	.set _ZN9rocsolver6v33100L18getri_kernel_smallILi51E19rocblas_complex_numIfEPKPS3_EEvT1_iilPiilS8_bb.has_indirect_call, 0
	.section	.AMDGPU.csdata,"",@progbits
; Kernel info:
; codeLenInByte = 88856
; TotalNumSgprs: 21
; NumVgprs: 252
; ScratchSize: 416
; MemoryBound: 0
; FloatMode: 240
; IeeeMode: 1
; LDSByteSize: 824 bytes/workgroup (compile time only)
; SGPRBlocks: 0
; VGPRBlocks: 31
; NumSGPRsForWavesPerEU: 21
; NumVGPRsForWavesPerEU: 252
; Occupancy: 5
; WaveLimiterHint : 1
; COMPUTE_PGM_RSRC2:SCRATCH_EN: 1
; COMPUTE_PGM_RSRC2:USER_SGPR: 2
; COMPUTE_PGM_RSRC2:TRAP_HANDLER: 0
; COMPUTE_PGM_RSRC2:TGID_X_EN: 1
; COMPUTE_PGM_RSRC2:TGID_Y_EN: 0
; COMPUTE_PGM_RSRC2:TGID_Z_EN: 0
; COMPUTE_PGM_RSRC2:TIDIG_COMP_CNT: 0
	.section	.text._ZN9rocsolver6v33100L18getri_kernel_smallILi52E19rocblas_complex_numIfEPKPS3_EEvT1_iilPiilS8_bb,"axG",@progbits,_ZN9rocsolver6v33100L18getri_kernel_smallILi52E19rocblas_complex_numIfEPKPS3_EEvT1_iilPiilS8_bb,comdat
	.globl	_ZN9rocsolver6v33100L18getri_kernel_smallILi52E19rocblas_complex_numIfEPKPS3_EEvT1_iilPiilS8_bb ; -- Begin function _ZN9rocsolver6v33100L18getri_kernel_smallILi52E19rocblas_complex_numIfEPKPS3_EEvT1_iilPiilS8_bb
	.p2align	8
	.type	_ZN9rocsolver6v33100L18getri_kernel_smallILi52E19rocblas_complex_numIfEPKPS3_EEvT1_iilPiilS8_bb,@function
_ZN9rocsolver6v33100L18getri_kernel_smallILi52E19rocblas_complex_numIfEPKPS3_EEvT1_iilPiilS8_bb: ; @_ZN9rocsolver6v33100L18getri_kernel_smallILi52E19rocblas_complex_numIfEPKPS3_EEvT1_iilPiilS8_bb
; %bb.0:
	s_mov_b32 s2, exec_lo
	v_cmpx_gt_u32_e32 52, v0
	s_cbranch_execz .LBB115_222
; %bb.1:
	s_clause 0x1
	s_load_b32 s13, s[0:1], 0x38
	s_load_b64 s[2:3], s[0:1], 0x0
	s_mov_b32 s8, ttmp9
	s_load_b128 s[4:7], s[0:1], 0x28
	s_wait_kmcnt 0x0
	s_bitcmp1_b32 s13, 8
	s_cselect_b32 s12, -1, 0
	s_ashr_i32 s9, ttmp9, 31
	s_delay_alu instid0(SALU_CYCLE_1) | instskip(NEXT) | instid1(SALU_CYCLE_1)
	s_lshl_b64 s[10:11], s[8:9], 3
	s_add_nc_u64 s[2:3], s[2:3], s[10:11]
	s_load_b64 s[10:11], s[2:3], 0x0
	s_bfe_u32 s2, s13, 0x10008
	s_delay_alu instid0(SALU_CYCLE_1)
	s_cmp_eq_u32 s2, 0
                                        ; implicit-def: $sgpr2_sgpr3
	s_cbranch_scc1 .LBB115_3
; %bb.2:
	s_load_b96 s[16:18], s[0:1], 0x18
	s_mul_u64 s[2:3], s[4:5], s[8:9]
	s_delay_alu instid0(SALU_CYCLE_1)
	s_lshl_b64 s[2:3], s[2:3], 2
	s_wait_kmcnt 0x0
	s_ashr_i32 s5, s18, 31
	s_mov_b32 s4, s18
	s_add_nc_u64 s[2:3], s[16:17], s[2:3]
	s_lshl_b64 s[4:5], s[4:5], 2
	s_delay_alu instid0(SALU_CYCLE_1)
	s_add_nc_u64 s[2:3], s[2:3], s[4:5]
.LBB115_3:
	s_clause 0x1
	s_load_b64 s[4:5], s[0:1], 0x8
	s_load_b32 s13, s[0:1], 0x38
	v_lshlrev_b32_e32 v7, 3, v0
	s_wait_kmcnt 0x0
	s_ashr_i32 s1, s4, 31
	s_mov_b32 s0, s4
	v_add3_u32 v3, s5, s5, v0
	s_lshl_b64 s[0:1], s[0:1], 3
	s_delay_alu instid0(SALU_CYCLE_1)
	s_add_nc_u64 s[0:1], s[10:11], s[0:1]
	s_ashr_i32 s11, s5, 31
	v_add_co_u32 v28, s4, s0, v7
	s_wait_alu 0xf1ff
	v_add_co_ci_u32_e64 v29, null, s1, 0, s4
	s_mov_b32 s10, s5
	v_ashrrev_i32_e32 v4, 31, v3
	s_lshl_b64 s[10:11], s[10:11], 3
	flat_load_b64 v[1:2], v[28:29]
	v_add_co_u32 v30, vcc_lo, v28, s10
	s_delay_alu instid0(VALU_DEP_1) | instskip(SKIP_3) | instid1(VALU_DEP_2)
	v_add_co_ci_u32_e64 v31, null, s11, v29, vcc_lo
	v_lshlrev_b64_e32 v[4:5], 3, v[3:4]
	v_add_nc_u32_e32 v3, s5, v3
	s_bitcmp0_b32 s13, 0
	v_add_co_u32 v32, vcc_lo, s0, v4
	s_wait_alu 0xfffd
	s_delay_alu instid0(VALU_DEP_3) | instskip(SKIP_1) | instid1(VALU_DEP_1)
	v_add_co_ci_u32_e64 v33, null, s1, v5, vcc_lo
	v_ashrrev_i32_e32 v4, 31, v3
	v_lshlrev_b64_e32 v[4:5], 3, v[3:4]
	v_add_nc_u32_e32 v3, s5, v3
	s_delay_alu instid0(VALU_DEP_2) | instskip(SKIP_1) | instid1(VALU_DEP_3)
	v_add_co_u32 v34, vcc_lo, s0, v4
	s_wait_alu 0xfffd
	v_add_co_ci_u32_e64 v35, null, s1, v5, vcc_lo
	s_delay_alu instid0(VALU_DEP_3) | instskip(NEXT) | instid1(VALU_DEP_1)
	v_ashrrev_i32_e32 v4, 31, v3
	v_lshlrev_b64_e32 v[4:5], 3, v[3:4]
	v_add_nc_u32_e32 v3, s5, v3
	s_delay_alu instid0(VALU_DEP_2) | instskip(SKIP_1) | instid1(VALU_DEP_3)
	v_add_co_u32 v36, vcc_lo, s0, v4
	s_wait_alu 0xfffd
	v_add_co_ci_u32_e64 v37, null, s1, v5, vcc_lo
	s_delay_alu instid0(VALU_DEP_3) | instskip(NEXT) | instid1(VALU_DEP_1)
	v_ashrrev_i32_e32 v4, 31, v3
	v_lshlrev_b64_e32 v[4:5], 3, v[3:4]
	v_add_nc_u32_e32 v3, s5, v3
	s_delay_alu instid0(VALU_DEP_2) | instskip(SKIP_1) | instid1(VALU_DEP_3)
	v_add_co_u32 v38, vcc_lo, s0, v4
	s_wait_alu 0xfffd
	v_add_co_ci_u32_e64 v39, null, s1, v5, vcc_lo
	s_delay_alu instid0(VALU_DEP_3) | instskip(NEXT) | instid1(VALU_DEP_1)
	v_ashrrev_i32_e32 v4, 31, v3
	v_lshlrev_b64_e32 v[4:5], 3, v[3:4]
	v_add_nc_u32_e32 v3, s5, v3
	s_delay_alu instid0(VALU_DEP_2) | instskip(SKIP_1) | instid1(VALU_DEP_3)
	v_add_co_u32 v40, vcc_lo, s0, v4
	s_wait_alu 0xfffd
	v_add_co_ci_u32_e64 v41, null, s1, v5, vcc_lo
	s_delay_alu instid0(VALU_DEP_3) | instskip(NEXT) | instid1(VALU_DEP_1)
	v_ashrrev_i32_e32 v4, 31, v3
	v_lshlrev_b64_e32 v[4:5], 3, v[3:4]
	v_add_nc_u32_e32 v3, s5, v3
	s_delay_alu instid0(VALU_DEP_2) | instskip(SKIP_1) | instid1(VALU_DEP_3)
	v_add_co_u32 v42, vcc_lo, s0, v4
	s_wait_alu 0xfffd
	v_add_co_ci_u32_e64 v43, null, s1, v5, vcc_lo
	s_delay_alu instid0(VALU_DEP_3) | instskip(NEXT) | instid1(VALU_DEP_1)
	v_ashrrev_i32_e32 v4, 31, v3
	v_lshlrev_b64_e32 v[4:5], 3, v[3:4]
	v_add_nc_u32_e32 v3, s5, v3
	s_delay_alu instid0(VALU_DEP_2) | instskip(SKIP_1) | instid1(VALU_DEP_3)
	v_add_co_u32 v44, vcc_lo, s0, v4
	s_wait_alu 0xfffd
	v_add_co_ci_u32_e64 v45, null, s1, v5, vcc_lo
	s_delay_alu instid0(VALU_DEP_3) | instskip(NEXT) | instid1(VALU_DEP_1)
	v_ashrrev_i32_e32 v4, 31, v3
	v_lshlrev_b64_e32 v[4:5], 3, v[3:4]
	v_add_nc_u32_e32 v3, s5, v3
	s_delay_alu instid0(VALU_DEP_2) | instskip(SKIP_1) | instid1(VALU_DEP_3)
	v_add_co_u32 v46, vcc_lo, s0, v4
	s_wait_alu 0xfffd
	v_add_co_ci_u32_e64 v47, null, s1, v5, vcc_lo
	s_delay_alu instid0(VALU_DEP_3) | instskip(NEXT) | instid1(VALU_DEP_1)
	v_ashrrev_i32_e32 v4, 31, v3
	v_lshlrev_b64_e32 v[4:5], 3, v[3:4]
	v_add_nc_u32_e32 v3, s5, v3
	s_delay_alu instid0(VALU_DEP_2) | instskip(SKIP_1) | instid1(VALU_DEP_3)
	v_add_co_u32 v48, vcc_lo, s0, v4
	s_wait_alu 0xfffd
	v_add_co_ci_u32_e64 v49, null, s1, v5, vcc_lo
	s_delay_alu instid0(VALU_DEP_3) | instskip(NEXT) | instid1(VALU_DEP_1)
	v_ashrrev_i32_e32 v4, 31, v3
	v_lshlrev_b64_e32 v[4:5], 3, v[3:4]
	v_add_nc_u32_e32 v3, s5, v3
	s_delay_alu instid0(VALU_DEP_2) | instskip(SKIP_1) | instid1(VALU_DEP_3)
	v_add_co_u32 v50, vcc_lo, s0, v4
	s_wait_alu 0xfffd
	v_add_co_ci_u32_e64 v51, null, s1, v5, vcc_lo
	s_delay_alu instid0(VALU_DEP_3) | instskip(NEXT) | instid1(VALU_DEP_1)
	v_ashrrev_i32_e32 v4, 31, v3
	v_lshlrev_b64_e32 v[4:5], 3, v[3:4]
	v_add_nc_u32_e32 v3, s5, v3
	s_delay_alu instid0(VALU_DEP_2) | instskip(SKIP_1) | instid1(VALU_DEP_3)
	v_add_co_u32 v52, vcc_lo, s0, v4
	s_wait_alu 0xfffd
	v_add_co_ci_u32_e64 v53, null, s1, v5, vcc_lo
	s_delay_alu instid0(VALU_DEP_3) | instskip(NEXT) | instid1(VALU_DEP_1)
	v_ashrrev_i32_e32 v4, 31, v3
	v_lshlrev_b64_e32 v[4:5], 3, v[3:4]
	v_add_nc_u32_e32 v3, s5, v3
	s_delay_alu instid0(VALU_DEP_2) | instskip(SKIP_1) | instid1(VALU_DEP_3)
	v_add_co_u32 v54, vcc_lo, s0, v4
	s_wait_alu 0xfffd
	v_add_co_ci_u32_e64 v55, null, s1, v5, vcc_lo
	s_delay_alu instid0(VALU_DEP_3) | instskip(NEXT) | instid1(VALU_DEP_1)
	v_ashrrev_i32_e32 v4, 31, v3
	v_lshlrev_b64_e32 v[4:5], 3, v[3:4]
	v_add_nc_u32_e32 v3, s5, v3
	s_delay_alu instid0(VALU_DEP_2) | instskip(SKIP_1) | instid1(VALU_DEP_3)
	v_add_co_u32 v56, vcc_lo, s0, v4
	s_wait_alu 0xfffd
	v_add_co_ci_u32_e64 v57, null, s1, v5, vcc_lo
	s_delay_alu instid0(VALU_DEP_3) | instskip(NEXT) | instid1(VALU_DEP_1)
	v_ashrrev_i32_e32 v4, 31, v3
	v_lshlrev_b64_e32 v[4:5], 3, v[3:4]
	v_add_nc_u32_e32 v3, s5, v3
	s_delay_alu instid0(VALU_DEP_2) | instskip(SKIP_1) | instid1(VALU_DEP_3)
	v_add_co_u32 v58, vcc_lo, s0, v4
	s_wait_alu 0xfffd
	v_add_co_ci_u32_e64 v59, null, s1, v5, vcc_lo
	s_delay_alu instid0(VALU_DEP_3) | instskip(NEXT) | instid1(VALU_DEP_1)
	v_ashrrev_i32_e32 v4, 31, v3
	v_lshlrev_b64_e32 v[4:5], 3, v[3:4]
	v_add_nc_u32_e32 v3, s5, v3
	s_delay_alu instid0(VALU_DEP_2) | instskip(SKIP_1) | instid1(VALU_DEP_3)
	v_add_co_u32 v60, vcc_lo, s0, v4
	s_wait_alu 0xfffd
	v_add_co_ci_u32_e64 v61, null, s1, v5, vcc_lo
	s_delay_alu instid0(VALU_DEP_3) | instskip(NEXT) | instid1(VALU_DEP_1)
	v_ashrrev_i32_e32 v4, 31, v3
	v_lshlrev_b64_e32 v[4:5], 3, v[3:4]
	v_add_nc_u32_e32 v3, s5, v3
	s_delay_alu instid0(VALU_DEP_2) | instskip(SKIP_1) | instid1(VALU_DEP_3)
	v_add_co_u32 v62, vcc_lo, s0, v4
	s_wait_alu 0xfffd
	v_add_co_ci_u32_e64 v63, null, s1, v5, vcc_lo
	s_delay_alu instid0(VALU_DEP_3) | instskip(NEXT) | instid1(VALU_DEP_1)
	v_ashrrev_i32_e32 v4, 31, v3
	v_lshlrev_b64_e32 v[4:5], 3, v[3:4]
	v_add_nc_u32_e32 v3, s5, v3
	s_delay_alu instid0(VALU_DEP_2) | instskip(SKIP_1) | instid1(VALU_DEP_3)
	v_add_co_u32 v64, vcc_lo, s0, v4
	s_wait_alu 0xfffd
	v_add_co_ci_u32_e64 v65, null, s1, v5, vcc_lo
	s_delay_alu instid0(VALU_DEP_3) | instskip(NEXT) | instid1(VALU_DEP_1)
	v_ashrrev_i32_e32 v4, 31, v3
	v_lshlrev_b64_e32 v[4:5], 3, v[3:4]
	v_add_nc_u32_e32 v3, s5, v3
	s_delay_alu instid0(VALU_DEP_2) | instskip(SKIP_1) | instid1(VALU_DEP_3)
	v_add_co_u32 v66, vcc_lo, s0, v4
	s_wait_alu 0xfffd
	v_add_co_ci_u32_e64 v67, null, s1, v5, vcc_lo
	s_delay_alu instid0(VALU_DEP_3) | instskip(NEXT) | instid1(VALU_DEP_1)
	v_ashrrev_i32_e32 v4, 31, v3
	v_lshlrev_b64_e32 v[4:5], 3, v[3:4]
	v_add_nc_u32_e32 v3, s5, v3
	s_delay_alu instid0(VALU_DEP_2) | instskip(SKIP_1) | instid1(VALU_DEP_3)
	v_add_co_u32 v68, vcc_lo, s0, v4
	s_wait_alu 0xfffd
	v_add_co_ci_u32_e64 v69, null, s1, v5, vcc_lo
	s_delay_alu instid0(VALU_DEP_3) | instskip(NEXT) | instid1(VALU_DEP_1)
	v_ashrrev_i32_e32 v4, 31, v3
	v_lshlrev_b64_e32 v[4:5], 3, v[3:4]
	v_add_nc_u32_e32 v3, s5, v3
	s_delay_alu instid0(VALU_DEP_2) | instskip(SKIP_1) | instid1(VALU_DEP_3)
	v_add_co_u32 v70, vcc_lo, s0, v4
	s_wait_alu 0xfffd
	v_add_co_ci_u32_e64 v71, null, s1, v5, vcc_lo
	s_delay_alu instid0(VALU_DEP_3) | instskip(NEXT) | instid1(VALU_DEP_1)
	v_ashrrev_i32_e32 v4, 31, v3
	v_lshlrev_b64_e32 v[4:5], 3, v[3:4]
	v_add_nc_u32_e32 v3, s5, v3
	s_delay_alu instid0(VALU_DEP_2) | instskip(SKIP_1) | instid1(VALU_DEP_3)
	v_add_co_u32 v72, vcc_lo, s0, v4
	s_wait_alu 0xfffd
	v_add_co_ci_u32_e64 v73, null, s1, v5, vcc_lo
	s_delay_alu instid0(VALU_DEP_3) | instskip(NEXT) | instid1(VALU_DEP_1)
	v_ashrrev_i32_e32 v4, 31, v3
	v_lshlrev_b64_e32 v[4:5], 3, v[3:4]
	s_wait_loadcnt_dscnt 0x0
	scratch_store_b64 off, v[1:2], off
	flat_load_b64 v[1:2], v[30:31]
	v_add_nc_u32_e32 v3, s5, v3
	v_add_co_u32 v74, vcc_lo, s0, v4
	s_wait_alu 0xfffd
	v_add_co_ci_u32_e64 v75, null, s1, v5, vcc_lo
	s_delay_alu instid0(VALU_DEP_3) | instskip(NEXT) | instid1(VALU_DEP_1)
	v_ashrrev_i32_e32 v4, 31, v3
	v_lshlrev_b64_e32 v[4:5], 3, v[3:4]
	v_add_nc_u32_e32 v3, s5, v3
	s_delay_alu instid0(VALU_DEP_2) | instskip(SKIP_1) | instid1(VALU_DEP_3)
	v_add_co_u32 v76, vcc_lo, s0, v4
	s_wait_alu 0xfffd
	v_add_co_ci_u32_e64 v77, null, s1, v5, vcc_lo
	s_delay_alu instid0(VALU_DEP_3) | instskip(NEXT) | instid1(VALU_DEP_1)
	v_ashrrev_i32_e32 v4, 31, v3
	v_lshlrev_b64_e32 v[4:5], 3, v[3:4]
	v_add_nc_u32_e32 v3, s5, v3
	s_delay_alu instid0(VALU_DEP_2) | instskip(SKIP_1) | instid1(VALU_DEP_3)
	;; [unrolled: 8-line block ×20, first 2 shown]
	v_add_co_u32 v114, vcc_lo, s0, v4
	s_wait_alu 0xfffd
	v_add_co_ci_u32_e64 v115, null, s1, v5, vcc_lo
	s_delay_alu instid0(VALU_DEP_3) | instskip(NEXT) | instid1(VALU_DEP_1)
	v_ashrrev_i32_e32 v4, 31, v3
	v_lshlrev_b64_e32 v[4:5], 3, v[3:4]
	v_add_nc_u32_e32 v3, s5, v3
	s_delay_alu instid0(VALU_DEP_2)
	v_add_co_u32 v116, vcc_lo, s0, v4
	s_wait_loadcnt_dscnt 0x0
	scratch_store_b64 off, v[1:2], off offset:8
	flat_load_b64 v[1:2], v[32:33]
	s_wait_alu 0xfffd
	v_add_co_ci_u32_e64 v117, null, s1, v5, vcc_lo
	v_ashrrev_i32_e32 v4, 31, v3
	s_delay_alu instid0(VALU_DEP_1) | instskip(SKIP_1) | instid1(VALU_DEP_2)
	v_lshlrev_b64_e32 v[4:5], 3, v[3:4]
	v_add_nc_u32_e32 v3, s5, v3
	v_add_co_u32 v118, vcc_lo, s0, v4
	s_wait_alu 0xfffd
	s_delay_alu instid0(VALU_DEP_3) | instskip(NEXT) | instid1(VALU_DEP_3)
	v_add_co_ci_u32_e64 v119, null, s1, v5, vcc_lo
	v_ashrrev_i32_e32 v4, 31, v3
	s_delay_alu instid0(VALU_DEP_1) | instskip(SKIP_1) | instid1(VALU_DEP_2)
	v_lshlrev_b64_e32 v[4:5], 3, v[3:4]
	v_add_nc_u32_e32 v3, s5, v3
	v_add_co_u32 v120, vcc_lo, s0, v4
	s_wait_alu 0xfffd
	s_delay_alu instid0(VALU_DEP_3) | instskip(NEXT) | instid1(VALU_DEP_3)
	v_add_co_ci_u32_e64 v121, null, s1, v5, vcc_lo
	v_ashrrev_i32_e32 v4, 31, v3
	s_delay_alu instid0(VALU_DEP_1) | instskip(SKIP_1) | instid1(VALU_DEP_2)
	v_lshlrev_b64_e32 v[4:5], 3, v[3:4]
	v_add_nc_u32_e32 v3, s5, v3
	v_add_co_u32 v122, vcc_lo, s0, v4
	s_wait_alu 0xfffd
	s_delay_alu instid0(VALU_DEP_3) | instskip(NEXT) | instid1(VALU_DEP_3)
	v_add_co_ci_u32_e64 v123, null, s1, v5, vcc_lo
	v_ashrrev_i32_e32 v4, 31, v3
	s_delay_alu instid0(VALU_DEP_1) | instskip(SKIP_1) | instid1(VALU_DEP_2)
	v_lshlrev_b64_e32 v[4:5], 3, v[3:4]
	v_add_nc_u32_e32 v3, s5, v3
	v_add_co_u32 v124, vcc_lo, s0, v4
	s_wait_alu 0xfffd
	s_delay_alu instid0(VALU_DEP_3) | instskip(NEXT) | instid1(VALU_DEP_3)
	v_add_co_ci_u32_e64 v125, null, s1, v5, vcc_lo
	v_ashrrev_i32_e32 v4, 31, v3
	s_delay_alu instid0(VALU_DEP_1) | instskip(SKIP_1) | instid1(VALU_DEP_2)
	v_lshlrev_b64_e32 v[4:5], 3, v[3:4]
	v_add_nc_u32_e32 v3, s5, v3
	v_add_co_u32 v126, vcc_lo, s0, v4
	s_wait_alu 0xfffd
	s_delay_alu instid0(VALU_DEP_3) | instskip(NEXT) | instid1(VALU_DEP_3)
	v_add_co_ci_u32_e64 v127, null, s1, v5, vcc_lo
	v_ashrrev_i32_e32 v4, 31, v3
	s_delay_alu instid0(VALU_DEP_1) | instskip(SKIP_1) | instid1(VALU_DEP_2)
	v_lshlrev_b64_e32 v[4:5], 3, v[3:4]
	v_add_nc_u32_e32 v3, s5, v3
	v_add_co_u32 v128, vcc_lo, s0, v4
	s_wait_alu 0xfffd
	s_delay_alu instid0(VALU_DEP_3) | instskip(NEXT) | instid1(VALU_DEP_3)
	v_add_co_ci_u32_e64 v129, null, s1, v5, vcc_lo
	v_ashrrev_i32_e32 v4, 31, v3
	s_delay_alu instid0(VALU_DEP_1) | instskip(NEXT) | instid1(VALU_DEP_1)
	v_lshlrev_b64_e32 v[3:4], 3, v[3:4]
	v_add_co_u32 v130, vcc_lo, s0, v3
	s_wait_alu 0xfffd
	s_delay_alu instid0(VALU_DEP_2)
	v_add_co_ci_u32_e64 v131, null, s1, v4, vcc_lo
	s_mov_b32 s1, -1
	s_wait_loadcnt_dscnt 0x0
	scratch_store_b64 off, v[1:2], off offset:16
	flat_load_b64 v[1:2], v[34:35]
	s_wait_loadcnt_dscnt 0x0
	scratch_store_b64 off, v[1:2], off offset:24
	flat_load_b64 v[1:2], v[36:37]
	s_wait_loadcnt_dscnt 0x0
	scratch_store_b64 off, v[1:2], off offset:32
	flat_load_b64 v[1:2], v[38:39]
	s_wait_loadcnt_dscnt 0x0
	scratch_store_b64 off, v[1:2], off offset:40
	flat_load_b64 v[1:2], v[40:41]
	s_wait_loadcnt_dscnt 0x0
	scratch_store_b64 off, v[1:2], off offset:48
	flat_load_b64 v[1:2], v[42:43]
	s_wait_loadcnt_dscnt 0x0
	scratch_store_b64 off, v[1:2], off offset:56
	flat_load_b64 v[1:2], v[44:45]
	s_wait_loadcnt_dscnt 0x0
	scratch_store_b64 off, v[1:2], off offset:64
	flat_load_b64 v[1:2], v[46:47]
	s_wait_loadcnt_dscnt 0x0
	scratch_store_b64 off, v[1:2], off offset:72
	flat_load_b64 v[1:2], v[48:49]
	s_wait_loadcnt_dscnt 0x0
	scratch_store_b64 off, v[1:2], off offset:80
	flat_load_b64 v[1:2], v[50:51]
	s_wait_loadcnt_dscnt 0x0
	scratch_store_b64 off, v[1:2], off offset:88
	flat_load_b64 v[1:2], v[52:53]
	s_wait_loadcnt_dscnt 0x0
	scratch_store_b64 off, v[1:2], off offset:96
	flat_load_b64 v[1:2], v[54:55]
	s_wait_loadcnt_dscnt 0x0
	scratch_store_b64 off, v[1:2], off offset:104
	flat_load_b64 v[1:2], v[56:57]
	s_wait_loadcnt_dscnt 0x0
	scratch_store_b64 off, v[1:2], off offset:112
	flat_load_b64 v[1:2], v[58:59]
	s_wait_loadcnt_dscnt 0x0
	scratch_store_b64 off, v[1:2], off offset:120
	flat_load_b64 v[1:2], v[60:61]
	s_wait_loadcnt_dscnt 0x0
	scratch_store_b64 off, v[1:2], off offset:128
	flat_load_b64 v[1:2], v[62:63]
	s_wait_loadcnt_dscnt 0x0
	scratch_store_b64 off, v[1:2], off offset:136
	flat_load_b64 v[1:2], v[64:65]
	s_wait_loadcnt_dscnt 0x0
	scratch_store_b64 off, v[1:2], off offset:144
	flat_load_b64 v[1:2], v[66:67]
	s_wait_loadcnt_dscnt 0x0
	scratch_store_b64 off, v[1:2], off offset:152
	flat_load_b64 v[1:2], v[68:69]
	s_wait_loadcnt_dscnt 0x0
	scratch_store_b64 off, v[1:2], off offset:160
	flat_load_b64 v[1:2], v[70:71]
	s_wait_loadcnt_dscnt 0x0
	scratch_store_b64 off, v[1:2], off offset:168
	flat_load_b64 v[1:2], v[72:73]
	s_wait_loadcnt_dscnt 0x0
	scratch_store_b64 off, v[1:2], off offset:176
	flat_load_b64 v[1:2], v[74:75]
	s_wait_loadcnt_dscnt 0x0
	scratch_store_b64 off, v[1:2], off offset:184
	flat_load_b64 v[1:2], v[76:77]
	s_wait_loadcnt_dscnt 0x0
	scratch_store_b64 off, v[1:2], off offset:192
	flat_load_b64 v[1:2], v[78:79]
	s_wait_loadcnt_dscnt 0x0
	scratch_store_b64 off, v[1:2], off offset:200
	flat_load_b64 v[1:2], v[80:81]
	s_wait_loadcnt_dscnt 0x0
	scratch_store_b64 off, v[1:2], off offset:208
	flat_load_b64 v[1:2], v[82:83]
	s_wait_loadcnt_dscnt 0x0
	scratch_store_b64 off, v[1:2], off offset:216
	flat_load_b64 v[1:2], v[84:85]
	s_wait_loadcnt_dscnt 0x0
	scratch_store_b64 off, v[1:2], off offset:224
	flat_load_b64 v[1:2], v[86:87]
	s_wait_loadcnt_dscnt 0x0
	scratch_store_b64 off, v[1:2], off offset:232
	flat_load_b64 v[1:2], v[88:89]
	s_wait_loadcnt_dscnt 0x0
	scratch_store_b64 off, v[1:2], off offset:240
	flat_load_b64 v[1:2], v[90:91]
	s_wait_loadcnt_dscnt 0x0
	scratch_store_b64 off, v[1:2], off offset:248
	flat_load_b64 v[1:2], v[92:93]
	s_wait_loadcnt_dscnt 0x0
	scratch_store_b64 off, v[1:2], off offset:256
	flat_load_b64 v[1:2], v[94:95]
	s_wait_loadcnt_dscnt 0x0
	scratch_store_b64 off, v[1:2], off offset:264
	flat_load_b64 v[1:2], v[96:97]
	s_wait_loadcnt_dscnt 0x0
	scratch_store_b64 off, v[1:2], off offset:272
	flat_load_b64 v[1:2], v[98:99]
	s_wait_loadcnt_dscnt 0x0
	scratch_store_b64 off, v[1:2], off offset:280
	flat_load_b64 v[1:2], v[100:101]
	s_wait_loadcnt_dscnt 0x0
	scratch_store_b64 off, v[1:2], off offset:288
	flat_load_b64 v[1:2], v[102:103]
	s_wait_loadcnt_dscnt 0x0
	scratch_store_b64 off, v[1:2], off offset:296
	flat_load_b64 v[1:2], v[104:105]
	s_wait_loadcnt_dscnt 0x0
	scratch_store_b64 off, v[1:2], off offset:304
	flat_load_b64 v[1:2], v[106:107]
	s_wait_loadcnt_dscnt 0x0
	scratch_store_b64 off, v[1:2], off offset:312
	flat_load_b64 v[1:2], v[108:109]
	s_wait_loadcnt_dscnt 0x0
	scratch_store_b64 off, v[1:2], off offset:320
	flat_load_b64 v[1:2], v[110:111]
	s_wait_loadcnt_dscnt 0x0
	scratch_store_b64 off, v[1:2], off offset:328
	flat_load_b64 v[1:2], v[112:113]
	s_wait_loadcnt_dscnt 0x0
	scratch_store_b64 off, v[1:2], off offset:336
	flat_load_b64 v[1:2], v[114:115]
	s_wait_loadcnt_dscnt 0x0
	scratch_store_b64 off, v[1:2], off offset:344
	flat_load_b64 v[1:2], v[116:117]
	s_wait_loadcnt_dscnt 0x0
	scratch_store_b64 off, v[1:2], off offset:352
	flat_load_b64 v[1:2], v[118:119]
	s_wait_loadcnt_dscnt 0x0
	scratch_store_b64 off, v[1:2], off offset:360
	flat_load_b64 v[1:2], v[120:121]
	s_wait_loadcnt_dscnt 0x0
	scratch_store_b64 off, v[1:2], off offset:368
	flat_load_b64 v[1:2], v[122:123]
	s_wait_loadcnt_dscnt 0x0
	scratch_store_b64 off, v[1:2], off offset:376
	flat_load_b64 v[1:2], v[124:125]
	s_wait_loadcnt_dscnt 0x0
	scratch_store_b64 off, v[1:2], off offset:384
	flat_load_b64 v[1:2], v[126:127]
	s_wait_loadcnt_dscnt 0x0
	scratch_store_b64 off, v[1:2], off offset:392
	flat_load_b64 v[1:2], v[128:129]
	s_wait_loadcnt_dscnt 0x0
	scratch_store_b64 off, v[1:2], off offset:400
	flat_load_b64 v[1:2], v[130:131]
	s_wait_loadcnt_dscnt 0x0
	scratch_store_b64 off, v[1:2], off offset:408
	s_cbranch_scc1 .LBB115_220
; %bb.4:
	v_cmp_eq_u32_e64 s0, 0, v0
	s_and_saveexec_b32 s1, s0
; %bb.5:
	v_mov_b32_e32 v1, 0
	ds_store_b32 v1, v1 offset:832
; %bb.6:
	s_wait_alu 0xfffe
	s_or_b32 exec_lo, exec_lo, s1
	s_wait_storecnt_dscnt 0x0
	s_barrier_signal -1
	s_barrier_wait -1
	global_inv scope:SCOPE_SE
	scratch_load_b64 v[1:2], v7, off
	s_wait_loadcnt 0x0
	v_cmp_eq_f32_e32 vcc_lo, 0, v1
	v_cmp_eq_f32_e64 s1, 0, v2
	s_and_b32 s1, vcc_lo, s1
	s_wait_alu 0xfffe
	s_and_saveexec_b32 s4, s1
	s_cbranch_execz .LBB115_10
; %bb.7:
	v_mov_b32_e32 v1, 0
	s_mov_b32 s5, 0
	ds_load_b32 v2, v1 offset:832
	s_wait_dscnt 0x0
	v_readfirstlane_b32 s1, v2
	v_add_nc_u32_e32 v2, 1, v0
	s_cmp_eq_u32 s1, 0
	s_delay_alu instid0(VALU_DEP_1)
	v_cmp_gt_i32_e32 vcc_lo, s1, v2
	s_cselect_b32 s10, -1, 0
	s_wait_alu 0xfffe
	s_or_b32 s10, s10, vcc_lo
	s_wait_alu 0xfffe
	s_and_b32 exec_lo, exec_lo, s10
	s_cbranch_execz .LBB115_10
; %bb.8:
	v_mov_b32_e32 v3, s1
.LBB115_9:                              ; =>This Inner Loop Header: Depth=1
	ds_cmpstore_rtn_b32 v3, v1, v2, v3 offset:832
	s_wait_dscnt 0x0
	v_cmp_ne_u32_e32 vcc_lo, 0, v3
	v_cmp_le_i32_e64 s1, v3, v2
	s_and_b32 s1, vcc_lo, s1
	s_wait_alu 0xfffe
	s_and_b32 s1, exec_lo, s1
	s_wait_alu 0xfffe
	s_or_b32 s5, s1, s5
	s_wait_alu 0xfffe
	s_and_not1_b32 exec_lo, exec_lo, s5
	s_cbranch_execnz .LBB115_9
.LBB115_10:
	s_wait_alu 0xfffe
	s_or_b32 exec_lo, exec_lo, s4
	v_mov_b32_e32 v1, 0
	s_barrier_signal -1
	s_barrier_wait -1
	global_inv scope:SCOPE_SE
	ds_load_b32 v2, v1 offset:832
	s_and_saveexec_b32 s1, s0
	s_cbranch_execz .LBB115_12
; %bb.11:
	s_lshl_b64 s[4:5], s[8:9], 2
	s_wait_alu 0xfffe
	s_add_nc_u64 s[4:5], s[6:7], s[4:5]
	s_wait_dscnt 0x0
	global_store_b32 v1, v2, s[4:5]
.LBB115_12:
	s_wait_alu 0xfffe
	s_or_b32 exec_lo, exec_lo, s1
	s_wait_dscnt 0x0
	v_cmp_ne_u32_e32 vcc_lo, 0, v2
	s_mov_b32 s1, 0
	s_cbranch_vccnz .LBB115_220
; %bb.13:
	v_mov_b32_e32 v8, v7
                                        ; implicit-def: $vgpr3
                                        ; implicit-def: $vgpr5
	scratch_load_b64 v[1:2], v8, off
	s_wait_loadcnt 0x0
	v_cmp_ngt_f32_e64 s1, |v1|, |v2|
	s_wait_alu 0xfffe
	s_and_saveexec_b32 s4, s1
	s_wait_alu 0xfffe
	s_xor_b32 s1, exec_lo, s4
	s_cbranch_execz .LBB115_15
; %bb.14:
	v_div_scale_f32 v3, null, v2, v2, v1
	v_div_scale_f32 v6, vcc_lo, v1, v2, v1
	s_delay_alu instid0(VALU_DEP_2) | instskip(NEXT) | instid1(TRANS32_DEP_1)
	v_rcp_f32_e32 v4, v3
	v_fma_f32 v5, -v3, v4, 1.0
	s_delay_alu instid0(VALU_DEP_1) | instskip(NEXT) | instid1(VALU_DEP_1)
	v_fmac_f32_e32 v4, v5, v4
	v_mul_f32_e32 v5, v6, v4
	s_delay_alu instid0(VALU_DEP_1) | instskip(NEXT) | instid1(VALU_DEP_1)
	v_fma_f32 v9, -v3, v5, v6
	v_fmac_f32_e32 v5, v9, v4
	s_delay_alu instid0(VALU_DEP_1) | instskip(SKIP_1) | instid1(VALU_DEP_1)
	v_fma_f32 v3, -v3, v5, v6
	s_wait_alu 0xfffd
	v_div_fmas_f32 v3, v3, v4, v5
	s_delay_alu instid0(VALU_DEP_1) | instskip(NEXT) | instid1(VALU_DEP_1)
	v_div_fixup_f32 v3, v3, v2, v1
	v_fmac_f32_e32 v2, v1, v3
	s_delay_alu instid0(VALU_DEP_1) | instskip(NEXT) | instid1(VALU_DEP_1)
	v_div_scale_f32 v1, null, v2, v2, 1.0
	v_rcp_f32_e32 v4, v1
	s_delay_alu instid0(TRANS32_DEP_1) | instskip(NEXT) | instid1(VALU_DEP_1)
	v_fma_f32 v5, -v1, v4, 1.0
	v_fmac_f32_e32 v4, v5, v4
	v_div_scale_f32 v5, vcc_lo, 1.0, v2, 1.0
	s_delay_alu instid0(VALU_DEP_1) | instskip(NEXT) | instid1(VALU_DEP_1)
	v_mul_f32_e32 v6, v5, v4
	v_fma_f32 v9, -v1, v6, v5
	s_delay_alu instid0(VALU_DEP_1) | instskip(NEXT) | instid1(VALU_DEP_1)
	v_fmac_f32_e32 v6, v9, v4
	v_fma_f32 v1, -v1, v6, v5
	s_wait_alu 0xfffd
	s_delay_alu instid0(VALU_DEP_1) | instskip(NEXT) | instid1(VALU_DEP_1)
	v_div_fmas_f32 v1, v1, v4, v6
	v_div_fixup_f32 v1, v1, v2, 1.0
	s_delay_alu instid0(VALU_DEP_1) | instskip(SKIP_1) | instid1(VALU_DEP_2)
	v_mul_f32_e32 v3, v3, v1
	v_xor_b32_e32 v4, 0x80000000, v1
                                        ; implicit-def: $vgpr1_vgpr2
	v_xor_b32_e32 v5, 0x80000000, v3
.LBB115_15:
	s_wait_alu 0xfffe
	s_and_not1_saveexec_b32 s1, s1
	s_cbranch_execz .LBB115_17
; %bb.16:
	v_div_scale_f32 v3, null, v1, v1, v2
	v_div_scale_f32 v6, vcc_lo, v2, v1, v2
	s_delay_alu instid0(VALU_DEP_2) | instskip(NEXT) | instid1(TRANS32_DEP_1)
	v_rcp_f32_e32 v4, v3
	v_fma_f32 v5, -v3, v4, 1.0
	s_delay_alu instid0(VALU_DEP_1) | instskip(NEXT) | instid1(VALU_DEP_1)
	v_fmac_f32_e32 v4, v5, v4
	v_mul_f32_e32 v5, v6, v4
	s_delay_alu instid0(VALU_DEP_1) | instskip(NEXT) | instid1(VALU_DEP_1)
	v_fma_f32 v9, -v3, v5, v6
	v_fmac_f32_e32 v5, v9, v4
	s_delay_alu instid0(VALU_DEP_1) | instskip(SKIP_1) | instid1(VALU_DEP_1)
	v_fma_f32 v3, -v3, v5, v6
	s_wait_alu 0xfffd
	v_div_fmas_f32 v3, v3, v4, v5
	s_delay_alu instid0(VALU_DEP_1) | instskip(NEXT) | instid1(VALU_DEP_1)
	v_div_fixup_f32 v4, v3, v1, v2
	v_fmac_f32_e32 v1, v2, v4
	s_delay_alu instid0(VALU_DEP_1) | instskip(SKIP_1) | instid1(VALU_DEP_2)
	v_div_scale_f32 v2, null, v1, v1, 1.0
	v_div_scale_f32 v6, vcc_lo, 1.0, v1, 1.0
	v_rcp_f32_e32 v3, v2
	s_delay_alu instid0(TRANS32_DEP_1) | instskip(NEXT) | instid1(VALU_DEP_1)
	v_fma_f32 v5, -v2, v3, 1.0
	v_fmac_f32_e32 v3, v5, v3
	s_delay_alu instid0(VALU_DEP_1) | instskip(NEXT) | instid1(VALU_DEP_1)
	v_mul_f32_e32 v5, v6, v3
	v_fma_f32 v9, -v2, v5, v6
	s_delay_alu instid0(VALU_DEP_1) | instskip(NEXT) | instid1(VALU_DEP_1)
	v_fmac_f32_e32 v5, v9, v3
	v_fma_f32 v2, -v2, v5, v6
	s_wait_alu 0xfffd
	s_delay_alu instid0(VALU_DEP_1) | instskip(NEXT) | instid1(VALU_DEP_1)
	v_div_fmas_f32 v2, v2, v3, v5
	v_div_fixup_f32 v3, v2, v1, 1.0
	s_delay_alu instid0(VALU_DEP_1)
	v_xor_b32_e32 v5, 0x80000000, v3
	v_mul_f32_e64 v4, v4, -v3
.LBB115_17:
	s_wait_alu 0xfffe
	s_or_b32 exec_lo, exec_lo, s1
	scratch_store_b64 v8, v[3:4], off
	scratch_load_b64 v[2:3], off, off offset:8
	v_xor_b32_e32 v6, 0x80000000, v4
	v_add_nc_u32_e32 v1, 0x1a0, v7
	s_wait_loadcnt 0x0
	ds_store_2addr_b64 v7, v[5:6], v[2:3] offset1:52
	s_wait_storecnt_dscnt 0x0
	s_barrier_signal -1
	s_barrier_wait -1
	global_inv scope:SCOPE_SE
	s_and_saveexec_b32 s1, s0
	s_cbranch_execz .LBB115_19
; %bb.18:
	scratch_load_b64 v[2:3], v8, off
	ds_load_b64 v[4:5], v1
	v_mov_b32_e32 v6, 0
	ds_load_b64 v[9:10], v6 offset:8
	s_wait_loadcnt_dscnt 0x1
	v_mul_f32_e32 v6, v4, v3
	v_mul_f32_e32 v3, v5, v3
	s_delay_alu instid0(VALU_DEP_2) | instskip(NEXT) | instid1(VALU_DEP_2)
	v_fmac_f32_e32 v6, v5, v2
	v_fma_f32 v2, v4, v2, -v3
	s_delay_alu instid0(VALU_DEP_2) | instskip(NEXT) | instid1(VALU_DEP_2)
	v_add_f32_e32 v4, 0, v6
	v_add_f32_e32 v2, 0, v2
	s_wait_dscnt 0x0
	s_delay_alu instid0(VALU_DEP_2) | instskip(NEXT) | instid1(VALU_DEP_2)
	v_mul_f32_e32 v5, v4, v10
	v_mul_f32_e32 v3, v2, v10
	s_delay_alu instid0(VALU_DEP_2) | instskip(NEXT) | instid1(VALU_DEP_2)
	v_fma_f32 v2, v2, v9, -v5
	v_fmac_f32_e32 v3, v4, v9
	scratch_store_b64 off, v[2:3], off offset:8
.LBB115_19:
	s_wait_alu 0xfffe
	s_or_b32 exec_lo, exec_lo, s1
	s_wait_loadcnt 0x0
	s_wait_storecnt 0x0
	s_barrier_signal -1
	s_barrier_wait -1
	global_inv scope:SCOPE_SE
	scratch_load_b64 v[2:3], off, off offset:16
	s_mov_b32 s1, exec_lo
	s_wait_loadcnt 0x0
	ds_store_b64 v1, v[2:3]
	s_wait_dscnt 0x0
	s_barrier_signal -1
	s_barrier_wait -1
	global_inv scope:SCOPE_SE
	v_cmpx_gt_u32_e32 2, v0
	s_cbranch_execz .LBB115_23
; %bb.20:
	scratch_load_b64 v[2:3], v8, off
	ds_load_b64 v[4:5], v1
	s_wait_loadcnt_dscnt 0x0
	v_mul_f32_e32 v6, v5, v3
	v_mul_f32_e32 v9, v4, v3
	s_delay_alu instid0(VALU_DEP_2) | instskip(NEXT) | instid1(VALU_DEP_2)
	v_fma_f32 v3, v4, v2, -v6
	v_fmac_f32_e32 v9, v5, v2
	s_delay_alu instid0(VALU_DEP_1)
	v_dual_add_f32 v3, 0, v3 :: v_dual_add_f32 v2, 0, v9
	s_and_saveexec_b32 s4, s0
	s_cbranch_execz .LBB115_22
; %bb.21:
	scratch_load_b64 v[4:5], off, off offset:8
	v_mov_b32_e32 v6, 0
	ds_load_b64 v[9:10], v6 offset:424
	s_wait_loadcnt_dscnt 0x0
	v_mul_f32_e32 v6, v9, v5
	v_mul_f32_e32 v5, v10, v5
	s_delay_alu instid0(VALU_DEP_2) | instskip(NEXT) | instid1(VALU_DEP_2)
	v_fmac_f32_e32 v6, v10, v4
	v_fma_f32 v4, v9, v4, -v5
	s_delay_alu instid0(VALU_DEP_1)
	v_dual_add_f32 v2, v2, v6 :: v_dual_add_f32 v3, v3, v4
.LBB115_22:
	s_wait_alu 0xfffe
	s_or_b32 exec_lo, exec_lo, s4
	v_mov_b32_e32 v4, 0
	ds_load_b64 v[4:5], v4 offset:16
	s_wait_dscnt 0x0
	v_mul_f32_e32 v9, v2, v5
	v_mul_f32_e32 v6, v3, v5
	s_delay_alu instid0(VALU_DEP_2) | instskip(NEXT) | instid1(VALU_DEP_2)
	v_fma_f32 v5, v3, v4, -v9
	v_fmac_f32_e32 v6, v2, v4
	scratch_store_b64 off, v[5:6], off offset:16
.LBB115_23:
	s_wait_alu 0xfffe
	s_or_b32 exec_lo, exec_lo, s1
	s_wait_loadcnt 0x0
	s_wait_storecnt 0x0
	s_barrier_signal -1
	s_barrier_wait -1
	global_inv scope:SCOPE_SE
	scratch_load_b64 v[3:4], off, off offset:24
	v_add_nc_u32_e32 v2, -1, v0
	s_mov_b32 s0, exec_lo
	s_wait_loadcnt 0x0
	ds_store_b64 v1, v[3:4]
	s_wait_dscnt 0x0
	s_barrier_signal -1
	s_barrier_wait -1
	global_inv scope:SCOPE_SE
	v_cmpx_gt_u32_e32 3, v0
	s_cbranch_execz .LBB115_27
; %bb.24:
	v_dual_mov_b32 v3, 0 :: v_dual_add_nc_u32 v4, -1, v0
	v_dual_mov_b32 v6, v7 :: v_dual_add_nc_u32 v5, 0x1a0, v7
	v_mov_b32_e32 v9, 0
	s_mov_b32 s1, 0
.LBB115_25:                             ; =>This Inner Loop Header: Depth=1
	scratch_load_b64 v[10:11], v6, off
	ds_load_b64 v[12:13], v5
	v_add_nc_u32_e32 v4, 1, v4
	v_add_nc_u32_e32 v5, 8, v5
	s_delay_alu instid0(VALU_DEP_2)
	v_cmp_lt_u32_e32 vcc_lo, 1, v4
	s_wait_alu 0xfffe
	s_or_b32 s1, vcc_lo, s1
	s_wait_loadcnt_dscnt 0x0
	v_mul_f32_e32 v14, v13, v11
	v_mul_f32_e32 v11, v12, v11
	s_delay_alu instid0(VALU_DEP_2) | instskip(NEXT) | instid1(VALU_DEP_2)
	v_fma_f32 v12, v12, v10, -v14
	v_fmac_f32_e32 v11, v13, v10
	s_delay_alu instid0(VALU_DEP_2) | instskip(NEXT) | instid1(VALU_DEP_2)
	v_dual_add_f32 v9, v9, v12 :: v_dual_add_nc_u32 v6, 8, v6
	v_add_f32_e32 v3, v3, v11
	s_wait_alu 0xfffe
	s_and_not1_b32 exec_lo, exec_lo, s1
	s_cbranch_execnz .LBB115_25
; %bb.26:
	s_or_b32 exec_lo, exec_lo, s1
	v_mov_b32_e32 v4, 0
	ds_load_b64 v[4:5], v4 offset:24
	s_wait_dscnt 0x0
	v_mul_f32_e32 v10, v3, v5
	v_mul_f32_e32 v6, v9, v5
	s_delay_alu instid0(VALU_DEP_2) | instskip(NEXT) | instid1(VALU_DEP_2)
	v_fma_f32 v5, v9, v4, -v10
	v_fmac_f32_e32 v6, v3, v4
	scratch_store_b64 off, v[5:6], off offset:24
.LBB115_27:
	s_wait_alu 0xfffe
	s_or_b32 exec_lo, exec_lo, s0
	s_wait_loadcnt 0x0
	s_wait_storecnt 0x0
	s_barrier_signal -1
	s_barrier_wait -1
	global_inv scope:SCOPE_SE
	scratch_load_b64 v[3:4], off, off offset:32
	s_mov_b32 s0, exec_lo
	s_wait_loadcnt 0x0
	ds_store_b64 v1, v[3:4]
	s_wait_dscnt 0x0
	s_barrier_signal -1
	s_barrier_wait -1
	global_inv scope:SCOPE_SE
	v_cmpx_gt_u32_e32 4, v0
	s_cbranch_execz .LBB115_31
; %bb.28:
	v_dual_mov_b32 v3, 0 :: v_dual_add_nc_u32 v4, -1, v0
	v_dual_mov_b32 v6, v7 :: v_dual_add_nc_u32 v5, 0x1a0, v7
	v_mov_b32_e32 v9, 0
	s_mov_b32 s1, 0
.LBB115_29:                             ; =>This Inner Loop Header: Depth=1
	scratch_load_b64 v[10:11], v6, off
	ds_load_b64 v[12:13], v5
	v_add_nc_u32_e32 v4, 1, v4
	v_add_nc_u32_e32 v5, 8, v5
	s_delay_alu instid0(VALU_DEP_2)
	v_cmp_lt_u32_e32 vcc_lo, 2, v4
	s_wait_alu 0xfffe
	s_or_b32 s1, vcc_lo, s1
	s_wait_loadcnt_dscnt 0x0
	v_mul_f32_e32 v14, v13, v11
	v_mul_f32_e32 v11, v12, v11
	s_delay_alu instid0(VALU_DEP_2) | instskip(NEXT) | instid1(VALU_DEP_2)
	v_fma_f32 v12, v12, v10, -v14
	v_fmac_f32_e32 v11, v13, v10
	s_delay_alu instid0(VALU_DEP_2) | instskip(NEXT) | instid1(VALU_DEP_2)
	v_dual_add_f32 v9, v9, v12 :: v_dual_add_nc_u32 v6, 8, v6
	v_add_f32_e32 v3, v3, v11
	s_wait_alu 0xfffe
	s_and_not1_b32 exec_lo, exec_lo, s1
	s_cbranch_execnz .LBB115_29
; %bb.30:
	s_or_b32 exec_lo, exec_lo, s1
	v_mov_b32_e32 v4, 0
	ds_load_b64 v[4:5], v4 offset:32
	s_wait_dscnt 0x0
	v_mul_f32_e32 v10, v3, v5
	v_mul_f32_e32 v6, v9, v5
	s_delay_alu instid0(VALU_DEP_2) | instskip(NEXT) | instid1(VALU_DEP_2)
	v_fma_f32 v5, v9, v4, -v10
	v_fmac_f32_e32 v6, v3, v4
	scratch_store_b64 off, v[5:6], off offset:32
.LBB115_31:
	s_wait_alu 0xfffe
	s_or_b32 exec_lo, exec_lo, s0
	s_wait_loadcnt 0x0
	s_wait_storecnt 0x0
	s_barrier_signal -1
	s_barrier_wait -1
	global_inv scope:SCOPE_SE
	scratch_load_b64 v[3:4], off, off offset:40
	;; [unrolled: 55-line block ×19, first 2 shown]
	s_mov_b32 s0, exec_lo
	s_wait_loadcnt 0x0
	ds_store_b64 v1, v[3:4]
	s_wait_dscnt 0x0
	s_barrier_signal -1
	s_barrier_wait -1
	global_inv scope:SCOPE_SE
	v_cmpx_gt_u32_e32 22, v0
	s_cbranch_execz .LBB115_103
; %bb.100:
	v_dual_mov_b32 v3, 0 :: v_dual_add_nc_u32 v4, -1, v0
	v_dual_mov_b32 v6, v7 :: v_dual_add_nc_u32 v5, 0x1a0, v7
	v_mov_b32_e32 v9, 0
	s_mov_b32 s1, 0
.LBB115_101:                            ; =>This Inner Loop Header: Depth=1
	scratch_load_b64 v[10:11], v6, off
	ds_load_b64 v[12:13], v5
	v_add_nc_u32_e32 v4, 1, v4
	v_add_nc_u32_e32 v5, 8, v5
	s_delay_alu instid0(VALU_DEP_2)
	v_cmp_lt_u32_e32 vcc_lo, 20, v4
	s_wait_alu 0xfffe
	s_or_b32 s1, vcc_lo, s1
	s_wait_loadcnt_dscnt 0x0
	v_mul_f32_e32 v14, v13, v11
	v_mul_f32_e32 v11, v12, v11
	s_delay_alu instid0(VALU_DEP_2) | instskip(NEXT) | instid1(VALU_DEP_2)
	v_fma_f32 v12, v12, v10, -v14
	v_fmac_f32_e32 v11, v13, v10
	s_delay_alu instid0(VALU_DEP_2) | instskip(NEXT) | instid1(VALU_DEP_2)
	v_dual_add_f32 v9, v9, v12 :: v_dual_add_nc_u32 v6, 8, v6
	v_add_f32_e32 v3, v3, v11
	s_wait_alu 0xfffe
	s_and_not1_b32 exec_lo, exec_lo, s1
	s_cbranch_execnz .LBB115_101
; %bb.102:
	s_or_b32 exec_lo, exec_lo, s1
	v_mov_b32_e32 v4, 0
	ds_load_b64 v[4:5], v4 offset:176
	s_wait_dscnt 0x0
	v_mul_f32_e32 v10, v3, v5
	v_mul_f32_e32 v6, v9, v5
	s_delay_alu instid0(VALU_DEP_2) | instskip(NEXT) | instid1(VALU_DEP_2)
	v_fma_f32 v5, v9, v4, -v10
	v_fmac_f32_e32 v6, v3, v4
	scratch_store_b64 off, v[5:6], off offset:176
.LBB115_103:
	s_wait_alu 0xfffe
	s_or_b32 exec_lo, exec_lo, s0
	s_wait_loadcnt 0x0
	s_wait_storecnt 0x0
	s_barrier_signal -1
	s_barrier_wait -1
	global_inv scope:SCOPE_SE
	scratch_load_b64 v[3:4], off, off offset:184
	s_mov_b32 s0, exec_lo
	s_wait_loadcnt 0x0
	ds_store_b64 v1, v[3:4]
	s_wait_dscnt 0x0
	s_barrier_signal -1
	s_barrier_wait -1
	global_inv scope:SCOPE_SE
	v_cmpx_gt_u32_e32 23, v0
	s_cbranch_execz .LBB115_107
; %bb.104:
	v_dual_mov_b32 v3, 0 :: v_dual_add_nc_u32 v4, -1, v0
	v_dual_mov_b32 v6, v7 :: v_dual_add_nc_u32 v5, 0x1a0, v7
	v_mov_b32_e32 v9, 0
	s_mov_b32 s1, 0
.LBB115_105:                            ; =>This Inner Loop Header: Depth=1
	scratch_load_b64 v[10:11], v6, off
	ds_load_b64 v[12:13], v5
	v_add_nc_u32_e32 v4, 1, v4
	v_add_nc_u32_e32 v5, 8, v5
	s_delay_alu instid0(VALU_DEP_2)
	v_cmp_lt_u32_e32 vcc_lo, 21, v4
	s_wait_alu 0xfffe
	s_or_b32 s1, vcc_lo, s1
	s_wait_loadcnt_dscnt 0x0
	v_mul_f32_e32 v14, v13, v11
	v_mul_f32_e32 v11, v12, v11
	s_delay_alu instid0(VALU_DEP_2) | instskip(NEXT) | instid1(VALU_DEP_2)
	v_fma_f32 v12, v12, v10, -v14
	v_fmac_f32_e32 v11, v13, v10
	s_delay_alu instid0(VALU_DEP_2) | instskip(NEXT) | instid1(VALU_DEP_2)
	v_dual_add_f32 v9, v9, v12 :: v_dual_add_nc_u32 v6, 8, v6
	v_add_f32_e32 v3, v3, v11
	s_wait_alu 0xfffe
	s_and_not1_b32 exec_lo, exec_lo, s1
	s_cbranch_execnz .LBB115_105
; %bb.106:
	s_or_b32 exec_lo, exec_lo, s1
	v_mov_b32_e32 v4, 0
	ds_load_b64 v[4:5], v4 offset:184
	s_wait_dscnt 0x0
	v_mul_f32_e32 v10, v3, v5
	v_mul_f32_e32 v6, v9, v5
	s_delay_alu instid0(VALU_DEP_2) | instskip(NEXT) | instid1(VALU_DEP_2)
	v_fma_f32 v5, v9, v4, -v10
	v_fmac_f32_e32 v6, v3, v4
	scratch_store_b64 off, v[5:6], off offset:184
.LBB115_107:
	s_wait_alu 0xfffe
	s_or_b32 exec_lo, exec_lo, s0
	s_wait_loadcnt 0x0
	s_wait_storecnt 0x0
	s_barrier_signal -1
	s_barrier_wait -1
	global_inv scope:SCOPE_SE
	scratch_load_b64 v[3:4], off, off offset:192
	;; [unrolled: 55-line block ×28, first 2 shown]
	s_mov_b32 s0, exec_lo
	s_wait_loadcnt 0x0
	ds_store_b64 v1, v[3:4]
	s_wait_dscnt 0x0
	s_barrier_signal -1
	s_barrier_wait -1
	global_inv scope:SCOPE_SE
	v_cmpx_gt_u32_e32 50, v0
	s_cbranch_execz .LBB115_215
; %bb.212:
	v_dual_mov_b32 v3, 0 :: v_dual_add_nc_u32 v4, -1, v0
	v_dual_mov_b32 v6, v7 :: v_dual_add_nc_u32 v5, 0x1a0, v7
	v_mov_b32_e32 v7, 0
	s_mov_b32 s1, 0
.LBB115_213:                            ; =>This Inner Loop Header: Depth=1
	scratch_load_b64 v[9:10], v6, off
	ds_load_b64 v[11:12], v5
	v_add_nc_u32_e32 v6, 8, v6
	v_add_nc_u32_e32 v4, 1, v4
	;; [unrolled: 1-line block ×3, first 2 shown]
	s_delay_alu instid0(VALU_DEP_2)
	v_cmp_lt_u32_e32 vcc_lo, 48, v4
	s_wait_alu 0xfffe
	s_or_b32 s1, vcc_lo, s1
	s_wait_loadcnt_dscnt 0x0
	v_mul_f32_e32 v13, v12, v10
	v_mul_f32_e32 v10, v11, v10
	s_delay_alu instid0(VALU_DEP_2) | instskip(NEXT) | instid1(VALU_DEP_1)
	v_fma_f32 v11, v11, v9, -v13
	v_dual_fmac_f32 v10, v12, v9 :: v_dual_add_f32 v7, v7, v11
	s_delay_alu instid0(VALU_DEP_1)
	v_add_f32_e32 v3, v3, v10
	s_wait_alu 0xfffe
	s_and_not1_b32 exec_lo, exec_lo, s1
	s_cbranch_execnz .LBB115_213
; %bb.214:
	s_or_b32 exec_lo, exec_lo, s1
	v_mov_b32_e32 v4, 0
	ds_load_b64 v[4:5], v4 offset:400
	s_wait_dscnt 0x0
	v_mul_f32_e32 v9, v3, v5
	v_mul_f32_e32 v6, v7, v5
	s_delay_alu instid0(VALU_DEP_2) | instskip(NEXT) | instid1(VALU_DEP_2)
	v_fma_f32 v5, v7, v4, -v9
	v_fmac_f32_e32 v6, v3, v4
	scratch_store_b64 off, v[5:6], off offset:400
.LBB115_215:
	s_wait_alu 0xfffe
	s_or_b32 exec_lo, exec_lo, s0
	s_wait_loadcnt 0x0
	s_wait_storecnt 0x0
	s_barrier_signal -1
	s_barrier_wait -1
	global_inv scope:SCOPE_SE
	scratch_load_b64 v[3:4], off, off offset:408
	s_mov_b32 s0, exec_lo
	s_wait_loadcnt 0x0
	ds_store_b64 v1, v[3:4]
	s_wait_dscnt 0x0
	s_barrier_signal -1
	s_barrier_wait -1
	global_inv scope:SCOPE_SE
	v_cmpx_ne_u32_e32 51, v0
	s_cbranch_execz .LBB115_219
; %bb.216:
	v_dual_mov_b32 v3, 0 :: v_dual_mov_b32 v4, 0
	s_mov_b32 s1, 0
.LBB115_217:                            ; =>This Inner Loop Header: Depth=1
	scratch_load_b64 v[5:6], v8, off
	ds_load_b64 v[9:10], v1
	v_add_nc_u32_e32 v2, 1, v2
	v_add_nc_u32_e32 v1, 8, v1
	;; [unrolled: 1-line block ×3, first 2 shown]
	s_delay_alu instid0(VALU_DEP_3)
	v_cmp_lt_u32_e32 vcc_lo, 49, v2
	s_wait_alu 0xfffe
	s_or_b32 s1, vcc_lo, s1
	s_wait_loadcnt_dscnt 0x0
	v_mul_f32_e32 v7, v10, v6
	v_mul_f32_e32 v6, v9, v6
	s_delay_alu instid0(VALU_DEP_2) | instskip(NEXT) | instid1(VALU_DEP_2)
	v_fma_f32 v7, v9, v5, -v7
	v_fmac_f32_e32 v6, v10, v5
	s_delay_alu instid0(VALU_DEP_1)
	v_dual_add_f32 v4, v4, v7 :: v_dual_add_f32 v3, v3, v6
	s_wait_alu 0xfffe
	s_and_not1_b32 exec_lo, exec_lo, s1
	s_cbranch_execnz .LBB115_217
; %bb.218:
	s_or_b32 exec_lo, exec_lo, s1
	v_mov_b32_e32 v1, 0
	ds_load_b64 v[1:2], v1 offset:408
	s_wait_dscnt 0x0
	v_mul_f32_e32 v6, v3, v2
	v_mul_f32_e32 v5, v4, v2
	s_delay_alu instid0(VALU_DEP_2) | instskip(NEXT) | instid1(VALU_DEP_2)
	v_fma_f32 v4, v4, v1, -v6
	v_fmac_f32_e32 v5, v3, v1
	scratch_store_b64 off, v[4:5], off offset:408
.LBB115_219:
	s_wait_alu 0xfffe
	s_or_b32 exec_lo, exec_lo, s0
	s_mov_b32 s1, -1
	s_wait_loadcnt 0x0
	s_wait_storecnt 0x0
	s_barrier_signal -1
	s_barrier_wait -1
	global_inv scope:SCOPE_SE
.LBB115_220:
	s_wait_alu 0xfffe
	s_and_b32 vcc_lo, exec_lo, s1
	s_wait_alu 0xfffe
	s_cbranch_vccz .LBB115_222
; %bb.221:
	v_mov_b32_e32 v1, 0
	s_lshl_b64 s[0:1], s[8:9], 2
	s_wait_alu 0xfffe
	s_add_nc_u64 s[0:1], s[6:7], s[0:1]
	global_load_b32 v1, v1, s[0:1]
	s_wait_loadcnt 0x0
	v_cmp_ne_u32_e32 vcc_lo, 0, v1
	s_cbranch_vccz .LBB115_223
.LBB115_222:
	s_nop 0
	s_sendmsg sendmsg(MSG_DEALLOC_VGPRS)
	s_endpgm
.LBB115_223:
	v_lshl_add_u32 v27, v0, 3, 0x1a0
	s_mov_b32 s0, exec_lo
	v_cmpx_eq_u32_e32 51, v0
	s_cbranch_execz .LBB115_225
; %bb.224:
	scratch_load_b64 v[1:2], off, off offset:400
	v_mov_b32_e32 v3, 0
	s_delay_alu instid0(VALU_DEP_1)
	v_mov_b32_e32 v4, v3
	scratch_store_b64 off, v[3:4], off offset:400
	s_wait_loadcnt 0x0
	ds_store_b64 v27, v[1:2]
.LBB115_225:
	s_wait_alu 0xfffe
	s_or_b32 exec_lo, exec_lo, s0
	s_wait_storecnt_dscnt 0x0
	s_barrier_signal -1
	s_barrier_wait -1
	global_inv scope:SCOPE_SE
	s_clause 0x1
	scratch_load_b64 v[2:3], off, off offset:408
	scratch_load_b64 v[4:5], off, off offset:400
	v_mov_b32_e32 v1, 0
	s_mov_b32 s0, exec_lo
	ds_load_b64 v[6:7], v1 offset:824
	s_wait_loadcnt_dscnt 0x100
	v_mul_f32_e32 v8, v7, v3
	v_mul_f32_e32 v3, v6, v3
	s_delay_alu instid0(VALU_DEP_2) | instskip(NEXT) | instid1(VALU_DEP_2)
	v_fma_f32 v6, v6, v2, -v8
	v_fmac_f32_e32 v3, v7, v2
	s_delay_alu instid0(VALU_DEP_1) | instskip(SKIP_1) | instid1(VALU_DEP_1)
	v_dual_add_f32 v2, 0, v6 :: v_dual_add_f32 v3, 0, v3
	s_wait_loadcnt 0x0
	v_dual_sub_f32 v2, v4, v2 :: v_dual_sub_f32 v3, v5, v3
	scratch_store_b64 off, v[2:3], off offset:400
	v_cmpx_lt_u32_e32 49, v0
	s_cbranch_execz .LBB115_227
; %bb.226:
	scratch_load_b64 v[3:4], off, off offset:392
	v_mov_b32_e32 v2, v1
	scratch_store_b64 off, v[1:2], off offset:392
	s_wait_loadcnt 0x0
	ds_store_b64 v27, v[3:4]
.LBB115_227:
	s_wait_alu 0xfffe
	s_or_b32 exec_lo, exec_lo, s0
	s_wait_storecnt_dscnt 0x0
	s_barrier_signal -1
	s_barrier_wait -1
	global_inv scope:SCOPE_SE
	s_clause 0x1
	scratch_load_b128 v[2:5], off, off offset:400
	scratch_load_b64 v[10:11], off, off offset:392
	ds_load_b128 v[6:9], v1 offset:816
	s_mov_b32 s0, exec_lo
	s_wait_loadcnt_dscnt 0x100
	v_dual_mul_f32 v1, v7, v3 :: v_dual_mul_f32 v12, v8, v5
	v_mul_f32_e32 v3, v6, v3
	s_delay_alu instid0(VALU_DEP_2) | instskip(NEXT) | instid1(VALU_DEP_2)
	v_fma_f32 v1, v6, v2, -v1
	v_dual_fmac_f32 v12, v9, v4 :: v_dual_fmac_f32 v3, v7, v2
	s_delay_alu instid0(VALU_DEP_2) | instskip(NEXT) | instid1(VALU_DEP_2)
	v_add_f32_e32 v1, 0, v1
	v_add_f32_e32 v3, 0, v3
	v_mul_f32_e32 v5, v9, v5
	s_delay_alu instid0(VALU_DEP_1) | instskip(NEXT) | instid1(VALU_DEP_1)
	v_fma_f32 v2, v8, v4, -v5
	v_dual_add_f32 v1, v1, v2 :: v_dual_add_f32 v2, v3, v12
	s_wait_loadcnt 0x0
	s_delay_alu instid0(VALU_DEP_1)
	v_dual_sub_f32 v1, v10, v1 :: v_dual_sub_f32 v2, v11, v2
	scratch_store_b64 off, v[1:2], off offset:392
	v_cmpx_lt_u32_e32 48, v0
	s_cbranch_execz .LBB115_229
; %bb.228:
	scratch_load_b64 v[1:2], off, off offset:384
	v_mov_b32_e32 v3, 0
	s_delay_alu instid0(VALU_DEP_1)
	v_mov_b32_e32 v4, v3
	scratch_store_b64 off, v[3:4], off offset:384
	s_wait_loadcnt 0x0
	ds_store_b64 v27, v[1:2]
.LBB115_229:
	s_wait_alu 0xfffe
	s_or_b32 exec_lo, exec_lo, s0
	s_wait_storecnt_dscnt 0x0
	s_barrier_signal -1
	s_barrier_wait -1
	global_inv scope:SCOPE_SE
	s_clause 0x2
	scratch_load_b128 v[2:5], off, off offset:392
	scratch_load_b64 v[10:11], off, off offset:408
	scratch_load_b64 v[12:13], off, off offset:384
	v_mov_b32_e32 v1, 0
	ds_load_2addr_b64 v[6:9], v1 offset0:101 offset1:102
	ds_load_b64 v[14:15], v1 offset:824
	s_mov_b32 s0, exec_lo
	s_wait_loadcnt_dscnt 0x201
	v_dual_mul_f32 v16, v7, v3 :: v_dual_mul_f32 v17, v8, v5
	s_wait_loadcnt_dscnt 0x100
	v_mul_f32_e32 v18, v14, v11
	v_mul_f32_e32 v3, v6, v3
	;; [unrolled: 1-line block ×3, first 2 shown]
	v_fma_f32 v6, v6, v2, -v16
	s_delay_alu instid0(VALU_DEP_4) | instskip(NEXT) | instid1(VALU_DEP_4)
	v_fmac_f32_e32 v18, v15, v10
	v_fmac_f32_e32 v3, v7, v2
	v_mul_f32_e32 v2, v15, v11
	s_delay_alu instid0(VALU_DEP_1) | instskip(SKIP_3) | instid1(VALU_DEP_1)
	v_fma_f32 v2, v14, v10, -v2
	v_fmac_f32_e32 v17, v9, v4
	v_fma_f32 v4, v8, v4, -v5
	v_add_f32_e32 v5, 0, v6
	v_add_f32_e32 v4, v5, v4
	s_delay_alu instid0(VALU_DEP_1) | instskip(SKIP_1) | instid1(VALU_DEP_1)
	v_dual_add_f32 v2, v4, v2 :: v_dual_add_f32 v3, 0, v3
	s_wait_loadcnt 0x0
	v_dual_sub_f32 v2, v12, v2 :: v_dual_add_f32 v3, v3, v17
	s_delay_alu instid0(VALU_DEP_1) | instskip(NEXT) | instid1(VALU_DEP_1)
	v_add_f32_e32 v3, v3, v18
	v_sub_f32_e32 v3, v13, v3
	scratch_store_b64 off, v[2:3], off offset:384
	v_cmpx_lt_u32_e32 47, v0
	s_cbranch_execz .LBB115_231
; %bb.230:
	scratch_load_b64 v[3:4], off, off offset:376
	v_mov_b32_e32 v2, v1
	scratch_store_b64 off, v[1:2], off offset:376
	s_wait_loadcnt 0x0
	ds_store_b64 v27, v[3:4]
.LBB115_231:
	s_wait_alu 0xfffe
	s_or_b32 exec_lo, exec_lo, s0
	s_wait_storecnt_dscnt 0x0
	s_barrier_signal -1
	s_barrier_wait -1
	global_inv scope:SCOPE_SE
	s_clause 0x2
	scratch_load_b128 v[2:5], off, off offset:384
	scratch_load_b128 v[6:9], off, off offset:400
	scratch_load_b64 v[18:19], off, off offset:376
	ds_load_b128 v[10:13], v1 offset:800
	ds_load_b128 v[14:17], v1 offset:816
	s_mov_b32 s0, exec_lo
	s_wait_loadcnt_dscnt 0x201
	v_dual_mul_f32 v1, v10, v3 :: v_dual_mul_f32 v20, v12, v5
	s_wait_loadcnt_dscnt 0x100
	v_dual_mul_f32 v3, v11, v3 :: v_dual_mul_f32 v22, v16, v9
	v_mul_f32_e32 v5, v13, v5
	s_delay_alu instid0(VALU_DEP_3) | instskip(NEXT) | instid1(VALU_DEP_3)
	v_dual_mul_f32 v21, v14, v7 :: v_dual_fmac_f32 v20, v13, v4
	v_fma_f32 v3, v10, v2, -v3
	s_delay_alu instid0(VALU_DEP_4) | instskip(SKIP_2) | instid1(VALU_DEP_4)
	v_dual_fmac_f32 v1, v11, v2 :: v_dual_fmac_f32 v22, v17, v8
	v_mul_f32_e32 v2, v15, v7
	v_fma_f32 v4, v12, v4, -v5
	v_add_f32_e32 v3, 0, v3
	v_fmac_f32_e32 v21, v15, v6
	s_delay_alu instid0(VALU_DEP_4) | instskip(NEXT) | instid1(VALU_DEP_3)
	v_fma_f32 v2, v14, v6, -v2
	v_add_f32_e32 v3, v3, v4
	s_delay_alu instid0(VALU_DEP_1) | instskip(NEXT) | instid1(VALU_DEP_1)
	v_dual_add_f32 v1, 0, v1 :: v_dual_add_f32 v2, v3, v2
	v_add_f32_e32 v1, v1, v20
	s_delay_alu instid0(VALU_DEP_1) | instskip(NEXT) | instid1(VALU_DEP_1)
	v_add_f32_e32 v1, v1, v21
	v_add_f32_e32 v3, v1, v22
	v_mul_f32_e32 v5, v17, v9
	s_delay_alu instid0(VALU_DEP_1) | instskip(NEXT) | instid1(VALU_DEP_1)
	v_fma_f32 v4, v16, v8, -v5
	v_add_f32_e32 v2, v2, v4
	s_wait_loadcnt 0x0
	s_delay_alu instid0(VALU_DEP_1)
	v_dual_sub_f32 v1, v18, v2 :: v_dual_sub_f32 v2, v19, v3
	scratch_store_b64 off, v[1:2], off offset:376
	v_cmpx_lt_u32_e32 46, v0
	s_cbranch_execz .LBB115_233
; %bb.232:
	scratch_load_b64 v[1:2], off, off offset:368
	v_mov_b32_e32 v3, 0
	s_delay_alu instid0(VALU_DEP_1)
	v_mov_b32_e32 v4, v3
	scratch_store_b64 off, v[3:4], off offset:368
	s_wait_loadcnt 0x0
	ds_store_b64 v27, v[1:2]
.LBB115_233:
	s_wait_alu 0xfffe
	s_or_b32 exec_lo, exec_lo, s0
	s_wait_storecnt_dscnt 0x0
	s_barrier_signal -1
	s_barrier_wait -1
	global_inv scope:SCOPE_SE
	s_clause 0x3
	scratch_load_b128 v[2:5], off, off offset:376
	scratch_load_b128 v[6:9], off, off offset:392
	scratch_load_b64 v[18:19], off, off offset:408
	scratch_load_b64 v[20:21], off, off offset:368
	v_mov_b32_e32 v1, 0
	ds_load_2addr_b64 v[10:13], v1 offset0:99 offset1:100
	ds_load_2addr_b64 v[14:17], v1 offset0:101 offset1:102
	ds_load_b64 v[22:23], v1 offset:824
	s_mov_b32 s0, exec_lo
	s_wait_loadcnt_dscnt 0x302
	v_mul_f32_e32 v24, v10, v3
	s_wait_loadcnt_dscnt 0x201
	v_dual_mul_f32 v3, v11, v3 :: v_dual_mul_f32 v132, v16, v9
	v_dual_mul_f32 v25, v12, v5 :: v_dual_mul_f32 v26, v14, v7
	s_wait_loadcnt_dscnt 0x100
	v_dual_mul_f32 v133, v22, v19 :: v_dual_fmac_f32 v24, v11, v2
	v_mul_f32_e32 v5, v13, v5
	v_fma_f32 v3, v10, v2, -v3
	v_dual_mul_f32 v2, v15, v7 :: v_dual_fmac_f32 v25, v13, v4
	v_fmac_f32_e32 v26, v15, v6
	s_delay_alu instid0(VALU_DEP_4) | instskip(SKIP_1) | instid1(VALU_DEP_4)
	v_fma_f32 v4, v12, v4, -v5
	v_fmac_f32_e32 v133, v23, v18
	v_fma_f32 v2, v14, v6, -v2
	v_add_f32_e32 v5, 0, v24
	v_dual_add_f32 v3, 0, v3 :: v_dual_fmac_f32 v132, v17, v8
	s_delay_alu instid0(VALU_DEP_1) | instskip(NEXT) | instid1(VALU_DEP_1)
	v_add_f32_e32 v3, v3, v4
	v_dual_add_f32 v2, v3, v2 :: v_dual_mul_f32 v7, v17, v9
	s_delay_alu instid0(VALU_DEP_4) | instskip(NEXT) | instid1(VALU_DEP_2)
	v_dual_add_f32 v4, v5, v25 :: v_dual_mul_f32 v5, v23, v19
	v_fma_f32 v6, v16, v8, -v7
	s_delay_alu instid0(VALU_DEP_1) | instskip(NEXT) | instid1(VALU_DEP_3)
	v_add_f32_e32 v2, v2, v6
	v_add_f32_e32 v3, v4, v26
	s_delay_alu instid0(VALU_DEP_4) | instskip(NEXT) | instid1(VALU_DEP_1)
	v_fma_f32 v4, v22, v18, -v5
	v_add_f32_e32 v2, v2, v4
	s_wait_loadcnt 0x0
	s_delay_alu instid0(VALU_DEP_1) | instskip(NEXT) | instid1(VALU_DEP_1)
	v_dual_add_f32 v3, v3, v132 :: v_dual_sub_f32 v2, v20, v2
	v_add_f32_e32 v3, v3, v133
	s_delay_alu instid0(VALU_DEP_1)
	v_sub_f32_e32 v3, v21, v3
	scratch_store_b64 off, v[2:3], off offset:368
	v_cmpx_lt_u32_e32 45, v0
	s_cbranch_execz .LBB115_235
; %bb.234:
	scratch_load_b64 v[3:4], off, off offset:360
	v_mov_b32_e32 v2, v1
	scratch_store_b64 off, v[1:2], off offset:360
	s_wait_loadcnt 0x0
	ds_store_b64 v27, v[3:4]
.LBB115_235:
	s_wait_alu 0xfffe
	s_or_b32 exec_lo, exec_lo, s0
	s_wait_storecnt_dscnt 0x0
	s_barrier_signal -1
	s_barrier_wait -1
	global_inv scope:SCOPE_SE
	s_clause 0x3
	scratch_load_b128 v[2:5], off, off offset:368
	scratch_load_b128 v[6:9], off, off offset:384
	;; [unrolled: 1-line block ×3, first 2 shown]
	scratch_load_b64 v[132:133], off, off offset:360
	ds_load_b128 v[14:17], v1 offset:784
	ds_load_b128 v[18:21], v1 offset:800
	;; [unrolled: 1-line block ×3, first 2 shown]
	s_mov_b32 s0, exec_lo
	s_wait_loadcnt_dscnt 0x302
	v_dual_mul_f32 v1, v14, v3 :: v_dual_mul_f32 v26, v16, v5
	v_mul_f32_e32 v3, v15, v3
	s_wait_loadcnt_dscnt 0x201
	v_dual_mul_f32 v5, v17, v5 :: v_dual_mul_f32 v134, v18, v7
	s_delay_alu instid0(VALU_DEP_3) | instskip(NEXT) | instid1(VALU_DEP_3)
	v_dual_mul_f32 v135, v20, v9 :: v_dual_fmac_f32 v26, v17, v4
	v_fma_f32 v3, v14, v2, -v3
	v_fmac_f32_e32 v1, v15, v2
	v_mul_f32_e32 v2, v19, v7
	v_fma_f32 v4, v16, v4, -v5
	s_delay_alu instid0(VALU_DEP_4)
	v_dual_fmac_f32 v134, v19, v6 :: v_dual_add_f32 v3, 0, v3
	s_wait_loadcnt_dscnt 0x100
	v_dual_mul_f32 v136, v22, v11 :: v_dual_mul_f32 v137, v24, v13
	v_fma_f32 v2, v18, v6, -v2
	v_fmac_f32_e32 v135, v21, v8
	v_add_f32_e32 v3, v3, v4
	s_delay_alu instid0(VALU_DEP_4) | instskip(SKIP_1) | instid1(VALU_DEP_3)
	v_dual_mul_f32 v5, v21, v9 :: v_dual_fmac_f32 v136, v23, v10
	v_dual_fmac_f32 v137, v25, v12 :: v_dual_mul_f32 v4, v23, v11
	v_add_f32_e32 v2, v3, v2
	s_delay_alu instid0(VALU_DEP_3) | instskip(SKIP_1) | instid1(VALU_DEP_4)
	v_fma_f32 v5, v20, v8, -v5
	v_mul_f32_e32 v3, v25, v13
	v_fma_f32 v4, v22, v10, -v4
	s_delay_alu instid0(VALU_DEP_3) | instskip(SKIP_1) | instid1(VALU_DEP_4)
	v_add_f32_e32 v2, v2, v5
	v_add_f32_e32 v1, 0, v1
	v_fma_f32 v3, v24, v12, -v3
	s_delay_alu instid0(VALU_DEP_2) | instskip(NEXT) | instid1(VALU_DEP_1)
	v_dual_add_f32 v2, v2, v4 :: v_dual_add_f32 v1, v1, v26
	v_dual_add_f32 v2, v2, v3 :: v_dual_add_f32 v1, v1, v134
	s_delay_alu instid0(VALU_DEP_1) | instskip(NEXT) | instid1(VALU_DEP_1)
	v_add_f32_e32 v1, v1, v135
	v_add_f32_e32 v1, v1, v136
	s_delay_alu instid0(VALU_DEP_1) | instskip(SKIP_1) | instid1(VALU_DEP_1)
	v_add_f32_e32 v3, v1, v137
	s_wait_loadcnt 0x0
	v_dual_sub_f32 v1, v132, v2 :: v_dual_sub_f32 v2, v133, v3
	scratch_store_b64 off, v[1:2], off offset:360
	v_cmpx_lt_u32_e32 44, v0
	s_cbranch_execz .LBB115_237
; %bb.236:
	scratch_load_b64 v[1:2], off, off offset:352
	v_mov_b32_e32 v3, 0
	s_delay_alu instid0(VALU_DEP_1)
	v_mov_b32_e32 v4, v3
	scratch_store_b64 off, v[3:4], off offset:352
	s_wait_loadcnt 0x0
	ds_store_b64 v27, v[1:2]
.LBB115_237:
	s_wait_alu 0xfffe
	s_or_b32 exec_lo, exec_lo, s0
	s_wait_storecnt_dscnt 0x0
	s_barrier_signal -1
	s_barrier_wait -1
	global_inv scope:SCOPE_SE
	s_clause 0x4
	scratch_load_b128 v[2:5], off, off offset:360
	scratch_load_b128 v[6:9], off, off offset:376
	;; [unrolled: 1-line block ×3, first 2 shown]
	scratch_load_b64 v[132:133], off, off offset:408
	scratch_load_b64 v[134:135], off, off offset:352
	v_mov_b32_e32 v1, 0
	ds_load_2addr_b64 v[14:17], v1 offset0:97 offset1:98
	ds_load_2addr_b64 v[18:21], v1 offset0:99 offset1:100
	;; [unrolled: 1-line block ×3, first 2 shown]
	ds_load_b64 v[136:137], v1 offset:824
	s_mov_b32 s0, exec_lo
	s_wait_loadcnt_dscnt 0x403
	v_mul_f32_e32 v26, v14, v3
	s_wait_loadcnt_dscnt 0x302
	v_dual_mul_f32 v140, v20, v9 :: v_dual_mul_f32 v3, v15, v3
	v_dual_mul_f32 v138, v16, v5 :: v_dual_mul_f32 v139, v18, v7
	s_wait_loadcnt_dscnt 0x100
	v_dual_mul_f32 v143, v136, v133 :: v_dual_fmac_f32 v26, v15, v2
	v_mul_f32_e32 v5, v17, v5
	v_fma_f32 v3, v14, v2, -v3
	v_mul_f32_e32 v2, v19, v7
	v_dual_fmac_f32 v138, v17, v4 :: v_dual_fmac_f32 v139, v19, v6
	s_delay_alu instid0(VALU_DEP_4) | instskip(NEXT) | instid1(VALU_DEP_4)
	v_fma_f32 v4, v16, v4, -v5
	v_add_f32_e32 v3, 0, v3
	v_dual_add_f32 v5, 0, v26 :: v_dual_fmac_f32 v140, v21, v8
	v_fma_f32 v2, v18, v6, -v2
	v_dual_mul_f32 v141, v22, v11 :: v_dual_mul_f32 v142, v24, v13
	s_delay_alu instid0(VALU_DEP_3) | instskip(SKIP_1) | instid1(VALU_DEP_3)
	v_dual_add_f32 v3, v3, v4 :: v_dual_add_f32 v4, v5, v138
	v_mul_f32_e32 v7, v21, v9
	v_dual_fmac_f32 v141, v23, v10 :: v_dual_fmac_f32 v142, v25, v12
	s_delay_alu instid0(VALU_DEP_3) | instskip(NEXT) | instid1(VALU_DEP_3)
	v_dual_add_f32 v2, v3, v2 :: v_dual_add_f32 v3, v4, v139
	v_fma_f32 v6, v20, v8, -v7
	v_dual_mul_f32 v5, v23, v11 :: v_dual_mul_f32 v4, v25, v13
	s_delay_alu instid0(VALU_DEP_2) | instskip(NEXT) | instid1(VALU_DEP_2)
	v_add_f32_e32 v2, v2, v6
	v_fma_f32 v5, v22, v10, -v5
	v_dual_mul_f32 v6, v137, v133 :: v_dual_add_f32 v3, v3, v140
	s_delay_alu instid0(VALU_DEP_4) | instskip(NEXT) | instid1(VALU_DEP_3)
	v_fma_f32 v4, v24, v12, -v4
	v_add_f32_e32 v2, v2, v5
	s_delay_alu instid0(VALU_DEP_3) | instskip(NEXT) | instid1(VALU_DEP_2)
	v_fma_f32 v5, v136, v132, -v6
	v_dual_add_f32 v3, v3, v141 :: v_dual_add_f32 v2, v2, v4
	v_fmac_f32_e32 v143, v137, v132
	s_delay_alu instid0(VALU_DEP_2) | instskip(SKIP_1) | instid1(VALU_DEP_1)
	v_dual_add_f32 v3, v3, v142 :: v_dual_add_f32 v2, v2, v5
	s_wait_loadcnt 0x0
	v_dual_add_f32 v3, v3, v143 :: v_dual_sub_f32 v2, v134, v2
	s_delay_alu instid0(VALU_DEP_1)
	v_sub_f32_e32 v3, v135, v3
	scratch_store_b64 off, v[2:3], off offset:352
	v_cmpx_lt_u32_e32 43, v0
	s_cbranch_execz .LBB115_239
; %bb.238:
	scratch_load_b64 v[3:4], off, off offset:344
	v_mov_b32_e32 v2, v1
	scratch_store_b64 off, v[1:2], off offset:344
	s_wait_loadcnt 0x0
	ds_store_b64 v27, v[3:4]
.LBB115_239:
	s_wait_alu 0xfffe
	s_or_b32 exec_lo, exec_lo, s0
	s_wait_storecnt_dscnt 0x0
	s_barrier_signal -1
	s_barrier_wait -1
	global_inv scope:SCOPE_SE
	s_clause 0x4
	scratch_load_b128 v[2:5], off, off offset:352
	scratch_load_b128 v[6:9], off, off offset:368
	;; [unrolled: 1-line block ×4, first 2 shown]
	scratch_load_b64 v[140:141], off, off offset:344
	ds_load_b128 v[18:21], v1 offset:768
	ds_load_b128 v[22:25], v1 offset:784
	ds_load_b128 v[132:135], v1 offset:800
	ds_load_b128 v[136:139], v1 offset:816
	s_mov_b32 s0, exec_lo
	s_wait_loadcnt_dscnt 0x403
	v_dual_mul_f32 v1, v18, v3 :: v_dual_mul_f32 v26, v20, v5
	v_mul_f32_e32 v3, v19, v3
	s_wait_loadcnt_dscnt 0x302
	v_dual_mul_f32 v5, v21, v5 :: v_dual_mul_f32 v142, v22, v7
	s_delay_alu instid0(VALU_DEP_3) | instskip(NEXT) | instid1(VALU_DEP_3)
	v_dual_mul_f32 v143, v24, v9 :: v_dual_fmac_f32 v26, v21, v4
	v_fma_f32 v3, v18, v2, -v3
	v_fmac_f32_e32 v1, v19, v2
	v_mul_f32_e32 v2, v23, v7
	v_fma_f32 v4, v20, v4, -v5
	s_wait_loadcnt_dscnt 0x201
	v_dual_mul_f32 v144, v132, v11 :: v_dual_mul_f32 v145, v134, v13
	v_dual_add_f32 v3, 0, v3 :: v_dual_fmac_f32 v142, v23, v6
	v_fma_f32 v2, v22, v6, -v2
	s_delay_alu instid0(VALU_DEP_3)
	v_fmac_f32_e32 v144, v133, v10
	s_wait_loadcnt_dscnt 0x100
	v_dual_mul_f32 v146, v136, v15 :: v_dual_mul_f32 v147, v138, v17
	v_dual_add_f32 v3, v3, v4 :: v_dual_mul_f32 v4, v133, v11
	v_add_f32_e32 v1, 0, v1
	v_fmac_f32_e32 v143, v25, v8
	s_delay_alu instid0(VALU_DEP_4) | instskip(NEXT) | instid1(VALU_DEP_4)
	v_fmac_f32_e32 v146, v137, v14
	v_add_f32_e32 v2, v3, v2
	v_fma_f32 v4, v132, v10, -v4
	v_mul_f32_e32 v5, v25, v9
	v_mul_f32_e32 v3, v135, v13
	v_fmac_f32_e32 v147, v139, v16
	s_delay_alu instid0(VALU_DEP_3) | instskip(SKIP_1) | instid1(VALU_DEP_4)
	v_fma_f32 v5, v24, v8, -v5
	v_add_f32_e32 v1, v1, v26
	v_fma_f32 v3, v134, v12, -v3
	s_delay_alu instid0(VALU_DEP_3) | instskip(NEXT) | instid1(VALU_DEP_1)
	v_dual_add_f32 v2, v2, v5 :: v_dual_mul_f32 v5, v137, v15
	v_dual_add_f32 v2, v2, v4 :: v_dual_add_f32 v1, v1, v142
	v_mul_f32_e32 v4, v139, v17
	s_delay_alu instid0(VALU_DEP_3) | instskip(NEXT) | instid1(VALU_DEP_3)
	v_fma_f32 v5, v136, v14, -v5
	v_add_f32_e32 v2, v2, v3
	s_delay_alu instid0(VALU_DEP_4) | instskip(NEXT) | instid1(VALU_DEP_4)
	v_add_f32_e32 v1, v1, v143
	v_fma_f32 v3, v138, v16, -v4
	s_delay_alu instid0(VALU_DEP_3) | instskip(NEXT) | instid1(VALU_DEP_1)
	v_dual_add_f32 v2, v2, v5 :: v_dual_fmac_f32 v145, v135, v12
	v_dual_add_f32 v1, v1, v144 :: v_dual_add_f32 v2, v2, v3
	s_delay_alu instid0(VALU_DEP_1) | instskip(NEXT) | instid1(VALU_DEP_1)
	v_add_f32_e32 v1, v1, v145
	v_add_f32_e32 v1, v1, v146
	s_delay_alu instid0(VALU_DEP_1) | instskip(SKIP_1) | instid1(VALU_DEP_1)
	v_add_f32_e32 v3, v1, v147
	s_wait_loadcnt 0x0
	v_dual_sub_f32 v1, v140, v2 :: v_dual_sub_f32 v2, v141, v3
	scratch_store_b64 off, v[1:2], off offset:344
	v_cmpx_lt_u32_e32 42, v0
	s_cbranch_execz .LBB115_241
; %bb.240:
	scratch_load_b64 v[1:2], off, off offset:336
	v_mov_b32_e32 v3, 0
	s_delay_alu instid0(VALU_DEP_1)
	v_mov_b32_e32 v4, v3
	scratch_store_b64 off, v[3:4], off offset:336
	s_wait_loadcnt 0x0
	ds_store_b64 v27, v[1:2]
.LBB115_241:
	s_wait_alu 0xfffe
	s_or_b32 exec_lo, exec_lo, s0
	s_wait_storecnt_dscnt 0x0
	s_barrier_signal -1
	s_barrier_wait -1
	global_inv scope:SCOPE_SE
	s_clause 0x5
	scratch_load_b128 v[2:5], off, off offset:344
	scratch_load_b128 v[6:9], off, off offset:360
	;; [unrolled: 1-line block ×4, first 2 shown]
	scratch_load_b64 v[140:141], off, off offset:408
	scratch_load_b64 v[142:143], off, off offset:336
	v_mov_b32_e32 v1, 0
	ds_load_2addr_b64 v[18:21], v1 offset0:95 offset1:96
	ds_load_2addr_b64 v[22:25], v1 offset0:97 offset1:98
	;; [unrolled: 1-line block ×4, first 2 shown]
	ds_load_b64 v[144:145], v1 offset:824
	s_mov_b32 s0, exec_lo
	s_wait_loadcnt_dscnt 0x504
	v_mul_f32_e32 v26, v18, v3
	s_wait_loadcnt_dscnt 0x403
	v_dual_mul_f32 v148, v24, v9 :: v_dual_mul_f32 v3, v19, v3
	v_dual_mul_f32 v146, v20, v5 :: v_dual_mul_f32 v147, v22, v7
	s_wait_loadcnt_dscnt 0x100
	v_dual_mul_f32 v153, v144, v141 :: v_dual_fmac_f32 v26, v19, v2
	v_mul_f32_e32 v5, v21, v5
	v_fma_f32 v3, v18, v2, -v3
	v_mul_f32_e32 v2, v23, v7
	v_fmac_f32_e32 v146, v21, v4
	v_fmac_f32_e32 v148, v25, v8
	v_fma_f32 v4, v20, v4, -v5
	v_add_f32_e32 v3, 0, v3
	v_add_f32_e32 v5, 0, v26
	v_fma_f32 v2, v22, v6, -v2
	v_fmac_f32_e32 v147, v23, v6
	v_dual_mul_f32 v149, v132, v11 :: v_dual_mul_f32 v150, v134, v13
	s_delay_alu instid0(VALU_DEP_4) | instskip(SKIP_1) | instid1(VALU_DEP_3)
	v_dual_add_f32 v3, v3, v4 :: v_dual_add_f32 v4, v5, v146
	v_mul_f32_e32 v7, v25, v9
	v_dual_mul_f32 v5, v133, v11 :: v_dual_fmac_f32 v150, v135, v12
	s_delay_alu instid0(VALU_DEP_3) | instskip(SKIP_1) | instid1(VALU_DEP_4)
	v_dual_add_f32 v2, v3, v2 :: v_dual_mul_f32 v151, v136, v15
	v_mul_f32_e32 v152, v138, v17
	v_fma_f32 v6, v24, v8, -v7
	s_delay_alu instid0(VALU_DEP_2) | instskip(NEXT) | instid1(VALU_DEP_2)
	v_dual_fmac_f32 v151, v137, v14 :: v_dual_fmac_f32 v152, v139, v16
	v_add_f32_e32 v2, v2, v6
	v_mul_f32_e32 v6, v137, v15
	v_dual_add_f32 v3, v4, v147 :: v_dual_mul_f32 v4, v135, v13
	v_fma_f32 v5, v132, v10, -v5
	s_delay_alu instid0(VALU_DEP_3) | instskip(NEXT) | instid1(VALU_DEP_3)
	v_fma_f32 v6, v136, v14, -v6
	v_add_f32_e32 v3, v3, v148
	s_delay_alu instid0(VALU_DEP_3) | instskip(SKIP_1) | instid1(VALU_DEP_1)
	v_dual_fmac_f32 v149, v133, v10 :: v_dual_add_f32 v2, v2, v5
	v_fma_f32 v4, v134, v12, -v4
	v_dual_add_f32 v3, v3, v149 :: v_dual_add_f32 v2, v2, v4
	v_mul_f32_e32 v5, v139, v17
	s_delay_alu instid0(VALU_DEP_2) | instskip(NEXT) | instid1(VALU_DEP_3)
	v_dual_mul_f32 v4, v145, v141 :: v_dual_add_f32 v3, v3, v150
	v_add_f32_e32 v2, v2, v6
	s_delay_alu instid0(VALU_DEP_3) | instskip(NEXT) | instid1(VALU_DEP_3)
	v_fma_f32 v5, v138, v16, -v5
	v_fma_f32 v4, v144, v140, -v4
	s_delay_alu instid0(VALU_DEP_2) | instskip(NEXT) | instid1(VALU_DEP_1)
	v_dual_add_f32 v3, v3, v151 :: v_dual_add_f32 v2, v2, v5
	v_add_f32_e32 v3, v3, v152
	s_delay_alu instid0(VALU_DEP_2) | instskip(SKIP_1) | instid1(VALU_DEP_1)
	v_add_f32_e32 v2, v2, v4
	s_wait_loadcnt 0x0
	v_dual_fmac_f32 v153, v145, v140 :: v_dual_sub_f32 v2, v142, v2
	s_delay_alu instid0(VALU_DEP_1) | instskip(NEXT) | instid1(VALU_DEP_1)
	v_add_f32_e32 v3, v3, v153
	v_sub_f32_e32 v3, v143, v3
	scratch_store_b64 off, v[2:3], off offset:336
	v_cmpx_lt_u32_e32 41, v0
	s_cbranch_execz .LBB115_243
; %bb.242:
	scratch_load_b64 v[3:4], off, off offset:328
	v_mov_b32_e32 v2, v1
	scratch_store_b64 off, v[1:2], off offset:328
	s_wait_loadcnt 0x0
	ds_store_b64 v27, v[3:4]
.LBB115_243:
	s_wait_alu 0xfffe
	s_or_b32 exec_lo, exec_lo, s0
	s_wait_storecnt_dscnt 0x0
	s_barrier_signal -1
	s_barrier_wait -1
	global_inv scope:SCOPE_SE
	s_clause 0x5
	scratch_load_b128 v[2:5], off, off offset:336
	scratch_load_b128 v[6:9], off, off offset:352
	;; [unrolled: 1-line block ×5, first 2 shown]
	scratch_load_b64 v[148:149], off, off offset:328
	ds_load_b128 v[22:25], v1 offset:752
	ds_load_b128 v[132:135], v1 offset:768
	;; [unrolled: 1-line block ×5, first 2 shown]
	s_mov_b32 s0, exec_lo
	s_wait_loadcnt_dscnt 0x504
	v_dual_mul_f32 v1, v22, v3 :: v_dual_mul_f32 v26, v24, v5
	v_mul_f32_e32 v3, v23, v3
	s_wait_loadcnt_dscnt 0x403
	v_dual_mul_f32 v150, v132, v7 :: v_dual_mul_f32 v151, v134, v9
	s_delay_alu instid0(VALU_DEP_3) | instskip(NEXT) | instid1(VALU_DEP_3)
	v_dual_fmac_f32 v1, v23, v2 :: v_dual_fmac_f32 v26, v25, v4
	v_fma_f32 v3, v22, v2, -v3
	v_mul_f32_e32 v2, v133, v7
	s_wait_loadcnt_dscnt 0x302
	v_dual_mul_f32 v152, v136, v11 :: v_dual_mul_f32 v153, v138, v13
	s_delay_alu instid0(VALU_DEP_3) | instskip(NEXT) | instid1(VALU_DEP_3)
	v_dual_fmac_f32 v150, v133, v6 :: v_dual_add_f32 v3, 0, v3
	v_fma_f32 v2, v132, v6, -v2
	v_mul_f32_e32 v5, v25, v5
	s_delay_alu instid0(VALU_DEP_4) | instskip(SKIP_2) | instid1(VALU_DEP_3)
	v_dual_fmac_f32 v152, v137, v10 :: v_dual_add_f32 v1, 0, v1
	s_wait_loadcnt_dscnt 0x100
	v_dual_mul_f32 v156, v144, v19 :: v_dual_mul_f32 v157, v146, v21
	v_fma_f32 v4, v24, v4, -v5
	v_dual_mul_f32 v5, v135, v9 :: v_dual_mul_f32 v154, v140, v15
	s_delay_alu instid0(VALU_DEP_3) | instskip(SKIP_1) | instid1(VALU_DEP_3)
	v_dual_mul_f32 v155, v142, v17 :: v_dual_fmac_f32 v156, v145, v18
	v_fmac_f32_e32 v151, v135, v8
	v_fma_f32 v5, v134, v8, -v5
	v_dual_add_f32 v3, v3, v4 :: v_dual_mul_f32 v4, v137, v11
	s_delay_alu instid0(VALU_DEP_4) | instskip(SKIP_1) | instid1(VALU_DEP_3)
	v_dual_fmac_f32 v154, v141, v14 :: v_dual_fmac_f32 v155, v143, v16
	v_fmac_f32_e32 v157, v147, v20
	v_add_f32_e32 v2, v3, v2
	s_delay_alu instid0(VALU_DEP_4) | instskip(SKIP_1) | instid1(VALU_DEP_3)
	v_fma_f32 v4, v136, v10, -v4
	v_mul_f32_e32 v3, v139, v13
	v_dual_add_f32 v2, v2, v5 :: v_dual_add_f32 v1, v1, v26
	s_delay_alu instid0(VALU_DEP_2) | instskip(NEXT) | instid1(VALU_DEP_2)
	v_fma_f32 v3, v138, v12, -v3
	v_dual_add_f32 v2, v2, v4 :: v_dual_add_f32 v1, v1, v150
	v_mul_f32_e32 v4, v143, v17
	s_delay_alu instid0(VALU_DEP_2) | instskip(SKIP_1) | instid1(VALU_DEP_3)
	v_dual_fmac_f32 v153, v139, v12 :: v_dual_add_f32 v2, v2, v3
	v_mul_f32_e32 v3, v145, v19
	v_fma_f32 v4, v142, v16, -v4
	v_mul_f32_e32 v5, v141, v15
	s_delay_alu instid0(VALU_DEP_3) | instskip(NEXT) | instid1(VALU_DEP_2)
	v_fma_f32 v3, v144, v18, -v3
	v_fma_f32 v5, v140, v14, -v5
	s_delay_alu instid0(VALU_DEP_1) | instskip(NEXT) | instid1(VALU_DEP_1)
	v_dual_add_f32 v1, v1, v151 :: v_dual_add_f32 v2, v2, v5
	v_dual_mul_f32 v5, v147, v21 :: v_dual_add_f32 v2, v2, v4
	s_delay_alu instid0(VALU_DEP_2) | instskip(NEXT) | instid1(VALU_DEP_2)
	v_add_f32_e32 v1, v1, v152
	v_fma_f32 v4, v146, v20, -v5
	s_delay_alu instid0(VALU_DEP_2) | instskip(NEXT) | instid1(VALU_DEP_1)
	v_dual_add_f32 v2, v2, v3 :: v_dual_add_f32 v1, v1, v153
	v_dual_add_f32 v2, v2, v4 :: v_dual_add_f32 v1, v1, v154
	s_delay_alu instid0(VALU_DEP_1) | instskip(NEXT) | instid1(VALU_DEP_1)
	v_add_f32_e32 v1, v1, v155
	v_add_f32_e32 v1, v1, v156
	s_delay_alu instid0(VALU_DEP_1) | instskip(SKIP_1) | instid1(VALU_DEP_1)
	v_add_f32_e32 v3, v1, v157
	s_wait_loadcnt 0x0
	v_dual_sub_f32 v1, v148, v2 :: v_dual_sub_f32 v2, v149, v3
	scratch_store_b64 off, v[1:2], off offset:328
	v_cmpx_lt_u32_e32 40, v0
	s_cbranch_execz .LBB115_245
; %bb.244:
	scratch_load_b64 v[1:2], off, off offset:320
	v_mov_b32_e32 v3, 0
	s_delay_alu instid0(VALU_DEP_1)
	v_mov_b32_e32 v4, v3
	scratch_store_b64 off, v[3:4], off offset:320
	s_wait_loadcnt 0x0
	ds_store_b64 v27, v[1:2]
.LBB115_245:
	s_wait_alu 0xfffe
	s_or_b32 exec_lo, exec_lo, s0
	s_wait_storecnt_dscnt 0x0
	s_barrier_signal -1
	s_barrier_wait -1
	global_inv scope:SCOPE_SE
	s_clause 0x6
	scratch_load_b128 v[2:5], off, off offset:328
	scratch_load_b128 v[6:9], off, off offset:344
	scratch_load_b128 v[10:13], off, off offset:360
	scratch_load_b128 v[14:17], off, off offset:376
	scratch_load_b128 v[18:21], off, off offset:392
	scratch_load_b64 v[148:149], off, off offset:408
	scratch_load_b64 v[150:151], off, off offset:320
	v_mov_b32_e32 v1, 0
	ds_load_2addr_b64 v[22:25], v1 offset0:93 offset1:94
	ds_load_2addr_b64 v[132:135], v1 offset0:95 offset1:96
	;; [unrolled: 1-line block ×5, first 2 shown]
	ds_load_b64 v[152:153], v1 offset:824
	s_mov_b32 s0, exec_lo
	s_wait_loadcnt_dscnt 0x605
	v_mul_f32_e32 v26, v22, v3
	v_dual_mul_f32 v154, v24, v5 :: v_dual_mul_f32 v3, v23, v3
	s_wait_loadcnt_dscnt 0x504
	v_dual_mul_f32 v155, v132, v7 :: v_dual_mul_f32 v156, v134, v9
	v_mul_f32_e32 v5, v25, v5
	s_wait_loadcnt_dscnt 0x100
	v_dual_mul_f32 v163, v152, v149 :: v_dual_fmac_f32 v26, v23, v2
	v_fma_f32 v3, v22, v2, -v3
	v_mul_f32_e32 v2, v133, v7
	v_fmac_f32_e32 v154, v25, v4
	v_fmac_f32_e32 v156, v135, v8
	v_fma_f32 v4, v24, v4, -v5
	v_add_f32_e32 v3, 0, v3
	v_add_f32_e32 v5, 0, v26
	v_mul_f32_e32 v7, v135, v9
	v_fma_f32 v2, v132, v6, -v2
	v_fmac_f32_e32 v155, v133, v6
	s_delay_alu instid0(VALU_DEP_4) | instskip(SKIP_3) | instid1(VALU_DEP_4)
	v_dual_add_f32 v3, v3, v4 :: v_dual_add_f32 v4, v5, v154
	v_mul_f32_e32 v5, v137, v11
	v_fma_f32 v6, v134, v8, -v7
	v_dual_mul_f32 v157, v136, v11 :: v_dual_mul_f32 v158, v138, v13
	v_dual_add_f32 v2, v3, v2 :: v_dual_add_f32 v3, v4, v155
	v_mul_f32_e32 v4, v139, v13
	v_fma_f32 v5, v136, v10, -v5
	s_delay_alu instid0(VALU_DEP_4) | instskip(NEXT) | instid1(VALU_DEP_4)
	v_fmac_f32_e32 v158, v139, v12
	v_add_f32_e32 v2, v2, v6
	v_fmac_f32_e32 v157, v137, v10
	v_dual_add_f32 v3, v3, v156 :: v_dual_mul_f32 v6, v141, v15
	v_fma_f32 v4, v138, v12, -v4
	s_delay_alu instid0(VALU_DEP_4) | instskip(SKIP_1) | instid1(VALU_DEP_4)
	v_dual_add_f32 v2, v2, v5 :: v_dual_mul_f32 v159, v140, v15
	v_mul_f32_e32 v160, v142, v17
	v_add_f32_e32 v3, v3, v157
	v_mul_f32_e32 v5, v143, v17
	v_fma_f32 v6, v140, v14, -v6
	v_dual_add_f32 v2, v2, v4 :: v_dual_fmac_f32 v159, v141, v14
	v_fmac_f32_e32 v160, v143, v16
	v_mul_f32_e32 v4, v145, v19
	v_fma_f32 v5, v142, v16, -v5
	s_delay_alu instid0(VALU_DEP_4) | instskip(SKIP_4) | instid1(VALU_DEP_4)
	v_add_f32_e32 v2, v2, v6
	v_add_f32_e32 v3, v3, v158
	v_dual_mul_f32 v161, v144, v19 :: v_dual_mul_f32 v162, v146, v21
	v_mul_f32_e32 v6, v147, v21
	v_fma_f32 v4, v144, v18, -v4
	v_dual_add_f32 v2, v2, v5 :: v_dual_add_f32 v3, v3, v159
	s_delay_alu instid0(VALU_DEP_4) | instskip(SKIP_2) | instid1(VALU_DEP_4)
	v_fmac_f32_e32 v161, v145, v18
	v_dual_mul_f32 v5, v153, v149 :: v_dual_fmac_f32 v162, v147, v20
	v_fma_f32 v6, v146, v20, -v6
	v_add_f32_e32 v2, v2, v4
	v_add_f32_e32 v3, v3, v160
	s_delay_alu instid0(VALU_DEP_4) | instskip(NEXT) | instid1(VALU_DEP_2)
	v_fma_f32 v4, v152, v148, -v5
	v_dual_add_f32 v2, v2, v6 :: v_dual_add_f32 v3, v3, v161
	s_delay_alu instid0(VALU_DEP_1) | instskip(SKIP_1) | instid1(VALU_DEP_1)
	v_dual_add_f32 v2, v2, v4 :: v_dual_add_f32 v3, v3, v162
	s_wait_loadcnt 0x0
	v_dual_fmac_f32 v163, v153, v148 :: v_dual_sub_f32 v2, v150, v2
	s_delay_alu instid0(VALU_DEP_1) | instskip(NEXT) | instid1(VALU_DEP_1)
	v_add_f32_e32 v3, v3, v163
	v_sub_f32_e32 v3, v151, v3
	scratch_store_b64 off, v[2:3], off offset:320
	v_cmpx_lt_u32_e32 39, v0
	s_cbranch_execz .LBB115_247
; %bb.246:
	scratch_load_b64 v[3:4], off, off offset:312
	v_mov_b32_e32 v2, v1
	scratch_store_b64 off, v[1:2], off offset:312
	s_wait_loadcnt 0x0
	ds_store_b64 v27, v[3:4]
.LBB115_247:
	s_wait_alu 0xfffe
	s_or_b32 exec_lo, exec_lo, s0
	s_wait_storecnt_dscnt 0x0
	s_barrier_signal -1
	s_barrier_wait -1
	global_inv scope:SCOPE_SE
	s_clause 0x6
	scratch_load_b128 v[2:5], off, off offset:320
	scratch_load_b128 v[6:9], off, off offset:336
	;; [unrolled: 1-line block ×6, first 2 shown]
	scratch_load_b64 v[156:157], off, off offset:312
	ds_load_b128 v[132:135], v1 offset:736
	ds_load_b128 v[136:139], v1 offset:752
	;; [unrolled: 1-line block ×6, first 2 shown]
	s_mov_b32 s0, exec_lo
	s_wait_loadcnt_dscnt 0x605
	v_dual_mul_f32 v1, v132, v3 :: v_dual_mul_f32 v26, v134, v5
	v_mul_f32_e32 v3, v133, v3
	s_wait_loadcnt_dscnt 0x504
	v_dual_mul_f32 v5, v135, v5 :: v_dual_mul_f32 v158, v136, v7
	s_delay_alu instid0(VALU_DEP_3) | instskip(NEXT) | instid1(VALU_DEP_3)
	v_dual_mul_f32 v159, v138, v9 :: v_dual_fmac_f32 v26, v135, v4
	v_fma_f32 v3, v132, v2, -v3
	v_fmac_f32_e32 v1, v133, v2
	v_mul_f32_e32 v2, v137, v7
	v_fma_f32 v4, v134, v4, -v5
	s_wait_loadcnt_dscnt 0x403
	v_dual_mul_f32 v160, v140, v11 :: v_dual_mul_f32 v161, v142, v13
	v_dual_add_f32 v3, 0, v3 :: v_dual_fmac_f32 v158, v137, v6
	s_wait_loadcnt_dscnt 0x302
	v_dual_mul_f32 v162, v144, v15 :: v_dual_mul_f32 v163, v146, v17
	s_delay_alu instid0(VALU_DEP_3) | instskip(SKIP_1) | instid1(VALU_DEP_3)
	v_dual_mul_f32 v5, v139, v9 :: v_dual_fmac_f32 v160, v141, v10
	v_fma_f32 v2, v136, v6, -v2
	v_dual_add_f32 v3, v3, v4 :: v_dual_fmac_f32 v162, v145, v14
	s_delay_alu instid0(VALU_DEP_3)
	v_fma_f32 v5, v138, v8, -v5
	v_mul_f32_e32 v4, v141, v11
	s_wait_loadcnt_dscnt 0x201
	v_dual_mul_f32 v164, v148, v19 :: v_dual_mul_f32 v165, v150, v21
	v_add_f32_e32 v2, v3, v2
	v_mul_f32_e32 v3, v143, v13
	v_fma_f32 v4, v140, v10, -v4
	s_delay_alu instid0(VALU_DEP_4)
	v_fmac_f32_e32 v164, v149, v18
	s_wait_loadcnt_dscnt 0x100
	v_dual_mul_f32 v166, v152, v23 :: v_dual_mul_f32 v167, v154, v25
	v_add_f32_e32 v2, v2, v5
	v_add_f32_e32 v1, 0, v1
	v_fma_f32 v3, v142, v12, -v3
	v_fmac_f32_e32 v163, v147, v16
	v_fmac_f32_e32 v165, v151, v20
	s_delay_alu instid0(VALU_DEP_4) | instskip(SKIP_2) | instid1(VALU_DEP_3)
	v_dual_add_f32 v2, v2, v4 :: v_dual_add_f32 v1, v1, v26
	v_mul_f32_e32 v4, v147, v17
	v_fmac_f32_e32 v159, v139, v8
	v_dual_fmac_f32 v167, v155, v24 :: v_dual_add_f32 v2, v2, v3
	s_delay_alu instid0(VALU_DEP_4) | instskip(NEXT) | instid1(VALU_DEP_4)
	v_add_f32_e32 v1, v1, v158
	v_fma_f32 v4, v146, v16, -v4
	v_mul_f32_e32 v5, v145, v15
	v_fmac_f32_e32 v166, v153, v22
	s_delay_alu instid0(VALU_DEP_4) | instskip(NEXT) | instid1(VALU_DEP_3)
	v_add_f32_e32 v1, v1, v159
	v_fma_f32 v5, v144, v14, -v5
	s_delay_alu instid0(VALU_DEP_1) | instskip(NEXT) | instid1(VALU_DEP_1)
	v_dual_fmac_f32 v161, v143, v12 :: v_dual_add_f32 v2, v2, v5
	v_dual_mul_f32 v5, v151, v21 :: v_dual_add_f32 v2, v2, v4
	s_delay_alu instid0(VALU_DEP_1) | instskip(SKIP_2) | instid1(VALU_DEP_2)
	v_fma_f32 v5, v150, v20, -v5
	v_mul_f32_e32 v3, v149, v19
	v_mul_f32_e32 v4, v153, v23
	v_fma_f32 v3, v148, v18, -v3
	v_add_f32_e32 v1, v1, v160
	s_delay_alu instid0(VALU_DEP_3) | instskip(NEXT) | instid1(VALU_DEP_3)
	v_fma_f32 v4, v152, v22, -v4
	v_dual_add_f32 v2, v2, v3 :: v_dual_mul_f32 v3, v155, v25
	s_delay_alu instid0(VALU_DEP_1) | instskip(NEXT) | instid1(VALU_DEP_4)
	v_add_f32_e32 v2, v2, v5
	v_add_f32_e32 v1, v1, v161
	s_delay_alu instid0(VALU_DEP_3) | instskip(NEXT) | instid1(VALU_DEP_2)
	v_fma_f32 v3, v154, v24, -v3
	v_dual_add_f32 v2, v2, v4 :: v_dual_add_f32 v1, v1, v162
	s_delay_alu instid0(VALU_DEP_1) | instskip(NEXT) | instid1(VALU_DEP_2)
	v_add_f32_e32 v2, v2, v3
	v_add_f32_e32 v1, v1, v163
	s_delay_alu instid0(VALU_DEP_1) | instskip(NEXT) | instid1(VALU_DEP_1)
	v_add_f32_e32 v1, v1, v164
	v_add_f32_e32 v1, v1, v165
	s_delay_alu instid0(VALU_DEP_1) | instskip(NEXT) | instid1(VALU_DEP_1)
	v_add_f32_e32 v1, v1, v166
	v_add_f32_e32 v3, v1, v167
	s_wait_loadcnt 0x0
	s_delay_alu instid0(VALU_DEP_1)
	v_dual_sub_f32 v1, v156, v2 :: v_dual_sub_f32 v2, v157, v3
	scratch_store_b64 off, v[1:2], off offset:312
	v_cmpx_lt_u32_e32 38, v0
	s_cbranch_execz .LBB115_249
; %bb.248:
	scratch_load_b64 v[1:2], off, off offset:304
	v_mov_b32_e32 v3, 0
	s_delay_alu instid0(VALU_DEP_1)
	v_mov_b32_e32 v4, v3
	scratch_store_b64 off, v[3:4], off offset:304
	s_wait_loadcnt 0x0
	ds_store_b64 v27, v[1:2]
.LBB115_249:
	s_wait_alu 0xfffe
	s_or_b32 exec_lo, exec_lo, s0
	s_wait_storecnt_dscnt 0x0
	s_barrier_signal -1
	s_barrier_wait -1
	global_inv scope:SCOPE_SE
	s_clause 0x7
	scratch_load_b128 v[2:5], off, off offset:312
	scratch_load_b128 v[6:9], off, off offset:328
	;; [unrolled: 1-line block ×6, first 2 shown]
	scratch_load_b64 v[156:157], off, off offset:408
	scratch_load_b64 v[158:159], off, off offset:304
	v_mov_b32_e32 v1, 0
	ds_load_2addr_b64 v[132:135], v1 offset0:91 offset1:92
	ds_load_2addr_b64 v[136:139], v1 offset0:93 offset1:94
	;; [unrolled: 1-line block ×6, first 2 shown]
	ds_load_b64 v[160:161], v1 offset:824
	s_mov_b32 s0, exec_lo
	s_wait_loadcnt_dscnt 0x706
	v_mul_f32_e32 v26, v132, v3
	v_dual_mul_f32 v3, v133, v3 :: v_dual_mul_f32 v162, v134, v5
	s_wait_loadcnt_dscnt 0x302
	v_dual_mul_f32 v163, v136, v7 :: v_dual_mul_f32 v170, v150, v21
	v_mul_f32_e32 v5, v135, v5
	s_delay_alu instid0(VALU_DEP_3)
	v_fma_f32 v3, v132, v2, -v3
	v_dual_mul_f32 v164, v138, v9 :: v_dual_mul_f32 v165, v140, v11
	s_wait_loadcnt_dscnt 0x100
	v_dual_mul_f32 v173, v160, v157 :: v_dual_fmac_f32 v26, v133, v2
	v_mul_f32_e32 v2, v137, v7
	v_dual_fmac_f32 v162, v135, v4 :: v_dual_add_f32 v3, 0, v3
	v_fma_f32 v4, v134, v4, -v5
	s_delay_alu instid0(VALU_DEP_4) | instskip(SKIP_2) | instid1(VALU_DEP_4)
	v_dual_add_f32 v5, 0, v26 :: v_dual_fmac_f32 v164, v139, v8
	v_mul_f32_e32 v7, v139, v9
	v_fma_f32 v2, v136, v6, -v2
	v_add_f32_e32 v3, v3, v4
	v_fmac_f32_e32 v163, v137, v6
	v_add_f32_e32 v4, v5, v162
	v_mul_f32_e32 v5, v141, v11
	v_fma_f32 v6, v138, v8, -v7
	v_add_f32_e32 v2, v3, v2
	v_dual_mul_f32 v166, v142, v13 :: v_dual_mul_f32 v167, v144, v15
	v_dual_add_f32 v3, v4, v163 :: v_dual_mul_f32 v4, v143, v13
	v_fma_f32 v5, v140, v10, -v5
	s_delay_alu instid0(VALU_DEP_4)
	v_add_f32_e32 v2, v2, v6
	v_fmac_f32_e32 v165, v141, v10
	v_mul_f32_e32 v6, v145, v15
	v_fmac_f32_e32 v166, v143, v12
	v_add_f32_e32 v3, v3, v164
	v_fma_f32 v4, v142, v12, -v4
	v_add_f32_e32 v2, v2, v5
	v_dual_mul_f32 v168, v146, v17 :: v_dual_mul_f32 v169, v148, v19
	s_delay_alu instid0(VALU_DEP_4)
	v_add_f32_e32 v3, v3, v165
	v_mul_f32_e32 v5, v147, v17
	v_fma_f32 v6, v144, v14, -v6
	v_dual_add_f32 v2, v2, v4 :: v_dual_fmac_f32 v167, v145, v14
	v_fmac_f32_e32 v168, v147, v16
	v_mul_f32_e32 v4, v149, v19
	v_fma_f32 v5, v146, v16, -v5
	s_delay_alu instid0(VALU_DEP_4) | instskip(SKIP_3) | instid1(VALU_DEP_3)
	v_add_f32_e32 v2, v2, v6
	v_add_f32_e32 v3, v3, v166
	v_dual_mul_f32 v6, v151, v21 :: v_dual_fmac_f32 v169, v149, v18
	v_fma_f32 v4, v148, v18, -v4
	v_dual_add_f32 v2, v2, v5 :: v_dual_add_f32 v3, v3, v167
	s_delay_alu instid0(VALU_DEP_3) | instskip(SKIP_1) | instid1(VALU_DEP_3)
	v_fma_f32 v6, v150, v20, -v6
	v_dual_mul_f32 v171, v152, v23 :: v_dual_mul_f32 v172, v154, v25
	v_add_f32_e32 v2, v2, v4
	s_delay_alu instid0(VALU_DEP_4) | instskip(SKIP_1) | instid1(VALU_DEP_4)
	v_add_f32_e32 v3, v3, v168
	v_dual_mul_f32 v5, v153, v23 :: v_dual_fmac_f32 v170, v151, v20
	v_dual_mul_f32 v4, v155, v25 :: v_dual_fmac_f32 v171, v153, v22
	s_delay_alu instid0(VALU_DEP_3) | instskip(NEXT) | instid1(VALU_DEP_3)
	v_dual_add_f32 v2, v2, v6 :: v_dual_add_f32 v3, v3, v169
	v_fma_f32 v5, v152, v22, -v5
	v_mul_f32_e32 v6, v161, v157
	v_fmac_f32_e32 v172, v155, v24
	v_fma_f32 v4, v154, v24, -v4
	s_delay_alu instid0(VALU_DEP_4) | instskip(NEXT) | instid1(VALU_DEP_4)
	v_dual_add_f32 v3, v3, v170 :: v_dual_add_f32 v2, v2, v5
	v_fma_f32 v5, v160, v156, -v6
	s_delay_alu instid0(VALU_DEP_2) | instskip(NEXT) | instid1(VALU_DEP_1)
	v_add_f32_e32 v3, v3, v171
	v_add_f32_e32 v3, v3, v172
	s_delay_alu instid0(VALU_DEP_4) | instskip(NEXT) | instid1(VALU_DEP_1)
	v_add_f32_e32 v2, v2, v4
	v_dual_fmac_f32 v173, v161, v156 :: v_dual_add_f32 v2, v2, v5
	s_wait_loadcnt 0x0
	s_delay_alu instid0(VALU_DEP_1) | instskip(NEXT) | instid1(VALU_DEP_1)
	v_dual_sub_f32 v2, v158, v2 :: v_dual_add_f32 v3, v3, v173
	v_sub_f32_e32 v3, v159, v3
	scratch_store_b64 off, v[2:3], off offset:304
	v_cmpx_lt_u32_e32 37, v0
	s_cbranch_execz .LBB115_251
; %bb.250:
	scratch_load_b64 v[3:4], off, off offset:296
	v_mov_b32_e32 v2, v1
	scratch_store_b64 off, v[1:2], off offset:296
	s_wait_loadcnt 0x0
	ds_store_b64 v27, v[3:4]
.LBB115_251:
	s_wait_alu 0xfffe
	s_or_b32 exec_lo, exec_lo, s0
	s_wait_storecnt_dscnt 0x0
	s_barrier_signal -1
	s_barrier_wait -1
	global_inv scope:SCOPE_SE
	s_clause 0x7
	scratch_load_b128 v[2:5], off, off offset:304
	scratch_load_b128 v[6:9], off, off offset:320
	;; [unrolled: 1-line block ×7, first 2 shown]
	scratch_load_b64 v[164:165], off, off offset:296
	ds_load_b128 v[136:139], v1 offset:720
	ds_load_b128 v[140:143], v1 offset:736
	;; [unrolled: 1-line block ×7, first 2 shown]
	s_mov_b32 s0, exec_lo
	s_wait_loadcnt_dscnt 0x706
	v_dual_mul_f32 v1, v136, v3 :: v_dual_mul_f32 v26, v138, v5
	v_mul_f32_e32 v3, v137, v3
	s_wait_loadcnt_dscnt 0x605
	v_dual_mul_f32 v5, v139, v5 :: v_dual_mul_f32 v166, v140, v7
	v_mul_f32_e32 v167, v142, v9
	s_wait_loadcnt_dscnt 0x100
	v_mul_f32_e32 v176, v160, v133
	v_fma_f32 v3, v136, v2, -v3
	v_dual_mul_f32 v177, v162, v135 :: v_dual_fmac_f32 v26, v139, v4
	v_fmac_f32_e32 v1, v137, v2
	v_mul_f32_e32 v2, v141, v7
	v_fma_f32 v4, v138, v4, -v5
	v_dual_add_f32 v3, 0, v3 :: v_dual_fmac_f32 v166, v141, v6
	v_dual_mul_f32 v168, v144, v11 :: v_dual_mul_f32 v169, v146, v13
	v_dual_mul_f32 v170, v148, v15 :: v_dual_mul_f32 v171, v150, v17
	s_delay_alu instid0(VALU_DEP_2) | instskip(SKIP_1) | instid1(VALU_DEP_3)
	v_dual_mul_f32 v5, v143, v9 :: v_dual_fmac_f32 v168, v145, v10
	v_fma_f32 v2, v140, v6, -v2
	v_dual_add_f32 v3, v3, v4 :: v_dual_fmac_f32 v170, v149, v14
	s_delay_alu instid0(VALU_DEP_3) | instskip(SKIP_2) | instid1(VALU_DEP_4)
	v_fma_f32 v5, v142, v8, -v5
	v_mul_f32_e32 v4, v145, v11
	v_dual_mul_f32 v172, v152, v19 :: v_dual_mul_f32 v173, v154, v21
	v_add_f32_e32 v2, v3, v2
	v_mul_f32_e32 v3, v147, v13
	s_delay_alu instid0(VALU_DEP_4) | instskip(NEXT) | instid1(VALU_DEP_4)
	v_fma_f32 v4, v144, v10, -v4
	v_fmac_f32_e32 v172, v153, v18
	v_dual_mul_f32 v174, v156, v23 :: v_dual_mul_f32 v175, v158, v25
	v_add_f32_e32 v2, v2, v5
	v_add_f32_e32 v1, 0, v1
	v_fma_f32 v3, v146, v12, -v3
	v_fmac_f32_e32 v171, v151, v16
	v_fmac_f32_e32 v175, v159, v24
	s_delay_alu instid0(VALU_DEP_4) | instskip(SKIP_2) | instid1(VALU_DEP_3)
	v_dual_add_f32 v2, v2, v4 :: v_dual_add_f32 v1, v1, v26
	v_mul_f32_e32 v4, v151, v17
	v_fmac_f32_e32 v167, v143, v8
	v_dual_fmac_f32 v177, v163, v134 :: v_dual_add_f32 v2, v2, v3
	s_delay_alu instid0(VALU_DEP_4) | instskip(NEXT) | instid1(VALU_DEP_4)
	v_add_f32_e32 v1, v1, v166
	v_fma_f32 v4, v150, v16, -v4
	v_mul_f32_e32 v5, v149, v15
	v_fmac_f32_e32 v174, v157, v22
	v_fmac_f32_e32 v176, v161, v132
	v_add_f32_e32 v1, v1, v167
	s_delay_alu instid0(VALU_DEP_4) | instskip(NEXT) | instid1(VALU_DEP_1)
	v_fma_f32 v5, v148, v14, -v5
	v_dual_fmac_f32 v169, v147, v12 :: v_dual_add_f32 v2, v2, v5
	s_delay_alu instid0(VALU_DEP_1) | instskip(NEXT) | instid1(VALU_DEP_1)
	v_dual_mul_f32 v5, v155, v21 :: v_dual_add_f32 v2, v2, v4
	v_fma_f32 v5, v154, v20, -v5
	v_mul_f32_e32 v3, v153, v19
	v_mul_f32_e32 v4, v157, v23
	s_delay_alu instid0(VALU_DEP_2) | instskip(SKIP_1) | instid1(VALU_DEP_3)
	v_fma_f32 v3, v152, v18, -v3
	v_add_f32_e32 v1, v1, v168
	v_fma_f32 v4, v156, v22, -v4
	s_delay_alu instid0(VALU_DEP_3) | instskip(NEXT) | instid1(VALU_DEP_1)
	v_dual_add_f32 v2, v2, v3 :: v_dual_mul_f32 v3, v159, v25
	v_add_f32_e32 v2, v2, v5
	s_delay_alu instid0(VALU_DEP_4) | instskip(SKIP_1) | instid1(VALU_DEP_4)
	v_add_f32_e32 v1, v1, v169
	v_mul_f32_e32 v5, v161, v133
	v_fma_f32 v3, v158, v24, -v3
	s_delay_alu instid0(VALU_DEP_3) | instskip(SKIP_3) | instid1(VALU_DEP_4)
	v_dual_add_f32 v2, v2, v4 :: v_dual_add_f32 v1, v1, v170
	v_mul_f32_e32 v4, v163, v135
	v_fmac_f32_e32 v173, v155, v20
	v_fma_f32 v5, v160, v132, -v5
	v_add_f32_e32 v2, v2, v3
	v_add_f32_e32 v1, v1, v171
	v_fma_f32 v3, v162, v134, -v4
	s_delay_alu instid0(VALU_DEP_2) | instskip(NEXT) | instid1(VALU_DEP_1)
	v_dual_add_f32 v2, v2, v5 :: v_dual_add_f32 v1, v1, v172
	v_dual_add_f32 v2, v2, v3 :: v_dual_add_f32 v1, v1, v173
	s_delay_alu instid0(VALU_DEP_1) | instskip(NEXT) | instid1(VALU_DEP_1)
	v_add_f32_e32 v1, v1, v174
	v_add_f32_e32 v1, v1, v175
	s_delay_alu instid0(VALU_DEP_1) | instskip(NEXT) | instid1(VALU_DEP_1)
	v_add_f32_e32 v1, v1, v176
	v_add_f32_e32 v3, v1, v177
	s_wait_loadcnt 0x0
	s_delay_alu instid0(VALU_DEP_1)
	v_dual_sub_f32 v1, v164, v2 :: v_dual_sub_f32 v2, v165, v3
	scratch_store_b64 off, v[1:2], off offset:296
	v_cmpx_lt_u32_e32 36, v0
	s_cbranch_execz .LBB115_253
; %bb.252:
	scratch_load_b64 v[1:2], off, off offset:288
	v_mov_b32_e32 v3, 0
	s_delay_alu instid0(VALU_DEP_1)
	v_mov_b32_e32 v4, v3
	scratch_store_b64 off, v[3:4], off offset:288
	s_wait_loadcnt 0x0
	ds_store_b64 v27, v[1:2]
.LBB115_253:
	s_wait_alu 0xfffe
	s_or_b32 exec_lo, exec_lo, s0
	s_wait_storecnt_dscnt 0x0
	s_barrier_signal -1
	s_barrier_wait -1
	global_inv scope:SCOPE_SE
	s_clause 0x8
	scratch_load_b128 v[2:5], off, off offset:296
	scratch_load_b128 v[6:9], off, off offset:312
	;; [unrolled: 1-line block ×7, first 2 shown]
	scratch_load_b64 v[164:165], off, off offset:408
	scratch_load_b64 v[166:167], off, off offset:288
	v_mov_b32_e32 v1, 0
	ds_load_2addr_b64 v[136:139], v1 offset0:89 offset1:90
	ds_load_2addr_b64 v[140:143], v1 offset0:91 offset1:92
	;; [unrolled: 1-line block ×7, first 2 shown]
	ds_load_b64 v[168:169], v1 offset:824
	s_mov_b32 s0, exec_lo
	s_wait_loadcnt_dscnt 0x807
	v_mul_f32_e32 v26, v136, v3
	v_dual_mul_f32 v3, v137, v3 :: v_dual_mul_f32 v170, v138, v5
	s_wait_loadcnt_dscnt 0x706
	v_mul_f32_e32 v171, v140, v7
	v_mul_f32_e32 v5, v139, v5
	s_wait_loadcnt_dscnt 0x302
	v_mul_f32_e32 v180, v158, v25
	v_fma_f32 v3, v136, v2, -v3
	v_dual_mul_f32 v172, v142, v9 :: v_dual_mul_f32 v173, v144, v11
	s_wait_loadcnt_dscnt 0x100
	v_dual_mul_f32 v183, v168, v165 :: v_dual_fmac_f32 v26, v137, v2
	v_mul_f32_e32 v2, v141, v7
	v_dual_fmac_f32 v170, v139, v4 :: v_dual_add_f32 v3, 0, v3
	v_fma_f32 v4, v138, v4, -v5
	s_delay_alu instid0(VALU_DEP_4) | instskip(SKIP_2) | instid1(VALU_DEP_4)
	v_dual_add_f32 v5, 0, v26 :: v_dual_fmac_f32 v172, v143, v8
	v_mul_f32_e32 v7, v143, v9
	v_fma_f32 v2, v140, v6, -v2
	v_add_f32_e32 v3, v3, v4
	v_fmac_f32_e32 v171, v141, v6
	v_add_f32_e32 v4, v5, v170
	v_mul_f32_e32 v5, v145, v11
	v_fma_f32 v6, v142, v8, -v7
	v_add_f32_e32 v2, v3, v2
	v_dual_mul_f32 v174, v146, v13 :: v_dual_mul_f32 v175, v148, v15
	v_dual_add_f32 v3, v4, v171 :: v_dual_mul_f32 v4, v147, v13
	v_fma_f32 v5, v144, v10, -v5
	s_delay_alu instid0(VALU_DEP_4)
	v_add_f32_e32 v2, v2, v6
	v_fmac_f32_e32 v173, v145, v10
	v_mul_f32_e32 v6, v149, v15
	v_fmac_f32_e32 v174, v147, v12
	v_add_f32_e32 v3, v3, v172
	v_fma_f32 v4, v146, v12, -v4
	v_add_f32_e32 v2, v2, v5
	v_dual_mul_f32 v176, v150, v17 :: v_dual_mul_f32 v177, v152, v19
	s_delay_alu instid0(VALU_DEP_4)
	v_add_f32_e32 v3, v3, v173
	v_mul_f32_e32 v5, v151, v17
	v_fma_f32 v6, v148, v14, -v6
	v_dual_add_f32 v2, v2, v4 :: v_dual_fmac_f32 v175, v149, v14
	v_fmac_f32_e32 v176, v151, v16
	v_mul_f32_e32 v4, v153, v19
	v_fma_f32 v5, v150, v16, -v5
	s_delay_alu instid0(VALU_DEP_4) | instskip(SKIP_3) | instid1(VALU_DEP_3)
	v_add_f32_e32 v2, v2, v6
	v_add_f32_e32 v3, v3, v174
	v_dual_mul_f32 v6, v155, v21 :: v_dual_fmac_f32 v177, v153, v18
	v_fma_f32 v4, v152, v18, -v4
	v_dual_add_f32 v2, v2, v5 :: v_dual_add_f32 v3, v3, v175
	v_dual_mul_f32 v178, v154, v21 :: v_dual_mul_f32 v179, v156, v23
	s_delay_alu instid0(VALU_DEP_4) | instskip(NEXT) | instid1(VALU_DEP_3)
	v_fma_f32 v6, v154, v20, -v6
	v_add_f32_e32 v2, v2, v4
	s_delay_alu instid0(VALU_DEP_4) | instskip(NEXT) | instid1(VALU_DEP_4)
	v_add_f32_e32 v3, v3, v176
	v_dual_mul_f32 v5, v157, v23 :: v_dual_fmac_f32 v178, v155, v20
	v_dual_mul_f32 v4, v159, v25 :: v_dual_fmac_f32 v179, v157, v22
	s_delay_alu instid0(VALU_DEP_3) | instskip(NEXT) | instid1(VALU_DEP_3)
	v_dual_add_f32 v2, v2, v6 :: v_dual_add_f32 v3, v3, v177
	v_fma_f32 v5, v156, v22, -v5
	v_dual_mul_f32 v181, v160, v133 :: v_dual_mul_f32 v182, v162, v135
	s_delay_alu instid0(VALU_DEP_3) | instskip(SKIP_2) | instid1(VALU_DEP_4)
	v_dual_mul_f32 v6, v161, v133 :: v_dual_add_f32 v3, v3, v178
	v_fmac_f32_e32 v180, v159, v24
	v_fma_f32 v4, v158, v24, -v4
	v_dual_add_f32 v2, v2, v5 :: v_dual_fmac_f32 v181, v161, v132
	v_fmac_f32_e32 v182, v163, v134
	v_add_f32_e32 v3, v3, v179
	s_delay_alu instid0(VALU_DEP_3) | instskip(SKIP_1) | instid1(VALU_DEP_3)
	v_dual_mul_f32 v5, v163, v135 :: v_dual_add_f32 v2, v2, v4
	v_fma_f32 v6, v160, v132, -v6
	v_dual_mul_f32 v4, v169, v165 :: v_dual_add_f32 v3, v3, v180
	s_delay_alu instid0(VALU_DEP_3) | instskip(NEXT) | instid1(VALU_DEP_3)
	v_fma_f32 v5, v162, v134, -v5
	v_add_f32_e32 v2, v2, v6
	s_delay_alu instid0(VALU_DEP_3) | instskip(NEXT) | instid1(VALU_DEP_4)
	v_fma_f32 v4, v168, v164, -v4
	v_add_f32_e32 v3, v3, v181
	s_delay_alu instid0(VALU_DEP_3) | instskip(NEXT) | instid1(VALU_DEP_1)
	v_dual_fmac_f32 v183, v169, v164 :: v_dual_add_f32 v2, v2, v5
	v_dual_add_f32 v3, v3, v182 :: v_dual_add_f32 v2, v2, v4
	s_wait_loadcnt 0x0
	s_delay_alu instid0(VALU_DEP_1) | instskip(NEXT) | instid1(VALU_DEP_1)
	v_dual_add_f32 v3, v3, v183 :: v_dual_sub_f32 v2, v166, v2
	v_sub_f32_e32 v3, v167, v3
	scratch_store_b64 off, v[2:3], off offset:288
	v_cmpx_lt_u32_e32 35, v0
	s_cbranch_execz .LBB115_255
; %bb.254:
	scratch_load_b64 v[3:4], off, off offset:280
	v_mov_b32_e32 v2, v1
	scratch_store_b64 off, v[1:2], off offset:280
	s_wait_loadcnt 0x0
	ds_store_b64 v27, v[3:4]
.LBB115_255:
	s_wait_alu 0xfffe
	s_or_b32 exec_lo, exec_lo, s0
	s_wait_storecnt_dscnt 0x0
	s_barrier_signal -1
	s_barrier_wait -1
	global_inv scope:SCOPE_SE
	s_clause 0x8
	scratch_load_b128 v[2:5], off, off offset:288
	scratch_load_b128 v[6:9], off, off offset:304
	;; [unrolled: 1-line block ×8, first 2 shown]
	scratch_load_b64 v[172:173], off, off offset:280
	ds_load_b128 v[140:143], v1 offset:704
	ds_load_b128 v[144:147], v1 offset:720
	;; [unrolled: 1-line block ×8, first 2 shown]
	s_mov_b32 s0, exec_lo
	s_wait_loadcnt_dscnt 0x807
	v_dual_mul_f32 v1, v140, v3 :: v_dual_mul_f32 v26, v142, v5
	v_mul_f32_e32 v3, v141, v3
	s_wait_loadcnt_dscnt 0x706
	v_dual_mul_f32 v5, v143, v5 :: v_dual_mul_f32 v174, v144, v7
	v_mul_f32_e32 v175, v146, v9
	s_wait_loadcnt_dscnt 0x201
	v_mul_f32_e32 v184, v164, v133
	v_fma_f32 v3, v140, v2, -v3
	s_wait_loadcnt_dscnt 0x100
	v_dual_mul_f32 v187, v170, v139 :: v_dual_fmac_f32 v26, v143, v4
	v_fmac_f32_e32 v1, v141, v2
	v_mul_f32_e32 v2, v145, v7
	v_fma_f32 v4, v142, v4, -v5
	v_dual_add_f32 v3, 0, v3 :: v_dual_fmac_f32 v174, v145, v6
	v_dual_mul_f32 v176, v148, v11 :: v_dual_mul_f32 v177, v150, v13
	v_dual_mul_f32 v178, v152, v15 :: v_dual_mul_f32 v179, v154, v17
	s_delay_alu instid0(VALU_DEP_2) | instskip(SKIP_1) | instid1(VALU_DEP_3)
	v_dual_mul_f32 v5, v147, v9 :: v_dual_fmac_f32 v176, v149, v10
	v_fma_f32 v2, v144, v6, -v2
	v_dual_add_f32 v3, v3, v4 :: v_dual_fmac_f32 v178, v153, v14
	s_delay_alu instid0(VALU_DEP_3) | instskip(SKIP_1) | instid1(VALU_DEP_3)
	v_fma_f32 v5, v146, v8, -v5
	v_dual_mul_f32 v180, v156, v19 :: v_dual_mul_f32 v181, v158, v21
	v_add_f32_e32 v2, v3, v2
	v_dual_mul_f32 v4, v149, v11 :: v_dual_mul_f32 v3, v151, v13
	s_delay_alu instid0(VALU_DEP_3) | instskip(SKIP_1) | instid1(VALU_DEP_4)
	v_fmac_f32_e32 v180, v157, v18
	v_dual_mul_f32 v182, v160, v23 :: v_dual_mul_f32 v183, v162, v25
	v_add_f32_e32 v2, v2, v5
	v_add_f32_e32 v1, 0, v1
	v_fma_f32 v4, v148, v10, -v4
	v_fma_f32 v3, v150, v12, -v3
	v_fmac_f32_e32 v179, v155, v16
	v_fmac_f32_e32 v183, v163, v24
	s_delay_alu instid0(VALU_DEP_4) | instskip(SKIP_3) | instid1(VALU_DEP_4)
	v_dual_add_f32 v1, v1, v26 :: v_dual_add_f32 v2, v2, v4
	v_mul_f32_e32 v4, v155, v17
	v_fmac_f32_e32 v175, v147, v8
	v_dual_mul_f32 v185, v166, v135 :: v_dual_mul_f32 v186, v168, v137
	v_add_f32_e32 v1, v1, v174
	s_delay_alu instid0(VALU_DEP_4) | instskip(SKIP_1) | instid1(VALU_DEP_4)
	v_fma_f32 v4, v154, v16, -v4
	v_mul_f32_e32 v5, v153, v15
	v_dual_add_f32 v2, v2, v3 :: v_dual_fmac_f32 v185, v167, v134
	v_fmac_f32_e32 v186, v169, v136
	v_add_f32_e32 v1, v1, v175
	s_delay_alu instid0(VALU_DEP_4) | instskip(SKIP_2) | instid1(VALU_DEP_3)
	v_fma_f32 v5, v152, v14, -v5
	v_dual_fmac_f32 v177, v151, v12 :: v_dual_fmac_f32 v182, v161, v22
	v_dual_fmac_f32 v187, v171, v138 :: v_dual_fmac_f32 v184, v165, v132
	v_add_f32_e32 v2, v2, v5
	s_delay_alu instid0(VALU_DEP_1) | instskip(NEXT) | instid1(VALU_DEP_1)
	v_dual_mul_f32 v5, v159, v21 :: v_dual_add_f32 v2, v2, v4
	v_fma_f32 v5, v158, v20, -v5
	v_mul_f32_e32 v3, v157, v19
	v_mul_f32_e32 v4, v161, v23
	s_delay_alu instid0(VALU_DEP_2) | instskip(SKIP_1) | instid1(VALU_DEP_3)
	v_fma_f32 v3, v156, v18, -v3
	v_add_f32_e32 v1, v1, v176
	v_fma_f32 v4, v160, v22, -v4
	s_delay_alu instid0(VALU_DEP_3) | instskip(NEXT) | instid1(VALU_DEP_1)
	v_dual_add_f32 v2, v2, v3 :: v_dual_mul_f32 v3, v163, v25
	v_add_f32_e32 v2, v2, v5
	s_delay_alu instid0(VALU_DEP_4) | instskip(NEXT) | instid1(VALU_DEP_3)
	v_add_f32_e32 v1, v1, v177
	v_fma_f32 v3, v162, v24, -v3
	s_delay_alu instid0(VALU_DEP_2) | instskip(SKIP_1) | instid1(VALU_DEP_2)
	v_dual_add_f32 v2, v2, v4 :: v_dual_add_f32 v1, v1, v178
	v_mul_f32_e32 v4, v167, v135
	v_dual_fmac_f32 v181, v159, v20 :: v_dual_add_f32 v2, v2, v3
	v_mul_f32_e32 v3, v169, v137
	s_delay_alu instid0(VALU_DEP_3) | instskip(SKIP_1) | instid1(VALU_DEP_3)
	v_fma_f32 v4, v166, v134, -v4
	v_mul_f32_e32 v5, v165, v133
	v_fma_f32 v3, v168, v136, -v3
	s_delay_alu instid0(VALU_DEP_2) | instskip(NEXT) | instid1(VALU_DEP_1)
	v_fma_f32 v5, v164, v132, -v5
	v_dual_add_f32 v1, v1, v179 :: v_dual_add_f32 v2, v2, v5
	s_delay_alu instid0(VALU_DEP_1) | instskip(NEXT) | instid1(VALU_DEP_2)
	v_dual_mul_f32 v5, v171, v139 :: v_dual_add_f32 v2, v2, v4
	v_add_f32_e32 v1, v1, v180
	s_delay_alu instid0(VALU_DEP_2) | instskip(NEXT) | instid1(VALU_DEP_2)
	v_fma_f32 v4, v170, v138, -v5
	v_dual_add_f32 v2, v2, v3 :: v_dual_add_f32 v1, v1, v181
	s_delay_alu instid0(VALU_DEP_1) | instskip(NEXT) | instid1(VALU_DEP_1)
	v_dual_add_f32 v2, v2, v4 :: v_dual_add_f32 v1, v1, v182
	v_add_f32_e32 v1, v1, v183
	s_delay_alu instid0(VALU_DEP_1) | instskip(NEXT) | instid1(VALU_DEP_1)
	v_add_f32_e32 v1, v1, v184
	v_add_f32_e32 v1, v1, v185
	s_delay_alu instid0(VALU_DEP_1) | instskip(NEXT) | instid1(VALU_DEP_1)
	v_add_f32_e32 v1, v1, v186
	v_add_f32_e32 v3, v1, v187
	s_wait_loadcnt 0x0
	s_delay_alu instid0(VALU_DEP_1)
	v_dual_sub_f32 v1, v172, v2 :: v_dual_sub_f32 v2, v173, v3
	scratch_store_b64 off, v[1:2], off offset:280
	v_cmpx_lt_u32_e32 34, v0
	s_cbranch_execz .LBB115_257
; %bb.256:
	scratch_load_b64 v[1:2], off, off offset:272
	v_mov_b32_e32 v3, 0
	s_delay_alu instid0(VALU_DEP_1)
	v_mov_b32_e32 v4, v3
	scratch_store_b64 off, v[3:4], off offset:272
	s_wait_loadcnt 0x0
	ds_store_b64 v27, v[1:2]
.LBB115_257:
	s_wait_alu 0xfffe
	s_or_b32 exec_lo, exec_lo, s0
	s_wait_storecnt_dscnt 0x0
	s_barrier_signal -1
	s_barrier_wait -1
	global_inv scope:SCOPE_SE
	s_clause 0x9
	scratch_load_b128 v[2:5], off, off offset:280
	scratch_load_b128 v[6:9], off, off offset:296
	;; [unrolled: 1-line block ×8, first 2 shown]
	scratch_load_b64 v[172:173], off, off offset:408
	scratch_load_b64 v[174:175], off, off offset:272
	v_mov_b32_e32 v1, 0
	ds_load_2addr_b64 v[140:143], v1 offset0:87 offset1:88
	ds_load_2addr_b64 v[144:147], v1 offset0:89 offset1:90
	;; [unrolled: 1-line block ×8, first 2 shown]
	ds_load_b64 v[176:177], v1 offset:824
	s_mov_b32 s0, exec_lo
	s_wait_loadcnt_dscnt 0x908
	v_mul_f32_e32 v26, v140, v3
	v_dual_mul_f32 v3, v141, v3 :: v_dual_mul_f32 v178, v142, v5
	s_wait_loadcnt_dscnt 0x807
	v_mul_f32_e32 v179, v144, v7
	v_mul_f32_e32 v5, v143, v5
	s_wait_loadcnt_dscnt 0x403
	v_mul_f32_e32 v188, v162, v25
	v_fma_f32 v3, v140, v2, -v3
	v_dual_mul_f32 v180, v146, v9 :: v_dual_mul_f32 v181, v148, v11
	s_wait_loadcnt_dscnt 0x100
	v_dual_mul_f32 v193, v176, v173 :: v_dual_fmac_f32 v26, v141, v2
	v_mul_f32_e32 v2, v145, v7
	v_dual_fmac_f32 v178, v143, v4 :: v_dual_add_f32 v3, 0, v3
	v_fma_f32 v4, v142, v4, -v5
	s_delay_alu instid0(VALU_DEP_4) | instskip(SKIP_2) | instid1(VALU_DEP_4)
	v_dual_add_f32 v5, 0, v26 :: v_dual_fmac_f32 v180, v147, v8
	v_mul_f32_e32 v7, v147, v9
	v_fma_f32 v2, v144, v6, -v2
	v_add_f32_e32 v3, v3, v4
	v_fmac_f32_e32 v179, v145, v6
	v_add_f32_e32 v4, v5, v178
	v_mul_f32_e32 v5, v149, v11
	v_fma_f32 v6, v146, v8, -v7
	v_add_f32_e32 v2, v3, v2
	v_dual_mul_f32 v182, v150, v13 :: v_dual_mul_f32 v183, v152, v15
	v_dual_add_f32 v3, v4, v179 :: v_dual_mul_f32 v4, v151, v13
	v_fma_f32 v5, v148, v10, -v5
	s_delay_alu instid0(VALU_DEP_4)
	v_add_f32_e32 v2, v2, v6
	v_fmac_f32_e32 v181, v149, v10
	v_mul_f32_e32 v6, v153, v15
	v_fmac_f32_e32 v182, v151, v12
	v_add_f32_e32 v3, v3, v180
	v_fma_f32 v4, v150, v12, -v4
	v_add_f32_e32 v2, v2, v5
	v_dual_mul_f32 v184, v154, v17 :: v_dual_mul_f32 v185, v156, v19
	s_delay_alu instid0(VALU_DEP_4)
	v_add_f32_e32 v3, v3, v181
	v_mul_f32_e32 v5, v155, v17
	v_fma_f32 v6, v152, v14, -v6
	v_dual_add_f32 v2, v2, v4 :: v_dual_fmac_f32 v183, v153, v14
	v_fmac_f32_e32 v184, v155, v16
	v_mul_f32_e32 v4, v157, v19
	v_fma_f32 v5, v154, v16, -v5
	s_delay_alu instid0(VALU_DEP_4) | instskip(SKIP_3) | instid1(VALU_DEP_3)
	v_add_f32_e32 v2, v2, v6
	v_add_f32_e32 v3, v3, v182
	v_dual_mul_f32 v6, v159, v21 :: v_dual_fmac_f32 v185, v157, v18
	v_fma_f32 v4, v156, v18, -v4
	v_dual_add_f32 v2, v2, v5 :: v_dual_add_f32 v3, v3, v183
	v_dual_mul_f32 v186, v158, v21 :: v_dual_mul_f32 v187, v160, v23
	v_mul_f32_e32 v5, v161, v23
	v_fma_f32 v6, v158, v20, -v6
	s_delay_alu instid0(VALU_DEP_4) | instskip(SKIP_4) | instid1(VALU_DEP_4)
	v_add_f32_e32 v2, v2, v4
	v_add_f32_e32 v3, v3, v184
	v_fmac_f32_e32 v186, v159, v20
	v_dual_mul_f32 v4, v163, v25 :: v_dual_fmac_f32 v187, v161, v22
	v_fma_f32 v5, v160, v22, -v5
	v_dual_add_f32 v2, v2, v6 :: v_dual_add_f32 v3, v3, v185
	v_mul_f32_e32 v6, v165, v133
	s_delay_alu instid0(VALU_DEP_4) | instskip(SKIP_1) | instid1(VALU_DEP_4)
	v_fma_f32 v4, v162, v24, -v4
	v_dual_mul_f32 v189, v164, v133 :: v_dual_mul_f32 v190, v166, v135
	v_dual_add_f32 v3, v3, v186 :: v_dual_add_f32 v2, v2, v5
	s_delay_alu instid0(VALU_DEP_4) | instskip(SKIP_1) | instid1(VALU_DEP_4)
	v_fma_f32 v6, v164, v132, -v6
	v_fmac_f32_e32 v188, v163, v24
	v_dual_fmac_f32 v189, v165, v132 :: v_dual_fmac_f32 v190, v167, v134
	s_delay_alu instid0(VALU_DEP_4) | instskip(SKIP_3) | instid1(VALU_DEP_3)
	v_add_f32_e32 v3, v3, v187
	v_dual_mul_f32 v5, v167, v135 :: v_dual_add_f32 v2, v2, v4
	v_dual_mul_f32 v191, v168, v137 :: v_dual_mul_f32 v192, v170, v139
	v_mul_f32_e32 v4, v169, v137
	v_fma_f32 v5, v166, v134, -v5
	s_delay_alu instid0(VALU_DEP_4) | instskip(NEXT) | instid1(VALU_DEP_4)
	v_add_f32_e32 v2, v2, v6
	v_dual_mul_f32 v6, v171, v139 :: v_dual_fmac_f32 v191, v169, v136
	s_delay_alu instid0(VALU_DEP_4) | instskip(SKIP_1) | instid1(VALU_DEP_4)
	v_fma_f32 v4, v168, v136, -v4
	v_dual_fmac_f32 v192, v171, v138 :: v_dual_fmac_f32 v193, v177, v172
	v_add_f32_e32 v2, v2, v5
	v_mul_f32_e32 v5, v177, v173
	v_add_f32_e32 v3, v3, v188
	v_fma_f32 v6, v170, v138, -v6
	s_delay_alu instid0(VALU_DEP_2) | instskip(NEXT) | instid1(VALU_DEP_1)
	v_add_f32_e32 v3, v3, v189
	v_dual_add_f32 v3, v3, v190 :: v_dual_add_f32 v2, v2, v4
	v_fma_f32 v4, v176, v172, -v5
	s_delay_alu instid0(VALU_DEP_2) | instskip(NEXT) | instid1(VALU_DEP_1)
	v_dual_add_f32 v3, v3, v191 :: v_dual_add_f32 v2, v2, v6
	v_add_f32_e32 v3, v3, v192
	s_delay_alu instid0(VALU_DEP_1) | instskip(SKIP_1) | instid1(VALU_DEP_1)
	v_dual_add_f32 v2, v2, v4 :: v_dual_add_f32 v3, v3, v193
	s_wait_loadcnt 0x0
	v_dual_sub_f32 v2, v174, v2 :: v_dual_sub_f32 v3, v175, v3
	scratch_store_b64 off, v[2:3], off offset:272
	v_cmpx_lt_u32_e32 33, v0
	s_cbranch_execz .LBB115_259
; %bb.258:
	scratch_load_b64 v[3:4], off, off offset:264
	v_mov_b32_e32 v2, v1
	scratch_store_b64 off, v[1:2], off offset:264
	s_wait_loadcnt 0x0
	ds_store_b64 v27, v[3:4]
.LBB115_259:
	s_wait_alu 0xfffe
	s_or_b32 exec_lo, exec_lo, s0
	s_wait_storecnt_dscnt 0x0
	s_barrier_signal -1
	s_barrier_wait -1
	global_inv scope:SCOPE_SE
	s_clause 0x9
	scratch_load_b128 v[2:5], off, off offset:272
	scratch_load_b128 v[6:9], off, off offset:288
	;; [unrolled: 1-line block ×9, first 2 shown]
	scratch_load_b64 v[180:181], off, off offset:264
	ds_load_b128 v[144:147], v1 offset:688
	ds_load_b128 v[148:151], v1 offset:704
	;; [unrolled: 1-line block ×9, first 2 shown]
	s_mov_b32 s0, exec_lo
	s_wait_loadcnt_dscnt 0x908
	v_dual_mul_f32 v1, v144, v3 :: v_dual_mul_f32 v26, v146, v5
	v_mul_f32_e32 v5, v147, v5
	v_mul_f32_e32 v3, v145, v3
	s_wait_loadcnt_dscnt 0x807
	v_dual_mul_f32 v182, v148, v7 :: v_dual_mul_f32 v183, v150, v9
	s_wait_loadcnt_dscnt 0x201
	v_dual_fmac_f32 v1, v145, v2 :: v_dual_mul_f32 v194, v172, v137
	v_fma_f32 v3, v144, v2, -v3
	s_wait_loadcnt_dscnt 0x100
	v_dual_mul_f32 v197, v178, v143 :: v_dual_fmac_f32 v26, v147, v4
	v_mul_f32_e32 v2, v149, v7
	v_fma_f32 v4, v146, v4, -v5
	v_dual_add_f32 v3, 0, v3 :: v_dual_fmac_f32 v182, v149, v6
	v_dual_mul_f32 v184, v152, v11 :: v_dual_mul_f32 v185, v154, v13
	v_dual_mul_f32 v186, v156, v15 :: v_dual_mul_f32 v187, v158, v17
	s_delay_alu instid0(VALU_DEP_2) | instskip(SKIP_1) | instid1(VALU_DEP_3)
	v_dual_mul_f32 v5, v151, v9 :: v_dual_fmac_f32 v184, v153, v10
	v_fma_f32 v2, v148, v6, -v2
	v_dual_add_f32 v3, v3, v4 :: v_dual_fmac_f32 v186, v157, v14
	s_delay_alu instid0(VALU_DEP_3) | instskip(SKIP_1) | instid1(VALU_DEP_3)
	v_fma_f32 v5, v150, v8, -v5
	v_dual_mul_f32 v188, v160, v19 :: v_dual_mul_f32 v189, v162, v21
	v_add_f32_e32 v2, v3, v2
	v_dual_mul_f32 v4, v153, v11 :: v_dual_mul_f32 v3, v155, v13
	s_delay_alu instid0(VALU_DEP_3) | instskip(SKIP_1) | instid1(VALU_DEP_4)
	v_fmac_f32_e32 v188, v161, v18
	v_dual_mul_f32 v190, v164, v23 :: v_dual_mul_f32 v191, v166, v25
	v_add_f32_e32 v2, v2, v5
	v_add_f32_e32 v1, 0, v1
	v_fma_f32 v4, v152, v10, -v4
	v_fma_f32 v3, v154, v12, -v3
	v_dual_fmac_f32 v187, v159, v16 :: v_dual_mul_f32 v192, v168, v133
	v_mul_f32_e32 v193, v170, v135
	s_delay_alu instid0(VALU_DEP_4) | instskip(SKIP_3) | instid1(VALU_DEP_4)
	v_dual_add_f32 v1, v1, v26 :: v_dual_add_f32 v2, v2, v4
	v_mul_f32_e32 v4, v159, v17
	v_fmac_f32_e32 v183, v151, v8
	v_dual_mul_f32 v195, v174, v139 :: v_dual_mul_f32 v196, v176, v141
	v_add_f32_e32 v1, v1, v182
	s_delay_alu instid0(VALU_DEP_4) | instskip(SKIP_2) | instid1(VALU_DEP_4)
	v_fma_f32 v4, v158, v16, -v4
	v_mul_f32_e32 v5, v157, v15
	v_dual_add_f32 v2, v2, v3 :: v_dual_fmac_f32 v191, v167, v24
	v_add_f32_e32 v1, v1, v183
	v_dual_fmac_f32 v193, v171, v134 :: v_dual_fmac_f32 v194, v173, v136
	s_delay_alu instid0(VALU_DEP_4) | instskip(SKIP_2) | instid1(VALU_DEP_3)
	v_fma_f32 v5, v156, v14, -v5
	v_dual_fmac_f32 v185, v155, v12 :: v_dual_fmac_f32 v190, v165, v22
	v_dual_fmac_f32 v197, v179, v142 :: v_dual_fmac_f32 v192, v169, v132
	v_add_f32_e32 v2, v2, v5
	v_dual_mul_f32 v5, v163, v21 :: v_dual_fmac_f32 v196, v177, v140
	s_delay_alu instid0(VALU_DEP_2) | instskip(NEXT) | instid1(VALU_DEP_2)
	v_add_f32_e32 v2, v2, v4
	v_fma_f32 v5, v162, v20, -v5
	v_mul_f32_e32 v3, v161, v19
	v_mul_f32_e32 v4, v165, v23
	s_delay_alu instid0(VALU_DEP_2) | instskip(SKIP_1) | instid1(VALU_DEP_3)
	v_fma_f32 v3, v160, v18, -v3
	v_add_f32_e32 v1, v1, v184
	v_fma_f32 v4, v164, v22, -v4
	s_delay_alu instid0(VALU_DEP_3) | instskip(NEXT) | instid1(VALU_DEP_1)
	v_dual_add_f32 v2, v2, v3 :: v_dual_mul_f32 v3, v167, v25
	v_add_f32_e32 v2, v2, v5
	s_delay_alu instid0(VALU_DEP_4) | instskip(NEXT) | instid1(VALU_DEP_3)
	v_add_f32_e32 v1, v1, v185
	v_fma_f32 v3, v166, v24, -v3
	s_delay_alu instid0(VALU_DEP_2) | instskip(SKIP_1) | instid1(VALU_DEP_2)
	v_dual_add_f32 v2, v2, v4 :: v_dual_add_f32 v1, v1, v186
	v_mul_f32_e32 v4, v171, v135
	v_dual_fmac_f32 v189, v163, v20 :: v_dual_add_f32 v2, v2, v3
	v_mul_f32_e32 v3, v173, v137
	s_delay_alu instid0(VALU_DEP_3) | instskip(SKIP_1) | instid1(VALU_DEP_3)
	v_fma_f32 v4, v170, v134, -v4
	v_mul_f32_e32 v5, v169, v133
	v_fma_f32 v3, v172, v136, -v3
	s_delay_alu instid0(VALU_DEP_2) | instskip(NEXT) | instid1(VALU_DEP_1)
	v_fma_f32 v5, v168, v132, -v5
	v_dual_add_f32 v1, v1, v187 :: v_dual_add_f32 v2, v2, v5
	s_delay_alu instid0(VALU_DEP_1) | instskip(NEXT) | instid1(VALU_DEP_2)
	v_dual_mul_f32 v5, v175, v139 :: v_dual_add_f32 v2, v2, v4
	v_add_f32_e32 v1, v1, v188
	v_mul_f32_e32 v4, v177, v141
	s_delay_alu instid0(VALU_DEP_3) | instskip(NEXT) | instid1(VALU_DEP_4)
	v_fma_f32 v5, v174, v138, -v5
	v_dual_add_f32 v2, v2, v3 :: v_dual_fmac_f32 v195, v175, v138
	v_mul_f32_e32 v3, v179, v143
	s_delay_alu instid0(VALU_DEP_4) | instskip(NEXT) | instid1(VALU_DEP_3)
	v_fma_f32 v4, v176, v140, -v4
	v_add_f32_e32 v2, v2, v5
	v_add_f32_e32 v1, v1, v189
	s_delay_alu instid0(VALU_DEP_4) | instskip(NEXT) | instid1(VALU_DEP_2)
	v_fma_f32 v3, v178, v142, -v3
	v_dual_add_f32 v2, v2, v4 :: v_dual_add_f32 v1, v1, v190
	s_delay_alu instid0(VALU_DEP_1) | instskip(NEXT) | instid1(VALU_DEP_2)
	v_add_f32_e32 v2, v2, v3
	v_add_f32_e32 v1, v1, v191
	s_delay_alu instid0(VALU_DEP_1) | instskip(NEXT) | instid1(VALU_DEP_1)
	v_add_f32_e32 v1, v1, v192
	v_add_f32_e32 v1, v1, v193
	s_delay_alu instid0(VALU_DEP_1) | instskip(NEXT) | instid1(VALU_DEP_1)
	;; [unrolled: 3-line block ×3, first 2 shown]
	v_add_f32_e32 v1, v1, v196
	v_add_f32_e32 v3, v1, v197
	s_wait_loadcnt 0x0
	s_delay_alu instid0(VALU_DEP_1)
	v_dual_sub_f32 v1, v180, v2 :: v_dual_sub_f32 v2, v181, v3
	scratch_store_b64 off, v[1:2], off offset:264
	v_cmpx_lt_u32_e32 32, v0
	s_cbranch_execz .LBB115_261
; %bb.260:
	scratch_load_b64 v[1:2], off, off offset:256
	v_mov_b32_e32 v3, 0
	s_delay_alu instid0(VALU_DEP_1)
	v_mov_b32_e32 v4, v3
	scratch_store_b64 off, v[3:4], off offset:256
	s_wait_loadcnt 0x0
	ds_store_b64 v27, v[1:2]
.LBB115_261:
	s_wait_alu 0xfffe
	s_or_b32 exec_lo, exec_lo, s0
	s_wait_storecnt_dscnt 0x0
	s_barrier_signal -1
	s_barrier_wait -1
	global_inv scope:SCOPE_SE
	s_clause 0xa
	scratch_load_b128 v[2:5], off, off offset:264
	scratch_load_b128 v[6:9], off, off offset:280
	;; [unrolled: 1-line block ×9, first 2 shown]
	scratch_load_b64 v[180:181], off, off offset:408
	scratch_load_b64 v[182:183], off, off offset:256
	v_mov_b32_e32 v1, 0
	ds_load_2addr_b64 v[144:147], v1 offset0:85 offset1:86
	ds_load_2addr_b64 v[148:151], v1 offset0:87 offset1:88
	;; [unrolled: 1-line block ×9, first 2 shown]
	ds_load_b64 v[184:185], v1 offset:824
	s_mov_b32 s0, exec_lo
	s_wait_loadcnt_dscnt 0xa09
	v_mul_f32_e32 v26, v144, v3
	v_dual_mul_f32 v3, v145, v3 :: v_dual_mul_f32 v186, v146, v5
	s_wait_loadcnt_dscnt 0x908
	v_mul_f32_e32 v187, v148, v7
	v_mul_f32_e32 v5, v147, v5
	s_wait_loadcnt_dscnt 0x504
	v_mul_f32_e32 v196, v166, v25
	v_fma_f32 v3, v144, v2, -v3
	v_dual_mul_f32 v188, v150, v9 :: v_dual_mul_f32 v189, v152, v11
	s_wait_loadcnt_dscnt 0x100
	v_dual_mul_f32 v203, v184, v181 :: v_dual_fmac_f32 v26, v145, v2
	v_mul_f32_e32 v2, v149, v7
	v_dual_fmac_f32 v186, v147, v4 :: v_dual_add_f32 v3, 0, v3
	v_fma_f32 v4, v146, v4, -v5
	s_delay_alu instid0(VALU_DEP_4) | instskip(SKIP_2) | instid1(VALU_DEP_4)
	v_dual_add_f32 v5, 0, v26 :: v_dual_fmac_f32 v188, v151, v8
	v_mul_f32_e32 v7, v151, v9
	v_fma_f32 v2, v148, v6, -v2
	v_add_f32_e32 v3, v3, v4
	v_fmac_f32_e32 v187, v149, v6
	v_add_f32_e32 v4, v5, v186
	v_mul_f32_e32 v5, v153, v11
	v_fma_f32 v6, v150, v8, -v7
	v_add_f32_e32 v2, v3, v2
	v_dual_mul_f32 v190, v154, v13 :: v_dual_mul_f32 v191, v156, v15
	v_dual_add_f32 v3, v4, v187 :: v_dual_mul_f32 v4, v155, v13
	v_fma_f32 v5, v152, v10, -v5
	s_delay_alu instid0(VALU_DEP_4)
	v_add_f32_e32 v2, v2, v6
	v_fmac_f32_e32 v189, v153, v10
	v_mul_f32_e32 v6, v157, v15
	v_fmac_f32_e32 v190, v155, v12
	v_add_f32_e32 v3, v3, v188
	v_fma_f32 v4, v154, v12, -v4
	v_add_f32_e32 v2, v2, v5
	v_dual_mul_f32 v192, v158, v17 :: v_dual_mul_f32 v193, v160, v19
	s_delay_alu instid0(VALU_DEP_4)
	v_add_f32_e32 v3, v3, v189
	v_mul_f32_e32 v5, v159, v17
	v_fma_f32 v6, v156, v14, -v6
	v_dual_add_f32 v2, v2, v4 :: v_dual_fmac_f32 v191, v157, v14
	v_fmac_f32_e32 v192, v159, v16
	v_mul_f32_e32 v4, v161, v19
	v_fma_f32 v5, v158, v16, -v5
	s_delay_alu instid0(VALU_DEP_4) | instskip(SKIP_3) | instid1(VALU_DEP_3)
	v_add_f32_e32 v2, v2, v6
	v_add_f32_e32 v3, v3, v190
	v_dual_mul_f32 v6, v163, v21 :: v_dual_fmac_f32 v193, v161, v18
	v_fma_f32 v4, v160, v18, -v4
	v_dual_add_f32 v2, v2, v5 :: v_dual_add_f32 v3, v3, v191
	v_dual_mul_f32 v194, v162, v21 :: v_dual_mul_f32 v195, v164, v23
	v_mul_f32_e32 v5, v165, v23
	v_fma_f32 v6, v162, v20, -v6
	s_delay_alu instid0(VALU_DEP_4) | instskip(SKIP_4) | instid1(VALU_DEP_4)
	v_add_f32_e32 v2, v2, v4
	v_add_f32_e32 v3, v3, v192
	v_fmac_f32_e32 v194, v163, v20
	v_dual_mul_f32 v4, v167, v25 :: v_dual_fmac_f32 v195, v165, v22
	v_fma_f32 v5, v164, v22, -v5
	v_dual_add_f32 v2, v2, v6 :: v_dual_add_f32 v3, v3, v193
	v_mul_f32_e32 v6, v169, v133
	s_delay_alu instid0(VALU_DEP_4) | instskip(SKIP_1) | instid1(VALU_DEP_4)
	v_fma_f32 v4, v166, v24, -v4
	v_dual_mul_f32 v197, v168, v133 :: v_dual_mul_f32 v198, v170, v135
	v_dual_add_f32 v3, v3, v194 :: v_dual_add_f32 v2, v2, v5
	s_delay_alu instid0(VALU_DEP_4) | instskip(SKIP_1) | instid1(VALU_DEP_4)
	v_fma_f32 v6, v168, v132, -v6
	v_fmac_f32_e32 v196, v167, v24
	v_dual_fmac_f32 v197, v169, v132 :: v_dual_fmac_f32 v198, v171, v134
	s_delay_alu instid0(VALU_DEP_4) | instskip(SKIP_3) | instid1(VALU_DEP_3)
	v_add_f32_e32 v3, v3, v195
	v_dual_mul_f32 v5, v171, v135 :: v_dual_add_f32 v2, v2, v4
	v_dual_mul_f32 v199, v172, v137 :: v_dual_mul_f32 v200, v174, v139
	v_mul_f32_e32 v4, v173, v137
	v_fma_f32 v5, v170, v134, -v5
	s_delay_alu instid0(VALU_DEP_4) | instskip(NEXT) | instid1(VALU_DEP_4)
	v_add_f32_e32 v2, v2, v6
	v_dual_mul_f32 v6, v175, v139 :: v_dual_fmac_f32 v199, v173, v136
	s_delay_alu instid0(VALU_DEP_4) | instskip(SKIP_1) | instid1(VALU_DEP_4)
	v_fma_f32 v4, v172, v136, -v4
	v_dual_mul_f32 v201, v176, v141 :: v_dual_mul_f32 v202, v178, v143
	v_add_f32_e32 v2, v2, v5
	v_mul_f32_e32 v5, v177, v141
	v_add_f32_e32 v3, v3, v196
	s_delay_alu instid0(VALU_DEP_4) | instskip(SKIP_1) | instid1(VALU_DEP_4)
	v_dual_fmac_f32 v200, v175, v138 :: v_dual_fmac_f32 v201, v177, v140
	v_fma_f32 v6, v174, v138, -v6
	v_fma_f32 v5, v176, v140, -v5
	s_delay_alu instid0(VALU_DEP_4) | instskip(SKIP_1) | instid1(VALU_DEP_2)
	v_add_f32_e32 v3, v3, v197
	v_dual_fmac_f32 v202, v179, v142 :: v_dual_fmac_f32 v203, v185, v180
	v_dual_add_f32 v3, v3, v198 :: v_dual_add_f32 v2, v2, v4
	v_mul_f32_e32 v4, v179, v143
	s_delay_alu instid0(VALU_DEP_2) | instskip(NEXT) | instid1(VALU_DEP_2)
	v_dual_add_f32 v3, v3, v199 :: v_dual_add_f32 v2, v2, v6
	v_fma_f32 v4, v178, v142, -v4
	s_delay_alu instid0(VALU_DEP_2) | instskip(NEXT) | instid1(VALU_DEP_1)
	v_add_f32_e32 v3, v3, v200
	v_add_f32_e32 v3, v3, v201
	s_delay_alu instid0(VALU_DEP_1) | instskip(SKIP_1) | instid1(VALU_DEP_2)
	v_dual_mul_f32 v6, v185, v181 :: v_dual_add_f32 v3, v3, v202
	v_add_f32_e32 v2, v2, v5
	v_fma_f32 v5, v184, v180, -v6
	s_delay_alu instid0(VALU_DEP_2) | instskip(SKIP_1) | instid1(VALU_DEP_1)
	v_dual_add_f32 v3, v3, v203 :: v_dual_add_f32 v2, v2, v4
	s_wait_loadcnt 0x0
	v_dual_sub_f32 v3, v183, v3 :: v_dual_add_f32 v2, v2, v5
	s_delay_alu instid0(VALU_DEP_1)
	v_sub_f32_e32 v2, v182, v2
	scratch_store_b64 off, v[2:3], off offset:256
	v_cmpx_lt_u32_e32 31, v0
	s_cbranch_execz .LBB115_263
; %bb.262:
	scratch_load_b64 v[3:4], off, off offset:248
	v_mov_b32_e32 v2, v1
	scratch_store_b64 off, v[1:2], off offset:248
	s_wait_loadcnt 0x0
	ds_store_b64 v27, v[3:4]
.LBB115_263:
	s_wait_alu 0xfffe
	s_or_b32 exec_lo, exec_lo, s0
	s_wait_storecnt_dscnt 0x0
	s_barrier_signal -1
	s_barrier_wait -1
	global_inv scope:SCOPE_SE
	s_clause 0xa
	scratch_load_b128 v[2:5], off, off offset:256
	scratch_load_b128 v[6:9], off, off offset:272
	;; [unrolled: 1-line block ×10, first 2 shown]
	scratch_load_b64 v[188:189], off, off offset:248
	ds_load_b128 v[148:151], v1 offset:672
	ds_load_b128 v[152:155], v1 offset:688
	;; [unrolled: 1-line block ×10, first 2 shown]
	s_mov_b32 s0, exec_lo
	s_wait_loadcnt_dscnt 0xa09
	v_dual_mul_f32 v1, v148, v3 :: v_dual_mul_f32 v26, v150, v5
	s_wait_loadcnt_dscnt 0x908
	v_dual_mul_f32 v5, v151, v5 :: v_dual_mul_f32 v190, v152, v7
	v_mul_f32_e32 v191, v154, v9
	v_mul_f32_e32 v3, v149, v3
	v_dual_fmac_f32 v1, v149, v2 :: v_dual_fmac_f32 v26, v151, v4
	s_wait_loadcnt_dscnt 0x100
	v_dual_mul_f32 v204, v180, v141 :: v_dual_mul_f32 v207, v186, v147
	s_delay_alu instid0(VALU_DEP_3) | instskip(SKIP_3) | instid1(VALU_DEP_4)
	v_fma_f32 v3, v148, v2, -v3
	v_mul_f32_e32 v2, v153, v7
	v_fma_f32 v4, v150, v4, -v5
	v_dual_mul_f32 v192, v156, v11 :: v_dual_mul_f32 v193, v158, v13
	v_dual_add_f32 v3, 0, v3 :: v_dual_fmac_f32 v190, v153, v6
	v_dual_mul_f32 v194, v160, v15 :: v_dual_mul_f32 v195, v162, v17
	s_delay_alu instid0(VALU_DEP_3) | instskip(SKIP_1) | instid1(VALU_DEP_3)
	v_dual_mul_f32 v5, v155, v9 :: v_dual_fmac_f32 v192, v157, v10
	v_fma_f32 v2, v152, v6, -v2
	v_dual_add_f32 v3, v3, v4 :: v_dual_fmac_f32 v194, v161, v14
	s_delay_alu instid0(VALU_DEP_3) | instskip(SKIP_1) | instid1(VALU_DEP_3)
	v_fma_f32 v5, v154, v8, -v5
	v_dual_mul_f32 v196, v164, v19 :: v_dual_mul_f32 v197, v166, v21
	v_add_f32_e32 v2, v3, v2
	v_dual_mul_f32 v3, v159, v13 :: v_dual_mul_f32 v4, v157, v11
	s_delay_alu instid0(VALU_DEP_3) | instskip(SKIP_1) | instid1(VALU_DEP_4)
	v_fmac_f32_e32 v196, v165, v18
	v_dual_mul_f32 v198, v168, v23 :: v_dual_mul_f32 v199, v170, v25
	v_add_f32_e32 v2, v2, v5
	v_add_f32_e32 v1, 0, v1
	v_fma_f32 v4, v156, v10, -v4
	v_fma_f32 v3, v158, v12, -v3
	v_dual_fmac_f32 v195, v163, v16 :: v_dual_mul_f32 v200, v172, v133
	v_mul_f32_e32 v201, v174, v135
	s_delay_alu instid0(VALU_DEP_4) | instskip(SKIP_3) | instid1(VALU_DEP_4)
	v_dual_add_f32 v1, v1, v26 :: v_dual_add_f32 v2, v2, v4
	v_mul_f32_e32 v4, v163, v17
	v_dual_fmac_f32 v191, v155, v8 :: v_dual_mul_f32 v202, v176, v137
	v_mul_f32_e32 v203, v178, v139
	v_add_f32_e32 v1, v1, v190
	s_delay_alu instid0(VALU_DEP_4) | instskip(SKIP_2) | instid1(VALU_DEP_4)
	v_fma_f32 v4, v162, v16, -v4
	v_mul_f32_e32 v5, v161, v15
	v_dual_add_f32 v2, v2, v3 :: v_dual_fmac_f32 v199, v171, v24
	v_add_f32_e32 v1, v1, v191
	v_dual_mul_f32 v205, v182, v143 :: v_dual_mul_f32 v206, v184, v145
	s_delay_alu instid0(VALU_DEP_4) | instskip(SKIP_2) | instid1(VALU_DEP_3)
	v_fma_f32 v5, v160, v14, -v5
	v_dual_fmac_f32 v193, v159, v12 :: v_dual_fmac_f32 v198, v169, v22
	v_dual_fmac_f32 v201, v175, v134 :: v_dual_fmac_f32 v202, v177, v136
	v_add_f32_e32 v2, v2, v5
	v_mul_f32_e32 v5, v167, v21
	v_fmac_f32_e32 v205, v183, v142
	v_dual_fmac_f32 v207, v187, v146 :: v_dual_fmac_f32 v200, v173, v132
	s_delay_alu instid0(VALU_DEP_4) | instskip(NEXT) | instid1(VALU_DEP_4)
	v_add_f32_e32 v2, v2, v4
	v_fma_f32 v5, v166, v20, -v5
	v_mul_f32_e32 v3, v165, v19
	v_mul_f32_e32 v4, v169, v23
	v_fmac_f32_e32 v204, v181, v140
	v_fmac_f32_e32 v206, v185, v144
	s_delay_alu instid0(VALU_DEP_4) | instskip(SKIP_2) | instid1(VALU_DEP_3)
	v_fma_f32 v3, v164, v18, -v3
	v_add_f32_e32 v1, v1, v192
	v_fma_f32 v4, v168, v22, -v4
	v_dual_add_f32 v2, v2, v3 :: v_dual_mul_f32 v3, v171, v25
	s_delay_alu instid0(VALU_DEP_1) | instskip(NEXT) | instid1(VALU_DEP_4)
	v_add_f32_e32 v2, v2, v5
	v_add_f32_e32 v1, v1, v193
	s_delay_alu instid0(VALU_DEP_3) | instskip(NEXT) | instid1(VALU_DEP_2)
	v_fma_f32 v3, v170, v24, -v3
	v_dual_add_f32 v2, v2, v4 :: v_dual_add_f32 v1, v1, v194
	v_mul_f32_e32 v4, v175, v135
	s_delay_alu instid0(VALU_DEP_2) | instskip(SKIP_1) | instid1(VALU_DEP_3)
	v_dual_fmac_f32 v197, v167, v20 :: v_dual_add_f32 v2, v2, v3
	v_mul_f32_e32 v3, v177, v137
	v_fma_f32 v4, v174, v134, -v4
	v_mul_f32_e32 v5, v173, v133
	s_delay_alu instid0(VALU_DEP_3) | instskip(NEXT) | instid1(VALU_DEP_2)
	v_fma_f32 v3, v176, v136, -v3
	v_fma_f32 v5, v172, v132, -v5
	s_delay_alu instid0(VALU_DEP_1) | instskip(NEXT) | instid1(VALU_DEP_1)
	v_dual_add_f32 v1, v1, v195 :: v_dual_add_f32 v2, v2, v5
	v_dual_mul_f32 v5, v179, v139 :: v_dual_add_f32 v2, v2, v4
	s_delay_alu instid0(VALU_DEP_2) | instskip(SKIP_1) | instid1(VALU_DEP_3)
	v_add_f32_e32 v1, v1, v196
	v_mul_f32_e32 v4, v181, v141
	v_fma_f32 v5, v178, v138, -v5
	s_delay_alu instid0(VALU_DEP_4) | instskip(SKIP_1) | instid1(VALU_DEP_4)
	v_dual_add_f32 v2, v2, v3 :: v_dual_fmac_f32 v203, v179, v138
	v_mul_f32_e32 v3, v183, v143
	v_fma_f32 v4, v180, v140, -v4
	s_delay_alu instid0(VALU_DEP_3) | instskip(SKIP_1) | instid1(VALU_DEP_4)
	v_add_f32_e32 v2, v2, v5
	v_add_f32_e32 v1, v1, v197
	v_fma_f32 v3, v182, v142, -v3
	s_delay_alu instid0(VALU_DEP_2) | instskip(SKIP_1) | instid1(VALU_DEP_2)
	v_dual_add_f32 v2, v2, v4 :: v_dual_add_f32 v1, v1, v198
	v_dual_mul_f32 v4, v187, v147 :: v_dual_mul_f32 v5, v185, v145
	v_add_f32_e32 v2, v2, v3
	s_delay_alu instid0(VALU_DEP_2) | instskip(NEXT) | instid1(VALU_DEP_3)
	v_fma_f32 v3, v186, v146, -v4
	v_fma_f32 v5, v184, v144, -v5
	s_delay_alu instid0(VALU_DEP_1) | instskip(NEXT) | instid1(VALU_DEP_1)
	v_dual_add_f32 v1, v1, v199 :: v_dual_add_f32 v2, v2, v5
	v_dual_add_f32 v1, v1, v200 :: v_dual_add_f32 v2, v2, v3
	s_delay_alu instid0(VALU_DEP_1) | instskip(NEXT) | instid1(VALU_DEP_1)
	v_add_f32_e32 v1, v1, v201
	v_add_f32_e32 v1, v1, v202
	s_delay_alu instid0(VALU_DEP_1) | instskip(NEXT) | instid1(VALU_DEP_1)
	v_add_f32_e32 v1, v1, v203
	v_add_f32_e32 v1, v1, v204
	;; [unrolled: 3-line block ×3, first 2 shown]
	s_delay_alu instid0(VALU_DEP_1) | instskip(SKIP_1) | instid1(VALU_DEP_1)
	v_add_f32_e32 v3, v1, v207
	s_wait_loadcnt 0x0
	v_dual_sub_f32 v1, v188, v2 :: v_dual_sub_f32 v2, v189, v3
	scratch_store_b64 off, v[1:2], off offset:248
	v_cmpx_lt_u32_e32 30, v0
	s_cbranch_execz .LBB115_265
; %bb.264:
	scratch_load_b64 v[1:2], off, off offset:240
	v_mov_b32_e32 v3, 0
	s_delay_alu instid0(VALU_DEP_1)
	v_mov_b32_e32 v4, v3
	scratch_store_b64 off, v[3:4], off offset:240
	s_wait_loadcnt 0x0
	ds_store_b64 v27, v[1:2]
.LBB115_265:
	s_wait_alu 0xfffe
	s_or_b32 exec_lo, exec_lo, s0
	s_wait_storecnt_dscnt 0x0
	s_barrier_signal -1
	s_barrier_wait -1
	global_inv scope:SCOPE_SE
	s_clause 0xb
	scratch_load_b128 v[2:5], off, off offset:248
	scratch_load_b128 v[6:9], off, off offset:264
	;; [unrolled: 1-line block ×10, first 2 shown]
	scratch_load_b64 v[188:189], off, off offset:408
	scratch_load_b64 v[190:191], off, off offset:240
	v_mov_b32_e32 v1, 0
	ds_load_2addr_b64 v[148:151], v1 offset0:83 offset1:84
	ds_load_2addr_b64 v[152:155], v1 offset0:85 offset1:86
	;; [unrolled: 1-line block ×10, first 2 shown]
	ds_load_b64 v[192:193], v1 offset:824
	s_mov_b32 s0, exec_lo
	s_wait_loadcnt_dscnt 0xb0a
	v_mul_f32_e32 v26, v148, v3
	v_dual_mul_f32 v3, v149, v3 :: v_dual_mul_f32 v194, v150, v5
	s_wait_loadcnt_dscnt 0xa09
	v_mul_f32_e32 v195, v152, v7
	v_mul_f32_e32 v5, v151, v5
	s_wait_loadcnt_dscnt 0x605
	v_mul_f32_e32 v204, v170, v25
	v_fma_f32 v3, v148, v2, -v3
	v_dual_mul_f32 v196, v154, v9 :: v_dual_mul_f32 v197, v156, v11
	s_wait_loadcnt_dscnt 0x100
	v_dual_fmac_f32 v26, v149, v2 :: v_dual_mul_f32 v213, v192, v189
	v_mul_f32_e32 v2, v153, v7
	v_dual_fmac_f32 v194, v151, v4 :: v_dual_add_f32 v3, 0, v3
	v_fma_f32 v4, v150, v4, -v5
	s_delay_alu instid0(VALU_DEP_4) | instskip(SKIP_2) | instid1(VALU_DEP_4)
	v_dual_add_f32 v5, 0, v26 :: v_dual_fmac_f32 v196, v155, v8
	v_mul_f32_e32 v7, v155, v9
	v_fma_f32 v2, v152, v6, -v2
	v_add_f32_e32 v3, v3, v4
	v_fmac_f32_e32 v195, v153, v6
	v_add_f32_e32 v4, v5, v194
	v_mul_f32_e32 v5, v157, v11
	v_fma_f32 v6, v154, v8, -v7
	v_add_f32_e32 v2, v3, v2
	v_dual_mul_f32 v198, v158, v13 :: v_dual_mul_f32 v199, v160, v15
	v_dual_add_f32 v3, v4, v195 :: v_dual_mul_f32 v4, v159, v13
	v_fma_f32 v5, v156, v10, -v5
	s_delay_alu instid0(VALU_DEP_4)
	v_add_f32_e32 v2, v2, v6
	v_fmac_f32_e32 v197, v157, v10
	v_mul_f32_e32 v6, v161, v15
	v_fmac_f32_e32 v198, v159, v12
	v_add_f32_e32 v3, v3, v196
	v_fma_f32 v4, v158, v12, -v4
	v_add_f32_e32 v2, v2, v5
	v_dual_mul_f32 v200, v162, v17 :: v_dual_mul_f32 v201, v164, v19
	s_delay_alu instid0(VALU_DEP_4)
	v_add_f32_e32 v3, v3, v197
	v_mul_f32_e32 v5, v163, v17
	v_fma_f32 v6, v160, v14, -v6
	v_dual_add_f32 v2, v2, v4 :: v_dual_fmac_f32 v199, v161, v14
	v_fmac_f32_e32 v200, v163, v16
	v_mul_f32_e32 v4, v165, v19
	v_fma_f32 v5, v162, v16, -v5
	s_delay_alu instid0(VALU_DEP_4) | instskip(SKIP_3) | instid1(VALU_DEP_3)
	v_add_f32_e32 v2, v2, v6
	v_add_f32_e32 v3, v3, v198
	v_dual_mul_f32 v6, v167, v21 :: v_dual_fmac_f32 v201, v165, v18
	v_fma_f32 v4, v164, v18, -v4
	v_dual_add_f32 v2, v2, v5 :: v_dual_add_f32 v3, v3, v199
	v_dual_mul_f32 v202, v166, v21 :: v_dual_mul_f32 v203, v168, v23
	v_mul_f32_e32 v5, v169, v23
	v_fma_f32 v6, v166, v20, -v6
	s_delay_alu instid0(VALU_DEP_4) | instskip(SKIP_4) | instid1(VALU_DEP_4)
	v_add_f32_e32 v2, v2, v4
	v_add_f32_e32 v3, v3, v200
	v_fmac_f32_e32 v202, v167, v20
	v_dual_mul_f32 v4, v171, v25 :: v_dual_fmac_f32 v203, v169, v22
	v_fma_f32 v5, v168, v22, -v5
	v_dual_add_f32 v2, v2, v6 :: v_dual_add_f32 v3, v3, v201
	v_mul_f32_e32 v6, v173, v133
	s_delay_alu instid0(VALU_DEP_4) | instskip(SKIP_1) | instid1(VALU_DEP_4)
	v_fma_f32 v4, v170, v24, -v4
	v_dual_mul_f32 v205, v172, v133 :: v_dual_mul_f32 v206, v174, v135
	v_dual_add_f32 v3, v3, v202 :: v_dual_add_f32 v2, v2, v5
	s_delay_alu instid0(VALU_DEP_4) | instskip(SKIP_1) | instid1(VALU_DEP_4)
	v_fma_f32 v6, v172, v132, -v6
	v_fmac_f32_e32 v204, v171, v24
	v_dual_fmac_f32 v205, v173, v132 :: v_dual_fmac_f32 v206, v175, v134
	s_delay_alu instid0(VALU_DEP_4) | instskip(SKIP_3) | instid1(VALU_DEP_3)
	v_add_f32_e32 v3, v3, v203
	v_dual_mul_f32 v5, v175, v135 :: v_dual_add_f32 v2, v2, v4
	v_dual_mul_f32 v207, v176, v137 :: v_dual_mul_f32 v208, v178, v139
	v_mul_f32_e32 v4, v177, v137
	v_fma_f32 v5, v174, v134, -v5
	s_delay_alu instid0(VALU_DEP_4) | instskip(NEXT) | instid1(VALU_DEP_4)
	v_add_f32_e32 v2, v2, v6
	v_dual_mul_f32 v6, v179, v139 :: v_dual_fmac_f32 v207, v177, v136
	s_delay_alu instid0(VALU_DEP_4) | instskip(SKIP_1) | instid1(VALU_DEP_4)
	v_fma_f32 v4, v176, v136, -v4
	v_dual_mul_f32 v209, v180, v141 :: v_dual_mul_f32 v210, v182, v143
	v_add_f32_e32 v2, v2, v5
	v_mul_f32_e32 v5, v181, v141
	v_add_f32_e32 v3, v3, v204
	s_delay_alu instid0(VALU_DEP_4) | instskip(SKIP_2) | instid1(VALU_DEP_4)
	v_dual_fmac_f32 v208, v179, v138 :: v_dual_fmac_f32 v209, v181, v140
	v_fma_f32 v6, v178, v138, -v6
	v_dual_mul_f32 v211, v184, v145 :: v_dual_mul_f32 v212, v186, v147
	v_add_f32_e32 v3, v3, v205
	v_fma_f32 v5, v180, v140, -v5
	v_dual_fmac_f32 v210, v183, v142 :: v_dual_fmac_f32 v213, v193, v188
	s_delay_alu instid0(VALU_DEP_4) | instskip(NEXT) | instid1(VALU_DEP_4)
	v_fmac_f32_e32 v211, v185, v144
	v_dual_add_f32 v3, v3, v206 :: v_dual_add_f32 v2, v2, v4
	v_mul_f32_e32 v4, v183, v143
	v_fmac_f32_e32 v212, v187, v146
	s_delay_alu instid0(VALU_DEP_3) | instskip(NEXT) | instid1(VALU_DEP_3)
	v_dual_add_f32 v3, v3, v207 :: v_dual_add_f32 v2, v2, v6
	v_fma_f32 v4, v182, v142, -v4
	s_delay_alu instid0(VALU_DEP_2) | instskip(NEXT) | instid1(VALU_DEP_1)
	v_dual_mul_f32 v6, v185, v145 :: v_dual_add_f32 v3, v3, v208
	v_add_f32_e32 v3, v3, v209
	s_delay_alu instid0(VALU_DEP_4) | instskip(NEXT) | instid1(VALU_DEP_3)
	v_dual_add_f32 v2, v2, v5 :: v_dual_mul_f32 v5, v187, v147
	v_fma_f32 v6, v184, v144, -v6
	s_delay_alu instid0(VALU_DEP_2) | instskip(SKIP_1) | instid1(VALU_DEP_4)
	v_dual_add_f32 v3, v3, v210 :: v_dual_add_f32 v2, v2, v4
	v_mul_f32_e32 v4, v193, v189
	v_fma_f32 v5, v186, v146, -v5
	s_delay_alu instid0(VALU_DEP_3) | instskip(NEXT) | instid1(VALU_DEP_3)
	v_dual_add_f32 v3, v3, v211 :: v_dual_add_f32 v2, v2, v6
	v_fma_f32 v4, v192, v188, -v4
	s_delay_alu instid0(VALU_DEP_2) | instskip(NEXT) | instid1(VALU_DEP_1)
	v_add_f32_e32 v3, v3, v212
	v_add_f32_e32 v3, v3, v213
	s_wait_loadcnt 0x0
	s_delay_alu instid0(VALU_DEP_1) | instskip(NEXT) | instid1(VALU_DEP_1)
	v_dual_add_f32 v2, v2, v5 :: v_dual_sub_f32 v3, v191, v3
	v_add_f32_e32 v2, v2, v4
	s_delay_alu instid0(VALU_DEP_1)
	v_sub_f32_e32 v2, v190, v2
	scratch_store_b64 off, v[2:3], off offset:240
	v_cmpx_lt_u32_e32 29, v0
	s_cbranch_execz .LBB115_267
; %bb.266:
	scratch_load_b64 v[3:4], off, off offset:232
	v_mov_b32_e32 v2, v1
	scratch_store_b64 off, v[1:2], off offset:232
	s_wait_loadcnt 0x0
	ds_store_b64 v27, v[3:4]
.LBB115_267:
	s_wait_alu 0xfffe
	s_or_b32 exec_lo, exec_lo, s0
	s_wait_storecnt_dscnt 0x0
	s_barrier_signal -1
	s_barrier_wait -1
	global_inv scope:SCOPE_SE
	s_clause 0xb
	scratch_load_b128 v[2:5], off, off offset:240
	scratch_load_b128 v[6:9], off, off offset:256
	;; [unrolled: 1-line block ×11, first 2 shown]
	scratch_load_b64 v[196:197], off, off offset:232
	ds_load_b128 v[152:155], v1 offset:656
	ds_load_b128 v[156:159], v1 offset:672
	ds_load_b128 v[160:163], v1 offset:688
	ds_load_b128 v[164:167], v1 offset:704
	ds_load_b128 v[168:171], v1 offset:720
	ds_load_b128 v[172:175], v1 offset:736
	ds_load_b128 v[176:179], v1 offset:752
	ds_load_b128 v[180:183], v1 offset:768
	ds_load_b128 v[184:187], v1 offset:784
	ds_load_b128 v[188:191], v1 offset:800
	ds_load_b128 v[192:195], v1 offset:816
	s_mov_b32 s0, exec_lo
	s_wait_loadcnt_dscnt 0xb0a
	v_dual_mul_f32 v1, v152, v3 :: v_dual_mul_f32 v26, v154, v5
	s_wait_loadcnt_dscnt 0xa09
	v_dual_mul_f32 v5, v155, v5 :: v_dual_mul_f32 v198, v156, v7
	v_mul_f32_e32 v199, v158, v9
	v_mul_f32_e32 v3, v153, v3
	v_dual_fmac_f32 v1, v153, v2 :: v_dual_fmac_f32 v26, v155, v4
	s_wait_loadcnt_dscnt 0x908
	v_dual_mul_f32 v200, v160, v11 :: v_dual_mul_f32 v201, v162, v13
	s_wait_loadcnt_dscnt 0x201
	v_mul_f32_e32 v214, v188, v145
	v_fma_f32 v3, v152, v2, -v3
	s_wait_loadcnt_dscnt 0x100
	v_mul_f32_e32 v217, v194, v151
	v_mul_f32_e32 v2, v157, v7
	v_fma_f32 v4, v154, v4, -v5
	v_dual_mul_f32 v202, v164, v15 :: v_dual_mul_f32 v203, v166, v17
	v_dual_add_f32 v3, 0, v3 :: v_dual_fmac_f32 v198, v157, v6
	v_dual_mul_f32 v5, v159, v9 :: v_dual_fmac_f32 v200, v161, v10
	v_fma_f32 v2, v156, v6, -v2
	s_delay_alu instid0(VALU_DEP_3) | instskip(NEXT) | instid1(VALU_DEP_3)
	v_dual_add_f32 v3, v3, v4 :: v_dual_fmac_f32 v202, v165, v14
	v_fma_f32 v5, v158, v8, -v5
	v_dual_mul_f32 v204, v168, v19 :: v_dual_mul_f32 v205, v170, v21
	s_delay_alu instid0(VALU_DEP_3) | instskip(SKIP_2) | instid1(VALU_DEP_3)
	v_add_f32_e32 v2, v3, v2
	v_dual_mul_f32 v3, v163, v13 :: v_dual_mul_f32 v206, v172, v23
	v_dual_mul_f32 v207, v174, v25 :: v_dual_mul_f32 v4, v161, v11
	v_add_f32_e32 v2, v2, v5
	v_dual_add_f32 v1, 0, v1 :: v_dual_fmac_f32 v204, v169, v18
	s_delay_alu instid0(VALU_DEP_4) | instskip(NEXT) | instid1(VALU_DEP_4)
	v_fma_f32 v3, v162, v12, -v3
	v_fma_f32 v4, v160, v10, -v4
	v_fmac_f32_e32 v203, v167, v16
	s_delay_alu instid0(VALU_DEP_4) | instskip(SKIP_1) | instid1(VALU_DEP_4)
	v_dual_add_f32 v1, v1, v26 :: v_dual_mul_f32 v208, v176, v133
	v_mul_f32_e32 v209, v178, v135
	v_add_f32_e32 v2, v2, v4
	s_delay_alu instid0(VALU_DEP_3) | instskip(SKIP_2) | instid1(VALU_DEP_3)
	v_dual_mul_f32 v4, v167, v17 :: v_dual_add_f32 v1, v1, v198
	v_dual_fmac_f32 v199, v159, v8 :: v_dual_mul_f32 v212, v184, v141
	v_mul_f32_e32 v213, v186, v143
	v_fma_f32 v4, v166, v16, -v4
	v_mul_f32_e32 v5, v165, v15
	v_add_f32_e32 v2, v2, v3
	v_dual_add_f32 v1, v1, v199 :: v_dual_mul_f32 v210, v180, v137
	v_mul_f32_e32 v211, v182, v139
	s_delay_alu instid0(VALU_DEP_4) | instskip(SKIP_3) | instid1(VALU_DEP_4)
	v_fma_f32 v5, v164, v14, -v5
	v_dual_fmac_f32 v201, v163, v12 :: v_dual_fmac_f32 v206, v173, v22
	v_fmac_f32_e32 v207, v175, v24
	v_dual_fmac_f32 v209, v179, v134 :: v_dual_fmac_f32 v210, v181, v136
	v_add_f32_e32 v2, v2, v5
	v_mul_f32_e32 v5, v171, v21
	v_dual_mul_f32 v215, v190, v147 :: v_dual_mul_f32 v216, v192, v149
	s_delay_alu instid0(VALU_DEP_3) | instskip(NEXT) | instid1(VALU_DEP_3)
	v_dual_fmac_f32 v213, v187, v142 :: v_dual_add_f32 v2, v2, v4
	v_fma_f32 v5, v170, v20, -v5
	v_mul_f32_e32 v3, v169, v19
	v_mul_f32_e32 v4, v173, v23
	v_dual_fmac_f32 v216, v193, v148 :: v_dual_fmac_f32 v215, v191, v146
	v_fmac_f32_e32 v208, v177, v132
	s_delay_alu instid0(VALU_DEP_4) | instskip(SKIP_3) | instid1(VALU_DEP_4)
	v_fma_f32 v3, v168, v18, -v3
	v_add_f32_e32 v1, v1, v200
	v_fma_f32 v4, v172, v22, -v4
	v_dual_fmac_f32 v217, v195, v150 :: v_dual_fmac_f32 v212, v185, v140
	v_dual_add_f32 v2, v2, v3 :: v_dual_mul_f32 v3, v175, v25
	v_fmac_f32_e32 v214, v189, v144
	s_delay_alu instid0(VALU_DEP_2) | instskip(SKIP_1) | instid1(VALU_DEP_4)
	v_add_f32_e32 v2, v2, v5
	v_add_f32_e32 v1, v1, v201
	v_fma_f32 v3, v174, v24, -v3
	s_delay_alu instid0(VALU_DEP_2) | instskip(SKIP_1) | instid1(VALU_DEP_2)
	v_dual_add_f32 v2, v2, v4 :: v_dual_add_f32 v1, v1, v202
	v_mul_f32_e32 v4, v179, v135
	v_dual_fmac_f32 v205, v171, v20 :: v_dual_add_f32 v2, v2, v3
	v_mul_f32_e32 v3, v181, v137
	s_delay_alu instid0(VALU_DEP_3) | instskip(SKIP_1) | instid1(VALU_DEP_3)
	v_fma_f32 v4, v178, v134, -v4
	v_mul_f32_e32 v5, v177, v133
	v_fma_f32 v3, v180, v136, -v3
	s_delay_alu instid0(VALU_DEP_2) | instskip(NEXT) | instid1(VALU_DEP_1)
	v_fma_f32 v5, v176, v132, -v5
	v_dual_add_f32 v1, v1, v203 :: v_dual_add_f32 v2, v2, v5
	s_delay_alu instid0(VALU_DEP_1) | instskip(NEXT) | instid1(VALU_DEP_2)
	v_dual_mul_f32 v5, v183, v139 :: v_dual_add_f32 v2, v2, v4
	v_add_f32_e32 v1, v1, v204
	v_mul_f32_e32 v4, v185, v141
	s_delay_alu instid0(VALU_DEP_3) | instskip(NEXT) | instid1(VALU_DEP_4)
	v_fma_f32 v5, v182, v138, -v5
	v_dual_add_f32 v2, v2, v3 :: v_dual_fmac_f32 v211, v183, v138
	v_mul_f32_e32 v3, v187, v143
	s_delay_alu instid0(VALU_DEP_4) | instskip(NEXT) | instid1(VALU_DEP_3)
	v_fma_f32 v4, v184, v140, -v4
	v_add_f32_e32 v2, v2, v5
	v_add_f32_e32 v1, v1, v205
	s_delay_alu instid0(VALU_DEP_4) | instskip(NEXT) | instid1(VALU_DEP_3)
	v_fma_f32 v3, v186, v142, -v3
	v_dual_add_f32 v2, v2, v4 :: v_dual_mul_f32 v5, v189, v145
	s_delay_alu instid0(VALU_DEP_3) | instskip(NEXT) | instid1(VALU_DEP_2)
	v_dual_add_f32 v1, v1, v206 :: v_dual_mul_f32 v4, v191, v147
	v_add_f32_e32 v2, v2, v3
	s_delay_alu instid0(VALU_DEP_3) | instskip(NEXT) | instid1(VALU_DEP_3)
	v_fma_f32 v5, v188, v144, -v5
	v_add_f32_e32 v1, v1, v207
	v_mul_f32_e32 v3, v193, v149
	v_fma_f32 v4, v190, v146, -v4
	s_delay_alu instid0(VALU_DEP_4) | instskip(NEXT) | instid1(VALU_DEP_3)
	v_dual_add_f32 v2, v2, v5 :: v_dual_mul_f32 v5, v195, v151
	v_fma_f32 v3, v192, v148, -v3
	s_delay_alu instid0(VALU_DEP_2) | instskip(SKIP_1) | instid1(VALU_DEP_4)
	v_add_f32_e32 v2, v2, v4
	v_add_f32_e32 v1, v1, v208
	v_fma_f32 v4, v194, v150, -v5
	s_delay_alu instid0(VALU_DEP_2) | instskip(NEXT) | instid1(VALU_DEP_1)
	v_dual_add_f32 v2, v2, v3 :: v_dual_add_f32 v1, v1, v209
	v_dual_add_f32 v2, v2, v4 :: v_dual_add_f32 v1, v1, v210
	s_delay_alu instid0(VALU_DEP_1) | instskip(NEXT) | instid1(VALU_DEP_1)
	v_add_f32_e32 v1, v1, v211
	v_add_f32_e32 v1, v1, v212
	s_delay_alu instid0(VALU_DEP_1) | instskip(NEXT) | instid1(VALU_DEP_1)
	v_add_f32_e32 v1, v1, v213
	v_add_f32_e32 v1, v1, v214
	s_delay_alu instid0(VALU_DEP_1) | instskip(NEXT) | instid1(VALU_DEP_1)
	v_add_f32_e32 v1, v1, v215
	v_add_f32_e32 v1, v1, v216
	s_delay_alu instid0(VALU_DEP_1) | instskip(SKIP_1) | instid1(VALU_DEP_1)
	v_add_f32_e32 v3, v1, v217
	s_wait_loadcnt 0x0
	v_dual_sub_f32 v1, v196, v2 :: v_dual_sub_f32 v2, v197, v3
	scratch_store_b64 off, v[1:2], off offset:232
	v_cmpx_lt_u32_e32 28, v0
	s_cbranch_execz .LBB115_269
; %bb.268:
	scratch_load_b64 v[1:2], off, off offset:224
	v_mov_b32_e32 v3, 0
	s_delay_alu instid0(VALU_DEP_1)
	v_mov_b32_e32 v4, v3
	scratch_store_b64 off, v[3:4], off offset:224
	s_wait_loadcnt 0x0
	ds_store_b64 v27, v[1:2]
.LBB115_269:
	s_wait_alu 0xfffe
	s_or_b32 exec_lo, exec_lo, s0
	s_wait_storecnt_dscnt 0x0
	s_barrier_signal -1
	s_barrier_wait -1
	global_inv scope:SCOPE_SE
	s_clause 0xc
	scratch_load_b128 v[2:5], off, off offset:232
	scratch_load_b128 v[6:9], off, off offset:248
	;; [unrolled: 1-line block ×11, first 2 shown]
	scratch_load_b64 v[196:197], off, off offset:408
	scratch_load_b64 v[198:199], off, off offset:224
	v_mov_b32_e32 v1, 0
	ds_load_2addr_b64 v[152:155], v1 offset0:81 offset1:82
	ds_load_2addr_b64 v[156:159], v1 offset0:83 offset1:84
	;; [unrolled: 1-line block ×11, first 2 shown]
	ds_load_b64 v[200:201], v1 offset:824
	s_mov_b32 s0, exec_lo
	s_wait_loadcnt_dscnt 0xc0b
	v_mul_f32_e32 v26, v152, v3
	v_dual_mul_f32 v3, v153, v3 :: v_dual_mul_f32 v202, v154, v5
	s_wait_loadcnt_dscnt 0xb0a
	v_mul_f32_e32 v203, v156, v7
	v_mul_f32_e32 v5, v155, v5
	s_wait_loadcnt_dscnt 0x706
	v_mul_f32_e32 v212, v174, v25
	v_fma_f32 v3, v152, v2, -v3
	v_dual_mul_f32 v204, v158, v9 :: v_dual_mul_f32 v205, v160, v11
	v_fmac_f32_e32 v26, v153, v2
	s_wait_loadcnt_dscnt 0x100
	v_dual_mul_f32 v2, v157, v7 :: v_dual_mul_f32 v223, v200, v197
	v_dual_fmac_f32 v202, v155, v4 :: v_dual_add_f32 v3, 0, v3
	v_fma_f32 v4, v154, v4, -v5
	v_dual_add_f32 v5, 0, v26 :: v_dual_fmac_f32 v204, v159, v8
	v_mul_f32_e32 v7, v159, v9
	v_fma_f32 v2, v156, v6, -v2
	s_delay_alu instid0(VALU_DEP_4)
	v_add_f32_e32 v3, v3, v4
	v_fmac_f32_e32 v203, v157, v6
	v_add_f32_e32 v4, v5, v202
	v_mul_f32_e32 v5, v161, v11
	v_fma_f32 v6, v158, v8, -v7
	v_add_f32_e32 v2, v3, v2
	v_dual_mul_f32 v206, v162, v13 :: v_dual_mul_f32 v207, v164, v15
	v_dual_add_f32 v3, v4, v203 :: v_dual_mul_f32 v4, v163, v13
	v_fma_f32 v5, v160, v10, -v5
	s_delay_alu instid0(VALU_DEP_4)
	v_add_f32_e32 v2, v2, v6
	v_fmac_f32_e32 v205, v161, v10
	v_mul_f32_e32 v6, v165, v15
	v_fmac_f32_e32 v206, v163, v12
	v_add_f32_e32 v3, v3, v204
	v_fma_f32 v4, v162, v12, -v4
	v_add_f32_e32 v2, v2, v5
	v_dual_mul_f32 v208, v166, v17 :: v_dual_mul_f32 v209, v168, v19
	s_delay_alu instid0(VALU_DEP_4)
	v_add_f32_e32 v3, v3, v205
	v_mul_f32_e32 v5, v167, v17
	v_fma_f32 v6, v164, v14, -v6
	v_dual_add_f32 v2, v2, v4 :: v_dual_fmac_f32 v207, v165, v14
	v_fmac_f32_e32 v208, v167, v16
	v_mul_f32_e32 v4, v169, v19
	v_fma_f32 v5, v166, v16, -v5
	s_delay_alu instid0(VALU_DEP_4) | instskip(SKIP_3) | instid1(VALU_DEP_3)
	v_add_f32_e32 v2, v2, v6
	v_add_f32_e32 v3, v3, v206
	v_dual_mul_f32 v6, v171, v21 :: v_dual_fmac_f32 v209, v169, v18
	v_fma_f32 v4, v168, v18, -v4
	v_dual_add_f32 v2, v2, v5 :: v_dual_add_f32 v3, v3, v207
	v_dual_mul_f32 v210, v170, v21 :: v_dual_mul_f32 v211, v172, v23
	v_mul_f32_e32 v5, v173, v23
	v_fma_f32 v6, v170, v20, -v6
	s_delay_alu instid0(VALU_DEP_4) | instskip(SKIP_4) | instid1(VALU_DEP_4)
	v_add_f32_e32 v2, v2, v4
	v_add_f32_e32 v3, v3, v208
	v_fmac_f32_e32 v210, v171, v20
	v_dual_mul_f32 v4, v175, v25 :: v_dual_fmac_f32 v211, v173, v22
	v_fma_f32 v5, v172, v22, -v5
	v_dual_add_f32 v2, v2, v6 :: v_dual_add_f32 v3, v3, v209
	v_mul_f32_e32 v6, v177, v133
	s_delay_alu instid0(VALU_DEP_4) | instskip(SKIP_1) | instid1(VALU_DEP_4)
	v_fma_f32 v4, v174, v24, -v4
	v_dual_mul_f32 v213, v176, v133 :: v_dual_mul_f32 v214, v178, v135
	v_dual_add_f32 v3, v3, v210 :: v_dual_add_f32 v2, v2, v5
	s_delay_alu instid0(VALU_DEP_4) | instskip(SKIP_1) | instid1(VALU_DEP_4)
	v_fma_f32 v6, v176, v132, -v6
	v_fmac_f32_e32 v212, v175, v24
	v_dual_fmac_f32 v213, v177, v132 :: v_dual_fmac_f32 v214, v179, v134
	s_delay_alu instid0(VALU_DEP_4) | instskip(SKIP_3) | instid1(VALU_DEP_3)
	v_add_f32_e32 v3, v3, v211
	v_dual_mul_f32 v5, v179, v135 :: v_dual_add_f32 v2, v2, v4
	v_dual_mul_f32 v215, v180, v137 :: v_dual_mul_f32 v216, v182, v139
	v_mul_f32_e32 v4, v181, v137
	v_fma_f32 v5, v178, v134, -v5
	s_delay_alu instid0(VALU_DEP_4) | instskip(NEXT) | instid1(VALU_DEP_4)
	v_add_f32_e32 v2, v2, v6
	v_dual_mul_f32 v6, v183, v139 :: v_dual_fmac_f32 v215, v181, v136
	s_delay_alu instid0(VALU_DEP_4) | instskip(SKIP_1) | instid1(VALU_DEP_4)
	v_fma_f32 v4, v180, v136, -v4
	v_dual_mul_f32 v217, v184, v141 :: v_dual_mul_f32 v218, v186, v143
	v_add_f32_e32 v2, v2, v5
	v_mul_f32_e32 v5, v185, v141
	v_add_f32_e32 v3, v3, v212
	s_delay_alu instid0(VALU_DEP_4) | instskip(SKIP_2) | instid1(VALU_DEP_4)
	v_dual_fmac_f32 v216, v183, v138 :: v_dual_fmac_f32 v217, v185, v140
	v_fma_f32 v6, v182, v138, -v6
	v_dual_mul_f32 v219, v188, v145 :: v_dual_mul_f32 v220, v190, v147
	v_add_f32_e32 v3, v3, v213
	v_dual_mul_f32 v221, v192, v149 :: v_dual_mul_f32 v222, v194, v151
	v_fma_f32 v5, v184, v140, -v5
	v_fmac_f32_e32 v218, v187, v142
	s_delay_alu instid0(VALU_DEP_4) | instskip(SKIP_2) | instid1(VALU_DEP_3)
	v_dual_add_f32 v3, v3, v214 :: v_dual_add_f32 v2, v2, v4
	v_dual_mul_f32 v4, v187, v143 :: v_dual_fmac_f32 v219, v189, v144
	v_fmac_f32_e32 v221, v193, v148
	v_dual_add_f32 v3, v3, v215 :: v_dual_add_f32 v2, v2, v6
	v_mul_f32_e32 v6, v189, v145
	s_delay_alu instid0(VALU_DEP_4) | instskip(SKIP_1) | instid1(VALU_DEP_4)
	v_fma_f32 v4, v186, v142, -v4
	v_fmac_f32_e32 v220, v191, v146
	v_add_f32_e32 v3, v3, v216
	v_dual_fmac_f32 v222, v195, v150 :: v_dual_fmac_f32 v223, v201, v196
	s_delay_alu instid0(VALU_DEP_2) | instskip(SKIP_2) | instid1(VALU_DEP_2)
	v_add_f32_e32 v3, v3, v217
	v_dual_add_f32 v2, v2, v5 :: v_dual_mul_f32 v5, v191, v147
	v_fma_f32 v6, v188, v144, -v6
	v_dual_add_f32 v3, v3, v218 :: v_dual_add_f32 v2, v2, v4
	v_mul_f32_e32 v4, v193, v149
	s_delay_alu instid0(VALU_DEP_4) | instskip(NEXT) | instid1(VALU_DEP_3)
	v_fma_f32 v5, v190, v146, -v5
	v_dual_add_f32 v3, v3, v219 :: v_dual_add_f32 v2, v2, v6
	v_mul_f32_e32 v6, v195, v151
	s_delay_alu instid0(VALU_DEP_4) | instskip(NEXT) | instid1(VALU_DEP_3)
	v_fma_f32 v4, v192, v148, -v4
	v_add_f32_e32 v2, v2, v5
	v_mul_f32_e32 v5, v201, v197
	v_add_f32_e32 v3, v3, v220
	v_fma_f32 v6, v194, v150, -v6
	s_delay_alu instid0(VALU_DEP_2) | instskip(NEXT) | instid1(VALU_DEP_1)
	v_add_f32_e32 v3, v3, v221
	v_dual_add_f32 v3, v3, v222 :: v_dual_add_f32 v2, v2, v4
	v_fma_f32 v4, v200, v196, -v5
	s_delay_alu instid0(VALU_DEP_2) | instskip(SKIP_1) | instid1(VALU_DEP_1)
	v_dual_add_f32 v3, v3, v223 :: v_dual_add_f32 v2, v2, v6
	s_wait_loadcnt 0x0
	v_dual_sub_f32 v3, v199, v3 :: v_dual_add_f32 v2, v2, v4
	s_delay_alu instid0(VALU_DEP_1)
	v_sub_f32_e32 v2, v198, v2
	scratch_store_b64 off, v[2:3], off offset:224
	v_cmpx_lt_u32_e32 27, v0
	s_cbranch_execz .LBB115_271
; %bb.270:
	scratch_load_b64 v[3:4], off, off offset:216
	v_mov_b32_e32 v2, v1
	scratch_store_b64 off, v[1:2], off offset:216
	s_wait_loadcnt 0x0
	ds_store_b64 v27, v[3:4]
.LBB115_271:
	s_wait_alu 0xfffe
	s_or_b32 exec_lo, exec_lo, s0
	s_wait_storecnt_dscnt 0x0
	s_barrier_signal -1
	s_barrier_wait -1
	global_inv scope:SCOPE_SE
	s_clause 0xc
	scratch_load_b128 v[2:5], off, off offset:224
	scratch_load_b128 v[6:9], off, off offset:240
	;; [unrolled: 1-line block ×12, first 2 shown]
	scratch_load_b64 v[204:205], off, off offset:216
	ds_load_b128 v[156:159], v1 offset:640
	ds_load_b128 v[160:163], v1 offset:656
	;; [unrolled: 1-line block ×12, first 2 shown]
	s_mov_b32 s0, exec_lo
	s_wait_loadcnt_dscnt 0xc0b
	v_dual_mul_f32 v1, v156, v3 :: v_dual_mul_f32 v26, v158, v5
	s_wait_loadcnt_dscnt 0xb0a
	v_dual_mul_f32 v5, v159, v5 :: v_dual_mul_f32 v206, v160, v7
	v_mul_f32_e32 v207, v162, v9
	s_delay_alu instid0(VALU_DEP_3)
	v_fmac_f32_e32 v1, v157, v2
	v_dual_mul_f32 v3, v157, v3 :: v_dual_fmac_f32 v26, v159, v4
	s_wait_loadcnt_dscnt 0xa09
	v_dual_mul_f32 v208, v164, v11 :: v_dual_mul_f32 v209, v166, v13
	s_wait_loadcnt_dscnt 0x201
	v_mul_f32_e32 v224, v196, v149
	v_fma_f32 v3, v156, v2, -v3
	s_wait_loadcnt_dscnt 0x100
	v_mul_f32_e32 v227, v202, v155
	v_mul_f32_e32 v2, v161, v7
	v_fma_f32 v4, v158, v4, -v5
	v_dual_mul_f32 v210, v168, v15 :: v_dual_mul_f32 v211, v170, v17
	v_dual_add_f32 v3, 0, v3 :: v_dual_fmac_f32 v206, v161, v6
	v_dual_mul_f32 v5, v163, v9 :: v_dual_fmac_f32 v208, v165, v10
	v_fma_f32 v2, v160, v6, -v2
	s_delay_alu instid0(VALU_DEP_3) | instskip(NEXT) | instid1(VALU_DEP_3)
	v_dual_add_f32 v3, v3, v4 :: v_dual_fmac_f32 v210, v169, v14
	v_fma_f32 v5, v162, v8, -v5
	v_dual_mul_f32 v212, v172, v19 :: v_dual_mul_f32 v213, v174, v21
	s_delay_alu instid0(VALU_DEP_3) | instskip(SKIP_2) | instid1(VALU_DEP_3)
	v_add_f32_e32 v2, v3, v2
	v_dual_mul_f32 v3, v167, v13 :: v_dual_mul_f32 v214, v176, v23
	v_dual_mul_f32 v215, v178, v25 :: v_dual_mul_f32 v4, v165, v11
	v_add_f32_e32 v2, v2, v5
	v_dual_add_f32 v1, 0, v1 :: v_dual_fmac_f32 v212, v173, v18
	s_delay_alu instid0(VALU_DEP_4) | instskip(NEXT) | instid1(VALU_DEP_4)
	v_fma_f32 v3, v166, v12, -v3
	v_fma_f32 v4, v164, v10, -v4
	v_fmac_f32_e32 v211, v171, v16
	s_delay_alu instid0(VALU_DEP_4) | instskip(SKIP_1) | instid1(VALU_DEP_4)
	v_dual_add_f32 v1, v1, v26 :: v_dual_mul_f32 v216, v180, v133
	v_mul_f32_e32 v217, v182, v135
	v_add_f32_e32 v2, v2, v4
	s_delay_alu instid0(VALU_DEP_3) | instskip(SKIP_2) | instid1(VALU_DEP_3)
	v_dual_mul_f32 v4, v171, v17 :: v_dual_add_f32 v1, v1, v206
	v_dual_fmac_f32 v207, v163, v8 :: v_dual_mul_f32 v220, v188, v141
	v_mul_f32_e32 v221, v190, v143
	v_fma_f32 v4, v170, v16, -v4
	v_mul_f32_e32 v5, v169, v15
	v_add_f32_e32 v2, v2, v3
	v_dual_add_f32 v1, v1, v207 :: v_dual_mul_f32 v218, v184, v137
	v_mul_f32_e32 v219, v186, v139
	s_delay_alu instid0(VALU_DEP_4) | instskip(SKIP_3) | instid1(VALU_DEP_4)
	v_fma_f32 v5, v168, v14, -v5
	v_fmac_f32_e32 v209, v167, v12
	v_dual_fmac_f32 v215, v179, v24 :: v_dual_fmac_f32 v214, v177, v22
	v_dual_mul_f32 v222, v192, v145 :: v_dual_mul_f32 v223, v194, v147
	v_add_f32_e32 v2, v2, v5
	v_mul_f32_e32 v5, v175, v21
	v_dual_mul_f32 v225, v198, v151 :: v_dual_mul_f32 v226, v200, v153
	v_dual_fmac_f32 v217, v183, v134 :: v_dual_fmac_f32 v218, v185, v136
	s_delay_alu instid0(VALU_DEP_3) | instskip(SKIP_3) | instid1(VALU_DEP_3)
	v_fma_f32 v5, v174, v20, -v5
	v_dual_mul_f32 v3, v173, v19 :: v_dual_add_f32 v2, v2, v4
	v_dual_mul_f32 v4, v177, v23 :: v_dual_fmac_f32 v223, v195, v146
	v_dual_fmac_f32 v221, v191, v142 :: v_dual_fmac_f32 v224, v197, v148
	v_fma_f32 v3, v172, v18, -v3
	v_add_f32_e32 v1, v1, v208
	s_delay_alu instid0(VALU_DEP_4) | instskip(SKIP_1) | instid1(VALU_DEP_4)
	v_fma_f32 v4, v176, v22, -v4
	v_dual_fmac_f32 v216, v181, v132 :: v_dual_fmac_f32 v227, v203, v154
	v_dual_add_f32 v2, v2, v3 :: v_dual_mul_f32 v3, v179, v25
	v_fmac_f32_e32 v220, v189, v140
	v_fmac_f32_e32 v222, v193, v144
	;; [unrolled: 1-line block ×3, first 2 shown]
	s_delay_alu instid0(VALU_DEP_4) | instskip(SKIP_2) | instid1(VALU_DEP_2)
	v_add_f32_e32 v2, v2, v5
	v_add_f32_e32 v1, v1, v209
	v_fma_f32 v3, v178, v24, -v3
	v_dual_add_f32 v2, v2, v4 :: v_dual_add_f32 v1, v1, v210
	v_mul_f32_e32 v4, v183, v135
	s_delay_alu instid0(VALU_DEP_2) | instskip(SKIP_1) | instid1(VALU_DEP_3)
	v_dual_fmac_f32 v213, v175, v20 :: v_dual_add_f32 v2, v2, v3
	v_mul_f32_e32 v3, v185, v137
	v_fma_f32 v4, v182, v134, -v4
	v_mul_f32_e32 v5, v181, v133
	s_delay_alu instid0(VALU_DEP_3) | instskip(NEXT) | instid1(VALU_DEP_2)
	v_fma_f32 v3, v184, v136, -v3
	v_fma_f32 v5, v180, v132, -v5
	s_delay_alu instid0(VALU_DEP_1) | instskip(NEXT) | instid1(VALU_DEP_1)
	v_dual_add_f32 v1, v1, v211 :: v_dual_add_f32 v2, v2, v5
	v_dual_mul_f32 v5, v187, v139 :: v_dual_add_f32 v2, v2, v4
	s_delay_alu instid0(VALU_DEP_2) | instskip(SKIP_1) | instid1(VALU_DEP_3)
	v_add_f32_e32 v1, v1, v212
	v_mul_f32_e32 v4, v189, v141
	v_fma_f32 v5, v186, v138, -v5
	s_delay_alu instid0(VALU_DEP_4) | instskip(SKIP_1) | instid1(VALU_DEP_4)
	v_dual_add_f32 v2, v2, v3 :: v_dual_fmac_f32 v219, v187, v138
	v_mul_f32_e32 v3, v191, v143
	v_fma_f32 v4, v188, v140, -v4
	s_delay_alu instid0(VALU_DEP_3) | instskip(SKIP_1) | instid1(VALU_DEP_4)
	v_add_f32_e32 v2, v2, v5
	v_add_f32_e32 v1, v1, v213
	v_fma_f32 v3, v190, v142, -v3
	s_delay_alu instid0(VALU_DEP_3) | instskip(NEXT) | instid1(VALU_DEP_3)
	v_dual_add_f32 v2, v2, v4 :: v_dual_mul_f32 v5, v193, v145
	v_dual_add_f32 v1, v1, v214 :: v_dual_mul_f32 v4, v195, v147
	s_delay_alu instid0(VALU_DEP_2) | instskip(NEXT) | instid1(VALU_DEP_3)
	v_add_f32_e32 v2, v2, v3
	v_fma_f32 v5, v192, v144, -v5
	s_delay_alu instid0(VALU_DEP_3) | instskip(SKIP_2) | instid1(VALU_DEP_4)
	v_add_f32_e32 v1, v1, v215
	v_mul_f32_e32 v3, v197, v149
	v_fma_f32 v4, v194, v146, -v4
	v_dual_add_f32 v2, v2, v5 :: v_dual_mul_f32 v5, v199, v151
	s_delay_alu instid0(VALU_DEP_3) | instskip(NEXT) | instid1(VALU_DEP_2)
	v_fma_f32 v3, v196, v148, -v3
	v_add_f32_e32 v2, v2, v4
	v_add_f32_e32 v1, v1, v216
	v_mul_f32_e32 v4, v201, v153
	v_fma_f32 v5, v198, v150, -v5
	s_delay_alu instid0(VALU_DEP_4) | instskip(SKIP_1) | instid1(VALU_DEP_4)
	v_dual_add_f32 v2, v2, v3 :: v_dual_fmac_f32 v225, v199, v150
	v_mul_f32_e32 v3, v203, v155
	v_fma_f32 v4, v200, v152, -v4
	s_delay_alu instid0(VALU_DEP_3) | instskip(SKIP_1) | instid1(VALU_DEP_4)
	v_add_f32_e32 v2, v2, v5
	v_add_f32_e32 v1, v1, v217
	v_fma_f32 v3, v202, v154, -v3
	s_delay_alu instid0(VALU_DEP_2) | instskip(NEXT) | instid1(VALU_DEP_1)
	v_dual_add_f32 v2, v2, v4 :: v_dual_add_f32 v1, v1, v218
	v_add_f32_e32 v2, v2, v3
	s_delay_alu instid0(VALU_DEP_2) | instskip(NEXT) | instid1(VALU_DEP_1)
	v_add_f32_e32 v1, v1, v219
	v_add_f32_e32 v1, v1, v220
	s_delay_alu instid0(VALU_DEP_1) | instskip(NEXT) | instid1(VALU_DEP_1)
	v_add_f32_e32 v1, v1, v221
	v_add_f32_e32 v1, v1, v222
	s_delay_alu instid0(VALU_DEP_1) | instskip(NEXT) | instid1(VALU_DEP_1)
	;; [unrolled: 3-line block ×3, first 2 shown]
	v_add_f32_e32 v1, v1, v225
	v_add_f32_e32 v1, v1, v226
	s_delay_alu instid0(VALU_DEP_1) | instskip(SKIP_1) | instid1(VALU_DEP_1)
	v_add_f32_e32 v3, v1, v227
	s_wait_loadcnt 0x0
	v_dual_sub_f32 v1, v204, v2 :: v_dual_sub_f32 v2, v205, v3
	scratch_store_b64 off, v[1:2], off offset:216
	v_cmpx_lt_u32_e32 26, v0
	s_cbranch_execz .LBB115_273
; %bb.272:
	scratch_load_b64 v[1:2], off, off offset:208
	v_mov_b32_e32 v3, 0
	s_delay_alu instid0(VALU_DEP_1)
	v_mov_b32_e32 v4, v3
	scratch_store_b64 off, v[3:4], off offset:208
	s_wait_loadcnt 0x0
	ds_store_b64 v27, v[1:2]
.LBB115_273:
	s_wait_alu 0xfffe
	s_or_b32 exec_lo, exec_lo, s0
	s_wait_storecnt_dscnt 0x0
	s_barrier_signal -1
	s_barrier_wait -1
	global_inv scope:SCOPE_SE
	s_clause 0xd
	scratch_load_b128 v[2:5], off, off offset:216
	scratch_load_b128 v[6:9], off, off offset:232
	scratch_load_b128 v[10:13], off, off offset:248
	scratch_load_b128 v[14:17], off, off offset:264
	scratch_load_b128 v[18:21], off, off offset:280
	scratch_load_b128 v[22:25], off, off offset:296
	scratch_load_b128 v[132:135], off, off offset:312
	scratch_load_b128 v[136:139], off, off offset:328
	scratch_load_b128 v[140:143], off, off offset:344
	scratch_load_b128 v[144:147], off, off offset:360
	scratch_load_b128 v[148:151], off, off offset:376
	scratch_load_b128 v[152:155], off, off offset:392
	scratch_load_b64 v[204:205], off, off offset:408
	scratch_load_b64 v[206:207], off, off offset:208
	v_mov_b32_e32 v1, 0
	ds_load_2addr_b64 v[156:159], v1 offset0:79 offset1:80
	ds_load_2addr_b64 v[160:163], v1 offset0:81 offset1:82
	;; [unrolled: 1-line block ×12, first 2 shown]
	ds_load_b64 v[208:209], v1 offset:824
	s_mov_b32 s0, exec_lo
	s_wait_loadcnt_dscnt 0xd0c
	v_mul_f32_e32 v26, v156, v3
	v_dual_mul_f32 v3, v157, v3 :: v_dual_mul_f32 v210, v158, v5
	s_wait_loadcnt_dscnt 0xc0b
	v_mul_f32_e32 v211, v160, v7
	v_mul_f32_e32 v5, v159, v5
	s_wait_loadcnt_dscnt 0x807
	v_mul_f32_e32 v220, v178, v25
	v_fma_f32 v3, v156, v2, -v3
	v_dual_mul_f32 v212, v162, v9 :: v_dual_mul_f32 v213, v164, v11
	v_fmac_f32_e32 v26, v157, v2
	v_mul_f32_e32 v2, v161, v7
	s_delay_alu instid0(VALU_DEP_4)
	v_dual_fmac_f32 v210, v159, v4 :: v_dual_add_f32 v3, 0, v3
	s_wait_loadcnt_dscnt 0x100
	v_mul_f32_e32 v233, v208, v205
	v_fma_f32 v4, v158, v4, -v5
	v_dual_add_f32 v5, 0, v26 :: v_dual_fmac_f32 v212, v163, v8
	v_mul_f32_e32 v7, v163, v9
	v_fma_f32 v2, v160, v6, -v2
	s_delay_alu instid0(VALU_DEP_4)
	v_add_f32_e32 v3, v3, v4
	v_fmac_f32_e32 v211, v161, v6
	v_add_f32_e32 v4, v5, v210
	v_mul_f32_e32 v5, v165, v11
	v_fma_f32 v6, v162, v8, -v7
	v_add_f32_e32 v2, v3, v2
	v_dual_mul_f32 v214, v166, v13 :: v_dual_mul_f32 v215, v168, v15
	v_dual_add_f32 v3, v4, v211 :: v_dual_mul_f32 v4, v167, v13
	v_fma_f32 v5, v164, v10, -v5
	s_delay_alu instid0(VALU_DEP_4)
	v_add_f32_e32 v2, v2, v6
	v_fmac_f32_e32 v213, v165, v10
	v_mul_f32_e32 v6, v169, v15
	v_fmac_f32_e32 v214, v167, v12
	v_add_f32_e32 v3, v3, v212
	v_fma_f32 v4, v166, v12, -v4
	v_add_f32_e32 v2, v2, v5
	v_dual_mul_f32 v216, v170, v17 :: v_dual_mul_f32 v217, v172, v19
	s_delay_alu instid0(VALU_DEP_4)
	v_add_f32_e32 v3, v3, v213
	v_mul_f32_e32 v5, v171, v17
	v_fma_f32 v6, v168, v14, -v6
	v_dual_add_f32 v2, v2, v4 :: v_dual_fmac_f32 v215, v169, v14
	v_fmac_f32_e32 v216, v171, v16
	v_mul_f32_e32 v4, v173, v19
	v_fma_f32 v5, v170, v16, -v5
	s_delay_alu instid0(VALU_DEP_4) | instskip(SKIP_3) | instid1(VALU_DEP_3)
	v_add_f32_e32 v2, v2, v6
	v_add_f32_e32 v3, v3, v214
	v_dual_mul_f32 v6, v175, v21 :: v_dual_fmac_f32 v217, v173, v18
	v_fma_f32 v4, v172, v18, -v4
	v_dual_add_f32 v2, v2, v5 :: v_dual_add_f32 v3, v3, v215
	v_dual_mul_f32 v218, v174, v21 :: v_dual_mul_f32 v219, v176, v23
	v_mul_f32_e32 v5, v177, v23
	v_fma_f32 v6, v174, v20, -v6
	s_delay_alu instid0(VALU_DEP_4) | instskip(SKIP_4) | instid1(VALU_DEP_4)
	v_add_f32_e32 v2, v2, v4
	v_add_f32_e32 v3, v3, v216
	v_fmac_f32_e32 v218, v175, v20
	v_dual_mul_f32 v4, v179, v25 :: v_dual_fmac_f32 v219, v177, v22
	v_fma_f32 v5, v176, v22, -v5
	v_dual_add_f32 v2, v2, v6 :: v_dual_add_f32 v3, v3, v217
	v_mul_f32_e32 v6, v181, v133
	s_delay_alu instid0(VALU_DEP_4) | instskip(SKIP_1) | instid1(VALU_DEP_4)
	v_fma_f32 v4, v178, v24, -v4
	v_dual_mul_f32 v221, v180, v133 :: v_dual_mul_f32 v222, v182, v135
	v_dual_add_f32 v3, v3, v218 :: v_dual_add_f32 v2, v2, v5
	s_delay_alu instid0(VALU_DEP_4) | instskip(SKIP_1) | instid1(VALU_DEP_4)
	v_fma_f32 v6, v180, v132, -v6
	v_fmac_f32_e32 v220, v179, v24
	v_dual_fmac_f32 v221, v181, v132 :: v_dual_fmac_f32 v222, v183, v134
	s_delay_alu instid0(VALU_DEP_4) | instskip(SKIP_3) | instid1(VALU_DEP_3)
	v_add_f32_e32 v3, v3, v219
	v_dual_mul_f32 v5, v183, v135 :: v_dual_add_f32 v2, v2, v4
	v_dual_mul_f32 v223, v184, v137 :: v_dual_mul_f32 v224, v186, v139
	v_mul_f32_e32 v4, v185, v137
	v_fma_f32 v5, v182, v134, -v5
	s_delay_alu instid0(VALU_DEP_4) | instskip(NEXT) | instid1(VALU_DEP_4)
	v_add_f32_e32 v2, v2, v6
	v_dual_mul_f32 v6, v187, v139 :: v_dual_fmac_f32 v223, v185, v136
	s_delay_alu instid0(VALU_DEP_4) | instskip(SKIP_1) | instid1(VALU_DEP_4)
	v_fma_f32 v4, v184, v136, -v4
	v_dual_mul_f32 v225, v188, v141 :: v_dual_mul_f32 v226, v190, v143
	v_add_f32_e32 v2, v2, v5
	v_mul_f32_e32 v5, v189, v141
	v_add_f32_e32 v3, v3, v220
	s_delay_alu instid0(VALU_DEP_4) | instskip(SKIP_2) | instid1(VALU_DEP_4)
	v_dual_fmac_f32 v224, v187, v138 :: v_dual_fmac_f32 v225, v189, v140
	v_fma_f32 v6, v186, v138, -v6
	v_dual_mul_f32 v227, v192, v145 :: v_dual_mul_f32 v228, v194, v147
	v_add_f32_e32 v3, v3, v221
	v_dual_mul_f32 v229, v196, v149 :: v_dual_mul_f32 v230, v198, v151
	v_fma_f32 v5, v188, v140, -v5
	v_fmac_f32_e32 v226, v191, v142
	s_delay_alu instid0(VALU_DEP_4) | instskip(SKIP_2) | instid1(VALU_DEP_3)
	v_dual_add_f32 v3, v3, v222 :: v_dual_add_f32 v2, v2, v4
	v_dual_mul_f32 v4, v191, v143 :: v_dual_fmac_f32 v227, v193, v144
	v_fmac_f32_e32 v229, v197, v148
	v_dual_add_f32 v3, v3, v223 :: v_dual_add_f32 v2, v2, v6
	v_mul_f32_e32 v6, v193, v145
	s_delay_alu instid0(VALU_DEP_4) | instskip(SKIP_1) | instid1(VALU_DEP_4)
	v_fma_f32 v4, v190, v142, -v4
	v_fmac_f32_e32 v228, v195, v146
	v_add_f32_e32 v3, v3, v224
	v_dual_mul_f32 v231, v200, v153 :: v_dual_mul_f32 v232, v202, v155
	v_dual_fmac_f32 v230, v199, v150 :: v_dual_fmac_f32 v233, v209, v204
	s_delay_alu instid0(VALU_DEP_3) | instskip(SKIP_3) | instid1(VALU_DEP_3)
	v_add_f32_e32 v3, v3, v225
	v_dual_add_f32 v2, v2, v5 :: v_dual_mul_f32 v5, v195, v147
	v_fma_f32 v6, v192, v144, -v6
	v_fmac_f32_e32 v231, v201, v152
	v_dual_add_f32 v3, v3, v226 :: v_dual_add_f32 v2, v2, v4
	v_mul_f32_e32 v4, v197, v149
	v_fma_f32 v5, v194, v146, -v5
	v_fmac_f32_e32 v232, v203, v154
	s_delay_alu instid0(VALU_DEP_4) | instskip(SKIP_2) | instid1(VALU_DEP_3)
	v_dual_add_f32 v3, v3, v227 :: v_dual_add_f32 v2, v2, v6
	v_mul_f32_e32 v6, v199, v151
	v_fma_f32 v4, v196, v148, -v4
	v_add_f32_e32 v2, v2, v5
	v_mul_f32_e32 v5, v201, v153
	v_add_f32_e32 v3, v3, v228
	v_fma_f32 v6, v198, v150, -v6
	s_delay_alu instid0(VALU_DEP_3) | instskip(NEXT) | instid1(VALU_DEP_3)
	v_fma_f32 v5, v200, v152, -v5
	v_add_f32_e32 v3, v3, v229
	s_delay_alu instid0(VALU_DEP_1) | instskip(SKIP_1) | instid1(VALU_DEP_2)
	v_dual_add_f32 v3, v3, v230 :: v_dual_add_f32 v2, v2, v4
	v_mul_f32_e32 v4, v203, v155
	v_dual_add_f32 v3, v3, v231 :: v_dual_add_f32 v2, v2, v6
	v_mul_f32_e32 v6, v209, v205
	s_delay_alu instid0(VALU_DEP_3) | instskip(NEXT) | instid1(VALU_DEP_3)
	v_fma_f32 v4, v202, v154, -v4
	v_add_f32_e32 v3, v3, v232
	s_delay_alu instid0(VALU_DEP_1) | instskip(SKIP_3) | instid1(VALU_DEP_2)
	v_add_f32_e32 v3, v3, v233
	v_add_f32_e32 v2, v2, v5
	v_fma_f32 v5, v208, v204, -v6
	s_wait_loadcnt 0x0
	v_dual_sub_f32 v3, v207, v3 :: v_dual_add_f32 v2, v2, v4
	s_delay_alu instid0(VALU_DEP_1) | instskip(NEXT) | instid1(VALU_DEP_1)
	v_add_f32_e32 v2, v2, v5
	v_sub_f32_e32 v2, v206, v2
	scratch_store_b64 off, v[2:3], off offset:208
	v_cmpx_lt_u32_e32 25, v0
	s_cbranch_execz .LBB115_275
; %bb.274:
	scratch_load_b64 v[3:4], off, off offset:200
	v_mov_b32_e32 v2, v1
	scratch_store_b64 off, v[1:2], off offset:200
	s_wait_loadcnt 0x0
	ds_store_b64 v27, v[3:4]
.LBB115_275:
	s_wait_alu 0xfffe
	s_or_b32 exec_lo, exec_lo, s0
	s_wait_storecnt_dscnt 0x0
	s_barrier_signal -1
	s_barrier_wait -1
	global_inv scope:SCOPE_SE
	s_clause 0xd
	scratch_load_b128 v[2:5], off, off offset:208
	scratch_load_b128 v[6:9], off, off offset:224
	scratch_load_b128 v[10:13], off, off offset:240
	scratch_load_b128 v[14:17], off, off offset:256
	scratch_load_b128 v[18:21], off, off offset:272
	scratch_load_b128 v[22:25], off, off offset:288
	scratch_load_b128 v[132:135], off, off offset:304
	scratch_load_b128 v[136:139], off, off offset:320
	scratch_load_b128 v[140:143], off, off offset:336
	scratch_load_b128 v[144:147], off, off offset:352
	scratch_load_b128 v[148:151], off, off offset:368
	scratch_load_b128 v[152:155], off, off offset:384
	scratch_load_b128 v[156:159], off, off offset:400
	scratch_load_b64 v[212:213], off, off offset:200
	ds_load_b128 v[160:163], v1 offset:624
	ds_load_b128 v[164:167], v1 offset:640
	ds_load_b128 v[168:171], v1 offset:656
	ds_load_b128 v[172:175], v1 offset:672
	ds_load_b128 v[176:179], v1 offset:688
	ds_load_b128 v[180:183], v1 offset:704
	ds_load_b128 v[184:187], v1 offset:720
	ds_load_b128 v[188:191], v1 offset:736
	ds_load_b128 v[192:195], v1 offset:752
	ds_load_b128 v[196:199], v1 offset:768
	ds_load_b128 v[200:203], v1 offset:784
	ds_load_b128 v[204:207], v1 offset:800
	ds_load_b128 v[208:211], v1 offset:816
	s_mov_b32 s0, exec_lo
	s_wait_loadcnt_dscnt 0xd0c
	v_dual_mul_f32 v1, v160, v3 :: v_dual_mul_f32 v26, v162, v5
	s_wait_loadcnt_dscnt 0xc0b
	v_dual_mul_f32 v5, v163, v5 :: v_dual_mul_f32 v214, v164, v7
	v_mul_f32_e32 v215, v166, v9
	s_wait_loadcnt_dscnt 0xb0a
	v_dual_fmac_f32 v1, v161, v2 :: v_dual_mul_f32 v216, v168, v11
	v_mul_f32_e32 v217, v170, v13
	v_dual_mul_f32 v3, v161, v3 :: v_dual_fmac_f32 v26, v163, v4
	s_wait_loadcnt_dscnt 0xa09
	v_dual_mul_f32 v218, v172, v15 :: v_dual_mul_f32 v219, v174, v17
	s_wait_loadcnt_dscnt 0x201
	v_mul_f32_e32 v234, v204, v153
	v_fma_f32 v3, v160, v2, -v3
	s_wait_loadcnt_dscnt 0x100
	v_mul_f32_e32 v237, v210, v159
	v_mul_f32_e32 v2, v165, v7
	v_fma_f32 v4, v162, v4, -v5
	v_dual_mul_f32 v5, v167, v9 :: v_dual_fmac_f32 v216, v169, v10
	v_dual_add_f32 v3, 0, v3 :: v_dual_fmac_f32 v214, v165, v6
	s_delay_alu instid0(VALU_DEP_4) | instskip(NEXT) | instid1(VALU_DEP_3)
	v_fma_f32 v2, v164, v6, -v2
	v_fma_f32 v5, v166, v8, -v5
	s_delay_alu instid0(VALU_DEP_3) | instskip(SKIP_2) | instid1(VALU_DEP_3)
	v_dual_fmac_f32 v218, v173, v14 :: v_dual_add_f32 v3, v3, v4
	v_dual_mul_f32 v220, v176, v19 :: v_dual_mul_f32 v221, v178, v21
	v_dual_mul_f32 v222, v180, v23 :: v_dual_mul_f32 v223, v182, v25
	v_add_f32_e32 v2, v3, v2
	s_delay_alu instid0(VALU_DEP_3) | instskip(SKIP_1) | instid1(VALU_DEP_3)
	v_dual_mul_f32 v3, v171, v13 :: v_dual_fmac_f32 v220, v177, v18
	v_dual_mul_f32 v4, v169, v11 :: v_dual_fmac_f32 v219, v175, v16
	v_add_f32_e32 v2, v2, v5
	v_add_f32_e32 v1, 0, v1
	s_delay_alu instid0(VALU_DEP_4) | instskip(NEXT) | instid1(VALU_DEP_4)
	v_fma_f32 v3, v170, v12, -v3
	v_fma_f32 v4, v168, v10, -v4
	v_dual_mul_f32 v224, v184, v133 :: v_dual_mul_f32 v225, v186, v135
	s_delay_alu instid0(VALU_DEP_4) | instskip(SKIP_1) | instid1(VALU_DEP_4)
	v_dual_add_f32 v1, v1, v26 :: v_dual_mul_f32 v228, v192, v141
	v_mul_f32_e32 v229, v194, v143
	v_add_f32_e32 v2, v2, v4
	s_delay_alu instid0(VALU_DEP_3) | instskip(SKIP_2) | instid1(VALU_DEP_3)
	v_dual_mul_f32 v4, v175, v17 :: v_dual_add_f32 v1, v1, v214
	v_dual_fmac_f32 v215, v167, v8 :: v_dual_mul_f32 v226, v188, v137
	v_mul_f32_e32 v227, v190, v139
	v_fma_f32 v4, v174, v16, -v4
	v_mul_f32_e32 v5, v173, v15
	v_add_f32_e32 v2, v2, v3
	v_add_f32_e32 v1, v1, v215
	v_dual_fmac_f32 v223, v183, v24 :: v_dual_mul_f32 v230, v196, v145
	v_mul_f32_e32 v231, v198, v147
	v_fma_f32 v5, v172, v14, -v5
	v_dual_fmac_f32 v217, v171, v12 :: v_dual_fmac_f32 v222, v181, v22
	v_dual_mul_f32 v232, v200, v149 :: v_dual_mul_f32 v233, v202, v151
	s_delay_alu instid0(VALU_DEP_3) | instskip(SKIP_2) | instid1(VALU_DEP_3)
	v_add_f32_e32 v2, v2, v5
	v_mul_f32_e32 v5, v179, v21
	v_dual_fmac_f32 v225, v187, v134 :: v_dual_fmac_f32 v226, v189, v136
	v_dual_fmac_f32 v231, v199, v146 :: v_dual_add_f32 v2, v2, v4
	s_delay_alu instid0(VALU_DEP_3) | instskip(SKIP_4) | instid1(VALU_DEP_4)
	v_fma_f32 v5, v178, v20, -v5
	v_mul_f32_e32 v3, v177, v19
	v_mul_f32_e32 v4, v181, v23
	v_dual_mul_f32 v235, v206, v155 :: v_dual_mul_f32 v236, v208, v157
	v_fmac_f32_e32 v224, v185, v132
	v_fma_f32 v3, v176, v18, -v3
	v_add_f32_e32 v1, v1, v216
	v_fma_f32 v4, v180, v22, -v4
	v_dual_fmac_f32 v229, v195, v142 :: v_dual_fmac_f32 v232, v201, v148
	s_delay_alu instid0(VALU_DEP_4) | instskip(SKIP_2) | instid1(VALU_DEP_3)
	v_dual_add_f32 v2, v2, v3 :: v_dual_mul_f32 v3, v183, v25
	v_fmac_f32_e32 v235, v207, v154
	v_dual_fmac_f32 v237, v211, v158 :: v_dual_fmac_f32 v228, v193, v140
	v_add_f32_e32 v2, v2, v5
	v_add_f32_e32 v1, v1, v217
	v_fma_f32 v3, v182, v24, -v3
	v_fmac_f32_e32 v230, v197, v144
	v_fmac_f32_e32 v234, v205, v152
	s_delay_alu instid0(VALU_DEP_4) | instskip(SKIP_3) | instid1(VALU_DEP_4)
	v_dual_add_f32 v2, v2, v4 :: v_dual_add_f32 v1, v1, v218
	v_mul_f32_e32 v4, v187, v135
	v_fmac_f32_e32 v221, v179, v20
	v_fmac_f32_e32 v236, v209, v156
	v_dual_add_f32 v2, v2, v3 :: v_dual_mul_f32 v3, v189, v137
	s_delay_alu instid0(VALU_DEP_4) | instskip(SKIP_1) | instid1(VALU_DEP_3)
	v_fma_f32 v4, v186, v134, -v4
	v_mul_f32_e32 v5, v185, v133
	v_fma_f32 v3, v188, v136, -v3
	s_delay_alu instid0(VALU_DEP_2) | instskip(NEXT) | instid1(VALU_DEP_1)
	v_fma_f32 v5, v184, v132, -v5
	v_dual_add_f32 v1, v1, v219 :: v_dual_add_f32 v2, v2, v5
	s_delay_alu instid0(VALU_DEP_1) | instskip(NEXT) | instid1(VALU_DEP_2)
	v_dual_mul_f32 v5, v191, v139 :: v_dual_add_f32 v2, v2, v4
	v_add_f32_e32 v1, v1, v220
	v_mul_f32_e32 v4, v193, v141
	s_delay_alu instid0(VALU_DEP_3) | instskip(NEXT) | instid1(VALU_DEP_4)
	v_fma_f32 v5, v190, v138, -v5
	v_dual_add_f32 v2, v2, v3 :: v_dual_fmac_f32 v227, v191, v138
	v_mul_f32_e32 v3, v195, v143
	s_delay_alu instid0(VALU_DEP_4) | instskip(NEXT) | instid1(VALU_DEP_3)
	v_fma_f32 v4, v192, v140, -v4
	v_add_f32_e32 v2, v2, v5
	v_add_f32_e32 v1, v1, v221
	s_delay_alu instid0(VALU_DEP_4) | instskip(NEXT) | instid1(VALU_DEP_3)
	v_fma_f32 v3, v194, v142, -v3
	v_dual_add_f32 v2, v2, v4 :: v_dual_mul_f32 v5, v197, v145
	s_delay_alu instid0(VALU_DEP_3) | instskip(NEXT) | instid1(VALU_DEP_2)
	v_dual_add_f32 v1, v1, v222 :: v_dual_mul_f32 v4, v199, v147
	v_add_f32_e32 v2, v2, v3
	s_delay_alu instid0(VALU_DEP_3) | instskip(NEXT) | instid1(VALU_DEP_3)
	v_fma_f32 v5, v196, v144, -v5
	v_add_f32_e32 v1, v1, v223
	v_mul_f32_e32 v3, v201, v149
	v_fma_f32 v4, v198, v146, -v4
	s_delay_alu instid0(VALU_DEP_4) | instskip(NEXT) | instid1(VALU_DEP_3)
	v_dual_add_f32 v2, v2, v5 :: v_dual_mul_f32 v5, v203, v151
	v_fma_f32 v3, v200, v148, -v3
	s_delay_alu instid0(VALU_DEP_2) | instskip(SKIP_3) | instid1(VALU_DEP_4)
	v_add_f32_e32 v2, v2, v4
	v_add_f32_e32 v1, v1, v224
	v_mul_f32_e32 v4, v205, v153
	v_fma_f32 v5, v202, v150, -v5
	v_dual_add_f32 v2, v2, v3 :: v_dual_fmac_f32 v233, v203, v150
	v_mul_f32_e32 v3, v207, v155
	s_delay_alu instid0(VALU_DEP_4) | instskip(NEXT) | instid1(VALU_DEP_3)
	v_fma_f32 v4, v204, v152, -v4
	v_add_f32_e32 v2, v2, v5
	v_add_f32_e32 v1, v1, v225
	s_delay_alu instid0(VALU_DEP_4) | instskip(NEXT) | instid1(VALU_DEP_2)
	v_fma_f32 v3, v206, v154, -v3
	v_dual_add_f32 v2, v2, v4 :: v_dual_add_f32 v1, v1, v226
	v_dual_mul_f32 v4, v211, v159 :: v_dual_mul_f32 v5, v209, v157
	s_delay_alu instid0(VALU_DEP_2) | instskip(NEXT) | instid1(VALU_DEP_2)
	v_add_f32_e32 v2, v2, v3
	v_fma_f32 v3, v210, v158, -v4
	s_delay_alu instid0(VALU_DEP_3) | instskip(NEXT) | instid1(VALU_DEP_1)
	v_fma_f32 v5, v208, v156, -v5
	v_dual_add_f32 v1, v1, v227 :: v_dual_add_f32 v2, v2, v5
	s_delay_alu instid0(VALU_DEP_1) | instskip(NEXT) | instid1(VALU_DEP_1)
	v_dual_add_f32 v1, v1, v228 :: v_dual_add_f32 v2, v2, v3
	v_add_f32_e32 v1, v1, v229
	s_delay_alu instid0(VALU_DEP_1) | instskip(NEXT) | instid1(VALU_DEP_1)
	v_add_f32_e32 v1, v1, v230
	v_add_f32_e32 v1, v1, v231
	s_delay_alu instid0(VALU_DEP_1) | instskip(NEXT) | instid1(VALU_DEP_1)
	v_add_f32_e32 v1, v1, v232
	;; [unrolled: 3-line block ×4, first 2 shown]
	v_add_f32_e32 v3, v1, v237
	s_wait_loadcnt 0x0
	s_delay_alu instid0(VALU_DEP_1)
	v_dual_sub_f32 v1, v212, v2 :: v_dual_sub_f32 v2, v213, v3
	scratch_store_b64 off, v[1:2], off offset:200
	v_cmpx_lt_u32_e32 24, v0
	s_cbranch_execz .LBB115_277
; %bb.276:
	scratch_load_b64 v[1:2], off, off offset:192
	v_mov_b32_e32 v3, 0
	s_delay_alu instid0(VALU_DEP_1)
	v_mov_b32_e32 v4, v3
	scratch_store_b64 off, v[3:4], off offset:192
	s_wait_loadcnt 0x0
	ds_store_b64 v27, v[1:2]
.LBB115_277:
	s_wait_alu 0xfffe
	s_or_b32 exec_lo, exec_lo, s0
	s_wait_storecnt_dscnt 0x0
	s_barrier_signal -1
	s_barrier_wait -1
	global_inv scope:SCOPE_SE
	s_clause 0xe
	scratch_load_b128 v[2:5], off, off offset:200
	scratch_load_b128 v[6:9], off, off offset:216
	;; [unrolled: 1-line block ×13, first 2 shown]
	scratch_load_b64 v[212:213], off, off offset:408
	scratch_load_b64 v[214:215], off, off offset:192
	v_mov_b32_e32 v1, 0
	ds_load_2addr_b64 v[160:163], v1 offset0:77 offset1:78
	ds_load_2addr_b64 v[164:167], v1 offset0:79 offset1:80
	;; [unrolled: 1-line block ×13, first 2 shown]
	ds_load_b64 v[216:217], v1 offset:824
	s_mov_b32 s0, exec_lo
	s_wait_loadcnt_dscnt 0xe0d
	v_mul_f32_e32 v26, v160, v3
	v_dual_mul_f32 v3, v161, v3 :: v_dual_mul_f32 v218, v162, v5
	s_wait_loadcnt_dscnt 0xd0c
	v_mul_f32_e32 v219, v164, v7
	v_mul_f32_e32 v5, v163, v5
	s_wait_loadcnt_dscnt 0x908
	v_mul_f32_e32 v228, v182, v25
	v_fma_f32 v3, v160, v2, -v3
	v_dual_mul_f32 v220, v166, v9 :: v_dual_mul_f32 v221, v168, v11
	v_fmac_f32_e32 v26, v161, v2
	v_mul_f32_e32 v2, v165, v7
	s_delay_alu instid0(VALU_DEP_4)
	v_dual_fmac_f32 v218, v163, v4 :: v_dual_add_f32 v3, 0, v3
	s_wait_loadcnt_dscnt 0x100
	v_mul_f32_e32 v243, v216, v213
	v_fma_f32 v4, v162, v4, -v5
	v_dual_add_f32 v5, 0, v26 :: v_dual_fmac_f32 v220, v167, v8
	v_mul_f32_e32 v7, v167, v9
	v_fma_f32 v2, v164, v6, -v2
	s_delay_alu instid0(VALU_DEP_4)
	v_add_f32_e32 v3, v3, v4
	v_fmac_f32_e32 v219, v165, v6
	v_add_f32_e32 v4, v5, v218
	v_mul_f32_e32 v5, v169, v11
	v_fma_f32 v6, v166, v8, -v7
	v_add_f32_e32 v2, v3, v2
	v_dual_mul_f32 v222, v170, v13 :: v_dual_mul_f32 v223, v172, v15
	v_dual_add_f32 v3, v4, v219 :: v_dual_mul_f32 v4, v171, v13
	v_fma_f32 v5, v168, v10, -v5
	s_delay_alu instid0(VALU_DEP_4)
	v_add_f32_e32 v2, v2, v6
	v_fmac_f32_e32 v221, v169, v10
	v_mul_f32_e32 v6, v173, v15
	v_fmac_f32_e32 v222, v171, v12
	v_add_f32_e32 v3, v3, v220
	v_fma_f32 v4, v170, v12, -v4
	v_add_f32_e32 v2, v2, v5
	v_dual_mul_f32 v224, v174, v17 :: v_dual_mul_f32 v225, v176, v19
	s_delay_alu instid0(VALU_DEP_4)
	v_add_f32_e32 v3, v3, v221
	v_mul_f32_e32 v5, v175, v17
	v_fma_f32 v6, v172, v14, -v6
	v_dual_add_f32 v2, v2, v4 :: v_dual_fmac_f32 v223, v173, v14
	v_fmac_f32_e32 v224, v175, v16
	v_mul_f32_e32 v4, v177, v19
	v_fma_f32 v5, v174, v16, -v5
	s_delay_alu instid0(VALU_DEP_4) | instskip(SKIP_3) | instid1(VALU_DEP_3)
	v_add_f32_e32 v2, v2, v6
	v_add_f32_e32 v3, v3, v222
	v_dual_mul_f32 v6, v179, v21 :: v_dual_fmac_f32 v225, v177, v18
	v_fma_f32 v4, v176, v18, -v4
	v_dual_add_f32 v2, v2, v5 :: v_dual_add_f32 v3, v3, v223
	v_dual_mul_f32 v226, v178, v21 :: v_dual_mul_f32 v227, v180, v23
	v_mul_f32_e32 v5, v181, v23
	v_fma_f32 v6, v178, v20, -v6
	s_delay_alu instid0(VALU_DEP_4) | instskip(SKIP_4) | instid1(VALU_DEP_4)
	v_add_f32_e32 v2, v2, v4
	v_add_f32_e32 v3, v3, v224
	v_fmac_f32_e32 v226, v179, v20
	v_dual_mul_f32 v4, v183, v25 :: v_dual_fmac_f32 v227, v181, v22
	v_fma_f32 v5, v180, v22, -v5
	v_dual_add_f32 v2, v2, v6 :: v_dual_add_f32 v3, v3, v225
	v_mul_f32_e32 v6, v185, v133
	s_delay_alu instid0(VALU_DEP_4) | instskip(SKIP_1) | instid1(VALU_DEP_4)
	v_fma_f32 v4, v182, v24, -v4
	v_dual_mul_f32 v229, v184, v133 :: v_dual_mul_f32 v230, v186, v135
	v_dual_add_f32 v3, v3, v226 :: v_dual_add_f32 v2, v2, v5
	s_delay_alu instid0(VALU_DEP_4) | instskip(SKIP_1) | instid1(VALU_DEP_4)
	v_fma_f32 v6, v184, v132, -v6
	v_fmac_f32_e32 v228, v183, v24
	v_dual_fmac_f32 v229, v185, v132 :: v_dual_fmac_f32 v230, v187, v134
	s_delay_alu instid0(VALU_DEP_4) | instskip(SKIP_3) | instid1(VALU_DEP_3)
	v_add_f32_e32 v3, v3, v227
	v_dual_mul_f32 v5, v187, v135 :: v_dual_add_f32 v2, v2, v4
	v_dual_mul_f32 v231, v188, v137 :: v_dual_mul_f32 v232, v190, v139
	v_mul_f32_e32 v4, v189, v137
	v_fma_f32 v5, v186, v134, -v5
	s_delay_alu instid0(VALU_DEP_4) | instskip(NEXT) | instid1(VALU_DEP_4)
	v_add_f32_e32 v2, v2, v6
	v_dual_mul_f32 v6, v191, v139 :: v_dual_fmac_f32 v231, v189, v136
	s_delay_alu instid0(VALU_DEP_4) | instskip(SKIP_1) | instid1(VALU_DEP_4)
	v_fma_f32 v4, v188, v136, -v4
	v_dual_mul_f32 v233, v192, v141 :: v_dual_mul_f32 v234, v194, v143
	v_add_f32_e32 v2, v2, v5
	v_mul_f32_e32 v5, v193, v141
	v_add_f32_e32 v3, v3, v228
	s_delay_alu instid0(VALU_DEP_4) | instskip(SKIP_2) | instid1(VALU_DEP_4)
	v_dual_fmac_f32 v232, v191, v138 :: v_dual_fmac_f32 v233, v193, v140
	v_fma_f32 v6, v190, v138, -v6
	v_dual_mul_f32 v235, v196, v145 :: v_dual_mul_f32 v236, v198, v147
	v_add_f32_e32 v3, v3, v229
	v_dual_mul_f32 v237, v200, v149 :: v_dual_mul_f32 v238, v202, v151
	v_fma_f32 v5, v192, v140, -v5
	v_fmac_f32_e32 v234, v195, v142
	s_delay_alu instid0(VALU_DEP_4) | instskip(SKIP_2) | instid1(VALU_DEP_3)
	v_dual_add_f32 v3, v3, v230 :: v_dual_add_f32 v2, v2, v4
	v_dual_mul_f32 v4, v195, v143 :: v_dual_fmac_f32 v235, v197, v144
	v_fmac_f32_e32 v237, v201, v148
	v_dual_add_f32 v3, v3, v231 :: v_dual_add_f32 v2, v2, v6
	v_mul_f32_e32 v6, v197, v145
	s_delay_alu instid0(VALU_DEP_4) | instskip(SKIP_1) | instid1(VALU_DEP_4)
	v_fma_f32 v4, v194, v142, -v4
	v_dual_mul_f32 v241, v208, v157 :: v_dual_mul_f32 v242, v210, v159
	v_add_f32_e32 v3, v3, v232
	v_dual_fmac_f32 v236, v199, v146 :: v_dual_mul_f32 v239, v204, v153
	v_mul_f32_e32 v240, v206, v155
	s_delay_alu instid0(VALU_DEP_4) | instskip(NEXT) | instid1(VALU_DEP_4)
	v_dual_fmac_f32 v238, v203, v150 :: v_dual_fmac_f32 v241, v209, v156
	v_add_f32_e32 v3, v3, v233
	v_dual_add_f32 v2, v2, v5 :: v_dual_mul_f32 v5, v199, v147
	v_fma_f32 v6, v196, v144, -v6
	v_fmac_f32_e32 v239, v205, v152
	s_delay_alu instid0(VALU_DEP_3) | instskip(SKIP_3) | instid1(VALU_DEP_4)
	v_dual_add_f32 v3, v3, v234 :: v_dual_add_f32 v2, v2, v4
	v_mul_f32_e32 v4, v201, v149
	v_fma_f32 v5, v198, v146, -v5
	v_fmac_f32_e32 v240, v207, v154
	v_dual_add_f32 v3, v3, v235 :: v_dual_add_f32 v2, v2, v6
	v_mul_f32_e32 v6, v203, v151
	v_fma_f32 v4, v200, v148, -v4
	v_dual_fmac_f32 v243, v217, v212 :: v_dual_fmac_f32 v242, v211, v158
	s_delay_alu instid0(VALU_DEP_4) | instskip(SKIP_3) | instid1(VALU_DEP_3)
	v_add_f32_e32 v2, v2, v5
	v_mul_f32_e32 v5, v205, v153
	v_add_f32_e32 v3, v3, v236
	v_fma_f32 v6, v202, v150, -v6
	v_fma_f32 v5, v204, v152, -v5
	s_delay_alu instid0(VALU_DEP_3) | instskip(NEXT) | instid1(VALU_DEP_1)
	v_add_f32_e32 v3, v3, v237
	v_dual_add_f32 v3, v3, v238 :: v_dual_add_f32 v2, v2, v4
	v_mul_f32_e32 v4, v207, v155
	s_delay_alu instid0(VALU_DEP_2) | instskip(SKIP_1) | instid1(VALU_DEP_3)
	v_dual_add_f32 v3, v3, v239 :: v_dual_add_f32 v2, v2, v6
	v_mul_f32_e32 v6, v209, v157
	v_fma_f32 v4, v206, v154, -v4
	s_delay_alu instid0(VALU_DEP_3) | instskip(SKIP_1) | instid1(VALU_DEP_4)
	v_dual_add_f32 v3, v3, v240 :: v_dual_add_f32 v2, v2, v5
	v_mul_f32_e32 v5, v211, v159
	v_fma_f32 v6, v208, v156, -v6
	s_delay_alu instid0(VALU_DEP_3) | instskip(SKIP_1) | instid1(VALU_DEP_4)
	v_dual_add_f32 v3, v3, v241 :: v_dual_add_f32 v2, v2, v4
	v_mul_f32_e32 v4, v217, v213
	v_fma_f32 v5, v210, v158, -v5
	s_delay_alu instid0(VALU_DEP_3) | instskip(NEXT) | instid1(VALU_DEP_4)
	v_add_f32_e32 v3, v3, v242
	v_add_f32_e32 v2, v2, v6
	s_delay_alu instid0(VALU_DEP_4) | instskip(NEXT) | instid1(VALU_DEP_2)
	v_fma_f32 v4, v216, v212, -v4
	v_dual_add_f32 v3, v3, v243 :: v_dual_add_f32 v2, v2, v5
	s_wait_loadcnt 0x0
	s_delay_alu instid0(VALU_DEP_1) | instskip(NEXT) | instid1(VALU_DEP_1)
	v_dual_sub_f32 v3, v215, v3 :: v_dual_add_f32 v2, v2, v4
	v_sub_f32_e32 v2, v214, v2
	scratch_store_b64 off, v[2:3], off offset:192
	v_cmpx_lt_u32_e32 23, v0
	s_cbranch_execz .LBB115_279
; %bb.278:
	scratch_load_b64 v[3:4], off, off offset:184
	v_mov_b32_e32 v2, v1
	scratch_store_b64 off, v[1:2], off offset:184
	s_wait_loadcnt 0x0
	ds_store_b64 v27, v[3:4]
.LBB115_279:
	s_wait_alu 0xfffe
	s_or_b32 exec_lo, exec_lo, s0
	s_wait_storecnt_dscnt 0x0
	s_barrier_signal -1
	s_barrier_wait -1
	global_inv scope:SCOPE_SE
	s_clause 0xe
	scratch_load_b128 v[2:5], off, off offset:192
	scratch_load_b128 v[6:9], off, off offset:208
	;; [unrolled: 1-line block ×14, first 2 shown]
	scratch_load_b64 v[220:221], off, off offset:184
	ds_load_b128 v[164:167], v1 offset:608
	ds_load_b128 v[168:171], v1 offset:624
	;; [unrolled: 1-line block ×14, first 2 shown]
	s_mov_b32 s0, exec_lo
	s_wait_loadcnt_dscnt 0xe0d
	v_dual_mul_f32 v1, v164, v3 :: v_dual_mul_f32 v26, v166, v5
	s_wait_loadcnt_dscnt 0xd0c
	v_dual_mul_f32 v5, v167, v5 :: v_dual_mul_f32 v222, v168, v7
	v_mul_f32_e32 v223, v170, v9
	s_wait_loadcnt_dscnt 0xc0b
	v_dual_fmac_f32 v1, v165, v2 :: v_dual_mul_f32 v224, v172, v11
	v_mul_f32_e32 v225, v174, v13
	v_dual_mul_f32 v3, v165, v3 :: v_dual_fmac_f32 v26, v167, v4
	s_wait_loadcnt_dscnt 0xb0a
	v_dual_mul_f32 v226, v176, v15 :: v_dual_mul_f32 v227, v178, v17
	s_wait_loadcnt_dscnt 0x201
	v_mul_f32_e32 v244, v212, v157
	v_fma_f32 v3, v164, v2, -v3
	s_wait_loadcnt_dscnt 0x100
	v_mul_f32_e32 v247, v218, v163
	v_mul_f32_e32 v2, v169, v7
	v_fma_f32 v4, v166, v4, -v5
	v_dual_mul_f32 v5, v171, v9 :: v_dual_fmac_f32 v224, v173, v10
	v_dual_add_f32 v3, 0, v3 :: v_dual_fmac_f32 v222, v169, v6
	s_delay_alu instid0(VALU_DEP_4) | instskip(NEXT) | instid1(VALU_DEP_3)
	v_fma_f32 v2, v168, v6, -v2
	v_fma_f32 v5, v170, v8, -v5
	s_delay_alu instid0(VALU_DEP_3) | instskip(SKIP_2) | instid1(VALU_DEP_3)
	v_dual_fmac_f32 v226, v177, v14 :: v_dual_add_f32 v3, v3, v4
	v_dual_mul_f32 v228, v180, v19 :: v_dual_mul_f32 v229, v182, v21
	v_dual_mul_f32 v230, v184, v23 :: v_dual_mul_f32 v231, v186, v25
	v_add_f32_e32 v2, v3, v2
	s_delay_alu instid0(VALU_DEP_3) | instskip(SKIP_1) | instid1(VALU_DEP_3)
	v_dual_mul_f32 v3, v175, v13 :: v_dual_fmac_f32 v228, v181, v18
	v_dual_fmac_f32 v227, v179, v16 :: v_dual_mul_f32 v4, v173, v11
	v_add_f32_e32 v2, v2, v5
	v_add_f32_e32 v1, 0, v1
	s_delay_alu instid0(VALU_DEP_4) | instskip(SKIP_2) | instid1(VALU_DEP_4)
	v_fma_f32 v3, v174, v12, -v3
	v_dual_mul_f32 v232, v188, v133 :: v_dual_mul_f32 v233, v190, v135
	v_fma_f32 v4, v172, v10, -v4
	v_dual_add_f32 v1, v1, v26 :: v_dual_mul_f32 v236, v196, v141
	v_dual_mul_f32 v237, v198, v143 :: v_dual_mul_f32 v234, v192, v137
	v_mul_f32_e32 v235, v194, v139
	s_delay_alu instid0(VALU_DEP_3) | instskip(SKIP_2) | instid1(VALU_DEP_3)
	v_dual_add_f32 v2, v2, v4 :: v_dual_add_f32 v1, v1, v222
	v_mul_f32_e32 v4, v179, v17
	v_fmac_f32_e32 v223, v171, v8
	v_dual_fmac_f32 v231, v187, v24 :: v_dual_add_f32 v2, v2, v3
	v_dual_mul_f32 v238, v200, v145 :: v_dual_mul_f32 v239, v202, v147
	s_delay_alu instid0(VALU_DEP_4) | instskip(SKIP_3) | instid1(VALU_DEP_3)
	v_fma_f32 v4, v178, v16, -v4
	v_mul_f32_e32 v5, v177, v15
	v_dual_add_f32 v1, v1, v223 :: v_dual_mul_f32 v242, v208, v153
	v_dual_mul_f32 v243, v210, v155 :: v_dual_fmac_f32 v230, v185, v22
	v_fma_f32 v5, v176, v14, -v5
	v_dual_fmac_f32 v225, v175, v12 :: v_dual_mul_f32 v240, v204, v149
	v_mul_f32_e32 v241, v206, v151
	s_delay_alu instid0(VALU_DEP_3) | instskip(SKIP_3) | instid1(VALU_DEP_3)
	v_dual_fmac_f32 v239, v203, v146 :: v_dual_add_f32 v2, v2, v5
	v_mul_f32_e32 v5, v183, v21
	v_dual_fmac_f32 v233, v191, v134 :: v_dual_fmac_f32 v234, v193, v136
	v_dual_fmac_f32 v237, v199, v142 :: v_dual_fmac_f32 v240, v205, v148
	v_fma_f32 v5, v182, v20, -v5
	v_dual_mul_f32 v3, v181, v19 :: v_dual_add_f32 v2, v2, v4
	v_mul_f32_e32 v4, v185, v23
	v_dual_fmac_f32 v232, v189, v132 :: v_dual_mul_f32 v245, v214, v159
	v_mul_f32_e32 v246, v216, v161
	s_delay_alu instid0(VALU_DEP_4) | instskip(SKIP_2) | instid1(VALU_DEP_4)
	v_fma_f32 v3, v180, v18, -v3
	v_add_f32_e32 v1, v1, v224
	v_fma_f32 v4, v184, v22, -v4
	v_dual_fmac_f32 v243, v211, v154 :: v_dual_fmac_f32 v246, v217, v160
	s_delay_alu instid0(VALU_DEP_4) | instskip(SKIP_2) | instid1(VALU_DEP_3)
	v_dual_add_f32 v2, v2, v3 :: v_dual_mul_f32 v3, v187, v25
	v_fmac_f32_e32 v245, v215, v158
	v_dual_fmac_f32 v247, v219, v162 :: v_dual_fmac_f32 v236, v197, v140
	v_add_f32_e32 v2, v2, v5
	v_add_f32_e32 v1, v1, v225
	v_fma_f32 v3, v186, v24, -v3
	v_fmac_f32_e32 v238, v201, v144
	v_fmac_f32_e32 v242, v209, v152
	s_delay_alu instid0(VALU_DEP_4) | instskip(SKIP_3) | instid1(VALU_DEP_4)
	v_dual_add_f32 v2, v2, v4 :: v_dual_add_f32 v1, v1, v226
	v_mul_f32_e32 v4, v191, v135
	v_fmac_f32_e32 v229, v183, v20
	v_fmac_f32_e32 v244, v213, v156
	v_dual_add_f32 v2, v2, v3 :: v_dual_mul_f32 v3, v193, v137
	s_delay_alu instid0(VALU_DEP_4) | instskip(SKIP_1) | instid1(VALU_DEP_3)
	v_fma_f32 v4, v190, v134, -v4
	v_mul_f32_e32 v5, v189, v133
	v_fma_f32 v3, v192, v136, -v3
	s_delay_alu instid0(VALU_DEP_2) | instskip(NEXT) | instid1(VALU_DEP_1)
	v_fma_f32 v5, v188, v132, -v5
	v_dual_add_f32 v1, v1, v227 :: v_dual_add_f32 v2, v2, v5
	s_delay_alu instid0(VALU_DEP_1) | instskip(NEXT) | instid1(VALU_DEP_2)
	v_dual_mul_f32 v5, v195, v139 :: v_dual_add_f32 v2, v2, v4
	v_add_f32_e32 v1, v1, v228
	v_mul_f32_e32 v4, v197, v141
	s_delay_alu instid0(VALU_DEP_3) | instskip(NEXT) | instid1(VALU_DEP_4)
	v_fma_f32 v5, v194, v138, -v5
	v_dual_add_f32 v2, v2, v3 :: v_dual_fmac_f32 v235, v195, v138
	v_mul_f32_e32 v3, v199, v143
	s_delay_alu instid0(VALU_DEP_4) | instskip(NEXT) | instid1(VALU_DEP_3)
	v_fma_f32 v4, v196, v140, -v4
	v_add_f32_e32 v2, v2, v5
	v_add_f32_e32 v1, v1, v229
	s_delay_alu instid0(VALU_DEP_4) | instskip(NEXT) | instid1(VALU_DEP_3)
	v_fma_f32 v3, v198, v142, -v3
	v_dual_add_f32 v2, v2, v4 :: v_dual_mul_f32 v5, v201, v145
	s_delay_alu instid0(VALU_DEP_3) | instskip(NEXT) | instid1(VALU_DEP_2)
	v_dual_add_f32 v1, v1, v230 :: v_dual_mul_f32 v4, v203, v147
	v_add_f32_e32 v2, v2, v3
	s_delay_alu instid0(VALU_DEP_3) | instskip(NEXT) | instid1(VALU_DEP_3)
	v_fma_f32 v5, v200, v144, -v5
	v_add_f32_e32 v1, v1, v231
	v_mul_f32_e32 v3, v205, v149
	v_fma_f32 v4, v202, v146, -v4
	s_delay_alu instid0(VALU_DEP_4) | instskip(NEXT) | instid1(VALU_DEP_3)
	v_dual_add_f32 v2, v2, v5 :: v_dual_mul_f32 v5, v207, v151
	v_fma_f32 v3, v204, v148, -v3
	s_delay_alu instid0(VALU_DEP_2) | instskip(SKIP_3) | instid1(VALU_DEP_4)
	v_add_f32_e32 v2, v2, v4
	v_add_f32_e32 v1, v1, v232
	v_mul_f32_e32 v4, v209, v153
	v_fma_f32 v5, v206, v150, -v5
	v_dual_add_f32 v2, v2, v3 :: v_dual_fmac_f32 v241, v207, v150
	v_mul_f32_e32 v3, v211, v155
	s_delay_alu instid0(VALU_DEP_4) | instskip(NEXT) | instid1(VALU_DEP_3)
	v_fma_f32 v4, v208, v152, -v4
	v_add_f32_e32 v2, v2, v5
	v_add_f32_e32 v1, v1, v233
	s_delay_alu instid0(VALU_DEP_4) | instskip(NEXT) | instid1(VALU_DEP_3)
	v_fma_f32 v3, v210, v154, -v3
	v_dual_add_f32 v2, v2, v4 :: v_dual_mul_f32 v5, v213, v157
	s_delay_alu instid0(VALU_DEP_3) | instskip(NEXT) | instid1(VALU_DEP_2)
	v_dual_add_f32 v1, v1, v234 :: v_dual_mul_f32 v4, v215, v159
	v_add_f32_e32 v2, v2, v3
	s_delay_alu instid0(VALU_DEP_3) | instskip(NEXT) | instid1(VALU_DEP_3)
	v_fma_f32 v5, v212, v156, -v5
	v_add_f32_e32 v1, v1, v235
	v_mul_f32_e32 v3, v217, v161
	v_fma_f32 v4, v214, v158, -v4
	s_delay_alu instid0(VALU_DEP_4) | instskip(NEXT) | instid1(VALU_DEP_3)
	v_dual_add_f32 v2, v2, v5 :: v_dual_mul_f32 v5, v219, v163
	v_fma_f32 v3, v216, v160, -v3
	s_delay_alu instid0(VALU_DEP_2) | instskip(SKIP_1) | instid1(VALU_DEP_4)
	v_add_f32_e32 v2, v2, v4
	v_add_f32_e32 v1, v1, v236
	v_fma_f32 v4, v218, v162, -v5
	s_delay_alu instid0(VALU_DEP_2) | instskip(NEXT) | instid1(VALU_DEP_1)
	v_dual_add_f32 v2, v2, v3 :: v_dual_add_f32 v1, v1, v237
	v_dual_add_f32 v2, v2, v4 :: v_dual_add_f32 v1, v1, v238
	s_delay_alu instid0(VALU_DEP_1) | instskip(NEXT) | instid1(VALU_DEP_1)
	v_add_f32_e32 v1, v1, v239
	v_add_f32_e32 v1, v1, v240
	s_delay_alu instid0(VALU_DEP_1) | instskip(NEXT) | instid1(VALU_DEP_1)
	v_add_f32_e32 v1, v1, v241
	v_add_f32_e32 v1, v1, v242
	;; [unrolled: 3-line block ×4, first 2 shown]
	s_delay_alu instid0(VALU_DEP_1) | instskip(SKIP_1) | instid1(VALU_DEP_1)
	v_add_f32_e32 v3, v1, v247
	s_wait_loadcnt 0x0
	v_dual_sub_f32 v1, v220, v2 :: v_dual_sub_f32 v2, v221, v3
	scratch_store_b64 off, v[1:2], off offset:184
	v_cmpx_lt_u32_e32 22, v0
	s_cbranch_execz .LBB115_281
; %bb.280:
	scratch_load_b64 v[1:2], off, off offset:176
	v_mov_b32_e32 v3, 0
	s_delay_alu instid0(VALU_DEP_1)
	v_mov_b32_e32 v4, v3
	scratch_store_b64 off, v[3:4], off offset:176
	s_wait_loadcnt 0x0
	ds_store_b64 v27, v[1:2]
.LBB115_281:
	s_wait_alu 0xfffe
	s_or_b32 exec_lo, exec_lo, s0
	s_wait_storecnt_dscnt 0x0
	s_barrier_signal -1
	s_barrier_wait -1
	global_inv scope:SCOPE_SE
	s_clause 0xf
	scratch_load_b128 v[2:5], off, off offset:184
	scratch_load_b128 v[6:9], off, off offset:200
	;; [unrolled: 1-line block ×14, first 2 shown]
	scratch_load_b64 v[220:221], off, off offset:408
	scratch_load_b64 v[222:223], off, off offset:176
	v_mov_b32_e32 v1, 0
	ds_load_2addr_b64 v[164:167], v1 offset0:75 offset1:76
	ds_load_2addr_b64 v[168:171], v1 offset0:77 offset1:78
	;; [unrolled: 1-line block ×14, first 2 shown]
	ds_load_b64 v[224:225], v1 offset:824
	s_mov_b32 s0, exec_lo
	s_wait_loadcnt_dscnt 0xf0e
	v_mul_f32_e32 v26, v164, v3
	v_dual_mul_f32 v3, v165, v3 :: v_dual_mul_f32 v226, v166, v5
	s_wait_loadcnt_dscnt 0xe0d
	v_mul_f32_e32 v227, v168, v7
	v_mul_f32_e32 v5, v167, v5
	s_wait_loadcnt_dscnt 0xa09
	v_mul_f32_e32 v236, v186, v25
	v_fma_f32 v3, v164, v2, -v3
	v_dual_mul_f32 v228, v170, v9 :: v_dual_mul_f32 v229, v172, v11
	v_fmac_f32_e32 v226, v167, v4
	v_fmac_f32_e32 v26, v165, v2
	v_mul_f32_e32 v2, v169, v7
	v_fma_f32 v4, v166, v4, -v5
	v_add_f32_e32 v3, 0, v3
	s_wait_loadcnt_dscnt 0x100
	v_mul_f32_e32 v253, v224, v221
	v_dual_add_f32 v5, 0, v26 :: v_dual_fmac_f32 v228, v171, v8
	v_mul_f32_e32 v7, v171, v9
	v_fma_f32 v2, v168, v6, -v2
	v_add_f32_e32 v3, v3, v4
	v_fmac_f32_e32 v227, v169, v6
	v_add_f32_e32 v4, v5, v226
	v_mul_f32_e32 v5, v173, v11
	v_fma_f32 v6, v170, v8, -v7
	v_add_f32_e32 v2, v3, v2
	v_dual_mul_f32 v230, v174, v13 :: v_dual_mul_f32 v231, v176, v15
	v_dual_add_f32 v3, v4, v227 :: v_dual_mul_f32 v4, v175, v13
	v_fma_f32 v5, v172, v10, -v5
	s_delay_alu instid0(VALU_DEP_4)
	v_add_f32_e32 v2, v2, v6
	v_fmac_f32_e32 v229, v173, v10
	v_mul_f32_e32 v6, v177, v15
	v_fmac_f32_e32 v230, v175, v12
	v_add_f32_e32 v3, v3, v228
	v_fma_f32 v4, v174, v12, -v4
	v_add_f32_e32 v2, v2, v5
	v_dual_mul_f32 v232, v178, v17 :: v_dual_mul_f32 v233, v180, v19
	s_delay_alu instid0(VALU_DEP_4)
	v_add_f32_e32 v3, v3, v229
	v_mul_f32_e32 v5, v179, v17
	v_fma_f32 v6, v176, v14, -v6
	v_dual_add_f32 v2, v2, v4 :: v_dual_fmac_f32 v231, v177, v14
	v_fmac_f32_e32 v232, v179, v16
	v_mul_f32_e32 v4, v181, v19
	v_fma_f32 v5, v178, v16, -v5
	s_delay_alu instid0(VALU_DEP_4) | instskip(SKIP_3) | instid1(VALU_DEP_3)
	v_add_f32_e32 v2, v2, v6
	v_add_f32_e32 v3, v3, v230
	v_dual_mul_f32 v6, v183, v21 :: v_dual_fmac_f32 v233, v181, v18
	v_fma_f32 v4, v180, v18, -v4
	v_dual_add_f32 v2, v2, v5 :: v_dual_add_f32 v3, v3, v231
	v_dual_mul_f32 v234, v182, v21 :: v_dual_mul_f32 v235, v184, v23
	v_mul_f32_e32 v5, v185, v23
	v_fma_f32 v6, v182, v20, -v6
	s_delay_alu instid0(VALU_DEP_4) | instskip(SKIP_4) | instid1(VALU_DEP_4)
	v_add_f32_e32 v2, v2, v4
	v_add_f32_e32 v3, v3, v232
	v_fmac_f32_e32 v234, v183, v20
	v_dual_mul_f32 v4, v187, v25 :: v_dual_fmac_f32 v235, v185, v22
	v_fma_f32 v5, v184, v22, -v5
	v_dual_add_f32 v2, v2, v6 :: v_dual_add_f32 v3, v3, v233
	v_mul_f32_e32 v6, v189, v133
	s_delay_alu instid0(VALU_DEP_4) | instskip(SKIP_1) | instid1(VALU_DEP_4)
	v_fma_f32 v4, v186, v24, -v4
	v_dual_mul_f32 v237, v188, v133 :: v_dual_mul_f32 v238, v190, v135
	v_dual_add_f32 v3, v3, v234 :: v_dual_add_f32 v2, v2, v5
	s_delay_alu instid0(VALU_DEP_4) | instskip(SKIP_1) | instid1(VALU_DEP_4)
	v_fma_f32 v6, v188, v132, -v6
	v_fmac_f32_e32 v236, v187, v24
	v_dual_fmac_f32 v237, v189, v132 :: v_dual_fmac_f32 v238, v191, v134
	s_delay_alu instid0(VALU_DEP_4) | instskip(SKIP_3) | instid1(VALU_DEP_3)
	v_add_f32_e32 v3, v3, v235
	v_dual_mul_f32 v5, v191, v135 :: v_dual_add_f32 v2, v2, v4
	v_dual_mul_f32 v239, v192, v137 :: v_dual_mul_f32 v240, v194, v139
	v_mul_f32_e32 v4, v193, v137
	v_fma_f32 v5, v190, v134, -v5
	s_delay_alu instid0(VALU_DEP_4) | instskip(NEXT) | instid1(VALU_DEP_4)
	v_add_f32_e32 v2, v2, v6
	v_dual_mul_f32 v6, v195, v139 :: v_dual_fmac_f32 v239, v193, v136
	s_delay_alu instid0(VALU_DEP_4) | instskip(SKIP_1) | instid1(VALU_DEP_4)
	v_fma_f32 v4, v192, v136, -v4
	v_dual_mul_f32 v241, v196, v141 :: v_dual_mul_f32 v242, v198, v143
	v_add_f32_e32 v2, v2, v5
	v_mul_f32_e32 v5, v197, v141
	v_add_f32_e32 v3, v3, v236
	s_delay_alu instid0(VALU_DEP_4) | instskip(SKIP_2) | instid1(VALU_DEP_4)
	v_dual_fmac_f32 v240, v195, v138 :: v_dual_fmac_f32 v241, v197, v140
	v_fma_f32 v6, v194, v138, -v6
	v_dual_mul_f32 v243, v200, v145 :: v_dual_mul_f32 v244, v202, v147
	v_add_f32_e32 v3, v3, v237
	v_dual_mul_f32 v245, v204, v149 :: v_dual_mul_f32 v246, v206, v151
	v_fma_f32 v5, v196, v140, -v5
	v_fmac_f32_e32 v242, v199, v142
	s_delay_alu instid0(VALU_DEP_4) | instskip(SKIP_2) | instid1(VALU_DEP_3)
	v_dual_add_f32 v3, v3, v238 :: v_dual_add_f32 v2, v2, v4
	v_dual_mul_f32 v4, v199, v143 :: v_dual_fmac_f32 v243, v201, v144
	v_fmac_f32_e32 v245, v205, v148
	v_dual_add_f32 v3, v3, v239 :: v_dual_add_f32 v2, v2, v6
	v_mul_f32_e32 v6, v201, v145
	s_delay_alu instid0(VALU_DEP_4) | instskip(SKIP_1) | instid1(VALU_DEP_4)
	v_fma_f32 v4, v198, v142, -v4
	v_dual_mul_f32 v249, v212, v157 :: v_dual_mul_f32 v250, v214, v159
	v_add_f32_e32 v3, v3, v240
	v_dual_fmac_f32 v244, v203, v146 :: v_dual_mul_f32 v247, v208, v153
	v_mul_f32_e32 v248, v210, v155
	s_delay_alu instid0(VALU_DEP_4) | instskip(NEXT) | instid1(VALU_DEP_4)
	v_dual_fmac_f32 v246, v207, v150 :: v_dual_fmac_f32 v249, v213, v156
	v_add_f32_e32 v3, v3, v241
	v_dual_add_f32 v2, v2, v5 :: v_dual_mul_f32 v5, v203, v147
	v_fma_f32 v6, v200, v144, -v6
	v_fmac_f32_e32 v247, v209, v152
	s_delay_alu instid0(VALU_DEP_3) | instskip(SKIP_3) | instid1(VALU_DEP_4)
	v_dual_add_f32 v3, v3, v242 :: v_dual_add_f32 v2, v2, v4
	v_mul_f32_e32 v4, v205, v149
	v_fma_f32 v5, v202, v146, -v5
	v_dual_mul_f32 v251, v216, v161 :: v_dual_mul_f32 v252, v218, v163
	v_dual_add_f32 v3, v3, v243 :: v_dual_add_f32 v2, v2, v6
	v_mul_f32_e32 v6, v207, v151
	v_fma_f32 v4, v204, v148, -v4
	s_delay_alu instid0(VALU_DEP_4) | instskip(NEXT) | instid1(VALU_DEP_4)
	v_dual_fmac_f32 v248, v211, v154 :: v_dual_fmac_f32 v251, v217, v160
	v_add_f32_e32 v2, v2, v5
	v_mul_f32_e32 v5, v209, v153
	v_add_f32_e32 v3, v3, v244
	v_fma_f32 v6, v206, v150, -v6
	v_fmac_f32_e32 v252, v219, v162
	v_dual_fmac_f32 v250, v215, v158 :: v_dual_fmac_f32 v253, v225, v220
	s_delay_alu instid0(VALU_DEP_4) | instskip(SKIP_1) | instid1(VALU_DEP_2)
	v_add_f32_e32 v3, v3, v245
	v_fma_f32 v5, v208, v152, -v5
	v_dual_add_f32 v3, v3, v246 :: v_dual_add_f32 v2, v2, v4
	v_mul_f32_e32 v4, v211, v155
	s_delay_alu instid0(VALU_DEP_2) | instskip(SKIP_1) | instid1(VALU_DEP_3)
	v_dual_add_f32 v3, v3, v247 :: v_dual_add_f32 v2, v2, v6
	v_mul_f32_e32 v6, v213, v157
	v_fma_f32 v4, v210, v154, -v4
	s_delay_alu instid0(VALU_DEP_3) | instskip(NEXT) | instid1(VALU_DEP_3)
	v_dual_add_f32 v2, v2, v5 :: v_dual_mul_f32 v5, v215, v159
	v_fma_f32 v6, v212, v156, -v6
	s_delay_alu instid0(VALU_DEP_2) | instskip(NEXT) | instid1(VALU_DEP_3)
	v_add_f32_e32 v2, v2, v4
	v_fma_f32 v5, v214, v158, -v5
	s_delay_alu instid0(VALU_DEP_2) | instskip(SKIP_1) | instid1(VALU_DEP_2)
	v_add_f32_e32 v2, v2, v6
	v_mul_f32_e32 v6, v219, v163
	v_add_f32_e32 v2, v2, v5
	v_mul_f32_e32 v5, v225, v221
	v_add_f32_e32 v3, v3, v248
	s_delay_alu instid0(VALU_DEP_4) | instskip(NEXT) | instid1(VALU_DEP_2)
	v_fma_f32 v6, v218, v162, -v6
	v_add_f32_e32 v3, v3, v249
	s_delay_alu instid0(VALU_DEP_1) | instskip(NEXT) | instid1(VALU_DEP_1)
	v_dual_mul_f32 v4, v217, v161 :: v_dual_add_f32 v3, v3, v250
	v_fma_f32 v4, v216, v160, -v4
	s_delay_alu instid0(VALU_DEP_2) | instskip(NEXT) | instid1(VALU_DEP_1)
	v_add_f32_e32 v3, v3, v251
	v_add_f32_e32 v3, v3, v252
	s_delay_alu instid0(VALU_DEP_3) | instskip(SKIP_1) | instid1(VALU_DEP_2)
	v_add_f32_e32 v2, v2, v4
	v_fma_f32 v4, v224, v220, -v5
	v_dual_add_f32 v3, v3, v253 :: v_dual_add_f32 v2, v2, v6
	s_wait_loadcnt 0x0
	s_delay_alu instid0(VALU_DEP_1) | instskip(NEXT) | instid1(VALU_DEP_1)
	v_dual_sub_f32 v3, v223, v3 :: v_dual_add_f32 v2, v2, v4
	v_sub_f32_e32 v2, v222, v2
	scratch_store_b64 off, v[2:3], off offset:176
	v_cmpx_lt_u32_e32 21, v0
	s_cbranch_execz .LBB115_283
; %bb.282:
	scratch_load_b64 v[3:4], off, off offset:168
	v_mov_b32_e32 v2, v1
	scratch_store_b64 off, v[1:2], off offset:168
	s_wait_loadcnt 0x0
	ds_store_b64 v27, v[3:4]
.LBB115_283:
	s_wait_alu 0xfffe
	s_or_b32 exec_lo, exec_lo, s0
	s_wait_storecnt_dscnt 0x0
	s_barrier_signal -1
	s_barrier_wait -1
	global_inv scope:SCOPE_SE
	s_clause 0x4
	scratch_load_b128 v[2:5], off, off offset:176
	scratch_load_b128 v[6:9], off, off offset:192
	;; [unrolled: 1-line block ×5, first 2 shown]
	ds_load_b128 v[22:25], v1 offset:592
	ds_load_b128 v[132:135], v1 offset:608
	;; [unrolled: 1-line block ×3, first 2 shown]
	scratch_load_b64 v[140:141], off, off offset:168
	s_mov_b32 s0, exec_lo
	s_wait_loadcnt_dscnt 0x502
	v_dual_mul_f32 v26, v23, v3 :: v_dual_mul_f32 v143, v24, v5
	v_dual_mul_f32 v142, v22, v3 :: v_dual_mul_f32 v3, v25, v5
	s_wait_loadcnt_dscnt 0x300
	v_mul_f32_e32 v144, v138, v13
	s_delay_alu instid0(VALU_DEP_3) | instskip(NEXT) | instid1(VALU_DEP_3)
	v_fma_f32 v22, v22, v2, -v26
	v_dual_fmac_f32 v143, v25, v4 :: v_dual_fmac_f32 v142, v23, v2
	v_fma_f32 v23, v24, v4, -v3
	ds_load_b128 v[2:5], v1 offset:640
	v_dual_mul_f32 v24, v132, v7 :: v_dual_mul_f32 v25, v134, v9
	v_mul_f32_e32 v7, v133, v7
	v_dual_mul_f32 v9, v135, v9 :: v_dual_mul_f32 v26, v136, v11
	v_dual_mul_f32 v11, v137, v11 :: v_dual_fmac_f32 v144, v139, v12
	s_delay_alu instid0(VALU_DEP_4) | instskip(SKIP_1) | instid1(VALU_DEP_4)
	v_dual_mul_f32 v13, v139, v13 :: v_dual_fmac_f32 v24, v133, v6
	v_fmac_f32_e32 v25, v135, v8
	v_fma_f32 v133, v134, v8, -v9
	v_fmac_f32_e32 v26, v137, v10
	v_fma_f32 v134, v136, v10, -v11
	v_fma_f32 v135, v138, v12, -v13
	ds_load_b128 v[10:13], v1 offset:656
	v_fma_f32 v132, v132, v6, -v7
	scratch_load_b128 v[6:9], off, off offset:256
	s_wait_loadcnt_dscnt 0x301
	v_dual_mul_f32 v136, v2, v15 :: v_dual_mul_f32 v137, v4, v17
	v_mul_f32_e32 v15, v3, v15
	s_delay_alu instid0(VALU_DEP_2) | instskip(NEXT) | instid1(VALU_DEP_3)
	v_dual_mul_f32 v17, v5, v17 :: v_dual_fmac_f32 v136, v3, v14
	v_fmac_f32_e32 v137, v5, v16
	s_delay_alu instid0(VALU_DEP_3) | instskip(NEXT) | instid1(VALU_DEP_3)
	v_fma_f32 v14, v2, v14, -v15
	v_fma_f32 v15, v4, v16, -v17
	ds_load_b128 v[2:5], v1 offset:672
	s_wait_loadcnt_dscnt 0x201
	v_mul_f32_e32 v16, v10, v19
	v_mul_f32_e32 v17, v11, v19
	;; [unrolled: 1-line block ×3, first 2 shown]
	s_delay_alu instid0(VALU_DEP_3) | instskip(NEXT) | instid1(VALU_DEP_3)
	v_dual_mul_f32 v21, v13, v21 :: v_dual_fmac_f32 v16, v11, v18
	v_fma_f32 v17, v10, v18, -v17
	s_delay_alu instid0(VALU_DEP_3) | instskip(NEXT) | instid1(VALU_DEP_3)
	v_fmac_f32_e32 v19, v13, v20
	v_fma_f32 v18, v12, v20, -v21
	scratch_load_b128 v[10:13], off, off offset:272
	s_wait_loadcnt_dscnt 0x100
	v_mul_f32_e32 v20, v2, v7
	v_mul_f32_e32 v7, v3, v7
	;; [unrolled: 1-line block ×3, first 2 shown]
	s_delay_alu instid0(VALU_DEP_3) | instskip(NEXT) | instid1(VALU_DEP_3)
	v_dual_mul_f32 v9, v5, v9 :: v_dual_fmac_f32 v20, v3, v6
	v_fma_f32 v138, v2, v6, -v7
	s_delay_alu instid0(VALU_DEP_3) | instskip(NEXT) | instid1(VALU_DEP_3)
	v_fmac_f32_e32 v21, v5, v8
	v_fma_f32 v139, v4, v8, -v9
	ds_load_b128 v[2:5], v1 offset:688
	ds_load_b128 v[6:9], v1 offset:704
	s_wait_loadcnt_dscnt 0x1
	v_mul_f32_e32 v145, v2, v11
	v_dual_mul_f32 v11, v3, v11 :: v_dual_mul_f32 v146, v4, v13
	s_delay_alu instid0(VALU_DEP_2) | instskip(NEXT) | instid1(VALU_DEP_2)
	v_fmac_f32_e32 v145, v3, v10
	v_fma_f32 v147, v2, v10, -v11
	v_mul_f32_e32 v2, v5, v13
	s_delay_alu instid0(VALU_DEP_4) | instskip(NEXT) | instid1(VALU_DEP_2)
	v_fmac_f32_e32 v146, v5, v12
	v_fma_f32 v148, v4, v12, -v2
	s_clause 0x1
	scratch_load_b128 v[2:5], off, off offset:288
	scratch_load_b128 v[10:13], off, off offset:304
	s_wait_loadcnt_dscnt 0x100
	v_mul_f32_e32 v149, v6, v3
	v_mul_f32_e32 v3, v7, v3
	;; [unrolled: 1-line block ×3, first 2 shown]
	s_delay_alu instid0(VALU_DEP_3) | instskip(NEXT) | instid1(VALU_DEP_3)
	v_fmac_f32_e32 v149, v7, v2
	v_fma_f32 v150, v6, v2, -v3
	v_mul_f32_e32 v2, v9, v5
	s_delay_alu instid0(VALU_DEP_4) | instskip(NEXT) | instid1(VALU_DEP_2)
	v_fmac_f32_e32 v151, v9, v4
	v_fma_f32 v152, v8, v4, -v2
	ds_load_b128 v[2:5], v1 offset:720
	ds_load_b128 v[6:9], v1 offset:736
	s_wait_loadcnt_dscnt 0x1
	v_mul_f32_e32 v153, v2, v11
	v_mul_f32_e32 v155, v4, v13
	s_delay_alu instid0(VALU_DEP_2) | instskip(SKIP_1) | instid1(VALU_DEP_3)
	v_fmac_f32_e32 v153, v3, v10
	v_mul_f32_e32 v3, v3, v11
	v_fmac_f32_e32 v155, v5, v12
	s_delay_alu instid0(VALU_DEP_2) | instskip(SKIP_1) | instid1(VALU_DEP_1)
	v_fma_f32 v154, v2, v10, -v3
	v_mul_f32_e32 v2, v5, v13
	v_fma_f32 v156, v4, v12, -v2
	s_clause 0x1
	scratch_load_b128 v[2:5], off, off offset:320
	scratch_load_b128 v[10:13], off, off offset:336
	s_wait_loadcnt_dscnt 0x100
	v_mul_f32_e32 v157, v6, v3
	v_mul_f32_e32 v3, v7, v3
	v_mul_f32_e32 v159, v8, v5
	s_delay_alu instid0(VALU_DEP_3) | instskip(NEXT) | instid1(VALU_DEP_3)
	v_fmac_f32_e32 v157, v7, v2
	v_fma_f32 v158, v6, v2, -v3
	v_dual_mul_f32 v2, v9, v5 :: v_dual_add_f32 v3, 0, v142
	s_delay_alu instid0(VALU_DEP_1) | instskip(NEXT) | instid1(VALU_DEP_2)
	v_fma_f32 v160, v8, v4, -v2
	v_dual_add_f32 v2, 0, v22 :: v_dual_add_f32 v3, v3, v143
	s_delay_alu instid0(VALU_DEP_1) | instskip(NEXT) | instid1(VALU_DEP_1)
	v_add_f32_e32 v2, v2, v23
	v_add_f32_e32 v2, v2, v132
	s_delay_alu instid0(VALU_DEP_1) | instskip(NEXT) | instid1(VALU_DEP_1)
	v_dual_add_f32 v3, v3, v24 :: v_dual_add_f32 v2, v2, v133
	v_dual_add_f32 v3, v3, v25 :: v_dual_add_f32 v2, v2, v134
	s_delay_alu instid0(VALU_DEP_1) | instskip(NEXT) | instid1(VALU_DEP_1)
	v_dual_add_f32 v3, v3, v26 :: v_dual_add_f32 v2, v2, v135
	v_dual_add_f32 v6, v3, v144 :: v_dual_add_f32 v7, v2, v14
	s_delay_alu instid0(VALU_DEP_1) | instskip(NEXT) | instid1(VALU_DEP_1)
	v_dual_add_f32 v14, v6, v136 :: v_dual_add_f32 v15, v7, v15
	v_add_f32_e32 v14, v14, v137
	s_delay_alu instid0(VALU_DEP_1) | instskip(NEXT) | instid1(VALU_DEP_1)
	v_dual_add_f32 v15, v15, v17 :: v_dual_add_f32 v14, v14, v16
	v_add_f32_e32 v18, v15, v18
	s_delay_alu instid0(VALU_DEP_1) | instskip(NEXT) | instid1(VALU_DEP_1)
	v_add_f32_e32 v18, v18, v138
	v_dual_add_f32 v18, v18, v139 :: v_dual_fmac_f32 v159, v9, v4
	scratch_load_b128 v[6:9], off, off offset:352
	ds_load_b128 v[2:5], v1 offset:752
	v_add_f32_e32 v18, v18, v147
	s_delay_alu instid0(VALU_DEP_1) | instskip(NEXT) | instid1(VALU_DEP_1)
	v_add_f32_e32 v23, v18, v148
	v_add_f32_e32 v23, v23, v150
	s_delay_alu instid0(VALU_DEP_1)
	v_add_f32_e32 v23, v23, v152
	v_add_f32_e32 v19, v14, v19
	ds_load_b128 v[14:17], v1 offset:768
	s_wait_loadcnt_dscnt 0x101
	v_mul_f32_e32 v26, v2, v11
	v_dual_mul_f32 v11, v3, v11 :: v_dual_mul_f32 v132, v4, v13
	s_delay_alu instid0(VALU_DEP_2) | instskip(NEXT) | instid1(VALU_DEP_2)
	v_dual_mul_f32 v13, v5, v13 :: v_dual_fmac_f32 v26, v3, v10
	v_fma_f32 v133, v2, v10, -v11
	s_delay_alu instid0(VALU_DEP_3) | instskip(NEXT) | instid1(VALU_DEP_3)
	v_fmac_f32_e32 v132, v5, v12
	v_fma_f32 v134, v4, v12, -v13
	s_clause 0x1
	scratch_load_b128 v[10:13], off, off offset:384
	scratch_load_b128 v[2:5], off, off offset:368
	s_wait_loadcnt_dscnt 0x200
	v_dual_mul_f32 v135, v14, v7 :: v_dual_mul_f32 v136, v16, v9
	v_mul_f32_e32 v7, v15, v7
	s_delay_alu instid0(VALU_DEP_2) | instskip(SKIP_1) | instid1(VALU_DEP_4)
	v_fmac_f32_e32 v135, v15, v6
	v_add_f32_e32 v19, v19, v20
	v_fmac_f32_e32 v136, v17, v8
	s_delay_alu instid0(VALU_DEP_4) | instskip(NEXT) | instid1(VALU_DEP_3)
	v_fma_f32 v137, v14, v6, -v7
	v_add_f32_e32 v19, v19, v21
	s_delay_alu instid0(VALU_DEP_1) | instskip(SKIP_2) | instid1(VALU_DEP_1)
	v_add_f32_e32 v22, v19, v145
	scratch_load_b128 v[18:21], off, off offset:400
	v_dual_mul_f32 v9, v17, v9 :: v_dual_add_f32 v22, v22, v146
	v_fma_f32 v138, v16, v8, -v9
	ds_load_b128 v[6:9], v1 offset:784
	v_add_f32_e32 v22, v22, v149
	s_delay_alu instid0(VALU_DEP_1) | instskip(NEXT) | instid1(VALU_DEP_1)
	v_add_f32_e32 v14, v22, v151
	v_dual_add_f32 v22, v23, v154 :: v_dual_add_f32 v23, v14, v153
	ds_load_b128 v[14:17], v1 offset:800
	v_dual_add_f32 v139, v22, v156 :: v_dual_add_f32 v142, v23, v155
	ds_load_b128 v[22:25], v1 offset:816
	s_wait_loadcnt_dscnt 0x201
	v_mul_f32_e32 v143, v16, v13
	s_delay_alu instid0(VALU_DEP_1)
	v_fmac_f32_e32 v143, v17, v12
	v_add_f32_e32 v1, v139, v158
	v_add_f32_e32 v139, v142, v157
	s_wait_loadcnt 0x1
	v_mul_f32_e32 v142, v6, v3
	v_mul_f32_e32 v3, v7, v3
	v_add_f32_e32 v1, v1, v160
	v_add_f32_e32 v139, v139, v159
	s_delay_alu instid0(VALU_DEP_4) | instskip(NEXT) | instid1(VALU_DEP_4)
	v_fmac_f32_e32 v142, v7, v2
	v_fma_f32 v3, v6, v2, -v3
	s_delay_alu instid0(VALU_DEP_4) | instskip(NEXT) | instid1(VALU_DEP_4)
	v_dual_mul_f32 v6, v15, v11 :: v_dual_add_f32 v1, v1, v133
	v_dual_add_f32 v26, v139, v26 :: v_dual_mul_f32 v133, v8, v5
	v_mul_f32_e32 v5, v9, v5
	v_mul_f32_e32 v139, v14, v11
	s_delay_alu instid0(VALU_DEP_3) | instskip(NEXT) | instid1(VALU_DEP_4)
	v_dual_add_f32 v1, v1, v134 :: v_dual_add_f32 v26, v26, v132
	v_fmac_f32_e32 v133, v9, v4
	s_delay_alu instid0(VALU_DEP_4) | instskip(NEXT) | instid1(VALU_DEP_4)
	v_fma_f32 v4, v8, v4, -v5
	v_fmac_f32_e32 v139, v15, v10
	s_delay_alu instid0(VALU_DEP_4) | instskip(SKIP_1) | instid1(VALU_DEP_2)
	v_dual_add_f32 v1, v1, v137 :: v_dual_add_f32 v26, v26, v135
	v_fma_f32 v5, v14, v10, -v6
	v_dual_add_f32 v1, v1, v138 :: v_dual_add_f32 v2, v26, v136
	s_delay_alu instid0(VALU_DEP_1) | instskip(SKIP_1) | instid1(VALU_DEP_2)
	v_dual_add_f32 v1, v1, v3 :: v_dual_add_f32 v2, v2, v142
	v_mul_f32_e32 v3, v17, v13
	v_dual_add_f32 v1, v1, v4 :: v_dual_add_f32 v2, v2, v133
	s_delay_alu instid0(VALU_DEP_2) | instskip(NEXT) | instid1(VALU_DEP_2)
	v_fma_f32 v3, v16, v12, -v3
	v_dual_add_f32 v1, v1, v5 :: v_dual_add_f32 v2, v2, v139
	s_delay_alu instid0(VALU_DEP_1) | instskip(NEXT) | instid1(VALU_DEP_2)
	v_add_f32_e32 v1, v1, v3
	v_add_f32_e32 v2, v2, v143
	s_wait_loadcnt_dscnt 0x0
	v_mul_f32_e32 v132, v22, v19
	v_mul_f32_e32 v4, v23, v19
	;; [unrolled: 1-line block ×3, first 2 shown]
	s_delay_alu instid0(VALU_DEP_3) | instskip(NEXT) | instid1(VALU_DEP_3)
	v_dual_mul_f32 v5, v25, v21 :: v_dual_fmac_f32 v132, v23, v18
	v_fma_f32 v4, v22, v18, -v4
	s_delay_alu instid0(VALU_DEP_3) | instskip(NEXT) | instid1(VALU_DEP_3)
	v_fmac_f32_e32 v134, v25, v20
	v_fma_f32 v3, v24, v20, -v5
	s_delay_alu instid0(VALU_DEP_4) | instskip(NEXT) | instid1(VALU_DEP_1)
	v_add_f32_e32 v2, v2, v132
	v_dual_add_f32 v1, v1, v4 :: v_dual_add_f32 v2, v2, v134
	s_delay_alu instid0(VALU_DEP_1) | instskip(NEXT) | instid1(VALU_DEP_1)
	v_add_f32_e32 v1, v1, v3
	v_dual_sub_f32 v2, v141, v2 :: v_dual_sub_f32 v1, v140, v1
	scratch_store_b64 off, v[1:2], off offset:168
	v_cmpx_lt_u32_e32 20, v0
	s_cbranch_execz .LBB115_285
; %bb.284:
	scratch_load_b64 v[1:2], off, off offset:160
	v_mov_b32_e32 v3, 0
	s_delay_alu instid0(VALU_DEP_1)
	v_mov_b32_e32 v4, v3
	scratch_store_b64 off, v[3:4], off offset:160
	s_wait_loadcnt 0x0
	ds_store_b64 v27, v[1:2]
.LBB115_285:
	s_wait_alu 0xfffe
	s_or_b32 exec_lo, exec_lo, s0
	s_wait_storecnt_dscnt 0x0
	s_barrier_signal -1
	s_barrier_wait -1
	global_inv scope:SCOPE_SE
	s_clause 0x4
	scratch_load_b128 v[5:8], off, off offset:168
	scratch_load_b128 v[1:4], off, off offset:184
	;; [unrolled: 1-line block ×5, first 2 shown]
	v_mov_b32_e32 v21, 0
	ds_load_2addr_b64 v[22:25], v21 offset0:73 offset1:74
	ds_load_2addr_b64 v[132:135], v21 offset0:75 offset1:76
	;; [unrolled: 1-line block ×3, first 2 shown]
	scratch_load_b64 v[140:141], off, off offset:160
	s_mov_b32 s0, exec_lo
	s_wait_loadcnt_dscnt 0x502
	v_dual_mul_f32 v142, v22, v6 :: v_dual_mul_f32 v143, v24, v8
	v_mul_f32_e32 v26, v23, v6
	v_mul_f32_e32 v6, v25, v8
	s_wait_loadcnt_dscnt 0x300
	v_mul_f32_e32 v144, v138, v12
	v_dual_fmac_f32 v142, v23, v5 :: v_dual_fmac_f32 v143, v25, v7
	v_mul_f32_e32 v25, v134, v4
	v_fma_f32 v22, v22, v5, -v26
	v_mul_f32_e32 v26, v136, v10
	v_mul_f32_e32 v4, v135, v4
	s_delay_alu instid0(VALU_DEP_4)
	v_dual_mul_f32 v10, v137, v10 :: v_dual_fmac_f32 v25, v135, v3
	v_fma_f32 v23, v24, v7, -v6
	ds_load_2addr_b64 v[5:8], v21 offset0:79 offset1:80
	v_mul_f32_e32 v24, v132, v2
	v_mul_f32_e32 v12, v139, v12
	;; [unrolled: 1-line block ×3, first 2 shown]
	v_fmac_f32_e32 v26, v137, v9
	v_fmac_f32_e32 v144, v139, v11
	;; [unrolled: 1-line block ×3, first 2 shown]
	v_fma_f32 v133, v134, v3, -v4
	v_fma_f32 v134, v136, v9, -v10
	;; [unrolled: 1-line block ×3, first 2 shown]
	ds_load_2addr_b64 v[9:12], v21 offset0:81 offset1:82
	s_wait_loadcnt_dscnt 0x201
	v_dual_mul_f32 v137, v7, v16 :: v_dual_mul_f32 v136, v5, v14
	v_mul_f32_e32 v14, v6, v14
	v_mul_f32_e32 v16, v8, v16
	s_delay_alu instid0(VALU_DEP_3)
	v_fmac_f32_e32 v137, v8, v15
	v_fma_f32 v132, v132, v1, -v2
	scratch_load_b128 v[1:4], off, off offset:248
	v_fmac_f32_e32 v136, v6, v13
	v_fma_f32 v13, v5, v13, -v14
	v_fma_f32 v14, v7, v15, -v16
	s_wait_loadcnt_dscnt 0x200
	v_mul_f32_e32 v15, v9, v18
	v_mul_f32_e32 v16, v10, v18
	;; [unrolled: 1-line block ×4, first 2 shown]
	ds_load_2addr_b64 v[5:8], v21 offset0:83 offset1:84
	v_fmac_f32_e32 v15, v10, v17
	v_fma_f32 v16, v9, v17, -v16
	v_fmac_f32_e32 v18, v12, v19
	v_fma_f32 v17, v11, v19, -v20
	scratch_load_b128 v[9:12], off, off offset:264
	s_wait_loadcnt_dscnt 0x100
	v_mul_f32_e32 v19, v5, v2
	v_mul_f32_e32 v2, v6, v2
	v_mul_f32_e32 v20, v7, v4
	s_delay_alu instid0(VALU_DEP_3) | instskip(NEXT) | instid1(VALU_DEP_3)
	v_dual_mul_f32 v4, v8, v4 :: v_dual_fmac_f32 v19, v6, v1
	v_fma_f32 v138, v5, v1, -v2
	s_delay_alu instid0(VALU_DEP_3) | instskip(NEXT) | instid1(VALU_DEP_3)
	v_fmac_f32_e32 v20, v8, v3
	v_fma_f32 v139, v7, v3, -v4
	ds_load_2addr_b64 v[1:4], v21 offset0:85 offset1:86
	ds_load_2addr_b64 v[5:8], v21 offset0:87 offset1:88
	s_wait_loadcnt_dscnt 0x1
	v_mul_f32_e32 v145, v1, v10
	v_mul_f32_e32 v10, v2, v10
	s_delay_alu instid0(VALU_DEP_2) | instskip(NEXT) | instid1(VALU_DEP_2)
	v_dual_mul_f32 v146, v3, v12 :: v_dual_fmac_f32 v145, v2, v9
	v_fma_f32 v147, v1, v9, -v10
	v_mul_f32_e32 v1, v4, v12
	s_delay_alu instid0(VALU_DEP_3) | instskip(NEXT) | instid1(VALU_DEP_2)
	v_fmac_f32_e32 v146, v4, v11
	v_fma_f32 v148, v3, v11, -v1
	s_clause 0x1
	scratch_load_b128 v[1:4], off, off offset:280
	scratch_load_b128 v[9:12], off, off offset:296
	s_wait_loadcnt_dscnt 0x100
	v_mul_f32_e32 v149, v5, v2
	v_dual_mul_f32 v2, v6, v2 :: v_dual_mul_f32 v151, v7, v4
	s_delay_alu instid0(VALU_DEP_2) | instskip(NEXT) | instid1(VALU_DEP_2)
	v_fmac_f32_e32 v149, v6, v1
	v_fma_f32 v150, v5, v1, -v2
	v_mul_f32_e32 v1, v8, v4
	s_delay_alu instid0(VALU_DEP_4) | instskip(NEXT) | instid1(VALU_DEP_2)
	v_fmac_f32_e32 v151, v8, v3
	v_fma_f32 v152, v7, v3, -v1
	ds_load_2addr_b64 v[1:4], v21 offset0:89 offset1:90
	ds_load_2addr_b64 v[5:8], v21 offset0:91 offset1:92
	s_wait_loadcnt_dscnt 0x1
	v_mul_f32_e32 v153, v1, v10
	v_mul_f32_e32 v155, v3, v12
	s_delay_alu instid0(VALU_DEP_2) | instskip(NEXT) | instid1(VALU_DEP_2)
	v_fmac_f32_e32 v153, v2, v9
	v_dual_mul_f32 v2, v2, v10 :: v_dual_fmac_f32 v155, v4, v11
	s_delay_alu instid0(VALU_DEP_1) | instskip(SKIP_1) | instid1(VALU_DEP_1)
	v_fma_f32 v154, v1, v9, -v2
	v_mul_f32_e32 v1, v4, v12
	v_fma_f32 v156, v3, v11, -v1
	s_clause 0x1
	scratch_load_b128 v[1:4], off, off offset:312
	scratch_load_b128 v[9:12], off, off offset:328
	s_wait_loadcnt_dscnt 0x100
	v_mul_f32_e32 v157, v5, v2
	v_dual_mul_f32 v2, v6, v2 :: v_dual_mul_f32 v159, v7, v4
	s_delay_alu instid0(VALU_DEP_2) | instskip(NEXT) | instid1(VALU_DEP_2)
	v_fmac_f32_e32 v157, v6, v1
	v_fma_f32 v158, v5, v1, -v2
	v_mul_f32_e32 v1, v8, v4
	s_delay_alu instid0(VALU_DEP_4) | instskip(NEXT) | instid1(VALU_DEP_2)
	v_fmac_f32_e32 v159, v8, v3
	v_fma_f32 v160, v7, v3, -v1
	v_add_f32_e32 v1, 0, v22
	s_delay_alu instid0(VALU_DEP_1) | instskip(NEXT) | instid1(VALU_DEP_1)
	v_add_f32_e32 v1, v1, v23
	v_dual_add_f32 v1, v1, v132 :: v_dual_add_f32 v2, 0, v142
	s_delay_alu instid0(VALU_DEP_1) | instskip(SKIP_2) | instid1(VALU_DEP_1)
	v_dual_add_f32 v1, v1, v133 :: v_dual_add_f32 v2, v2, v143
	scratch_load_b64 v[132:133], off, off offset:408
	v_dual_add_f32 v1, v1, v134 :: v_dual_add_f32 v2, v2, v24
	v_dual_add_f32 v1, v1, v135 :: v_dual_add_f32 v2, v2, v25
	s_delay_alu instid0(VALU_DEP_1) | instskip(NEXT) | instid1(VALU_DEP_2)
	v_add_f32_e32 v6, v1, v13
	v_add_f32_e32 v2, v2, v26
	s_delay_alu instid0(VALU_DEP_1) | instskip(SKIP_2) | instid1(VALU_DEP_1)
	v_add_f32_e32 v5, v2, v144
	scratch_load_b128 v[1:4], off, off offset:344
	v_add_f32_e32 v13, v5, v136
	v_dual_add_f32 v13, v13, v137 :: v_dual_add_f32 v14, v6, v14
	ds_load_2addr_b64 v[5:8], v21 offset0:93 offset1:94
	v_dual_add_f32 v13, v13, v15 :: v_dual_add_f32 v14, v14, v16
	s_delay_alu instid0(VALU_DEP_1) | instskip(SKIP_3) | instid1(VALU_DEP_1)
	v_dual_add_f32 v18, v13, v18 :: v_dual_add_f32 v17, v14, v17
	ds_load_2addr_b64 v[13:16], v21 offset0:95 offset1:96
	v_add_f32_e32 v17, v17, v138
	s_wait_loadcnt_dscnt 0x201
	v_dual_add_f32 v17, v17, v139 :: v_dual_mul_f32 v136, v7, v12
	s_delay_alu instid0(VALU_DEP_1) | instskip(SKIP_1) | instid1(VALU_DEP_2)
	v_dual_mul_f32 v12, v8, v12 :: v_dual_add_f32 v17, v17, v147
	v_add_f32_e32 v18, v18, v19
	v_fma_f32 v138, v7, v11, -v12
	s_delay_alu instid0(VALU_DEP_3) | instskip(NEXT) | instid1(VALU_DEP_1)
	v_dual_add_f32 v23, v17, v148 :: v_dual_fmac_f32 v136, v8, v11
	v_add_f32_e32 v23, v23, v150
	v_mul_f32_e32 v26, v5, v10
	s_delay_alu instid0(VALU_DEP_2) | instskip(NEXT) | instid1(VALU_DEP_2)
	v_dual_mul_f32 v10, v6, v10 :: v_dual_add_f32 v23, v23, v152
	v_fmac_f32_e32 v26, v6, v9
	s_delay_alu instid0(VALU_DEP_2)
	v_fma_f32 v137, v5, v9, -v10
	s_clause 0x1
	scratch_load_b128 v[5:8], off, off offset:360
	scratch_load_b128 v[9:12], off, off offset:376
	v_dual_add_f32 v18, v18, v20 :: v_dual_add_f32 v23, v23, v154
	s_wait_loadcnt_dscnt 0x200
	v_dual_mul_f32 v139, v13, v2 :: v_dual_mul_f32 v142, v15, v4
	s_delay_alu instid0(VALU_DEP_1) | instskip(NEXT) | instid1(VALU_DEP_2)
	v_dual_mul_f32 v4, v16, v4 :: v_dual_fmac_f32 v139, v14, v1
	v_fmac_f32_e32 v142, v16, v3
	s_delay_alu instid0(VALU_DEP_2) | instskip(SKIP_2) | instid1(VALU_DEP_2)
	v_fma_f32 v144, v15, v3, -v4
	v_mul_f32_e32 v2, v14, v2
	v_add_f32_e32 v14, v23, v156
	v_fma_f32 v143, v13, v1, -v2
	ds_load_2addr_b64 v[1:4], v21 offset0:97 offset1:98
	v_add_f32_e32 v22, v18, v145
	scratch_load_b128 v[17:20], off, off offset:392
	v_add_f32_e32 v134, v14, v158
	s_delay_alu instid0(VALU_DEP_1) | instskip(NEXT) | instid1(VALU_DEP_1)
	v_add_f32_e32 v145, v134, v160
	v_add_f32_e32 v137, v145, v137
	s_delay_alu instid0(VALU_DEP_1) | instskip(NEXT) | instid1(VALU_DEP_1)
	v_add_f32_e32 v137, v137, v138
	v_dual_add_f32 v22, v22, v146 :: v_dual_add_f32 v137, v137, v143
	s_delay_alu instid0(VALU_DEP_1) | instskip(NEXT) | instid1(VALU_DEP_1)
	v_dual_add_f32 v22, v22, v149 :: v_dual_add_f32 v137, v137, v144
	v_add_f32_e32 v22, v22, v151
	s_delay_alu instid0(VALU_DEP_1) | instskip(NEXT) | instid1(VALU_DEP_1)
	v_add_f32_e32 v13, v22, v153
	v_add_f32_e32 v22, v13, v155
	ds_load_2addr_b64 v[13:16], v21 offset0:99 offset1:100
	s_wait_loadcnt_dscnt 0x201
	v_mul_f32_e32 v145, v1, v6
	v_mul_f32_e32 v6, v2, v6
	s_delay_alu instid0(VALU_DEP_2)
	v_fmac_f32_e32 v145, v2, v5
	v_add_f32_e32 v135, v22, v157
	ds_load_2addr_b64 v[22:25], v21 offset0:101 offset1:102
	v_fma_f32 v1, v1, v5, -v6
	v_add_f32_e32 v146, v135, v159
	ds_load_b64 v[134:135], v21 offset:824
	v_dual_add_f32 v1, v137, v1 :: v_dual_add_f32 v26, v146, v26
	s_wait_loadcnt_dscnt 0x102
	v_mul_f32_e32 v5, v16, v12
	s_delay_alu instid0(VALU_DEP_2) | instskip(SKIP_2) | instid1(VALU_DEP_4)
	v_add_f32_e32 v26, v26, v136
	v_mul_f32_e32 v136, v3, v8
	v_mul_f32_e32 v8, v4, v8
	v_fma_f32 v5, v15, v11, -v5
	s_delay_alu instid0(VALU_DEP_2) | instskip(SKIP_1) | instid1(VALU_DEP_2)
	v_fma_f32 v2, v3, v7, -v8
	v_mul_f32_e32 v3, v14, v10
	v_dual_add_f32 v1, v1, v2 :: v_dual_add_f32 v26, v26, v139
	s_delay_alu instid0(VALU_DEP_2) | instskip(SKIP_1) | instid1(VALU_DEP_2)
	v_fma_f32 v3, v13, v9, -v3
	v_mul_f32_e32 v139, v15, v12
	v_add_f32_e32 v1, v1, v3
	s_delay_alu instid0(VALU_DEP_2) | instskip(NEXT) | instid1(VALU_DEP_2)
	v_fmac_f32_e32 v139, v16, v11
	v_add_f32_e32 v1, v1, v5
	s_wait_dscnt 0x0
	v_mul_f32_e32 v5, v135, v133
	s_wait_loadcnt 0x0
	v_dual_mul_f32 v3, v25, v20 :: v_dual_add_f32 v26, v26, v142
	v_mul_f32_e32 v143, v22, v18
	v_mul_f32_e32 v138, v13, v10
	v_mul_f32_e32 v144, v24, v20
	v_fmac_f32_e32 v136, v4, v7
	v_fma_f32 v3, v24, v19, -v3
	v_add_f32_e32 v4, v26, v145
	v_fmac_f32_e32 v143, v23, v17
	v_fmac_f32_e32 v138, v14, v9
	;; [unrolled: 1-line block ×3, first 2 shown]
	s_delay_alu instid0(VALU_DEP_4) | instskip(SKIP_1) | instid1(VALU_DEP_2)
	v_add_f32_e32 v2, v4, v136
	v_mul_f32_e32 v4, v23, v18
	v_add_f32_e32 v2, v2, v138
	s_delay_alu instid0(VALU_DEP_2) | instskip(SKIP_1) | instid1(VALU_DEP_2)
	v_fma_f32 v4, v22, v17, -v4
	v_mul_f32_e32 v142, v134, v133
	v_dual_add_f32 v2, v2, v139 :: v_dual_add_f32 v1, v1, v4
	s_delay_alu instid0(VALU_DEP_2) | instskip(SKIP_1) | instid1(VALU_DEP_3)
	v_fmac_f32_e32 v142, v135, v132
	v_fma_f32 v4, v134, v132, -v5
	v_add_f32_e32 v2, v2, v143
	s_delay_alu instid0(VALU_DEP_1) | instskip(NEXT) | instid1(VALU_DEP_1)
	v_dual_add_f32 v1, v1, v3 :: v_dual_add_f32 v2, v2, v144
	v_dual_add_f32 v1, v1, v4 :: v_dual_add_f32 v2, v2, v142
	s_delay_alu instid0(VALU_DEP_1)
	v_dual_sub_f32 v1, v140, v1 :: v_dual_sub_f32 v2, v141, v2
	scratch_store_b64 off, v[1:2], off offset:160
	v_cmpx_lt_u32_e32 19, v0
	s_cbranch_execz .LBB115_287
; %bb.286:
	scratch_load_b64 v[1:2], off, off offset:152
	v_mov_b32_e32 v22, v21
	scratch_store_b64 off, v[21:22], off offset:152
	s_wait_loadcnt 0x0
	ds_store_b64 v27, v[1:2]
.LBB115_287:
	s_wait_alu 0xfffe
	s_or_b32 exec_lo, exec_lo, s0
	s_wait_storecnt_dscnt 0x0
	s_barrier_signal -1
	s_barrier_wait -1
	global_inv scope:SCOPE_SE
	s_clause 0x4
	scratch_load_b128 v[5:8], off, off offset:160
	scratch_load_b128 v[1:4], off, off offset:176
	scratch_load_b128 v[9:12], off, off offset:192
	scratch_load_b128 v[13:16], off, off offset:208
	scratch_load_b128 v[17:20], off, off offset:224
	ds_load_b128 v[22:25], v21 offset:576
	ds_load_b128 v[132:135], v21 offset:592
	;; [unrolled: 1-line block ×3, first 2 shown]
	scratch_load_b64 v[140:141], off, off offset:152
	s_mov_b32 s0, exec_lo
	s_wait_loadcnt_dscnt 0x502
	v_dual_mul_f32 v26, v23, v6 :: v_dual_mul_f32 v143, v24, v8
	v_mul_f32_e32 v142, v22, v6
	v_mul_f32_e32 v6, v25, v8
	s_wait_loadcnt_dscnt 0x300
	v_mul_f32_e32 v144, v138, v12
	v_fma_f32 v22, v22, v5, -v26
	v_dual_fmac_f32 v143, v25, v7 :: v_dual_fmac_f32 v142, v23, v5
	v_mul_f32_e32 v25, v134, v4
	v_mul_f32_e32 v4, v135, v4
	;; [unrolled: 1-line block ×5, first 2 shown]
	v_fmac_f32_e32 v25, v135, v3
	v_fma_f32 v23, v24, v7, -v6
	ds_load_b128 v[5:8], v21 offset:624
	v_mul_f32_e32 v24, v132, v2
	v_mul_f32_e32 v2, v133, v2
	v_fmac_f32_e32 v26, v137, v9
	v_fmac_f32_e32 v144, v139, v11
	v_fma_f32 v135, v138, v11, -v12
	v_fmac_f32_e32 v24, v133, v1
	v_fma_f32 v133, v134, v3, -v4
	v_fma_f32 v134, v136, v9, -v10
	ds_load_b128 v[9:12], v21 offset:640
	s_wait_loadcnt_dscnt 0x201
	v_dual_mul_f32 v137, v7, v16 :: v_dual_mul_f32 v136, v5, v14
	v_mul_f32_e32 v14, v6, v14
	v_mul_f32_e32 v16, v8, v16
	s_delay_alu instid0(VALU_DEP_3)
	v_fmac_f32_e32 v137, v8, v15
	v_fma_f32 v132, v132, v1, -v2
	scratch_load_b128 v[1:4], off, off offset:240
	v_fmac_f32_e32 v136, v6, v13
	v_fma_f32 v13, v5, v13, -v14
	v_fma_f32 v14, v7, v15, -v16
	s_wait_loadcnt_dscnt 0x200
	v_mul_f32_e32 v15, v9, v18
	v_mul_f32_e32 v16, v10, v18
	;; [unrolled: 1-line block ×4, first 2 shown]
	ds_load_b128 v[5:8], v21 offset:656
	v_fmac_f32_e32 v15, v10, v17
	v_fma_f32 v16, v9, v17, -v16
	v_fmac_f32_e32 v18, v12, v19
	v_fma_f32 v17, v11, v19, -v20
	scratch_load_b128 v[9:12], off, off offset:256
	s_wait_loadcnt_dscnt 0x100
	v_mul_f32_e32 v19, v5, v2
	v_mul_f32_e32 v2, v6, v2
	;; [unrolled: 1-line block ×3, first 2 shown]
	s_delay_alu instid0(VALU_DEP_3) | instskip(NEXT) | instid1(VALU_DEP_3)
	v_dual_mul_f32 v4, v8, v4 :: v_dual_fmac_f32 v19, v6, v1
	v_fma_f32 v138, v5, v1, -v2
	s_delay_alu instid0(VALU_DEP_3) | instskip(NEXT) | instid1(VALU_DEP_3)
	v_fmac_f32_e32 v20, v8, v3
	v_fma_f32 v139, v7, v3, -v4
	ds_load_b128 v[1:4], v21 offset:672
	ds_load_b128 v[5:8], v21 offset:688
	s_wait_loadcnt_dscnt 0x1
	v_mul_f32_e32 v145, v1, v10
	v_mul_f32_e32 v10, v2, v10
	s_delay_alu instid0(VALU_DEP_2) | instskip(NEXT) | instid1(VALU_DEP_2)
	v_dual_mul_f32 v146, v3, v12 :: v_dual_fmac_f32 v145, v2, v9
	v_fma_f32 v147, v1, v9, -v10
	v_mul_f32_e32 v1, v4, v12
	s_delay_alu instid0(VALU_DEP_3) | instskip(NEXT) | instid1(VALU_DEP_2)
	v_fmac_f32_e32 v146, v4, v11
	v_fma_f32 v148, v3, v11, -v1
	s_clause 0x1
	scratch_load_b128 v[1:4], off, off offset:272
	scratch_load_b128 v[9:12], off, off offset:288
	s_wait_loadcnt_dscnt 0x100
	v_mul_f32_e32 v149, v5, v2
	v_dual_mul_f32 v2, v6, v2 :: v_dual_mul_f32 v151, v7, v4
	s_delay_alu instid0(VALU_DEP_2) | instskip(NEXT) | instid1(VALU_DEP_2)
	v_fmac_f32_e32 v149, v6, v1
	v_fma_f32 v150, v5, v1, -v2
	v_mul_f32_e32 v1, v8, v4
	s_delay_alu instid0(VALU_DEP_4) | instskip(NEXT) | instid1(VALU_DEP_2)
	v_fmac_f32_e32 v151, v8, v3
	v_fma_f32 v152, v7, v3, -v1
	ds_load_b128 v[1:4], v21 offset:704
	ds_load_b128 v[5:8], v21 offset:720
	s_wait_loadcnt_dscnt 0x1
	v_mul_f32_e32 v153, v1, v10
	v_mul_f32_e32 v155, v3, v12
	s_delay_alu instid0(VALU_DEP_2) | instskip(NEXT) | instid1(VALU_DEP_2)
	v_fmac_f32_e32 v153, v2, v9
	v_dual_mul_f32 v2, v2, v10 :: v_dual_fmac_f32 v155, v4, v11
	s_delay_alu instid0(VALU_DEP_1) | instskip(SKIP_1) | instid1(VALU_DEP_1)
	v_fma_f32 v154, v1, v9, -v2
	v_mul_f32_e32 v1, v4, v12
	v_fma_f32 v156, v3, v11, -v1
	s_clause 0x1
	scratch_load_b128 v[1:4], off, off offset:304
	scratch_load_b128 v[9:12], off, off offset:320
	s_wait_loadcnt_dscnt 0x100
	v_mul_f32_e32 v157, v5, v2
	v_dual_mul_f32 v2, v6, v2 :: v_dual_mul_f32 v159, v7, v4
	s_delay_alu instid0(VALU_DEP_2) | instskip(NEXT) | instid1(VALU_DEP_2)
	v_fmac_f32_e32 v157, v6, v1
	v_fma_f32 v158, v5, v1, -v2
	v_mul_f32_e32 v1, v8, v4
	s_delay_alu instid0(VALU_DEP_4) | instskip(NEXT) | instid1(VALU_DEP_2)
	v_fmac_f32_e32 v159, v8, v3
	v_fma_f32 v160, v7, v3, -v1
	ds_load_b128 v[1:4], v21 offset:736
	ds_load_b128 v[5:8], v21 offset:752
	s_wait_loadcnt_dscnt 0x1
	v_mul_f32_e32 v161, v1, v10
	v_mul_f32_e32 v163, v3, v12
	s_delay_alu instid0(VALU_DEP_2) | instskip(NEXT) | instid1(VALU_DEP_2)
	v_fmac_f32_e32 v161, v2, v9
	v_dual_mul_f32 v2, v2, v10 :: v_dual_fmac_f32 v163, v4, v11
	s_delay_alu instid0(VALU_DEP_1) | instskip(SKIP_1) | instid1(VALU_DEP_1)
	v_fma_f32 v162, v1, v9, -v2
	v_mul_f32_e32 v1, v4, v12
	v_fma_f32 v164, v3, v11, -v1
	s_clause 0x1
	scratch_load_b128 v[1:4], off, off offset:336
	scratch_load_b128 v[9:12], off, off offset:352
	s_wait_loadcnt_dscnt 0x100
	v_mul_f32_e32 v165, v5, v2
	v_dual_mul_f32 v2, v6, v2 :: v_dual_mul_f32 v167, v7, v4
	s_delay_alu instid0(VALU_DEP_1) | instskip(NEXT) | instid1(VALU_DEP_2)
	v_fma_f32 v166, v5, v1, -v2
	v_dual_fmac_f32 v167, v8, v3 :: v_dual_add_f32 v2, 0, v142
	s_delay_alu instid0(VALU_DEP_1) | instskip(NEXT) | instid1(VALU_DEP_1)
	v_add_f32_e32 v2, v2, v143
	v_add_f32_e32 v2, v2, v24
	s_delay_alu instid0(VALU_DEP_1) | instskip(NEXT) | instid1(VALU_DEP_1)
	v_add_f32_e32 v2, v2, v25
	v_add_f32_e32 v2, v2, v26
	;; [unrolled: 3-line block ×5, first 2 shown]
	v_fmac_f32_e32 v165, v6, v1
	v_mul_f32_e32 v1, v8, v4
	s_delay_alu instid0(VALU_DEP_1) | instskip(SKIP_1) | instid1(VALU_DEP_1)
	v_fma_f32 v168, v7, v3, -v1
	v_add_f32_e32 v1, 0, v22
	v_add_f32_e32 v1, v1, v23
	s_delay_alu instid0(VALU_DEP_1) | instskip(NEXT) | instid1(VALU_DEP_1)
	v_add_f32_e32 v1, v1, v132
	v_add_f32_e32 v1, v1, v133
	s_delay_alu instid0(VALU_DEP_1) | instskip(NEXT) | instid1(VALU_DEP_1)
	;; [unrolled: 3-line block ×3, first 2 shown]
	v_add_f32_e32 v1, v1, v13
	v_add_f32_e32 v1, v1, v14
	;; [unrolled: 1-line block ×3, first 2 shown]
	s_delay_alu instid0(VALU_DEP_1) | instskip(NEXT) | instid1(VALU_DEP_1)
	v_dual_add_f32 v1, v1, v16 :: v_dual_add_f32 v14, v14, v145
	v_add_f32_e32 v6, v1, v17
	ds_load_b128 v[1:4], v21 offset:768
	v_add_f32_e32 v14, v14, v146
	v_add_f32_e32 v6, v6, v138
	s_delay_alu instid0(VALU_DEP_2) | instskip(NEXT) | instid1(VALU_DEP_2)
	v_add_f32_e32 v17, v14, v149
	v_add_f32_e32 v13, v6, v139
	ds_load_b128 v[5:8], v21 offset:784
	s_wait_loadcnt_dscnt 0x1
	v_dual_mul_f32 v26, v3, v12 :: v_dual_mul_f32 v25, v1, v10
	v_mul_f32_e32 v10, v2, v10
	v_mul_f32_e32 v12, v4, v12
	s_delay_alu instid0(VALU_DEP_3) | instskip(NEXT) | instid1(VALU_DEP_3)
	v_dual_fmac_f32 v26, v4, v11 :: v_dual_fmac_f32 v25, v2, v9
	v_fma_f32 v132, v1, v9, -v10
	s_delay_alu instid0(VALU_DEP_3)
	v_fma_f32 v133, v3, v11, -v12
	s_clause 0x1
	scratch_load_b128 v[1:4], off, off offset:368
	scratch_load_b128 v[9:12], off, off offset:384
	s_wait_loadcnt_dscnt 0x100
	v_mul_f32_e32 v136, v5, v2
	v_add_f32_e32 v13, v13, v147
	v_dual_mul_f32 v137, v7, v4 :: v_dual_mul_f32 v2, v6, v2
	v_mul_f32_e32 v4, v8, v4
	s_delay_alu instid0(VALU_DEP_3) | instskip(NEXT) | instid1(VALU_DEP_3)
	v_dual_fmac_f32 v136, v6, v1 :: v_dual_add_f32 v13, v13, v148
	v_fma_f32 v2, v5, v1, -v2
	s_delay_alu instid0(VALU_DEP_2) | instskip(NEXT) | instid1(VALU_DEP_1)
	v_add_f32_e32 v13, v13, v150
	v_add_f32_e32 v18, v13, v152
	scratch_load_b128 v[13:16], off, off offset:400
	v_add_f32_e32 v18, v18, v154
	s_delay_alu instid0(VALU_DEP_1) | instskip(NEXT) | instid1(VALU_DEP_1)
	v_add_f32_e32 v18, v18, v156
	v_dual_add_f32 v22, v18, v158 :: v_dual_add_f32 v17, v17, v151
	s_delay_alu instid0(VALU_DEP_1) | instskip(NEXT) | instid1(VALU_DEP_1)
	v_dual_add_f32 v134, v22, v160 :: v_dual_add_f32 v17, v17, v153
	v_dual_add_f32 v134, v134, v162 :: v_dual_add_f32 v17, v17, v155
	s_delay_alu instid0(VALU_DEP_1) | instskip(SKIP_4) | instid1(VALU_DEP_1)
	v_dual_add_f32 v134, v134, v164 :: v_dual_add_f32 v23, v17, v157
	ds_load_b128 v[17:20], v21 offset:800
	v_dual_add_f32 v134, v134, v166 :: v_dual_add_f32 v135, v23, v159
	ds_load_b128 v[21:24], v21 offset:816
	v_add_f32_e32 v134, v134, v168
	v_add_f32_e32 v132, v134, v132
	s_wait_loadcnt_dscnt 0x101
	s_delay_alu instid0(VALU_DEP_1) | instskip(SKIP_4) | instid1(VALU_DEP_4)
	v_dual_add_f32 v1, v132, v133 :: v_dual_mul_f32 v138, v17, v10
	v_add_f32_e32 v135, v135, v161
	v_fmac_f32_e32 v137, v8, v3
	v_fma_f32 v3, v7, v3, -v4
	v_mul_f32_e32 v4, v20, v12
	v_dual_fmac_f32 v138, v18, v9 :: v_dual_add_f32 v135, v135, v163
	v_dual_mul_f32 v139, v19, v12 :: v_dual_mul_f32 v6, v18, v10
	s_delay_alu instid0(VALU_DEP_3) | instskip(SKIP_1) | instid1(VALU_DEP_4)
	v_fma_f32 v4, v19, v11, -v4
	v_add_f32_e32 v1, v1, v2
	v_add_f32_e32 v135, v135, v165
	s_delay_alu instid0(VALU_DEP_1) | instskip(NEXT) | instid1(VALU_DEP_1)
	v_add_f32_e32 v135, v135, v167
	v_add_f32_e32 v25, v135, v25
	s_delay_alu instid0(VALU_DEP_1) | instskip(NEXT) | instid1(VALU_DEP_1)
	v_add_f32_e32 v5, v25, v26
	v_add_f32_e32 v2, v5, v136
	v_fma_f32 v5, v17, v9, -v6
	s_delay_alu instid0(VALU_DEP_2) | instskip(NEXT) | instid1(VALU_DEP_1)
	v_dual_add_f32 v2, v2, v137 :: v_dual_add_f32 v1, v1, v3
	v_add_f32_e32 v2, v2, v138
	s_wait_loadcnt_dscnt 0x0
	v_mul_f32_e32 v134, v23, v16
	v_dual_mul_f32 v142, v21, v14 :: v_dual_fmac_f32 v139, v20, v11
	s_delay_alu instid0(VALU_DEP_2) | instskip(NEXT) | instid1(VALU_DEP_2)
	v_dual_mul_f32 v3, v22, v14 :: v_dual_fmac_f32 v134, v24, v15
	v_fmac_f32_e32 v142, v22, v13
	s_delay_alu instid0(VALU_DEP_3) | instskip(SKIP_1) | instid1(VALU_DEP_4)
	v_dual_add_f32 v1, v1, v5 :: v_dual_add_f32 v2, v2, v139
	v_mul_f32_e32 v5, v24, v16
	v_fma_f32 v3, v21, v13, -v3
	s_delay_alu instid0(VALU_DEP_3) | instskip(NEXT) | instid1(VALU_DEP_3)
	v_dual_add_f32 v2, v2, v142 :: v_dual_add_f32 v1, v1, v4
	v_fma_f32 v4, v23, v15, -v5
	s_delay_alu instid0(VALU_DEP_2) | instskip(NEXT) | instid1(VALU_DEP_1)
	v_dual_add_f32 v2, v2, v134 :: v_dual_add_f32 v1, v1, v3
	v_sub_f32_e32 v2, v141, v2
	s_delay_alu instid0(VALU_DEP_2) | instskip(NEXT) | instid1(VALU_DEP_1)
	v_add_f32_e32 v1, v1, v4
	v_sub_f32_e32 v1, v140, v1
	scratch_store_b64 off, v[1:2], off offset:152
	v_cmpx_lt_u32_e32 18, v0
	s_cbranch_execz .LBB115_289
; %bb.288:
	scratch_load_b64 v[1:2], off, off offset:144
	v_mov_b32_e32 v3, 0
	s_delay_alu instid0(VALU_DEP_1)
	v_mov_b32_e32 v4, v3
	scratch_store_b64 off, v[3:4], off offset:144
	s_wait_loadcnt 0x0
	ds_store_b64 v27, v[1:2]
.LBB115_289:
	s_wait_alu 0xfffe
	s_or_b32 exec_lo, exec_lo, s0
	s_wait_storecnt_dscnt 0x0
	s_barrier_signal -1
	s_barrier_wait -1
	global_inv scope:SCOPE_SE
	s_clause 0x4
	scratch_load_b128 v[5:8], off, off offset:152
	scratch_load_b128 v[1:4], off, off offset:168
	;; [unrolled: 1-line block ×5, first 2 shown]
	v_mov_b32_e32 v21, 0
	ds_load_2addr_b64 v[22:25], v21 offset0:71 offset1:72
	ds_load_2addr_b64 v[132:135], v21 offset0:73 offset1:74
	;; [unrolled: 1-line block ×3, first 2 shown]
	scratch_load_b64 v[140:141], off, off offset:144
	s_mov_b32 s0, exec_lo
	s_wait_loadcnt_dscnt 0x502
	v_dual_mul_f32 v142, v22, v6 :: v_dual_mul_f32 v143, v24, v8
	v_mul_f32_e32 v26, v23, v6
	v_mul_f32_e32 v6, v25, v8
	s_wait_loadcnt_dscnt 0x300
	v_mul_f32_e32 v144, v138, v12
	v_dual_fmac_f32 v142, v23, v5 :: v_dual_fmac_f32 v143, v25, v7
	v_mul_f32_e32 v25, v134, v4
	v_fma_f32 v22, v22, v5, -v26
	v_mul_f32_e32 v26, v136, v10
	v_mul_f32_e32 v4, v135, v4
	s_delay_alu instid0(VALU_DEP_4)
	v_dual_mul_f32 v10, v137, v10 :: v_dual_fmac_f32 v25, v135, v3
	v_fma_f32 v23, v24, v7, -v6
	ds_load_2addr_b64 v[5:8], v21 offset0:77 offset1:78
	v_mul_f32_e32 v24, v132, v2
	v_mul_f32_e32 v12, v139, v12
	v_mul_f32_e32 v2, v133, v2
	v_fmac_f32_e32 v26, v137, v9
	v_fmac_f32_e32 v144, v139, v11
	;; [unrolled: 1-line block ×3, first 2 shown]
	v_fma_f32 v133, v134, v3, -v4
	v_fma_f32 v134, v136, v9, -v10
	;; [unrolled: 1-line block ×3, first 2 shown]
	ds_load_2addr_b64 v[9:12], v21 offset0:79 offset1:80
	s_wait_loadcnt_dscnt 0x201
	v_dual_mul_f32 v137, v7, v16 :: v_dual_mul_f32 v136, v5, v14
	v_mul_f32_e32 v14, v6, v14
	v_mul_f32_e32 v16, v8, v16
	s_delay_alu instid0(VALU_DEP_3)
	v_fmac_f32_e32 v137, v8, v15
	v_fma_f32 v132, v132, v1, -v2
	scratch_load_b128 v[1:4], off, off offset:232
	v_fmac_f32_e32 v136, v6, v13
	v_fma_f32 v13, v5, v13, -v14
	v_fma_f32 v14, v7, v15, -v16
	s_wait_loadcnt_dscnt 0x200
	v_mul_f32_e32 v15, v9, v18
	v_mul_f32_e32 v16, v10, v18
	v_mul_f32_e32 v18, v11, v20
	v_mul_f32_e32 v20, v12, v20
	ds_load_2addr_b64 v[5:8], v21 offset0:81 offset1:82
	v_fmac_f32_e32 v15, v10, v17
	v_fma_f32 v16, v9, v17, -v16
	v_fmac_f32_e32 v18, v12, v19
	v_fma_f32 v17, v11, v19, -v20
	scratch_load_b128 v[9:12], off, off offset:248
	s_wait_loadcnt_dscnt 0x100
	v_mul_f32_e32 v19, v5, v2
	v_mul_f32_e32 v2, v6, v2
	;; [unrolled: 1-line block ×3, first 2 shown]
	s_delay_alu instid0(VALU_DEP_3) | instskip(NEXT) | instid1(VALU_DEP_3)
	v_dual_mul_f32 v4, v8, v4 :: v_dual_fmac_f32 v19, v6, v1
	v_fma_f32 v138, v5, v1, -v2
	s_delay_alu instid0(VALU_DEP_3) | instskip(NEXT) | instid1(VALU_DEP_3)
	v_fmac_f32_e32 v20, v8, v3
	v_fma_f32 v139, v7, v3, -v4
	ds_load_2addr_b64 v[1:4], v21 offset0:83 offset1:84
	ds_load_2addr_b64 v[5:8], v21 offset0:85 offset1:86
	s_wait_loadcnt_dscnt 0x1
	v_mul_f32_e32 v145, v1, v10
	v_mul_f32_e32 v10, v2, v10
	s_delay_alu instid0(VALU_DEP_2) | instskip(NEXT) | instid1(VALU_DEP_2)
	v_dual_mul_f32 v146, v3, v12 :: v_dual_fmac_f32 v145, v2, v9
	v_fma_f32 v147, v1, v9, -v10
	v_mul_f32_e32 v1, v4, v12
	s_delay_alu instid0(VALU_DEP_3) | instskip(NEXT) | instid1(VALU_DEP_2)
	v_fmac_f32_e32 v146, v4, v11
	v_fma_f32 v148, v3, v11, -v1
	s_clause 0x1
	scratch_load_b128 v[1:4], off, off offset:264
	scratch_load_b128 v[9:12], off, off offset:280
	s_wait_loadcnt_dscnt 0x100
	v_mul_f32_e32 v149, v5, v2
	v_dual_mul_f32 v2, v6, v2 :: v_dual_mul_f32 v151, v7, v4
	s_delay_alu instid0(VALU_DEP_2) | instskip(NEXT) | instid1(VALU_DEP_2)
	v_fmac_f32_e32 v149, v6, v1
	v_fma_f32 v150, v5, v1, -v2
	v_mul_f32_e32 v1, v8, v4
	s_delay_alu instid0(VALU_DEP_4) | instskip(NEXT) | instid1(VALU_DEP_2)
	v_fmac_f32_e32 v151, v8, v3
	v_fma_f32 v152, v7, v3, -v1
	ds_load_2addr_b64 v[1:4], v21 offset0:87 offset1:88
	ds_load_2addr_b64 v[5:8], v21 offset0:89 offset1:90
	s_wait_loadcnt_dscnt 0x1
	v_mul_f32_e32 v153, v1, v10
	v_mul_f32_e32 v155, v3, v12
	s_delay_alu instid0(VALU_DEP_2) | instskip(NEXT) | instid1(VALU_DEP_2)
	v_fmac_f32_e32 v153, v2, v9
	v_dual_mul_f32 v2, v2, v10 :: v_dual_fmac_f32 v155, v4, v11
	s_delay_alu instid0(VALU_DEP_1) | instskip(SKIP_1) | instid1(VALU_DEP_1)
	v_fma_f32 v154, v1, v9, -v2
	v_mul_f32_e32 v1, v4, v12
	v_fma_f32 v156, v3, v11, -v1
	s_clause 0x1
	scratch_load_b128 v[1:4], off, off offset:296
	scratch_load_b128 v[9:12], off, off offset:312
	s_wait_loadcnt_dscnt 0x100
	v_mul_f32_e32 v157, v5, v2
	v_dual_mul_f32 v2, v6, v2 :: v_dual_mul_f32 v159, v7, v4
	s_delay_alu instid0(VALU_DEP_2) | instskip(NEXT) | instid1(VALU_DEP_2)
	v_fmac_f32_e32 v157, v6, v1
	v_fma_f32 v158, v5, v1, -v2
	v_mul_f32_e32 v1, v8, v4
	s_delay_alu instid0(VALU_DEP_4) | instskip(NEXT) | instid1(VALU_DEP_2)
	v_fmac_f32_e32 v159, v8, v3
	v_fma_f32 v160, v7, v3, -v1
	ds_load_2addr_b64 v[1:4], v21 offset0:91 offset1:92
	ds_load_2addr_b64 v[5:8], v21 offset0:93 offset1:94
	s_wait_loadcnt_dscnt 0x1
	v_mul_f32_e32 v161, v1, v10
	v_mul_f32_e32 v163, v3, v12
	s_delay_alu instid0(VALU_DEP_2) | instskip(NEXT) | instid1(VALU_DEP_2)
	v_fmac_f32_e32 v161, v2, v9
	v_dual_mul_f32 v2, v2, v10 :: v_dual_fmac_f32 v163, v4, v11
	s_delay_alu instid0(VALU_DEP_1) | instskip(SKIP_1) | instid1(VALU_DEP_1)
	v_fma_f32 v162, v1, v9, -v2
	v_mul_f32_e32 v1, v4, v12
	v_fma_f32 v164, v3, v11, -v1
	s_clause 0x1
	scratch_load_b128 v[1:4], off, off offset:328
	scratch_load_b128 v[9:12], off, off offset:344
	s_wait_loadcnt_dscnt 0x100
	v_mul_f32_e32 v165, v5, v2
	v_dual_mul_f32 v2, v6, v2 :: v_dual_mul_f32 v167, v7, v4
	s_delay_alu instid0(VALU_DEP_1) | instskip(SKIP_1) | instid1(VALU_DEP_1)
	v_fma_f32 v166, v5, v1, -v2
	v_add_f32_e32 v2, 0, v142
	v_add_f32_e32 v2, v2, v143
	s_delay_alu instid0(VALU_DEP_1) | instskip(NEXT) | instid1(VALU_DEP_1)
	v_dual_fmac_f32 v167, v8, v3 :: v_dual_add_f32 v2, v2, v24
	v_add_f32_e32 v2, v2, v25
	s_delay_alu instid0(VALU_DEP_1) | instskip(NEXT) | instid1(VALU_DEP_1)
	v_add_f32_e32 v2, v2, v26
	v_add_f32_e32 v2, v2, v144
	s_delay_alu instid0(VALU_DEP_1) | instskip(NEXT) | instid1(VALU_DEP_1)
	v_add_f32_e32 v2, v2, v136
	;; [unrolled: 3-line block ×3, first 2 shown]
	v_add_f32_e32 v5, v5, v18
	s_delay_alu instid0(VALU_DEP_1) | instskip(SKIP_2) | instid1(VALU_DEP_1)
	v_add_f32_e32 v5, v5, v19
	v_fmac_f32_e32 v165, v6, v1
	v_mul_f32_e32 v1, v8, v4
	v_fma_f32 v168, v7, v3, -v1
	v_add_f32_e32 v1, 0, v22
	s_delay_alu instid0(VALU_DEP_1) | instskip(NEXT) | instid1(VALU_DEP_1)
	v_add_f32_e32 v1, v1, v23
	v_add_f32_e32 v1, v1, v132
	s_delay_alu instid0(VALU_DEP_1) | instskip(SKIP_2) | instid1(VALU_DEP_1)
	v_add_f32_e32 v1, v1, v133
	scratch_load_b64 v[132:133], off, off offset:408
	v_add_f32_e32 v1, v1, v134
	v_add_f32_e32 v1, v1, v135
	s_delay_alu instid0(VALU_DEP_1) | instskip(NEXT) | instid1(VALU_DEP_1)
	v_add_f32_e32 v1, v1, v13
	v_add_f32_e32 v1, v1, v14
	;; [unrolled: 1-line block ×3, first 2 shown]
	s_delay_alu instid0(VALU_DEP_1) | instskip(NEXT) | instid1(VALU_DEP_1)
	v_dual_add_f32 v1, v1, v16 :: v_dual_add_f32 v14, v14, v145
	v_add_f32_e32 v6, v1, v17
	ds_load_2addr_b64 v[1:4], v21 offset0:95 offset1:96
	v_add_f32_e32 v14, v14, v146
	v_add_f32_e32 v6, v6, v138
	s_delay_alu instid0(VALU_DEP_1)
	v_add_f32_e32 v13, v6, v139
	ds_load_2addr_b64 v[5:8], v21 offset0:97 offset1:98
	s_wait_loadcnt_dscnt 0x101
	v_mul_f32_e32 v26, v1, v10
	v_dual_add_f32 v13, v13, v147 :: v_dual_mul_f32 v10, v2, v10
	v_mul_f32_e32 v136, v3, v12
	v_mul_f32_e32 v12, v4, v12
	s_delay_alu instid0(VALU_DEP_3) | instskip(NEXT) | instid1(VALU_DEP_4)
	v_dual_fmac_f32 v26, v2, v9 :: v_dual_add_f32 v13, v13, v148
	v_fma_f32 v137, v1, v9, -v10
	s_delay_alu instid0(VALU_DEP_4) | instskip(NEXT) | instid1(VALU_DEP_4)
	v_fmac_f32_e32 v136, v4, v11
	v_fma_f32 v138, v3, v11, -v12
	s_clause 0x1
	scratch_load_b128 v[1:4], off, off offset:360
	scratch_load_b128 v[9:12], off, off offset:376
	v_add_f32_e32 v13, v13, v150
	s_delay_alu instid0(VALU_DEP_1) | instskip(SKIP_2) | instid1(VALU_DEP_1)
	v_dual_add_f32 v17, v14, v149 :: v_dual_add_f32 v18, v13, v152
	scratch_load_b128 v[13:16], off, off offset:392
	v_add_f32_e32 v18, v18, v154
	v_dual_add_f32 v18, v18, v156 :: v_dual_add_f32 v17, v17, v151
	s_delay_alu instid0(VALU_DEP_1) | instskip(NEXT) | instid1(VALU_DEP_1)
	v_dual_add_f32 v18, v18, v158 :: v_dual_add_f32 v17, v17, v153
	v_dual_add_f32 v18, v18, v160 :: v_dual_add_f32 v17, v17, v155
	s_delay_alu instid0(VALU_DEP_1) | instskip(NEXT) | instid1(VALU_DEP_1)
	v_dual_add_f32 v134, v18, v162 :: v_dual_add_f32 v17, v17, v157
	v_dual_add_f32 v139, v134, v164 :: v_dual_add_f32 v22, v17, v159
	ds_load_2addr_b64 v[17:20], v21 offset0:99 offset1:100
	v_add_f32_e32 v135, v22, v161
	ds_load_2addr_b64 v[22:25], v21 offset0:101 offset1:102
	s_wait_loadcnt_dscnt 0x202
	v_mul_f32_e32 v144, v7, v4
	v_add_f32_e32 v142, v135, v163
	v_add_f32_e32 v139, v139, v166
	ds_load_b64 v[134:135], v21 offset:824
	v_fmac_f32_e32 v144, v8, v3
	v_dual_add_f32 v142, v142, v165 :: v_dual_mul_f32 v143, v5, v2
	v_dual_add_f32 v139, v139, v168 :: v_dual_mul_f32 v2, v6, v2
	v_mul_f32_e32 v4, v8, v4
	s_delay_alu instid0(VALU_DEP_3) | instskip(NEXT) | instid1(VALU_DEP_4)
	v_add_f32_e32 v142, v142, v167
	v_fmac_f32_e32 v143, v6, v1
	s_delay_alu instid0(VALU_DEP_4)
	v_add_f32_e32 v137, v139, v137
	v_fma_f32 v2, v5, v1, -v2
	s_wait_loadcnt_dscnt 0x102
	v_dual_mul_f32 v5, v20, v12 :: v_dual_add_f32 v26, v142, v26
	v_dual_mul_f32 v139, v17, v10 :: v_dual_mul_f32 v142, v19, v12
	v_add_f32_e32 v137, v137, v138
	v_fma_f32 v1, v7, v3, -v4
	s_delay_alu instid0(VALU_DEP_4) | instskip(NEXT) | instid1(VALU_DEP_4)
	v_add_f32_e32 v26, v26, v136
	v_fmac_f32_e32 v139, v18, v9
	v_fma_f32 v5, v19, v11, -v5
	v_add_f32_e32 v2, v137, v2
	s_wait_loadcnt_dscnt 0x1
	v_dual_mul_f32 v145, v22, v14 :: v_dual_mul_f32 v138, v24, v16
	v_add_f32_e32 v4, v26, v143
	v_mul_f32_e32 v3, v18, v10
	v_dual_add_f32 v1, v2, v1 :: v_dual_fmac_f32 v142, v20, v11
	s_delay_alu instid0(VALU_DEP_3) | instskip(NEXT) | instid1(VALU_DEP_3)
	v_dual_fmac_f32 v145, v23, v13 :: v_dual_add_f32 v2, v4, v144
	v_fma_f32 v3, v17, v9, -v3
	v_mul_f32_e32 v4, v23, v14
	s_wait_dscnt 0x0
	s_delay_alu instid0(VALU_DEP_2) | instskip(SKIP_1) | instid1(VALU_DEP_3)
	v_dual_mul_f32 v136, v134, v133 :: v_dual_add_f32 v1, v1, v3
	v_dual_add_f32 v2, v2, v139 :: v_dual_mul_f32 v3, v25, v16
	v_fma_f32 v4, v22, v13, -v4
	s_delay_alu instid0(VALU_DEP_2) | instskip(SKIP_1) | instid1(VALU_DEP_4)
	v_dual_add_f32 v1, v1, v5 :: v_dual_add_f32 v2, v2, v142
	v_mul_f32_e32 v5, v135, v133
	v_fma_f32 v3, v24, v15, -v3
	s_delay_alu instid0(VALU_DEP_3) | instskip(SKIP_1) | instid1(VALU_DEP_4)
	v_dual_add_f32 v1, v1, v4 :: v_dual_add_f32 v2, v2, v145
	v_fmac_f32_e32 v136, v135, v132
	v_fma_f32 v4, v134, v132, -v5
	s_delay_alu instid0(VALU_DEP_3) | instskip(NEXT) | instid1(VALU_DEP_1)
	v_add_f32_e32 v1, v1, v3
	v_add_f32_e32 v1, v1, v4
	s_delay_alu instid0(VALU_DEP_1) | instskip(NEXT) | instid1(VALU_DEP_1)
	v_dual_fmac_f32 v138, v25, v15 :: v_dual_sub_f32 v1, v140, v1
	v_add_f32_e32 v2, v2, v138
	s_delay_alu instid0(VALU_DEP_1) | instskip(NEXT) | instid1(VALU_DEP_1)
	v_add_f32_e32 v2, v2, v136
	v_sub_f32_e32 v2, v141, v2
	scratch_store_b64 off, v[1:2], off offset:144
	v_cmpx_lt_u32_e32 17, v0
	s_cbranch_execz .LBB115_291
; %bb.290:
	scratch_load_b64 v[1:2], off, off offset:136
	v_mov_b32_e32 v22, v21
	scratch_store_b64 off, v[21:22], off offset:136
	s_wait_loadcnt 0x0
	ds_store_b64 v27, v[1:2]
.LBB115_291:
	s_wait_alu 0xfffe
	s_or_b32 exec_lo, exec_lo, s0
	s_wait_storecnt_dscnt 0x0
	s_barrier_signal -1
	s_barrier_wait -1
	global_inv scope:SCOPE_SE
	s_clause 0x4
	scratch_load_b128 v[5:8], off, off offset:144
	scratch_load_b128 v[1:4], off, off offset:160
	;; [unrolled: 1-line block ×5, first 2 shown]
	ds_load_b128 v[22:25], v21 offset:560
	ds_load_b128 v[132:135], v21 offset:576
	;; [unrolled: 1-line block ×3, first 2 shown]
	scratch_load_b64 v[140:141], off, off offset:136
	s_mov_b32 s0, exec_lo
	s_wait_loadcnt_dscnt 0x502
	v_dual_mul_f32 v26, v23, v6 :: v_dual_mul_f32 v143, v24, v8
	v_mul_f32_e32 v142, v22, v6
	v_mul_f32_e32 v6, v25, v8
	s_wait_loadcnt_dscnt 0x300
	v_mul_f32_e32 v144, v138, v12
	v_fma_f32 v22, v22, v5, -v26
	v_dual_fmac_f32 v143, v25, v7 :: v_dual_fmac_f32 v142, v23, v5
	v_mul_f32_e32 v25, v134, v4
	v_mul_f32_e32 v4, v135, v4
	;; [unrolled: 1-line block ×5, first 2 shown]
	v_fmac_f32_e32 v25, v135, v3
	v_fma_f32 v23, v24, v7, -v6
	ds_load_b128 v[5:8], v21 offset:608
	v_mul_f32_e32 v24, v132, v2
	v_mul_f32_e32 v2, v133, v2
	v_fmac_f32_e32 v26, v137, v9
	v_fmac_f32_e32 v144, v139, v11
	v_fma_f32 v135, v138, v11, -v12
	v_fmac_f32_e32 v24, v133, v1
	v_fma_f32 v133, v134, v3, -v4
	v_fma_f32 v134, v136, v9, -v10
	ds_load_b128 v[9:12], v21 offset:624
	s_wait_loadcnt_dscnt 0x201
	v_dual_mul_f32 v137, v7, v16 :: v_dual_mul_f32 v136, v5, v14
	v_mul_f32_e32 v14, v6, v14
	v_mul_f32_e32 v16, v8, v16
	s_delay_alu instid0(VALU_DEP_3)
	v_fmac_f32_e32 v137, v8, v15
	v_fma_f32 v132, v132, v1, -v2
	scratch_load_b128 v[1:4], off, off offset:224
	v_fmac_f32_e32 v136, v6, v13
	v_fma_f32 v13, v5, v13, -v14
	v_fma_f32 v14, v7, v15, -v16
	s_wait_loadcnt_dscnt 0x200
	v_mul_f32_e32 v15, v9, v18
	v_mul_f32_e32 v16, v10, v18
	;; [unrolled: 1-line block ×4, first 2 shown]
	ds_load_b128 v[5:8], v21 offset:640
	v_fmac_f32_e32 v15, v10, v17
	v_fma_f32 v16, v9, v17, -v16
	v_fmac_f32_e32 v18, v12, v19
	v_fma_f32 v17, v11, v19, -v20
	scratch_load_b128 v[9:12], off, off offset:240
	s_wait_loadcnt_dscnt 0x100
	v_mul_f32_e32 v19, v5, v2
	v_mul_f32_e32 v2, v6, v2
	;; [unrolled: 1-line block ×3, first 2 shown]
	s_delay_alu instid0(VALU_DEP_3) | instskip(NEXT) | instid1(VALU_DEP_3)
	v_dual_mul_f32 v4, v8, v4 :: v_dual_fmac_f32 v19, v6, v1
	v_fma_f32 v138, v5, v1, -v2
	s_delay_alu instid0(VALU_DEP_3) | instskip(NEXT) | instid1(VALU_DEP_3)
	v_fmac_f32_e32 v20, v8, v3
	v_fma_f32 v139, v7, v3, -v4
	ds_load_b128 v[1:4], v21 offset:656
	ds_load_b128 v[5:8], v21 offset:672
	s_wait_loadcnt_dscnt 0x1
	v_mul_f32_e32 v145, v1, v10
	v_mul_f32_e32 v10, v2, v10
	s_delay_alu instid0(VALU_DEP_2) | instskip(NEXT) | instid1(VALU_DEP_2)
	v_dual_mul_f32 v146, v3, v12 :: v_dual_fmac_f32 v145, v2, v9
	v_fma_f32 v147, v1, v9, -v10
	v_mul_f32_e32 v1, v4, v12
	s_delay_alu instid0(VALU_DEP_3) | instskip(NEXT) | instid1(VALU_DEP_2)
	v_fmac_f32_e32 v146, v4, v11
	v_fma_f32 v148, v3, v11, -v1
	s_clause 0x1
	scratch_load_b128 v[1:4], off, off offset:256
	scratch_load_b128 v[9:12], off, off offset:272
	s_wait_loadcnt_dscnt 0x100
	v_mul_f32_e32 v149, v5, v2
	v_dual_mul_f32 v2, v6, v2 :: v_dual_mul_f32 v151, v7, v4
	s_delay_alu instid0(VALU_DEP_2) | instskip(NEXT) | instid1(VALU_DEP_2)
	v_fmac_f32_e32 v149, v6, v1
	v_fma_f32 v150, v5, v1, -v2
	v_mul_f32_e32 v1, v8, v4
	s_delay_alu instid0(VALU_DEP_4) | instskip(NEXT) | instid1(VALU_DEP_2)
	v_fmac_f32_e32 v151, v8, v3
	v_fma_f32 v152, v7, v3, -v1
	ds_load_b128 v[1:4], v21 offset:688
	ds_load_b128 v[5:8], v21 offset:704
	s_wait_loadcnt_dscnt 0x1
	v_mul_f32_e32 v153, v1, v10
	v_mul_f32_e32 v155, v3, v12
	s_delay_alu instid0(VALU_DEP_2) | instskip(NEXT) | instid1(VALU_DEP_2)
	v_fmac_f32_e32 v153, v2, v9
	v_dual_mul_f32 v2, v2, v10 :: v_dual_fmac_f32 v155, v4, v11
	s_delay_alu instid0(VALU_DEP_1) | instskip(SKIP_1) | instid1(VALU_DEP_1)
	v_fma_f32 v154, v1, v9, -v2
	v_mul_f32_e32 v1, v4, v12
	v_fma_f32 v156, v3, v11, -v1
	s_clause 0x1
	scratch_load_b128 v[1:4], off, off offset:288
	scratch_load_b128 v[9:12], off, off offset:304
	s_wait_loadcnt_dscnt 0x100
	v_mul_f32_e32 v157, v5, v2
	v_dual_mul_f32 v2, v6, v2 :: v_dual_mul_f32 v159, v7, v4
	s_delay_alu instid0(VALU_DEP_2) | instskip(NEXT) | instid1(VALU_DEP_2)
	v_fmac_f32_e32 v157, v6, v1
	v_fma_f32 v158, v5, v1, -v2
	v_mul_f32_e32 v1, v8, v4
	s_delay_alu instid0(VALU_DEP_4) | instskip(NEXT) | instid1(VALU_DEP_2)
	v_fmac_f32_e32 v159, v8, v3
	v_fma_f32 v160, v7, v3, -v1
	ds_load_b128 v[1:4], v21 offset:720
	ds_load_b128 v[5:8], v21 offset:736
	s_wait_loadcnt_dscnt 0x1
	v_mul_f32_e32 v161, v1, v10
	v_mul_f32_e32 v163, v3, v12
	s_delay_alu instid0(VALU_DEP_2) | instskip(NEXT) | instid1(VALU_DEP_2)
	v_fmac_f32_e32 v161, v2, v9
	v_dual_mul_f32 v2, v2, v10 :: v_dual_fmac_f32 v163, v4, v11
	s_delay_alu instid0(VALU_DEP_1) | instskip(SKIP_1) | instid1(VALU_DEP_1)
	v_fma_f32 v162, v1, v9, -v2
	v_mul_f32_e32 v1, v4, v12
	v_fma_f32 v164, v3, v11, -v1
	s_clause 0x1
	scratch_load_b128 v[1:4], off, off offset:320
	scratch_load_b128 v[9:12], off, off offset:336
	s_wait_loadcnt_dscnt 0x100
	v_mul_f32_e32 v165, v5, v2
	v_dual_mul_f32 v2, v6, v2 :: v_dual_mul_f32 v167, v7, v4
	s_delay_alu instid0(VALU_DEP_1) | instskip(NEXT) | instid1(VALU_DEP_2)
	v_fma_f32 v166, v5, v1, -v2
	v_dual_fmac_f32 v167, v8, v3 :: v_dual_add_f32 v2, 0, v142
	s_delay_alu instid0(VALU_DEP_1) | instskip(SKIP_1) | instid1(VALU_DEP_2)
	v_add_f32_e32 v2, v2, v143
	v_fmac_f32_e32 v165, v6, v1
	v_add_f32_e32 v2, v2, v24
	s_delay_alu instid0(VALU_DEP_1) | instskip(NEXT) | instid1(VALU_DEP_1)
	v_dual_mul_f32 v1, v8, v4 :: v_dual_add_f32 v2, v2, v25
	v_fma_f32 v168, v7, v3, -v1
	s_delay_alu instid0(VALU_DEP_2) | instskip(NEXT) | instid1(VALU_DEP_1)
	v_add_f32_e32 v2, v2, v26
	v_dual_add_f32 v1, 0, v22 :: v_dual_add_f32 v2, v2, v144
	s_delay_alu instid0(VALU_DEP_1) | instskip(NEXT) | instid1(VALU_DEP_1)
	v_dual_add_f32 v1, v1, v23 :: v_dual_add_f32 v2, v2, v136
	v_dual_add_f32 v1, v1, v132 :: v_dual_add_f32 v2, v2, v137
	s_delay_alu instid0(VALU_DEP_1) | instskip(NEXT) | instid1(VALU_DEP_1)
	v_dual_add_f32 v1, v1, v133 :: v_dual_add_f32 v2, v2, v15
	v_add_f32_e32 v1, v1, v134
	s_delay_alu instid0(VALU_DEP_2) | instskip(NEXT) | instid1(VALU_DEP_2)
	v_add_f32_e32 v5, v2, v18
	v_add_f32_e32 v1, v1, v135
	s_delay_alu instid0(VALU_DEP_1) | instskip(NEXT) | instid1(VALU_DEP_3)
	v_add_f32_e32 v1, v1, v13
	v_add_f32_e32 v13, v5, v19
	s_delay_alu instid0(VALU_DEP_2) | instskip(NEXT) | instid1(VALU_DEP_1)
	v_add_f32_e32 v1, v1, v14
	v_add_f32_e32 v1, v1, v16
	s_delay_alu instid0(VALU_DEP_1) | instskip(NEXT) | instid1(VALU_DEP_1)
	v_add_f32_e32 v1, v1, v17
	v_add_f32_e32 v6, v1, v138
	ds_load_b128 v[1:4], v21 offset:752
	v_dual_add_f32 v13, v13, v20 :: v_dual_add_f32 v14, v6, v139
	scratch_load_b128 v[5:8], off, off offset:352
	v_dual_add_f32 v13, v13, v145 :: v_dual_add_f32 v14, v14, v147
	s_delay_alu instid0(VALU_DEP_1) | instskip(SKIP_4) | instid1(VALU_DEP_2)
	v_dual_add_f32 v18, v13, v146 :: v_dual_add_f32 v17, v14, v148
	ds_load_b128 v[13:16], v21 offset:768
	v_add_f32_e32 v18, v18, v149
	s_wait_loadcnt_dscnt 0x101
	v_mul_f32_e32 v26, v3, v12
	v_dual_add_f32 v18, v18, v151 :: v_dual_add_f32 v17, v17, v150
	v_mul_f32_e32 v12, v4, v12
	s_delay_alu instid0(VALU_DEP_3) | instskip(NEXT) | instid1(VALU_DEP_3)
	v_fmac_f32_e32 v26, v4, v11
	v_dual_add_f32 v22, v18, v153 :: v_dual_mul_f32 v25, v1, v10
	v_mul_f32_e32 v10, v2, v10
	s_delay_alu instid0(VALU_DEP_4) | instskip(NEXT) | instid1(VALU_DEP_3)
	v_fma_f32 v133, v3, v11, -v12
	v_add_f32_e32 v22, v22, v155
	s_delay_alu instid0(VALU_DEP_4) | instskip(NEXT) | instid1(VALU_DEP_4)
	v_fmac_f32_e32 v25, v2, v9
	v_fma_f32 v132, v1, v9, -v10
	scratch_load_b128 v[1:4], off, off offset:368
	v_add_f32_e32 v17, v17, v152
	scratch_load_b128 v[9:12], off, off offset:384
	v_add_f32_e32 v22, v22, v157
	s_wait_loadcnt_dscnt 0x200
	v_mul_f32_e32 v134, v13, v6
	v_mul_f32_e32 v6, v14, v6
	v_add_f32_e32 v17, v17, v154
	v_mul_f32_e32 v135, v15, v8
	v_mul_f32_e32 v8, v16, v8
	v_fmac_f32_e32 v134, v14, v5
	v_fma_f32 v136, v13, v5, -v6
	v_add_f32_e32 v23, v17, v156
	scratch_load_b128 v[17:20], off, off offset:400
	v_fma_f32 v137, v15, v7, -v8
	v_add_f32_e32 v23, v23, v158
	s_delay_alu instid0(VALU_DEP_1) | instskip(NEXT) | instid1(VALU_DEP_1)
	v_add_f32_e32 v23, v23, v160
	v_dual_add_f32 v13, v22, v159 :: v_dual_add_f32 v22, v23, v162
	s_delay_alu instid0(VALU_DEP_1) | instskip(NEXT) | instid1(VALU_DEP_1)
	v_dual_add_f32 v23, v13, v161 :: v_dual_add_f32 v138, v22, v164
	v_dual_add_f32 v138, v138, v166 :: v_dual_fmac_f32 v135, v16, v7
	ds_load_b128 v[5:8], v21 offset:784
	ds_load_b128 v[13:16], v21 offset:800
	v_dual_add_f32 v138, v138, v168 :: v_dual_add_f32 v139, v23, v163
	ds_load_b128 v[21:24], v21 offset:816
	v_dual_add_f32 v132, v138, v132 :: v_dual_add_f32 v139, v139, v165
	s_delay_alu instid0(VALU_DEP_1) | instskip(SKIP_1) | instid1(VALU_DEP_1)
	v_dual_add_f32 v132, v132, v133 :: v_dual_add_f32 v139, v139, v167
	s_wait_loadcnt_dscnt 0x202
	v_dual_add_f32 v25, v139, v25 :: v_dual_mul_f32 v142, v5, v2
	v_mul_f32_e32 v2, v6, v2
	s_wait_loadcnt_dscnt 0x101
	v_dual_mul_f32 v138, v7, v4 :: v_dual_mul_f32 v139, v13, v10
	s_delay_alu instid0(VALU_DEP_3) | instskip(SKIP_2) | instid1(VALU_DEP_3)
	v_dual_add_f32 v25, v25, v26 :: v_dual_mul_f32 v4, v8, v4
	v_add_f32_e32 v132, v132, v136
	v_dual_mul_f32 v143, v15, v12 :: v_dual_fmac_f32 v142, v6, v1
	v_add_f32_e32 v25, v25, v134
	v_fma_f32 v2, v5, v1, -v2
	v_fmac_f32_e32 v138, v8, v3
	v_fma_f32 v3, v7, v3, -v4
	s_delay_alu instid0(VALU_DEP_4) | instskip(SKIP_3) | instid1(VALU_DEP_4)
	v_dual_mul_f32 v4, v16, v12 :: v_dual_add_f32 v5, v25, v135
	v_add_f32_e32 v1, v132, v137
	v_fmac_f32_e32 v139, v14, v9
	v_mul_f32_e32 v6, v14, v10
	v_fma_f32 v4, v15, v11, -v4
	s_delay_alu instid0(VALU_DEP_4) | instskip(SKIP_1) | instid1(VALU_DEP_4)
	v_add_f32_e32 v1, v1, v2
	v_add_f32_e32 v2, v5, v142
	v_fma_f32 v5, v13, v9, -v6
	s_delay_alu instid0(VALU_DEP_2) | instskip(NEXT) | instid1(VALU_DEP_1)
	v_dual_add_f32 v1, v1, v3 :: v_dual_add_f32 v2, v2, v138
	v_dual_add_f32 v1, v1, v5 :: v_dual_add_f32 v2, v2, v139
	s_wait_loadcnt_dscnt 0x0
	v_dual_mul_f32 v133, v23, v20 :: v_dual_mul_f32 v26, v21, v18
	v_mul_f32_e32 v3, v22, v18
	v_fmac_f32_e32 v143, v16, v11
	s_delay_alu instid0(VALU_DEP_3) | instskip(NEXT) | instid1(VALU_DEP_2)
	v_dual_fmac_f32 v133, v24, v19 :: v_dual_fmac_f32 v26, v22, v17
	v_dual_mul_f32 v5, v24, v20 :: v_dual_add_f32 v2, v2, v143
	s_delay_alu instid0(VALU_DEP_4) | instskip(SKIP_1) | instid1(VALU_DEP_3)
	v_fma_f32 v3, v21, v17, -v3
	v_add_f32_e32 v1, v1, v4
	v_fma_f32 v4, v23, v19, -v5
	s_delay_alu instid0(VALU_DEP_2) | instskip(NEXT) | instid1(VALU_DEP_1)
	v_dual_add_f32 v2, v2, v26 :: v_dual_add_f32 v1, v1, v3
	v_dual_add_f32 v2, v2, v133 :: v_dual_add_f32 v1, v1, v4
	s_delay_alu instid0(VALU_DEP_1)
	v_dual_sub_f32 v2, v141, v2 :: v_dual_sub_f32 v1, v140, v1
	scratch_store_b64 off, v[1:2], off offset:136
	v_cmpx_lt_u32_e32 16, v0
	s_cbranch_execz .LBB115_293
; %bb.292:
	scratch_load_b64 v[1:2], off, off offset:128
	v_mov_b32_e32 v3, 0
	s_delay_alu instid0(VALU_DEP_1)
	v_mov_b32_e32 v4, v3
	scratch_store_b64 off, v[3:4], off offset:128
	s_wait_loadcnt 0x0
	ds_store_b64 v27, v[1:2]
.LBB115_293:
	s_wait_alu 0xfffe
	s_or_b32 exec_lo, exec_lo, s0
	s_wait_storecnt_dscnt 0x0
	s_barrier_signal -1
	s_barrier_wait -1
	global_inv scope:SCOPE_SE
	s_clause 0x4
	scratch_load_b128 v[5:8], off, off offset:136
	scratch_load_b128 v[1:4], off, off offset:152
	scratch_load_b128 v[9:12], off, off offset:168
	scratch_load_b128 v[13:16], off, off offset:184
	scratch_load_b128 v[17:20], off, off offset:200
	v_mov_b32_e32 v21, 0
	ds_load_2addr_b64 v[22:25], v21 offset0:69 offset1:70
	ds_load_2addr_b64 v[132:135], v21 offset0:71 offset1:72
	;; [unrolled: 1-line block ×3, first 2 shown]
	scratch_load_b64 v[140:141], off, off offset:128
	s_mov_b32 s0, exec_lo
	s_wait_loadcnt_dscnt 0x502
	v_dual_mul_f32 v142, v22, v6 :: v_dual_mul_f32 v143, v24, v8
	v_mul_f32_e32 v26, v23, v6
	v_mul_f32_e32 v6, v25, v8
	s_wait_loadcnt_dscnt 0x300
	v_mul_f32_e32 v144, v138, v12
	v_dual_fmac_f32 v142, v23, v5 :: v_dual_fmac_f32 v143, v25, v7
	v_mul_f32_e32 v25, v134, v4
	v_fma_f32 v22, v22, v5, -v26
	v_mul_f32_e32 v26, v136, v10
	v_mul_f32_e32 v4, v135, v4
	s_delay_alu instid0(VALU_DEP_4)
	v_dual_mul_f32 v10, v137, v10 :: v_dual_fmac_f32 v25, v135, v3
	v_fma_f32 v23, v24, v7, -v6
	ds_load_2addr_b64 v[5:8], v21 offset0:75 offset1:76
	v_mul_f32_e32 v24, v132, v2
	v_mul_f32_e32 v12, v139, v12
	;; [unrolled: 1-line block ×3, first 2 shown]
	v_fmac_f32_e32 v26, v137, v9
	v_fmac_f32_e32 v144, v139, v11
	;; [unrolled: 1-line block ×3, first 2 shown]
	v_fma_f32 v133, v134, v3, -v4
	v_fma_f32 v134, v136, v9, -v10
	;; [unrolled: 1-line block ×3, first 2 shown]
	ds_load_2addr_b64 v[9:12], v21 offset0:77 offset1:78
	s_wait_loadcnt_dscnt 0x201
	v_dual_mul_f32 v137, v7, v16 :: v_dual_mul_f32 v136, v5, v14
	v_mul_f32_e32 v14, v6, v14
	v_mul_f32_e32 v16, v8, v16
	s_delay_alu instid0(VALU_DEP_3)
	v_fmac_f32_e32 v137, v8, v15
	v_fma_f32 v132, v132, v1, -v2
	scratch_load_b128 v[1:4], off, off offset:216
	v_fmac_f32_e32 v136, v6, v13
	v_fma_f32 v13, v5, v13, -v14
	v_fma_f32 v14, v7, v15, -v16
	s_wait_loadcnt_dscnt 0x200
	v_mul_f32_e32 v15, v9, v18
	v_mul_f32_e32 v16, v10, v18
	;; [unrolled: 1-line block ×4, first 2 shown]
	ds_load_2addr_b64 v[5:8], v21 offset0:79 offset1:80
	v_fmac_f32_e32 v15, v10, v17
	v_fma_f32 v16, v9, v17, -v16
	v_fmac_f32_e32 v18, v12, v19
	v_fma_f32 v17, v11, v19, -v20
	scratch_load_b128 v[9:12], off, off offset:232
	s_wait_loadcnt_dscnt 0x100
	v_mul_f32_e32 v19, v5, v2
	v_mul_f32_e32 v2, v6, v2
	;; [unrolled: 1-line block ×3, first 2 shown]
	s_delay_alu instid0(VALU_DEP_3) | instskip(NEXT) | instid1(VALU_DEP_3)
	v_dual_mul_f32 v4, v8, v4 :: v_dual_fmac_f32 v19, v6, v1
	v_fma_f32 v138, v5, v1, -v2
	s_delay_alu instid0(VALU_DEP_3) | instskip(NEXT) | instid1(VALU_DEP_3)
	v_fmac_f32_e32 v20, v8, v3
	v_fma_f32 v139, v7, v3, -v4
	ds_load_2addr_b64 v[1:4], v21 offset0:81 offset1:82
	ds_load_2addr_b64 v[5:8], v21 offset0:83 offset1:84
	s_wait_loadcnt_dscnt 0x1
	v_mul_f32_e32 v145, v1, v10
	v_mul_f32_e32 v10, v2, v10
	s_delay_alu instid0(VALU_DEP_2) | instskip(NEXT) | instid1(VALU_DEP_2)
	v_dual_mul_f32 v146, v3, v12 :: v_dual_fmac_f32 v145, v2, v9
	v_fma_f32 v147, v1, v9, -v10
	v_mul_f32_e32 v1, v4, v12
	s_delay_alu instid0(VALU_DEP_3) | instskip(NEXT) | instid1(VALU_DEP_2)
	v_fmac_f32_e32 v146, v4, v11
	v_fma_f32 v148, v3, v11, -v1
	s_clause 0x1
	scratch_load_b128 v[1:4], off, off offset:248
	scratch_load_b128 v[9:12], off, off offset:264
	s_wait_loadcnt_dscnt 0x100
	v_mul_f32_e32 v149, v5, v2
	v_dual_mul_f32 v2, v6, v2 :: v_dual_mul_f32 v151, v7, v4
	s_delay_alu instid0(VALU_DEP_2) | instskip(NEXT) | instid1(VALU_DEP_2)
	v_fmac_f32_e32 v149, v6, v1
	v_fma_f32 v150, v5, v1, -v2
	v_mul_f32_e32 v1, v8, v4
	s_delay_alu instid0(VALU_DEP_4) | instskip(NEXT) | instid1(VALU_DEP_2)
	v_fmac_f32_e32 v151, v8, v3
	v_fma_f32 v152, v7, v3, -v1
	ds_load_2addr_b64 v[1:4], v21 offset0:85 offset1:86
	ds_load_2addr_b64 v[5:8], v21 offset0:87 offset1:88
	s_wait_loadcnt_dscnt 0x1
	v_mul_f32_e32 v153, v1, v10
	v_mul_f32_e32 v155, v3, v12
	s_delay_alu instid0(VALU_DEP_2) | instskip(NEXT) | instid1(VALU_DEP_2)
	v_fmac_f32_e32 v153, v2, v9
	v_dual_mul_f32 v2, v2, v10 :: v_dual_fmac_f32 v155, v4, v11
	s_delay_alu instid0(VALU_DEP_1) | instskip(SKIP_1) | instid1(VALU_DEP_1)
	v_fma_f32 v154, v1, v9, -v2
	v_mul_f32_e32 v1, v4, v12
	v_fma_f32 v156, v3, v11, -v1
	s_clause 0x1
	scratch_load_b128 v[1:4], off, off offset:280
	scratch_load_b128 v[9:12], off, off offset:296
	s_wait_loadcnt_dscnt 0x100
	v_mul_f32_e32 v157, v5, v2
	v_dual_mul_f32 v2, v6, v2 :: v_dual_mul_f32 v159, v7, v4
	s_delay_alu instid0(VALU_DEP_2) | instskip(NEXT) | instid1(VALU_DEP_2)
	v_fmac_f32_e32 v157, v6, v1
	v_fma_f32 v158, v5, v1, -v2
	v_mul_f32_e32 v1, v8, v4
	s_delay_alu instid0(VALU_DEP_4) | instskip(NEXT) | instid1(VALU_DEP_2)
	v_fmac_f32_e32 v159, v8, v3
	v_fma_f32 v160, v7, v3, -v1
	ds_load_2addr_b64 v[1:4], v21 offset0:89 offset1:90
	ds_load_2addr_b64 v[5:8], v21 offset0:91 offset1:92
	s_wait_loadcnt_dscnt 0x1
	v_mul_f32_e32 v161, v1, v10
	v_mul_f32_e32 v163, v3, v12
	s_delay_alu instid0(VALU_DEP_2) | instskip(NEXT) | instid1(VALU_DEP_2)
	v_fmac_f32_e32 v161, v2, v9
	v_dual_mul_f32 v2, v2, v10 :: v_dual_fmac_f32 v163, v4, v11
	s_delay_alu instid0(VALU_DEP_1) | instskip(SKIP_1) | instid1(VALU_DEP_1)
	v_fma_f32 v162, v1, v9, -v2
	v_mul_f32_e32 v1, v4, v12
	v_fma_f32 v164, v3, v11, -v1
	s_clause 0x1
	scratch_load_b128 v[1:4], off, off offset:312
	scratch_load_b128 v[9:12], off, off offset:328
	s_wait_loadcnt_dscnt 0x100
	v_mul_f32_e32 v165, v5, v2
	v_dual_mul_f32 v2, v6, v2 :: v_dual_mul_f32 v167, v7, v4
	s_delay_alu instid0(VALU_DEP_1) | instskip(SKIP_1) | instid1(VALU_DEP_1)
	v_fma_f32 v166, v5, v1, -v2
	v_add_f32_e32 v2, 0, v142
	v_add_f32_e32 v2, v2, v143
	s_delay_alu instid0(VALU_DEP_4) | instskip(SKIP_1) | instid1(VALU_DEP_3)
	v_fmac_f32_e32 v167, v8, v3
	v_fmac_f32_e32 v165, v6, v1
	v_add_f32_e32 v2, v2, v24
	s_delay_alu instid0(VALU_DEP_1) | instskip(NEXT) | instid1(VALU_DEP_1)
	v_dual_mul_f32 v1, v8, v4 :: v_dual_add_f32 v2, v2, v25
	v_fma_f32 v168, v7, v3, -v1
	s_delay_alu instid0(VALU_DEP_2) | instskip(NEXT) | instid1(VALU_DEP_1)
	v_add_f32_e32 v2, v2, v26
	v_dual_add_f32 v1, 0, v22 :: v_dual_add_f32 v2, v2, v144
	s_delay_alu instid0(VALU_DEP_1) | instskip(NEXT) | instid1(VALU_DEP_1)
	v_dual_add_f32 v1, v1, v23 :: v_dual_add_f32 v2, v2, v136
	v_dual_add_f32 v1, v1, v132 :: v_dual_add_f32 v2, v2, v137
	s_delay_alu instid0(VALU_DEP_1) | instskip(SKIP_2) | instid1(VALU_DEP_1)
	v_add_f32_e32 v1, v1, v133
	scratch_load_b64 v[132:133], off, off offset:408
	v_dual_add_f32 v2, v2, v15 :: v_dual_add_f32 v1, v1, v134
	v_add_f32_e32 v5, v2, v18
	s_delay_alu instid0(VALU_DEP_2) | instskip(NEXT) | instid1(VALU_DEP_1)
	v_add_f32_e32 v1, v1, v135
	v_add_f32_e32 v1, v1, v13
	s_delay_alu instid0(VALU_DEP_3) | instskip(NEXT) | instid1(VALU_DEP_1)
	v_add_f32_e32 v13, v5, v19
	v_add_f32_e32 v13, v13, v20
	s_delay_alu instid0(VALU_DEP_1) | instskip(NEXT) | instid1(VALU_DEP_1)
	v_add_f32_e32 v13, v13, v145
	v_add_f32_e32 v18, v13, v146
	s_delay_alu instid0(VALU_DEP_1) | instskip(NEXT) | instid1(VALU_DEP_1)
	v_dual_add_f32 v1, v1, v14 :: v_dual_add_f32 v18, v18, v149
	v_dual_add_f32 v1, v1, v16 :: v_dual_add_f32 v18, v18, v151
	s_delay_alu instid0(VALU_DEP_1) | instskip(NEXT) | instid1(VALU_DEP_2)
	v_add_f32_e32 v1, v1, v17
	v_add_f32_e32 v22, v18, v153
	s_delay_alu instid0(VALU_DEP_2)
	v_add_f32_e32 v6, v1, v138
	scratch_load_b128 v[1:4], off, off offset:344
	v_add_f32_e32 v22, v22, v155
	v_add_f32_e32 v14, v6, v139
	ds_load_2addr_b64 v[5:8], v21 offset0:93 offset1:94
	v_add_f32_e32 v22, v22, v157
	v_add_f32_e32 v14, v14, v147
	s_delay_alu instid0(VALU_DEP_2) | instskip(NEXT) | instid1(VALU_DEP_2)
	v_add_f32_e32 v22, v22, v159
	v_add_f32_e32 v17, v14, v148
	ds_load_2addr_b64 v[13:16], v21 offset0:95 offset1:96
	s_wait_loadcnt_dscnt 0x201
	v_mul_f32_e32 v26, v5, v10
	v_mul_f32_e32 v10, v6, v10
	v_mul_f32_e32 v136, v7, v12
	v_dual_mul_f32 v12, v8, v12 :: v_dual_add_f32 v17, v17, v150
	s_delay_alu instid0(VALU_DEP_4) | instskip(NEXT) | instid1(VALU_DEP_4)
	v_fmac_f32_e32 v26, v6, v9
	v_fma_f32 v137, v5, v9, -v10
	s_delay_alu instid0(VALU_DEP_4) | instskip(NEXT) | instid1(VALU_DEP_4)
	v_fmac_f32_e32 v136, v8, v11
	v_fma_f32 v138, v7, v11, -v12
	scratch_load_b128 v[5:8], off, off offset:360
	v_add_f32_e32 v17, v17, v152
	scratch_load_b128 v[9:12], off, off offset:376
	v_add_f32_e32 v17, v17, v154
	s_delay_alu instid0(VALU_DEP_1)
	v_add_f32_e32 v23, v17, v156
	scratch_load_b128 v[17:20], off, off offset:392
	s_wait_loadcnt_dscnt 0x300
	v_dual_mul_f32 v139, v13, v2 :: v_dual_mul_f32 v142, v15, v4
	v_mul_f32_e32 v2, v14, v2
	v_dual_add_f32 v23, v23, v158 :: v_dual_mul_f32 v4, v16, v4
	s_delay_alu instid0(VALU_DEP_3) | instskip(NEXT) | instid1(VALU_DEP_3)
	v_dual_fmac_f32 v139, v14, v1 :: v_dual_fmac_f32 v142, v16, v3
	v_fma_f32 v143, v13, v1, -v2
	s_delay_alu instid0(VALU_DEP_3) | instskip(NEXT) | instid1(VALU_DEP_4)
	v_add_f32_e32 v23, v23, v160
	v_fma_f32 v144, v15, v3, -v4
	ds_load_2addr_b64 v[1:4], v21 offset0:97 offset1:98
	v_add_f32_e32 v23, v23, v162
	s_delay_alu instid0(VALU_DEP_1) | instskip(NEXT) | instid1(VALU_DEP_1)
	v_dual_add_f32 v13, v22, v161 :: v_dual_add_f32 v14, v23, v164
	v_add_f32_e32 v134, v14, v166
	s_delay_alu instid0(VALU_DEP_2)
	v_add_f32_e32 v22, v13, v163
	ds_load_2addr_b64 v[13:16], v21 offset0:99 offset1:100
	v_add_f32_e32 v145, v134, v168
	v_add_f32_e32 v135, v22, v165
	ds_load_2addr_b64 v[22:25], v21 offset0:101 offset1:102
	v_dual_add_f32 v137, v145, v137 :: v_dual_add_f32 v146, v135, v167
	s_wait_loadcnt_dscnt 0x202
	v_mul_f32_e32 v145, v1, v6
	ds_load_b64 v[134:135], v21 offset:824
	v_mul_f32_e32 v6, v2, v6
	v_add_f32_e32 v137, v137, v138
	v_add_f32_e32 v26, v146, v26
	v_fmac_f32_e32 v145, v2, v5
	s_delay_alu instid0(VALU_DEP_2)
	v_dual_add_f32 v137, v137, v143 :: v_dual_add_f32 v26, v26, v136
	v_mul_f32_e32 v136, v3, v8
	v_mul_f32_e32 v8, v4, v8
	s_wait_loadcnt_dscnt 0x102
	v_mul_f32_e32 v138, v13, v10
	v_dual_add_f32 v137, v137, v144 :: v_dual_add_f32 v26, v26, v139
	v_mul_f32_e32 v139, v15, v12
	v_fma_f32 v1, v1, v5, -v6
	s_wait_loadcnt_dscnt 0x1
	v_dual_mul_f32 v143, v22, v18 :: v_dual_mul_f32 v144, v24, v20
	v_add_f32_e32 v26, v26, v142
	v_fma_f32 v2, v3, v7, -v8
	v_mul_f32_e32 v3, v14, v10
	v_add_f32_e32 v1, v137, v1
	s_wait_dscnt 0x0
	v_dual_mul_f32 v142, v134, v133 :: v_dual_mul_f32 v5, v16, v12
	v_fmac_f32_e32 v136, v4, v7
	v_dual_add_f32 v4, v26, v145 :: v_dual_fmac_f32 v139, v16, v11
	v_fma_f32 v3, v13, v9, -v3
	v_dual_add_f32 v1, v1, v2 :: v_dual_fmac_f32 v138, v14, v9
	s_delay_alu instid0(VALU_DEP_3) | instskip(SKIP_2) | instid1(VALU_DEP_3)
	v_dual_add_f32 v2, v4, v136 :: v_dual_fmac_f32 v143, v23, v17
	v_mul_f32_e32 v4, v23, v18
	v_fma_f32 v5, v15, v11, -v5
	v_dual_add_f32 v1, v1, v3 :: v_dual_add_f32 v2, v2, v138
	v_mul_f32_e32 v3, v25, v20
	s_delay_alu instid0(VALU_DEP_4) | instskip(NEXT) | instid1(VALU_DEP_3)
	v_fma_f32 v4, v22, v17, -v4
	v_dual_add_f32 v1, v1, v5 :: v_dual_add_f32 v2, v2, v139
	v_mul_f32_e32 v5, v135, v133
	s_delay_alu instid0(VALU_DEP_4) | instskip(NEXT) | instid1(VALU_DEP_3)
	v_fma_f32 v3, v24, v19, -v3
	v_dual_add_f32 v1, v1, v4 :: v_dual_add_f32 v2, v2, v143
	v_fmac_f32_e32 v142, v135, v132
	s_delay_alu instid0(VALU_DEP_4) | instskip(NEXT) | instid1(VALU_DEP_3)
	v_fma_f32 v4, v134, v132, -v5
	v_add_f32_e32 v1, v1, v3
	s_delay_alu instid0(VALU_DEP_1) | instskip(NEXT) | instid1(VALU_DEP_1)
	v_add_f32_e32 v1, v1, v4
	v_dual_fmac_f32 v144, v25, v19 :: v_dual_sub_f32 v1, v140, v1
	s_delay_alu instid0(VALU_DEP_1) | instskip(NEXT) | instid1(VALU_DEP_1)
	v_add_f32_e32 v2, v2, v144
	v_add_f32_e32 v2, v2, v142
	s_delay_alu instid0(VALU_DEP_1)
	v_sub_f32_e32 v2, v141, v2
	scratch_store_b64 off, v[1:2], off offset:128
	v_cmpx_lt_u32_e32 15, v0
	s_cbranch_execz .LBB115_295
; %bb.294:
	scratch_load_b64 v[1:2], off, off offset:120
	v_mov_b32_e32 v22, v21
	scratch_store_b64 off, v[21:22], off offset:120
	s_wait_loadcnt 0x0
	ds_store_b64 v27, v[1:2]
.LBB115_295:
	s_wait_alu 0xfffe
	s_or_b32 exec_lo, exec_lo, s0
	s_wait_storecnt_dscnt 0x0
	s_barrier_signal -1
	s_barrier_wait -1
	global_inv scope:SCOPE_SE
	s_clause 0x4
	scratch_load_b128 v[5:8], off, off offset:128
	scratch_load_b128 v[1:4], off, off offset:144
	;; [unrolled: 1-line block ×5, first 2 shown]
	ds_load_b128 v[22:25], v21 offset:544
	ds_load_b128 v[132:135], v21 offset:560
	;; [unrolled: 1-line block ×3, first 2 shown]
	scratch_load_b64 v[140:141], off, off offset:120
	s_mov_b32 s0, exec_lo
	s_wait_loadcnt_dscnt 0x502
	v_dual_mul_f32 v26, v23, v6 :: v_dual_mul_f32 v143, v24, v8
	v_mul_f32_e32 v142, v22, v6
	v_mul_f32_e32 v6, v25, v8
	s_wait_loadcnt_dscnt 0x300
	v_mul_f32_e32 v144, v138, v12
	v_fma_f32 v22, v22, v5, -v26
	v_dual_fmac_f32 v143, v25, v7 :: v_dual_fmac_f32 v142, v23, v5
	v_mul_f32_e32 v25, v134, v4
	v_mul_f32_e32 v4, v135, v4
	;; [unrolled: 1-line block ×5, first 2 shown]
	v_fmac_f32_e32 v25, v135, v3
	v_fma_f32 v23, v24, v7, -v6
	ds_load_b128 v[5:8], v21 offset:592
	v_mul_f32_e32 v24, v132, v2
	v_mul_f32_e32 v2, v133, v2
	v_fmac_f32_e32 v26, v137, v9
	v_fmac_f32_e32 v144, v139, v11
	v_fma_f32 v135, v138, v11, -v12
	v_fmac_f32_e32 v24, v133, v1
	v_fma_f32 v133, v134, v3, -v4
	v_fma_f32 v134, v136, v9, -v10
	ds_load_b128 v[9:12], v21 offset:608
	s_wait_loadcnt_dscnt 0x201
	v_dual_mul_f32 v137, v7, v16 :: v_dual_mul_f32 v136, v5, v14
	v_mul_f32_e32 v14, v6, v14
	v_mul_f32_e32 v16, v8, v16
	s_delay_alu instid0(VALU_DEP_3)
	v_fmac_f32_e32 v137, v8, v15
	v_fma_f32 v132, v132, v1, -v2
	scratch_load_b128 v[1:4], off, off offset:208
	v_fmac_f32_e32 v136, v6, v13
	v_fma_f32 v13, v5, v13, -v14
	v_fma_f32 v14, v7, v15, -v16
	s_wait_loadcnt_dscnt 0x200
	v_mul_f32_e32 v15, v9, v18
	v_mul_f32_e32 v16, v10, v18
	;; [unrolled: 1-line block ×4, first 2 shown]
	ds_load_b128 v[5:8], v21 offset:624
	v_fmac_f32_e32 v15, v10, v17
	v_fma_f32 v16, v9, v17, -v16
	v_fmac_f32_e32 v18, v12, v19
	v_fma_f32 v17, v11, v19, -v20
	scratch_load_b128 v[9:12], off, off offset:224
	s_wait_loadcnt_dscnt 0x100
	v_mul_f32_e32 v19, v5, v2
	v_mul_f32_e32 v2, v6, v2
	;; [unrolled: 1-line block ×3, first 2 shown]
	s_delay_alu instid0(VALU_DEP_3) | instskip(NEXT) | instid1(VALU_DEP_3)
	v_dual_mul_f32 v4, v8, v4 :: v_dual_fmac_f32 v19, v6, v1
	v_fma_f32 v138, v5, v1, -v2
	s_delay_alu instid0(VALU_DEP_3) | instskip(NEXT) | instid1(VALU_DEP_3)
	v_fmac_f32_e32 v20, v8, v3
	v_fma_f32 v139, v7, v3, -v4
	ds_load_b128 v[1:4], v21 offset:640
	ds_load_b128 v[5:8], v21 offset:656
	s_wait_loadcnt_dscnt 0x1
	v_mul_f32_e32 v145, v1, v10
	v_mul_f32_e32 v10, v2, v10
	s_delay_alu instid0(VALU_DEP_2) | instskip(NEXT) | instid1(VALU_DEP_2)
	v_dual_mul_f32 v146, v3, v12 :: v_dual_fmac_f32 v145, v2, v9
	v_fma_f32 v147, v1, v9, -v10
	v_mul_f32_e32 v1, v4, v12
	s_delay_alu instid0(VALU_DEP_3) | instskip(NEXT) | instid1(VALU_DEP_2)
	v_fmac_f32_e32 v146, v4, v11
	v_fma_f32 v148, v3, v11, -v1
	s_clause 0x1
	scratch_load_b128 v[1:4], off, off offset:240
	scratch_load_b128 v[9:12], off, off offset:256
	s_wait_loadcnt_dscnt 0x100
	v_mul_f32_e32 v149, v5, v2
	v_dual_mul_f32 v2, v6, v2 :: v_dual_mul_f32 v151, v7, v4
	s_delay_alu instid0(VALU_DEP_2) | instskip(NEXT) | instid1(VALU_DEP_2)
	v_fmac_f32_e32 v149, v6, v1
	v_fma_f32 v150, v5, v1, -v2
	v_mul_f32_e32 v1, v8, v4
	s_delay_alu instid0(VALU_DEP_4) | instskip(NEXT) | instid1(VALU_DEP_2)
	v_fmac_f32_e32 v151, v8, v3
	v_fma_f32 v152, v7, v3, -v1
	ds_load_b128 v[1:4], v21 offset:672
	ds_load_b128 v[5:8], v21 offset:688
	s_wait_loadcnt_dscnt 0x1
	v_mul_f32_e32 v153, v1, v10
	v_mul_f32_e32 v155, v3, v12
	s_delay_alu instid0(VALU_DEP_2) | instskip(NEXT) | instid1(VALU_DEP_2)
	v_fmac_f32_e32 v153, v2, v9
	v_dual_mul_f32 v2, v2, v10 :: v_dual_fmac_f32 v155, v4, v11
	s_delay_alu instid0(VALU_DEP_1) | instskip(SKIP_1) | instid1(VALU_DEP_1)
	v_fma_f32 v154, v1, v9, -v2
	v_mul_f32_e32 v1, v4, v12
	v_fma_f32 v156, v3, v11, -v1
	s_clause 0x1
	scratch_load_b128 v[1:4], off, off offset:272
	scratch_load_b128 v[9:12], off, off offset:288
	s_wait_loadcnt_dscnt 0x100
	v_mul_f32_e32 v157, v5, v2
	v_dual_mul_f32 v2, v6, v2 :: v_dual_mul_f32 v159, v7, v4
	s_delay_alu instid0(VALU_DEP_2) | instskip(NEXT) | instid1(VALU_DEP_2)
	v_fmac_f32_e32 v157, v6, v1
	v_fma_f32 v158, v5, v1, -v2
	v_mul_f32_e32 v1, v8, v4
	s_delay_alu instid0(VALU_DEP_4) | instskip(NEXT) | instid1(VALU_DEP_2)
	v_fmac_f32_e32 v159, v8, v3
	v_fma_f32 v160, v7, v3, -v1
	ds_load_b128 v[1:4], v21 offset:704
	ds_load_b128 v[5:8], v21 offset:720
	s_wait_loadcnt_dscnt 0x1
	v_mul_f32_e32 v161, v1, v10
	v_mul_f32_e32 v163, v3, v12
	s_delay_alu instid0(VALU_DEP_2) | instskip(NEXT) | instid1(VALU_DEP_2)
	v_fmac_f32_e32 v161, v2, v9
	v_dual_mul_f32 v2, v2, v10 :: v_dual_fmac_f32 v163, v4, v11
	s_delay_alu instid0(VALU_DEP_1) | instskip(SKIP_1) | instid1(VALU_DEP_1)
	v_fma_f32 v162, v1, v9, -v2
	v_mul_f32_e32 v1, v4, v12
	;; [unrolled: 25-line block ×3, first 2 shown]
	v_fma_f32 v172, v3, v11, -v1
	s_clause 0x1
	scratch_load_b128 v[1:4], off, off offset:336
	scratch_load_b128 v[9:12], off, off offset:352
	s_wait_loadcnt_dscnt 0x100
	v_mul_f32_e32 v173, v5, v2
	v_mul_f32_e32 v2, v6, v2
	s_delay_alu instid0(VALU_DEP_1) | instskip(SKIP_1) | instid1(VALU_DEP_1)
	v_fma_f32 v174, v5, v1, -v2
	v_add_f32_e32 v2, 0, v142
	v_add_f32_e32 v2, v2, v143
	s_delay_alu instid0(VALU_DEP_1) | instskip(NEXT) | instid1(VALU_DEP_1)
	v_add_f32_e32 v2, v2, v24
	v_add_f32_e32 v2, v2, v25
	s_delay_alu instid0(VALU_DEP_1) | instskip(NEXT) | instid1(VALU_DEP_1)
	;; [unrolled: 3-line block ×3, first 2 shown]
	v_add_f32_e32 v2, v2, v136
	v_dual_add_f32 v2, v2, v137 :: v_dual_mul_f32 v175, v7, v4
	s_delay_alu instid0(VALU_DEP_1) | instskip(NEXT) | instid1(VALU_DEP_1)
	v_add_f32_e32 v2, v2, v15
	v_dual_fmac_f32 v175, v8, v3 :: v_dual_add_f32 v2, v2, v18
	s_delay_alu instid0(VALU_DEP_1) | instskip(NEXT) | instid1(VALU_DEP_1)
	v_add_f32_e32 v2, v2, v19
	v_add_f32_e32 v2, v2, v20
	s_delay_alu instid0(VALU_DEP_1) | instskip(NEXT) | instid1(VALU_DEP_1)
	v_add_f32_e32 v5, v2, v145
	v_add_f32_e32 v5, v5, v146
	s_delay_alu instid0(VALU_DEP_1) | instskip(SKIP_2) | instid1(VALU_DEP_1)
	v_add_f32_e32 v5, v5, v149
	v_fmac_f32_e32 v173, v6, v1
	v_mul_f32_e32 v1, v8, v4
	v_fma_f32 v176, v7, v3, -v1
	v_add_f32_e32 v1, 0, v22
	s_delay_alu instid0(VALU_DEP_1) | instskip(NEXT) | instid1(VALU_DEP_1)
	v_add_f32_e32 v1, v1, v23
	v_add_f32_e32 v1, v1, v132
	s_delay_alu instid0(VALU_DEP_1) | instskip(NEXT) | instid1(VALU_DEP_1)
	v_add_f32_e32 v1, v1, v133
	;; [unrolled: 3-line block ×6, first 2 shown]
	v_add_f32_e32 v1, v1, v147
	s_delay_alu instid0(VALU_DEP_1) | instskip(SKIP_2) | instid1(VALU_DEP_1)
	v_add_f32_e32 v6, v1, v148
	ds_load_b128 v[1:4], v21 offset:768
	v_add_f32_e32 v6, v6, v150
	v_add_f32_e32 v13, v6, v152
	s_delay_alu instid0(VALU_DEP_1) | instskip(NEXT) | instid1(VALU_DEP_1)
	v_add_f32_e32 v13, v13, v154
	v_add_f32_e32 v13, v13, v156
	s_delay_alu instid0(VALU_DEP_1) | instskip(NEXT) | instid1(VALU_DEP_1)
	;; [unrolled: 3-line block ×5, first 2 shown]
	v_add_f32_e32 v134, v134, v170
	v_add_f32_e32 v134, v134, v172
	v_add_f32_e32 v14, v5, v151
	ds_load_b128 v[5:8], v21 offset:784
	s_wait_loadcnt_dscnt 0x1
	v_dual_mul_f32 v25, v1, v10 :: v_dual_mul_f32 v26, v3, v12
	v_mul_f32_e32 v10, v2, v10
	v_add_f32_e32 v14, v14, v153
	v_mul_f32_e32 v12, v4, v12
	v_add_f32_e32 v134, v134, v174
	v_fmac_f32_e32 v26, v4, v11
	v_fma_f32 v132, v1, v9, -v10
	v_add_f32_e32 v14, v14, v155
	v_fma_f32 v133, v3, v11, -v12
	v_add_f32_e32 v134, v134, v176
	s_delay_alu instid0(VALU_DEP_3) | instskip(SKIP_2) | instid1(VALU_DEP_1)
	v_add_f32_e32 v17, v14, v157
	scratch_load_b128 v[13:16], off, off offset:400
	v_dual_add_f32 v132, v134, v132 :: v_dual_add_f32 v17, v17, v159
	v_add_f32_e32 v17, v17, v161
	s_delay_alu instid0(VALU_DEP_1) | instskip(NEXT) | instid1(VALU_DEP_1)
	v_add_f32_e32 v17, v17, v163
	v_add_f32_e32 v23, v17, v165
	ds_load_b128 v[17:20], v21 offset:800
	v_fmac_f32_e32 v25, v2, v9
	s_clause 0x1
	scratch_load_b128 v[1:4], off, off offset:368
	scratch_load_b128 v[9:12], off, off offset:384
	s_wait_loadcnt_dscnt 0x101
	v_mul_f32_e32 v136, v5, v2
	v_mul_f32_e32 v2, v6, v2
	s_wait_loadcnt_dscnt 0x0
	v_mul_f32_e32 v138, v17, v10
	s_delay_alu instid0(VALU_DEP_3)
	v_fmac_f32_e32 v136, v6, v1
	v_dual_mul_f32 v6, v18, v10 :: v_dual_add_f32 v135, v23, v167
	ds_load_b128 v[21:24], v21 offset:816
	v_fmac_f32_e32 v138, v18, v9
	v_fma_f32 v2, v5, v1, -v2
	s_wait_dscnt 0x0
	v_dual_add_f32 v135, v135, v169 :: v_dual_mul_f32 v142, v21, v14
	v_mul_f32_e32 v137, v7, v4
	v_mul_f32_e32 v4, v8, v4
	;; [unrolled: 1-line block ×3, first 2 shown]
	s_delay_alu instid0(VALU_DEP_3) | instskip(NEXT) | instid1(VALU_DEP_3)
	v_dual_fmac_f32 v142, v22, v13 :: v_dual_fmac_f32 v137, v8, v3
	v_fma_f32 v3, v7, v3, -v4
	v_dual_mul_f32 v4, v20, v12 :: v_dual_add_f32 v135, v135, v171
	s_delay_alu instid0(VALU_DEP_4) | instskip(SKIP_1) | instid1(VALU_DEP_3)
	v_fmac_f32_e32 v134, v24, v15
	v_add_f32_e32 v1, v132, v133
	v_fma_f32 v4, v19, v11, -v4
	s_delay_alu instid0(VALU_DEP_4) | instskip(NEXT) | instid1(VALU_DEP_3)
	v_add_f32_e32 v135, v135, v173
	v_add_f32_e32 v1, v1, v2
	s_delay_alu instid0(VALU_DEP_2) | instskip(NEXT) | instid1(VALU_DEP_2)
	v_add_f32_e32 v135, v135, v175
	v_add_f32_e32 v1, v1, v3
	v_mul_f32_e32 v3, v22, v14
	s_delay_alu instid0(VALU_DEP_3) | instskip(NEXT) | instid1(VALU_DEP_2)
	v_add_f32_e32 v25, v135, v25
	v_fma_f32 v3, v21, v13, -v3
	s_delay_alu instid0(VALU_DEP_2) | instskip(NEXT) | instid1(VALU_DEP_1)
	v_add_f32_e32 v5, v25, v26
	v_add_f32_e32 v2, v5, v136
	v_mul_f32_e32 v139, v19, v12
	v_fma_f32 v5, v17, v9, -v6
	s_delay_alu instid0(VALU_DEP_2) | instskip(NEXT) | instid1(VALU_DEP_2)
	v_dual_add_f32 v2, v2, v137 :: v_dual_fmac_f32 v139, v20, v11
	v_add_f32_e32 v1, v1, v5
	s_delay_alu instid0(VALU_DEP_2) | instskip(NEXT) | instid1(VALU_DEP_2)
	v_dual_mul_f32 v5, v24, v16 :: v_dual_add_f32 v2, v2, v138
	v_add_f32_e32 v1, v1, v4
	s_delay_alu instid0(VALU_DEP_2) | instskip(NEXT) | instid1(VALU_DEP_3)
	v_fma_f32 v4, v23, v15, -v5
	v_add_f32_e32 v2, v2, v139
	s_delay_alu instid0(VALU_DEP_1) | instskip(NEXT) | instid1(VALU_DEP_1)
	v_dual_add_f32 v1, v1, v3 :: v_dual_add_f32 v2, v2, v142
	v_dual_add_f32 v1, v1, v4 :: v_dual_add_f32 v2, v2, v134
	s_delay_alu instid0(VALU_DEP_1)
	v_dual_sub_f32 v1, v140, v1 :: v_dual_sub_f32 v2, v141, v2
	scratch_store_b64 off, v[1:2], off offset:120
	v_cmpx_lt_u32_e32 14, v0
	s_cbranch_execz .LBB115_297
; %bb.296:
	scratch_load_b64 v[1:2], off, off offset:112
	v_mov_b32_e32 v3, 0
	s_delay_alu instid0(VALU_DEP_1)
	v_mov_b32_e32 v4, v3
	scratch_store_b64 off, v[3:4], off offset:112
	s_wait_loadcnt 0x0
	ds_store_b64 v27, v[1:2]
.LBB115_297:
	s_wait_alu 0xfffe
	s_or_b32 exec_lo, exec_lo, s0
	s_wait_storecnt_dscnt 0x0
	s_barrier_signal -1
	s_barrier_wait -1
	global_inv scope:SCOPE_SE
	s_clause 0x4
	scratch_load_b128 v[5:8], off, off offset:120
	scratch_load_b128 v[1:4], off, off offset:136
	;; [unrolled: 1-line block ×5, first 2 shown]
	v_mov_b32_e32 v21, 0
	ds_load_2addr_b64 v[22:25], v21 offset0:67 offset1:68
	ds_load_2addr_b64 v[132:135], v21 offset0:69 offset1:70
	ds_load_2addr_b64 v[136:139], v21 offset0:71 offset1:72
	scratch_load_b64 v[140:141], off, off offset:112
	s_mov_b32 s0, exec_lo
	s_wait_loadcnt_dscnt 0x502
	v_dual_mul_f32 v142, v22, v6 :: v_dual_mul_f32 v143, v24, v8
	v_mul_f32_e32 v26, v23, v6
	v_mul_f32_e32 v6, v25, v8
	s_wait_loadcnt_dscnt 0x300
	v_mul_f32_e32 v144, v138, v12
	v_dual_fmac_f32 v142, v23, v5 :: v_dual_fmac_f32 v143, v25, v7
	v_mul_f32_e32 v25, v134, v4
	v_fma_f32 v22, v22, v5, -v26
	v_mul_f32_e32 v26, v136, v10
	v_mul_f32_e32 v4, v135, v4
	s_delay_alu instid0(VALU_DEP_4)
	v_dual_mul_f32 v10, v137, v10 :: v_dual_fmac_f32 v25, v135, v3
	v_fma_f32 v23, v24, v7, -v6
	ds_load_2addr_b64 v[5:8], v21 offset0:73 offset1:74
	v_mul_f32_e32 v24, v132, v2
	v_mul_f32_e32 v12, v139, v12
	;; [unrolled: 1-line block ×3, first 2 shown]
	v_fmac_f32_e32 v26, v137, v9
	v_fmac_f32_e32 v144, v139, v11
	;; [unrolled: 1-line block ×3, first 2 shown]
	v_fma_f32 v133, v134, v3, -v4
	v_fma_f32 v134, v136, v9, -v10
	;; [unrolled: 1-line block ×3, first 2 shown]
	ds_load_2addr_b64 v[9:12], v21 offset0:75 offset1:76
	s_wait_loadcnt_dscnt 0x201
	v_dual_mul_f32 v137, v7, v16 :: v_dual_mul_f32 v136, v5, v14
	v_mul_f32_e32 v14, v6, v14
	v_mul_f32_e32 v16, v8, v16
	s_delay_alu instid0(VALU_DEP_3)
	v_fmac_f32_e32 v137, v8, v15
	v_fma_f32 v132, v132, v1, -v2
	scratch_load_b128 v[1:4], off, off offset:200
	v_fmac_f32_e32 v136, v6, v13
	v_fma_f32 v13, v5, v13, -v14
	v_fma_f32 v14, v7, v15, -v16
	s_wait_loadcnt_dscnt 0x200
	v_mul_f32_e32 v15, v9, v18
	v_mul_f32_e32 v16, v10, v18
	;; [unrolled: 1-line block ×4, first 2 shown]
	ds_load_2addr_b64 v[5:8], v21 offset0:77 offset1:78
	v_fmac_f32_e32 v15, v10, v17
	v_fma_f32 v16, v9, v17, -v16
	v_fmac_f32_e32 v18, v12, v19
	v_fma_f32 v17, v11, v19, -v20
	scratch_load_b128 v[9:12], off, off offset:216
	s_wait_loadcnt_dscnt 0x100
	v_mul_f32_e32 v19, v5, v2
	v_mul_f32_e32 v2, v6, v2
	;; [unrolled: 1-line block ×3, first 2 shown]
	s_delay_alu instid0(VALU_DEP_3) | instskip(NEXT) | instid1(VALU_DEP_3)
	v_dual_mul_f32 v4, v8, v4 :: v_dual_fmac_f32 v19, v6, v1
	v_fma_f32 v138, v5, v1, -v2
	s_delay_alu instid0(VALU_DEP_3) | instskip(NEXT) | instid1(VALU_DEP_3)
	v_fmac_f32_e32 v20, v8, v3
	v_fma_f32 v139, v7, v3, -v4
	ds_load_2addr_b64 v[1:4], v21 offset0:79 offset1:80
	ds_load_2addr_b64 v[5:8], v21 offset0:81 offset1:82
	s_wait_loadcnt_dscnt 0x1
	v_mul_f32_e32 v145, v1, v10
	v_mul_f32_e32 v10, v2, v10
	s_delay_alu instid0(VALU_DEP_2) | instskip(NEXT) | instid1(VALU_DEP_2)
	v_dual_mul_f32 v146, v3, v12 :: v_dual_fmac_f32 v145, v2, v9
	v_fma_f32 v147, v1, v9, -v10
	v_mul_f32_e32 v1, v4, v12
	s_delay_alu instid0(VALU_DEP_3) | instskip(NEXT) | instid1(VALU_DEP_2)
	v_fmac_f32_e32 v146, v4, v11
	v_fma_f32 v148, v3, v11, -v1
	s_clause 0x1
	scratch_load_b128 v[1:4], off, off offset:232
	scratch_load_b128 v[9:12], off, off offset:248
	s_wait_loadcnt_dscnt 0x100
	v_mul_f32_e32 v149, v5, v2
	v_dual_mul_f32 v2, v6, v2 :: v_dual_mul_f32 v151, v7, v4
	s_delay_alu instid0(VALU_DEP_2) | instskip(NEXT) | instid1(VALU_DEP_2)
	v_fmac_f32_e32 v149, v6, v1
	v_fma_f32 v150, v5, v1, -v2
	v_mul_f32_e32 v1, v8, v4
	s_delay_alu instid0(VALU_DEP_4) | instskip(NEXT) | instid1(VALU_DEP_2)
	v_fmac_f32_e32 v151, v8, v3
	v_fma_f32 v152, v7, v3, -v1
	ds_load_2addr_b64 v[1:4], v21 offset0:83 offset1:84
	ds_load_2addr_b64 v[5:8], v21 offset0:85 offset1:86
	s_wait_loadcnt_dscnt 0x1
	v_mul_f32_e32 v153, v1, v10
	v_mul_f32_e32 v155, v3, v12
	s_delay_alu instid0(VALU_DEP_2) | instskip(NEXT) | instid1(VALU_DEP_2)
	v_fmac_f32_e32 v153, v2, v9
	v_dual_mul_f32 v2, v2, v10 :: v_dual_fmac_f32 v155, v4, v11
	s_delay_alu instid0(VALU_DEP_1) | instskip(SKIP_1) | instid1(VALU_DEP_1)
	v_fma_f32 v154, v1, v9, -v2
	v_mul_f32_e32 v1, v4, v12
	v_fma_f32 v156, v3, v11, -v1
	s_clause 0x1
	scratch_load_b128 v[1:4], off, off offset:264
	scratch_load_b128 v[9:12], off, off offset:280
	s_wait_loadcnt_dscnt 0x100
	v_mul_f32_e32 v157, v5, v2
	v_dual_mul_f32 v2, v6, v2 :: v_dual_mul_f32 v159, v7, v4
	s_delay_alu instid0(VALU_DEP_2) | instskip(NEXT) | instid1(VALU_DEP_2)
	v_fmac_f32_e32 v157, v6, v1
	v_fma_f32 v158, v5, v1, -v2
	v_mul_f32_e32 v1, v8, v4
	s_delay_alu instid0(VALU_DEP_4) | instskip(NEXT) | instid1(VALU_DEP_2)
	v_fmac_f32_e32 v159, v8, v3
	v_fma_f32 v160, v7, v3, -v1
	ds_load_2addr_b64 v[1:4], v21 offset0:87 offset1:88
	ds_load_2addr_b64 v[5:8], v21 offset0:89 offset1:90
	s_wait_loadcnt_dscnt 0x1
	v_mul_f32_e32 v161, v1, v10
	v_mul_f32_e32 v163, v3, v12
	s_delay_alu instid0(VALU_DEP_2) | instskip(NEXT) | instid1(VALU_DEP_2)
	v_fmac_f32_e32 v161, v2, v9
	v_dual_mul_f32 v2, v2, v10 :: v_dual_fmac_f32 v163, v4, v11
	s_delay_alu instid0(VALU_DEP_1) | instskip(SKIP_1) | instid1(VALU_DEP_1)
	v_fma_f32 v162, v1, v9, -v2
	v_mul_f32_e32 v1, v4, v12
	;; [unrolled: 25-line block ×3, first 2 shown]
	v_fma_f32 v172, v3, v11, -v1
	s_clause 0x1
	scratch_load_b128 v[1:4], off, off offset:328
	scratch_load_b128 v[9:12], off, off offset:344
	s_wait_loadcnt_dscnt 0x100
	v_mul_f32_e32 v173, v5, v2
	v_mul_f32_e32 v2, v6, v2
	s_delay_alu instid0(VALU_DEP_1) | instskip(SKIP_1) | instid1(VALU_DEP_1)
	v_fma_f32 v174, v5, v1, -v2
	v_add_f32_e32 v2, 0, v142
	v_add_f32_e32 v2, v2, v143
	s_delay_alu instid0(VALU_DEP_1) | instskip(NEXT) | instid1(VALU_DEP_1)
	v_add_f32_e32 v2, v2, v24
	v_add_f32_e32 v2, v2, v25
	s_delay_alu instid0(VALU_DEP_1) | instskip(NEXT) | instid1(VALU_DEP_1)
	v_add_f32_e32 v2, v2, v26
	v_add_f32_e32 v2, v2, v144
	v_fmac_f32_e32 v173, v6, v1
	s_delay_alu instid0(VALU_DEP_2) | instskip(NEXT) | instid1(VALU_DEP_1)
	v_add_f32_e32 v2, v2, v136
	v_dual_add_f32 v2, v2, v137 :: v_dual_mul_f32 v175, v7, v4
	s_delay_alu instid0(VALU_DEP_1) | instskip(NEXT) | instid1(VALU_DEP_1)
	v_add_f32_e32 v2, v2, v15
	v_dual_fmac_f32 v175, v8, v3 :: v_dual_add_f32 v2, v2, v18
	s_delay_alu instid0(VALU_DEP_1) | instskip(NEXT) | instid1(VALU_DEP_1)
	v_dual_mul_f32 v1, v8, v4 :: v_dual_add_f32 v2, v2, v19
	v_fma_f32 v176, v7, v3, -v1
	s_delay_alu instid0(VALU_DEP_2) | instskip(NEXT) | instid1(VALU_DEP_1)
	v_dual_add_f32 v1, 0, v22 :: v_dual_add_f32 v2, v2, v20
	v_add_f32_e32 v1, v1, v23
	s_delay_alu instid0(VALU_DEP_2) | instskip(NEXT) | instid1(VALU_DEP_2)
	v_add_f32_e32 v5, v2, v145
	v_add_f32_e32 v1, v1, v132
	s_delay_alu instid0(VALU_DEP_2) | instskip(NEXT) | instid1(VALU_DEP_2)
	v_add_f32_e32 v5, v5, v146
	v_add_f32_e32 v1, v1, v133
	scratch_load_b64 v[132:133], off, off offset:408
	v_add_f32_e32 v5, v5, v149
	v_add_f32_e32 v1, v1, v134
	s_delay_alu instid0(VALU_DEP_1) | instskip(NEXT) | instid1(VALU_DEP_1)
	v_add_f32_e32 v1, v1, v135
	v_add_f32_e32 v1, v1, v13
	s_delay_alu instid0(VALU_DEP_1) | instskip(SKIP_1) | instid1(VALU_DEP_1)
	v_add_f32_e32 v1, v1, v14
	v_add_f32_e32 v14, v5, v151
	v_dual_add_f32 v1, v1, v16 :: v_dual_add_f32 v14, v14, v153
	s_delay_alu instid0(VALU_DEP_1) | instskip(NEXT) | instid1(VALU_DEP_1)
	v_dual_add_f32 v1, v1, v17 :: v_dual_add_f32 v14, v14, v155
	v_add_f32_e32 v1, v1, v138
	s_delay_alu instid0(VALU_DEP_2) | instskip(NEXT) | instid1(VALU_DEP_2)
	v_add_f32_e32 v17, v14, v157
	v_add_f32_e32 v1, v1, v139
	s_delay_alu instid0(VALU_DEP_2) | instskip(NEXT) | instid1(VALU_DEP_2)
	v_add_f32_e32 v17, v17, v159
	;; [unrolled: 3-line block ×3, first 2 shown]
	v_add_f32_e32 v6, v1, v148
	ds_load_2addr_b64 v[1:4], v21 offset0:95 offset1:96
	v_dual_add_f32 v17, v17, v163 :: v_dual_add_f32 v6, v6, v150
	s_delay_alu instid0(VALU_DEP_1) | instskip(NEXT) | instid1(VALU_DEP_2)
	v_add_f32_e32 v17, v17, v165
	v_add_f32_e32 v13, v6, v152
	ds_load_2addr_b64 v[5:8], v21 offset0:97 offset1:98
	v_add_f32_e32 v22, v17, v167
	s_delay_alu instid0(VALU_DEP_1)
	v_add_f32_e32 v135, v22, v169
	v_add_f32_e32 v13, v13, v154
	ds_load_2addr_b64 v[22:25], v21 offset0:101 offset1:102
	s_wait_loadcnt_dscnt 0x102
	v_mul_f32_e32 v26, v1, v10
	v_mul_f32_e32 v10, v2, v10
	;; [unrolled: 1-line block ×4, first 2 shown]
	v_add_f32_e32 v142, v135, v171
	v_fmac_f32_e32 v26, v2, v9
	v_fma_f32 v137, v1, v9, -v10
	v_fmac_f32_e32 v136, v4, v11
	v_fma_f32 v138, v3, v11, -v12
	s_clause 0x1
	scratch_load_b128 v[1:4], off, off offset:360
	scratch_load_b128 v[9:12], off, off offset:376
	v_dual_add_f32 v13, v13, v156 :: v_dual_add_f32 v142, v142, v173
	s_delay_alu instid0(VALU_DEP_1) | instskip(NEXT) | instid1(VALU_DEP_1)
	v_dual_add_f32 v13, v13, v158 :: v_dual_add_f32 v142, v142, v175
	v_add_f32_e32 v18, v13, v160
	scratch_load_b128 v[13:16], off, off offset:392
	v_add_f32_e32 v26, v142, v26
	v_add_f32_e32 v18, v18, v162
	s_delay_alu instid0(VALU_DEP_2) | instskip(NEXT) | instid1(VALU_DEP_2)
	v_add_f32_e32 v26, v26, v136
	v_add_f32_e32 v18, v18, v164
	s_delay_alu instid0(VALU_DEP_1) | instskip(NEXT) | instid1(VALU_DEP_1)
	v_add_f32_e32 v18, v18, v166
	v_add_f32_e32 v18, v18, v168
	s_delay_alu instid0(VALU_DEP_1)
	v_add_f32_e32 v134, v18, v170
	ds_load_2addr_b64 v[17:20], v21 offset0:99 offset1:100
	s_wait_loadcnt_dscnt 0x202
	v_mul_f32_e32 v144, v7, v4
	v_add_f32_e32 v139, v134, v172
	ds_load_b64 v[134:135], v21 offset:824
	v_mul_f32_e32 v143, v5, v2
	v_mul_f32_e32 v2, v6, v2
	v_dual_fmac_f32 v144, v8, v3 :: v_dual_add_f32 v139, v139, v174
	v_mul_f32_e32 v4, v8, v4
	s_wait_loadcnt_dscnt 0x101
	v_mul_f32_e32 v142, v19, v12
	v_fma_f32 v2, v5, v1, -v2
	v_add_f32_e32 v139, v139, v176
	s_wait_loadcnt 0x0
	s_delay_alu instid0(VALU_DEP_3)
	v_dual_mul_f32 v145, v22, v14 :: v_dual_fmac_f32 v142, v20, v11
	s_wait_dscnt 0x0
	v_mul_f32_e32 v136, v134, v133
	v_fmac_f32_e32 v143, v6, v1
	v_add_f32_e32 v137, v139, v137
	v_fma_f32 v1, v7, v3, -v4
	s_delay_alu instid0(VALU_DEP_4) | instskip(NEXT) | instid1(VALU_DEP_3)
	v_fmac_f32_e32 v136, v135, v132
	v_dual_add_f32 v4, v26, v143 :: v_dual_add_f32 v137, v137, v138
	v_dual_mul_f32 v139, v17, v10 :: v_dual_mul_f32 v138, v24, v16
	v_mul_f32_e32 v3, v18, v10
	s_delay_alu instid0(VALU_DEP_3) | instskip(NEXT) | instid1(VALU_DEP_3)
	v_add_f32_e32 v2, v137, v2
	v_dual_fmac_f32 v138, v25, v15 :: v_dual_fmac_f32 v145, v23, v13
	s_delay_alu instid0(VALU_DEP_3) | instskip(NEXT) | instid1(VALU_DEP_3)
	v_fma_f32 v3, v17, v9, -v3
	v_dual_add_f32 v1, v2, v1 :: v_dual_add_f32 v2, v4, v144
	v_dual_fmac_f32 v139, v18, v9 :: v_dual_mul_f32 v4, v23, v14
	s_delay_alu instid0(VALU_DEP_1) | instskip(NEXT) | instid1(VALU_DEP_2)
	v_dual_add_f32 v2, v2, v139 :: v_dual_mul_f32 v5, v20, v12
	v_fma_f32 v4, v22, v13, -v4
	s_delay_alu instid0(VALU_DEP_2) | instskip(NEXT) | instid1(VALU_DEP_3)
	v_add_f32_e32 v2, v2, v142
	v_fma_f32 v5, v19, v11, -v5
	s_delay_alu instid0(VALU_DEP_2) | instskip(NEXT) | instid1(VALU_DEP_1)
	v_add_f32_e32 v2, v2, v145
	v_add_f32_e32 v2, v2, v138
	s_delay_alu instid0(VALU_DEP_1) | instskip(NEXT) | instid1(VALU_DEP_1)
	v_add_f32_e32 v2, v2, v136
	v_sub_f32_e32 v2, v141, v2
	v_add_f32_e32 v1, v1, v3
	v_mul_f32_e32 v3, v25, v16
	s_delay_alu instid0(VALU_DEP_2) | instskip(SKIP_1) | instid1(VALU_DEP_3)
	v_add_f32_e32 v1, v1, v5
	v_mul_f32_e32 v5, v135, v133
	v_fma_f32 v3, v24, v15, -v3
	s_delay_alu instid0(VALU_DEP_3) | instskip(NEXT) | instid1(VALU_DEP_3)
	v_add_f32_e32 v1, v1, v4
	v_fma_f32 v4, v134, v132, -v5
	s_delay_alu instid0(VALU_DEP_2) | instskip(NEXT) | instid1(VALU_DEP_1)
	v_add_f32_e32 v1, v1, v3
	v_add_f32_e32 v1, v1, v4
	s_delay_alu instid0(VALU_DEP_1)
	v_sub_f32_e32 v1, v140, v1
	scratch_store_b64 off, v[1:2], off offset:112
	v_cmpx_lt_u32_e32 13, v0
	s_cbranch_execz .LBB115_299
; %bb.298:
	scratch_load_b64 v[1:2], off, off offset:104
	v_mov_b32_e32 v22, v21
	scratch_store_b64 off, v[21:22], off offset:104
	s_wait_loadcnt 0x0
	ds_store_b64 v27, v[1:2]
.LBB115_299:
	s_wait_alu 0xfffe
	s_or_b32 exec_lo, exec_lo, s0
	s_wait_storecnt_dscnt 0x0
	s_barrier_signal -1
	s_barrier_wait -1
	global_inv scope:SCOPE_SE
	s_clause 0x4
	scratch_load_b128 v[5:8], off, off offset:112
	scratch_load_b128 v[1:4], off, off offset:128
	;; [unrolled: 1-line block ×5, first 2 shown]
	ds_load_b128 v[22:25], v21 offset:528
	ds_load_b128 v[132:135], v21 offset:544
	;; [unrolled: 1-line block ×3, first 2 shown]
	scratch_load_b64 v[140:141], off, off offset:104
	s_mov_b32 s0, exec_lo
	s_wait_loadcnt_dscnt 0x502
	v_dual_mul_f32 v26, v23, v6 :: v_dual_mul_f32 v143, v24, v8
	v_mul_f32_e32 v142, v22, v6
	v_mul_f32_e32 v6, v25, v8
	s_wait_loadcnt_dscnt 0x300
	v_mul_f32_e32 v144, v138, v12
	v_fma_f32 v22, v22, v5, -v26
	v_dual_fmac_f32 v143, v25, v7 :: v_dual_fmac_f32 v142, v23, v5
	v_mul_f32_e32 v25, v134, v4
	v_mul_f32_e32 v4, v135, v4
	v_mul_f32_e32 v26, v136, v10
	v_mul_f32_e32 v10, v137, v10
	v_mul_f32_e32 v12, v139, v12
	v_fmac_f32_e32 v25, v135, v3
	v_fma_f32 v23, v24, v7, -v6
	ds_load_b128 v[5:8], v21 offset:576
	v_mul_f32_e32 v24, v132, v2
	v_mul_f32_e32 v2, v133, v2
	v_fmac_f32_e32 v26, v137, v9
	v_fmac_f32_e32 v144, v139, v11
	v_fma_f32 v135, v138, v11, -v12
	v_fmac_f32_e32 v24, v133, v1
	v_fma_f32 v133, v134, v3, -v4
	v_fma_f32 v134, v136, v9, -v10
	ds_load_b128 v[9:12], v21 offset:592
	s_wait_loadcnt_dscnt 0x201
	v_dual_mul_f32 v137, v7, v16 :: v_dual_mul_f32 v136, v5, v14
	v_mul_f32_e32 v14, v6, v14
	v_mul_f32_e32 v16, v8, v16
	s_delay_alu instid0(VALU_DEP_3)
	v_fmac_f32_e32 v137, v8, v15
	v_fma_f32 v132, v132, v1, -v2
	scratch_load_b128 v[1:4], off, off offset:192
	v_fmac_f32_e32 v136, v6, v13
	v_fma_f32 v13, v5, v13, -v14
	v_fma_f32 v14, v7, v15, -v16
	s_wait_loadcnt_dscnt 0x200
	v_mul_f32_e32 v15, v9, v18
	v_mul_f32_e32 v16, v10, v18
	;; [unrolled: 1-line block ×4, first 2 shown]
	ds_load_b128 v[5:8], v21 offset:608
	v_fmac_f32_e32 v15, v10, v17
	v_fma_f32 v16, v9, v17, -v16
	v_fmac_f32_e32 v18, v12, v19
	v_fma_f32 v17, v11, v19, -v20
	scratch_load_b128 v[9:12], off, off offset:208
	s_wait_loadcnt_dscnt 0x100
	v_mul_f32_e32 v19, v5, v2
	v_mul_f32_e32 v2, v6, v2
	;; [unrolled: 1-line block ×3, first 2 shown]
	s_delay_alu instid0(VALU_DEP_3) | instskip(NEXT) | instid1(VALU_DEP_3)
	v_dual_mul_f32 v4, v8, v4 :: v_dual_fmac_f32 v19, v6, v1
	v_fma_f32 v138, v5, v1, -v2
	s_delay_alu instid0(VALU_DEP_3) | instskip(NEXT) | instid1(VALU_DEP_3)
	v_fmac_f32_e32 v20, v8, v3
	v_fma_f32 v139, v7, v3, -v4
	ds_load_b128 v[1:4], v21 offset:624
	ds_load_b128 v[5:8], v21 offset:640
	s_wait_loadcnt_dscnt 0x1
	v_mul_f32_e32 v145, v1, v10
	v_mul_f32_e32 v10, v2, v10
	s_delay_alu instid0(VALU_DEP_2) | instskip(NEXT) | instid1(VALU_DEP_2)
	v_dual_mul_f32 v146, v3, v12 :: v_dual_fmac_f32 v145, v2, v9
	v_fma_f32 v147, v1, v9, -v10
	v_mul_f32_e32 v1, v4, v12
	s_delay_alu instid0(VALU_DEP_3) | instskip(NEXT) | instid1(VALU_DEP_2)
	v_fmac_f32_e32 v146, v4, v11
	v_fma_f32 v148, v3, v11, -v1
	s_clause 0x1
	scratch_load_b128 v[1:4], off, off offset:224
	scratch_load_b128 v[9:12], off, off offset:240
	s_wait_loadcnt_dscnt 0x100
	v_mul_f32_e32 v149, v5, v2
	v_dual_mul_f32 v2, v6, v2 :: v_dual_mul_f32 v151, v7, v4
	s_delay_alu instid0(VALU_DEP_2) | instskip(NEXT) | instid1(VALU_DEP_2)
	v_fmac_f32_e32 v149, v6, v1
	v_fma_f32 v150, v5, v1, -v2
	v_mul_f32_e32 v1, v8, v4
	s_delay_alu instid0(VALU_DEP_4) | instskip(NEXT) | instid1(VALU_DEP_2)
	v_fmac_f32_e32 v151, v8, v3
	v_fma_f32 v152, v7, v3, -v1
	ds_load_b128 v[1:4], v21 offset:656
	ds_load_b128 v[5:8], v21 offset:672
	s_wait_loadcnt_dscnt 0x1
	v_mul_f32_e32 v153, v1, v10
	v_mul_f32_e32 v155, v3, v12
	s_delay_alu instid0(VALU_DEP_2) | instskip(NEXT) | instid1(VALU_DEP_2)
	v_fmac_f32_e32 v153, v2, v9
	v_dual_mul_f32 v2, v2, v10 :: v_dual_fmac_f32 v155, v4, v11
	s_delay_alu instid0(VALU_DEP_1) | instskip(SKIP_1) | instid1(VALU_DEP_1)
	v_fma_f32 v154, v1, v9, -v2
	v_mul_f32_e32 v1, v4, v12
	v_fma_f32 v156, v3, v11, -v1
	s_clause 0x1
	scratch_load_b128 v[1:4], off, off offset:256
	scratch_load_b128 v[9:12], off, off offset:272
	s_wait_loadcnt_dscnt 0x100
	v_mul_f32_e32 v157, v5, v2
	v_dual_mul_f32 v2, v6, v2 :: v_dual_mul_f32 v159, v7, v4
	s_delay_alu instid0(VALU_DEP_2) | instskip(NEXT) | instid1(VALU_DEP_2)
	v_fmac_f32_e32 v157, v6, v1
	v_fma_f32 v158, v5, v1, -v2
	v_mul_f32_e32 v1, v8, v4
	s_delay_alu instid0(VALU_DEP_4) | instskip(NEXT) | instid1(VALU_DEP_2)
	v_fmac_f32_e32 v159, v8, v3
	v_fma_f32 v160, v7, v3, -v1
	ds_load_b128 v[1:4], v21 offset:688
	ds_load_b128 v[5:8], v21 offset:704
	s_wait_loadcnt_dscnt 0x1
	v_mul_f32_e32 v161, v1, v10
	v_mul_f32_e32 v163, v3, v12
	s_delay_alu instid0(VALU_DEP_2) | instskip(NEXT) | instid1(VALU_DEP_2)
	v_fmac_f32_e32 v161, v2, v9
	v_dual_mul_f32 v2, v2, v10 :: v_dual_fmac_f32 v163, v4, v11
	s_delay_alu instid0(VALU_DEP_1) | instskip(SKIP_1) | instid1(VALU_DEP_1)
	v_fma_f32 v162, v1, v9, -v2
	v_mul_f32_e32 v1, v4, v12
	;; [unrolled: 25-line block ×3, first 2 shown]
	v_fma_f32 v172, v3, v11, -v1
	s_clause 0x1
	scratch_load_b128 v[1:4], off, off offset:320
	scratch_load_b128 v[9:12], off, off offset:336
	s_wait_loadcnt_dscnt 0x100
	v_mul_f32_e32 v173, v5, v2
	v_mul_f32_e32 v2, v6, v2
	s_delay_alu instid0(VALU_DEP_1) | instskip(SKIP_1) | instid1(VALU_DEP_1)
	v_fma_f32 v174, v5, v1, -v2
	v_add_f32_e32 v2, 0, v142
	v_add_f32_e32 v2, v2, v143
	s_delay_alu instid0(VALU_DEP_1) | instskip(NEXT) | instid1(VALU_DEP_1)
	v_add_f32_e32 v2, v2, v24
	v_add_f32_e32 v2, v2, v25
	s_delay_alu instid0(VALU_DEP_1) | instskip(NEXT) | instid1(VALU_DEP_1)
	v_add_f32_e32 v2, v2, v26
	v_add_f32_e32 v2, v2, v144
	v_fmac_f32_e32 v173, v6, v1
	s_delay_alu instid0(VALU_DEP_2) | instskip(NEXT) | instid1(VALU_DEP_1)
	v_add_f32_e32 v2, v2, v136
	v_dual_add_f32 v2, v2, v137 :: v_dual_mul_f32 v175, v7, v4
	s_delay_alu instid0(VALU_DEP_1) | instskip(NEXT) | instid1(VALU_DEP_1)
	v_add_f32_e32 v2, v2, v15
	v_dual_fmac_f32 v175, v8, v3 :: v_dual_add_f32 v2, v2, v18
	s_delay_alu instid0(VALU_DEP_1) | instskip(NEXT) | instid1(VALU_DEP_1)
	v_dual_mul_f32 v1, v8, v4 :: v_dual_add_f32 v2, v2, v19
	v_fma_f32 v176, v7, v3, -v1
	s_delay_alu instid0(VALU_DEP_2) | instskip(NEXT) | instid1(VALU_DEP_1)
	v_dual_add_f32 v1, 0, v22 :: v_dual_add_f32 v2, v2, v20
	v_dual_add_f32 v1, v1, v23 :: v_dual_add_f32 v2, v2, v145
	s_delay_alu instid0(VALU_DEP_1) | instskip(NEXT) | instid1(VALU_DEP_2)
	v_add_f32_e32 v1, v1, v132
	v_add_f32_e32 v5, v2, v146
	s_delay_alu instid0(VALU_DEP_2) | instskip(NEXT) | instid1(VALU_DEP_1)
	v_add_f32_e32 v1, v1, v133
	v_add_f32_e32 v1, v1, v134
	s_delay_alu instid0(VALU_DEP_1) | instskip(NEXT) | instid1(VALU_DEP_1)
	v_add_f32_e32 v1, v1, v135
	v_add_f32_e32 v1, v1, v13
	;; [unrolled: 1-line block ×3, first 2 shown]
	s_delay_alu instid0(VALU_DEP_2) | instskip(NEXT) | instid1(VALU_DEP_2)
	v_add_f32_e32 v1, v1, v14
	v_add_f32_e32 v13, v13, v151
	s_delay_alu instid0(VALU_DEP_2) | instskip(NEXT) | instid1(VALU_DEP_2)
	v_add_f32_e32 v1, v1, v16
	v_add_f32_e32 v13, v13, v153
	;; [unrolled: 3-line block ×3, first 2 shown]
	s_delay_alu instid0(VALU_DEP_1) | instskip(NEXT) | instid1(VALU_DEP_1)
	v_dual_add_f32 v18, v18, v157 :: v_dual_add_f32 v1, v1, v138
	v_add_f32_e32 v18, v18, v159
	s_delay_alu instid0(VALU_DEP_1) | instskip(NEXT) | instid1(VALU_DEP_1)
	v_dual_add_f32 v1, v1, v139 :: v_dual_add_f32 v22, v18, v161
	v_add_f32_e32 v1, v1, v147
	;; [unrolled: 3-line block ×3, first 2 shown]
	s_delay_alu instid0(VALU_DEP_2) | instskip(SKIP_4) | instid1(VALU_DEP_1)
	v_add_f32_e32 v6, v1, v150
	ds_load_b128 v[1:4], v21 offset:752
	v_add_f32_e32 v14, v6, v152
	scratch_load_b128 v[5:8], off, off offset:352
	v_add_f32_e32 v14, v14, v154
	v_add_f32_e32 v17, v14, v156
	ds_load_b128 v[13:16], v21 offset:768
	s_wait_loadcnt_dscnt 0x101
	v_mul_f32_e32 v25, v1, v10
	v_mul_f32_e32 v10, v2, v10
	;; [unrolled: 1-line block ×3, first 2 shown]
	s_delay_alu instid0(VALU_DEP_3) | instskip(NEXT) | instid1(VALU_DEP_3)
	v_dual_mul_f32 v12, v4, v12 :: v_dual_fmac_f32 v25, v2, v9
	v_fma_f32 v132, v1, v9, -v10
	s_delay_alu instid0(VALU_DEP_3) | instskip(NEXT) | instid1(VALU_DEP_3)
	v_fmac_f32_e32 v26, v4, v11
	v_fma_f32 v133, v3, v11, -v12
	s_clause 0x1
	scratch_load_b128 v[1:4], off, off offset:368
	scratch_load_b128 v[9:12], off, off offset:384
	s_wait_loadcnt_dscnt 0x200
	v_mul_f32_e32 v134, v13, v6
	v_add_f32_e32 v17, v17, v158
	v_mul_f32_e32 v6, v14, v6
	s_delay_alu instid0(VALU_DEP_2) | instskip(NEXT) | instid1(VALU_DEP_2)
	v_dual_fmac_f32 v134, v14, v5 :: v_dual_add_f32 v17, v17, v160
	v_fma_f32 v136, v13, v5, -v6
	s_delay_alu instid0(VALU_DEP_2) | instskip(NEXT) | instid1(VALU_DEP_1)
	v_add_f32_e32 v17, v17, v162
	v_add_f32_e32 v23, v17, v164
	scratch_load_b128 v[17:20], off, off offset:400
	v_mul_f32_e32 v135, v15, v8
	v_mul_f32_e32 v8, v16, v8
	s_delay_alu instid0(VALU_DEP_2) | instskip(NEXT) | instid1(VALU_DEP_2)
	v_fmac_f32_e32 v135, v16, v7
	v_fma_f32 v137, v15, v7, -v8
	ds_load_b128 v[5:8], v21 offset:784
	v_add_f32_e32 v23, v23, v166
	v_add_f32_e32 v13, v22, v167
	s_delay_alu instid0(VALU_DEP_2) | instskip(NEXT) | instid1(VALU_DEP_1)
	v_add_f32_e32 v23, v23, v168
	v_add_f32_e32 v22, v23, v170
	s_delay_alu instid0(VALU_DEP_1) | instskip(NEXT) | instid1(VALU_DEP_1)
	v_add_f32_e32 v138, v22, v172
	v_add_f32_e32 v138, v138, v174
	s_delay_alu instid0(VALU_DEP_1) | instskip(NEXT) | instid1(VALU_DEP_1)
	v_add_f32_e32 v138, v138, v176
	v_add_f32_e32 v132, v138, v132
	s_delay_alu instid0(VALU_DEP_1)
	v_add_f32_e32 v132, v132, v133
	v_add_f32_e32 v23, v13, v169
	ds_load_b128 v[13:16], v21 offset:800
	s_wait_loadcnt_dscnt 0x201
	v_mul_f32_e32 v142, v5, v2
	v_mul_f32_e32 v138, v7, v4
	v_dual_add_f32 v132, v132, v136 :: v_dual_add_f32 v139, v23, v171
	v_mul_f32_e32 v2, v6, v2
	s_delay_alu instid0(VALU_DEP_4) | instskip(NEXT) | instid1(VALU_DEP_4)
	v_fmac_f32_e32 v142, v6, v1
	v_fmac_f32_e32 v138, v8, v3
	ds_load_b128 v[21:24], v21 offset:816
	v_mul_f32_e32 v4, v8, v4
	v_fma_f32 v2, v5, v1, -v2
	v_add_f32_e32 v1, v132, v137
	s_delay_alu instid0(VALU_DEP_3) | instskip(NEXT) | instid1(VALU_DEP_2)
	v_fma_f32 v3, v7, v3, -v4
	v_add_f32_e32 v1, v1, v2
	s_wait_loadcnt_dscnt 0x101
	v_dual_mul_f32 v6, v14, v10 :: v_dual_add_f32 v139, v139, v173
	s_delay_alu instid0(VALU_DEP_2) | instskip(NEXT) | instid1(VALU_DEP_2)
	v_dual_mul_f32 v4, v16, v12 :: v_dual_add_f32 v1, v1, v3
	v_add_f32_e32 v139, v139, v175
	s_delay_alu instid0(VALU_DEP_2) | instskip(NEXT) | instid1(VALU_DEP_2)
	v_fma_f32 v4, v15, v11, -v4
	v_add_f32_e32 v25, v139, v25
	s_delay_alu instid0(VALU_DEP_1) | instskip(NEXT) | instid1(VALU_DEP_1)
	v_add_f32_e32 v25, v25, v26
	v_add_f32_e32 v25, v25, v134
	s_delay_alu instid0(VALU_DEP_1) | instskip(NEXT) | instid1(VALU_DEP_1)
	v_add_f32_e32 v5, v25, v135
	v_dual_add_f32 v2, v5, v142 :: v_dual_mul_f32 v143, v15, v12
	v_fma_f32 v5, v13, v9, -v6
	s_delay_alu instid0(VALU_DEP_2) | instskip(NEXT) | instid1(VALU_DEP_2)
	v_dual_add_f32 v2, v2, v138 :: v_dual_fmac_f32 v143, v16, v11
	v_add_f32_e32 v1, v1, v5
	s_delay_alu instid0(VALU_DEP_1) | instskip(SKIP_4) | instid1(VALU_DEP_3)
	v_add_f32_e32 v1, v1, v4
	s_wait_loadcnt_dscnt 0x0
	v_mul_f32_e32 v26, v21, v18
	v_mul_f32_e32 v139, v13, v10
	;; [unrolled: 1-line block ×3, first 2 shown]
	v_dual_mul_f32 v5, v24, v20 :: v_dual_fmac_f32 v26, v22, v17
	s_delay_alu instid0(VALU_DEP_3) | instskip(NEXT) | instid1(VALU_DEP_3)
	v_fmac_f32_e32 v139, v14, v9
	v_fma_f32 v3, v21, v17, -v3
	s_delay_alu instid0(VALU_DEP_3) | instskip(NEXT) | instid1(VALU_DEP_3)
	v_fma_f32 v4, v23, v19, -v5
	v_add_f32_e32 v2, v2, v139
	s_delay_alu instid0(VALU_DEP_3) | instskip(NEXT) | instid1(VALU_DEP_2)
	v_add_f32_e32 v1, v1, v3
	v_dual_add_f32 v2, v2, v143 :: v_dual_mul_f32 v133, v23, v20
	s_delay_alu instid0(VALU_DEP_1) | instskip(NEXT) | instid1(VALU_DEP_2)
	v_dual_add_f32 v1, v1, v4 :: v_dual_add_f32 v2, v2, v26
	v_fmac_f32_e32 v133, v24, v19
	s_delay_alu instid0(VALU_DEP_2) | instskip(NEXT) | instid1(VALU_DEP_2)
	v_sub_f32_e32 v1, v140, v1
	v_add_f32_e32 v2, v2, v133
	s_delay_alu instid0(VALU_DEP_1)
	v_sub_f32_e32 v2, v141, v2
	scratch_store_b64 off, v[1:2], off offset:104
	v_cmpx_lt_u32_e32 12, v0
	s_cbranch_execz .LBB115_301
; %bb.300:
	scratch_load_b64 v[1:2], off, off offset:96
	v_mov_b32_e32 v3, 0
	s_delay_alu instid0(VALU_DEP_1)
	v_mov_b32_e32 v4, v3
	scratch_store_b64 off, v[3:4], off offset:96
	s_wait_loadcnt 0x0
	ds_store_b64 v27, v[1:2]
.LBB115_301:
	s_wait_alu 0xfffe
	s_or_b32 exec_lo, exec_lo, s0
	s_wait_storecnt_dscnt 0x0
	s_barrier_signal -1
	s_barrier_wait -1
	global_inv scope:SCOPE_SE
	s_clause 0x4
	scratch_load_b128 v[5:8], off, off offset:104
	scratch_load_b128 v[1:4], off, off offset:120
	;; [unrolled: 1-line block ×5, first 2 shown]
	v_mov_b32_e32 v21, 0
	ds_load_2addr_b64 v[22:25], v21 offset0:65 offset1:66
	ds_load_2addr_b64 v[132:135], v21 offset0:67 offset1:68
	;; [unrolled: 1-line block ×3, first 2 shown]
	scratch_load_b64 v[140:141], off, off offset:96
	s_mov_b32 s0, exec_lo
	s_wait_loadcnt_dscnt 0x502
	v_dual_mul_f32 v142, v22, v6 :: v_dual_mul_f32 v143, v24, v8
	v_mul_f32_e32 v26, v23, v6
	v_mul_f32_e32 v6, v25, v8
	s_wait_loadcnt_dscnt 0x300
	v_mul_f32_e32 v144, v138, v12
	v_dual_fmac_f32 v142, v23, v5 :: v_dual_fmac_f32 v143, v25, v7
	v_mul_f32_e32 v25, v134, v4
	v_fma_f32 v22, v22, v5, -v26
	v_mul_f32_e32 v26, v136, v10
	v_mul_f32_e32 v4, v135, v4
	s_delay_alu instid0(VALU_DEP_4)
	v_dual_mul_f32 v10, v137, v10 :: v_dual_fmac_f32 v25, v135, v3
	v_fma_f32 v23, v24, v7, -v6
	ds_load_2addr_b64 v[5:8], v21 offset0:71 offset1:72
	v_mul_f32_e32 v24, v132, v2
	v_mul_f32_e32 v12, v139, v12
	;; [unrolled: 1-line block ×3, first 2 shown]
	v_fmac_f32_e32 v26, v137, v9
	v_fmac_f32_e32 v144, v139, v11
	;; [unrolled: 1-line block ×3, first 2 shown]
	v_fma_f32 v133, v134, v3, -v4
	v_fma_f32 v134, v136, v9, -v10
	;; [unrolled: 1-line block ×3, first 2 shown]
	ds_load_2addr_b64 v[9:12], v21 offset0:73 offset1:74
	s_wait_loadcnt_dscnt 0x201
	v_dual_mul_f32 v137, v7, v16 :: v_dual_mul_f32 v136, v5, v14
	v_mul_f32_e32 v14, v6, v14
	v_mul_f32_e32 v16, v8, v16
	s_delay_alu instid0(VALU_DEP_3)
	v_fmac_f32_e32 v137, v8, v15
	v_fma_f32 v132, v132, v1, -v2
	scratch_load_b128 v[1:4], off, off offset:184
	v_fmac_f32_e32 v136, v6, v13
	v_fma_f32 v13, v5, v13, -v14
	v_fma_f32 v14, v7, v15, -v16
	s_wait_loadcnt_dscnt 0x200
	v_mul_f32_e32 v15, v9, v18
	v_mul_f32_e32 v16, v10, v18
	;; [unrolled: 1-line block ×4, first 2 shown]
	ds_load_2addr_b64 v[5:8], v21 offset0:75 offset1:76
	v_fmac_f32_e32 v15, v10, v17
	v_fma_f32 v16, v9, v17, -v16
	v_fmac_f32_e32 v18, v12, v19
	v_fma_f32 v17, v11, v19, -v20
	scratch_load_b128 v[9:12], off, off offset:200
	s_wait_loadcnt_dscnt 0x100
	v_mul_f32_e32 v19, v5, v2
	v_mul_f32_e32 v2, v6, v2
	;; [unrolled: 1-line block ×3, first 2 shown]
	s_delay_alu instid0(VALU_DEP_3) | instskip(NEXT) | instid1(VALU_DEP_3)
	v_dual_mul_f32 v4, v8, v4 :: v_dual_fmac_f32 v19, v6, v1
	v_fma_f32 v138, v5, v1, -v2
	s_delay_alu instid0(VALU_DEP_3) | instskip(NEXT) | instid1(VALU_DEP_3)
	v_fmac_f32_e32 v20, v8, v3
	v_fma_f32 v139, v7, v3, -v4
	ds_load_2addr_b64 v[1:4], v21 offset0:77 offset1:78
	ds_load_2addr_b64 v[5:8], v21 offset0:79 offset1:80
	s_wait_loadcnt_dscnt 0x1
	v_mul_f32_e32 v145, v1, v10
	v_mul_f32_e32 v10, v2, v10
	s_delay_alu instid0(VALU_DEP_2) | instskip(NEXT) | instid1(VALU_DEP_2)
	v_dual_mul_f32 v146, v3, v12 :: v_dual_fmac_f32 v145, v2, v9
	v_fma_f32 v147, v1, v9, -v10
	v_mul_f32_e32 v1, v4, v12
	s_delay_alu instid0(VALU_DEP_3) | instskip(NEXT) | instid1(VALU_DEP_2)
	v_fmac_f32_e32 v146, v4, v11
	v_fma_f32 v148, v3, v11, -v1
	s_clause 0x1
	scratch_load_b128 v[1:4], off, off offset:216
	scratch_load_b128 v[9:12], off, off offset:232
	s_wait_loadcnt_dscnt 0x100
	v_mul_f32_e32 v149, v5, v2
	v_dual_mul_f32 v2, v6, v2 :: v_dual_mul_f32 v151, v7, v4
	s_delay_alu instid0(VALU_DEP_2) | instskip(NEXT) | instid1(VALU_DEP_2)
	v_fmac_f32_e32 v149, v6, v1
	v_fma_f32 v150, v5, v1, -v2
	v_mul_f32_e32 v1, v8, v4
	s_delay_alu instid0(VALU_DEP_4) | instskip(NEXT) | instid1(VALU_DEP_2)
	v_fmac_f32_e32 v151, v8, v3
	v_fma_f32 v152, v7, v3, -v1
	ds_load_2addr_b64 v[1:4], v21 offset0:81 offset1:82
	ds_load_2addr_b64 v[5:8], v21 offset0:83 offset1:84
	s_wait_loadcnt_dscnt 0x1
	v_mul_f32_e32 v153, v1, v10
	v_mul_f32_e32 v155, v3, v12
	s_delay_alu instid0(VALU_DEP_2) | instskip(NEXT) | instid1(VALU_DEP_2)
	v_fmac_f32_e32 v153, v2, v9
	v_dual_mul_f32 v2, v2, v10 :: v_dual_fmac_f32 v155, v4, v11
	s_delay_alu instid0(VALU_DEP_1) | instskip(SKIP_1) | instid1(VALU_DEP_1)
	v_fma_f32 v154, v1, v9, -v2
	v_mul_f32_e32 v1, v4, v12
	v_fma_f32 v156, v3, v11, -v1
	s_clause 0x1
	scratch_load_b128 v[1:4], off, off offset:248
	scratch_load_b128 v[9:12], off, off offset:264
	s_wait_loadcnt_dscnt 0x100
	v_mul_f32_e32 v157, v5, v2
	v_dual_mul_f32 v2, v6, v2 :: v_dual_mul_f32 v159, v7, v4
	s_delay_alu instid0(VALU_DEP_2) | instskip(NEXT) | instid1(VALU_DEP_2)
	v_fmac_f32_e32 v157, v6, v1
	v_fma_f32 v158, v5, v1, -v2
	v_mul_f32_e32 v1, v8, v4
	s_delay_alu instid0(VALU_DEP_4) | instskip(NEXT) | instid1(VALU_DEP_2)
	v_fmac_f32_e32 v159, v8, v3
	v_fma_f32 v160, v7, v3, -v1
	ds_load_2addr_b64 v[1:4], v21 offset0:85 offset1:86
	ds_load_2addr_b64 v[5:8], v21 offset0:87 offset1:88
	s_wait_loadcnt_dscnt 0x1
	v_mul_f32_e32 v161, v1, v10
	v_mul_f32_e32 v163, v3, v12
	s_delay_alu instid0(VALU_DEP_2) | instskip(NEXT) | instid1(VALU_DEP_2)
	v_fmac_f32_e32 v161, v2, v9
	v_dual_mul_f32 v2, v2, v10 :: v_dual_fmac_f32 v163, v4, v11
	s_delay_alu instid0(VALU_DEP_1) | instskip(SKIP_1) | instid1(VALU_DEP_1)
	v_fma_f32 v162, v1, v9, -v2
	v_mul_f32_e32 v1, v4, v12
	;; [unrolled: 25-line block ×3, first 2 shown]
	v_fma_f32 v172, v3, v11, -v1
	s_clause 0x1
	scratch_load_b128 v[1:4], off, off offset:312
	scratch_load_b128 v[9:12], off, off offset:328
	s_wait_loadcnt_dscnt 0x100
	v_mul_f32_e32 v173, v5, v2
	v_mul_f32_e32 v2, v6, v2
	s_delay_alu instid0(VALU_DEP_1) | instskip(SKIP_1) | instid1(VALU_DEP_1)
	v_fma_f32 v174, v5, v1, -v2
	v_add_f32_e32 v2, 0, v142
	v_add_f32_e32 v2, v2, v143
	s_delay_alu instid0(VALU_DEP_1) | instskip(NEXT) | instid1(VALU_DEP_1)
	v_add_f32_e32 v2, v2, v24
	v_add_f32_e32 v2, v2, v25
	s_delay_alu instid0(VALU_DEP_1) | instskip(NEXT) | instid1(VALU_DEP_1)
	v_add_f32_e32 v2, v2, v26
	v_add_f32_e32 v2, v2, v144
	v_fmac_f32_e32 v173, v6, v1
	s_delay_alu instid0(VALU_DEP_2) | instskip(NEXT) | instid1(VALU_DEP_1)
	v_add_f32_e32 v2, v2, v136
	v_dual_add_f32 v2, v2, v137 :: v_dual_mul_f32 v175, v7, v4
	s_delay_alu instid0(VALU_DEP_1) | instskip(NEXT) | instid1(VALU_DEP_1)
	v_add_f32_e32 v2, v2, v15
	v_dual_fmac_f32 v175, v8, v3 :: v_dual_add_f32 v2, v2, v18
	s_delay_alu instid0(VALU_DEP_1) | instskip(NEXT) | instid1(VALU_DEP_1)
	v_dual_mul_f32 v1, v8, v4 :: v_dual_add_f32 v2, v2, v19
	v_fma_f32 v176, v7, v3, -v1
	s_delay_alu instid0(VALU_DEP_2) | instskip(NEXT) | instid1(VALU_DEP_1)
	v_dual_add_f32 v1, 0, v22 :: v_dual_add_f32 v2, v2, v20
	v_dual_add_f32 v1, v1, v23 :: v_dual_add_f32 v2, v2, v145
	s_delay_alu instid0(VALU_DEP_1) | instskip(NEXT) | instid1(VALU_DEP_2)
	v_add_f32_e32 v1, v1, v132
	v_add_f32_e32 v5, v2, v146
	s_delay_alu instid0(VALU_DEP_2) | instskip(SKIP_2) | instid1(VALU_DEP_1)
	v_add_f32_e32 v1, v1, v133
	scratch_load_b64 v[132:133], off, off offset:408
	v_add_f32_e32 v1, v1, v134
	v_add_f32_e32 v1, v1, v135
	s_delay_alu instid0(VALU_DEP_1) | instskip(SKIP_1) | instid1(VALU_DEP_2)
	v_add_f32_e32 v1, v1, v13
	v_add_f32_e32 v13, v5, v149
	;; [unrolled: 1-line block ×3, first 2 shown]
	s_delay_alu instid0(VALU_DEP_2) | instskip(NEXT) | instid1(VALU_DEP_2)
	v_add_f32_e32 v13, v13, v151
	v_add_f32_e32 v1, v1, v16
	s_delay_alu instid0(VALU_DEP_2) | instskip(NEXT) | instid1(VALU_DEP_2)
	v_add_f32_e32 v13, v13, v153
	v_add_f32_e32 v1, v1, v17
	s_delay_alu instid0(VALU_DEP_2) | instskip(NEXT) | instid1(VALU_DEP_1)
	v_add_f32_e32 v18, v13, v155
	v_dual_add_f32 v1, v1, v138 :: v_dual_add_f32 v18, v18, v157
	s_delay_alu instid0(VALU_DEP_1) | instskip(NEXT) | instid1(VALU_DEP_1)
	v_add_f32_e32 v18, v18, v159
	v_dual_add_f32 v1, v1, v139 :: v_dual_add_f32 v22, v18, v161
	s_delay_alu instid0(VALU_DEP_1) | instskip(NEXT) | instid1(VALU_DEP_2)
	v_add_f32_e32 v22, v22, v163
	v_add_f32_e32 v1, v1, v147
	s_delay_alu instid0(VALU_DEP_1) | instskip(NEXT) | instid1(VALU_DEP_1)
	v_add_f32_e32 v1, v1, v148
	v_add_f32_e32 v6, v1, v150
	scratch_load_b128 v[1:4], off, off offset:344
	v_add_f32_e32 v22, v22, v165
	v_add_f32_e32 v14, v6, v152
	ds_load_2addr_b64 v[5:8], v21 offset0:93 offset1:94
	v_add_f32_e32 v22, v22, v167
	v_add_f32_e32 v14, v14, v154
	s_delay_alu instid0(VALU_DEP_1)
	v_add_f32_e32 v17, v14, v156
	ds_load_2addr_b64 v[13:16], v21 offset0:95 offset1:96
	s_wait_loadcnt_dscnt 0x201
	v_mul_f32_e32 v26, v5, v10
	v_mul_f32_e32 v10, v6, v10
	;; [unrolled: 1-line block ×4, first 2 shown]
	s_delay_alu instid0(VALU_DEP_4) | instskip(NEXT) | instid1(VALU_DEP_4)
	v_fmac_f32_e32 v26, v6, v9
	v_fma_f32 v137, v5, v9, -v10
	s_delay_alu instid0(VALU_DEP_4) | instskip(NEXT) | instid1(VALU_DEP_4)
	v_fmac_f32_e32 v136, v8, v11
	v_fma_f32 v138, v7, v11, -v12
	s_clause 0x1
	scratch_load_b128 v[5:8], off, off offset:360
	scratch_load_b128 v[9:12], off, off offset:376
	s_wait_loadcnt_dscnt 0x200
	v_dual_mul_f32 v142, v15, v4 :: v_dual_mul_f32 v139, v13, v2
	v_mul_f32_e32 v2, v14, v2
	v_mul_f32_e32 v4, v16, v4
	s_delay_alu instid0(VALU_DEP_3) | instskip(NEXT) | instid1(VALU_DEP_3)
	v_dual_fmac_f32 v142, v16, v3 :: v_dual_add_f32 v17, v17, v158
	v_fma_f32 v143, v13, v1, -v2
	v_add_f32_e32 v13, v22, v169
	v_fmac_f32_e32 v139, v14, v1
	v_fma_f32 v144, v15, v3, -v4
	v_add_f32_e32 v17, v17, v160
	ds_load_2addr_b64 v[1:4], v21 offset0:97 offset1:98
	v_add_f32_e32 v22, v13, v171
	v_add_f32_e32 v17, v17, v162
	s_delay_alu instid0(VALU_DEP_2) | instskip(NEXT) | instid1(VALU_DEP_2)
	v_add_f32_e32 v135, v22, v173
	v_add_f32_e32 v23, v17, v164
	scratch_load_b128 v[17:20], off, off offset:392
	v_add_f32_e32 v146, v135, v175
	s_delay_alu instid0(VALU_DEP_1) | instskip(NEXT) | instid1(VALU_DEP_1)
	v_add_f32_e32 v26, v146, v26
	v_dual_add_f32 v23, v23, v166 :: v_dual_add_f32 v26, v26, v136
	s_delay_alu instid0(VALU_DEP_1) | instskip(NEXT) | instid1(VALU_DEP_1)
	v_dual_add_f32 v23, v23, v168 :: v_dual_add_f32 v26, v26, v139
	v_add_f32_e32 v23, v23, v170
	s_delay_alu instid0(VALU_DEP_2) | instskip(NEXT) | instid1(VALU_DEP_2)
	v_add_f32_e32 v26, v26, v142
	v_add_f32_e32 v14, v23, v172
	ds_load_2addr_b64 v[22:25], v21 offset0:101 offset1:102
	v_add_f32_e32 v134, v14, v174
	ds_load_2addr_b64 v[13:16], v21 offset0:99 offset1:100
	s_wait_loadcnt_dscnt 0x202
	v_mul_f32_e32 v136, v3, v8
	v_mul_f32_e32 v8, v4, v8
	v_add_f32_e32 v145, v134, v176
	ds_load_b64 v[134:135], v21 offset:824
	v_dual_fmac_f32 v136, v4, v7 :: v_dual_add_f32 v137, v145, v137
	v_mul_f32_e32 v145, v1, v6
	v_mul_f32_e32 v6, v2, v6
	s_delay_alu instid0(VALU_DEP_1)
	v_fma_f32 v1, v1, v5, -v6
	s_wait_loadcnt_dscnt 0x100
	v_dual_mul_f32 v139, v15, v12 :: v_dual_mul_f32 v142, v134, v133
	v_fmac_f32_e32 v145, v2, v5
	v_add_f32_e32 v137, v137, v138
	v_mul_f32_e32 v138, v13, v10
	v_fma_f32 v2, v3, v7, -v8
	v_dual_fmac_f32 v139, v16, v11 :: v_dual_fmac_f32 v142, v135, v132
	s_delay_alu instid0(VALU_DEP_4) | instskip(NEXT) | instid1(VALU_DEP_1)
	v_dual_add_f32 v4, v26, v145 :: v_dual_add_f32 v137, v137, v143
	v_dual_fmac_f32 v138, v14, v9 :: v_dual_add_f32 v137, v137, v144
	s_delay_alu instid0(VALU_DEP_1) | instskip(NEXT) | instid1(VALU_DEP_1)
	v_add_f32_e32 v1, v137, v1
	v_dual_add_f32 v1, v1, v2 :: v_dual_add_f32 v2, v4, v136
	s_delay_alu instid0(VALU_DEP_1) | instskip(NEXT) | instid1(VALU_DEP_1)
	v_dual_add_f32 v2, v2, v138 :: v_dual_mul_f32 v5, v16, v12
	v_add_f32_e32 v2, v2, v139
	s_delay_alu instid0(VALU_DEP_2) | instskip(SKIP_4) | instid1(VALU_DEP_3)
	v_fma_f32 v5, v15, v11, -v5
	s_wait_loadcnt 0x0
	v_dual_mul_f32 v143, v22, v18 :: v_dual_mul_f32 v144, v24, v20
	v_mul_f32_e32 v3, v14, v10
	v_mul_f32_e32 v4, v23, v18
	v_dual_fmac_f32 v143, v23, v17 :: v_dual_fmac_f32 v144, v25, v19
	s_delay_alu instid0(VALU_DEP_3) | instskip(NEXT) | instid1(VALU_DEP_3)
	v_fma_f32 v3, v13, v9, -v3
	v_fma_f32 v4, v22, v17, -v4
	s_delay_alu instid0(VALU_DEP_3) | instskip(NEXT) | instid1(VALU_DEP_1)
	v_add_f32_e32 v2, v2, v143
	v_dual_add_f32 v1, v1, v3 :: v_dual_add_f32 v2, v2, v144
	v_mul_f32_e32 v3, v25, v20
	s_delay_alu instid0(VALU_DEP_2) | instskip(NEXT) | instid1(VALU_DEP_3)
	v_add_f32_e32 v1, v1, v5
	v_dual_mul_f32 v5, v135, v133 :: v_dual_add_f32 v2, v2, v142
	s_delay_alu instid0(VALU_DEP_3) | instskip(NEXT) | instid1(VALU_DEP_3)
	v_fma_f32 v3, v24, v19, -v3
	v_add_f32_e32 v1, v1, v4
	s_delay_alu instid0(VALU_DEP_3) | instskip(NEXT) | instid1(VALU_DEP_4)
	v_fma_f32 v4, v134, v132, -v5
	v_sub_f32_e32 v2, v141, v2
	s_delay_alu instid0(VALU_DEP_3) | instskip(NEXT) | instid1(VALU_DEP_1)
	v_add_f32_e32 v1, v1, v3
	v_add_f32_e32 v1, v1, v4
	s_delay_alu instid0(VALU_DEP_1)
	v_sub_f32_e32 v1, v140, v1
	scratch_store_b64 off, v[1:2], off offset:96
	v_cmpx_lt_u32_e32 11, v0
	s_cbranch_execz .LBB115_303
; %bb.302:
	scratch_load_b64 v[1:2], off, off offset:88
	v_mov_b32_e32 v22, v21
	scratch_store_b64 off, v[21:22], off offset:88
	s_wait_loadcnt 0x0
	ds_store_b64 v27, v[1:2]
.LBB115_303:
	s_wait_alu 0xfffe
	s_or_b32 exec_lo, exec_lo, s0
	s_wait_storecnt_dscnt 0x0
	s_barrier_signal -1
	s_barrier_wait -1
	global_inv scope:SCOPE_SE
	s_clause 0x4
	scratch_load_b128 v[5:8], off, off offset:96
	scratch_load_b128 v[1:4], off, off offset:112
	;; [unrolled: 1-line block ×5, first 2 shown]
	ds_load_b128 v[22:25], v21 offset:512
	ds_load_b128 v[132:135], v21 offset:528
	;; [unrolled: 1-line block ×3, first 2 shown]
	scratch_load_b64 v[140:141], off, off offset:88
	s_mov_b32 s0, exec_lo
	s_wait_loadcnt_dscnt 0x502
	v_dual_mul_f32 v26, v23, v6 :: v_dual_mul_f32 v143, v24, v8
	v_mul_f32_e32 v142, v22, v6
	v_mul_f32_e32 v6, v25, v8
	s_wait_loadcnt_dscnt 0x300
	v_mul_f32_e32 v144, v138, v12
	v_fma_f32 v22, v22, v5, -v26
	v_dual_fmac_f32 v143, v25, v7 :: v_dual_fmac_f32 v142, v23, v5
	v_mul_f32_e32 v25, v134, v4
	v_mul_f32_e32 v4, v135, v4
	;; [unrolled: 1-line block ×5, first 2 shown]
	v_fmac_f32_e32 v25, v135, v3
	v_fma_f32 v23, v24, v7, -v6
	ds_load_b128 v[5:8], v21 offset:560
	v_mul_f32_e32 v24, v132, v2
	v_mul_f32_e32 v2, v133, v2
	v_fmac_f32_e32 v26, v137, v9
	v_fmac_f32_e32 v144, v139, v11
	v_fma_f32 v135, v138, v11, -v12
	v_fmac_f32_e32 v24, v133, v1
	v_fma_f32 v133, v134, v3, -v4
	v_fma_f32 v134, v136, v9, -v10
	ds_load_b128 v[9:12], v21 offset:576
	s_wait_loadcnt_dscnt 0x201
	v_dual_mul_f32 v137, v7, v16 :: v_dual_mul_f32 v136, v5, v14
	v_mul_f32_e32 v14, v6, v14
	v_mul_f32_e32 v16, v8, v16
	s_delay_alu instid0(VALU_DEP_3)
	v_fmac_f32_e32 v137, v8, v15
	v_fma_f32 v132, v132, v1, -v2
	scratch_load_b128 v[1:4], off, off offset:176
	v_fmac_f32_e32 v136, v6, v13
	v_fma_f32 v13, v5, v13, -v14
	v_fma_f32 v14, v7, v15, -v16
	s_wait_loadcnt_dscnt 0x200
	v_mul_f32_e32 v15, v9, v18
	v_mul_f32_e32 v16, v10, v18
	;; [unrolled: 1-line block ×4, first 2 shown]
	ds_load_b128 v[5:8], v21 offset:592
	v_fmac_f32_e32 v15, v10, v17
	v_fma_f32 v16, v9, v17, -v16
	v_fmac_f32_e32 v18, v12, v19
	v_fma_f32 v17, v11, v19, -v20
	scratch_load_b128 v[9:12], off, off offset:192
	s_wait_loadcnt_dscnt 0x100
	v_mul_f32_e32 v19, v5, v2
	v_mul_f32_e32 v2, v6, v2
	;; [unrolled: 1-line block ×3, first 2 shown]
	s_delay_alu instid0(VALU_DEP_3) | instskip(NEXT) | instid1(VALU_DEP_3)
	v_dual_mul_f32 v4, v8, v4 :: v_dual_fmac_f32 v19, v6, v1
	v_fma_f32 v138, v5, v1, -v2
	s_delay_alu instid0(VALU_DEP_3) | instskip(NEXT) | instid1(VALU_DEP_3)
	v_fmac_f32_e32 v20, v8, v3
	v_fma_f32 v139, v7, v3, -v4
	ds_load_b128 v[1:4], v21 offset:608
	ds_load_b128 v[5:8], v21 offset:624
	s_wait_loadcnt_dscnt 0x1
	v_mul_f32_e32 v145, v1, v10
	v_mul_f32_e32 v10, v2, v10
	s_delay_alu instid0(VALU_DEP_2) | instskip(NEXT) | instid1(VALU_DEP_2)
	v_dual_mul_f32 v146, v3, v12 :: v_dual_fmac_f32 v145, v2, v9
	v_fma_f32 v147, v1, v9, -v10
	v_mul_f32_e32 v1, v4, v12
	s_delay_alu instid0(VALU_DEP_3) | instskip(NEXT) | instid1(VALU_DEP_2)
	v_fmac_f32_e32 v146, v4, v11
	v_fma_f32 v148, v3, v11, -v1
	s_clause 0x1
	scratch_load_b128 v[1:4], off, off offset:208
	scratch_load_b128 v[9:12], off, off offset:224
	s_wait_loadcnt_dscnt 0x100
	v_mul_f32_e32 v149, v5, v2
	v_dual_mul_f32 v2, v6, v2 :: v_dual_mul_f32 v151, v7, v4
	s_delay_alu instid0(VALU_DEP_2) | instskip(NEXT) | instid1(VALU_DEP_2)
	v_fmac_f32_e32 v149, v6, v1
	v_fma_f32 v150, v5, v1, -v2
	v_mul_f32_e32 v1, v8, v4
	s_delay_alu instid0(VALU_DEP_4) | instskip(NEXT) | instid1(VALU_DEP_2)
	v_fmac_f32_e32 v151, v8, v3
	v_fma_f32 v152, v7, v3, -v1
	ds_load_b128 v[1:4], v21 offset:640
	ds_load_b128 v[5:8], v21 offset:656
	s_wait_loadcnt_dscnt 0x1
	v_mul_f32_e32 v153, v1, v10
	v_mul_f32_e32 v155, v3, v12
	s_delay_alu instid0(VALU_DEP_2) | instskip(NEXT) | instid1(VALU_DEP_2)
	v_fmac_f32_e32 v153, v2, v9
	v_dual_mul_f32 v2, v2, v10 :: v_dual_fmac_f32 v155, v4, v11
	s_delay_alu instid0(VALU_DEP_1) | instskip(SKIP_1) | instid1(VALU_DEP_1)
	v_fma_f32 v154, v1, v9, -v2
	v_mul_f32_e32 v1, v4, v12
	v_fma_f32 v156, v3, v11, -v1
	s_clause 0x1
	scratch_load_b128 v[1:4], off, off offset:240
	scratch_load_b128 v[9:12], off, off offset:256
	s_wait_loadcnt_dscnt 0x100
	v_mul_f32_e32 v157, v5, v2
	v_dual_mul_f32 v2, v6, v2 :: v_dual_mul_f32 v159, v7, v4
	s_delay_alu instid0(VALU_DEP_2) | instskip(NEXT) | instid1(VALU_DEP_2)
	v_fmac_f32_e32 v157, v6, v1
	v_fma_f32 v158, v5, v1, -v2
	v_mul_f32_e32 v1, v8, v4
	s_delay_alu instid0(VALU_DEP_4) | instskip(NEXT) | instid1(VALU_DEP_2)
	v_fmac_f32_e32 v159, v8, v3
	v_fma_f32 v160, v7, v3, -v1
	ds_load_b128 v[1:4], v21 offset:672
	ds_load_b128 v[5:8], v21 offset:688
	s_wait_loadcnt_dscnt 0x1
	v_mul_f32_e32 v161, v1, v10
	v_mul_f32_e32 v163, v3, v12
	s_delay_alu instid0(VALU_DEP_2) | instskip(NEXT) | instid1(VALU_DEP_2)
	v_fmac_f32_e32 v161, v2, v9
	v_dual_mul_f32 v2, v2, v10 :: v_dual_fmac_f32 v163, v4, v11
	s_delay_alu instid0(VALU_DEP_1) | instskip(SKIP_1) | instid1(VALU_DEP_1)
	v_fma_f32 v162, v1, v9, -v2
	v_mul_f32_e32 v1, v4, v12
	v_fma_f32 v164, v3, v11, -v1
	s_clause 0x1
	scratch_load_b128 v[1:4], off, off offset:272
	scratch_load_b128 v[9:12], off, off offset:288
	s_wait_loadcnt_dscnt 0x100
	v_mul_f32_e32 v165, v5, v2
	v_dual_mul_f32 v2, v6, v2 :: v_dual_mul_f32 v167, v7, v4
	s_delay_alu instid0(VALU_DEP_2) | instskip(NEXT) | instid1(VALU_DEP_2)
	v_fmac_f32_e32 v165, v6, v1
	v_fma_f32 v166, v5, v1, -v2
	v_mul_f32_e32 v1, v8, v4
	s_delay_alu instid0(VALU_DEP_4) | instskip(NEXT) | instid1(VALU_DEP_2)
	v_fmac_f32_e32 v167, v8, v3
	v_fma_f32 v168, v7, v3, -v1
	ds_load_b128 v[1:4], v21 offset:704
	ds_load_b128 v[5:8], v21 offset:720
	s_wait_loadcnt_dscnt 0x1
	v_mul_f32_e32 v169, v1, v10
	v_mul_f32_e32 v171, v3, v12
	s_delay_alu instid0(VALU_DEP_2) | instskip(NEXT) | instid1(VALU_DEP_2)
	v_fmac_f32_e32 v169, v2, v9
	v_dual_mul_f32 v2, v2, v10 :: v_dual_fmac_f32 v171, v4, v11
	s_delay_alu instid0(VALU_DEP_1) | instskip(SKIP_1) | instid1(VALU_DEP_1)
	v_fma_f32 v170, v1, v9, -v2
	v_mul_f32_e32 v1, v4, v12
	v_fma_f32 v172, v3, v11, -v1
	s_clause 0x1
	scratch_load_b128 v[1:4], off, off offset:304
	scratch_load_b128 v[9:12], off, off offset:320
	s_wait_loadcnt_dscnt 0x100
	v_mul_f32_e32 v173, v5, v2
	v_dual_mul_f32 v2, v6, v2 :: v_dual_mul_f32 v175, v7, v4
	s_delay_alu instid0(VALU_DEP_2) | instskip(NEXT) | instid1(VALU_DEP_2)
	v_fmac_f32_e32 v173, v6, v1
	v_fma_f32 v174, v5, v1, -v2
	v_mul_f32_e32 v1, v8, v4
	s_delay_alu instid0(VALU_DEP_4) | instskip(NEXT) | instid1(VALU_DEP_2)
	v_fmac_f32_e32 v175, v8, v3
	v_fma_f32 v176, v7, v3, -v1
	ds_load_b128 v[1:4], v21 offset:736
	ds_load_b128 v[5:8], v21 offset:752
	s_wait_loadcnt_dscnt 0x1
	v_mul_f32_e32 v177, v1, v10
	v_mul_f32_e32 v179, v3, v12
	s_delay_alu instid0(VALU_DEP_2) | instskip(NEXT) | instid1(VALU_DEP_2)
	v_fmac_f32_e32 v177, v2, v9
	v_dual_mul_f32 v2, v2, v10 :: v_dual_fmac_f32 v179, v4, v11
	s_delay_alu instid0(VALU_DEP_1) | instskip(SKIP_1) | instid1(VALU_DEP_1)
	v_fma_f32 v178, v1, v9, -v2
	v_mul_f32_e32 v1, v4, v12
	v_fma_f32 v180, v3, v11, -v1
	s_clause 0x1
	scratch_load_b128 v[1:4], off, off offset:336
	scratch_load_b128 v[9:12], off, off offset:352
	s_wait_loadcnt_dscnt 0x100
	v_mul_f32_e32 v181, v5, v2
	v_mul_f32_e32 v2, v6, v2
	s_delay_alu instid0(VALU_DEP_1) | instskip(SKIP_1) | instid1(VALU_DEP_1)
	v_fma_f32 v182, v5, v1, -v2
	v_add_f32_e32 v2, 0, v142
	v_add_f32_e32 v2, v2, v143
	s_delay_alu instid0(VALU_DEP_1) | instskip(NEXT) | instid1(VALU_DEP_1)
	v_add_f32_e32 v2, v2, v24
	v_add_f32_e32 v2, v2, v25
	s_delay_alu instid0(VALU_DEP_1) | instskip(NEXT) | instid1(VALU_DEP_1)
	;; [unrolled: 3-line block ×5, first 2 shown]
	v_add_f32_e32 v2, v2, v19
	v_add_f32_e32 v2, v2, v20
	s_delay_alu instid0(VALU_DEP_1) | instskip(SKIP_1) | instid1(VALU_DEP_2)
	v_dual_add_f32 v2, v2, v145 :: v_dual_mul_f32 v183, v7, v4
	v_fmac_f32_e32 v181, v6, v1
	v_dual_add_f32 v2, v2, v146 :: v_dual_fmac_f32 v183, v8, v3
	s_delay_alu instid0(VALU_DEP_1) | instskip(NEXT) | instid1(VALU_DEP_1)
	v_dual_add_f32 v2, v2, v149 :: v_dual_mul_f32 v1, v8, v4
	v_add_f32_e32 v2, v2, v151
	s_delay_alu instid0(VALU_DEP_2) | instskip(SKIP_1) | instid1(VALU_DEP_1)
	v_fma_f32 v184, v7, v3, -v1
	v_add_f32_e32 v1, 0, v22
	v_add_f32_e32 v1, v1, v23
	s_delay_alu instid0(VALU_DEP_1) | instskip(NEXT) | instid1(VALU_DEP_1)
	v_add_f32_e32 v1, v1, v132
	v_add_f32_e32 v1, v1, v133
	s_delay_alu instid0(VALU_DEP_1) | instskip(NEXT) | instid1(VALU_DEP_1)
	;; [unrolled: 3-line block ×10, first 2 shown]
	v_add_f32_e32 v13, v13, v162
	v_add_f32_e32 v13, v13, v164
	s_delay_alu instid0(VALU_DEP_1) | instskip(SKIP_3) | instid1(VALU_DEP_1)
	v_add_f32_e32 v13, v13, v166
	v_add_f32_e32 v5, v2, v153
	ds_load_b128 v[1:4], v21 offset:768
	v_add_f32_e32 v18, v13, v168
	v_dual_add_f32 v5, v5, v155 :: v_dual_add_f32 v18, v18, v170
	s_delay_alu instid0(VALU_DEP_1) | instskip(NEXT) | instid1(VALU_DEP_1)
	v_dual_add_f32 v5, v5, v157 :: v_dual_add_f32 v18, v18, v172
	v_add_f32_e32 v14, v5, v159
	ds_load_b128 v[5:8], v21 offset:784
	v_add_f32_e32 v22, v18, v174
	v_add_f32_e32 v14, v14, v161
	s_wait_loadcnt_dscnt 0x1
	v_mul_f32_e32 v26, v3, v12
	v_mul_f32_e32 v12, v4, v12
	v_add_f32_e32 v134, v22, v176
	v_add_f32_e32 v14, v14, v163
	s_delay_alu instid0(VALU_DEP_4) | instskip(NEXT) | instid1(VALU_DEP_4)
	v_fmac_f32_e32 v26, v4, v11
	v_fma_f32 v133, v3, v11, -v12
	s_delay_alu instid0(VALU_DEP_4) | instskip(NEXT) | instid1(VALU_DEP_4)
	v_add_f32_e32 v134, v134, v178
	v_add_f32_e32 v17, v14, v165
	scratch_load_b128 v[13:16], off, off offset:400
	v_dual_add_f32 v134, v134, v180 :: v_dual_add_f32 v17, v17, v167
	s_delay_alu instid0(VALU_DEP_1) | instskip(NEXT) | instid1(VALU_DEP_1)
	v_dual_add_f32 v134, v134, v182 :: v_dual_add_f32 v17, v17, v169
	v_dual_add_f32 v134, v134, v184 :: v_dual_add_f32 v17, v17, v171
	s_delay_alu instid0(VALU_DEP_1) | instskip(SKIP_3) | instid1(VALU_DEP_2)
	v_add_f32_e32 v23, v17, v173
	ds_load_b128 v[17:20], v21 offset:800
	v_mul_f32_e32 v25, v1, v10
	v_mul_f32_e32 v10, v2, v10
	v_fmac_f32_e32 v25, v2, v9
	s_delay_alu instid0(VALU_DEP_2)
	v_fma_f32 v132, v1, v9, -v10
	s_clause 0x1
	scratch_load_b128 v[1:4], off, off offset:368
	scratch_load_b128 v[9:12], off, off offset:384
	v_add_f32_e32 v132, v134, v132
	s_wait_loadcnt_dscnt 0x101
	v_mul_f32_e32 v136, v5, v2
	s_wait_loadcnt_dscnt 0x0
	v_mul_f32_e32 v138, v17, v10
	v_dual_mul_f32 v2, v6, v2 :: v_dual_mul_f32 v137, v7, v4
	v_mul_f32_e32 v4, v8, v4
	v_dual_fmac_f32 v136, v6, v1 :: v_dual_add_f32 v135, v23, v175
	ds_load_b128 v[21:24], v21 offset:816
	v_fma_f32 v2, v5, v1, -v2
	v_dual_add_f32 v1, v132, v133 :: v_dual_mul_f32 v6, v18, v10
	v_fmac_f32_e32 v137, v8, v3
	v_fma_f32 v3, v7, v3, -v4
	v_mul_f32_e32 v139, v19, v12
	s_delay_alu instid0(VALU_DEP_4) | instskip(NEXT) | instid1(VALU_DEP_2)
	v_dual_add_f32 v1, v1, v2 :: v_dual_mul_f32 v4, v20, v12
	v_dual_fmac_f32 v138, v18, v9 :: v_dual_fmac_f32 v139, v20, v11
	s_delay_alu instid0(VALU_DEP_2) | instskip(NEXT) | instid1(VALU_DEP_3)
	v_add_f32_e32 v1, v1, v3
	v_fma_f32 v4, v19, v11, -v4
	s_wait_dscnt 0x0
	v_mul_f32_e32 v134, v23, v16
	v_mul_f32_e32 v142, v21, v14
	s_delay_alu instid0(VALU_DEP_2) | instskip(SKIP_1) | instid1(VALU_DEP_3)
	v_dual_mul_f32 v3, v22, v14 :: v_dual_fmac_f32 v134, v24, v15
	v_add_f32_e32 v135, v135, v177
	v_fmac_f32_e32 v142, v22, v13
	s_delay_alu instid0(VALU_DEP_3) | instskip(NEXT) | instid1(VALU_DEP_3)
	v_fma_f32 v3, v21, v13, -v3
	v_add_f32_e32 v135, v135, v179
	s_delay_alu instid0(VALU_DEP_1) | instskip(NEXT) | instid1(VALU_DEP_1)
	v_add_f32_e32 v135, v135, v181
	v_add_f32_e32 v135, v135, v183
	s_delay_alu instid0(VALU_DEP_1) | instskip(NEXT) | instid1(VALU_DEP_1)
	v_add_f32_e32 v25, v135, v25
	v_add_f32_e32 v5, v25, v26
	s_delay_alu instid0(VALU_DEP_1) | instskip(SKIP_1) | instid1(VALU_DEP_2)
	v_add_f32_e32 v2, v5, v136
	v_fma_f32 v5, v17, v9, -v6
	v_add_f32_e32 v2, v2, v137
	s_delay_alu instid0(VALU_DEP_2) | instskip(NEXT) | instid1(VALU_DEP_2)
	v_add_f32_e32 v1, v1, v5
	v_dual_mul_f32 v5, v24, v16 :: v_dual_add_f32 v2, v2, v138
	s_delay_alu instid0(VALU_DEP_2) | instskip(NEXT) | instid1(VALU_DEP_2)
	v_add_f32_e32 v1, v1, v4
	v_fma_f32 v4, v23, v15, -v5
	s_delay_alu instid0(VALU_DEP_3) | instskip(NEXT) | instid1(VALU_DEP_1)
	v_add_f32_e32 v2, v2, v139
	v_dual_add_f32 v1, v1, v3 :: v_dual_add_f32 v2, v2, v142
	s_delay_alu instid0(VALU_DEP_1) | instskip(NEXT) | instid1(VALU_DEP_1)
	v_dual_add_f32 v1, v1, v4 :: v_dual_add_f32 v2, v2, v134
	v_dual_sub_f32 v1, v140, v1 :: v_dual_sub_f32 v2, v141, v2
	scratch_store_b64 off, v[1:2], off offset:88
	v_cmpx_lt_u32_e32 10, v0
	s_cbranch_execz .LBB115_305
; %bb.304:
	scratch_load_b64 v[1:2], off, off offset:80
	v_mov_b32_e32 v3, 0
	s_delay_alu instid0(VALU_DEP_1)
	v_mov_b32_e32 v4, v3
	scratch_store_b64 off, v[3:4], off offset:80
	s_wait_loadcnt 0x0
	ds_store_b64 v27, v[1:2]
.LBB115_305:
	s_wait_alu 0xfffe
	s_or_b32 exec_lo, exec_lo, s0
	s_wait_storecnt_dscnt 0x0
	s_barrier_signal -1
	s_barrier_wait -1
	global_inv scope:SCOPE_SE
	s_clause 0x4
	scratch_load_b128 v[5:8], off, off offset:88
	scratch_load_b128 v[1:4], off, off offset:104
	scratch_load_b128 v[9:12], off, off offset:120
	scratch_load_b128 v[13:16], off, off offset:136
	scratch_load_b128 v[17:20], off, off offset:152
	v_mov_b32_e32 v21, 0
	ds_load_2addr_b64 v[22:25], v21 offset0:63 offset1:64
	ds_load_2addr_b64 v[132:135], v21 offset0:65 offset1:66
	ds_load_2addr_b64 v[136:139], v21 offset0:67 offset1:68
	scratch_load_b64 v[140:141], off, off offset:80
	s_mov_b32 s0, exec_lo
	s_wait_loadcnt_dscnt 0x502
	v_dual_mul_f32 v142, v22, v6 :: v_dual_mul_f32 v143, v24, v8
	v_mul_f32_e32 v26, v23, v6
	v_mul_f32_e32 v6, v25, v8
	s_wait_loadcnt_dscnt 0x300
	v_mul_f32_e32 v144, v138, v12
	v_dual_fmac_f32 v142, v23, v5 :: v_dual_fmac_f32 v143, v25, v7
	v_mul_f32_e32 v25, v134, v4
	v_fma_f32 v22, v22, v5, -v26
	v_mul_f32_e32 v26, v136, v10
	v_mul_f32_e32 v4, v135, v4
	s_delay_alu instid0(VALU_DEP_4)
	v_dual_mul_f32 v10, v137, v10 :: v_dual_fmac_f32 v25, v135, v3
	v_fma_f32 v23, v24, v7, -v6
	ds_load_2addr_b64 v[5:8], v21 offset0:69 offset1:70
	v_mul_f32_e32 v24, v132, v2
	v_mul_f32_e32 v12, v139, v12
	;; [unrolled: 1-line block ×3, first 2 shown]
	v_fmac_f32_e32 v26, v137, v9
	v_fmac_f32_e32 v144, v139, v11
	;; [unrolled: 1-line block ×3, first 2 shown]
	v_fma_f32 v133, v134, v3, -v4
	v_fma_f32 v134, v136, v9, -v10
	;; [unrolled: 1-line block ×3, first 2 shown]
	ds_load_2addr_b64 v[9:12], v21 offset0:71 offset1:72
	s_wait_loadcnt_dscnt 0x201
	v_dual_mul_f32 v137, v7, v16 :: v_dual_mul_f32 v136, v5, v14
	v_mul_f32_e32 v14, v6, v14
	v_mul_f32_e32 v16, v8, v16
	s_delay_alu instid0(VALU_DEP_3)
	v_fmac_f32_e32 v137, v8, v15
	v_fma_f32 v132, v132, v1, -v2
	scratch_load_b128 v[1:4], off, off offset:168
	v_fmac_f32_e32 v136, v6, v13
	v_fma_f32 v13, v5, v13, -v14
	v_fma_f32 v14, v7, v15, -v16
	s_wait_loadcnt_dscnt 0x200
	v_mul_f32_e32 v15, v9, v18
	v_mul_f32_e32 v16, v10, v18
	;; [unrolled: 1-line block ×4, first 2 shown]
	ds_load_2addr_b64 v[5:8], v21 offset0:73 offset1:74
	v_fmac_f32_e32 v15, v10, v17
	v_fma_f32 v16, v9, v17, -v16
	v_fmac_f32_e32 v18, v12, v19
	v_fma_f32 v17, v11, v19, -v20
	scratch_load_b128 v[9:12], off, off offset:184
	s_wait_loadcnt_dscnt 0x100
	v_mul_f32_e32 v19, v5, v2
	v_mul_f32_e32 v2, v6, v2
	;; [unrolled: 1-line block ×3, first 2 shown]
	s_delay_alu instid0(VALU_DEP_3) | instskip(NEXT) | instid1(VALU_DEP_3)
	v_dual_mul_f32 v4, v8, v4 :: v_dual_fmac_f32 v19, v6, v1
	v_fma_f32 v138, v5, v1, -v2
	s_delay_alu instid0(VALU_DEP_3) | instskip(NEXT) | instid1(VALU_DEP_3)
	v_fmac_f32_e32 v20, v8, v3
	v_fma_f32 v139, v7, v3, -v4
	ds_load_2addr_b64 v[1:4], v21 offset0:75 offset1:76
	ds_load_2addr_b64 v[5:8], v21 offset0:77 offset1:78
	s_wait_loadcnt_dscnt 0x1
	v_mul_f32_e32 v145, v1, v10
	v_mul_f32_e32 v10, v2, v10
	s_delay_alu instid0(VALU_DEP_2) | instskip(NEXT) | instid1(VALU_DEP_2)
	v_dual_mul_f32 v146, v3, v12 :: v_dual_fmac_f32 v145, v2, v9
	v_fma_f32 v147, v1, v9, -v10
	v_mul_f32_e32 v1, v4, v12
	s_delay_alu instid0(VALU_DEP_3) | instskip(NEXT) | instid1(VALU_DEP_2)
	v_fmac_f32_e32 v146, v4, v11
	v_fma_f32 v148, v3, v11, -v1
	s_clause 0x1
	scratch_load_b128 v[1:4], off, off offset:200
	scratch_load_b128 v[9:12], off, off offset:216
	s_wait_loadcnt_dscnt 0x100
	v_mul_f32_e32 v149, v5, v2
	v_dual_mul_f32 v2, v6, v2 :: v_dual_mul_f32 v151, v7, v4
	s_delay_alu instid0(VALU_DEP_2) | instskip(NEXT) | instid1(VALU_DEP_2)
	v_fmac_f32_e32 v149, v6, v1
	v_fma_f32 v150, v5, v1, -v2
	v_mul_f32_e32 v1, v8, v4
	s_delay_alu instid0(VALU_DEP_4) | instskip(NEXT) | instid1(VALU_DEP_2)
	v_fmac_f32_e32 v151, v8, v3
	v_fma_f32 v152, v7, v3, -v1
	ds_load_2addr_b64 v[1:4], v21 offset0:79 offset1:80
	ds_load_2addr_b64 v[5:8], v21 offset0:81 offset1:82
	s_wait_loadcnt_dscnt 0x1
	v_mul_f32_e32 v153, v1, v10
	v_mul_f32_e32 v155, v3, v12
	s_delay_alu instid0(VALU_DEP_2) | instskip(NEXT) | instid1(VALU_DEP_2)
	v_fmac_f32_e32 v153, v2, v9
	v_dual_mul_f32 v2, v2, v10 :: v_dual_fmac_f32 v155, v4, v11
	s_delay_alu instid0(VALU_DEP_1) | instskip(SKIP_1) | instid1(VALU_DEP_1)
	v_fma_f32 v154, v1, v9, -v2
	v_mul_f32_e32 v1, v4, v12
	v_fma_f32 v156, v3, v11, -v1
	s_clause 0x1
	scratch_load_b128 v[1:4], off, off offset:232
	scratch_load_b128 v[9:12], off, off offset:248
	s_wait_loadcnt_dscnt 0x100
	v_mul_f32_e32 v157, v5, v2
	v_dual_mul_f32 v2, v6, v2 :: v_dual_mul_f32 v159, v7, v4
	s_delay_alu instid0(VALU_DEP_2) | instskip(NEXT) | instid1(VALU_DEP_2)
	v_fmac_f32_e32 v157, v6, v1
	v_fma_f32 v158, v5, v1, -v2
	v_mul_f32_e32 v1, v8, v4
	s_delay_alu instid0(VALU_DEP_4) | instskip(NEXT) | instid1(VALU_DEP_2)
	v_fmac_f32_e32 v159, v8, v3
	v_fma_f32 v160, v7, v3, -v1
	ds_load_2addr_b64 v[1:4], v21 offset0:83 offset1:84
	ds_load_2addr_b64 v[5:8], v21 offset0:85 offset1:86
	s_wait_loadcnt_dscnt 0x1
	v_mul_f32_e32 v161, v1, v10
	v_mul_f32_e32 v163, v3, v12
	s_delay_alu instid0(VALU_DEP_2) | instskip(NEXT) | instid1(VALU_DEP_2)
	v_fmac_f32_e32 v161, v2, v9
	v_dual_mul_f32 v2, v2, v10 :: v_dual_fmac_f32 v163, v4, v11
	s_delay_alu instid0(VALU_DEP_1) | instskip(SKIP_1) | instid1(VALU_DEP_1)
	v_fma_f32 v162, v1, v9, -v2
	v_mul_f32_e32 v1, v4, v12
	;; [unrolled: 25-line block ×4, first 2 shown]
	v_fma_f32 v180, v3, v11, -v1
	s_clause 0x1
	scratch_load_b128 v[1:4], off, off offset:328
	scratch_load_b128 v[9:12], off, off offset:344
	s_wait_loadcnt_dscnt 0x100
	v_mul_f32_e32 v181, v5, v2
	v_mul_f32_e32 v2, v6, v2
	s_delay_alu instid0(VALU_DEP_1) | instskip(SKIP_1) | instid1(VALU_DEP_1)
	v_fma_f32 v182, v5, v1, -v2
	v_add_f32_e32 v2, 0, v142
	v_add_f32_e32 v2, v2, v143
	s_delay_alu instid0(VALU_DEP_1) | instskip(NEXT) | instid1(VALU_DEP_1)
	v_add_f32_e32 v2, v2, v24
	v_add_f32_e32 v2, v2, v25
	s_delay_alu instid0(VALU_DEP_1) | instskip(NEXT) | instid1(VALU_DEP_1)
	;; [unrolled: 3-line block ×5, first 2 shown]
	v_add_f32_e32 v2, v2, v19
	v_add_f32_e32 v2, v2, v20
	s_delay_alu instid0(VALU_DEP_1) | instskip(SKIP_1) | instid1(VALU_DEP_2)
	v_dual_add_f32 v2, v2, v145 :: v_dual_mul_f32 v183, v7, v4
	v_fmac_f32_e32 v181, v6, v1
	v_dual_add_f32 v2, v2, v146 :: v_dual_fmac_f32 v183, v8, v3
	s_delay_alu instid0(VALU_DEP_1) | instskip(NEXT) | instid1(VALU_DEP_1)
	v_dual_add_f32 v2, v2, v149 :: v_dual_mul_f32 v1, v8, v4
	v_add_f32_e32 v2, v2, v151
	s_delay_alu instid0(VALU_DEP_2) | instskip(SKIP_1) | instid1(VALU_DEP_1)
	v_fma_f32 v184, v7, v3, -v1
	v_add_f32_e32 v1, 0, v22
	v_add_f32_e32 v1, v1, v23
	s_delay_alu instid0(VALU_DEP_1) | instskip(NEXT) | instid1(VALU_DEP_1)
	v_add_f32_e32 v1, v1, v132
	v_add_f32_e32 v1, v1, v133
	scratch_load_b64 v[132:133], off, off offset:408
	v_add_f32_e32 v1, v1, v134
	s_delay_alu instid0(VALU_DEP_1) | instskip(NEXT) | instid1(VALU_DEP_1)
	v_add_f32_e32 v1, v1, v135
	v_add_f32_e32 v1, v1, v13
	s_delay_alu instid0(VALU_DEP_1) | instskip(NEXT) | instid1(VALU_DEP_1)
	v_add_f32_e32 v1, v1, v14
	;; [unrolled: 3-line block ×9, first 2 shown]
	v_add_f32_e32 v13, v13, v166
	v_add_f32_e32 v5, v2, v153
	ds_load_2addr_b64 v[1:4], v21 offset0:95 offset1:96
	v_add_f32_e32 v18, v13, v168
	s_delay_alu instid0(VALU_DEP_1) | instskip(NEXT) | instid1(VALU_DEP_1)
	v_dual_add_f32 v5, v5, v155 :: v_dual_add_f32 v18, v18, v170
	v_dual_add_f32 v5, v5, v157 :: v_dual_add_f32 v18, v18, v172
	s_delay_alu instid0(VALU_DEP_1)
	v_add_f32_e32 v14, v5, v159
	ds_load_2addr_b64 v[5:8], v21 offset0:97 offset1:98
	v_add_f32_e32 v18, v18, v174
	v_add_f32_e32 v14, v14, v161
	s_wait_loadcnt_dscnt 0x101
	v_mul_f32_e32 v26, v1, v10
	v_mul_f32_e32 v10, v2, v10
	;; [unrolled: 1-line block ×4, first 2 shown]
	v_add_f32_e32 v14, v14, v163
	v_fmac_f32_e32 v26, v2, v9
	v_fma_f32 v137, v1, v9, -v10
	v_fmac_f32_e32 v136, v4, v11
	v_fma_f32 v138, v3, v11, -v12
	s_clause 0x1
	scratch_load_b128 v[1:4], off, off offset:360
	scratch_load_b128 v[9:12], off, off offset:376
	v_add_f32_e32 v18, v18, v176
	s_delay_alu instid0(VALU_DEP_1)
	v_add_f32_e32 v134, v18, v178
	s_wait_loadcnt_dscnt 0x100
	v_dual_mul_f32 v144, v7, v4 :: v_dual_add_f32 v17, v14, v165
	scratch_load_b128 v[13:16], off, off offset:392
	v_mul_f32_e32 v143, v5, v2
	v_dual_add_f32 v139, v134, v180 :: v_dual_fmac_f32 v144, v8, v3
	v_dual_add_f32 v17, v17, v167 :: v_dual_mul_f32 v2, v6, v2
	s_delay_alu instid0(VALU_DEP_3) | instskip(NEXT) | instid1(VALU_DEP_3)
	v_fmac_f32_e32 v143, v6, v1
	v_dual_add_f32 v139, v139, v182 :: v_dual_mul_f32 v4, v8, v4
	s_delay_alu instid0(VALU_DEP_3) | instskip(NEXT) | instid1(VALU_DEP_4)
	v_add_f32_e32 v17, v17, v169
	v_fma_f32 v2, v5, v1, -v2
	s_delay_alu instid0(VALU_DEP_3) | instskip(NEXT) | instid1(VALU_DEP_4)
	v_add_f32_e32 v139, v139, v184
	v_fma_f32 v1, v7, v3, -v4
	s_delay_alu instid0(VALU_DEP_4) | instskip(NEXT) | instid1(VALU_DEP_3)
	v_add_f32_e32 v17, v17, v171
	v_add_f32_e32 v137, v139, v137
	s_delay_alu instid0(VALU_DEP_2) | instskip(NEXT) | instid1(VALU_DEP_2)
	v_add_f32_e32 v17, v17, v173
	v_add_f32_e32 v137, v137, v138
	s_delay_alu instid0(VALU_DEP_2)
	v_add_f32_e32 v22, v17, v175
	ds_load_2addr_b64 v[17:20], v21 offset0:99 offset1:100
	v_dual_add_f32 v2, v137, v2 :: v_dual_add_f32 v135, v22, v177
	ds_load_2addr_b64 v[22:25], v21 offset0:101 offset1:102
	v_dual_add_f32 v1, v2, v1 :: v_dual_add_f32 v142, v135, v179
	ds_load_b64 v[134:135], v21 offset:824
	v_add_f32_e32 v142, v142, v181
	s_delay_alu instid0(VALU_DEP_1) | instskip(SKIP_2) | instid1(VALU_DEP_2)
	v_add_f32_e32 v142, v142, v183
	s_wait_loadcnt_dscnt 0x102
	v_mul_f32_e32 v3, v18, v10
	v_dual_mul_f32 v5, v20, v12 :: v_dual_add_f32 v26, v142, v26
	v_mul_f32_e32 v142, v19, v12
	s_delay_alu instid0(VALU_DEP_3) | instskip(NEXT) | instid1(VALU_DEP_3)
	v_fma_f32 v3, v17, v9, -v3
	v_fma_f32 v5, v19, v11, -v5
	s_delay_alu instid0(VALU_DEP_4) | instskip(NEXT) | instid1(VALU_DEP_4)
	v_add_f32_e32 v26, v26, v136
	v_fmac_f32_e32 v142, v20, v11
	s_wait_dscnt 0x0
	v_dual_add_f32 v1, v1, v3 :: v_dual_mul_f32 v136, v134, v133
	s_delay_alu instid0(VALU_DEP_3) | instskip(NEXT) | instid1(VALU_DEP_2)
	v_dual_mul_f32 v139, v17, v10 :: v_dual_add_f32 v4, v26, v143
	v_add_f32_e32 v1, v1, v5
	v_mul_f32_e32 v5, v135, v133
	s_delay_alu instid0(VALU_DEP_3) | instskip(NEXT) | instid1(VALU_DEP_4)
	v_dual_fmac_f32 v136, v135, v132 :: v_dual_fmac_f32 v139, v18, v9
	v_add_f32_e32 v2, v4, v144
	s_delay_alu instid0(VALU_DEP_1) | instskip(NEXT) | instid1(VALU_DEP_1)
	v_add_f32_e32 v2, v2, v139
	v_add_f32_e32 v2, v2, v142
	s_wait_loadcnt 0x0
	v_mul_f32_e32 v145, v22, v14
	v_mul_f32_e32 v4, v23, v14
	v_mul_f32_e32 v138, v24, v16
	v_mul_f32_e32 v3, v25, v16
	s_delay_alu instid0(VALU_DEP_4) | instskip(NEXT) | instid1(VALU_DEP_4)
	v_fmac_f32_e32 v145, v23, v13
	v_fma_f32 v4, v22, v13, -v4
	s_delay_alu instid0(VALU_DEP_4) | instskip(NEXT) | instid1(VALU_DEP_4)
	v_fmac_f32_e32 v138, v25, v15
	v_fma_f32 v3, v24, v15, -v3
	s_delay_alu instid0(VALU_DEP_3) | instskip(SKIP_1) | instid1(VALU_DEP_2)
	v_dual_add_f32 v2, v2, v145 :: v_dual_add_f32 v1, v1, v4
	v_fma_f32 v4, v134, v132, -v5
	v_dual_add_f32 v2, v2, v138 :: v_dual_add_f32 v1, v1, v3
	s_delay_alu instid0(VALU_DEP_1) | instskip(NEXT) | instid1(VALU_DEP_2)
	v_add_f32_e32 v2, v2, v136
	v_add_f32_e32 v1, v1, v4
	s_delay_alu instid0(VALU_DEP_1)
	v_dual_sub_f32 v2, v141, v2 :: v_dual_sub_f32 v1, v140, v1
	scratch_store_b64 off, v[1:2], off offset:80
	v_cmpx_lt_u32_e32 9, v0
	s_cbranch_execz .LBB115_307
; %bb.306:
	scratch_load_b64 v[1:2], off, off offset:72
	v_mov_b32_e32 v22, v21
	scratch_store_b64 off, v[21:22], off offset:72
	s_wait_loadcnt 0x0
	ds_store_b64 v27, v[1:2]
.LBB115_307:
	s_wait_alu 0xfffe
	s_or_b32 exec_lo, exec_lo, s0
	s_wait_storecnt_dscnt 0x0
	s_barrier_signal -1
	s_barrier_wait -1
	global_inv scope:SCOPE_SE
	s_clause 0x4
	scratch_load_b128 v[5:8], off, off offset:80
	scratch_load_b128 v[1:4], off, off offset:96
	;; [unrolled: 1-line block ×5, first 2 shown]
	ds_load_b128 v[22:25], v21 offset:496
	ds_load_b128 v[132:135], v21 offset:512
	ds_load_b128 v[136:139], v21 offset:528
	scratch_load_b64 v[140:141], off, off offset:72
	s_mov_b32 s0, exec_lo
	s_wait_loadcnt_dscnt 0x502
	v_dual_mul_f32 v26, v23, v6 :: v_dual_mul_f32 v143, v24, v8
	v_mul_f32_e32 v142, v22, v6
	v_mul_f32_e32 v6, v25, v8
	s_wait_loadcnt_dscnt 0x300
	v_mul_f32_e32 v144, v138, v12
	v_fma_f32 v22, v22, v5, -v26
	v_dual_fmac_f32 v143, v25, v7 :: v_dual_fmac_f32 v142, v23, v5
	v_mul_f32_e32 v25, v134, v4
	v_mul_f32_e32 v4, v135, v4
	;; [unrolled: 1-line block ×5, first 2 shown]
	v_fmac_f32_e32 v25, v135, v3
	v_fma_f32 v23, v24, v7, -v6
	ds_load_b128 v[5:8], v21 offset:544
	v_mul_f32_e32 v24, v132, v2
	v_mul_f32_e32 v2, v133, v2
	v_fmac_f32_e32 v26, v137, v9
	v_fmac_f32_e32 v144, v139, v11
	v_fma_f32 v135, v138, v11, -v12
	v_fmac_f32_e32 v24, v133, v1
	v_fma_f32 v133, v134, v3, -v4
	v_fma_f32 v134, v136, v9, -v10
	ds_load_b128 v[9:12], v21 offset:560
	s_wait_loadcnt_dscnt 0x201
	v_dual_mul_f32 v137, v7, v16 :: v_dual_mul_f32 v136, v5, v14
	v_mul_f32_e32 v14, v6, v14
	v_mul_f32_e32 v16, v8, v16
	s_delay_alu instid0(VALU_DEP_3)
	v_fmac_f32_e32 v137, v8, v15
	v_fma_f32 v132, v132, v1, -v2
	scratch_load_b128 v[1:4], off, off offset:160
	v_fmac_f32_e32 v136, v6, v13
	v_fma_f32 v13, v5, v13, -v14
	v_fma_f32 v14, v7, v15, -v16
	s_wait_loadcnt_dscnt 0x200
	v_mul_f32_e32 v15, v9, v18
	v_mul_f32_e32 v16, v10, v18
	;; [unrolled: 1-line block ×4, first 2 shown]
	ds_load_b128 v[5:8], v21 offset:576
	v_fmac_f32_e32 v15, v10, v17
	v_fma_f32 v16, v9, v17, -v16
	v_fmac_f32_e32 v18, v12, v19
	v_fma_f32 v17, v11, v19, -v20
	scratch_load_b128 v[9:12], off, off offset:176
	s_wait_loadcnt_dscnt 0x100
	v_mul_f32_e32 v19, v5, v2
	v_mul_f32_e32 v2, v6, v2
	;; [unrolled: 1-line block ×3, first 2 shown]
	s_delay_alu instid0(VALU_DEP_3) | instskip(NEXT) | instid1(VALU_DEP_3)
	v_dual_mul_f32 v4, v8, v4 :: v_dual_fmac_f32 v19, v6, v1
	v_fma_f32 v138, v5, v1, -v2
	s_delay_alu instid0(VALU_DEP_3) | instskip(NEXT) | instid1(VALU_DEP_3)
	v_fmac_f32_e32 v20, v8, v3
	v_fma_f32 v139, v7, v3, -v4
	ds_load_b128 v[1:4], v21 offset:592
	ds_load_b128 v[5:8], v21 offset:608
	s_wait_loadcnt_dscnt 0x1
	v_mul_f32_e32 v145, v1, v10
	v_mul_f32_e32 v10, v2, v10
	s_delay_alu instid0(VALU_DEP_2) | instskip(NEXT) | instid1(VALU_DEP_2)
	v_dual_mul_f32 v146, v3, v12 :: v_dual_fmac_f32 v145, v2, v9
	v_fma_f32 v147, v1, v9, -v10
	v_mul_f32_e32 v1, v4, v12
	s_delay_alu instid0(VALU_DEP_3) | instskip(NEXT) | instid1(VALU_DEP_2)
	v_fmac_f32_e32 v146, v4, v11
	v_fma_f32 v148, v3, v11, -v1
	s_clause 0x1
	scratch_load_b128 v[1:4], off, off offset:192
	scratch_load_b128 v[9:12], off, off offset:208
	s_wait_loadcnt_dscnt 0x100
	v_mul_f32_e32 v149, v5, v2
	v_dual_mul_f32 v2, v6, v2 :: v_dual_mul_f32 v151, v7, v4
	s_delay_alu instid0(VALU_DEP_2) | instskip(NEXT) | instid1(VALU_DEP_2)
	v_fmac_f32_e32 v149, v6, v1
	v_fma_f32 v150, v5, v1, -v2
	v_mul_f32_e32 v1, v8, v4
	s_delay_alu instid0(VALU_DEP_4) | instskip(NEXT) | instid1(VALU_DEP_2)
	v_fmac_f32_e32 v151, v8, v3
	v_fma_f32 v152, v7, v3, -v1
	ds_load_b128 v[1:4], v21 offset:624
	ds_load_b128 v[5:8], v21 offset:640
	s_wait_loadcnt_dscnt 0x1
	v_mul_f32_e32 v153, v1, v10
	v_mul_f32_e32 v155, v3, v12
	s_delay_alu instid0(VALU_DEP_2) | instskip(NEXT) | instid1(VALU_DEP_2)
	v_fmac_f32_e32 v153, v2, v9
	v_dual_mul_f32 v2, v2, v10 :: v_dual_fmac_f32 v155, v4, v11
	s_delay_alu instid0(VALU_DEP_1) | instskip(SKIP_1) | instid1(VALU_DEP_1)
	v_fma_f32 v154, v1, v9, -v2
	v_mul_f32_e32 v1, v4, v12
	v_fma_f32 v156, v3, v11, -v1
	s_clause 0x1
	scratch_load_b128 v[1:4], off, off offset:224
	scratch_load_b128 v[9:12], off, off offset:240
	s_wait_loadcnt_dscnt 0x100
	v_mul_f32_e32 v157, v5, v2
	v_dual_mul_f32 v2, v6, v2 :: v_dual_mul_f32 v159, v7, v4
	s_delay_alu instid0(VALU_DEP_2) | instskip(NEXT) | instid1(VALU_DEP_2)
	v_fmac_f32_e32 v157, v6, v1
	v_fma_f32 v158, v5, v1, -v2
	v_mul_f32_e32 v1, v8, v4
	s_delay_alu instid0(VALU_DEP_4) | instskip(NEXT) | instid1(VALU_DEP_2)
	v_fmac_f32_e32 v159, v8, v3
	v_fma_f32 v160, v7, v3, -v1
	ds_load_b128 v[1:4], v21 offset:656
	ds_load_b128 v[5:8], v21 offset:672
	s_wait_loadcnt_dscnt 0x1
	v_mul_f32_e32 v161, v1, v10
	v_mul_f32_e32 v163, v3, v12
	s_delay_alu instid0(VALU_DEP_2) | instskip(NEXT) | instid1(VALU_DEP_2)
	v_fmac_f32_e32 v161, v2, v9
	v_dual_mul_f32 v2, v2, v10 :: v_dual_fmac_f32 v163, v4, v11
	s_delay_alu instid0(VALU_DEP_1) | instskip(SKIP_1) | instid1(VALU_DEP_1)
	v_fma_f32 v162, v1, v9, -v2
	v_mul_f32_e32 v1, v4, v12
	;; [unrolled: 25-line block ×4, first 2 shown]
	v_fma_f32 v180, v3, v11, -v1
	s_clause 0x1
	scratch_load_b128 v[1:4], off, off offset:320
	scratch_load_b128 v[9:12], off, off offset:336
	s_wait_loadcnt_dscnt 0x100
	v_mul_f32_e32 v181, v5, v2
	v_mul_f32_e32 v2, v6, v2
	s_delay_alu instid0(VALU_DEP_1) | instskip(SKIP_1) | instid1(VALU_DEP_1)
	v_fma_f32 v182, v5, v1, -v2
	v_add_f32_e32 v2, 0, v142
	v_add_f32_e32 v2, v2, v143
	s_delay_alu instid0(VALU_DEP_1) | instskip(NEXT) | instid1(VALU_DEP_1)
	v_add_f32_e32 v2, v2, v24
	v_add_f32_e32 v2, v2, v25
	s_delay_alu instid0(VALU_DEP_1) | instskip(NEXT) | instid1(VALU_DEP_1)
	;; [unrolled: 3-line block ×5, first 2 shown]
	v_add_f32_e32 v2, v2, v19
	v_add_f32_e32 v2, v2, v20
	s_delay_alu instid0(VALU_DEP_1) | instskip(SKIP_1) | instid1(VALU_DEP_2)
	v_dual_add_f32 v2, v2, v145 :: v_dual_mul_f32 v183, v7, v4
	v_fmac_f32_e32 v181, v6, v1
	v_dual_add_f32 v2, v2, v146 :: v_dual_fmac_f32 v183, v8, v3
	s_delay_alu instid0(VALU_DEP_1) | instskip(NEXT) | instid1(VALU_DEP_1)
	v_dual_add_f32 v2, v2, v149 :: v_dual_mul_f32 v1, v8, v4
	v_add_f32_e32 v2, v2, v151
	s_delay_alu instid0(VALU_DEP_2) | instskip(NEXT) | instid1(VALU_DEP_2)
	v_fma_f32 v184, v7, v3, -v1
	v_dual_add_f32 v1, 0, v22 :: v_dual_add_f32 v2, v2, v153
	s_delay_alu instid0(VALU_DEP_1) | instskip(NEXT) | instid1(VALU_DEP_2)
	v_add_f32_e32 v1, v1, v23
	v_add_f32_e32 v5, v2, v155
	s_delay_alu instid0(VALU_DEP_2) | instskip(NEXT) | instid1(VALU_DEP_1)
	v_add_f32_e32 v1, v1, v132
	v_add_f32_e32 v1, v1, v133
	s_delay_alu instid0(VALU_DEP_1) | instskip(NEXT) | instid1(VALU_DEP_1)
	v_add_f32_e32 v1, v1, v134
	v_add_f32_e32 v1, v1, v135
	s_delay_alu instid0(VALU_DEP_1) | instskip(SKIP_1) | instid1(VALU_DEP_1)
	v_add_f32_e32 v1, v1, v13
	v_add_f32_e32 v13, v5, v157
	;; [unrolled: 1-line block ×3, first 2 shown]
	s_delay_alu instid0(VALU_DEP_1) | instskip(NEXT) | instid1(VALU_DEP_1)
	v_add_f32_e32 v13, v13, v161
	v_add_f32_e32 v18, v13, v163
	s_delay_alu instid0(VALU_DEP_1) | instskip(NEXT) | instid1(VALU_DEP_1)
	v_dual_add_f32 v18, v18, v165 :: v_dual_add_f32 v1, v1, v14
	v_dual_add_f32 v18, v18, v167 :: v_dual_add_f32 v1, v1, v16
	s_delay_alu instid0(VALU_DEP_1) | instskip(NEXT) | instid1(VALU_DEP_1)
	v_add_f32_e32 v1, v1, v17
	v_add_f32_e32 v1, v1, v138
	s_delay_alu instid0(VALU_DEP_1) | instskip(NEXT) | instid1(VALU_DEP_1)
	v_add_f32_e32 v1, v1, v139
	v_add_f32_e32 v1, v1, v147
	;; [unrolled: 3-line block ×5, first 2 shown]
	ds_load_b128 v[1:4], v21 offset:752
	v_add_f32_e32 v22, v18, v169
	v_add_f32_e32 v14, v6, v160
	scratch_load_b128 v[5:8], off, off offset:352
	v_add_f32_e32 v22, v22, v171
	v_add_f32_e32 v14, v14, v162
	s_delay_alu instid0(VALU_DEP_2) | instskip(NEXT) | instid1(VALU_DEP_2)
	v_add_f32_e32 v22, v22, v173
	v_add_f32_e32 v17, v14, v164
	ds_load_b128 v[13:16], v21 offset:768
	s_wait_loadcnt_dscnt 0x101
	v_mul_f32_e32 v25, v1, v10
	v_mul_f32_e32 v10, v2, v10
	;; [unrolled: 1-line block ×3, first 2 shown]
	s_delay_alu instid0(VALU_DEP_3) | instskip(NEXT) | instid1(VALU_DEP_3)
	v_dual_mul_f32 v12, v4, v12 :: v_dual_fmac_f32 v25, v2, v9
	v_fma_f32 v132, v1, v9, -v10
	s_delay_alu instid0(VALU_DEP_3) | instskip(NEXT) | instid1(VALU_DEP_3)
	v_fmac_f32_e32 v26, v4, v11
	v_fma_f32 v133, v3, v11, -v12
	s_clause 0x1
	scratch_load_b128 v[1:4], off, off offset:368
	scratch_load_b128 v[9:12], off, off offset:384
	s_wait_loadcnt_dscnt 0x200
	v_mul_f32_e32 v134, v13, v6
	v_dual_mul_f32 v6, v14, v6 :: v_dual_mul_f32 v135, v15, v8
	v_mul_f32_e32 v8, v16, v8
	s_delay_alu instid0(VALU_DEP_3) | instskip(NEXT) | instid1(VALU_DEP_3)
	v_fmac_f32_e32 v134, v14, v5
	v_fma_f32 v136, v13, v5, -v6
	s_delay_alu instid0(VALU_DEP_4) | instskip(NEXT) | instid1(VALU_DEP_4)
	v_fmac_f32_e32 v135, v16, v7
	v_fma_f32 v137, v15, v7, -v8
	ds_load_b128 v[5:8], v21 offset:784
	v_add_f32_e32 v17, v17, v166
	v_add_f32_e32 v13, v22, v175
	s_delay_alu instid0(VALU_DEP_2) | instskip(NEXT) | instid1(VALU_DEP_1)
	v_add_f32_e32 v17, v17, v168
	v_add_f32_e32 v17, v17, v170
	s_delay_alu instid0(VALU_DEP_1) | instskip(SKIP_2) | instid1(VALU_DEP_1)
	v_add_f32_e32 v23, v17, v172
	scratch_load_b128 v[17:20], off, off offset:400
	v_add_f32_e32 v23, v23, v174
	v_add_f32_e32 v23, v23, v176
	s_delay_alu instid0(VALU_DEP_1)
	v_dual_add_f32 v22, v23, v178 :: v_dual_add_f32 v23, v13, v177
	ds_load_b128 v[13:16], v21 offset:800
	s_wait_loadcnt_dscnt 0x201
	v_mul_f32_e32 v142, v5, v2
	v_mul_f32_e32 v2, v6, v2
	v_dual_add_f32 v138, v22, v180 :: v_dual_add_f32 v139, v23, v179
	ds_load_b128 v[21:24], v21 offset:816
	v_fmac_f32_e32 v142, v6, v1
	v_fma_f32 v2, v5, v1, -v2
	v_add_f32_e32 v138, v138, v182
	s_delay_alu instid0(VALU_DEP_1) | instskip(NEXT) | instid1(VALU_DEP_1)
	v_add_f32_e32 v138, v138, v184
	v_add_f32_e32 v132, v138, v132
	v_mul_f32_e32 v138, v7, v4
	s_wait_loadcnt_dscnt 0x101
	v_mul_f32_e32 v143, v15, v12
	v_mul_f32_e32 v4, v8, v4
	;; [unrolled: 1-line block ×3, first 2 shown]
	v_add_f32_e32 v132, v132, v133
	v_fmac_f32_e32 v138, v8, v3
	v_fmac_f32_e32 v143, v16, v11
	v_add_f32_e32 v139, v139, v181
	v_fma_f32 v3, v7, v3, -v4
	v_add_f32_e32 v132, v132, v136
	v_mul_f32_e32 v4, v16, v12
	s_delay_alu instid0(VALU_DEP_2) | instskip(NEXT) | instid1(VALU_DEP_2)
	v_add_f32_e32 v1, v132, v137
	v_fma_f32 v4, v15, v11, -v4
	s_delay_alu instid0(VALU_DEP_2) | instskip(NEXT) | instid1(VALU_DEP_1)
	v_add_f32_e32 v1, v1, v2
	v_add_f32_e32 v1, v1, v3
	s_wait_loadcnt_dscnt 0x0
	v_mul_f32_e32 v133, v23, v20
	v_mul_f32_e32 v3, v22, v18
	s_delay_alu instid0(VALU_DEP_2) | instskip(SKIP_1) | instid1(VALU_DEP_3)
	v_fmac_f32_e32 v133, v24, v19
	v_add_f32_e32 v139, v139, v183
	v_fma_f32 v3, v21, v17, -v3
	s_delay_alu instid0(VALU_DEP_2) | instskip(SKIP_1) | instid1(VALU_DEP_2)
	v_add_f32_e32 v25, v139, v25
	v_mul_f32_e32 v139, v13, v10
	v_add_f32_e32 v25, v25, v26
	s_delay_alu instid0(VALU_DEP_2) | instskip(NEXT) | instid1(VALU_DEP_1)
	v_dual_mul_f32 v26, v21, v18 :: v_dual_fmac_f32 v139, v14, v9
	v_dual_add_f32 v25, v25, v134 :: v_dual_fmac_f32 v26, v22, v17
	s_delay_alu instid0(VALU_DEP_1) | instskip(NEXT) | instid1(VALU_DEP_1)
	v_add_f32_e32 v5, v25, v135
	v_add_f32_e32 v2, v5, v142
	v_fma_f32 v5, v13, v9, -v6
	s_delay_alu instid0(VALU_DEP_1) | instskip(NEXT) | instid1(VALU_DEP_1)
	v_dual_add_f32 v2, v2, v138 :: v_dual_add_f32 v1, v1, v5
	v_dual_mul_f32 v5, v24, v20 :: v_dual_add_f32 v2, v2, v139
	s_delay_alu instid0(VALU_DEP_2) | instskip(NEXT) | instid1(VALU_DEP_2)
	v_add_f32_e32 v1, v1, v4
	v_fma_f32 v4, v23, v19, -v5
	s_delay_alu instid0(VALU_DEP_3) | instskip(NEXT) | instid1(VALU_DEP_1)
	v_add_f32_e32 v2, v2, v143
	v_dual_add_f32 v1, v1, v3 :: v_dual_add_f32 v2, v2, v26
	s_delay_alu instid0(VALU_DEP_1) | instskip(NEXT) | instid1(VALU_DEP_1)
	v_dual_add_f32 v1, v1, v4 :: v_dual_add_f32 v2, v2, v133
	v_dual_sub_f32 v1, v140, v1 :: v_dual_sub_f32 v2, v141, v2
	scratch_store_b64 off, v[1:2], off offset:72
	v_cmpx_lt_u32_e32 8, v0
	s_cbranch_execz .LBB115_309
; %bb.308:
	scratch_load_b64 v[1:2], off, off offset:64
	v_mov_b32_e32 v3, 0
	s_delay_alu instid0(VALU_DEP_1)
	v_mov_b32_e32 v4, v3
	scratch_store_b64 off, v[3:4], off offset:64
	s_wait_loadcnt 0x0
	ds_store_b64 v27, v[1:2]
.LBB115_309:
	s_wait_alu 0xfffe
	s_or_b32 exec_lo, exec_lo, s0
	s_wait_storecnt_dscnt 0x0
	s_barrier_signal -1
	s_barrier_wait -1
	global_inv scope:SCOPE_SE
	s_clause 0x4
	scratch_load_b128 v[5:8], off, off offset:72
	scratch_load_b128 v[1:4], off, off offset:88
	;; [unrolled: 1-line block ×5, first 2 shown]
	v_mov_b32_e32 v21, 0
	ds_load_2addr_b64 v[22:25], v21 offset0:61 offset1:62
	ds_load_2addr_b64 v[132:135], v21 offset0:63 offset1:64
	ds_load_2addr_b64 v[136:139], v21 offset0:65 offset1:66
	scratch_load_b64 v[140:141], off, off offset:64
	s_mov_b32 s0, exec_lo
	s_wait_loadcnt_dscnt 0x502
	v_dual_mul_f32 v142, v22, v6 :: v_dual_mul_f32 v143, v24, v8
	v_mul_f32_e32 v26, v23, v6
	v_mul_f32_e32 v6, v25, v8
	s_wait_loadcnt_dscnt 0x300
	v_mul_f32_e32 v144, v138, v12
	v_dual_fmac_f32 v142, v23, v5 :: v_dual_fmac_f32 v143, v25, v7
	v_mul_f32_e32 v25, v134, v4
	v_fma_f32 v22, v22, v5, -v26
	v_mul_f32_e32 v26, v136, v10
	v_mul_f32_e32 v4, v135, v4
	s_delay_alu instid0(VALU_DEP_4)
	v_dual_mul_f32 v10, v137, v10 :: v_dual_fmac_f32 v25, v135, v3
	v_fma_f32 v23, v24, v7, -v6
	ds_load_2addr_b64 v[5:8], v21 offset0:67 offset1:68
	v_mul_f32_e32 v24, v132, v2
	v_mul_f32_e32 v12, v139, v12
	;; [unrolled: 1-line block ×3, first 2 shown]
	v_fmac_f32_e32 v26, v137, v9
	v_fmac_f32_e32 v144, v139, v11
	;; [unrolled: 1-line block ×3, first 2 shown]
	v_fma_f32 v133, v134, v3, -v4
	v_fma_f32 v134, v136, v9, -v10
	;; [unrolled: 1-line block ×3, first 2 shown]
	ds_load_2addr_b64 v[9:12], v21 offset0:69 offset1:70
	s_wait_loadcnt_dscnt 0x201
	v_dual_mul_f32 v137, v7, v16 :: v_dual_mul_f32 v136, v5, v14
	v_mul_f32_e32 v14, v6, v14
	v_mul_f32_e32 v16, v8, v16
	s_delay_alu instid0(VALU_DEP_3)
	v_fmac_f32_e32 v137, v8, v15
	v_fma_f32 v132, v132, v1, -v2
	scratch_load_b128 v[1:4], off, off offset:152
	v_fmac_f32_e32 v136, v6, v13
	v_fma_f32 v13, v5, v13, -v14
	v_fma_f32 v14, v7, v15, -v16
	s_wait_loadcnt_dscnt 0x200
	v_mul_f32_e32 v15, v9, v18
	v_mul_f32_e32 v16, v10, v18
	;; [unrolled: 1-line block ×4, first 2 shown]
	ds_load_2addr_b64 v[5:8], v21 offset0:71 offset1:72
	v_fmac_f32_e32 v15, v10, v17
	v_fma_f32 v16, v9, v17, -v16
	v_fmac_f32_e32 v18, v12, v19
	v_fma_f32 v17, v11, v19, -v20
	scratch_load_b128 v[9:12], off, off offset:168
	s_wait_loadcnt_dscnt 0x100
	v_mul_f32_e32 v19, v5, v2
	v_mul_f32_e32 v2, v6, v2
	;; [unrolled: 1-line block ×3, first 2 shown]
	s_delay_alu instid0(VALU_DEP_3) | instskip(NEXT) | instid1(VALU_DEP_3)
	v_dual_mul_f32 v4, v8, v4 :: v_dual_fmac_f32 v19, v6, v1
	v_fma_f32 v138, v5, v1, -v2
	s_delay_alu instid0(VALU_DEP_3) | instskip(NEXT) | instid1(VALU_DEP_3)
	v_fmac_f32_e32 v20, v8, v3
	v_fma_f32 v139, v7, v3, -v4
	ds_load_2addr_b64 v[1:4], v21 offset0:73 offset1:74
	ds_load_2addr_b64 v[5:8], v21 offset0:75 offset1:76
	s_wait_loadcnt_dscnt 0x1
	v_mul_f32_e32 v145, v1, v10
	v_mul_f32_e32 v10, v2, v10
	s_delay_alu instid0(VALU_DEP_2) | instskip(NEXT) | instid1(VALU_DEP_2)
	v_dual_mul_f32 v146, v3, v12 :: v_dual_fmac_f32 v145, v2, v9
	v_fma_f32 v147, v1, v9, -v10
	v_mul_f32_e32 v1, v4, v12
	s_delay_alu instid0(VALU_DEP_3) | instskip(NEXT) | instid1(VALU_DEP_2)
	v_fmac_f32_e32 v146, v4, v11
	v_fma_f32 v148, v3, v11, -v1
	s_clause 0x1
	scratch_load_b128 v[1:4], off, off offset:184
	scratch_load_b128 v[9:12], off, off offset:200
	s_wait_loadcnt_dscnt 0x100
	v_mul_f32_e32 v149, v5, v2
	v_dual_mul_f32 v2, v6, v2 :: v_dual_mul_f32 v151, v7, v4
	s_delay_alu instid0(VALU_DEP_2) | instskip(NEXT) | instid1(VALU_DEP_2)
	v_fmac_f32_e32 v149, v6, v1
	v_fma_f32 v150, v5, v1, -v2
	v_mul_f32_e32 v1, v8, v4
	s_delay_alu instid0(VALU_DEP_4) | instskip(NEXT) | instid1(VALU_DEP_2)
	v_fmac_f32_e32 v151, v8, v3
	v_fma_f32 v152, v7, v3, -v1
	ds_load_2addr_b64 v[1:4], v21 offset0:77 offset1:78
	ds_load_2addr_b64 v[5:8], v21 offset0:79 offset1:80
	s_wait_loadcnt_dscnt 0x1
	v_mul_f32_e32 v153, v1, v10
	v_mul_f32_e32 v155, v3, v12
	s_delay_alu instid0(VALU_DEP_2) | instskip(NEXT) | instid1(VALU_DEP_2)
	v_fmac_f32_e32 v153, v2, v9
	v_dual_mul_f32 v2, v2, v10 :: v_dual_fmac_f32 v155, v4, v11
	s_delay_alu instid0(VALU_DEP_1) | instskip(SKIP_1) | instid1(VALU_DEP_1)
	v_fma_f32 v154, v1, v9, -v2
	v_mul_f32_e32 v1, v4, v12
	v_fma_f32 v156, v3, v11, -v1
	s_clause 0x1
	scratch_load_b128 v[1:4], off, off offset:216
	scratch_load_b128 v[9:12], off, off offset:232
	s_wait_loadcnt_dscnt 0x100
	v_mul_f32_e32 v157, v5, v2
	v_dual_mul_f32 v2, v6, v2 :: v_dual_mul_f32 v159, v7, v4
	s_delay_alu instid0(VALU_DEP_2) | instskip(NEXT) | instid1(VALU_DEP_2)
	v_fmac_f32_e32 v157, v6, v1
	v_fma_f32 v158, v5, v1, -v2
	v_mul_f32_e32 v1, v8, v4
	s_delay_alu instid0(VALU_DEP_4) | instskip(NEXT) | instid1(VALU_DEP_2)
	v_fmac_f32_e32 v159, v8, v3
	v_fma_f32 v160, v7, v3, -v1
	ds_load_2addr_b64 v[1:4], v21 offset0:81 offset1:82
	ds_load_2addr_b64 v[5:8], v21 offset0:83 offset1:84
	s_wait_loadcnt_dscnt 0x1
	v_mul_f32_e32 v161, v1, v10
	v_mul_f32_e32 v163, v3, v12
	s_delay_alu instid0(VALU_DEP_2) | instskip(NEXT) | instid1(VALU_DEP_2)
	v_fmac_f32_e32 v161, v2, v9
	v_dual_mul_f32 v2, v2, v10 :: v_dual_fmac_f32 v163, v4, v11
	s_delay_alu instid0(VALU_DEP_1) | instskip(SKIP_1) | instid1(VALU_DEP_1)
	v_fma_f32 v162, v1, v9, -v2
	v_mul_f32_e32 v1, v4, v12
	;; [unrolled: 25-line block ×4, first 2 shown]
	v_fma_f32 v180, v3, v11, -v1
	s_clause 0x1
	scratch_load_b128 v[1:4], off, off offset:312
	scratch_load_b128 v[9:12], off, off offset:328
	s_wait_loadcnt_dscnt 0x100
	v_mul_f32_e32 v181, v5, v2
	v_mul_f32_e32 v2, v6, v2
	s_delay_alu instid0(VALU_DEP_1) | instskip(SKIP_1) | instid1(VALU_DEP_1)
	v_fma_f32 v182, v5, v1, -v2
	v_add_f32_e32 v2, 0, v142
	v_add_f32_e32 v2, v2, v143
	s_delay_alu instid0(VALU_DEP_1) | instskip(NEXT) | instid1(VALU_DEP_1)
	v_add_f32_e32 v2, v2, v24
	v_add_f32_e32 v2, v2, v25
	s_delay_alu instid0(VALU_DEP_1) | instskip(NEXT) | instid1(VALU_DEP_1)
	;; [unrolled: 3-line block ×5, first 2 shown]
	v_add_f32_e32 v2, v2, v19
	v_add_f32_e32 v2, v2, v20
	s_delay_alu instid0(VALU_DEP_1) | instskip(SKIP_1) | instid1(VALU_DEP_2)
	v_dual_add_f32 v2, v2, v145 :: v_dual_mul_f32 v183, v7, v4
	v_fmac_f32_e32 v181, v6, v1
	v_dual_add_f32 v2, v2, v146 :: v_dual_fmac_f32 v183, v8, v3
	s_delay_alu instid0(VALU_DEP_1) | instskip(NEXT) | instid1(VALU_DEP_1)
	v_dual_add_f32 v2, v2, v149 :: v_dual_mul_f32 v1, v8, v4
	v_add_f32_e32 v2, v2, v151
	s_delay_alu instid0(VALU_DEP_2) | instskip(NEXT) | instid1(VALU_DEP_2)
	v_fma_f32 v184, v7, v3, -v1
	v_dual_add_f32 v1, 0, v22 :: v_dual_add_f32 v2, v2, v153
	s_delay_alu instid0(VALU_DEP_1) | instskip(NEXT) | instid1(VALU_DEP_2)
	v_add_f32_e32 v1, v1, v23
	v_add_f32_e32 v5, v2, v155
	s_delay_alu instid0(VALU_DEP_2) | instskip(NEXT) | instid1(VALU_DEP_1)
	v_add_f32_e32 v1, v1, v132
	v_add_f32_e32 v1, v1, v133
	scratch_load_b64 v[132:133], off, off offset:408
	v_add_f32_e32 v1, v1, v134
	s_delay_alu instid0(VALU_DEP_1) | instskip(NEXT) | instid1(VALU_DEP_1)
	v_add_f32_e32 v1, v1, v135
	v_add_f32_e32 v1, v1, v13
	v_add_f32_e32 v13, v5, v157
	s_delay_alu instid0(VALU_DEP_2) | instskip(NEXT) | instid1(VALU_DEP_2)
	v_add_f32_e32 v1, v1, v14
	v_add_f32_e32 v13, v13, v159
	s_delay_alu instid0(VALU_DEP_1) | instskip(NEXT) | instid1(VALU_DEP_1)
	v_add_f32_e32 v13, v13, v161
	v_add_f32_e32 v18, v13, v163
	s_delay_alu instid0(VALU_DEP_4) | instskip(NEXT) | instid1(VALU_DEP_1)
	v_add_f32_e32 v1, v1, v16
	v_add_f32_e32 v1, v1, v17
	s_delay_alu instid0(VALU_DEP_1) | instskip(NEXT) | instid1(VALU_DEP_1)
	v_add_f32_e32 v1, v1, v138
	v_add_f32_e32 v1, v1, v139
	s_delay_alu instid0(VALU_DEP_1) | instskip(NEXT) | instid1(VALU_DEP_1)
	;; [unrolled: 3-line block ×4, first 2 shown]
	v_add_f32_e32 v1, v1, v154
	v_add_f32_e32 v1, v1, v156
	s_delay_alu instid0(VALU_DEP_1)
	v_add_f32_e32 v6, v1, v158
	scratch_load_b128 v[1:4], off, off offset:344
	v_add_f32_e32 v18, v18, v165
	v_add_f32_e32 v14, v6, v160
	ds_load_2addr_b64 v[5:8], v21 offset0:93 offset1:94
	v_add_f32_e32 v18, v18, v167
	v_add_f32_e32 v14, v14, v162
	s_delay_alu instid0(VALU_DEP_2) | instskip(NEXT) | instid1(VALU_DEP_2)
	v_add_f32_e32 v22, v18, v169
	v_add_f32_e32 v17, v14, v164
	ds_load_2addr_b64 v[13:16], v21 offset0:95 offset1:96
	v_add_f32_e32 v22, v22, v171
	s_wait_loadcnt_dscnt 0x201
	v_mul_f32_e32 v26, v5, v10
	v_mul_f32_e32 v10, v6, v10
	;; [unrolled: 1-line block ×4, first 2 shown]
	v_add_f32_e32 v22, v22, v173
	v_fmac_f32_e32 v26, v6, v9
	v_fma_f32 v137, v5, v9, -v10
	v_fmac_f32_e32 v136, v8, v11
	v_fma_f32 v138, v7, v11, -v12
	scratch_load_b128 v[5:8], off, off offset:360
	v_add_f32_e32 v22, v22, v175
	scratch_load_b128 v[9:12], off, off offset:376
	s_wait_loadcnt_dscnt 0x200
	v_mul_f32_e32 v139, v13, v2
	v_mul_f32_e32 v2, v14, v2
	;; [unrolled: 1-line block ×3, first 2 shown]
	s_delay_alu instid0(VALU_DEP_3) | instskip(NEXT) | instid1(VALU_DEP_3)
	v_dual_mul_f32 v4, v16, v4 :: v_dual_fmac_f32 v139, v14, v1
	v_fma_f32 v143, v13, v1, -v2
	s_delay_alu instid0(VALU_DEP_3) | instskip(NEXT) | instid1(VALU_DEP_3)
	v_dual_add_f32 v13, v22, v177 :: v_dual_fmac_f32 v142, v16, v3
	v_fma_f32 v144, v15, v3, -v4
	ds_load_2addr_b64 v[1:4], v21 offset0:97 offset1:98
	v_add_f32_e32 v22, v13, v179
	s_delay_alu instid0(VALU_DEP_1) | instskip(NEXT) | instid1(VALU_DEP_1)
	v_add_f32_e32 v135, v22, v181
	v_add_f32_e32 v146, v135, v183
	s_delay_alu instid0(VALU_DEP_1) | instskip(NEXT) | instid1(VALU_DEP_1)
	v_add_f32_e32 v26, v146, v26
	v_dual_add_f32 v17, v17, v166 :: v_dual_add_f32 v26, v26, v136
	s_delay_alu instid0(VALU_DEP_1) | instskip(NEXT) | instid1(VALU_DEP_1)
	v_dual_add_f32 v17, v17, v168 :: v_dual_add_f32 v26, v26, v139
	v_add_f32_e32 v17, v17, v170
	s_delay_alu instid0(VALU_DEP_1) | instskip(SKIP_2) | instid1(VALU_DEP_1)
	v_dual_add_f32 v26, v26, v142 :: v_dual_add_f32 v23, v17, v172
	scratch_load_b128 v[17:20], off, off offset:392
	v_add_f32_e32 v23, v23, v174
	v_add_f32_e32 v23, v23, v176
	s_delay_alu instid0(VALU_DEP_1) | instskip(NEXT) | instid1(VALU_DEP_1)
	v_add_f32_e32 v23, v23, v178
	v_add_f32_e32 v14, v23, v180
	ds_load_2addr_b64 v[22:25], v21 offset0:101 offset1:102
	v_add_f32_e32 v134, v14, v182
	ds_load_2addr_b64 v[13:16], v21 offset0:99 offset1:100
	s_wait_loadcnt_dscnt 0x202
	v_mul_f32_e32 v136, v3, v8
	v_mul_f32_e32 v8, v4, v8
	v_add_f32_e32 v145, v134, v184
	ds_load_b64 v[134:135], v21 offset:824
	v_dual_fmac_f32 v136, v4, v7 :: v_dual_add_f32 v137, v145, v137
	s_delay_alu instid0(VALU_DEP_1) | instskip(SKIP_4) | instid1(VALU_DEP_3)
	v_add_f32_e32 v137, v137, v138
	s_wait_loadcnt_dscnt 0x101
	v_mul_f32_e32 v138, v13, v10
	v_mul_f32_e32 v145, v1, v6
	;; [unrolled: 1-line block ×3, first 2 shown]
	v_fmac_f32_e32 v138, v14, v9
	s_delay_alu instid0(VALU_DEP_3)
	v_fmac_f32_e32 v145, v2, v5
	s_wait_dscnt 0x0
	v_mul_f32_e32 v142, v134, v133
	v_fma_f32 v1, v1, v5, -v6
	v_fma_f32 v2, v3, v7, -v8
	v_mul_f32_e32 v3, v14, v10
	v_dual_add_f32 v4, v26, v145 :: v_dual_add_f32 v137, v137, v143
	v_fmac_f32_e32 v142, v135, v132
	s_delay_alu instid0(VALU_DEP_3) | instskip(SKIP_2) | instid1(VALU_DEP_1)
	v_fma_f32 v3, v13, v9, -v3
	s_wait_loadcnt 0x0
	v_mul_f32_e32 v143, v22, v18
	v_fmac_f32_e32 v143, v23, v17
	v_mul_f32_e32 v139, v15, v12
	s_delay_alu instid0(VALU_DEP_1) | instskip(SKIP_2) | instid1(VALU_DEP_1)
	v_fmac_f32_e32 v139, v16, v11
	v_add_f32_e32 v137, v137, v144
	v_mul_f32_e32 v144, v24, v20
	v_fmac_f32_e32 v144, v25, v19
	s_delay_alu instid0(VALU_DEP_3) | instskip(NEXT) | instid1(VALU_DEP_1)
	v_add_f32_e32 v1, v137, v1
	v_dual_add_f32 v1, v1, v2 :: v_dual_add_f32 v2, v4, v136
	s_delay_alu instid0(VALU_DEP_1) | instskip(NEXT) | instid1(VALU_DEP_2)
	v_dual_mul_f32 v4, v23, v18 :: v_dual_add_f32 v1, v1, v3
	v_dual_add_f32 v2, v2, v138 :: v_dual_mul_f32 v3, v25, v20
	s_delay_alu instid0(VALU_DEP_2) | instskip(NEXT) | instid1(VALU_DEP_2)
	v_fma_f32 v4, v22, v17, -v4
	v_add_f32_e32 v2, v2, v139
	s_delay_alu instid0(VALU_DEP_3) | instskip(NEXT) | instid1(VALU_DEP_2)
	v_fma_f32 v3, v24, v19, -v3
	v_add_f32_e32 v2, v2, v143
	s_delay_alu instid0(VALU_DEP_1) | instskip(NEXT) | instid1(VALU_DEP_1)
	v_add_f32_e32 v2, v2, v144
	v_dual_mul_f32 v5, v16, v12 :: v_dual_add_f32 v2, v2, v142
	s_delay_alu instid0(VALU_DEP_1) | instskip(NEXT) | instid1(VALU_DEP_2)
	v_fma_f32 v5, v15, v11, -v5
	v_sub_f32_e32 v2, v141, v2
	s_delay_alu instid0(VALU_DEP_2) | instskip(SKIP_1) | instid1(VALU_DEP_2)
	v_add_f32_e32 v1, v1, v5
	v_mul_f32_e32 v5, v135, v133
	v_add_f32_e32 v1, v1, v4
	s_delay_alu instid0(VALU_DEP_2) | instskip(NEXT) | instid1(VALU_DEP_2)
	v_fma_f32 v4, v134, v132, -v5
	v_add_f32_e32 v1, v1, v3
	s_delay_alu instid0(VALU_DEP_1) | instskip(NEXT) | instid1(VALU_DEP_1)
	v_add_f32_e32 v1, v1, v4
	v_sub_f32_e32 v1, v140, v1
	scratch_store_b64 off, v[1:2], off offset:64
	v_cmpx_lt_u32_e32 7, v0
	s_cbranch_execz .LBB115_311
; %bb.310:
	scratch_load_b64 v[1:2], off, off offset:56
	v_mov_b32_e32 v22, v21
	scratch_store_b64 off, v[21:22], off offset:56
	s_wait_loadcnt 0x0
	ds_store_b64 v27, v[1:2]
.LBB115_311:
	s_wait_alu 0xfffe
	s_or_b32 exec_lo, exec_lo, s0
	s_wait_storecnt_dscnt 0x0
	s_barrier_signal -1
	s_barrier_wait -1
	global_inv scope:SCOPE_SE
	s_clause 0x4
	scratch_load_b128 v[5:8], off, off offset:64
	scratch_load_b128 v[1:4], off, off offset:80
	;; [unrolled: 1-line block ×5, first 2 shown]
	ds_load_b128 v[22:25], v21 offset:480
	ds_load_b128 v[132:135], v21 offset:496
	;; [unrolled: 1-line block ×3, first 2 shown]
	scratch_load_b64 v[140:141], off, off offset:56
	s_mov_b32 s0, exec_lo
	s_wait_loadcnt_dscnt 0x502
	v_dual_mul_f32 v26, v23, v6 :: v_dual_mul_f32 v143, v24, v8
	v_mul_f32_e32 v142, v22, v6
	v_mul_f32_e32 v6, v25, v8
	s_wait_loadcnt_dscnt 0x300
	v_mul_f32_e32 v144, v138, v12
	v_fma_f32 v22, v22, v5, -v26
	v_dual_fmac_f32 v143, v25, v7 :: v_dual_fmac_f32 v142, v23, v5
	v_mul_f32_e32 v25, v134, v4
	v_mul_f32_e32 v4, v135, v4
	;; [unrolled: 1-line block ×5, first 2 shown]
	v_fmac_f32_e32 v25, v135, v3
	v_fma_f32 v23, v24, v7, -v6
	ds_load_b128 v[5:8], v21 offset:528
	v_mul_f32_e32 v24, v132, v2
	v_mul_f32_e32 v2, v133, v2
	v_fmac_f32_e32 v26, v137, v9
	v_fmac_f32_e32 v144, v139, v11
	v_fma_f32 v135, v138, v11, -v12
	v_fmac_f32_e32 v24, v133, v1
	v_fma_f32 v133, v134, v3, -v4
	v_fma_f32 v134, v136, v9, -v10
	ds_load_b128 v[9:12], v21 offset:544
	s_wait_loadcnt_dscnt 0x201
	v_dual_mul_f32 v137, v7, v16 :: v_dual_mul_f32 v136, v5, v14
	v_mul_f32_e32 v14, v6, v14
	v_mul_f32_e32 v16, v8, v16
	s_delay_alu instid0(VALU_DEP_3)
	v_fmac_f32_e32 v137, v8, v15
	v_fma_f32 v132, v132, v1, -v2
	scratch_load_b128 v[1:4], off, off offset:144
	v_fmac_f32_e32 v136, v6, v13
	v_fma_f32 v13, v5, v13, -v14
	v_fma_f32 v14, v7, v15, -v16
	s_wait_loadcnt_dscnt 0x200
	v_mul_f32_e32 v15, v9, v18
	v_mul_f32_e32 v16, v10, v18
	;; [unrolled: 1-line block ×4, first 2 shown]
	ds_load_b128 v[5:8], v21 offset:560
	v_fmac_f32_e32 v15, v10, v17
	v_fma_f32 v16, v9, v17, -v16
	v_fmac_f32_e32 v18, v12, v19
	v_fma_f32 v17, v11, v19, -v20
	scratch_load_b128 v[9:12], off, off offset:160
	s_wait_loadcnt_dscnt 0x100
	v_mul_f32_e32 v19, v5, v2
	v_mul_f32_e32 v2, v6, v2
	;; [unrolled: 1-line block ×3, first 2 shown]
	s_delay_alu instid0(VALU_DEP_3) | instskip(NEXT) | instid1(VALU_DEP_3)
	v_dual_mul_f32 v4, v8, v4 :: v_dual_fmac_f32 v19, v6, v1
	v_fma_f32 v138, v5, v1, -v2
	s_delay_alu instid0(VALU_DEP_3) | instskip(NEXT) | instid1(VALU_DEP_3)
	v_fmac_f32_e32 v20, v8, v3
	v_fma_f32 v139, v7, v3, -v4
	ds_load_b128 v[1:4], v21 offset:576
	ds_load_b128 v[5:8], v21 offset:592
	s_wait_loadcnt_dscnt 0x1
	v_mul_f32_e32 v145, v1, v10
	v_mul_f32_e32 v10, v2, v10
	s_delay_alu instid0(VALU_DEP_2) | instskip(NEXT) | instid1(VALU_DEP_2)
	v_dual_mul_f32 v146, v3, v12 :: v_dual_fmac_f32 v145, v2, v9
	v_fma_f32 v147, v1, v9, -v10
	v_mul_f32_e32 v1, v4, v12
	s_delay_alu instid0(VALU_DEP_3) | instskip(NEXT) | instid1(VALU_DEP_2)
	v_fmac_f32_e32 v146, v4, v11
	v_fma_f32 v148, v3, v11, -v1
	s_clause 0x1
	scratch_load_b128 v[1:4], off, off offset:176
	scratch_load_b128 v[9:12], off, off offset:192
	s_wait_loadcnt_dscnt 0x100
	v_mul_f32_e32 v149, v5, v2
	v_dual_mul_f32 v2, v6, v2 :: v_dual_mul_f32 v151, v7, v4
	s_delay_alu instid0(VALU_DEP_2) | instskip(NEXT) | instid1(VALU_DEP_2)
	v_fmac_f32_e32 v149, v6, v1
	v_fma_f32 v150, v5, v1, -v2
	v_mul_f32_e32 v1, v8, v4
	s_delay_alu instid0(VALU_DEP_4) | instskip(NEXT) | instid1(VALU_DEP_2)
	v_fmac_f32_e32 v151, v8, v3
	v_fma_f32 v152, v7, v3, -v1
	ds_load_b128 v[1:4], v21 offset:608
	ds_load_b128 v[5:8], v21 offset:624
	s_wait_loadcnt_dscnt 0x1
	v_mul_f32_e32 v153, v1, v10
	v_mul_f32_e32 v155, v3, v12
	s_delay_alu instid0(VALU_DEP_2) | instskip(NEXT) | instid1(VALU_DEP_2)
	v_fmac_f32_e32 v153, v2, v9
	v_dual_mul_f32 v2, v2, v10 :: v_dual_fmac_f32 v155, v4, v11
	s_delay_alu instid0(VALU_DEP_1) | instskip(SKIP_1) | instid1(VALU_DEP_1)
	v_fma_f32 v154, v1, v9, -v2
	v_mul_f32_e32 v1, v4, v12
	v_fma_f32 v156, v3, v11, -v1
	s_clause 0x1
	scratch_load_b128 v[1:4], off, off offset:208
	scratch_load_b128 v[9:12], off, off offset:224
	s_wait_loadcnt_dscnt 0x100
	v_mul_f32_e32 v157, v5, v2
	v_dual_mul_f32 v2, v6, v2 :: v_dual_mul_f32 v159, v7, v4
	s_delay_alu instid0(VALU_DEP_2) | instskip(NEXT) | instid1(VALU_DEP_2)
	v_fmac_f32_e32 v157, v6, v1
	v_fma_f32 v158, v5, v1, -v2
	v_mul_f32_e32 v1, v8, v4
	s_delay_alu instid0(VALU_DEP_4) | instskip(NEXT) | instid1(VALU_DEP_2)
	v_fmac_f32_e32 v159, v8, v3
	v_fma_f32 v160, v7, v3, -v1
	ds_load_b128 v[1:4], v21 offset:640
	ds_load_b128 v[5:8], v21 offset:656
	s_wait_loadcnt_dscnt 0x1
	v_mul_f32_e32 v161, v1, v10
	v_mul_f32_e32 v163, v3, v12
	s_delay_alu instid0(VALU_DEP_2) | instskip(NEXT) | instid1(VALU_DEP_2)
	v_fmac_f32_e32 v161, v2, v9
	v_dual_mul_f32 v2, v2, v10 :: v_dual_fmac_f32 v163, v4, v11
	s_delay_alu instid0(VALU_DEP_1) | instskip(SKIP_1) | instid1(VALU_DEP_1)
	v_fma_f32 v162, v1, v9, -v2
	v_mul_f32_e32 v1, v4, v12
	;; [unrolled: 25-line block ×5, first 2 shown]
	v_fma_f32 v188, v3, v11, -v1
	s_clause 0x1
	scratch_load_b128 v[1:4], off, off offset:336
	scratch_load_b128 v[9:12], off, off offset:352
	s_wait_loadcnt_dscnt 0x100
	v_mul_f32_e32 v189, v5, v2
	v_mul_f32_e32 v2, v6, v2
	s_delay_alu instid0(VALU_DEP_1) | instskip(SKIP_1) | instid1(VALU_DEP_1)
	v_fma_f32 v190, v5, v1, -v2
	v_add_f32_e32 v2, 0, v142
	v_add_f32_e32 v2, v2, v143
	s_delay_alu instid0(VALU_DEP_1) | instskip(NEXT) | instid1(VALU_DEP_1)
	v_add_f32_e32 v2, v2, v24
	v_add_f32_e32 v2, v2, v25
	s_delay_alu instid0(VALU_DEP_1) | instskip(NEXT) | instid1(VALU_DEP_1)
	;; [unrolled: 3-line block ×8, first 2 shown]
	v_add_f32_e32 v2, v2, v153
	v_add_f32_e32 v2, v2, v155
	s_delay_alu instid0(VALU_DEP_1) | instskip(SKIP_2) | instid1(VALU_DEP_3)
	v_add_f32_e32 v2, v2, v157
	v_fmac_f32_e32 v189, v6, v1
	v_mul_f32_e32 v1, v8, v4
	v_dual_mul_f32 v191, v7, v4 :: v_dual_add_f32 v2, v2, v159
	s_delay_alu instid0(VALU_DEP_2) | instskip(SKIP_1) | instid1(VALU_DEP_3)
	v_fma_f32 v192, v7, v3, -v1
	v_add_f32_e32 v1, 0, v22
	v_add_f32_e32 v5, v2, v161
	s_delay_alu instid0(VALU_DEP_2) | instskip(NEXT) | instid1(VALU_DEP_2)
	v_add_f32_e32 v1, v1, v23
	v_add_f32_e32 v5, v5, v163
	s_delay_alu instid0(VALU_DEP_2) | instskip(NEXT) | instid1(VALU_DEP_2)
	v_add_f32_e32 v1, v1, v132
	v_add_f32_e32 v5, v5, v165
	s_delay_alu instid0(VALU_DEP_2) | instskip(NEXT) | instid1(VALU_DEP_1)
	v_add_f32_e32 v1, v1, v133
	v_add_f32_e32 v1, v1, v134
	s_delay_alu instid0(VALU_DEP_1) | instskip(NEXT) | instid1(VALU_DEP_1)
	v_add_f32_e32 v1, v1, v135
	v_add_f32_e32 v1, v1, v13
	s_delay_alu instid0(VALU_DEP_1) | instskip(SKIP_1) | instid1(VALU_DEP_2)
	v_add_f32_e32 v1, v1, v14
	v_add_f32_e32 v14, v5, v167
	;; [unrolled: 1-line block ×3, first 2 shown]
	s_delay_alu instid0(VALU_DEP_1) | instskip(NEXT) | instid1(VALU_DEP_1)
	v_add_f32_e32 v1, v1, v17
	v_add_f32_e32 v1, v1, v138
	s_delay_alu instid0(VALU_DEP_1) | instskip(NEXT) | instid1(VALU_DEP_1)
	v_add_f32_e32 v1, v1, v139
	v_add_f32_e32 v1, v1, v147
	;; [unrolled: 3-line block ×6, first 2 shown]
	s_delay_alu instid0(VALU_DEP_1) | instskip(SKIP_3) | instid1(VALU_DEP_2)
	v_dual_add_f32 v6, v1, v164 :: v_dual_fmac_f32 v191, v8, v3
	ds_load_b128 v[1:4], v21 offset:768
	v_add_f32_e32 v14, v14, v169
	v_add_f32_e32 v6, v6, v166
	v_add_f32_e32 v14, v14, v171
	s_delay_alu instid0(VALU_DEP_2) | instskip(SKIP_4) | instid1(VALU_DEP_2)
	v_add_f32_e32 v13, v6, v168
	ds_load_b128 v[5:8], v21 offset:784
	s_wait_loadcnt_dscnt 0x1
	v_dual_mul_f32 v25, v1, v10 :: v_dual_mul_f32 v26, v3, v12
	v_mul_f32_e32 v10, v2, v10
	v_dual_mul_f32 v12, v4, v12 :: v_dual_fmac_f32 v25, v2, v9
	s_delay_alu instid0(VALU_DEP_3) | instskip(NEXT) | instid1(VALU_DEP_3)
	v_fmac_f32_e32 v26, v4, v11
	v_fma_f32 v132, v1, v9, -v10
	s_delay_alu instid0(VALU_DEP_3)
	v_fma_f32 v133, v3, v11, -v12
	s_clause 0x1
	scratch_load_b128 v[1:4], off, off offset:368
	scratch_load_b128 v[9:12], off, off offset:384
	s_wait_loadcnt_dscnt 0x100
	v_mul_f32_e32 v136, v5, v2
	v_add_f32_e32 v13, v13, v170
	v_dual_mul_f32 v2, v6, v2 :: v_dual_mul_f32 v137, v7, v4
	v_mul_f32_e32 v4, v8, v4
	s_delay_alu instid0(VALU_DEP_3) | instskip(SKIP_1) | instid1(VALU_DEP_4)
	v_dual_fmac_f32 v136, v6, v1 :: v_dual_add_f32 v13, v13, v172
	v_add_f32_e32 v17, v14, v173
	v_fma_f32 v2, v5, v1, -v2
	v_fmac_f32_e32 v137, v8, v3
	v_fma_f32 v3, v7, v3, -v4
	v_add_f32_e32 v13, v13, v174
	v_add_f32_e32 v17, v17, v175
	s_delay_alu instid0(VALU_DEP_2) | instskip(SKIP_2) | instid1(VALU_DEP_1)
	v_add_f32_e32 v18, v13, v176
	scratch_load_b128 v[13:16], off, off offset:400
	v_dual_add_f32 v17, v17, v177 :: v_dual_add_f32 v18, v18, v178
	v_dual_add_f32 v17, v17, v179 :: v_dual_add_f32 v18, v18, v180
	s_delay_alu instid0(VALU_DEP_1) | instskip(SKIP_4) | instid1(VALU_DEP_1)
	v_dual_add_f32 v23, v17, v181 :: v_dual_add_f32 v22, v18, v182
	ds_load_b128 v[17:20], v21 offset:800
	v_dual_add_f32 v135, v23, v183 :: v_dual_add_f32 v134, v22, v184
	ds_load_b128 v[21:24], v21 offset:816
	v_dual_add_f32 v135, v135, v185 :: v_dual_add_f32 v134, v134, v186
	v_dual_add_f32 v135, v135, v187 :: v_dual_add_f32 v134, v134, v188
	s_delay_alu instid0(VALU_DEP_1) | instskip(SKIP_1) | instid1(VALU_DEP_1)
	v_dual_add_f32 v135, v135, v189 :: v_dual_add_f32 v134, v134, v190
	s_wait_loadcnt_dscnt 0x101
	v_dual_mul_f32 v138, v17, v10 :: v_dual_add_f32 v135, v135, v191
	v_dual_mul_f32 v6, v18, v10 :: v_dual_mul_f32 v139, v19, v12
	s_delay_alu instid0(VALU_DEP_3) | instskip(SKIP_1) | instid1(VALU_DEP_3)
	v_add_f32_e32 v134, v134, v192
	v_mul_f32_e32 v4, v20, v12
	v_dual_fmac_f32 v138, v18, v9 :: v_dual_fmac_f32 v139, v20, v11
	s_delay_alu instid0(VALU_DEP_3) | instskip(NEXT) | instid1(VALU_DEP_3)
	v_add_f32_e32 v132, v134, v132
	v_fma_f32 v4, v19, v11, -v4
	s_delay_alu instid0(VALU_DEP_2) | instskip(NEXT) | instid1(VALU_DEP_1)
	v_add_f32_e32 v1, v132, v133
	v_add_f32_e32 v1, v1, v2
	s_delay_alu instid0(VALU_DEP_1) | instskip(SKIP_3) | instid1(VALU_DEP_2)
	v_add_f32_e32 v1, v1, v3
	s_wait_loadcnt_dscnt 0x0
	v_dual_mul_f32 v142, v21, v14 :: v_dual_add_f32 v25, v135, v25
	v_dual_mul_f32 v3, v22, v14 :: v_dual_mul_f32 v134, v23, v16
	v_dual_fmac_f32 v142, v22, v13 :: v_dual_add_f32 v5, v25, v26
	s_delay_alu instid0(VALU_DEP_2) | instskip(NEXT) | instid1(VALU_DEP_3)
	v_fma_f32 v3, v21, v13, -v3
	v_fmac_f32_e32 v134, v24, v15
	s_delay_alu instid0(VALU_DEP_3) | instskip(SKIP_1) | instid1(VALU_DEP_2)
	v_add_f32_e32 v2, v5, v136
	v_fma_f32 v5, v17, v9, -v6
	v_add_f32_e32 v2, v2, v137
	s_delay_alu instid0(VALU_DEP_2) | instskip(NEXT) | instid1(VALU_DEP_2)
	v_add_f32_e32 v1, v1, v5
	v_dual_mul_f32 v5, v24, v16 :: v_dual_add_f32 v2, v2, v138
	s_delay_alu instid0(VALU_DEP_2) | instskip(NEXT) | instid1(VALU_DEP_2)
	v_add_f32_e32 v1, v1, v4
	v_fma_f32 v4, v23, v15, -v5
	s_delay_alu instid0(VALU_DEP_3) | instskip(NEXT) | instid1(VALU_DEP_1)
	v_add_f32_e32 v2, v2, v139
	v_dual_add_f32 v1, v1, v3 :: v_dual_add_f32 v2, v2, v142
	s_delay_alu instid0(VALU_DEP_1) | instskip(NEXT) | instid1(VALU_DEP_1)
	v_dual_add_f32 v1, v1, v4 :: v_dual_add_f32 v2, v2, v134
	v_dual_sub_f32 v1, v140, v1 :: v_dual_sub_f32 v2, v141, v2
	scratch_store_b64 off, v[1:2], off offset:56
	v_cmpx_lt_u32_e32 6, v0
	s_cbranch_execz .LBB115_313
; %bb.312:
	scratch_load_b64 v[1:2], off, off offset:48
	v_mov_b32_e32 v3, 0
	s_delay_alu instid0(VALU_DEP_1)
	v_mov_b32_e32 v4, v3
	scratch_store_b64 off, v[3:4], off offset:48
	s_wait_loadcnt 0x0
	ds_store_b64 v27, v[1:2]
.LBB115_313:
	s_wait_alu 0xfffe
	s_or_b32 exec_lo, exec_lo, s0
	s_wait_storecnt_dscnt 0x0
	s_barrier_signal -1
	s_barrier_wait -1
	global_inv scope:SCOPE_SE
	s_clause 0x4
	scratch_load_b128 v[5:8], off, off offset:56
	scratch_load_b128 v[1:4], off, off offset:72
	;; [unrolled: 1-line block ×5, first 2 shown]
	v_mov_b32_e32 v21, 0
	ds_load_2addr_b64 v[22:25], v21 offset0:59 offset1:60
	ds_load_2addr_b64 v[132:135], v21 offset0:61 offset1:62
	;; [unrolled: 1-line block ×3, first 2 shown]
	scratch_load_b64 v[140:141], off, off offset:48
	s_mov_b32 s0, exec_lo
	s_wait_loadcnt_dscnt 0x502
	v_dual_mul_f32 v142, v22, v6 :: v_dual_mul_f32 v143, v24, v8
	v_mul_f32_e32 v26, v23, v6
	v_mul_f32_e32 v6, v25, v8
	s_wait_loadcnt_dscnt 0x300
	v_mul_f32_e32 v144, v138, v12
	v_dual_fmac_f32 v142, v23, v5 :: v_dual_fmac_f32 v143, v25, v7
	v_mul_f32_e32 v25, v134, v4
	v_fma_f32 v22, v22, v5, -v26
	v_mul_f32_e32 v26, v136, v10
	v_mul_f32_e32 v4, v135, v4
	s_delay_alu instid0(VALU_DEP_4)
	v_dual_mul_f32 v10, v137, v10 :: v_dual_fmac_f32 v25, v135, v3
	v_fma_f32 v23, v24, v7, -v6
	ds_load_2addr_b64 v[5:8], v21 offset0:65 offset1:66
	v_mul_f32_e32 v24, v132, v2
	v_mul_f32_e32 v12, v139, v12
	;; [unrolled: 1-line block ×3, first 2 shown]
	v_fmac_f32_e32 v26, v137, v9
	v_fmac_f32_e32 v144, v139, v11
	;; [unrolled: 1-line block ×3, first 2 shown]
	v_fma_f32 v133, v134, v3, -v4
	v_fma_f32 v134, v136, v9, -v10
	;; [unrolled: 1-line block ×3, first 2 shown]
	ds_load_2addr_b64 v[9:12], v21 offset0:67 offset1:68
	s_wait_loadcnt_dscnt 0x201
	v_dual_mul_f32 v137, v7, v16 :: v_dual_mul_f32 v136, v5, v14
	v_mul_f32_e32 v14, v6, v14
	v_mul_f32_e32 v16, v8, v16
	s_delay_alu instid0(VALU_DEP_3)
	v_fmac_f32_e32 v137, v8, v15
	v_fma_f32 v132, v132, v1, -v2
	scratch_load_b128 v[1:4], off, off offset:136
	v_fmac_f32_e32 v136, v6, v13
	v_fma_f32 v13, v5, v13, -v14
	v_fma_f32 v14, v7, v15, -v16
	s_wait_loadcnt_dscnt 0x200
	v_mul_f32_e32 v15, v9, v18
	v_mul_f32_e32 v16, v10, v18
	;; [unrolled: 1-line block ×4, first 2 shown]
	ds_load_2addr_b64 v[5:8], v21 offset0:69 offset1:70
	v_fmac_f32_e32 v15, v10, v17
	v_fma_f32 v16, v9, v17, -v16
	v_fmac_f32_e32 v18, v12, v19
	v_fma_f32 v17, v11, v19, -v20
	scratch_load_b128 v[9:12], off, off offset:152
	s_wait_loadcnt_dscnt 0x100
	v_mul_f32_e32 v19, v5, v2
	v_mul_f32_e32 v2, v6, v2
	v_mul_f32_e32 v20, v7, v4
	s_delay_alu instid0(VALU_DEP_3) | instskip(NEXT) | instid1(VALU_DEP_3)
	v_dual_mul_f32 v4, v8, v4 :: v_dual_fmac_f32 v19, v6, v1
	v_fma_f32 v138, v5, v1, -v2
	s_delay_alu instid0(VALU_DEP_3) | instskip(NEXT) | instid1(VALU_DEP_3)
	v_fmac_f32_e32 v20, v8, v3
	v_fma_f32 v139, v7, v3, -v4
	ds_load_2addr_b64 v[1:4], v21 offset0:71 offset1:72
	ds_load_2addr_b64 v[5:8], v21 offset0:73 offset1:74
	s_wait_loadcnt_dscnt 0x1
	v_mul_f32_e32 v145, v1, v10
	v_mul_f32_e32 v10, v2, v10
	s_delay_alu instid0(VALU_DEP_2) | instskip(NEXT) | instid1(VALU_DEP_2)
	v_dual_mul_f32 v146, v3, v12 :: v_dual_fmac_f32 v145, v2, v9
	v_fma_f32 v147, v1, v9, -v10
	v_mul_f32_e32 v1, v4, v12
	s_delay_alu instid0(VALU_DEP_3) | instskip(NEXT) | instid1(VALU_DEP_2)
	v_fmac_f32_e32 v146, v4, v11
	v_fma_f32 v148, v3, v11, -v1
	s_clause 0x1
	scratch_load_b128 v[1:4], off, off offset:168
	scratch_load_b128 v[9:12], off, off offset:184
	s_wait_loadcnt_dscnt 0x100
	v_mul_f32_e32 v149, v5, v2
	v_dual_mul_f32 v2, v6, v2 :: v_dual_mul_f32 v151, v7, v4
	s_delay_alu instid0(VALU_DEP_2) | instskip(NEXT) | instid1(VALU_DEP_2)
	v_fmac_f32_e32 v149, v6, v1
	v_fma_f32 v150, v5, v1, -v2
	v_mul_f32_e32 v1, v8, v4
	s_delay_alu instid0(VALU_DEP_4) | instskip(NEXT) | instid1(VALU_DEP_2)
	v_fmac_f32_e32 v151, v8, v3
	v_fma_f32 v152, v7, v3, -v1
	ds_load_2addr_b64 v[1:4], v21 offset0:75 offset1:76
	ds_load_2addr_b64 v[5:8], v21 offset0:77 offset1:78
	s_wait_loadcnt_dscnt 0x1
	v_mul_f32_e32 v153, v1, v10
	v_mul_f32_e32 v155, v3, v12
	s_delay_alu instid0(VALU_DEP_2) | instskip(NEXT) | instid1(VALU_DEP_2)
	v_fmac_f32_e32 v153, v2, v9
	v_dual_mul_f32 v2, v2, v10 :: v_dual_fmac_f32 v155, v4, v11
	s_delay_alu instid0(VALU_DEP_1) | instskip(SKIP_1) | instid1(VALU_DEP_1)
	v_fma_f32 v154, v1, v9, -v2
	v_mul_f32_e32 v1, v4, v12
	v_fma_f32 v156, v3, v11, -v1
	s_clause 0x1
	scratch_load_b128 v[1:4], off, off offset:200
	scratch_load_b128 v[9:12], off, off offset:216
	s_wait_loadcnt_dscnt 0x100
	v_mul_f32_e32 v157, v5, v2
	v_dual_mul_f32 v2, v6, v2 :: v_dual_mul_f32 v159, v7, v4
	s_delay_alu instid0(VALU_DEP_2) | instskip(NEXT) | instid1(VALU_DEP_2)
	v_fmac_f32_e32 v157, v6, v1
	v_fma_f32 v158, v5, v1, -v2
	v_mul_f32_e32 v1, v8, v4
	s_delay_alu instid0(VALU_DEP_4) | instskip(NEXT) | instid1(VALU_DEP_2)
	v_fmac_f32_e32 v159, v8, v3
	v_fma_f32 v160, v7, v3, -v1
	ds_load_2addr_b64 v[1:4], v21 offset0:79 offset1:80
	ds_load_2addr_b64 v[5:8], v21 offset0:81 offset1:82
	s_wait_loadcnt_dscnt 0x1
	v_mul_f32_e32 v161, v1, v10
	v_mul_f32_e32 v163, v3, v12
	s_delay_alu instid0(VALU_DEP_2) | instskip(NEXT) | instid1(VALU_DEP_2)
	v_fmac_f32_e32 v161, v2, v9
	v_dual_mul_f32 v2, v2, v10 :: v_dual_fmac_f32 v163, v4, v11
	s_delay_alu instid0(VALU_DEP_1) | instskip(SKIP_1) | instid1(VALU_DEP_1)
	v_fma_f32 v162, v1, v9, -v2
	v_mul_f32_e32 v1, v4, v12
	;; [unrolled: 25-line block ×5, first 2 shown]
	v_fma_f32 v188, v3, v11, -v1
	s_clause 0x1
	scratch_load_b128 v[1:4], off, off offset:328
	scratch_load_b128 v[9:12], off, off offset:344
	s_wait_loadcnt_dscnt 0x100
	v_mul_f32_e32 v189, v5, v2
	v_mul_f32_e32 v2, v6, v2
	s_delay_alu instid0(VALU_DEP_1) | instskip(SKIP_1) | instid1(VALU_DEP_1)
	v_fma_f32 v190, v5, v1, -v2
	v_add_f32_e32 v2, 0, v142
	v_add_f32_e32 v2, v2, v143
	s_delay_alu instid0(VALU_DEP_1) | instskip(NEXT) | instid1(VALU_DEP_1)
	v_add_f32_e32 v2, v2, v24
	v_add_f32_e32 v2, v2, v25
	s_delay_alu instid0(VALU_DEP_1) | instskip(NEXT) | instid1(VALU_DEP_1)
	;; [unrolled: 3-line block ×8, first 2 shown]
	v_add_f32_e32 v2, v2, v153
	v_add_f32_e32 v2, v2, v155
	s_delay_alu instid0(VALU_DEP_1) | instskip(SKIP_2) | instid1(VALU_DEP_3)
	v_add_f32_e32 v2, v2, v157
	v_fmac_f32_e32 v189, v6, v1
	v_mul_f32_e32 v1, v8, v4
	v_dual_mul_f32 v191, v7, v4 :: v_dual_add_f32 v2, v2, v159
	s_delay_alu instid0(VALU_DEP_2) | instskip(SKIP_1) | instid1(VALU_DEP_3)
	v_fma_f32 v192, v7, v3, -v1
	v_add_f32_e32 v1, 0, v22
	v_add_f32_e32 v5, v2, v161
	s_delay_alu instid0(VALU_DEP_2) | instskip(NEXT) | instid1(VALU_DEP_2)
	v_add_f32_e32 v1, v1, v23
	v_add_f32_e32 v5, v5, v163
	s_delay_alu instid0(VALU_DEP_2) | instskip(NEXT) | instid1(VALU_DEP_1)
	v_add_f32_e32 v1, v1, v132
	v_add_f32_e32 v1, v1, v133
	scratch_load_b64 v[132:133], off, off offset:408
	v_add_f32_e32 v1, v1, v134
	s_delay_alu instid0(VALU_DEP_1) | instskip(NEXT) | instid1(VALU_DEP_1)
	v_add_f32_e32 v1, v1, v135
	v_add_f32_e32 v1, v1, v13
	s_delay_alu instid0(VALU_DEP_1) | instskip(NEXT) | instid1(VALU_DEP_1)
	v_add_f32_e32 v1, v1, v14
	;; [unrolled: 3-line block ×8, first 2 shown]
	v_add_f32_e32 v1, v1, v162
	s_delay_alu instid0(VALU_DEP_1) | instskip(SKIP_2) | instid1(VALU_DEP_1)
	v_dual_add_f32 v6, v1, v164 :: v_dual_fmac_f32 v191, v8, v3
	ds_load_2addr_b64 v[1:4], v21 offset0:95 offset1:96
	v_dual_add_f32 v5, v5, v165 :: v_dual_add_f32 v6, v6, v166
	v_dual_add_f32 v14, v5, v167 :: v_dual_add_f32 v13, v6, v168
	ds_load_2addr_b64 v[5:8], v21 offset0:97 offset1:98
	v_add_f32_e32 v14, v14, v169
	s_delay_alu instid0(VALU_DEP_1)
	v_add_f32_e32 v14, v14, v171
	s_wait_loadcnt_dscnt 0x101
	v_mul_f32_e32 v26, v1, v10
	v_mul_f32_e32 v10, v2, v10
	;; [unrolled: 1-line block ×3, first 2 shown]
	v_dual_mul_f32 v12, v4, v12 :: v_dual_add_f32 v17, v14, v173
	s_delay_alu instid0(VALU_DEP_4) | instskip(NEXT) | instid1(VALU_DEP_4)
	v_fmac_f32_e32 v26, v2, v9
	v_fma_f32 v137, v1, v9, -v10
	s_delay_alu instid0(VALU_DEP_4) | instskip(NEXT) | instid1(VALU_DEP_4)
	v_fmac_f32_e32 v136, v4, v11
	v_fma_f32 v138, v3, v11, -v12
	s_clause 0x1
	scratch_load_b128 v[1:4], off, off offset:360
	scratch_load_b128 v[9:12], off, off offset:376
	v_add_f32_e32 v13, v13, v170
	v_add_f32_e32 v17, v17, v175
	s_delay_alu instid0(VALU_DEP_2) | instskip(NEXT) | instid1(VALU_DEP_2)
	v_add_f32_e32 v13, v13, v172
	v_add_f32_e32 v17, v17, v177
	s_delay_alu instid0(VALU_DEP_2) | instskip(NEXT) | instid1(VALU_DEP_2)
	v_add_f32_e32 v13, v13, v174
	v_add_f32_e32 v17, v17, v179
	s_delay_alu instid0(VALU_DEP_2) | instskip(SKIP_2) | instid1(VALU_DEP_1)
	v_add_f32_e32 v18, v13, v176
	scratch_load_b128 v[13:16], off, off offset:392
	v_dual_add_f32 v17, v17, v181 :: v_dual_add_f32 v18, v18, v178
	v_add_f32_e32 v22, v17, v183
	s_delay_alu instid0(VALU_DEP_2) | instskip(NEXT) | instid1(VALU_DEP_2)
	v_add_f32_e32 v18, v18, v180
	v_add_f32_e32 v135, v22, v185
	ds_load_2addr_b64 v[22:25], v21 offset0:101 offset1:102
	v_add_f32_e32 v18, v18, v182
	v_add_f32_e32 v142, v135, v187
	s_delay_alu instid0(VALU_DEP_2) | instskip(NEXT) | instid1(VALU_DEP_2)
	v_add_f32_e32 v18, v18, v184
	v_add_f32_e32 v142, v142, v189
	s_delay_alu instid0(VALU_DEP_2)
	v_add_f32_e32 v134, v18, v186
	ds_load_2addr_b64 v[17:20], v21 offset0:99 offset1:100
	v_add_f32_e32 v142, v142, v191
	v_add_f32_e32 v139, v134, v188
	ds_load_b64 v[134:135], v21 offset:824
	v_add_f32_e32 v26, v142, v26
	s_delay_alu instid0(VALU_DEP_1) | instskip(NEXT) | instid1(VALU_DEP_1)
	v_dual_add_f32 v139, v139, v190 :: v_dual_add_f32 v26, v26, v136
	v_add_f32_e32 v139, v139, v192
	s_delay_alu instid0(VALU_DEP_1) | instskip(SKIP_1) | instid1(VALU_DEP_1)
	v_add_f32_e32 v137, v139, v137
	s_wait_loadcnt_dscnt 0x300
	v_dual_add_f32 v137, v137, v138 :: v_dual_mul_f32 v136, v134, v133
	s_wait_loadcnt 0x2
	s_delay_alu instid0(VALU_DEP_1)
	v_dual_fmac_f32 v136, v135, v132 :: v_dual_mul_f32 v143, v5, v2
	v_mul_f32_e32 v2, v6, v2
	v_mul_f32_e32 v144, v7, v4
	s_wait_loadcnt 0x1
	v_dual_mul_f32 v4, v8, v4 :: v_dual_mul_f32 v139, v17, v10
	v_fmac_f32_e32 v143, v6, v1
	v_fma_f32 v2, v5, v1, -v2
	v_fmac_f32_e32 v144, v8, v3
	s_delay_alu instid0(VALU_DEP_4)
	v_fma_f32 v1, v7, v3, -v4
	v_mul_f32_e32 v3, v18, v10
	v_add_f32_e32 v4, v26, v143
	v_add_f32_e32 v2, v137, v2
	v_mul_f32_e32 v142, v19, v12
	v_mul_f32_e32 v5, v20, v12
	v_fmac_f32_e32 v139, v18, v9
	v_fma_f32 v3, v17, v9, -v3
	v_dual_add_f32 v1, v2, v1 :: v_dual_add_f32 v2, v4, v144
	s_wait_loadcnt 0x0
	v_mul_f32_e32 v145, v22, v14
	v_mul_f32_e32 v4, v23, v14
	v_fmac_f32_e32 v142, v20, v11
	v_fma_f32 v5, v19, v11, -v5
	v_add_f32_e32 v1, v1, v3
	v_add_f32_e32 v2, v2, v139
	v_mul_f32_e32 v138, v24, v16
	v_mul_f32_e32 v3, v25, v16
	v_fmac_f32_e32 v145, v23, v13
	v_fma_f32 v4, v22, v13, -v4
	v_dual_add_f32 v1, v1, v5 :: v_dual_add_f32 v2, v2, v142
	v_dual_mul_f32 v5, v135, v133 :: v_dual_fmac_f32 v138, v25, v15
	v_fma_f32 v3, v24, v15, -v3
	s_delay_alu instid0(VALU_DEP_3) | instskip(NEXT) | instid1(VALU_DEP_3)
	v_dual_add_f32 v1, v1, v4 :: v_dual_add_f32 v2, v2, v145
	v_fma_f32 v4, v134, v132, -v5
	s_delay_alu instid0(VALU_DEP_2) | instskip(NEXT) | instid1(VALU_DEP_1)
	v_dual_add_f32 v1, v1, v3 :: v_dual_add_f32 v2, v2, v138
	v_add_f32_e32 v1, v1, v4
	s_delay_alu instid0(VALU_DEP_1) | instskip(NEXT) | instid1(VALU_DEP_1)
	v_dual_add_f32 v2, v2, v136 :: v_dual_sub_f32 v1, v140, v1
	v_sub_f32_e32 v2, v141, v2
	scratch_store_b64 off, v[1:2], off offset:48
	v_cmpx_lt_u32_e32 5, v0
	s_cbranch_execz .LBB115_315
; %bb.314:
	scratch_load_b64 v[1:2], off, off offset:40
	v_mov_b32_e32 v22, v21
	scratch_store_b64 off, v[21:22], off offset:40
	s_wait_loadcnt 0x0
	ds_store_b64 v27, v[1:2]
.LBB115_315:
	s_wait_alu 0xfffe
	s_or_b32 exec_lo, exec_lo, s0
	s_wait_storecnt_dscnt 0x0
	s_barrier_signal -1
	s_barrier_wait -1
	global_inv scope:SCOPE_SE
	s_clause 0x4
	scratch_load_b128 v[5:8], off, off offset:48
	scratch_load_b128 v[1:4], off, off offset:64
	;; [unrolled: 1-line block ×5, first 2 shown]
	ds_load_b128 v[22:25], v21 offset:464
	ds_load_b128 v[132:135], v21 offset:480
	;; [unrolled: 1-line block ×3, first 2 shown]
	scratch_load_b64 v[140:141], off, off offset:40
	s_mov_b32 s0, exec_lo
	s_wait_loadcnt_dscnt 0x502
	v_dual_mul_f32 v26, v23, v6 :: v_dual_mul_f32 v143, v24, v8
	v_mul_f32_e32 v142, v22, v6
	v_mul_f32_e32 v6, v25, v8
	s_wait_loadcnt_dscnt 0x300
	v_mul_f32_e32 v144, v138, v12
	v_fma_f32 v22, v22, v5, -v26
	v_dual_fmac_f32 v143, v25, v7 :: v_dual_fmac_f32 v142, v23, v5
	v_mul_f32_e32 v25, v134, v4
	v_mul_f32_e32 v4, v135, v4
	;; [unrolled: 1-line block ×5, first 2 shown]
	v_fmac_f32_e32 v25, v135, v3
	v_fma_f32 v23, v24, v7, -v6
	ds_load_b128 v[5:8], v21 offset:512
	v_mul_f32_e32 v24, v132, v2
	v_mul_f32_e32 v2, v133, v2
	v_fmac_f32_e32 v26, v137, v9
	v_fmac_f32_e32 v144, v139, v11
	v_fma_f32 v135, v138, v11, -v12
	v_fmac_f32_e32 v24, v133, v1
	v_fma_f32 v133, v134, v3, -v4
	v_fma_f32 v134, v136, v9, -v10
	ds_load_b128 v[9:12], v21 offset:528
	s_wait_loadcnt_dscnt 0x201
	v_dual_mul_f32 v137, v7, v16 :: v_dual_mul_f32 v136, v5, v14
	v_mul_f32_e32 v14, v6, v14
	v_mul_f32_e32 v16, v8, v16
	s_delay_alu instid0(VALU_DEP_3)
	v_fmac_f32_e32 v137, v8, v15
	v_fma_f32 v132, v132, v1, -v2
	scratch_load_b128 v[1:4], off, off offset:128
	v_fmac_f32_e32 v136, v6, v13
	v_fma_f32 v13, v5, v13, -v14
	v_fma_f32 v14, v7, v15, -v16
	s_wait_loadcnt_dscnt 0x200
	v_mul_f32_e32 v15, v9, v18
	v_mul_f32_e32 v16, v10, v18
	;; [unrolled: 1-line block ×4, first 2 shown]
	ds_load_b128 v[5:8], v21 offset:544
	v_fmac_f32_e32 v15, v10, v17
	v_fma_f32 v16, v9, v17, -v16
	v_fmac_f32_e32 v18, v12, v19
	v_fma_f32 v17, v11, v19, -v20
	scratch_load_b128 v[9:12], off, off offset:144
	s_wait_loadcnt_dscnt 0x100
	v_mul_f32_e32 v19, v5, v2
	v_mul_f32_e32 v2, v6, v2
	;; [unrolled: 1-line block ×3, first 2 shown]
	s_delay_alu instid0(VALU_DEP_3) | instskip(NEXT) | instid1(VALU_DEP_3)
	v_dual_mul_f32 v4, v8, v4 :: v_dual_fmac_f32 v19, v6, v1
	v_fma_f32 v138, v5, v1, -v2
	s_delay_alu instid0(VALU_DEP_3) | instskip(NEXT) | instid1(VALU_DEP_3)
	v_fmac_f32_e32 v20, v8, v3
	v_fma_f32 v139, v7, v3, -v4
	ds_load_b128 v[1:4], v21 offset:560
	ds_load_b128 v[5:8], v21 offset:576
	s_wait_loadcnt_dscnt 0x1
	v_mul_f32_e32 v145, v1, v10
	v_mul_f32_e32 v10, v2, v10
	s_delay_alu instid0(VALU_DEP_2) | instskip(NEXT) | instid1(VALU_DEP_2)
	v_dual_mul_f32 v146, v3, v12 :: v_dual_fmac_f32 v145, v2, v9
	v_fma_f32 v147, v1, v9, -v10
	v_mul_f32_e32 v1, v4, v12
	s_delay_alu instid0(VALU_DEP_3) | instskip(NEXT) | instid1(VALU_DEP_2)
	v_fmac_f32_e32 v146, v4, v11
	v_fma_f32 v148, v3, v11, -v1
	s_clause 0x1
	scratch_load_b128 v[1:4], off, off offset:160
	scratch_load_b128 v[9:12], off, off offset:176
	s_wait_loadcnt_dscnt 0x100
	v_mul_f32_e32 v149, v5, v2
	v_dual_mul_f32 v2, v6, v2 :: v_dual_mul_f32 v151, v7, v4
	s_delay_alu instid0(VALU_DEP_2) | instskip(NEXT) | instid1(VALU_DEP_2)
	v_fmac_f32_e32 v149, v6, v1
	v_fma_f32 v150, v5, v1, -v2
	v_mul_f32_e32 v1, v8, v4
	s_delay_alu instid0(VALU_DEP_4) | instskip(NEXT) | instid1(VALU_DEP_2)
	v_fmac_f32_e32 v151, v8, v3
	v_fma_f32 v152, v7, v3, -v1
	ds_load_b128 v[1:4], v21 offset:592
	ds_load_b128 v[5:8], v21 offset:608
	s_wait_loadcnt_dscnt 0x1
	v_mul_f32_e32 v153, v1, v10
	v_mul_f32_e32 v155, v3, v12
	s_delay_alu instid0(VALU_DEP_2) | instskip(NEXT) | instid1(VALU_DEP_2)
	v_fmac_f32_e32 v153, v2, v9
	v_dual_mul_f32 v2, v2, v10 :: v_dual_fmac_f32 v155, v4, v11
	s_delay_alu instid0(VALU_DEP_1) | instskip(SKIP_1) | instid1(VALU_DEP_1)
	v_fma_f32 v154, v1, v9, -v2
	v_mul_f32_e32 v1, v4, v12
	v_fma_f32 v156, v3, v11, -v1
	s_clause 0x1
	scratch_load_b128 v[1:4], off, off offset:192
	scratch_load_b128 v[9:12], off, off offset:208
	s_wait_loadcnt_dscnt 0x100
	v_mul_f32_e32 v157, v5, v2
	v_dual_mul_f32 v2, v6, v2 :: v_dual_mul_f32 v159, v7, v4
	s_delay_alu instid0(VALU_DEP_2) | instskip(NEXT) | instid1(VALU_DEP_2)
	v_fmac_f32_e32 v157, v6, v1
	v_fma_f32 v158, v5, v1, -v2
	v_mul_f32_e32 v1, v8, v4
	s_delay_alu instid0(VALU_DEP_4) | instskip(NEXT) | instid1(VALU_DEP_2)
	v_fmac_f32_e32 v159, v8, v3
	v_fma_f32 v160, v7, v3, -v1
	ds_load_b128 v[1:4], v21 offset:624
	ds_load_b128 v[5:8], v21 offset:640
	s_wait_loadcnt_dscnt 0x1
	v_mul_f32_e32 v161, v1, v10
	v_mul_f32_e32 v163, v3, v12
	s_delay_alu instid0(VALU_DEP_2) | instskip(NEXT) | instid1(VALU_DEP_2)
	v_fmac_f32_e32 v161, v2, v9
	v_dual_mul_f32 v2, v2, v10 :: v_dual_fmac_f32 v163, v4, v11
	s_delay_alu instid0(VALU_DEP_1) | instskip(SKIP_1) | instid1(VALU_DEP_1)
	v_fma_f32 v162, v1, v9, -v2
	v_mul_f32_e32 v1, v4, v12
	v_fma_f32 v164, v3, v11, -v1
	s_clause 0x1
	scratch_load_b128 v[1:4], off, off offset:224
	scratch_load_b128 v[9:12], off, off offset:240
	s_wait_loadcnt_dscnt 0x100
	v_mul_f32_e32 v165, v5, v2
	v_dual_mul_f32 v2, v6, v2 :: v_dual_mul_f32 v167, v7, v4
	s_delay_alu instid0(VALU_DEP_2) | instskip(NEXT) | instid1(VALU_DEP_2)
	v_fmac_f32_e32 v165, v6, v1
	v_fma_f32 v166, v5, v1, -v2
	v_mul_f32_e32 v1, v8, v4
	s_delay_alu instid0(VALU_DEP_4) | instskip(NEXT) | instid1(VALU_DEP_2)
	v_fmac_f32_e32 v167, v8, v3
	v_fma_f32 v168, v7, v3, -v1
	ds_load_b128 v[1:4], v21 offset:656
	ds_load_b128 v[5:8], v21 offset:672
	s_wait_loadcnt_dscnt 0x1
	v_mul_f32_e32 v169, v1, v10
	v_mul_f32_e32 v171, v3, v12
	s_delay_alu instid0(VALU_DEP_2) | instskip(NEXT) | instid1(VALU_DEP_2)
	v_fmac_f32_e32 v169, v2, v9
	v_dual_mul_f32 v2, v2, v10 :: v_dual_fmac_f32 v171, v4, v11
	s_delay_alu instid0(VALU_DEP_1) | instskip(SKIP_1) | instid1(VALU_DEP_1)
	v_fma_f32 v170, v1, v9, -v2
	v_mul_f32_e32 v1, v4, v12
	v_fma_f32 v172, v3, v11, -v1
	s_clause 0x1
	scratch_load_b128 v[1:4], off, off offset:256
	scratch_load_b128 v[9:12], off, off offset:272
	s_wait_loadcnt_dscnt 0x100
	v_mul_f32_e32 v173, v5, v2
	v_dual_mul_f32 v2, v6, v2 :: v_dual_mul_f32 v175, v7, v4
	s_delay_alu instid0(VALU_DEP_2) | instskip(NEXT) | instid1(VALU_DEP_2)
	v_fmac_f32_e32 v173, v6, v1
	v_fma_f32 v174, v5, v1, -v2
	v_mul_f32_e32 v1, v8, v4
	s_delay_alu instid0(VALU_DEP_4) | instskip(NEXT) | instid1(VALU_DEP_2)
	v_fmac_f32_e32 v175, v8, v3
	v_fma_f32 v176, v7, v3, -v1
	ds_load_b128 v[1:4], v21 offset:688
	ds_load_b128 v[5:8], v21 offset:704
	s_wait_loadcnt_dscnt 0x1
	v_mul_f32_e32 v177, v1, v10
	v_mul_f32_e32 v179, v3, v12
	s_delay_alu instid0(VALU_DEP_2) | instskip(NEXT) | instid1(VALU_DEP_2)
	v_fmac_f32_e32 v177, v2, v9
	v_dual_mul_f32 v2, v2, v10 :: v_dual_fmac_f32 v179, v4, v11
	s_delay_alu instid0(VALU_DEP_1) | instskip(SKIP_1) | instid1(VALU_DEP_1)
	v_fma_f32 v178, v1, v9, -v2
	v_mul_f32_e32 v1, v4, v12
	v_fma_f32 v180, v3, v11, -v1
	s_clause 0x1
	scratch_load_b128 v[1:4], off, off offset:288
	scratch_load_b128 v[9:12], off, off offset:304
	s_wait_loadcnt_dscnt 0x100
	v_mul_f32_e32 v181, v5, v2
	v_dual_mul_f32 v2, v6, v2 :: v_dual_mul_f32 v183, v7, v4
	s_delay_alu instid0(VALU_DEP_2) | instskip(NEXT) | instid1(VALU_DEP_2)
	v_fmac_f32_e32 v181, v6, v1
	v_fma_f32 v182, v5, v1, -v2
	v_mul_f32_e32 v1, v8, v4
	s_delay_alu instid0(VALU_DEP_4) | instskip(NEXT) | instid1(VALU_DEP_2)
	v_fmac_f32_e32 v183, v8, v3
	v_fma_f32 v184, v7, v3, -v1
	ds_load_b128 v[1:4], v21 offset:720
	ds_load_b128 v[5:8], v21 offset:736
	s_wait_loadcnt_dscnt 0x1
	v_mul_f32_e32 v185, v1, v10
	v_mul_f32_e32 v187, v3, v12
	s_delay_alu instid0(VALU_DEP_2) | instskip(NEXT) | instid1(VALU_DEP_2)
	v_fmac_f32_e32 v185, v2, v9
	v_dual_mul_f32 v2, v2, v10 :: v_dual_fmac_f32 v187, v4, v11
	s_delay_alu instid0(VALU_DEP_1) | instskip(SKIP_1) | instid1(VALU_DEP_1)
	v_fma_f32 v186, v1, v9, -v2
	v_mul_f32_e32 v1, v4, v12
	v_fma_f32 v188, v3, v11, -v1
	s_clause 0x1
	scratch_load_b128 v[1:4], off, off offset:320
	scratch_load_b128 v[9:12], off, off offset:336
	s_wait_loadcnt_dscnt 0x100
	v_mul_f32_e32 v189, v5, v2
	v_mul_f32_e32 v2, v6, v2
	s_delay_alu instid0(VALU_DEP_1) | instskip(SKIP_1) | instid1(VALU_DEP_1)
	v_fma_f32 v190, v5, v1, -v2
	v_add_f32_e32 v2, 0, v142
	v_add_f32_e32 v2, v2, v143
	s_delay_alu instid0(VALU_DEP_1) | instskip(NEXT) | instid1(VALU_DEP_1)
	v_add_f32_e32 v2, v2, v24
	v_add_f32_e32 v2, v2, v25
	s_delay_alu instid0(VALU_DEP_1) | instskip(NEXT) | instid1(VALU_DEP_1)
	v_add_f32_e32 v2, v2, v26
	v_add_f32_e32 v2, v2, v144
	s_delay_alu instid0(VALU_DEP_1) | instskip(NEXT) | instid1(VALU_DEP_1)
	v_add_f32_e32 v2, v2, v136
	v_add_f32_e32 v2, v2, v137
	s_delay_alu instid0(VALU_DEP_1) | instskip(NEXT) | instid1(VALU_DEP_1)
	v_add_f32_e32 v2, v2, v15
	v_add_f32_e32 v2, v2, v18
	s_delay_alu instid0(VALU_DEP_1) | instskip(NEXT) | instid1(VALU_DEP_1)
	v_add_f32_e32 v2, v2, v19
	v_add_f32_e32 v2, v2, v20
	s_delay_alu instid0(VALU_DEP_1) | instskip(NEXT) | instid1(VALU_DEP_1)
	v_add_f32_e32 v2, v2, v145
	v_add_f32_e32 v2, v2, v146
	s_delay_alu instid0(VALU_DEP_1) | instskip(NEXT) | instid1(VALU_DEP_1)
	v_add_f32_e32 v2, v2, v149
	v_add_f32_e32 v2, v2, v151
	s_delay_alu instid0(VALU_DEP_1) | instskip(NEXT) | instid1(VALU_DEP_1)
	v_add_f32_e32 v2, v2, v153
	v_add_f32_e32 v2, v2, v155
	s_delay_alu instid0(VALU_DEP_1) | instskip(SKIP_2) | instid1(VALU_DEP_3)
	v_add_f32_e32 v2, v2, v157
	v_fmac_f32_e32 v189, v6, v1
	v_mul_f32_e32 v1, v8, v4
	v_dual_mul_f32 v191, v7, v4 :: v_dual_add_f32 v2, v2, v159
	s_delay_alu instid0(VALU_DEP_2) | instskip(SKIP_1) | instid1(VALU_DEP_3)
	v_fma_f32 v192, v7, v3, -v1
	v_add_f32_e32 v1, 0, v22
	v_dual_fmac_f32 v191, v8, v3 :: v_dual_add_f32 v2, v2, v161
	s_delay_alu instid0(VALU_DEP_2) | instskip(NEXT) | instid1(VALU_DEP_2)
	v_add_f32_e32 v1, v1, v23
	v_add_f32_e32 v5, v2, v163
	s_delay_alu instid0(VALU_DEP_2) | instskip(NEXT) | instid1(VALU_DEP_1)
	v_add_f32_e32 v1, v1, v132
	v_add_f32_e32 v1, v1, v133
	s_delay_alu instid0(VALU_DEP_1) | instskip(NEXT) | instid1(VALU_DEP_1)
	v_add_f32_e32 v1, v1, v134
	v_add_f32_e32 v1, v1, v135
	s_delay_alu instid0(VALU_DEP_1) | instskip(SKIP_1) | instid1(VALU_DEP_2)
	v_add_f32_e32 v1, v1, v13
	v_add_f32_e32 v13, v5, v165
	;; [unrolled: 1-line block ×3, first 2 shown]
	s_delay_alu instid0(VALU_DEP_2) | instskip(NEXT) | instid1(VALU_DEP_2)
	v_add_f32_e32 v13, v13, v167
	v_add_f32_e32 v1, v1, v16
	s_delay_alu instid0(VALU_DEP_1) | instskip(NEXT) | instid1(VALU_DEP_1)
	v_add_f32_e32 v1, v1, v17
	v_add_f32_e32 v1, v1, v138
	s_delay_alu instid0(VALU_DEP_1) | instskip(NEXT) | instid1(VALU_DEP_1)
	;; [unrolled: 3-line block ×7, first 2 shown]
	v_add_f32_e32 v1, v1, v164
	v_add_f32_e32 v6, v1, v166
	ds_load_b128 v[1:4], v21 offset:752
	v_dual_add_f32 v13, v13, v169 :: v_dual_add_f32 v14, v6, v168
	scratch_load_b128 v[5:8], off, off offset:352
	v_add_f32_e32 v18, v13, v171
	v_add_f32_e32 v14, v14, v170
	s_delay_alu instid0(VALU_DEP_2) | instskip(NEXT) | instid1(VALU_DEP_2)
	v_add_f32_e32 v18, v18, v173
	v_add_f32_e32 v17, v14, v172
	ds_load_b128 v[13:16], v21 offset:768
	v_dual_add_f32 v18, v18, v175 :: v_dual_add_f32 v17, v17, v174
	s_wait_loadcnt_dscnt 0x101
	v_mul_f32_e32 v25, v1, v10
	v_mul_f32_e32 v10, v2, v10
	;; [unrolled: 1-line block ×4, first 2 shown]
	v_add_f32_e32 v17, v17, v176
	v_fmac_f32_e32 v25, v2, v9
	v_fma_f32 v132, v1, v9, -v10
	v_fmac_f32_e32 v26, v4, v11
	v_fma_f32 v133, v3, v11, -v12
	s_clause 0x1
	scratch_load_b128 v[1:4], off, off offset:368
	scratch_load_b128 v[9:12], off, off offset:384
	v_dual_add_f32 v17, v17, v178 :: v_dual_add_f32 v22, v18, v177
	s_delay_alu instid0(VALU_DEP_1) | instskip(SKIP_2) | instid1(VALU_DEP_1)
	v_add_f32_e32 v23, v17, v180
	scratch_load_b128 v[17:20], off, off offset:400
	v_dual_add_f32 v22, v22, v179 :: v_dual_add_f32 v23, v23, v182
	v_dual_add_f32 v22, v22, v181 :: v_dual_add_f32 v23, v23, v184
	s_wait_loadcnt_dscnt 0x300
	v_mul_f32_e32 v134, v13, v6
	v_dual_mul_f32 v6, v14, v6 :: v_dual_mul_f32 v135, v15, v8
	v_mul_f32_e32 v8, v16, v8
	s_delay_alu instid0(VALU_DEP_3) | instskip(NEXT) | instid1(VALU_DEP_3)
	v_fmac_f32_e32 v134, v14, v5
	v_fma_f32 v136, v13, v5, -v6
	v_dual_add_f32 v13, v22, v183 :: v_dual_add_f32 v22, v23, v186
	v_fmac_f32_e32 v135, v16, v7
	v_fma_f32 v137, v15, v7, -v8
	ds_load_b128 v[5:8], v21 offset:784
	v_dual_add_f32 v23, v13, v185 :: v_dual_add_f32 v138, v22, v188
	ds_load_b128 v[13:16], v21 offset:800
	v_dual_add_f32 v139, v23, v187 :: v_dual_add_f32 v138, v138, v190
	;; [unrolled: 2-line block ×3, first 2 shown]
	s_delay_alu instid0(VALU_DEP_1) | instskip(SKIP_1) | instid1(VALU_DEP_1)
	v_dual_add_f32 v139, v139, v191 :: v_dual_add_f32 v132, v138, v132
	s_wait_loadcnt_dscnt 0x202
	v_dual_mul_f32 v142, v5, v2 :: v_dual_add_f32 v25, v139, v25
	s_delay_alu instid0(VALU_DEP_2) | instskip(SKIP_2) | instid1(VALU_DEP_4)
	v_add_f32_e32 v132, v132, v133
	v_mul_f32_e32 v2, v6, v2
	v_mul_f32_e32 v138, v7, v4
	v_dual_mul_f32 v4, v8, v4 :: v_dual_add_f32 v25, v25, v26
	s_delay_alu instid0(VALU_DEP_4) | instskip(NEXT) | instid1(VALU_DEP_4)
	v_add_f32_e32 v132, v132, v136
	v_fma_f32 v2, v5, v1, -v2
	s_wait_loadcnt_dscnt 0x101
	v_dual_fmac_f32 v142, v6, v1 :: v_dual_mul_f32 v139, v13, v10
	v_add_f32_e32 v25, v25, v134
	v_dual_add_f32 v1, v132, v137 :: v_dual_mul_f32 v6, v14, v10
	v_fmac_f32_e32 v138, v8, v3
	v_fma_f32 v3, v7, v3, -v4
	s_delay_alu instid0(VALU_DEP_4) | instskip(NEXT) | instid1(VALU_DEP_4)
	v_add_f32_e32 v5, v25, v135
	v_add_f32_e32 v1, v1, v2
	v_mul_f32_e32 v143, v15, v12
	v_dual_mul_f32 v4, v16, v12 :: v_dual_fmac_f32 v139, v14, v9
	s_delay_alu instid0(VALU_DEP_4)
	v_add_f32_e32 v2, v5, v142
	v_fma_f32 v5, v13, v9, -v6
	v_add_f32_e32 v1, v1, v3
	s_wait_loadcnt_dscnt 0x0
	v_mul_f32_e32 v26, v21, v18
	v_mul_f32_e32 v3, v22, v18
	v_dual_add_f32 v2, v2, v138 :: v_dual_fmac_f32 v143, v16, v11
	v_fma_f32 v4, v15, v11, -v4
	v_add_f32_e32 v1, v1, v5
	s_delay_alu instid0(VALU_DEP_3) | instskip(SKIP_2) | instid1(VALU_DEP_3)
	v_dual_mul_f32 v133, v23, v20 :: v_dual_add_f32 v2, v2, v139
	v_dual_mul_f32 v5, v24, v20 :: v_dual_fmac_f32 v26, v22, v17
	v_fma_f32 v3, v21, v17, -v3
	v_dual_add_f32 v1, v1, v4 :: v_dual_add_f32 v2, v2, v143
	s_delay_alu instid0(VALU_DEP_4) | instskip(NEXT) | instid1(VALU_DEP_4)
	v_fmac_f32_e32 v133, v24, v19
	v_fma_f32 v4, v23, v19, -v5
	s_delay_alu instid0(VALU_DEP_3) | instskip(NEXT) | instid1(VALU_DEP_1)
	v_dual_add_f32 v1, v1, v3 :: v_dual_add_f32 v2, v2, v26
	v_dual_add_f32 v1, v1, v4 :: v_dual_add_f32 v2, v2, v133
	s_delay_alu instid0(VALU_DEP_1)
	v_dual_sub_f32 v1, v140, v1 :: v_dual_sub_f32 v2, v141, v2
	scratch_store_b64 off, v[1:2], off offset:40
	v_cmpx_lt_u32_e32 4, v0
	s_cbranch_execz .LBB115_317
; %bb.316:
	scratch_load_b64 v[1:2], off, off offset:32
	v_mov_b32_e32 v3, 0
	s_delay_alu instid0(VALU_DEP_1)
	v_mov_b32_e32 v4, v3
	scratch_store_b64 off, v[3:4], off offset:32
	s_wait_loadcnt 0x0
	ds_store_b64 v27, v[1:2]
.LBB115_317:
	s_wait_alu 0xfffe
	s_or_b32 exec_lo, exec_lo, s0
	s_wait_storecnt_dscnt 0x0
	s_barrier_signal -1
	s_barrier_wait -1
	global_inv scope:SCOPE_SE
	s_clause 0x4
	scratch_load_b128 v[5:8], off, off offset:40
	scratch_load_b128 v[1:4], off, off offset:56
	;; [unrolled: 1-line block ×5, first 2 shown]
	v_mov_b32_e32 v21, 0
	ds_load_2addr_b64 v[22:25], v21 offset0:57 offset1:58
	ds_load_2addr_b64 v[132:135], v21 offset0:59 offset1:60
	;; [unrolled: 1-line block ×3, first 2 shown]
	scratch_load_b64 v[140:141], off, off offset:32
	s_mov_b32 s0, exec_lo
	s_wait_loadcnt_dscnt 0x502
	v_dual_mul_f32 v142, v22, v6 :: v_dual_mul_f32 v143, v24, v8
	v_mul_f32_e32 v26, v23, v6
	v_mul_f32_e32 v6, v25, v8
	s_wait_loadcnt_dscnt 0x300
	v_mul_f32_e32 v144, v138, v12
	v_dual_fmac_f32 v142, v23, v5 :: v_dual_fmac_f32 v143, v25, v7
	v_mul_f32_e32 v25, v134, v4
	v_fma_f32 v22, v22, v5, -v26
	v_mul_f32_e32 v26, v136, v10
	v_mul_f32_e32 v4, v135, v4
	s_delay_alu instid0(VALU_DEP_4)
	v_dual_mul_f32 v10, v137, v10 :: v_dual_fmac_f32 v25, v135, v3
	v_fma_f32 v23, v24, v7, -v6
	ds_load_2addr_b64 v[5:8], v21 offset0:63 offset1:64
	v_mul_f32_e32 v24, v132, v2
	v_mul_f32_e32 v12, v139, v12
	;; [unrolled: 1-line block ×3, first 2 shown]
	v_fmac_f32_e32 v26, v137, v9
	v_fmac_f32_e32 v144, v139, v11
	;; [unrolled: 1-line block ×3, first 2 shown]
	v_fma_f32 v133, v134, v3, -v4
	v_fma_f32 v134, v136, v9, -v10
	;; [unrolled: 1-line block ×3, first 2 shown]
	ds_load_2addr_b64 v[9:12], v21 offset0:65 offset1:66
	s_wait_loadcnt_dscnt 0x201
	v_dual_mul_f32 v137, v7, v16 :: v_dual_mul_f32 v136, v5, v14
	v_mul_f32_e32 v14, v6, v14
	v_mul_f32_e32 v16, v8, v16
	s_delay_alu instid0(VALU_DEP_3)
	v_fmac_f32_e32 v137, v8, v15
	v_fma_f32 v132, v132, v1, -v2
	scratch_load_b128 v[1:4], off, off offset:120
	v_fmac_f32_e32 v136, v6, v13
	v_fma_f32 v13, v5, v13, -v14
	v_fma_f32 v14, v7, v15, -v16
	s_wait_loadcnt_dscnt 0x200
	v_mul_f32_e32 v15, v9, v18
	v_mul_f32_e32 v16, v10, v18
	;; [unrolled: 1-line block ×4, first 2 shown]
	ds_load_2addr_b64 v[5:8], v21 offset0:67 offset1:68
	v_fmac_f32_e32 v15, v10, v17
	v_fma_f32 v16, v9, v17, -v16
	v_fmac_f32_e32 v18, v12, v19
	v_fma_f32 v17, v11, v19, -v20
	scratch_load_b128 v[9:12], off, off offset:136
	s_wait_loadcnt_dscnt 0x100
	v_mul_f32_e32 v19, v5, v2
	v_mul_f32_e32 v2, v6, v2
	;; [unrolled: 1-line block ×3, first 2 shown]
	s_delay_alu instid0(VALU_DEP_3) | instskip(NEXT) | instid1(VALU_DEP_3)
	v_dual_mul_f32 v4, v8, v4 :: v_dual_fmac_f32 v19, v6, v1
	v_fma_f32 v138, v5, v1, -v2
	s_delay_alu instid0(VALU_DEP_3) | instskip(NEXT) | instid1(VALU_DEP_3)
	v_fmac_f32_e32 v20, v8, v3
	v_fma_f32 v139, v7, v3, -v4
	ds_load_2addr_b64 v[1:4], v21 offset0:69 offset1:70
	ds_load_2addr_b64 v[5:8], v21 offset0:71 offset1:72
	s_wait_loadcnt_dscnt 0x1
	v_mul_f32_e32 v145, v1, v10
	v_mul_f32_e32 v10, v2, v10
	s_delay_alu instid0(VALU_DEP_2) | instskip(NEXT) | instid1(VALU_DEP_2)
	v_dual_mul_f32 v146, v3, v12 :: v_dual_fmac_f32 v145, v2, v9
	v_fma_f32 v147, v1, v9, -v10
	v_mul_f32_e32 v1, v4, v12
	s_delay_alu instid0(VALU_DEP_3) | instskip(NEXT) | instid1(VALU_DEP_2)
	v_fmac_f32_e32 v146, v4, v11
	v_fma_f32 v148, v3, v11, -v1
	s_clause 0x1
	scratch_load_b128 v[1:4], off, off offset:152
	scratch_load_b128 v[9:12], off, off offset:168
	s_wait_loadcnt_dscnt 0x100
	v_mul_f32_e32 v149, v5, v2
	v_dual_mul_f32 v2, v6, v2 :: v_dual_mul_f32 v151, v7, v4
	s_delay_alu instid0(VALU_DEP_2) | instskip(NEXT) | instid1(VALU_DEP_2)
	v_fmac_f32_e32 v149, v6, v1
	v_fma_f32 v150, v5, v1, -v2
	v_mul_f32_e32 v1, v8, v4
	s_delay_alu instid0(VALU_DEP_4) | instskip(NEXT) | instid1(VALU_DEP_2)
	v_fmac_f32_e32 v151, v8, v3
	v_fma_f32 v152, v7, v3, -v1
	ds_load_2addr_b64 v[1:4], v21 offset0:73 offset1:74
	ds_load_2addr_b64 v[5:8], v21 offset0:75 offset1:76
	s_wait_loadcnt_dscnt 0x1
	v_mul_f32_e32 v153, v1, v10
	v_mul_f32_e32 v155, v3, v12
	s_delay_alu instid0(VALU_DEP_2) | instskip(NEXT) | instid1(VALU_DEP_2)
	v_fmac_f32_e32 v153, v2, v9
	v_dual_mul_f32 v2, v2, v10 :: v_dual_fmac_f32 v155, v4, v11
	s_delay_alu instid0(VALU_DEP_1) | instskip(SKIP_1) | instid1(VALU_DEP_1)
	v_fma_f32 v154, v1, v9, -v2
	v_mul_f32_e32 v1, v4, v12
	v_fma_f32 v156, v3, v11, -v1
	s_clause 0x1
	scratch_load_b128 v[1:4], off, off offset:184
	scratch_load_b128 v[9:12], off, off offset:200
	s_wait_loadcnt_dscnt 0x100
	v_mul_f32_e32 v157, v5, v2
	v_dual_mul_f32 v2, v6, v2 :: v_dual_mul_f32 v159, v7, v4
	s_delay_alu instid0(VALU_DEP_2) | instskip(NEXT) | instid1(VALU_DEP_2)
	v_fmac_f32_e32 v157, v6, v1
	v_fma_f32 v158, v5, v1, -v2
	v_mul_f32_e32 v1, v8, v4
	s_delay_alu instid0(VALU_DEP_4) | instskip(NEXT) | instid1(VALU_DEP_2)
	v_fmac_f32_e32 v159, v8, v3
	v_fma_f32 v160, v7, v3, -v1
	ds_load_2addr_b64 v[1:4], v21 offset0:77 offset1:78
	ds_load_2addr_b64 v[5:8], v21 offset0:79 offset1:80
	s_wait_loadcnt_dscnt 0x1
	v_mul_f32_e32 v161, v1, v10
	v_mul_f32_e32 v163, v3, v12
	s_delay_alu instid0(VALU_DEP_2) | instskip(NEXT) | instid1(VALU_DEP_2)
	v_fmac_f32_e32 v161, v2, v9
	v_dual_mul_f32 v2, v2, v10 :: v_dual_fmac_f32 v163, v4, v11
	s_delay_alu instid0(VALU_DEP_1) | instskip(SKIP_1) | instid1(VALU_DEP_1)
	v_fma_f32 v162, v1, v9, -v2
	v_mul_f32_e32 v1, v4, v12
	v_fma_f32 v164, v3, v11, -v1
	s_clause 0x1
	scratch_load_b128 v[1:4], off, off offset:216
	scratch_load_b128 v[9:12], off, off offset:232
	s_wait_loadcnt_dscnt 0x100
	v_mul_f32_e32 v165, v5, v2
	v_dual_mul_f32 v2, v6, v2 :: v_dual_mul_f32 v167, v7, v4
	s_delay_alu instid0(VALU_DEP_1) | instskip(NEXT) | instid1(VALU_DEP_3)
	v_fma_f32 v166, v5, v1, -v2
	v_fmac_f32_e32 v165, v6, v1
	v_mul_f32_e32 v1, v8, v4
	s_delay_alu instid0(VALU_DEP_4) | instskip(NEXT) | instid1(VALU_DEP_2)
	v_fmac_f32_e32 v167, v8, v3
	v_fma_f32 v168, v7, v3, -v1
	ds_load_2addr_b64 v[1:4], v21 offset0:81 offset1:82
	ds_load_2addr_b64 v[5:8], v21 offset0:83 offset1:84
	s_wait_loadcnt_dscnt 0x1
	v_mul_f32_e32 v169, v1, v10
	v_mul_f32_e32 v171, v3, v12
	s_delay_alu instid0(VALU_DEP_1) | instskip(NEXT) | instid1(VALU_DEP_3)
	v_fmac_f32_e32 v171, v4, v11
	v_fmac_f32_e32 v169, v2, v9
	v_mul_f32_e32 v2, v2, v10
	s_delay_alu instid0(VALU_DEP_1) | instskip(SKIP_1) | instid1(VALU_DEP_1)
	v_fma_f32 v170, v1, v9, -v2
	v_mul_f32_e32 v1, v4, v12
	v_fma_f32 v172, v3, v11, -v1
	s_clause 0x1
	scratch_load_b128 v[1:4], off, off offset:248
	scratch_load_b128 v[9:12], off, off offset:264
	s_wait_loadcnt_dscnt 0x100
	v_mul_f32_e32 v173, v5, v2
	v_dual_mul_f32 v2, v6, v2 :: v_dual_mul_f32 v175, v7, v4
	s_delay_alu instid0(VALU_DEP_2) | instskip(NEXT) | instid1(VALU_DEP_2)
	v_fmac_f32_e32 v173, v6, v1
	v_fma_f32 v174, v5, v1, -v2
	v_mul_f32_e32 v1, v8, v4
	s_delay_alu instid0(VALU_DEP_4) | instskip(NEXT) | instid1(VALU_DEP_2)
	v_fmac_f32_e32 v175, v8, v3
	v_fma_f32 v176, v7, v3, -v1
	ds_load_2addr_b64 v[1:4], v21 offset0:85 offset1:86
	ds_load_2addr_b64 v[5:8], v21 offset0:87 offset1:88
	s_wait_loadcnt_dscnt 0x1
	v_mul_f32_e32 v177, v1, v10
	v_mul_f32_e32 v179, v3, v12
	s_delay_alu instid0(VALU_DEP_2) | instskip(NEXT) | instid1(VALU_DEP_2)
	v_fmac_f32_e32 v177, v2, v9
	v_dual_mul_f32 v2, v2, v10 :: v_dual_fmac_f32 v179, v4, v11
	s_delay_alu instid0(VALU_DEP_1) | instskip(SKIP_1) | instid1(VALU_DEP_1)
	v_fma_f32 v178, v1, v9, -v2
	v_mul_f32_e32 v1, v4, v12
	v_fma_f32 v180, v3, v11, -v1
	s_clause 0x1
	scratch_load_b128 v[1:4], off, off offset:280
	scratch_load_b128 v[9:12], off, off offset:296
	s_wait_loadcnt_dscnt 0x100
	v_mul_f32_e32 v181, v5, v2
	v_dual_mul_f32 v2, v6, v2 :: v_dual_mul_f32 v183, v7, v4
	s_delay_alu instid0(VALU_DEP_2) | instskip(NEXT) | instid1(VALU_DEP_2)
	v_fmac_f32_e32 v181, v6, v1
	v_fma_f32 v182, v5, v1, -v2
	v_mul_f32_e32 v1, v8, v4
	s_delay_alu instid0(VALU_DEP_4) | instskip(NEXT) | instid1(VALU_DEP_2)
	v_fmac_f32_e32 v183, v8, v3
	v_fma_f32 v184, v7, v3, -v1
	ds_load_2addr_b64 v[1:4], v21 offset0:89 offset1:90
	ds_load_2addr_b64 v[5:8], v21 offset0:91 offset1:92
	s_wait_loadcnt_dscnt 0x1
	v_mul_f32_e32 v185, v1, v10
	v_mul_f32_e32 v187, v3, v12
	s_delay_alu instid0(VALU_DEP_2) | instskip(NEXT) | instid1(VALU_DEP_2)
	v_fmac_f32_e32 v185, v2, v9
	v_dual_mul_f32 v2, v2, v10 :: v_dual_fmac_f32 v187, v4, v11
	s_delay_alu instid0(VALU_DEP_1) | instskip(SKIP_1) | instid1(VALU_DEP_1)
	v_fma_f32 v186, v1, v9, -v2
	v_mul_f32_e32 v1, v4, v12
	v_fma_f32 v188, v3, v11, -v1
	s_clause 0x1
	scratch_load_b128 v[1:4], off, off offset:312
	scratch_load_b128 v[9:12], off, off offset:328
	s_wait_loadcnt_dscnt 0x100
	v_mul_f32_e32 v189, v5, v2
	v_mul_f32_e32 v2, v6, v2
	s_delay_alu instid0(VALU_DEP_1) | instskip(SKIP_1) | instid1(VALU_DEP_1)
	v_fma_f32 v190, v5, v1, -v2
	v_add_f32_e32 v2, 0, v142
	v_add_f32_e32 v2, v2, v143
	s_delay_alu instid0(VALU_DEP_1) | instskip(NEXT) | instid1(VALU_DEP_1)
	v_add_f32_e32 v2, v2, v24
	v_add_f32_e32 v2, v2, v25
	s_delay_alu instid0(VALU_DEP_1) | instskip(NEXT) | instid1(VALU_DEP_1)
	;; [unrolled: 3-line block ×8, first 2 shown]
	v_add_f32_e32 v2, v2, v153
	v_add_f32_e32 v2, v2, v155
	s_delay_alu instid0(VALU_DEP_1) | instskip(SKIP_2) | instid1(VALU_DEP_3)
	v_add_f32_e32 v2, v2, v157
	v_fmac_f32_e32 v189, v6, v1
	v_mul_f32_e32 v1, v8, v4
	v_dual_mul_f32 v191, v7, v4 :: v_dual_add_f32 v2, v2, v159
	s_delay_alu instid0(VALU_DEP_2) | instskip(SKIP_1) | instid1(VALU_DEP_3)
	v_fma_f32 v192, v7, v3, -v1
	v_add_f32_e32 v1, 0, v22
	v_dual_fmac_f32 v191, v8, v3 :: v_dual_add_f32 v2, v2, v161
	s_delay_alu instid0(VALU_DEP_2) | instskip(NEXT) | instid1(VALU_DEP_2)
	v_add_f32_e32 v1, v1, v23
	v_add_f32_e32 v5, v2, v163
	s_delay_alu instid0(VALU_DEP_2) | instskip(NEXT) | instid1(VALU_DEP_1)
	v_add_f32_e32 v1, v1, v132
	v_add_f32_e32 v1, v1, v133
	scratch_load_b64 v[132:133], off, off offset:408
	v_add_f32_e32 v1, v1, v134
	s_delay_alu instid0(VALU_DEP_1) | instskip(NEXT) | instid1(VALU_DEP_1)
	v_add_f32_e32 v1, v1, v135
	v_add_f32_e32 v1, v1, v13
	s_delay_alu instid0(VALU_DEP_1) | instskip(NEXT) | instid1(VALU_DEP_1)
	v_add_f32_e32 v1, v1, v14
	;; [unrolled: 3-line block ×9, first 2 shown]
	v_add_f32_e32 v6, v1, v166
	scratch_load_b128 v[1:4], off, off offset:344
	v_dual_add_f32 v13, v5, v165 :: v_dual_add_f32 v14, v6, v168
	ds_load_2addr_b64 v[5:8], v21 offset0:93 offset1:94
	v_dual_add_f32 v13, v13, v167 :: v_dual_add_f32 v14, v14, v170
	s_delay_alu instid0(VALU_DEP_1) | instskip(NEXT) | instid1(VALU_DEP_1)
	v_add_f32_e32 v13, v13, v169
	v_dual_add_f32 v17, v14, v172 :: v_dual_add_f32 v18, v13, v171
	ds_load_2addr_b64 v[13:16], v21 offset0:95 offset1:96
	s_wait_loadcnt_dscnt 0x201
	v_mul_f32_e32 v26, v5, v10
	v_add_f32_e32 v18, v18, v173
	v_mul_f32_e32 v136, v7, v12
	v_mul_f32_e32 v10, v6, v10
	;; [unrolled: 1-line block ×3, first 2 shown]
	v_fmac_f32_e32 v26, v6, v9
	v_add_f32_e32 v18, v18, v175
	v_fmac_f32_e32 v136, v8, v11
	v_fma_f32 v137, v5, v9, -v10
	v_fma_f32 v138, v7, v11, -v12
	scratch_load_b128 v[5:8], off, off offset:360
	v_add_f32_e32 v22, v18, v177
	scratch_load_b128 v[9:12], off, off offset:376
	v_add_f32_e32 v22, v22, v179
	s_delay_alu instid0(VALU_DEP_1) | instskip(SKIP_1) | instid1(VALU_DEP_1)
	v_add_f32_e32 v22, v22, v181
	s_wait_loadcnt_dscnt 0x200
	v_dual_add_f32 v22, v22, v183 :: v_dual_mul_f32 v139, v13, v2
	v_mul_f32_e32 v2, v14, v2
	v_mul_f32_e32 v142, v15, v4
	s_delay_alu instid0(VALU_DEP_3) | instskip(NEXT) | instid1(VALU_DEP_3)
	v_dual_mul_f32 v4, v16, v4 :: v_dual_fmac_f32 v139, v14, v1
	v_fma_f32 v143, v13, v1, -v2
	s_delay_alu instid0(VALU_DEP_3) | instskip(NEXT) | instid1(VALU_DEP_3)
	v_dual_add_f32 v13, v22, v185 :: v_dual_fmac_f32 v142, v16, v3
	v_fma_f32 v144, v15, v3, -v4
	ds_load_2addr_b64 v[1:4], v21 offset0:97 offset1:98
	v_add_f32_e32 v22, v13, v187
	s_delay_alu instid0(VALU_DEP_1) | instskip(NEXT) | instid1(VALU_DEP_1)
	v_add_f32_e32 v135, v22, v189
	v_add_f32_e32 v146, v135, v191
	s_delay_alu instid0(VALU_DEP_1) | instskip(NEXT) | instid1(VALU_DEP_1)
	v_add_f32_e32 v26, v146, v26
	;; [unrolled: 3-line block ×3, first 2 shown]
	v_add_f32_e32 v26, v26, v142
	v_add_f32_e32 v17, v17, v174
	s_delay_alu instid0(VALU_DEP_1) | instskip(NEXT) | instid1(VALU_DEP_1)
	v_add_f32_e32 v17, v17, v176
	v_add_f32_e32 v17, v17, v178
	s_delay_alu instid0(VALU_DEP_1) | instskip(SKIP_2) | instid1(VALU_DEP_1)
	v_add_f32_e32 v23, v17, v180
	scratch_load_b128 v[17:20], off, off offset:392
	v_add_f32_e32 v23, v23, v182
	v_add_f32_e32 v23, v23, v184
	s_delay_alu instid0(VALU_DEP_1) | instskip(NEXT) | instid1(VALU_DEP_1)
	v_add_f32_e32 v23, v23, v186
	v_add_f32_e32 v14, v23, v188
	ds_load_2addr_b64 v[22:25], v21 offset0:101 offset1:102
	v_add_f32_e32 v134, v14, v190
	ds_load_2addr_b64 v[13:16], v21 offset0:99 offset1:100
	s_wait_loadcnt_dscnt 0x202
	v_mul_f32_e32 v136, v3, v8
	v_mul_f32_e32 v8, v4, v8
	v_add_f32_e32 v145, v134, v192
	ds_load_b64 v[134:135], v21 offset:824
	s_wait_loadcnt_dscnt 0x101
	v_dual_fmac_f32 v136, v4, v7 :: v_dual_mul_f32 v139, v15, v12
	s_wait_dscnt 0x0
	s_delay_alu instid0(VALU_DEP_1) | instskip(NEXT) | instid1(VALU_DEP_1)
	v_dual_mul_f32 v142, v134, v133 :: v_dual_fmac_f32 v139, v16, v11
	v_dual_fmac_f32 v142, v135, v132 :: v_dual_add_f32 v137, v145, v137
	v_mul_f32_e32 v145, v1, v6
	v_mul_f32_e32 v6, v2, v6
	s_delay_alu instid0(VALU_DEP_3) | instskip(NEXT) | instid1(VALU_DEP_3)
	v_add_f32_e32 v137, v137, v138
	v_fmac_f32_e32 v145, v2, v5
	s_delay_alu instid0(VALU_DEP_3)
	v_fma_f32 v1, v1, v5, -v6
	v_mul_f32_e32 v138, v13, v10
	v_fma_f32 v2, v3, v7, -v8
	v_add_f32_e32 v137, v137, v143
	v_mul_f32_e32 v3, v14, v10
	v_dual_add_f32 v4, v26, v145 :: v_dual_mul_f32 v5, v16, v12
	s_delay_alu instid0(VALU_DEP_3) | instskip(NEXT) | instid1(VALU_DEP_3)
	v_dual_fmac_f32 v138, v14, v9 :: v_dual_add_f32 v137, v137, v144
	v_fma_f32 v3, v13, v9, -v3
	s_delay_alu instid0(VALU_DEP_3) | instskip(NEXT) | instid1(VALU_DEP_3)
	v_fma_f32 v5, v15, v11, -v5
	v_add_f32_e32 v1, v137, v1
	s_delay_alu instid0(VALU_DEP_1) | instskip(NEXT) | instid1(VALU_DEP_1)
	v_dual_add_f32 v1, v1, v2 :: v_dual_add_f32 v2, v4, v136
	v_dual_add_f32 v1, v1, v3 :: v_dual_add_f32 v2, v2, v138
	s_delay_alu instid0(VALU_DEP_1)
	v_dual_add_f32 v1, v1, v5 :: v_dual_add_f32 v2, v2, v139
	v_mul_f32_e32 v5, v135, v133
	s_wait_loadcnt 0x0
	v_mul_f32_e32 v143, v22, v18
	v_mul_f32_e32 v4, v23, v18
	;; [unrolled: 1-line block ×4, first 2 shown]
	s_delay_alu instid0(VALU_DEP_4) | instskip(NEXT) | instid1(VALU_DEP_4)
	v_fmac_f32_e32 v143, v23, v17
	v_fma_f32 v4, v22, v17, -v4
	s_delay_alu instid0(VALU_DEP_4) | instskip(NEXT) | instid1(VALU_DEP_4)
	v_fmac_f32_e32 v144, v25, v19
	v_fma_f32 v3, v24, v19, -v3
	s_delay_alu instid0(VALU_DEP_3) | instskip(SKIP_1) | instid1(VALU_DEP_2)
	v_dual_add_f32 v2, v2, v143 :: v_dual_add_f32 v1, v1, v4
	v_fma_f32 v4, v134, v132, -v5
	v_dual_add_f32 v2, v2, v144 :: v_dual_add_f32 v1, v1, v3
	s_delay_alu instid0(VALU_DEP_1) | instskip(NEXT) | instid1(VALU_DEP_1)
	v_dual_add_f32 v2, v2, v142 :: v_dual_add_f32 v1, v1, v4
	v_dual_sub_f32 v2, v141, v2 :: v_dual_sub_f32 v1, v140, v1
	scratch_store_b64 off, v[1:2], off offset:32
	v_cmpx_lt_u32_e32 3, v0
	s_cbranch_execz .LBB115_319
; %bb.318:
	scratch_load_b64 v[1:2], off, off offset:24
	v_mov_b32_e32 v22, v21
	scratch_store_b64 off, v[21:22], off offset:24
	s_wait_loadcnt 0x0
	ds_store_b64 v27, v[1:2]
.LBB115_319:
	s_wait_alu 0xfffe
	s_or_b32 exec_lo, exec_lo, s0
	s_wait_storecnt_dscnt 0x0
	s_barrier_signal -1
	s_barrier_wait -1
	global_inv scope:SCOPE_SE
	s_clause 0x4
	scratch_load_b128 v[5:8], off, off offset:32
	scratch_load_b128 v[1:4], off, off offset:48
	;; [unrolled: 1-line block ×5, first 2 shown]
	ds_load_b128 v[22:25], v21 offset:448
	ds_load_b128 v[132:135], v21 offset:464
	ds_load_b128 v[136:139], v21 offset:480
	scratch_load_b64 v[140:141], off, off offset:24
	s_mov_b32 s0, exec_lo
	s_wait_loadcnt_dscnt 0x502
	v_dual_mul_f32 v26, v23, v6 :: v_dual_mul_f32 v143, v24, v8
	v_mul_f32_e32 v142, v22, v6
	v_mul_f32_e32 v6, v25, v8
	s_wait_loadcnt_dscnt 0x300
	v_mul_f32_e32 v144, v138, v12
	v_fma_f32 v22, v22, v5, -v26
	v_dual_fmac_f32 v143, v25, v7 :: v_dual_fmac_f32 v142, v23, v5
	v_mul_f32_e32 v25, v134, v4
	v_mul_f32_e32 v4, v135, v4
	;; [unrolled: 1-line block ×5, first 2 shown]
	v_fmac_f32_e32 v25, v135, v3
	v_fma_f32 v23, v24, v7, -v6
	ds_load_b128 v[5:8], v21 offset:496
	v_mul_f32_e32 v24, v132, v2
	v_mul_f32_e32 v2, v133, v2
	v_fmac_f32_e32 v26, v137, v9
	v_fmac_f32_e32 v144, v139, v11
	v_fma_f32 v135, v138, v11, -v12
	v_fmac_f32_e32 v24, v133, v1
	v_fma_f32 v133, v134, v3, -v4
	v_fma_f32 v134, v136, v9, -v10
	ds_load_b128 v[9:12], v21 offset:512
	s_wait_loadcnt_dscnt 0x201
	v_dual_mul_f32 v137, v7, v16 :: v_dual_mul_f32 v136, v5, v14
	v_mul_f32_e32 v14, v6, v14
	v_mul_f32_e32 v16, v8, v16
	s_delay_alu instid0(VALU_DEP_3)
	v_fmac_f32_e32 v137, v8, v15
	v_fma_f32 v132, v132, v1, -v2
	scratch_load_b128 v[1:4], off, off offset:112
	v_fmac_f32_e32 v136, v6, v13
	v_fma_f32 v13, v5, v13, -v14
	v_fma_f32 v14, v7, v15, -v16
	s_wait_loadcnt_dscnt 0x200
	v_mul_f32_e32 v15, v9, v18
	v_mul_f32_e32 v16, v10, v18
	;; [unrolled: 1-line block ×4, first 2 shown]
	ds_load_b128 v[5:8], v21 offset:528
	v_fmac_f32_e32 v15, v10, v17
	v_fma_f32 v16, v9, v17, -v16
	v_fmac_f32_e32 v18, v12, v19
	v_fma_f32 v17, v11, v19, -v20
	scratch_load_b128 v[9:12], off, off offset:128
	s_wait_loadcnt_dscnt 0x100
	v_mul_f32_e32 v19, v5, v2
	v_mul_f32_e32 v2, v6, v2
	;; [unrolled: 1-line block ×3, first 2 shown]
	s_delay_alu instid0(VALU_DEP_3) | instskip(NEXT) | instid1(VALU_DEP_3)
	v_dual_mul_f32 v4, v8, v4 :: v_dual_fmac_f32 v19, v6, v1
	v_fma_f32 v138, v5, v1, -v2
	s_delay_alu instid0(VALU_DEP_3) | instskip(NEXT) | instid1(VALU_DEP_3)
	v_fmac_f32_e32 v20, v8, v3
	v_fma_f32 v139, v7, v3, -v4
	ds_load_b128 v[1:4], v21 offset:544
	ds_load_b128 v[5:8], v21 offset:560
	s_wait_loadcnt_dscnt 0x1
	v_mul_f32_e32 v145, v1, v10
	v_mul_f32_e32 v10, v2, v10
	s_delay_alu instid0(VALU_DEP_2) | instskip(NEXT) | instid1(VALU_DEP_2)
	v_dual_mul_f32 v146, v3, v12 :: v_dual_fmac_f32 v145, v2, v9
	v_fma_f32 v147, v1, v9, -v10
	v_mul_f32_e32 v1, v4, v12
	s_delay_alu instid0(VALU_DEP_3) | instskip(NEXT) | instid1(VALU_DEP_2)
	v_fmac_f32_e32 v146, v4, v11
	v_fma_f32 v148, v3, v11, -v1
	s_clause 0x1
	scratch_load_b128 v[1:4], off, off offset:144
	scratch_load_b128 v[9:12], off, off offset:160
	s_wait_loadcnt_dscnt 0x100
	v_mul_f32_e32 v149, v5, v2
	v_dual_mul_f32 v2, v6, v2 :: v_dual_mul_f32 v151, v7, v4
	s_delay_alu instid0(VALU_DEP_2) | instskip(NEXT) | instid1(VALU_DEP_2)
	v_fmac_f32_e32 v149, v6, v1
	v_fma_f32 v150, v5, v1, -v2
	v_mul_f32_e32 v1, v8, v4
	s_delay_alu instid0(VALU_DEP_4) | instskip(NEXT) | instid1(VALU_DEP_2)
	v_fmac_f32_e32 v151, v8, v3
	v_fma_f32 v152, v7, v3, -v1
	ds_load_b128 v[1:4], v21 offset:576
	ds_load_b128 v[5:8], v21 offset:592
	s_wait_loadcnt_dscnt 0x1
	v_mul_f32_e32 v153, v1, v10
	v_mul_f32_e32 v155, v3, v12
	s_delay_alu instid0(VALU_DEP_2) | instskip(NEXT) | instid1(VALU_DEP_2)
	v_fmac_f32_e32 v153, v2, v9
	v_dual_mul_f32 v2, v2, v10 :: v_dual_fmac_f32 v155, v4, v11
	s_delay_alu instid0(VALU_DEP_1) | instskip(SKIP_1) | instid1(VALU_DEP_1)
	v_fma_f32 v154, v1, v9, -v2
	v_mul_f32_e32 v1, v4, v12
	v_fma_f32 v156, v3, v11, -v1
	s_clause 0x1
	scratch_load_b128 v[1:4], off, off offset:176
	scratch_load_b128 v[9:12], off, off offset:192
	s_wait_loadcnt_dscnt 0x100
	v_mul_f32_e32 v157, v5, v2
	v_dual_mul_f32 v2, v6, v2 :: v_dual_mul_f32 v159, v7, v4
	s_delay_alu instid0(VALU_DEP_2) | instskip(NEXT) | instid1(VALU_DEP_2)
	v_fmac_f32_e32 v157, v6, v1
	v_fma_f32 v158, v5, v1, -v2
	v_mul_f32_e32 v1, v8, v4
	s_delay_alu instid0(VALU_DEP_4) | instskip(NEXT) | instid1(VALU_DEP_2)
	v_fmac_f32_e32 v159, v8, v3
	v_fma_f32 v160, v7, v3, -v1
	ds_load_b128 v[1:4], v21 offset:608
	ds_load_b128 v[5:8], v21 offset:624
	s_wait_loadcnt_dscnt 0x1
	v_mul_f32_e32 v161, v1, v10
	v_mul_f32_e32 v163, v3, v12
	s_delay_alu instid0(VALU_DEP_2) | instskip(NEXT) | instid1(VALU_DEP_2)
	v_fmac_f32_e32 v161, v2, v9
	v_dual_mul_f32 v2, v2, v10 :: v_dual_fmac_f32 v163, v4, v11
	s_delay_alu instid0(VALU_DEP_1) | instskip(SKIP_1) | instid1(VALU_DEP_1)
	v_fma_f32 v162, v1, v9, -v2
	v_mul_f32_e32 v1, v4, v12
	;; [unrolled: 25-line block ×3, first 2 shown]
	v_fma_f32 v172, v3, v11, -v1
	s_clause 0x1
	scratch_load_b128 v[1:4], off, off offset:240
	scratch_load_b128 v[9:12], off, off offset:256
	s_wait_loadcnt_dscnt 0x100
	v_mul_f32_e32 v173, v5, v2
	v_dual_mul_f32 v2, v6, v2 :: v_dual_mul_f32 v175, v7, v4
	s_delay_alu instid0(VALU_DEP_1) | instskip(NEXT) | instid1(VALU_DEP_2)
	v_fma_f32 v174, v5, v1, -v2
	v_fmac_f32_e32 v175, v8, v3
	s_delay_alu instid0(VALU_DEP_4) | instskip(SKIP_1) | instid1(VALU_DEP_1)
	v_fmac_f32_e32 v173, v6, v1
	v_mul_f32_e32 v1, v8, v4
	v_fma_f32 v176, v7, v3, -v1
	ds_load_b128 v[1:4], v21 offset:672
	ds_load_b128 v[5:8], v21 offset:688
	s_wait_loadcnt_dscnt 0x1
	v_mul_f32_e32 v177, v1, v10
	v_mul_f32_e32 v179, v3, v12
	s_delay_alu instid0(VALU_DEP_2) | instskip(NEXT) | instid1(VALU_DEP_2)
	v_fmac_f32_e32 v177, v2, v9
	v_dual_mul_f32 v2, v2, v10 :: v_dual_fmac_f32 v179, v4, v11
	s_delay_alu instid0(VALU_DEP_1) | instskip(SKIP_1) | instid1(VALU_DEP_1)
	v_fma_f32 v178, v1, v9, -v2
	v_mul_f32_e32 v1, v4, v12
	v_fma_f32 v180, v3, v11, -v1
	s_clause 0x1
	scratch_load_b128 v[1:4], off, off offset:272
	scratch_load_b128 v[9:12], off, off offset:288
	s_wait_loadcnt_dscnt 0x100
	v_mul_f32_e32 v181, v5, v2
	v_dual_mul_f32 v2, v6, v2 :: v_dual_mul_f32 v183, v7, v4
	s_delay_alu instid0(VALU_DEP_2) | instskip(NEXT) | instid1(VALU_DEP_2)
	v_fmac_f32_e32 v181, v6, v1
	v_fma_f32 v182, v5, v1, -v2
	v_mul_f32_e32 v1, v8, v4
	s_delay_alu instid0(VALU_DEP_4) | instskip(NEXT) | instid1(VALU_DEP_2)
	v_fmac_f32_e32 v183, v8, v3
	v_fma_f32 v184, v7, v3, -v1
	ds_load_b128 v[1:4], v21 offset:704
	ds_load_b128 v[5:8], v21 offset:720
	s_wait_loadcnt_dscnt 0x1
	v_mul_f32_e32 v185, v1, v10
	v_mul_f32_e32 v187, v3, v12
	s_delay_alu instid0(VALU_DEP_2) | instskip(NEXT) | instid1(VALU_DEP_2)
	v_fmac_f32_e32 v185, v2, v9
	v_dual_mul_f32 v2, v2, v10 :: v_dual_fmac_f32 v187, v4, v11
	s_delay_alu instid0(VALU_DEP_1) | instskip(SKIP_1) | instid1(VALU_DEP_1)
	v_fma_f32 v186, v1, v9, -v2
	v_mul_f32_e32 v1, v4, v12
	v_fma_f32 v188, v3, v11, -v1
	s_clause 0x1
	scratch_load_b128 v[1:4], off, off offset:304
	scratch_load_b128 v[9:12], off, off offset:320
	s_wait_loadcnt_dscnt 0x100
	v_mul_f32_e32 v189, v5, v2
	v_dual_mul_f32 v2, v6, v2 :: v_dual_mul_f32 v191, v7, v4
	s_delay_alu instid0(VALU_DEP_2) | instskip(NEXT) | instid1(VALU_DEP_2)
	v_fmac_f32_e32 v189, v6, v1
	v_fma_f32 v190, v5, v1, -v2
	v_mul_f32_e32 v1, v8, v4
	s_delay_alu instid0(VALU_DEP_4) | instskip(NEXT) | instid1(VALU_DEP_2)
	v_fmac_f32_e32 v191, v8, v3
	v_fma_f32 v192, v7, v3, -v1
	ds_load_b128 v[1:4], v21 offset:736
	ds_load_b128 v[5:8], v21 offset:752
	s_wait_loadcnt_dscnt 0x1
	v_mul_f32_e32 v193, v1, v10
	v_mul_f32_e32 v195, v3, v12
	s_delay_alu instid0(VALU_DEP_2) | instskip(NEXT) | instid1(VALU_DEP_2)
	v_fmac_f32_e32 v193, v2, v9
	v_dual_mul_f32 v2, v2, v10 :: v_dual_fmac_f32 v195, v4, v11
	s_delay_alu instid0(VALU_DEP_1) | instskip(SKIP_1) | instid1(VALU_DEP_1)
	v_fma_f32 v194, v1, v9, -v2
	v_mul_f32_e32 v1, v4, v12
	v_fma_f32 v196, v3, v11, -v1
	s_clause 0x1
	scratch_load_b128 v[1:4], off, off offset:336
	scratch_load_b128 v[9:12], off, off offset:352
	s_wait_loadcnt_dscnt 0x100
	v_mul_f32_e32 v197, v5, v2
	v_mul_f32_e32 v2, v6, v2
	s_delay_alu instid0(VALU_DEP_2) | instskip(NEXT) | instid1(VALU_DEP_2)
	v_fmac_f32_e32 v197, v6, v1
	v_fma_f32 v198, v5, v1, -v2
	v_add_f32_e32 v2, 0, v142
	s_delay_alu instid0(VALU_DEP_1) | instskip(NEXT) | instid1(VALU_DEP_1)
	v_add_f32_e32 v2, v2, v143
	v_add_f32_e32 v2, v2, v24
	s_delay_alu instid0(VALU_DEP_1) | instskip(NEXT) | instid1(VALU_DEP_1)
	v_add_f32_e32 v2, v2, v25
	;; [unrolled: 3-line block ×3, first 2 shown]
	v_add_f32_e32 v2, v2, v136
	s_delay_alu instid0(VALU_DEP_1) | instskip(NEXT) | instid1(VALU_DEP_1)
	v_dual_mul_f32 v1, v8, v4 :: v_dual_add_f32 v2, v2, v137
	v_fma_f32 v200, v7, v3, -v1
	s_delay_alu instid0(VALU_DEP_2) | instskip(NEXT) | instid1(VALU_DEP_1)
	v_dual_add_f32 v1, 0, v22 :: v_dual_add_f32 v2, v2, v15
	v_dual_add_f32 v1, v1, v23 :: v_dual_add_f32 v2, v2, v18
	s_delay_alu instid0(VALU_DEP_1) | instskip(NEXT) | instid1(VALU_DEP_1)
	v_dual_add_f32 v1, v1, v132 :: v_dual_add_f32 v2, v2, v19
	v_dual_add_f32 v1, v1, v133 :: v_dual_add_f32 v2, v2, v20
	s_delay_alu instid0(VALU_DEP_1) | instskip(NEXT) | instid1(VALU_DEP_1)
	;; [unrolled: 3-line block ×3, first 2 shown]
	v_add_f32_e32 v1, v1, v13
	v_dual_add_f32 v2, v2, v149 :: v_dual_add_f32 v1, v1, v14
	s_delay_alu instid0(VALU_DEP_1) | instskip(NEXT) | instid1(VALU_DEP_1)
	v_dual_add_f32 v2, v2, v151 :: v_dual_add_f32 v1, v1, v16
	v_add_f32_e32 v2, v2, v153
	s_delay_alu instid0(VALU_DEP_1) | instskip(NEXT) | instid1(VALU_DEP_1)
	v_dual_add_f32 v1, v1, v17 :: v_dual_add_f32 v2, v2, v155
	v_dual_add_f32 v1, v1, v138 :: v_dual_add_f32 v2, v2, v157
	s_delay_alu instid0(VALU_DEP_1) | instskip(NEXT) | instid1(VALU_DEP_2)
	v_add_f32_e32 v1, v1, v139
	v_add_f32_e32 v2, v2, v159
	s_delay_alu instid0(VALU_DEP_1) | instskip(NEXT) | instid1(VALU_DEP_1)
	v_dual_add_f32 v1, v1, v147 :: v_dual_add_f32 v2, v2, v161
	v_dual_add_f32 v1, v1, v148 :: v_dual_add_f32 v2, v2, v163
	s_delay_alu instid0(VALU_DEP_1) | instskip(NEXT) | instid1(VALU_DEP_1)
	v_dual_add_f32 v1, v1, v150 :: v_dual_add_f32 v2, v2, v165
	v_dual_add_f32 v1, v1, v152 :: v_dual_add_f32 v2, v2, v167
	s_delay_alu instid0(VALU_DEP_1) | instskip(NEXT) | instid1(VALU_DEP_1)
	v_add_f32_e32 v1, v1, v154
	v_add_f32_e32 v1, v1, v156
	s_delay_alu instid0(VALU_DEP_1) | instskip(NEXT) | instid1(VALU_DEP_1)
	v_add_f32_e32 v1, v1, v158
	v_add_f32_e32 v1, v1, v160
	;; [unrolled: 3-line block ×5, first 2 shown]
	v_mul_f32_e32 v199, v7, v4
	v_add_f32_e32 v5, v2, v169
	s_delay_alu instid0(VALU_DEP_2) | instskip(SKIP_3) | instid1(VALU_DEP_2)
	v_dual_add_f32 v6, v6, v174 :: v_dual_fmac_f32 v199, v8, v3
	ds_load_b128 v[1:4], v21 offset:768
	v_add_f32_e32 v5, v5, v171
	v_add_f32_e32 v13, v6, v176
	;; [unrolled: 1-line block ×3, first 2 shown]
	s_delay_alu instid0(VALU_DEP_2) | instskip(NEXT) | instid1(VALU_DEP_2)
	v_add_f32_e32 v13, v13, v178
	v_add_f32_e32 v14, v5, v175
	ds_load_b128 v[5:8], v21 offset:784
	v_add_f32_e32 v13, v13, v180
	s_delay_alu instid0(VALU_DEP_1)
	v_add_f32_e32 v13, v13, v182
	s_wait_loadcnt_dscnt 0x1
	v_dual_mul_f32 v25, v1, v10 :: v_dual_mul_f32 v26, v3, v12
	v_mul_f32_e32 v10, v2, v10
	v_mul_f32_e32 v12, v4, v12
	v_add_f32_e32 v14, v14, v177
	s_delay_alu instid0(VALU_DEP_4) | instskip(NEXT) | instid1(VALU_DEP_4)
	v_dual_fmac_f32 v25, v2, v9 :: v_dual_fmac_f32 v26, v4, v11
	v_fma_f32 v132, v1, v9, -v10
	s_delay_alu instid0(VALU_DEP_4) | instskip(SKIP_4) | instid1(VALU_DEP_1)
	v_fma_f32 v133, v3, v11, -v12
	s_clause 0x1
	scratch_load_b128 v[1:4], off, off offset:368
	scratch_load_b128 v[9:12], off, off offset:384
	v_add_f32_e32 v14, v14, v179
	v_dual_add_f32 v18, v13, v184 :: v_dual_add_f32 v17, v14, v181
	scratch_load_b128 v[13:16], off, off offset:400
	v_dual_add_f32 v18, v18, v186 :: v_dual_add_f32 v17, v17, v183
	s_delay_alu instid0(VALU_DEP_1) | instskip(NEXT) | instid1(VALU_DEP_1)
	v_dual_add_f32 v18, v18, v188 :: v_dual_add_f32 v17, v17, v185
	v_dual_add_f32 v22, v18, v190 :: v_dual_add_f32 v17, v17, v187
	s_delay_alu instid0(VALU_DEP_1) | instskip(SKIP_4) | instid1(VALU_DEP_1)
	v_dual_add_f32 v134, v22, v192 :: v_dual_add_f32 v23, v17, v189
	ds_load_b128 v[17:20], v21 offset:800
	v_dual_add_f32 v134, v134, v194 :: v_dual_add_f32 v135, v23, v191
	ds_load_b128 v[21:24], v21 offset:816
	v_add_f32_e32 v134, v134, v196
	v_add_f32_e32 v134, v134, v198
	s_delay_alu instid0(VALU_DEP_1) | instskip(NEXT) | instid1(VALU_DEP_1)
	v_add_f32_e32 v134, v134, v200
	v_add_f32_e32 v132, v134, v132
	s_wait_loadcnt_dscnt 0x202
	v_dual_mul_f32 v136, v5, v2 :: v_dual_add_f32 v135, v135, v193
	s_wait_loadcnt_dscnt 0x101
	v_mul_f32_e32 v138, v17, v10
	v_dual_mul_f32 v2, v6, v2 :: v_dual_mul_f32 v137, v7, v4
	s_delay_alu instid0(VALU_DEP_3) | instskip(SKIP_1) | instid1(VALU_DEP_3)
	v_dual_mul_f32 v4, v8, v4 :: v_dual_add_f32 v135, v135, v195
	v_fmac_f32_e32 v136, v6, v1
	v_fma_f32 v2, v5, v1, -v2
	v_dual_add_f32 v1, v132, v133 :: v_dual_mul_f32 v6, v18, v10
	s_delay_alu instid0(VALU_DEP_4) | instskip(SKIP_2) | instid1(VALU_DEP_4)
	v_add_f32_e32 v135, v135, v197
	v_fmac_f32_e32 v137, v8, v3
	v_fma_f32 v3, v7, v3, -v4
	v_add_f32_e32 v1, v1, v2
	v_mul_f32_e32 v139, v19, v12
	v_dual_add_f32 v135, v135, v199 :: v_dual_mul_f32 v4, v20, v12
	s_delay_alu instid0(VALU_DEP_3) | instskip(SKIP_1) | instid1(VALU_DEP_2)
	v_dual_fmac_f32 v138, v18, v9 :: v_dual_add_f32 v1, v1, v3
	s_wait_loadcnt_dscnt 0x0
	v_dual_mul_f32 v142, v21, v14 :: v_dual_add_f32 v25, v135, v25
	v_mul_f32_e32 v3, v22, v14
	v_fmac_f32_e32 v139, v20, v11
	v_fma_f32 v4, v19, v11, -v4
	s_delay_alu instid0(VALU_DEP_4) | instskip(SKIP_2) | instid1(VALU_DEP_3)
	v_dual_mul_f32 v134, v23, v16 :: v_dual_add_f32 v5, v25, v26
	v_fmac_f32_e32 v142, v22, v13
	v_fma_f32 v3, v21, v13, -v3
	v_fmac_f32_e32 v134, v24, v15
	s_delay_alu instid0(VALU_DEP_4) | instskip(SKIP_1) | instid1(VALU_DEP_2)
	v_add_f32_e32 v2, v5, v136
	v_fma_f32 v5, v17, v9, -v6
	v_add_f32_e32 v2, v2, v137
	s_delay_alu instid0(VALU_DEP_2) | instskip(NEXT) | instid1(VALU_DEP_2)
	v_add_f32_e32 v1, v1, v5
	v_dual_mul_f32 v5, v24, v16 :: v_dual_add_f32 v2, v2, v138
	s_delay_alu instid0(VALU_DEP_2) | instskip(NEXT) | instid1(VALU_DEP_2)
	v_add_f32_e32 v1, v1, v4
	v_fma_f32 v4, v23, v15, -v5
	s_delay_alu instid0(VALU_DEP_3) | instskip(NEXT) | instid1(VALU_DEP_1)
	v_add_f32_e32 v2, v2, v139
	v_dual_add_f32 v1, v1, v3 :: v_dual_add_f32 v2, v2, v142
	s_delay_alu instid0(VALU_DEP_1) | instskip(NEXT) | instid1(VALU_DEP_1)
	v_dual_add_f32 v1, v1, v4 :: v_dual_add_f32 v2, v2, v134
	v_dual_sub_f32 v1, v140, v1 :: v_dual_sub_f32 v2, v141, v2
	scratch_store_b64 off, v[1:2], off offset:24
	v_cmpx_lt_u32_e32 2, v0
	s_cbranch_execz .LBB115_321
; %bb.320:
	scratch_load_b64 v[1:2], off, off offset:16
	v_mov_b32_e32 v3, 0
	s_delay_alu instid0(VALU_DEP_1)
	v_mov_b32_e32 v4, v3
	scratch_store_b64 off, v[3:4], off offset:16
	s_wait_loadcnt 0x0
	ds_store_b64 v27, v[1:2]
.LBB115_321:
	s_wait_alu 0xfffe
	s_or_b32 exec_lo, exec_lo, s0
	s_wait_storecnt_dscnt 0x0
	s_barrier_signal -1
	s_barrier_wait -1
	global_inv scope:SCOPE_SE
	s_clause 0x4
	scratch_load_b128 v[5:8], off, off offset:24
	scratch_load_b128 v[1:4], off, off offset:40
	;; [unrolled: 1-line block ×5, first 2 shown]
	v_mov_b32_e32 v25, 0
	ds_load_2addr_b64 v[21:24], v25 offset0:55 offset1:56
	ds_load_2addr_b64 v[132:135], v25 offset0:57 offset1:58
	;; [unrolled: 1-line block ×3, first 2 shown]
	scratch_load_b64 v[140:141], off, off offset:16
	s_mov_b32 s0, exec_lo
	s_wait_loadcnt_dscnt 0x502
	v_mul_f32_e32 v26, v22, v6
	v_dual_mul_f32 v142, v21, v6 :: v_dual_mul_f32 v143, v23, v8
	v_mul_f32_e32 v6, v24, v8
	s_wait_loadcnt_dscnt 0x300
	v_mul_f32_e32 v144, v138, v12
	v_fma_f32 v21, v21, v5, -v26
	v_dual_fmac_f32 v142, v22, v5 :: v_dual_fmac_f32 v143, v24, v7
	v_fma_f32 v22, v23, v7, -v6
	ds_load_2addr_b64 v[5:8], v25 offset0:61 offset1:62
	v_dual_mul_f32 v23, v132, v2 :: v_dual_mul_f32 v24, v134, v4
	v_mul_f32_e32 v4, v135, v4
	v_mul_f32_e32 v26, v136, v10
	;; [unrolled: 1-line block ×5, first 2 shown]
	v_dual_fmac_f32 v23, v133, v1 :: v_dual_fmac_f32 v24, v135, v3
	v_fma_f32 v133, v134, v3, -v4
	v_fmac_f32_e32 v26, v137, v9
	v_fma_f32 v134, v136, v9, -v10
	v_fmac_f32_e32 v144, v139, v11
	v_fma_f32 v135, v138, v11, -v12
	ds_load_2addr_b64 v[9:12], v25 offset0:63 offset1:64
	s_wait_loadcnt_dscnt 0x201
	v_mul_f32_e32 v137, v7, v16
	v_fma_f32 v132, v132, v1, -v2
	scratch_load_b128 v[1:4], off, off offset:104
	v_mul_f32_e32 v136, v5, v14
	v_mul_f32_e32 v14, v6, v14
	;; [unrolled: 1-line block ×3, first 2 shown]
	s_delay_alu instid0(VALU_DEP_3) | instskip(NEXT) | instid1(VALU_DEP_3)
	v_dual_fmac_f32 v137, v8, v15 :: v_dual_fmac_f32 v136, v6, v13
	v_fma_f32 v13, v5, v13, -v14
	s_delay_alu instid0(VALU_DEP_3)
	v_fma_f32 v14, v7, v15, -v16
	ds_load_2addr_b64 v[5:8], v25 offset0:65 offset1:66
	s_wait_loadcnt_dscnt 0x201
	v_mul_f32_e32 v15, v9, v18
	v_mul_f32_e32 v16, v10, v18
	;; [unrolled: 1-line block ×3, first 2 shown]
	s_delay_alu instid0(VALU_DEP_3) | instskip(NEXT) | instid1(VALU_DEP_3)
	v_dual_mul_f32 v20, v12, v20 :: v_dual_fmac_f32 v15, v10, v17
	v_fma_f32 v16, v9, v17, -v16
	s_delay_alu instid0(VALU_DEP_3) | instskip(NEXT) | instid1(VALU_DEP_3)
	v_fmac_f32_e32 v18, v12, v19
	v_fma_f32 v17, v11, v19, -v20
	scratch_load_b128 v[9:12], off, off offset:120
	s_wait_loadcnt_dscnt 0x100
	v_mul_f32_e32 v19, v5, v2
	v_mul_f32_e32 v2, v6, v2
	;; [unrolled: 1-line block ×3, first 2 shown]
	s_delay_alu instid0(VALU_DEP_3) | instskip(NEXT) | instid1(VALU_DEP_3)
	v_dual_mul_f32 v4, v8, v4 :: v_dual_fmac_f32 v19, v6, v1
	v_fma_f32 v138, v5, v1, -v2
	s_delay_alu instid0(VALU_DEP_3) | instskip(NEXT) | instid1(VALU_DEP_3)
	v_fmac_f32_e32 v20, v8, v3
	v_fma_f32 v139, v7, v3, -v4
	ds_load_2addr_b64 v[1:4], v25 offset0:67 offset1:68
	ds_load_2addr_b64 v[5:8], v25 offset0:69 offset1:70
	s_wait_loadcnt_dscnt 0x1
	v_mul_f32_e32 v145, v1, v10
	v_mul_f32_e32 v10, v2, v10
	s_delay_alu instid0(VALU_DEP_2) | instskip(NEXT) | instid1(VALU_DEP_2)
	v_dual_mul_f32 v146, v3, v12 :: v_dual_fmac_f32 v145, v2, v9
	v_fma_f32 v147, v1, v9, -v10
	v_mul_f32_e32 v1, v4, v12
	s_delay_alu instid0(VALU_DEP_3) | instskip(NEXT) | instid1(VALU_DEP_2)
	v_fmac_f32_e32 v146, v4, v11
	v_fma_f32 v148, v3, v11, -v1
	s_clause 0x1
	scratch_load_b128 v[1:4], off, off offset:136
	scratch_load_b128 v[9:12], off, off offset:152
	s_wait_loadcnt_dscnt 0x100
	v_mul_f32_e32 v149, v5, v2
	v_dual_mul_f32 v2, v6, v2 :: v_dual_mul_f32 v151, v7, v4
	s_delay_alu instid0(VALU_DEP_2) | instskip(NEXT) | instid1(VALU_DEP_2)
	v_fmac_f32_e32 v149, v6, v1
	v_fma_f32 v150, v5, v1, -v2
	v_mul_f32_e32 v1, v8, v4
	s_delay_alu instid0(VALU_DEP_4) | instskip(NEXT) | instid1(VALU_DEP_2)
	v_fmac_f32_e32 v151, v8, v3
	v_fma_f32 v152, v7, v3, -v1
	ds_load_2addr_b64 v[1:4], v25 offset0:71 offset1:72
	ds_load_2addr_b64 v[5:8], v25 offset0:73 offset1:74
	s_wait_loadcnt_dscnt 0x1
	v_mul_f32_e32 v153, v1, v10
	v_mul_f32_e32 v155, v3, v12
	s_delay_alu instid0(VALU_DEP_2) | instskip(NEXT) | instid1(VALU_DEP_2)
	v_fmac_f32_e32 v153, v2, v9
	v_dual_mul_f32 v2, v2, v10 :: v_dual_fmac_f32 v155, v4, v11
	s_delay_alu instid0(VALU_DEP_1) | instskip(SKIP_1) | instid1(VALU_DEP_1)
	v_fma_f32 v154, v1, v9, -v2
	v_mul_f32_e32 v1, v4, v12
	v_fma_f32 v156, v3, v11, -v1
	s_clause 0x1
	scratch_load_b128 v[1:4], off, off offset:168
	scratch_load_b128 v[9:12], off, off offset:184
	s_wait_loadcnt_dscnt 0x100
	v_mul_f32_e32 v157, v5, v2
	v_dual_mul_f32 v2, v6, v2 :: v_dual_mul_f32 v159, v7, v4
	s_delay_alu instid0(VALU_DEP_2) | instskip(NEXT) | instid1(VALU_DEP_2)
	v_fmac_f32_e32 v157, v6, v1
	v_fma_f32 v158, v5, v1, -v2
	v_mul_f32_e32 v1, v8, v4
	s_delay_alu instid0(VALU_DEP_4) | instskip(NEXT) | instid1(VALU_DEP_2)
	v_fmac_f32_e32 v159, v8, v3
	v_fma_f32 v160, v7, v3, -v1
	ds_load_2addr_b64 v[1:4], v25 offset0:75 offset1:76
	ds_load_2addr_b64 v[5:8], v25 offset0:77 offset1:78
	s_wait_loadcnt_dscnt 0x1
	v_mul_f32_e32 v161, v1, v10
	v_mul_f32_e32 v163, v3, v12
	s_delay_alu instid0(VALU_DEP_2) | instskip(NEXT) | instid1(VALU_DEP_2)
	v_fmac_f32_e32 v161, v2, v9
	v_dual_mul_f32 v2, v2, v10 :: v_dual_fmac_f32 v163, v4, v11
	s_delay_alu instid0(VALU_DEP_1) | instskip(SKIP_1) | instid1(VALU_DEP_1)
	v_fma_f32 v162, v1, v9, -v2
	v_mul_f32_e32 v1, v4, v12
	;; [unrolled: 25-line block ×5, first 2 shown]
	v_fma_f32 v188, v3, v11, -v1
	s_clause 0x1
	scratch_load_b128 v[1:4], off, off offset:296
	scratch_load_b128 v[9:12], off, off offset:312
	s_wait_loadcnt_dscnt 0x100
	v_mul_f32_e32 v189, v5, v2
	v_dual_mul_f32 v2, v6, v2 :: v_dual_mul_f32 v191, v7, v4
	s_delay_alu instid0(VALU_DEP_2) | instskip(NEXT) | instid1(VALU_DEP_2)
	v_fmac_f32_e32 v189, v6, v1
	v_fma_f32 v190, v5, v1, -v2
	v_mul_f32_e32 v1, v8, v4
	s_delay_alu instid0(VALU_DEP_4) | instskip(NEXT) | instid1(VALU_DEP_2)
	v_fmac_f32_e32 v191, v8, v3
	v_fma_f32 v192, v7, v3, -v1
	ds_load_2addr_b64 v[1:4], v25 offset0:91 offset1:92
	ds_load_2addr_b64 v[5:8], v25 offset0:93 offset1:94
	s_wait_loadcnt_dscnt 0x1
	v_mul_f32_e32 v193, v1, v10
	v_mul_f32_e32 v195, v3, v12
	s_delay_alu instid0(VALU_DEP_1) | instskip(NEXT) | instid1(VALU_DEP_3)
	v_fmac_f32_e32 v195, v4, v11
	v_fmac_f32_e32 v193, v2, v9
	v_mul_f32_e32 v2, v2, v10
	s_delay_alu instid0(VALU_DEP_1) | instskip(SKIP_1) | instid1(VALU_DEP_1)
	v_fma_f32 v194, v1, v9, -v2
	v_mul_f32_e32 v1, v4, v12
	v_fma_f32 v196, v3, v11, -v1
	s_clause 0x1
	scratch_load_b128 v[1:4], off, off offset:328
	scratch_load_b128 v[9:12], off, off offset:344
	s_wait_loadcnt_dscnt 0x100
	v_mul_f32_e32 v197, v5, v2
	v_mul_f32_e32 v2, v6, v2
	s_delay_alu instid0(VALU_DEP_2) | instskip(NEXT) | instid1(VALU_DEP_2)
	v_fmac_f32_e32 v197, v6, v1
	v_fma_f32 v198, v5, v1, -v2
	v_dual_add_f32 v2, 0, v142 :: v_dual_mul_f32 v1, v8, v4
	s_delay_alu instid0(VALU_DEP_1) | instskip(NEXT) | instid1(VALU_DEP_2)
	v_add_f32_e32 v2, v2, v143
	v_fma_f32 v200, v7, v3, -v1
	s_delay_alu instid0(VALU_DEP_2) | instskip(NEXT) | instid1(VALU_DEP_1)
	v_add_f32_e32 v2, v2, v23
	v_add_f32_e32 v2, v2, v24
	s_delay_alu instid0(VALU_DEP_1) | instskip(NEXT) | instid1(VALU_DEP_1)
	v_add_f32_e32 v2, v2, v26
	v_add_f32_e32 v2, v2, v144
	s_delay_alu instid0(VALU_DEP_1) | instskip(NEXT) | instid1(VALU_DEP_1)
	v_dual_add_f32 v2, v2, v136 :: v_dual_add_f32 v1, 0, v21
	v_dual_add_f32 v2, v2, v137 :: v_dual_add_f32 v1, v1, v22
	s_delay_alu instid0(VALU_DEP_1) | instskip(NEXT) | instid1(VALU_DEP_1)
	v_dual_add_f32 v2, v2, v15 :: v_dual_add_f32 v1, v1, v132
	v_dual_add_f32 v2, v2, v18 :: v_dual_add_f32 v1, v1, v133
	scratch_load_b64 v[132:133], off, off offset:408
	v_dual_add_f32 v2, v2, v19 :: v_dual_add_f32 v1, v1, v134
	s_delay_alu instid0(VALU_DEP_1) | instskip(NEXT) | instid1(VALU_DEP_1)
	v_dual_add_f32 v2, v2, v20 :: v_dual_add_f32 v1, v1, v135
	v_add_f32_e32 v2, v2, v145
	s_delay_alu instid0(VALU_DEP_1) | instskip(NEXT) | instid1(VALU_DEP_1)
	v_dual_add_f32 v1, v1, v13 :: v_dual_add_f32 v2, v2, v146
	v_dual_add_f32 v1, v1, v14 :: v_dual_add_f32 v2, v2, v149
	s_delay_alu instid0(VALU_DEP_1) | instskip(NEXT) | instid1(VALU_DEP_1)
	v_dual_add_f32 v1, v1, v16 :: v_dual_add_f32 v2, v2, v151
	v_add_f32_e32 v1, v1, v17
	s_delay_alu instid0(VALU_DEP_1) | instskip(NEXT) | instid1(VALU_DEP_1)
	v_dual_add_f32 v2, v2, v153 :: v_dual_add_f32 v1, v1, v138
	v_add_f32_e32 v2, v2, v155
	s_delay_alu instid0(VALU_DEP_1) | instskip(NEXT) | instid1(VALU_DEP_1)
	v_dual_add_f32 v1, v1, v139 :: v_dual_add_f32 v2, v2, v157
	v_add_f32_e32 v1, v1, v147
	s_delay_alu instid0(VALU_DEP_1) | instskip(NEXT) | instid1(VALU_DEP_1)
	v_dual_add_f32 v2, v2, v159 :: v_dual_add_f32 v1, v1, v148
	v_dual_add_f32 v2, v2, v161 :: v_dual_add_f32 v1, v1, v150
	s_delay_alu instid0(VALU_DEP_1) | instskip(NEXT) | instid1(VALU_DEP_1)
	v_dual_add_f32 v2, v2, v163 :: v_dual_add_f32 v1, v1, v152
	v_add_f32_e32 v1, v1, v154
	s_delay_alu instid0(VALU_DEP_1) | instskip(NEXT) | instid1(VALU_DEP_1)
	v_add_f32_e32 v1, v1, v156
	v_add_f32_e32 v1, v1, v158
	s_delay_alu instid0(VALU_DEP_1) | instskip(NEXT) | instid1(VALU_DEP_1)
	v_add_f32_e32 v1, v1, v160
	;; [unrolled: 3-line block ×4, first 2 shown]
	v_add_f32_e32 v1, v1, v170
	s_delay_alu instid0(VALU_DEP_1) | instskip(SKIP_1) | instid1(VALU_DEP_2)
	v_add_f32_e32 v6, v1, v172
	v_dual_add_f32 v2, v2, v165 :: v_dual_mul_f32 v199, v7, v4
	v_add_f32_e32 v6, v6, v174
	s_delay_alu instid0(VALU_DEP_2) | instskip(NEXT) | instid1(VALU_DEP_3)
	v_add_f32_e32 v2, v2, v167
	v_fmac_f32_e32 v199, v8, v3
	s_delay_alu instid0(VALU_DEP_3) | instskip(NEXT) | instid1(VALU_DEP_3)
	v_add_f32_e32 v13, v6, v176
	v_add_f32_e32 v5, v2, v169
	ds_load_2addr_b64 v[1:4], v25 offset0:95 offset1:96
	v_add_f32_e32 v13, v13, v178
	v_add_f32_e32 v5, v5, v171
	s_delay_alu instid0(VALU_DEP_2) | instskip(NEXT) | instid1(VALU_DEP_2)
	v_add_f32_e32 v13, v13, v180
	v_add_f32_e32 v5, v5, v173
	s_delay_alu instid0(VALU_DEP_2) | instskip(NEXT) | instid1(VALU_DEP_2)
	v_add_f32_e32 v13, v13, v182
	v_add_f32_e32 v14, v5, v175
	ds_load_2addr_b64 v[5:8], v25 offset0:97 offset1:98
	v_add_f32_e32 v18, v13, v184
	s_wait_loadcnt_dscnt 0x101
	v_mul_f32_e32 v26, v1, v10
	v_mul_f32_e32 v10, v2, v10
	;; [unrolled: 1-line block ×4, first 2 shown]
	v_add_f32_e32 v14, v14, v177
	v_fmac_f32_e32 v26, v2, v9
	v_fma_f32 v137, v1, v9, -v10
	v_fmac_f32_e32 v136, v4, v11
	v_fma_f32 v138, v3, v11, -v12
	s_clause 0x1
	scratch_load_b128 v[1:4], off, off offset:360
	scratch_load_b128 v[9:12], off, off offset:376
	v_add_f32_e32 v14, v14, v179
	v_add_f32_e32 v18, v18, v186
	s_delay_alu instid0(VALU_DEP_2) | instskip(SKIP_2) | instid1(VALU_DEP_1)
	v_add_f32_e32 v17, v14, v181
	scratch_load_b128 v[13:16], off, off offset:392
	v_dual_add_f32 v18, v18, v188 :: v_dual_add_f32 v17, v17, v183
	v_dual_add_f32 v18, v18, v190 :: v_dual_add_f32 v17, v17, v185
	s_delay_alu instid0(VALU_DEP_1) | instskip(NEXT) | instid1(VALU_DEP_1)
	v_dual_add_f32 v18, v18, v192 :: v_dual_add_f32 v17, v17, v187
	v_dual_add_f32 v134, v18, v194 :: v_dual_add_f32 v17, v17, v189
	s_delay_alu instid0(VALU_DEP_1) | instskip(NEXT) | instid1(VALU_DEP_2)
	v_add_f32_e32 v139, v134, v196
	v_add_f32_e32 v21, v17, v191
	ds_load_2addr_b64 v[17:20], v25 offset0:99 offset1:100
	v_add_f32_e32 v139, v139, v198
	v_add_f32_e32 v135, v21, v193
	ds_load_2addr_b64 v[21:24], v25 offset0:101 offset1:102
	v_add_f32_e32 v139, v139, v200
	v_add_f32_e32 v142, v135, v195
	ds_load_b64 v[134:135], v25 offset:824
	v_add_f32_e32 v137, v139, v137
	s_wait_loadcnt_dscnt 0x203
	s_delay_alu instid0(VALU_DEP_1) | instskip(SKIP_4) | instid1(VALU_DEP_3)
	v_dual_add_f32 v137, v137, v138 :: v_dual_mul_f32 v144, v7, v4
	v_dual_add_f32 v142, v142, v197 :: v_dual_mul_f32 v143, v5, v2
	v_mul_f32_e32 v2, v6, v2
	s_wait_loadcnt_dscnt 0x102
	v_dual_mul_f32 v4, v8, v4 :: v_dual_mul_f32 v139, v17, v10
	v_add_f32_e32 v142, v142, v199
	v_fmac_f32_e32 v143, v6, v1
	v_fma_f32 v2, v5, v1, -v2
	v_fmac_f32_e32 v144, v8, v3
	v_fma_f32 v1, v7, v3, -v4
	v_add_f32_e32 v26, v142, v26
	v_mul_f32_e32 v3, v18, v10
	v_add_f32_e32 v2, v137, v2
	v_mul_f32_e32 v142, v19, v12
	v_mul_f32_e32 v5, v20, v12
	v_add_f32_e32 v26, v26, v136
	v_fmac_f32_e32 v139, v18, v9
	v_fma_f32 v3, v17, v9, -v3
	v_add_f32_e32 v1, v2, v1
	s_wait_loadcnt_dscnt 0x1
	v_dual_mul_f32 v145, v21, v14 :: v_dual_add_f32 v4, v26, v143
	v_fmac_f32_e32 v142, v20, v11
	v_fma_f32 v5, v19, v11, -v5
	v_dual_add_f32 v1, v1, v3 :: v_dual_mul_f32 v138, v23, v16
	s_delay_alu instid0(VALU_DEP_4) | instskip(SKIP_2) | instid1(VALU_DEP_3)
	v_add_f32_e32 v2, v4, v144
	v_dual_mul_f32 v4, v22, v14 :: v_dual_mul_f32 v3, v24, v16
	v_fmac_f32_e32 v145, v22, v13
	v_dual_add_f32 v1, v1, v5 :: v_dual_add_f32 v2, v2, v139
	s_delay_alu instid0(VALU_DEP_3)
	v_fma_f32 v4, v21, v13, -v4
	s_wait_dscnt 0x0
	v_mul_f32_e32 v136, v134, v133
	v_dual_mul_f32 v5, v135, v133 :: v_dual_fmac_f32 v138, v24, v15
	v_add_f32_e32 v2, v2, v142
	v_fma_f32 v3, v23, v15, -v3
	v_add_f32_e32 v1, v1, v4
	v_fmac_f32_e32 v136, v135, v132
	v_fma_f32 v4, v134, v132, -v5
	s_delay_alu instid0(VALU_DEP_3) | instskip(NEXT) | instid1(VALU_DEP_1)
	v_dual_add_f32 v2, v2, v145 :: v_dual_add_f32 v1, v1, v3
	v_dual_add_f32 v2, v2, v138 :: v_dual_add_f32 v1, v1, v4
	s_delay_alu instid0(VALU_DEP_1) | instskip(NEXT) | instid1(VALU_DEP_1)
	v_dual_add_f32 v2, v2, v136 :: v_dual_sub_f32 v1, v140, v1
	v_sub_f32_e32 v2, v141, v2
	scratch_store_b64 off, v[1:2], off offset:16
	v_cmpx_lt_u32_e32 1, v0
	s_cbranch_execz .LBB115_323
; %bb.322:
	scratch_load_b64 v[1:2], off, off offset:8
	v_mov_b32_e32 v26, v25
	scratch_store_b64 off, v[25:26], off offset:8
	s_wait_loadcnt 0x0
	ds_store_b64 v27, v[1:2]
.LBB115_323:
	s_wait_alu 0xfffe
	s_or_b32 exec_lo, exec_lo, s0
	s_wait_storecnt_dscnt 0x0
	s_barrier_signal -1
	s_barrier_wait -1
	global_inv scope:SCOPE_SE
	s_clause 0x4
	scratch_load_b128 v[5:8], off, off offset:16
	scratch_load_b128 v[1:4], off, off offset:32
	;; [unrolled: 1-line block ×5, first 2 shown]
	ds_load_b128 v[21:24], v25 offset:432
	ds_load_b128 v[132:135], v25 offset:448
	;; [unrolled: 1-line block ×3, first 2 shown]
	scratch_load_b64 v[140:141], off, off offset:8
	s_mov_b32 s0, exec_lo
	s_wait_loadcnt_dscnt 0x502
	v_mul_f32_e32 v26, v21, v6
	s_wait_loadcnt_dscnt 0x300
	v_dual_mul_f32 v142, v23, v8 :: v_dual_mul_f32 v143, v136, v10
	v_mul_f32_e32 v8, v24, v8
	v_mul_f32_e32 v6, v22, v6
	v_fmac_f32_e32 v26, v22, v5
	v_mul_f32_e32 v10, v137, v10
	v_fmac_f32_e32 v143, v137, v9
	v_fma_f32 v22, v23, v7, -v8
	v_mul_f32_e32 v23, v132, v2
	v_fmac_f32_e32 v142, v24, v7
	v_mul_f32_e32 v24, v134, v4
	v_mul_f32_e32 v4, v135, v4
	s_delay_alu instid0(VALU_DEP_4)
	v_dual_mul_f32 v144, v138, v12 :: v_dual_fmac_f32 v23, v133, v1
	v_fma_f32 v21, v21, v5, -v6
	ds_load_b128 v[5:8], v25 offset:480
	v_mul_f32_e32 v12, v139, v12
	v_mul_f32_e32 v2, v133, v2
	v_fmac_f32_e32 v24, v135, v3
	v_fma_f32 v133, v134, v3, -v4
	v_fma_f32 v134, v136, v9, -v10
	v_fmac_f32_e32 v144, v139, v11
	v_fma_f32 v135, v138, v11, -v12
	ds_load_b128 v[9:12], v25 offset:496
	s_wait_loadcnt_dscnt 0x201
	v_dual_mul_f32 v137, v7, v16 :: v_dual_mul_f32 v136, v5, v14
	v_mul_f32_e32 v14, v6, v14
	v_mul_f32_e32 v16, v8, v16
	s_delay_alu instid0(VALU_DEP_3)
	v_fmac_f32_e32 v137, v8, v15
	v_fma_f32 v132, v132, v1, -v2
	scratch_load_b128 v[1:4], off, off offset:96
	v_fmac_f32_e32 v136, v6, v13
	v_fma_f32 v13, v5, v13, -v14
	v_fma_f32 v14, v7, v15, -v16
	s_wait_loadcnt_dscnt 0x200
	v_mul_f32_e32 v15, v9, v18
	v_mul_f32_e32 v16, v10, v18
	;; [unrolled: 1-line block ×4, first 2 shown]
	ds_load_b128 v[5:8], v25 offset:512
	v_fmac_f32_e32 v15, v10, v17
	v_fma_f32 v16, v9, v17, -v16
	v_fmac_f32_e32 v18, v12, v19
	v_fma_f32 v17, v11, v19, -v20
	scratch_load_b128 v[9:12], off, off offset:112
	s_wait_loadcnt_dscnt 0x100
	v_mul_f32_e32 v19, v5, v2
	v_mul_f32_e32 v2, v6, v2
	;; [unrolled: 1-line block ×3, first 2 shown]
	s_delay_alu instid0(VALU_DEP_3) | instskip(NEXT) | instid1(VALU_DEP_3)
	v_dual_mul_f32 v4, v8, v4 :: v_dual_fmac_f32 v19, v6, v1
	v_fma_f32 v138, v5, v1, -v2
	s_delay_alu instid0(VALU_DEP_3) | instskip(NEXT) | instid1(VALU_DEP_3)
	v_fmac_f32_e32 v20, v8, v3
	v_fma_f32 v139, v7, v3, -v4
	ds_load_b128 v[1:4], v25 offset:528
	ds_load_b128 v[5:8], v25 offset:544
	s_wait_loadcnt_dscnt 0x1
	v_mul_f32_e32 v145, v1, v10
	v_mul_f32_e32 v10, v2, v10
	s_delay_alu instid0(VALU_DEP_2) | instskip(NEXT) | instid1(VALU_DEP_2)
	v_dual_mul_f32 v146, v3, v12 :: v_dual_fmac_f32 v145, v2, v9
	v_fma_f32 v147, v1, v9, -v10
	v_mul_f32_e32 v1, v4, v12
	s_delay_alu instid0(VALU_DEP_3) | instskip(NEXT) | instid1(VALU_DEP_2)
	v_fmac_f32_e32 v146, v4, v11
	v_fma_f32 v148, v3, v11, -v1
	s_clause 0x1
	scratch_load_b128 v[1:4], off, off offset:128
	scratch_load_b128 v[9:12], off, off offset:144
	s_wait_loadcnt_dscnt 0x100
	v_mul_f32_e32 v149, v5, v2
	v_dual_mul_f32 v2, v6, v2 :: v_dual_mul_f32 v151, v7, v4
	s_delay_alu instid0(VALU_DEP_2) | instskip(NEXT) | instid1(VALU_DEP_2)
	v_fmac_f32_e32 v149, v6, v1
	v_fma_f32 v150, v5, v1, -v2
	v_mul_f32_e32 v1, v8, v4
	s_delay_alu instid0(VALU_DEP_4) | instskip(NEXT) | instid1(VALU_DEP_2)
	v_fmac_f32_e32 v151, v8, v3
	v_fma_f32 v152, v7, v3, -v1
	ds_load_b128 v[1:4], v25 offset:560
	ds_load_b128 v[5:8], v25 offset:576
	s_wait_loadcnt_dscnt 0x1
	v_mul_f32_e32 v153, v1, v10
	v_mul_f32_e32 v155, v3, v12
	s_delay_alu instid0(VALU_DEP_2) | instskip(NEXT) | instid1(VALU_DEP_2)
	v_fmac_f32_e32 v153, v2, v9
	v_dual_mul_f32 v2, v2, v10 :: v_dual_fmac_f32 v155, v4, v11
	s_delay_alu instid0(VALU_DEP_1) | instskip(SKIP_1) | instid1(VALU_DEP_1)
	v_fma_f32 v154, v1, v9, -v2
	v_mul_f32_e32 v1, v4, v12
	v_fma_f32 v156, v3, v11, -v1
	s_clause 0x1
	scratch_load_b128 v[1:4], off, off offset:160
	scratch_load_b128 v[9:12], off, off offset:176
	s_wait_loadcnt_dscnt 0x100
	v_mul_f32_e32 v157, v5, v2
	v_dual_mul_f32 v2, v6, v2 :: v_dual_mul_f32 v159, v7, v4
	s_delay_alu instid0(VALU_DEP_2) | instskip(NEXT) | instid1(VALU_DEP_2)
	v_fmac_f32_e32 v157, v6, v1
	v_fma_f32 v158, v5, v1, -v2
	v_mul_f32_e32 v1, v8, v4
	s_delay_alu instid0(VALU_DEP_4) | instskip(NEXT) | instid1(VALU_DEP_2)
	v_fmac_f32_e32 v159, v8, v3
	v_fma_f32 v160, v7, v3, -v1
	ds_load_b128 v[1:4], v25 offset:592
	ds_load_b128 v[5:8], v25 offset:608
	s_wait_loadcnt_dscnt 0x1
	v_mul_f32_e32 v161, v1, v10
	v_mul_f32_e32 v163, v3, v12
	s_delay_alu instid0(VALU_DEP_2) | instskip(NEXT) | instid1(VALU_DEP_2)
	v_fmac_f32_e32 v161, v2, v9
	v_dual_mul_f32 v2, v2, v10 :: v_dual_fmac_f32 v163, v4, v11
	s_delay_alu instid0(VALU_DEP_1) | instskip(SKIP_1) | instid1(VALU_DEP_1)
	v_fma_f32 v162, v1, v9, -v2
	v_mul_f32_e32 v1, v4, v12
	;; [unrolled: 25-line block ×6, first 2 shown]
	v_fma_f32 v196, v3, v11, -v1
	s_clause 0x1
	scratch_load_b128 v[1:4], off, off offset:320
	scratch_load_b128 v[9:12], off, off offset:336
	s_wait_loadcnt_dscnt 0x100
	v_mul_f32_e32 v197, v5, v2
	v_mul_f32_e32 v2, v6, v2
	s_delay_alu instid0(VALU_DEP_2) | instskip(NEXT) | instid1(VALU_DEP_2)
	v_fmac_f32_e32 v197, v6, v1
	v_fma_f32 v198, v5, v1, -v2
	v_dual_add_f32 v2, 0, v26 :: v_dual_mul_f32 v1, v8, v4
	s_delay_alu instid0(VALU_DEP_1) | instskip(NEXT) | instid1(VALU_DEP_2)
	v_add_f32_e32 v2, v2, v142
	v_fma_f32 v200, v7, v3, -v1
	s_delay_alu instid0(VALU_DEP_2) | instskip(NEXT) | instid1(VALU_DEP_1)
	v_dual_add_f32 v1, 0, v21 :: v_dual_add_f32 v2, v2, v23
	v_dual_add_f32 v1, v1, v22 :: v_dual_add_f32 v2, v2, v24
	s_delay_alu instid0(VALU_DEP_1) | instskip(NEXT) | instid1(VALU_DEP_1)
	v_add_f32_e32 v2, v2, v143
	v_add_f32_e32 v2, v2, v144
	s_delay_alu instid0(VALU_DEP_1) | instskip(NEXT) | instid1(VALU_DEP_1)
	v_add_f32_e32 v2, v2, v136
	v_add_f32_e32 v2, v2, v137
	;; [unrolled: 3-line block ×4, first 2 shown]
	s_delay_alu instid0(VALU_DEP_1) | instskip(NEXT) | instid1(VALU_DEP_1)
	v_dual_add_f32 v1, v1, v132 :: v_dual_add_f32 v2, v2, v145
	v_dual_add_f32 v1, v1, v133 :: v_dual_add_f32 v2, v2, v146
	s_delay_alu instid0(VALU_DEP_1) | instskip(NEXT) | instid1(VALU_DEP_1)
	v_dual_add_f32 v1, v1, v134 :: v_dual_add_f32 v2, v2, v149
	v_add_f32_e32 v1, v1, v135
	s_delay_alu instid0(VALU_DEP_1) | instskip(NEXT) | instid1(VALU_DEP_1)
	v_dual_add_f32 v2, v2, v151 :: v_dual_add_f32 v1, v1, v13
	v_dual_add_f32 v2, v2, v153 :: v_dual_add_f32 v1, v1, v14
	s_delay_alu instid0(VALU_DEP_1) | instskip(NEXT) | instid1(VALU_DEP_1)
	v_add_f32_e32 v2, v2, v155
	v_add_f32_e32 v2, v2, v157
	s_delay_alu instid0(VALU_DEP_1) | instskip(NEXT) | instid1(VALU_DEP_1)
	v_add_f32_e32 v2, v2, v159
	v_add_f32_e32 v2, v2, v161
	s_delay_alu instid0(VALU_DEP_1) | instskip(NEXT) | instid1(VALU_DEP_1)
	v_add_f32_e32 v2, v2, v163
	v_dual_add_f32 v2, v2, v165 :: v_dual_add_f32 v1, v1, v16
	s_delay_alu instid0(VALU_DEP_1) | instskip(NEXT) | instid1(VALU_DEP_1)
	v_dual_add_f32 v2, v2, v167 :: v_dual_add_f32 v1, v1, v17
	v_add_f32_e32 v1, v1, v138
	s_delay_alu instid0(VALU_DEP_1) | instskip(NEXT) | instid1(VALU_DEP_1)
	v_add_f32_e32 v1, v1, v139
	v_add_f32_e32 v1, v1, v147
	s_delay_alu instid0(VALU_DEP_1) | instskip(NEXT) | instid1(VALU_DEP_1)
	v_add_f32_e32 v1, v1, v148
	v_add_f32_e32 v1, v1, v150
	s_delay_alu instid0(VALU_DEP_1) | instskip(NEXT) | instid1(VALU_DEP_1)
	v_add_f32_e32 v1, v1, v152
	v_add_f32_e32 v1, v1, v154
	s_delay_alu instid0(VALU_DEP_1) | instskip(NEXT) | instid1(VALU_DEP_1)
	v_add_f32_e32 v1, v1, v156
	v_add_f32_e32 v1, v1, v158
	s_delay_alu instid0(VALU_DEP_1) | instskip(NEXT) | instid1(VALU_DEP_1)
	v_add_f32_e32 v1, v1, v160
	v_add_f32_e32 v1, v1, v162
	s_delay_alu instid0(VALU_DEP_1) | instskip(NEXT) | instid1(VALU_DEP_1)
	v_add_f32_e32 v1, v1, v164
	v_add_f32_e32 v1, v1, v166
	s_delay_alu instid0(VALU_DEP_1) | instskip(NEXT) | instid1(VALU_DEP_1)
	v_add_f32_e32 v1, v1, v168
	v_add_f32_e32 v1, v1, v170
	s_delay_alu instid0(VALU_DEP_1) | instskip(NEXT) | instid1(VALU_DEP_1)
	v_add_f32_e32 v1, v1, v172
	v_add_f32_e32 v6, v1, v174
	v_add_f32_e32 v2, v2, v169
	s_delay_alu instid0(VALU_DEP_2) | instskip(NEXT) | instid1(VALU_DEP_1)
	v_add_f32_e32 v14, v6, v176
	v_dual_mul_f32 v199, v7, v4 :: v_dual_add_f32 v14, v14, v178
	s_delay_alu instid0(VALU_DEP_1) | instskip(NEXT) | instid1(VALU_DEP_2)
	v_fmac_f32_e32 v199, v8, v3
	v_add_f32_e32 v17, v14, v180
	s_delay_alu instid0(VALU_DEP_1) | instskip(NEXT) | instid1(VALU_DEP_1)
	v_add_f32_e32 v17, v17, v182
	v_add_f32_e32 v17, v17, v184
	s_delay_alu instid0(VALU_DEP_1) | instskip(NEXT) | instid1(VALU_DEP_1)
	v_add_f32_e32 v17, v17, v186
	v_dual_add_f32 v22, v17, v188 :: v_dual_add_f32 v5, v2, v171
	ds_load_b128 v[1:4], v25 offset:752
	v_dual_add_f32 v22, v22, v190 :: v_dual_add_f32 v13, v5, v173
	scratch_load_b128 v[5:8], off, off offset:352
	v_dual_add_f32 v22, v22, v192 :: v_dual_add_f32 v13, v13, v175
	s_delay_alu instid0(VALU_DEP_1) | instskip(NEXT) | instid1(VALU_DEP_1)
	v_add_f32_e32 v13, v13, v177
	v_add_f32_e32 v18, v13, v179
	ds_load_b128 v[13:16], v25 offset:768
	s_wait_loadcnt_dscnt 0x101
	v_mul_f32_e32 v132, v3, v12
	v_mul_f32_e32 v26, v1, v10
	;; [unrolled: 1-line block ×3, first 2 shown]
	v_add_f32_e32 v18, v18, v181
	v_mul_f32_e32 v12, v4, v12
	v_fmac_f32_e32 v132, v4, v11
	v_fmac_f32_e32 v26, v2, v9
	v_fma_f32 v133, v1, v9, -v10
	v_add_f32_e32 v18, v18, v183
	v_fma_f32 v134, v3, v11, -v12
	s_clause 0x1
	scratch_load_b128 v[1:4], off, off offset:368
	scratch_load_b128 v[9:12], off, off offset:384
	v_add_f32_e32 v21, v18, v185
	scratch_load_b128 v[17:20], off, off offset:400
	v_add_f32_e32 v21, v21, v187
	s_delay_alu instid0(VALU_DEP_1)
	v_add_f32_e32 v21, v21, v189
	s_wait_loadcnt_dscnt 0x300
	v_mul_f32_e32 v135, v13, v6
	v_mul_f32_e32 v6, v14, v6
	;; [unrolled: 1-line block ×4, first 2 shown]
	s_delay_alu instid0(VALU_DEP_3) | instskip(SKIP_1) | instid1(VALU_DEP_4)
	v_fma_f32 v137, v13, v5, -v6
	v_add_f32_e32 v13, v21, v191
	v_dual_add_f32 v21, v22, v194 :: v_dual_fmac_f32 v136, v16, v7
	s_delay_alu instid0(VALU_DEP_4) | instskip(NEXT) | instid1(VALU_DEP_3)
	v_fma_f32 v138, v15, v7, -v8
	v_add_f32_e32 v22, v13, v193
	s_delay_alu instid0(VALU_DEP_1)
	v_dual_add_f32 v139, v21, v196 :: v_dual_add_f32 v142, v22, v195
	ds_load_b128 v[21:24], v25 offset:816
	v_fmac_f32_e32 v135, v14, v5
	ds_load_b128 v[5:8], v25 offset:784
	ds_load_b128 v[13:16], v25 offset:800
	v_add_f32_e32 v25, v139, v198
	v_add_f32_e32 v139, v142, v197
	s_delay_alu instid0(VALU_DEP_2) | instskip(NEXT) | instid1(VALU_DEP_2)
	v_add_f32_e32 v25, v25, v200
	v_add_f32_e32 v139, v139, v199
	s_delay_alu instid0(VALU_DEP_1) | instskip(NEXT) | instid1(VALU_DEP_1)
	v_dual_add_f32 v25, v25, v133 :: v_dual_add_f32 v26, v139, v26
	v_dual_add_f32 v25, v25, v134 :: v_dual_add_f32 v26, v26, v132
	s_wait_loadcnt_dscnt 0x2
	v_mul_f32_e32 v132, v21, v18
	s_wait_dscnt 0x1
	v_mul_f32_e32 v142, v5, v2
	v_dual_mul_f32 v2, v6, v2 :: v_dual_add_f32 v25, v25, v137
	v_dual_add_f32 v26, v26, v135 :: v_dual_mul_f32 v133, v7, v4
	v_mul_f32_e32 v4, v8, v4
	s_delay_alu instid0(VALU_DEP_3) | instskip(NEXT) | instid1(VALU_DEP_4)
	v_fma_f32 v2, v5, v1, -v2
	v_dual_fmac_f32 v142, v6, v1 :: v_dual_add_f32 v1, v25, v138
	s_delay_alu instid0(VALU_DEP_4)
	v_add_f32_e32 v5, v26, v136
	s_wait_dscnt 0x0
	v_mul_f32_e32 v139, v13, v10
	v_dual_mul_f32 v6, v14, v10 :: v_dual_fmac_f32 v133, v8, v3
	v_fma_f32 v3, v7, v3, -v4
	v_add_f32_e32 v1, v1, v2
	v_dual_add_f32 v2, v5, v142 :: v_dual_mul_f32 v143, v15, v12
	v_dual_mul_f32 v4, v16, v12 :: v_dual_fmac_f32 v139, v14, v9
	v_fma_f32 v5, v13, v9, -v6
	s_delay_alu instid0(VALU_DEP_3) | instskip(SKIP_3) | instid1(VALU_DEP_4)
	v_dual_add_f32 v1, v1, v3 :: v_dual_add_f32 v2, v2, v133
	v_mul_f32_e32 v3, v22, v18
	v_fmac_f32_e32 v143, v16, v11
	v_fma_f32 v4, v15, v11, -v4
	v_dual_add_f32 v1, v1, v5 :: v_dual_add_f32 v2, v2, v139
	v_mul_f32_e32 v134, v23, v20
	v_dual_mul_f32 v5, v24, v20 :: v_dual_fmac_f32 v132, v22, v17
	v_fma_f32 v3, v21, v17, -v3
	s_delay_alu instid0(VALU_DEP_4) | instskip(NEXT) | instid1(VALU_DEP_4)
	v_dual_add_f32 v1, v1, v4 :: v_dual_add_f32 v2, v2, v143
	v_fmac_f32_e32 v134, v24, v19
	s_delay_alu instid0(VALU_DEP_4) | instskip(NEXT) | instid1(VALU_DEP_3)
	v_fma_f32 v4, v23, v19, -v5
	v_dual_add_f32 v1, v1, v3 :: v_dual_add_f32 v2, v2, v132
	s_delay_alu instid0(VALU_DEP_1) | instskip(NEXT) | instid1(VALU_DEP_1)
	v_dual_add_f32 v1, v1, v4 :: v_dual_add_f32 v2, v2, v134
	v_dual_sub_f32 v1, v140, v1 :: v_dual_sub_f32 v2, v141, v2
	scratch_store_b64 off, v[1:2], off offset:8
	v_cmpx_ne_u32_e32 0, v0
	s_cbranch_execz .LBB115_325
; %bb.324:
	scratch_load_b64 v[0:1], off, off
	v_mov_b32_e32 v2, 0
	s_delay_alu instid0(VALU_DEP_1)
	v_mov_b32_e32 v3, v2
	scratch_store_b64 off, v[2:3], off
	s_wait_loadcnt 0x0
	ds_store_b64 v27, v[0:1]
.LBB115_325:
	s_wait_alu 0xfffe
	s_or_b32 exec_lo, exec_lo, s0
	s_wait_storecnt_dscnt 0x0
	s_barrier_signal -1
	s_barrier_wait -1
	global_inv scope:SCOPE_SE
	s_clause 0x6
	scratch_load_b128 v[0:3], off, off offset:8
	scratch_load_b128 v[4:7], off, off offset:24
	;; [unrolled: 1-line block ×7, first 2 shown]
	v_mov_b32_e32 v132, 0
	scratch_load_b64 v[141:142], off, off
	s_and_b32 vcc_lo, exec_lo, s12
	ds_load_2addr_b64 v[133:136], v132 offset0:53 offset1:54
	ds_load_2addr_b64 v[137:140], v132 offset0:55 offset1:56
	s_wait_loadcnt_dscnt 0x701
	v_dual_mul_f32 v143, v133, v1 :: v_dual_mul_f32 v144, v135, v3
	v_mul_f32_e32 v1, v134, v1
	v_mul_f32_e32 v3, v136, v3
	s_delay_alu instid0(VALU_DEP_3) | instskip(NEXT) | instid1(VALU_DEP_3)
	v_dual_fmac_f32 v143, v134, v0 :: v_dual_fmac_f32 v144, v136, v2
	v_fma_f32 v133, v133, v0, -v1
	s_wait_loadcnt_dscnt 0x600
	v_mul_f32_e32 v136, v137, v5
	v_fma_f32 v134, v135, v2, -v3
	ds_load_2addr_b64 v[0:3], v132 offset0:57 offset1:58
	v_mul_f32_e32 v135, v138, v5
	v_dual_mul_f32 v145, v139, v7 :: v_dual_fmac_f32 v136, v138, v4
	v_mul_f32_e32 v5, v140, v7
	s_delay_alu instid0(VALU_DEP_3) | instskip(NEXT) | instid1(VALU_DEP_3)
	v_fma_f32 v135, v137, v4, -v135
	v_fmac_f32_e32 v145, v140, v6
	s_delay_alu instid0(VALU_DEP_3) | instskip(SKIP_4) | instid1(VALU_DEP_2)
	v_fma_f32 v137, v139, v6, -v5
	ds_load_2addr_b64 v[4:7], v132 offset0:59 offset1:60
	s_wait_loadcnt_dscnt 0x501
	v_dual_mul_f32 v138, v0, v9 :: v_dual_mul_f32 v139, v2, v11
	v_mul_f32_e32 v9, v1, v9
	v_dual_mul_f32 v11, v3, v11 :: v_dual_fmac_f32 v138, v1, v8
	s_delay_alu instid0(VALU_DEP_3) | instskip(NEXT) | instid1(VALU_DEP_3)
	v_fmac_f32_e32 v139, v3, v10
	v_fma_f32 v140, v0, v8, -v9
	s_delay_alu instid0(VALU_DEP_3)
	v_fma_f32 v146, v2, v10, -v11
	ds_load_2addr_b64 v[0:3], v132 offset0:61 offset1:62
	s_wait_loadcnt_dscnt 0x401
	v_mul_f32_e32 v147, v4, v13
	v_dual_mul_f32 v8, v5, v13 :: v_dual_mul_f32 v13, v6, v15
	v_mul_f32_e32 v9, v7, v15
	s_delay_alu instid0(VALU_DEP_3) | instskip(NEXT) | instid1(VALU_DEP_3)
	v_fmac_f32_e32 v147, v5, v12
	v_fma_f32 v12, v4, v12, -v8
	s_delay_alu instid0(VALU_DEP_4) | instskip(NEXT) | instid1(VALU_DEP_4)
	v_fmac_f32_e32 v13, v7, v14
	v_fma_f32 v14, v6, v14, -v9
	ds_load_2addr_b64 v[4:7], v132 offset0:63 offset1:64
	s_wait_loadcnt_dscnt 0x301
	v_mul_f32_e32 v15, v0, v17
	v_dual_mul_f32 v8, v1, v17 :: v_dual_mul_f32 v17, v2, v19
	v_mul_f32_e32 v9, v3, v19
	s_delay_alu instid0(VALU_DEP_3) | instskip(NEXT) | instid1(VALU_DEP_3)
	v_fmac_f32_e32 v15, v1, v16
	v_fma_f32 v16, v0, v16, -v8
	s_delay_alu instid0(VALU_DEP_4) | instskip(NEXT) | instid1(VALU_DEP_4)
	v_fmac_f32_e32 v17, v3, v18
	;; [unrolled: 11-line block ×4, first 2 shown]
	v_fma_f32 v26, v2, v26, -v9
	s_clause 0x1
	scratch_load_b128 v[0:3], off, off offset:120
	scratch_load_b128 v[8:11], off, off offset:136
	s_wait_loadcnt_dscnt 0x100
	v_mul_f32_e32 v27, v4, v1
	v_mul_f32_e32 v1, v5, v1
	;; [unrolled: 1-line block ×3, first 2 shown]
	s_delay_alu instid0(VALU_DEP_3) | instskip(NEXT) | instid1(VALU_DEP_3)
	v_fmac_f32_e32 v27, v5, v0
	v_fma_f32 v148, v4, v0, -v1
	v_mul_f32_e32 v0, v7, v3
	s_delay_alu instid0(VALU_DEP_4) | instskip(NEXT) | instid1(VALU_DEP_2)
	v_fmac_f32_e32 v149, v7, v2
	v_fma_f32 v150, v6, v2, -v0
	ds_load_2addr_b64 v[0:3], v132 offset0:69 offset1:70
	ds_load_2addr_b64 v[4:7], v132 offset0:71 offset1:72
	s_wait_loadcnt_dscnt 0x1
	v_mul_f32_e32 v151, v0, v9
	s_delay_alu instid0(VALU_DEP_1) | instskip(SKIP_1) | instid1(VALU_DEP_1)
	v_fmac_f32_e32 v151, v1, v8
	v_mul_f32_e32 v1, v1, v9
	v_fma_f32 v152, v0, v8, -v1
	v_mul_f32_e32 v153, v2, v11
	v_mul_f32_e32 v0, v3, v11
	s_delay_alu instid0(VALU_DEP_2) | instskip(NEXT) | instid1(VALU_DEP_2)
	v_fmac_f32_e32 v153, v3, v10
	v_fma_f32 v154, v2, v10, -v0
	s_clause 0x1
	scratch_load_b128 v[0:3], off, off offset:152
	scratch_load_b128 v[8:11], off, off offset:168
	s_wait_loadcnt_dscnt 0x100
	v_mul_f32_e32 v155, v4, v1
	v_mul_f32_e32 v1, v5, v1
	v_mul_f32_e32 v157, v6, v3
	s_delay_alu instid0(VALU_DEP_3) | instskip(NEXT) | instid1(VALU_DEP_3)
	v_fmac_f32_e32 v155, v5, v0
	v_fma_f32 v156, v4, v0, -v1
	v_mul_f32_e32 v0, v7, v3
	s_delay_alu instid0(VALU_DEP_4) | instskip(NEXT) | instid1(VALU_DEP_2)
	v_fmac_f32_e32 v157, v7, v2
	v_fma_f32 v158, v6, v2, -v0
	ds_load_2addr_b64 v[0:3], v132 offset0:73 offset1:74
	ds_load_2addr_b64 v[4:7], v132 offset0:75 offset1:76
	s_wait_loadcnt_dscnt 0x1
	v_mul_f32_e32 v159, v0, v9
	v_mul_f32_e32 v161, v2, v11
	s_delay_alu instid0(VALU_DEP_2) | instskip(SKIP_1) | instid1(VALU_DEP_3)
	v_fmac_f32_e32 v159, v1, v8
	v_mul_f32_e32 v1, v1, v9
	v_fmac_f32_e32 v161, v3, v10
	s_delay_alu instid0(VALU_DEP_2) | instskip(SKIP_1) | instid1(VALU_DEP_1)
	v_fma_f32 v160, v0, v8, -v1
	v_mul_f32_e32 v0, v3, v11
	v_fma_f32 v162, v2, v10, -v0
	s_clause 0x1
	scratch_load_b128 v[0:3], off, off offset:184
	scratch_load_b128 v[8:11], off, off offset:200
	s_wait_loadcnt_dscnt 0x100
	v_mul_f32_e32 v163, v4, v1
	v_mul_f32_e32 v1, v5, v1
	v_mul_f32_e32 v165, v6, v3
	s_delay_alu instid0(VALU_DEP_3) | instskip(NEXT) | instid1(VALU_DEP_3)
	v_fmac_f32_e32 v163, v5, v0
	v_fma_f32 v164, v4, v0, -v1
	v_mul_f32_e32 v0, v7, v3
	s_delay_alu instid0(VALU_DEP_4) | instskip(NEXT) | instid1(VALU_DEP_2)
	v_fmac_f32_e32 v165, v7, v2
	v_fma_f32 v166, v6, v2, -v0
	ds_load_2addr_b64 v[0:3], v132 offset0:77 offset1:78
	ds_load_2addr_b64 v[4:7], v132 offset0:79 offset1:80
	s_wait_loadcnt_dscnt 0x1
	v_mul_f32_e32 v167, v0, v9
	v_mul_f32_e32 v169, v2, v11
	s_delay_alu instid0(VALU_DEP_2) | instskip(SKIP_1) | instid1(VALU_DEP_3)
	v_fmac_f32_e32 v167, v1, v8
	v_mul_f32_e32 v1, v1, v9
	v_fmac_f32_e32 v169, v3, v10
	s_delay_alu instid0(VALU_DEP_2) | instskip(SKIP_1) | instid1(VALU_DEP_1)
	v_fma_f32 v168, v0, v8, -v1
	v_mul_f32_e32 v0, v3, v11
	;; [unrolled: 27-line block ×5, first 2 shown]
	v_fma_f32 v194, v2, v10, -v0
	s_clause 0x1
	scratch_load_b128 v[0:3], off, off offset:312
	scratch_load_b128 v[8:11], off, off offset:328
	s_wait_loadcnt_dscnt 0x100
	v_mul_f32_e32 v195, v4, v1
	v_mul_f32_e32 v1, v5, v1
	v_mul_f32_e32 v197, v6, v3
	s_delay_alu instid0(VALU_DEP_3) | instskip(NEXT) | instid1(VALU_DEP_3)
	v_fmac_f32_e32 v195, v5, v0
	v_fma_f32 v196, v4, v0, -v1
	v_mul_f32_e32 v0, v7, v3
	v_add_f32_e32 v1, 0, v143
	v_fmac_f32_e32 v197, v7, v2
	s_delay_alu instid0(VALU_DEP_3) | instskip(NEXT) | instid1(VALU_DEP_3)
	v_fma_f32 v198, v6, v2, -v0
	v_dual_add_f32 v0, 0, v133 :: v_dual_add_f32 v1, v1, v144
	s_delay_alu instid0(VALU_DEP_1) | instskip(NEXT) | instid1(VALU_DEP_1)
	v_dual_add_f32 v0, v0, v134 :: v_dual_add_f32 v1, v1, v136
	v_dual_add_f32 v0, v0, v135 :: v_dual_add_f32 v1, v1, v145
	s_delay_alu instid0(VALU_DEP_1) | instskip(NEXT) | instid1(VALU_DEP_1)
	v_dual_add_f32 v0, v0, v137 :: v_dual_add_f32 v1, v1, v138
	;; [unrolled: 3-line block ×6, first 2 shown]
	v_dual_add_f32 v0, v0, v24 :: v_dual_add_f32 v1, v1, v25
	scratch_load_b64 v[24:25], off, off offset:408
	v_dual_add_f32 v0, v0, v26 :: v_dual_add_f32 v1, v1, v27
	s_delay_alu instid0(VALU_DEP_1) | instskip(NEXT) | instid1(VALU_DEP_1)
	v_dual_add_f32 v0, v0, v148 :: v_dual_add_f32 v1, v1, v149
	v_dual_add_f32 v0, v0, v150 :: v_dual_add_f32 v1, v1, v151
	s_delay_alu instid0(VALU_DEP_1) | instskip(NEXT) | instid1(VALU_DEP_1)
	v_add_f32_e32 v0, v0, v152
	v_add_f32_e32 v0, v0, v154
	s_delay_alu instid0(VALU_DEP_1) | instskip(NEXT) | instid1(VALU_DEP_1)
	v_dual_add_f32 v0, v0, v156 :: v_dual_add_f32 v1, v1, v153
	v_dual_add_f32 v0, v0, v158 :: v_dual_add_f32 v1, v1, v155
	s_delay_alu instid0(VALU_DEP_1) | instskip(NEXT) | instid1(VALU_DEP_1)
	v_add_f32_e32 v0, v0, v160
	v_add_f32_e32 v0, v0, v162
	s_delay_alu instid0(VALU_DEP_1) | instskip(NEXT) | instid1(VALU_DEP_1)
	v_dual_add_f32 v0, v0, v164 :: v_dual_add_f32 v1, v1, v157
	v_dual_add_f32 v0, v0, v166 :: v_dual_add_f32 v1, v1, v159
	s_delay_alu instid0(VALU_DEP_1) | instskip(NEXT) | instid1(VALU_DEP_1)
	v_dual_add_f32 v0, v0, v168 :: v_dual_add_f32 v1, v1, v161
	v_add_f32_e32 v5, v0, v170
	s_delay_alu instid0(VALU_DEP_2) | instskip(NEXT) | instid1(VALU_DEP_2)
	v_add_f32_e32 v1, v1, v163
	v_add_f32_e32 v13, v5, v172
	s_delay_alu instid0(VALU_DEP_1) | instskip(NEXT) | instid1(VALU_DEP_1)
	v_add_f32_e32 v13, v13, v174
	v_add_f32_e32 v16, v13, v176
	s_delay_alu instid0(VALU_DEP_1) | instskip(NEXT) | instid1(VALU_DEP_1)
	v_add_f32_e32 v16, v16, v178
	v_dual_add_f32 v16, v16, v180 :: v_dual_add_f32 v1, v1, v165
	s_delay_alu instid0(VALU_DEP_1) | instskip(NEXT) | instid1(VALU_DEP_2)
	v_add_f32_e32 v16, v16, v182
	v_add_f32_e32 v4, v1, v167
	scratch_load_b128 v[0:3], off, off offset:344
	v_add_f32_e32 v21, v16, v184
	v_add_f32_e32 v12, v4, v169
	ds_load_2addr_b64 v[4:7], v132 offset0:93 offset1:94
	v_dual_add_f32 v21, v21, v186 :: v_dual_add_f32 v12, v12, v171
	s_delay_alu instid0(VALU_DEP_1) | instskip(NEXT) | instid1(VALU_DEP_1)
	v_dual_add_f32 v21, v21, v188 :: v_dual_add_f32 v12, v12, v173
	v_add_f32_e32 v21, v21, v190
	s_delay_alu instid0(VALU_DEP_2)
	v_add_f32_e32 v17, v12, v175
	ds_load_2addr_b64 v[12:15], v132 offset0:95 offset1:96
	v_add_f32_e32 v17, v17, v177
	s_wait_loadcnt_dscnt 0x201
	v_mul_f32_e32 v133, v4, v9
	v_dual_mul_f32 v9, v5, v9 :: v_dual_mul_f32 v134, v6, v11
	v_mul_f32_e32 v11, v7, v11
	v_add_f32_e32 v17, v17, v179
	s_delay_alu instid0(VALU_DEP_4) | instskip(NEXT) | instid1(VALU_DEP_4)
	v_fmac_f32_e32 v133, v5, v8
	v_fma_f32 v135, v4, v8, -v9
	v_fmac_f32_e32 v134, v7, v10
	v_fma_f32 v136, v6, v10, -v11
	s_clause 0x1
	scratch_load_b128 v[4:7], off, off offset:360
	scratch_load_b128 v[8:11], off, off offset:376
	v_add_f32_e32 v20, v17, v181
	scratch_load_b128 v[16:19], off, off offset:392
	v_add_f32_e32 v20, v20, v183
	s_delay_alu instid0(VALU_DEP_1) | instskip(NEXT) | instid1(VALU_DEP_1)
	v_add_f32_e32 v20, v20, v185
	v_add_f32_e32 v20, v20, v187
	s_wait_loadcnt_dscnt 0x300
	v_mul_f32_e32 v137, v12, v1
	v_dual_mul_f32 v1, v13, v1 :: v_dual_mul_f32 v138, v14, v3
	v_mul_f32_e32 v3, v15, v3
	s_delay_alu instid0(VALU_DEP_3) | instskip(NEXT) | instid1(VALU_DEP_3)
	v_fmac_f32_e32 v137, v13, v0
	v_fma_f32 v139, v12, v0, -v1
	v_dual_add_f32 v12, v20, v189 :: v_dual_add_f32 v13, v21, v192
	v_fmac_f32_e32 v138, v15, v2
	v_fma_f32 v140, v14, v2, -v3
	ds_load_2addr_b64 v[0:3], v132 offset0:97 offset1:98
	v_add_f32_e32 v20, v12, v191
	v_add_f32_e32 v26, v13, v194
	ds_load_2addr_b64 v[12:15], v132 offset0:99 offset1:100
	v_add_f32_e32 v27, v20, v193
	v_add_f32_e32 v143, v26, v196
	;; [unrolled: 3-line block ×3, first 2 shown]
	ds_load_b64 v[26:27], v132 offset:824
	v_dual_add_f32 v144, v144, v197 :: v_dual_add_f32 v135, v143, v135
	s_delay_alu instid0(VALU_DEP_1) | instskip(NEXT) | instid1(VALU_DEP_2)
	v_add_f32_e32 v133, v144, v133
	v_add_f32_e32 v135, v135, v136
	s_wait_loadcnt_dscnt 0x203
	v_mul_f32_e32 v145, v0, v5
	v_mul_f32_e32 v5, v1, v5
	;; [unrolled: 1-line block ×3, first 2 shown]
	v_add_f32_e32 v133, v133, v134
	v_add_f32_e32 v135, v135, v139
	v_mul_f32_e32 v7, v3, v7
	v_fmac_f32_e32 v145, v1, v4
	v_fma_f32 v0, v0, v4, -v5
	v_add_f32_e32 v133, v133, v137
	s_wait_loadcnt_dscnt 0x102
	v_dual_add_f32 v1, v135, v140 :: v_dual_mul_f32 v136, v12, v9
	v_mul_f32_e32 v5, v13, v9
	v_fmac_f32_e32 v143, v3, v6
	v_add_f32_e32 v4, v133, v138
	v_fma_f32 v2, v2, v6, -v7
	v_add_f32_e32 v0, v1, v0
	v_mul_f32_e32 v134, v14, v11
	v_mul_f32_e32 v3, v15, v11
	v_dual_add_f32 v1, v4, v145 :: v_dual_fmac_f32 v136, v13, v8
	v_fma_f32 v4, v12, v8, -v5
	v_add_f32_e32 v0, v0, v2
	s_wait_loadcnt_dscnt 0x1
	s_delay_alu instid0(VALU_DEP_3)
	v_dual_mul_f32 v144, v20, v17 :: v_dual_add_f32 v1, v1, v143
	v_mul_f32_e32 v2, v21, v17
	v_fmac_f32_e32 v134, v15, v10
	v_fma_f32 v3, v14, v10, -v3
	v_add_f32_e32 v0, v0, v4
	v_add_f32_e32 v1, v1, v136
	v_mul_f32_e32 v139, v22, v19
	v_mul_f32_e32 v4, v23, v19
	v_fmac_f32_e32 v144, v21, v16
	v_fma_f32 v2, v20, v16, -v2
	v_dual_add_f32 v0, v0, v3 :: v_dual_add_f32 v1, v1, v134
	s_wait_dscnt 0x0
	v_mul_f32_e32 v137, v26, v25
	v_mul_f32_e32 v3, v27, v25
	v_fmac_f32_e32 v139, v23, v18
	v_fma_f32 v4, v22, v18, -v4
	v_dual_add_f32 v0, v0, v2 :: v_dual_add_f32 v1, v1, v144
	v_fmac_f32_e32 v137, v27, v24
	v_fma_f32 v2, v26, v24, -v3
	s_delay_alu instid0(VALU_DEP_3) | instskip(NEXT) | instid1(VALU_DEP_1)
	v_dual_add_f32 v0, v0, v4 :: v_dual_add_f32 v1, v1, v139
	v_dual_add_f32 v0, v0, v2 :: v_dual_add_f32 v1, v1, v137
	s_delay_alu instid0(VALU_DEP_1)
	v_dual_sub_f32 v0, v141, v0 :: v_dual_sub_f32 v1, v142, v1
	scratch_store_b64 off, v[0:1], off
	s_wait_alu 0xfffe
	s_cbranch_vccz .LBB115_428
; %bb.326:
	global_load_b32 v0, v132, s[2:3] offset:200
	s_wait_loadcnt 0x0
	v_cmp_ne_u32_e32 vcc_lo, 51, v0
	s_cbranch_vccz .LBB115_328
; %bb.327:
	v_lshlrev_b32_e32 v0, 3, v0
	s_delay_alu instid0(VALU_DEP_1)
	v_mov_b32_e32 v4, v0
	scratch_load_b64 v[0:1], v4, off offset:-8
	scratch_load_b64 v[2:3], off, off offset:400
	s_wait_loadcnt 0x1
	scratch_store_b64 off, v[0:1], off offset:400
	s_wait_loadcnt 0x0
	scratch_store_b64 v4, v[2:3], off offset:-8
.LBB115_328:
	v_mov_b32_e32 v0, 0
	global_load_b32 v1, v0, s[2:3] offset:196
	s_wait_loadcnt 0x0
	v_cmp_eq_u32_e32 vcc_lo, 50, v1
	s_cbranch_vccnz .LBB115_330
; %bb.329:
	v_lshlrev_b32_e32 v1, 3, v1
	s_delay_alu instid0(VALU_DEP_1)
	v_mov_b32_e32 v5, v1
	scratch_load_b64 v[1:2], v5, off offset:-8
	scratch_load_b64 v[3:4], off, off offset:392
	s_wait_loadcnt 0x1
	scratch_store_b64 off, v[1:2], off offset:392
	s_wait_loadcnt 0x0
	scratch_store_b64 v5, v[3:4], off offset:-8
.LBB115_330:
	global_load_b32 v0, v0, s[2:3] offset:192
	s_wait_loadcnt 0x0
	v_cmp_eq_u32_e32 vcc_lo, 49, v0
	s_cbranch_vccnz .LBB115_332
; %bb.331:
	v_lshlrev_b32_e32 v0, 3, v0
	s_delay_alu instid0(VALU_DEP_1)
	v_mov_b32_e32 v4, v0
	scratch_load_b64 v[0:1], v4, off offset:-8
	scratch_load_b64 v[2:3], off, off offset:384
	s_wait_loadcnt 0x1
	scratch_store_b64 off, v[0:1], off offset:384
	s_wait_loadcnt 0x0
	scratch_store_b64 v4, v[2:3], off offset:-8
.LBB115_332:
	v_mov_b32_e32 v0, 0
	global_load_b32 v1, v0, s[2:3] offset:188
	s_wait_loadcnt 0x0
	v_cmp_eq_u32_e32 vcc_lo, 48, v1
	s_cbranch_vccnz .LBB115_334
; %bb.333:
	v_lshlrev_b32_e32 v1, 3, v1
	s_delay_alu instid0(VALU_DEP_1)
	v_mov_b32_e32 v5, v1
	scratch_load_b64 v[1:2], v5, off offset:-8
	scratch_load_b64 v[3:4], off, off offset:376
	s_wait_loadcnt 0x1
	scratch_store_b64 off, v[1:2], off offset:376
	s_wait_loadcnt 0x0
	scratch_store_b64 v5, v[3:4], off offset:-8
.LBB115_334:
	global_load_b32 v0, v0, s[2:3] offset:184
	s_wait_loadcnt 0x0
	v_cmp_eq_u32_e32 vcc_lo, 47, v0
	s_cbranch_vccnz .LBB115_336
; %bb.335:
	v_lshlrev_b32_e32 v0, 3, v0
	s_delay_alu instid0(VALU_DEP_1)
	v_mov_b32_e32 v4, v0
	scratch_load_b64 v[0:1], v4, off offset:-8
	scratch_load_b64 v[2:3], off, off offset:368
	s_wait_loadcnt 0x1
	scratch_store_b64 off, v[0:1], off offset:368
	s_wait_loadcnt 0x0
	scratch_store_b64 v4, v[2:3], off offset:-8
.LBB115_336:
	;; [unrolled: 31-line block ×24, first 2 shown]
	v_mov_b32_e32 v0, 0
	global_load_b32 v1, v0, s[2:3] offset:4
	s_wait_loadcnt 0x0
	v_cmp_eq_u32_e32 vcc_lo, 2, v1
	s_cbranch_vccnz .LBB115_426
; %bb.425:
	v_lshlrev_b32_e32 v1, 3, v1
	s_delay_alu instid0(VALU_DEP_1)
	v_mov_b32_e32 v5, v1
	scratch_load_b64 v[1:2], v5, off offset:-8
	scratch_load_b64 v[3:4], off, off offset:8
	s_wait_loadcnt 0x1
	scratch_store_b64 off, v[1:2], off offset:8
	s_wait_loadcnt 0x0
	scratch_store_b64 v5, v[3:4], off offset:-8
.LBB115_426:
	global_load_b32 v0, v0, s[2:3]
	s_wait_loadcnt 0x0
	v_cmp_eq_u32_e32 vcc_lo, 1, v0
	s_cbranch_vccnz .LBB115_428
; %bb.427:
	v_lshlrev_b32_e32 v0, 3, v0
	s_delay_alu instid0(VALU_DEP_1)
	v_mov_b32_e32 v4, v0
	scratch_load_b64 v[0:1], v4, off offset:-8
	scratch_load_b64 v[2:3], off, off
	s_wait_loadcnt 0x1
	scratch_store_b64 off, v[0:1], off
	s_wait_loadcnt 0x0
	scratch_store_b64 v4, v[2:3], off offset:-8
.LBB115_428:
	scratch_load_b64 v[0:1], off, off
	s_wait_loadcnt 0x0
	flat_store_b64 v[28:29], v[0:1]
	scratch_load_b64 v[0:1], off, off offset:8
	s_wait_loadcnt 0x0
	flat_store_b64 v[30:31], v[0:1]
	scratch_load_b64 v[0:1], off, off offset:16
	;; [unrolled: 3-line block ×51, first 2 shown]
	s_wait_loadcnt 0x0
	flat_store_b64 v[130:131], v[0:1]
	s_nop 0
	s_sendmsg sendmsg(MSG_DEALLOC_VGPRS)
	s_endpgm
	.section	.rodata,"a",@progbits
	.p2align	6, 0x0
	.amdhsa_kernel _ZN9rocsolver6v33100L18getri_kernel_smallILi52E19rocblas_complex_numIfEPKPS3_EEvT1_iilPiilS8_bb
		.amdhsa_group_segment_fixed_size 836
		.amdhsa_private_segment_fixed_size 432
		.amdhsa_kernarg_size 60
		.amdhsa_user_sgpr_count 2
		.amdhsa_user_sgpr_dispatch_ptr 0
		.amdhsa_user_sgpr_queue_ptr 0
		.amdhsa_user_sgpr_kernarg_segment_ptr 1
		.amdhsa_user_sgpr_dispatch_id 0
		.amdhsa_user_sgpr_private_segment_size 0
		.amdhsa_wavefront_size32 1
		.amdhsa_uses_dynamic_stack 0
		.amdhsa_enable_private_segment 1
		.amdhsa_system_sgpr_workgroup_id_x 1
		.amdhsa_system_sgpr_workgroup_id_y 0
		.amdhsa_system_sgpr_workgroup_id_z 0
		.amdhsa_system_sgpr_workgroup_info 0
		.amdhsa_system_vgpr_workitem_id 0
		.amdhsa_next_free_vgpr 254
		.amdhsa_next_free_sgpr 19
		.amdhsa_reserve_vcc 1
		.amdhsa_float_round_mode_32 0
		.amdhsa_float_round_mode_16_64 0
		.amdhsa_float_denorm_mode_32 3
		.amdhsa_float_denorm_mode_16_64 3
		.amdhsa_fp16_overflow 0
		.amdhsa_workgroup_processor_mode 1
		.amdhsa_memory_ordered 1
		.amdhsa_forward_progress 1
		.amdhsa_inst_pref_size 255
		.amdhsa_round_robin_scheduling 0
		.amdhsa_exception_fp_ieee_invalid_op 0
		.amdhsa_exception_fp_denorm_src 0
		.amdhsa_exception_fp_ieee_div_zero 0
		.amdhsa_exception_fp_ieee_overflow 0
		.amdhsa_exception_fp_ieee_underflow 0
		.amdhsa_exception_fp_ieee_inexact 0
		.amdhsa_exception_int_div_zero 0
	.end_amdhsa_kernel
	.section	.text._ZN9rocsolver6v33100L18getri_kernel_smallILi52E19rocblas_complex_numIfEPKPS3_EEvT1_iilPiilS8_bb,"axG",@progbits,_ZN9rocsolver6v33100L18getri_kernel_smallILi52E19rocblas_complex_numIfEPKPS3_EEvT1_iilPiilS8_bb,comdat
.Lfunc_end115:
	.size	_ZN9rocsolver6v33100L18getri_kernel_smallILi52E19rocblas_complex_numIfEPKPS3_EEvT1_iilPiilS8_bb, .Lfunc_end115-_ZN9rocsolver6v33100L18getri_kernel_smallILi52E19rocblas_complex_numIfEPKPS3_EEvT1_iilPiilS8_bb
                                        ; -- End function
	.set _ZN9rocsolver6v33100L18getri_kernel_smallILi52E19rocblas_complex_numIfEPKPS3_EEvT1_iilPiilS8_bb.num_vgpr, 254
	.set _ZN9rocsolver6v33100L18getri_kernel_smallILi52E19rocblas_complex_numIfEPKPS3_EEvT1_iilPiilS8_bb.num_agpr, 0
	.set _ZN9rocsolver6v33100L18getri_kernel_smallILi52E19rocblas_complex_numIfEPKPS3_EEvT1_iilPiilS8_bb.numbered_sgpr, 19
	.set _ZN9rocsolver6v33100L18getri_kernel_smallILi52E19rocblas_complex_numIfEPKPS3_EEvT1_iilPiilS8_bb.num_named_barrier, 0
	.set _ZN9rocsolver6v33100L18getri_kernel_smallILi52E19rocblas_complex_numIfEPKPS3_EEvT1_iilPiilS8_bb.private_seg_size, 432
	.set _ZN9rocsolver6v33100L18getri_kernel_smallILi52E19rocblas_complex_numIfEPKPS3_EEvT1_iilPiilS8_bb.uses_vcc, 1
	.set _ZN9rocsolver6v33100L18getri_kernel_smallILi52E19rocblas_complex_numIfEPKPS3_EEvT1_iilPiilS8_bb.uses_flat_scratch, 1
	.set _ZN9rocsolver6v33100L18getri_kernel_smallILi52E19rocblas_complex_numIfEPKPS3_EEvT1_iilPiilS8_bb.has_dyn_sized_stack, 0
	.set _ZN9rocsolver6v33100L18getri_kernel_smallILi52E19rocblas_complex_numIfEPKPS3_EEvT1_iilPiilS8_bb.has_recursion, 0
	.set _ZN9rocsolver6v33100L18getri_kernel_smallILi52E19rocblas_complex_numIfEPKPS3_EEvT1_iilPiilS8_bb.has_indirect_call, 0
	.section	.AMDGPU.csdata,"",@progbits
; Kernel info:
; codeLenInByte = 91636
; TotalNumSgprs: 21
; NumVgprs: 254
; ScratchSize: 432
; MemoryBound: 0
; FloatMode: 240
; IeeeMode: 1
; LDSByteSize: 836 bytes/workgroup (compile time only)
; SGPRBlocks: 0
; VGPRBlocks: 31
; NumSGPRsForWavesPerEU: 21
; NumVGPRsForWavesPerEU: 254
; Occupancy: 5
; WaveLimiterHint : 1
; COMPUTE_PGM_RSRC2:SCRATCH_EN: 1
; COMPUTE_PGM_RSRC2:USER_SGPR: 2
; COMPUTE_PGM_RSRC2:TRAP_HANDLER: 0
; COMPUTE_PGM_RSRC2:TGID_X_EN: 1
; COMPUTE_PGM_RSRC2:TGID_Y_EN: 0
; COMPUTE_PGM_RSRC2:TGID_Z_EN: 0
; COMPUTE_PGM_RSRC2:TIDIG_COMP_CNT: 0
	.section	.text._ZN9rocsolver6v33100L18getri_kernel_smallILi53E19rocblas_complex_numIfEPKPS3_EEvT1_iilPiilS8_bb,"axG",@progbits,_ZN9rocsolver6v33100L18getri_kernel_smallILi53E19rocblas_complex_numIfEPKPS3_EEvT1_iilPiilS8_bb,comdat
	.globl	_ZN9rocsolver6v33100L18getri_kernel_smallILi53E19rocblas_complex_numIfEPKPS3_EEvT1_iilPiilS8_bb ; -- Begin function _ZN9rocsolver6v33100L18getri_kernel_smallILi53E19rocblas_complex_numIfEPKPS3_EEvT1_iilPiilS8_bb
	.p2align	8
	.type	_ZN9rocsolver6v33100L18getri_kernel_smallILi53E19rocblas_complex_numIfEPKPS3_EEvT1_iilPiilS8_bb,@function
_ZN9rocsolver6v33100L18getri_kernel_smallILi53E19rocblas_complex_numIfEPKPS3_EEvT1_iilPiilS8_bb: ; @_ZN9rocsolver6v33100L18getri_kernel_smallILi53E19rocblas_complex_numIfEPKPS3_EEvT1_iilPiilS8_bb
; %bb.0:
	s_mov_b32 s2, exec_lo
	v_cmpx_gt_u32_e32 53, v0
	s_cbranch_execz .LBB116_226
; %bb.1:
	s_clause 0x1
	s_load_b32 s13, s[0:1], 0x38
	s_load_b64 s[2:3], s[0:1], 0x0
	s_mov_b32 s8, ttmp9
	s_load_b128 s[4:7], s[0:1], 0x28
	s_wait_kmcnt 0x0
	s_bitcmp1_b32 s13, 8
	s_cselect_b32 s12, -1, 0
	s_ashr_i32 s9, ttmp9, 31
	s_delay_alu instid0(SALU_CYCLE_1) | instskip(NEXT) | instid1(SALU_CYCLE_1)
	s_lshl_b64 s[10:11], s[8:9], 3
	s_add_nc_u64 s[2:3], s[2:3], s[10:11]
	s_load_b64 s[10:11], s[2:3], 0x0
	s_bfe_u32 s2, s13, 0x10008
	s_delay_alu instid0(SALU_CYCLE_1)
	s_cmp_eq_u32 s2, 0
                                        ; implicit-def: $sgpr2_sgpr3
	s_cbranch_scc1 .LBB116_3
; %bb.2:
	s_load_b96 s[16:18], s[0:1], 0x18
	s_mul_u64 s[2:3], s[4:5], s[8:9]
	s_delay_alu instid0(SALU_CYCLE_1)
	s_lshl_b64 s[2:3], s[2:3], 2
	s_wait_kmcnt 0x0
	s_ashr_i32 s5, s18, 31
	s_mov_b32 s4, s18
	s_add_nc_u64 s[2:3], s[16:17], s[2:3]
	s_lshl_b64 s[4:5], s[4:5], 2
	s_delay_alu instid0(SALU_CYCLE_1)
	s_add_nc_u64 s[2:3], s[2:3], s[4:5]
.LBB116_3:
	s_clause 0x1
	s_load_b64 s[4:5], s[0:1], 0x8
	s_load_b32 s13, s[0:1], 0x38
	v_lshlrev_b32_e32 v7, 3, v0
	s_wait_kmcnt 0x0
	s_ashr_i32 s1, s4, 31
	s_mov_b32 s0, s4
	v_add3_u32 v3, s5, s5, v0
	s_lshl_b64 s[0:1], s[0:1], 3
	s_delay_alu instid0(SALU_CYCLE_1)
	s_add_nc_u64 s[0:1], s[10:11], s[0:1]
	s_ashr_i32 s11, s5, 31
	v_add_co_u32 v25, s4, s0, v7
	s_wait_alu 0xf1ff
	v_add_co_ci_u32_e64 v26, null, s1, 0, s4
	s_mov_b32 s10, s5
	v_ashrrev_i32_e32 v4, 31, v3
	s_lshl_b64 s[10:11], s[10:11], 3
	flat_load_b64 v[1:2], v[25:26]
	v_add_co_u32 v27, vcc_lo, v25, s10
	s_delay_alu instid0(VALU_DEP_1) | instskip(SKIP_3) | instid1(VALU_DEP_2)
	v_add_co_ci_u32_e64 v28, null, s11, v26, vcc_lo
	v_lshlrev_b64_e32 v[4:5], 3, v[3:4]
	v_add_nc_u32_e32 v3, s5, v3
	s_bitcmp0_b32 s13, 0
	v_add_co_u32 v29, vcc_lo, s0, v4
	s_wait_alu 0xfffd
	s_delay_alu instid0(VALU_DEP_3) | instskip(SKIP_1) | instid1(VALU_DEP_1)
	v_add_co_ci_u32_e64 v30, null, s1, v5, vcc_lo
	v_ashrrev_i32_e32 v4, 31, v3
	v_lshlrev_b64_e32 v[4:5], 3, v[3:4]
	v_add_nc_u32_e32 v3, s5, v3
	s_delay_alu instid0(VALU_DEP_2) | instskip(SKIP_1) | instid1(VALU_DEP_3)
	v_add_co_u32 v31, vcc_lo, s0, v4
	s_wait_alu 0xfffd
	v_add_co_ci_u32_e64 v32, null, s1, v5, vcc_lo
	s_delay_alu instid0(VALU_DEP_3) | instskip(NEXT) | instid1(VALU_DEP_1)
	v_ashrrev_i32_e32 v4, 31, v3
	v_lshlrev_b64_e32 v[4:5], 3, v[3:4]
	v_add_nc_u32_e32 v3, s5, v3
	s_delay_alu instid0(VALU_DEP_2) | instskip(SKIP_1) | instid1(VALU_DEP_3)
	v_add_co_u32 v33, vcc_lo, s0, v4
	s_wait_alu 0xfffd
	v_add_co_ci_u32_e64 v34, null, s1, v5, vcc_lo
	s_delay_alu instid0(VALU_DEP_3) | instskip(NEXT) | instid1(VALU_DEP_1)
	;; [unrolled: 8-line block ×20, first 2 shown]
	v_ashrrev_i32_e32 v4, 31, v3
	v_lshlrev_b64_e32 v[4:5], 3, v[3:4]
	s_wait_loadcnt_dscnt 0x0
	scratch_store_b64 off, v[1:2], off
	flat_load_b64 v[1:2], v[27:28]
	v_add_nc_u32_e32 v3, s5, v3
	v_add_co_u32 v71, vcc_lo, s0, v4
	s_wait_alu 0xfffd
	v_add_co_ci_u32_e64 v72, null, s1, v5, vcc_lo
	s_delay_alu instid0(VALU_DEP_3) | instskip(NEXT) | instid1(VALU_DEP_1)
	v_ashrrev_i32_e32 v4, 31, v3
	v_lshlrev_b64_e32 v[4:5], 3, v[3:4]
	v_add_nc_u32_e32 v3, s5, v3
	s_delay_alu instid0(VALU_DEP_2) | instskip(SKIP_1) | instid1(VALU_DEP_3)
	v_add_co_u32 v73, vcc_lo, s0, v4
	s_wait_alu 0xfffd
	v_add_co_ci_u32_e64 v74, null, s1, v5, vcc_lo
	s_delay_alu instid0(VALU_DEP_3) | instskip(NEXT) | instid1(VALU_DEP_1)
	v_ashrrev_i32_e32 v4, 31, v3
	v_lshlrev_b64_e32 v[4:5], 3, v[3:4]
	v_add_nc_u32_e32 v3, s5, v3
	s_delay_alu instid0(VALU_DEP_2) | instskip(SKIP_1) | instid1(VALU_DEP_3)
	;; [unrolled: 8-line block ×20, first 2 shown]
	v_add_co_u32 v111, vcc_lo, s0, v4
	s_wait_alu 0xfffd
	v_add_co_ci_u32_e64 v112, null, s1, v5, vcc_lo
	s_delay_alu instid0(VALU_DEP_3) | instskip(NEXT) | instid1(VALU_DEP_1)
	v_ashrrev_i32_e32 v4, 31, v3
	v_lshlrev_b64_e32 v[4:5], 3, v[3:4]
	v_add_nc_u32_e32 v3, s5, v3
	s_delay_alu instid0(VALU_DEP_2)
	v_add_co_u32 v113, vcc_lo, s0, v4
	s_wait_loadcnt_dscnt 0x0
	scratch_store_b64 off, v[1:2], off offset:8
	flat_load_b64 v[1:2], v[29:30]
	s_wait_alu 0xfffd
	v_add_co_ci_u32_e64 v114, null, s1, v5, vcc_lo
	v_ashrrev_i32_e32 v4, 31, v3
	s_delay_alu instid0(VALU_DEP_1) | instskip(SKIP_1) | instid1(VALU_DEP_2)
	v_lshlrev_b64_e32 v[4:5], 3, v[3:4]
	v_add_nc_u32_e32 v3, s5, v3
	v_add_co_u32 v115, vcc_lo, s0, v4
	s_wait_alu 0xfffd
	s_delay_alu instid0(VALU_DEP_3) | instskip(NEXT) | instid1(VALU_DEP_3)
	v_add_co_ci_u32_e64 v116, null, s1, v5, vcc_lo
	v_ashrrev_i32_e32 v4, 31, v3
	s_delay_alu instid0(VALU_DEP_1) | instskip(SKIP_1) | instid1(VALU_DEP_2)
	v_lshlrev_b64_e32 v[4:5], 3, v[3:4]
	v_add_nc_u32_e32 v3, s5, v3
	v_add_co_u32 v117, vcc_lo, s0, v4
	s_wait_alu 0xfffd
	s_delay_alu instid0(VALU_DEP_3) | instskip(NEXT) | instid1(VALU_DEP_3)
	;; [unrolled: 8-line block ×7, first 2 shown]
	v_add_co_ci_u32_e64 v128, null, s1, v5, vcc_lo
	v_ashrrev_i32_e32 v4, 31, v3
	s_delay_alu instid0(VALU_DEP_1) | instskip(NEXT) | instid1(VALU_DEP_1)
	v_lshlrev_b64_e32 v[3:4], 3, v[3:4]
	v_add_co_u32 v129, vcc_lo, s0, v3
	s_wait_alu 0xfffd
	s_delay_alu instid0(VALU_DEP_2)
	v_add_co_ci_u32_e64 v130, null, s1, v4, vcc_lo
	s_mov_b32 s1, -1
	s_wait_loadcnt_dscnt 0x0
	scratch_store_b64 off, v[1:2], off offset:16
	flat_load_b64 v[1:2], v[31:32]
	s_wait_loadcnt_dscnt 0x0
	scratch_store_b64 off, v[1:2], off offset:24
	flat_load_b64 v[1:2], v[33:34]
	;; [unrolled: 3-line block ×50, first 2 shown]
	s_wait_loadcnt_dscnt 0x0
	scratch_store_b64 off, v[1:2], off offset:416
	s_cbranch_scc1 .LBB116_224
; %bb.4:
	v_cmp_eq_u32_e64 s0, 0, v0
	s_and_saveexec_b32 s1, s0
; %bb.5:
	v_mov_b32_e32 v1, 0
	ds_store_b32 v1, v1 offset:424
; %bb.6:
	s_wait_alu 0xfffe
	s_or_b32 exec_lo, exec_lo, s1
	s_wait_storecnt_dscnt 0x0
	s_barrier_signal -1
	s_barrier_wait -1
	global_inv scope:SCOPE_SE
	scratch_load_b64 v[1:2], v7, off
	s_wait_loadcnt 0x0
	v_cmp_eq_f32_e32 vcc_lo, 0, v1
	v_cmp_eq_f32_e64 s1, 0, v2
	s_and_b32 s1, vcc_lo, s1
	s_wait_alu 0xfffe
	s_and_saveexec_b32 s4, s1
	s_cbranch_execz .LBB116_10
; %bb.7:
	v_mov_b32_e32 v1, 0
	s_mov_b32 s5, 0
	ds_load_b32 v2, v1 offset:424
	s_wait_dscnt 0x0
	v_readfirstlane_b32 s1, v2
	v_add_nc_u32_e32 v2, 1, v0
	s_cmp_eq_u32 s1, 0
	s_delay_alu instid0(VALU_DEP_1)
	v_cmp_gt_i32_e32 vcc_lo, s1, v2
	s_cselect_b32 s10, -1, 0
	s_wait_alu 0xfffe
	s_or_b32 s10, s10, vcc_lo
	s_wait_alu 0xfffe
	s_and_b32 exec_lo, exec_lo, s10
	s_cbranch_execz .LBB116_10
; %bb.8:
	v_mov_b32_e32 v3, s1
.LBB116_9:                              ; =>This Inner Loop Header: Depth=1
	ds_cmpstore_rtn_b32 v3, v1, v2, v3 offset:424
	s_wait_dscnt 0x0
	v_cmp_ne_u32_e32 vcc_lo, 0, v3
	v_cmp_le_i32_e64 s1, v3, v2
	s_and_b32 s1, vcc_lo, s1
	s_wait_alu 0xfffe
	s_and_b32 s1, exec_lo, s1
	s_wait_alu 0xfffe
	s_or_b32 s5, s1, s5
	s_wait_alu 0xfffe
	s_and_not1_b32 exec_lo, exec_lo, s5
	s_cbranch_execnz .LBB116_9
.LBB116_10:
	s_wait_alu 0xfffe
	s_or_b32 exec_lo, exec_lo, s4
	v_mov_b32_e32 v1, 0
	s_barrier_signal -1
	s_barrier_wait -1
	global_inv scope:SCOPE_SE
	ds_load_b32 v2, v1 offset:424
	s_and_saveexec_b32 s1, s0
	s_cbranch_execz .LBB116_12
; %bb.11:
	s_lshl_b64 s[4:5], s[8:9], 2
	s_wait_alu 0xfffe
	s_add_nc_u64 s[4:5], s[6:7], s[4:5]
	s_wait_dscnt 0x0
	global_store_b32 v1, v2, s[4:5]
.LBB116_12:
	s_wait_alu 0xfffe
	s_or_b32 exec_lo, exec_lo, s1
	s_wait_dscnt 0x0
	v_cmp_ne_u32_e32 vcc_lo, 0, v2
	s_mov_b32 s1, 0
	s_cbranch_vccnz .LBB116_224
; %bb.13:
	v_mov_b32_e32 v8, v7
                                        ; implicit-def: $vgpr3
                                        ; implicit-def: $vgpr5
	scratch_load_b64 v[1:2], v8, off
	s_wait_loadcnt 0x0
	v_cmp_ngt_f32_e64 s1, |v1|, |v2|
	s_wait_alu 0xfffe
	s_and_saveexec_b32 s4, s1
	s_wait_alu 0xfffe
	s_xor_b32 s1, exec_lo, s4
	s_cbranch_execz .LBB116_15
; %bb.14:
	v_div_scale_f32 v3, null, v2, v2, v1
	v_div_scale_f32 v6, vcc_lo, v1, v2, v1
	s_delay_alu instid0(VALU_DEP_2) | instskip(NEXT) | instid1(TRANS32_DEP_1)
	v_rcp_f32_e32 v4, v3
	v_fma_f32 v5, -v3, v4, 1.0
	s_delay_alu instid0(VALU_DEP_1) | instskip(NEXT) | instid1(VALU_DEP_1)
	v_fmac_f32_e32 v4, v5, v4
	v_mul_f32_e32 v5, v6, v4
	s_delay_alu instid0(VALU_DEP_1) | instskip(NEXT) | instid1(VALU_DEP_1)
	v_fma_f32 v9, -v3, v5, v6
	v_fmac_f32_e32 v5, v9, v4
	s_delay_alu instid0(VALU_DEP_1) | instskip(SKIP_1) | instid1(VALU_DEP_1)
	v_fma_f32 v3, -v3, v5, v6
	s_wait_alu 0xfffd
	v_div_fmas_f32 v3, v3, v4, v5
	s_delay_alu instid0(VALU_DEP_1) | instskip(NEXT) | instid1(VALU_DEP_1)
	v_div_fixup_f32 v3, v3, v2, v1
	v_fmac_f32_e32 v2, v1, v3
	s_delay_alu instid0(VALU_DEP_1) | instskip(NEXT) | instid1(VALU_DEP_1)
	v_div_scale_f32 v1, null, v2, v2, 1.0
	v_rcp_f32_e32 v4, v1
	s_delay_alu instid0(TRANS32_DEP_1) | instskip(NEXT) | instid1(VALU_DEP_1)
	v_fma_f32 v5, -v1, v4, 1.0
	v_fmac_f32_e32 v4, v5, v4
	v_div_scale_f32 v5, vcc_lo, 1.0, v2, 1.0
	s_delay_alu instid0(VALU_DEP_1) | instskip(NEXT) | instid1(VALU_DEP_1)
	v_mul_f32_e32 v6, v5, v4
	v_fma_f32 v9, -v1, v6, v5
	s_delay_alu instid0(VALU_DEP_1) | instskip(NEXT) | instid1(VALU_DEP_1)
	v_fmac_f32_e32 v6, v9, v4
	v_fma_f32 v1, -v1, v6, v5
	s_wait_alu 0xfffd
	s_delay_alu instid0(VALU_DEP_1) | instskip(NEXT) | instid1(VALU_DEP_1)
	v_div_fmas_f32 v1, v1, v4, v6
	v_div_fixup_f32 v1, v1, v2, 1.0
	s_delay_alu instid0(VALU_DEP_1) | instskip(SKIP_1) | instid1(VALU_DEP_2)
	v_mul_f32_e32 v3, v3, v1
	v_xor_b32_e32 v4, 0x80000000, v1
                                        ; implicit-def: $vgpr1_vgpr2
	v_xor_b32_e32 v5, 0x80000000, v3
.LBB116_15:
	s_wait_alu 0xfffe
	s_and_not1_saveexec_b32 s1, s1
	s_cbranch_execz .LBB116_17
; %bb.16:
	v_div_scale_f32 v3, null, v1, v1, v2
	v_div_scale_f32 v6, vcc_lo, v2, v1, v2
	s_delay_alu instid0(VALU_DEP_2) | instskip(NEXT) | instid1(TRANS32_DEP_1)
	v_rcp_f32_e32 v4, v3
	v_fma_f32 v5, -v3, v4, 1.0
	s_delay_alu instid0(VALU_DEP_1) | instskip(NEXT) | instid1(VALU_DEP_1)
	v_fmac_f32_e32 v4, v5, v4
	v_mul_f32_e32 v5, v6, v4
	s_delay_alu instid0(VALU_DEP_1) | instskip(NEXT) | instid1(VALU_DEP_1)
	v_fma_f32 v9, -v3, v5, v6
	v_fmac_f32_e32 v5, v9, v4
	s_delay_alu instid0(VALU_DEP_1) | instskip(SKIP_1) | instid1(VALU_DEP_1)
	v_fma_f32 v3, -v3, v5, v6
	s_wait_alu 0xfffd
	v_div_fmas_f32 v3, v3, v4, v5
	s_delay_alu instid0(VALU_DEP_1) | instskip(NEXT) | instid1(VALU_DEP_1)
	v_div_fixup_f32 v4, v3, v1, v2
	v_fmac_f32_e32 v1, v2, v4
	s_delay_alu instid0(VALU_DEP_1) | instskip(SKIP_1) | instid1(VALU_DEP_2)
	v_div_scale_f32 v2, null, v1, v1, 1.0
	v_div_scale_f32 v6, vcc_lo, 1.0, v1, 1.0
	v_rcp_f32_e32 v3, v2
	s_delay_alu instid0(TRANS32_DEP_1) | instskip(NEXT) | instid1(VALU_DEP_1)
	v_fma_f32 v5, -v2, v3, 1.0
	v_fmac_f32_e32 v3, v5, v3
	s_delay_alu instid0(VALU_DEP_1) | instskip(NEXT) | instid1(VALU_DEP_1)
	v_mul_f32_e32 v5, v6, v3
	v_fma_f32 v9, -v2, v5, v6
	s_delay_alu instid0(VALU_DEP_1) | instskip(NEXT) | instid1(VALU_DEP_1)
	v_fmac_f32_e32 v5, v9, v3
	v_fma_f32 v2, -v2, v5, v6
	s_wait_alu 0xfffd
	s_delay_alu instid0(VALU_DEP_1) | instskip(NEXT) | instid1(VALU_DEP_1)
	v_div_fmas_f32 v2, v2, v3, v5
	v_div_fixup_f32 v3, v2, v1, 1.0
	s_delay_alu instid0(VALU_DEP_1)
	v_xor_b32_e32 v5, 0x80000000, v3
	v_mul_f32_e64 v4, v4, -v3
.LBB116_17:
	s_wait_alu 0xfffe
	s_or_b32 exec_lo, exec_lo, s1
	scratch_store_b64 v8, v[3:4], off
	scratch_load_b64 v[2:3], off, off offset:8
	v_xor_b32_e32 v6, 0x80000000, v4
	v_add_nc_u32_e32 v1, 0x1b0, v7
	s_wait_loadcnt 0x0
	ds_store_2addr_b64 v7, v[5:6], v[2:3] offset1:54
	s_wait_storecnt_dscnt 0x0
	s_barrier_signal -1
	s_barrier_wait -1
	global_inv scope:SCOPE_SE
	s_and_saveexec_b32 s1, s0
	s_cbranch_execz .LBB116_19
; %bb.18:
	scratch_load_b64 v[2:3], v8, off
	ds_load_b64 v[4:5], v1
	v_mov_b32_e32 v6, 0
	ds_load_b64 v[9:10], v6 offset:8
	s_wait_loadcnt_dscnt 0x1
	v_mul_f32_e32 v6, v4, v3
	v_mul_f32_e32 v3, v5, v3
	s_delay_alu instid0(VALU_DEP_2) | instskip(NEXT) | instid1(VALU_DEP_2)
	v_fmac_f32_e32 v6, v5, v2
	v_fma_f32 v2, v4, v2, -v3
	s_delay_alu instid0(VALU_DEP_2) | instskip(NEXT) | instid1(VALU_DEP_2)
	v_add_f32_e32 v4, 0, v6
	v_add_f32_e32 v2, 0, v2
	s_wait_dscnt 0x0
	s_delay_alu instid0(VALU_DEP_2) | instskip(NEXT) | instid1(VALU_DEP_2)
	v_mul_f32_e32 v5, v4, v10
	v_mul_f32_e32 v3, v2, v10
	s_delay_alu instid0(VALU_DEP_2) | instskip(NEXT) | instid1(VALU_DEP_2)
	v_fma_f32 v2, v2, v9, -v5
	v_fmac_f32_e32 v3, v4, v9
	scratch_store_b64 off, v[2:3], off offset:8
.LBB116_19:
	s_wait_alu 0xfffe
	s_or_b32 exec_lo, exec_lo, s1
	s_wait_loadcnt 0x0
	s_wait_storecnt 0x0
	s_barrier_signal -1
	s_barrier_wait -1
	global_inv scope:SCOPE_SE
	scratch_load_b64 v[2:3], off, off offset:16
	s_mov_b32 s1, exec_lo
	s_wait_loadcnt 0x0
	ds_store_b64 v1, v[2:3]
	s_wait_dscnt 0x0
	s_barrier_signal -1
	s_barrier_wait -1
	global_inv scope:SCOPE_SE
	v_cmpx_gt_u32_e32 2, v0
	s_cbranch_execz .LBB116_23
; %bb.20:
	scratch_load_b64 v[2:3], v8, off
	ds_load_b64 v[4:5], v1
	s_wait_loadcnt_dscnt 0x0
	v_mul_f32_e32 v6, v5, v3
	v_mul_f32_e32 v9, v4, v3
	s_delay_alu instid0(VALU_DEP_2) | instskip(NEXT) | instid1(VALU_DEP_2)
	v_fma_f32 v3, v4, v2, -v6
	v_fmac_f32_e32 v9, v5, v2
	s_delay_alu instid0(VALU_DEP_1)
	v_dual_add_f32 v3, 0, v3 :: v_dual_add_f32 v2, 0, v9
	s_and_saveexec_b32 s4, s0
	s_cbranch_execz .LBB116_22
; %bb.21:
	scratch_load_b64 v[4:5], off, off offset:8
	v_mov_b32_e32 v6, 0
	ds_load_b64 v[9:10], v6 offset:440
	s_wait_loadcnt_dscnt 0x0
	v_mul_f32_e32 v6, v9, v5
	v_mul_f32_e32 v5, v10, v5
	s_delay_alu instid0(VALU_DEP_2) | instskip(NEXT) | instid1(VALU_DEP_2)
	v_fmac_f32_e32 v6, v10, v4
	v_fma_f32 v4, v9, v4, -v5
	s_delay_alu instid0(VALU_DEP_1)
	v_dual_add_f32 v2, v2, v6 :: v_dual_add_f32 v3, v3, v4
.LBB116_22:
	s_wait_alu 0xfffe
	s_or_b32 exec_lo, exec_lo, s4
	v_mov_b32_e32 v4, 0
	ds_load_b64 v[4:5], v4 offset:16
	s_wait_dscnt 0x0
	v_mul_f32_e32 v9, v2, v5
	v_mul_f32_e32 v6, v3, v5
	s_delay_alu instid0(VALU_DEP_2) | instskip(NEXT) | instid1(VALU_DEP_2)
	v_fma_f32 v5, v3, v4, -v9
	v_fmac_f32_e32 v6, v2, v4
	scratch_store_b64 off, v[5:6], off offset:16
.LBB116_23:
	s_wait_alu 0xfffe
	s_or_b32 exec_lo, exec_lo, s1
	s_wait_loadcnt 0x0
	s_wait_storecnt 0x0
	s_barrier_signal -1
	s_barrier_wait -1
	global_inv scope:SCOPE_SE
	scratch_load_b64 v[3:4], off, off offset:24
	v_add_nc_u32_e32 v2, -1, v0
	s_mov_b32 s0, exec_lo
	s_wait_loadcnt 0x0
	ds_store_b64 v1, v[3:4]
	s_wait_dscnt 0x0
	s_barrier_signal -1
	s_barrier_wait -1
	global_inv scope:SCOPE_SE
	v_cmpx_gt_u32_e32 3, v0
	s_cbranch_execz .LBB116_27
; %bb.24:
	v_dual_mov_b32 v3, 0 :: v_dual_add_nc_u32 v4, -1, v0
	v_dual_mov_b32 v6, v7 :: v_dual_add_nc_u32 v5, 0x1b0, v7
	v_mov_b32_e32 v9, 0
	s_mov_b32 s1, 0
.LBB116_25:                             ; =>This Inner Loop Header: Depth=1
	scratch_load_b64 v[10:11], v6, off
	ds_load_b64 v[12:13], v5
	v_add_nc_u32_e32 v4, 1, v4
	v_add_nc_u32_e32 v5, 8, v5
	s_delay_alu instid0(VALU_DEP_2)
	v_cmp_lt_u32_e32 vcc_lo, 1, v4
	s_wait_alu 0xfffe
	s_or_b32 s1, vcc_lo, s1
	s_wait_loadcnt_dscnt 0x0
	v_mul_f32_e32 v14, v13, v11
	v_mul_f32_e32 v11, v12, v11
	s_delay_alu instid0(VALU_DEP_2) | instskip(NEXT) | instid1(VALU_DEP_2)
	v_fma_f32 v12, v12, v10, -v14
	v_fmac_f32_e32 v11, v13, v10
	s_delay_alu instid0(VALU_DEP_2) | instskip(NEXT) | instid1(VALU_DEP_2)
	v_dual_add_f32 v9, v9, v12 :: v_dual_add_nc_u32 v6, 8, v6
	v_add_f32_e32 v3, v3, v11
	s_wait_alu 0xfffe
	s_and_not1_b32 exec_lo, exec_lo, s1
	s_cbranch_execnz .LBB116_25
; %bb.26:
	s_or_b32 exec_lo, exec_lo, s1
	v_mov_b32_e32 v4, 0
	ds_load_b64 v[4:5], v4 offset:24
	s_wait_dscnt 0x0
	v_mul_f32_e32 v10, v3, v5
	v_mul_f32_e32 v6, v9, v5
	s_delay_alu instid0(VALU_DEP_2) | instskip(NEXT) | instid1(VALU_DEP_2)
	v_fma_f32 v5, v9, v4, -v10
	v_fmac_f32_e32 v6, v3, v4
	scratch_store_b64 off, v[5:6], off offset:24
.LBB116_27:
	s_wait_alu 0xfffe
	s_or_b32 exec_lo, exec_lo, s0
	s_wait_loadcnt 0x0
	s_wait_storecnt 0x0
	s_barrier_signal -1
	s_barrier_wait -1
	global_inv scope:SCOPE_SE
	scratch_load_b64 v[3:4], off, off offset:32
	s_mov_b32 s0, exec_lo
	s_wait_loadcnt 0x0
	ds_store_b64 v1, v[3:4]
	s_wait_dscnt 0x0
	s_barrier_signal -1
	s_barrier_wait -1
	global_inv scope:SCOPE_SE
	v_cmpx_gt_u32_e32 4, v0
	s_cbranch_execz .LBB116_31
; %bb.28:
	v_dual_mov_b32 v3, 0 :: v_dual_add_nc_u32 v4, -1, v0
	v_dual_mov_b32 v6, v7 :: v_dual_add_nc_u32 v5, 0x1b0, v7
	v_mov_b32_e32 v9, 0
	s_mov_b32 s1, 0
.LBB116_29:                             ; =>This Inner Loop Header: Depth=1
	scratch_load_b64 v[10:11], v6, off
	ds_load_b64 v[12:13], v5
	v_add_nc_u32_e32 v4, 1, v4
	v_add_nc_u32_e32 v5, 8, v5
	s_delay_alu instid0(VALU_DEP_2)
	v_cmp_lt_u32_e32 vcc_lo, 2, v4
	s_wait_alu 0xfffe
	s_or_b32 s1, vcc_lo, s1
	s_wait_loadcnt_dscnt 0x0
	v_mul_f32_e32 v14, v13, v11
	v_mul_f32_e32 v11, v12, v11
	s_delay_alu instid0(VALU_DEP_2) | instskip(NEXT) | instid1(VALU_DEP_2)
	v_fma_f32 v12, v12, v10, -v14
	v_fmac_f32_e32 v11, v13, v10
	s_delay_alu instid0(VALU_DEP_2) | instskip(NEXT) | instid1(VALU_DEP_2)
	v_dual_add_f32 v9, v9, v12 :: v_dual_add_nc_u32 v6, 8, v6
	v_add_f32_e32 v3, v3, v11
	s_wait_alu 0xfffe
	s_and_not1_b32 exec_lo, exec_lo, s1
	s_cbranch_execnz .LBB116_29
; %bb.30:
	s_or_b32 exec_lo, exec_lo, s1
	v_mov_b32_e32 v4, 0
	ds_load_b64 v[4:5], v4 offset:32
	s_wait_dscnt 0x0
	v_mul_f32_e32 v10, v3, v5
	v_mul_f32_e32 v6, v9, v5
	s_delay_alu instid0(VALU_DEP_2) | instskip(NEXT) | instid1(VALU_DEP_2)
	v_fma_f32 v5, v9, v4, -v10
	v_fmac_f32_e32 v6, v3, v4
	scratch_store_b64 off, v[5:6], off offset:32
.LBB116_31:
	s_wait_alu 0xfffe
	s_or_b32 exec_lo, exec_lo, s0
	s_wait_loadcnt 0x0
	s_wait_storecnt 0x0
	s_barrier_signal -1
	s_barrier_wait -1
	global_inv scope:SCOPE_SE
	scratch_load_b64 v[3:4], off, off offset:40
	;; [unrolled: 55-line block ×19, first 2 shown]
	s_mov_b32 s0, exec_lo
	s_wait_loadcnt 0x0
	ds_store_b64 v1, v[3:4]
	s_wait_dscnt 0x0
	s_barrier_signal -1
	s_barrier_wait -1
	global_inv scope:SCOPE_SE
	v_cmpx_gt_u32_e32 22, v0
	s_cbranch_execz .LBB116_103
; %bb.100:
	v_dual_mov_b32 v3, 0 :: v_dual_add_nc_u32 v4, -1, v0
	v_dual_mov_b32 v6, v7 :: v_dual_add_nc_u32 v5, 0x1b0, v7
	v_mov_b32_e32 v9, 0
	s_mov_b32 s1, 0
.LBB116_101:                            ; =>This Inner Loop Header: Depth=1
	scratch_load_b64 v[10:11], v6, off
	ds_load_b64 v[12:13], v5
	v_add_nc_u32_e32 v4, 1, v4
	v_add_nc_u32_e32 v5, 8, v5
	s_delay_alu instid0(VALU_DEP_2)
	v_cmp_lt_u32_e32 vcc_lo, 20, v4
	s_wait_alu 0xfffe
	s_or_b32 s1, vcc_lo, s1
	s_wait_loadcnt_dscnt 0x0
	v_mul_f32_e32 v14, v13, v11
	v_mul_f32_e32 v11, v12, v11
	s_delay_alu instid0(VALU_DEP_2) | instskip(NEXT) | instid1(VALU_DEP_2)
	v_fma_f32 v12, v12, v10, -v14
	v_fmac_f32_e32 v11, v13, v10
	s_delay_alu instid0(VALU_DEP_2) | instskip(NEXT) | instid1(VALU_DEP_2)
	v_dual_add_f32 v9, v9, v12 :: v_dual_add_nc_u32 v6, 8, v6
	v_add_f32_e32 v3, v3, v11
	s_wait_alu 0xfffe
	s_and_not1_b32 exec_lo, exec_lo, s1
	s_cbranch_execnz .LBB116_101
; %bb.102:
	s_or_b32 exec_lo, exec_lo, s1
	v_mov_b32_e32 v4, 0
	ds_load_b64 v[4:5], v4 offset:176
	s_wait_dscnt 0x0
	v_mul_f32_e32 v10, v3, v5
	v_mul_f32_e32 v6, v9, v5
	s_delay_alu instid0(VALU_DEP_2) | instskip(NEXT) | instid1(VALU_DEP_2)
	v_fma_f32 v5, v9, v4, -v10
	v_fmac_f32_e32 v6, v3, v4
	scratch_store_b64 off, v[5:6], off offset:176
.LBB116_103:
	s_wait_alu 0xfffe
	s_or_b32 exec_lo, exec_lo, s0
	s_wait_loadcnt 0x0
	s_wait_storecnt 0x0
	s_barrier_signal -1
	s_barrier_wait -1
	global_inv scope:SCOPE_SE
	scratch_load_b64 v[3:4], off, off offset:184
	s_mov_b32 s0, exec_lo
	s_wait_loadcnt 0x0
	ds_store_b64 v1, v[3:4]
	s_wait_dscnt 0x0
	s_barrier_signal -1
	s_barrier_wait -1
	global_inv scope:SCOPE_SE
	v_cmpx_gt_u32_e32 23, v0
	s_cbranch_execz .LBB116_107
; %bb.104:
	v_dual_mov_b32 v3, 0 :: v_dual_add_nc_u32 v4, -1, v0
	v_dual_mov_b32 v6, v7 :: v_dual_add_nc_u32 v5, 0x1b0, v7
	v_mov_b32_e32 v9, 0
	s_mov_b32 s1, 0
.LBB116_105:                            ; =>This Inner Loop Header: Depth=1
	scratch_load_b64 v[10:11], v6, off
	ds_load_b64 v[12:13], v5
	v_add_nc_u32_e32 v4, 1, v4
	v_add_nc_u32_e32 v5, 8, v5
	s_delay_alu instid0(VALU_DEP_2)
	v_cmp_lt_u32_e32 vcc_lo, 21, v4
	s_wait_alu 0xfffe
	s_or_b32 s1, vcc_lo, s1
	s_wait_loadcnt_dscnt 0x0
	v_mul_f32_e32 v14, v13, v11
	v_mul_f32_e32 v11, v12, v11
	s_delay_alu instid0(VALU_DEP_2) | instskip(NEXT) | instid1(VALU_DEP_2)
	v_fma_f32 v12, v12, v10, -v14
	v_fmac_f32_e32 v11, v13, v10
	s_delay_alu instid0(VALU_DEP_2) | instskip(NEXT) | instid1(VALU_DEP_2)
	v_dual_add_f32 v9, v9, v12 :: v_dual_add_nc_u32 v6, 8, v6
	v_add_f32_e32 v3, v3, v11
	s_wait_alu 0xfffe
	s_and_not1_b32 exec_lo, exec_lo, s1
	s_cbranch_execnz .LBB116_105
; %bb.106:
	s_or_b32 exec_lo, exec_lo, s1
	v_mov_b32_e32 v4, 0
	ds_load_b64 v[4:5], v4 offset:184
	s_wait_dscnt 0x0
	v_mul_f32_e32 v10, v3, v5
	v_mul_f32_e32 v6, v9, v5
	s_delay_alu instid0(VALU_DEP_2) | instskip(NEXT) | instid1(VALU_DEP_2)
	v_fma_f32 v5, v9, v4, -v10
	v_fmac_f32_e32 v6, v3, v4
	scratch_store_b64 off, v[5:6], off offset:184
.LBB116_107:
	s_wait_alu 0xfffe
	s_or_b32 exec_lo, exec_lo, s0
	s_wait_loadcnt 0x0
	s_wait_storecnt 0x0
	s_barrier_signal -1
	s_barrier_wait -1
	global_inv scope:SCOPE_SE
	scratch_load_b64 v[3:4], off, off offset:192
	;; [unrolled: 55-line block ×29, first 2 shown]
	s_mov_b32 s0, exec_lo
	s_wait_loadcnt 0x0
	ds_store_b64 v1, v[3:4]
	s_wait_dscnt 0x0
	s_barrier_signal -1
	s_barrier_wait -1
	global_inv scope:SCOPE_SE
	v_cmpx_gt_u32_e32 51, v0
	s_cbranch_execz .LBB116_219
; %bb.216:
	v_dual_mov_b32 v3, 0 :: v_dual_add_nc_u32 v4, -1, v0
	v_dual_mov_b32 v6, v7 :: v_dual_add_nc_u32 v5, 0x1b0, v7
	v_mov_b32_e32 v7, 0
	s_mov_b32 s1, 0
.LBB116_217:                            ; =>This Inner Loop Header: Depth=1
	scratch_load_b64 v[9:10], v6, off
	ds_load_b64 v[11:12], v5
	v_add_nc_u32_e32 v6, 8, v6
	v_add_nc_u32_e32 v4, 1, v4
	;; [unrolled: 1-line block ×3, first 2 shown]
	s_delay_alu instid0(VALU_DEP_2)
	v_cmp_lt_u32_e32 vcc_lo, 49, v4
	s_wait_alu 0xfffe
	s_or_b32 s1, vcc_lo, s1
	s_wait_loadcnt_dscnt 0x0
	v_mul_f32_e32 v13, v12, v10
	v_mul_f32_e32 v10, v11, v10
	s_delay_alu instid0(VALU_DEP_2) | instskip(NEXT) | instid1(VALU_DEP_1)
	v_fma_f32 v11, v11, v9, -v13
	v_dual_fmac_f32 v10, v12, v9 :: v_dual_add_f32 v7, v7, v11
	s_delay_alu instid0(VALU_DEP_1)
	v_add_f32_e32 v3, v3, v10
	s_wait_alu 0xfffe
	s_and_not1_b32 exec_lo, exec_lo, s1
	s_cbranch_execnz .LBB116_217
; %bb.218:
	s_or_b32 exec_lo, exec_lo, s1
	v_mov_b32_e32 v4, 0
	ds_load_b64 v[4:5], v4 offset:408
	s_wait_dscnt 0x0
	v_mul_f32_e32 v9, v3, v5
	v_mul_f32_e32 v6, v7, v5
	s_delay_alu instid0(VALU_DEP_2) | instskip(NEXT) | instid1(VALU_DEP_2)
	v_fma_f32 v5, v7, v4, -v9
	v_fmac_f32_e32 v6, v3, v4
	scratch_store_b64 off, v[5:6], off offset:408
.LBB116_219:
	s_wait_alu 0xfffe
	s_or_b32 exec_lo, exec_lo, s0
	s_wait_loadcnt 0x0
	s_wait_storecnt 0x0
	s_barrier_signal -1
	s_barrier_wait -1
	global_inv scope:SCOPE_SE
	scratch_load_b64 v[3:4], off, off offset:416
	s_mov_b32 s0, exec_lo
	s_wait_loadcnt 0x0
	ds_store_b64 v1, v[3:4]
	s_wait_dscnt 0x0
	s_barrier_signal -1
	s_barrier_wait -1
	global_inv scope:SCOPE_SE
	v_cmpx_ne_u32_e32 52, v0
	s_cbranch_execz .LBB116_223
; %bb.220:
	v_dual_mov_b32 v3, 0 :: v_dual_mov_b32 v4, 0
	s_mov_b32 s1, 0
.LBB116_221:                            ; =>This Inner Loop Header: Depth=1
	scratch_load_b64 v[5:6], v8, off
	ds_load_b64 v[9:10], v1
	v_add_nc_u32_e32 v2, 1, v2
	v_add_nc_u32_e32 v1, 8, v1
	;; [unrolled: 1-line block ×3, first 2 shown]
	s_delay_alu instid0(VALU_DEP_3)
	v_cmp_lt_u32_e32 vcc_lo, 50, v2
	s_wait_alu 0xfffe
	s_or_b32 s1, vcc_lo, s1
	s_wait_loadcnt_dscnt 0x0
	v_mul_f32_e32 v7, v10, v6
	v_mul_f32_e32 v6, v9, v6
	s_delay_alu instid0(VALU_DEP_2) | instskip(NEXT) | instid1(VALU_DEP_2)
	v_fma_f32 v7, v9, v5, -v7
	v_fmac_f32_e32 v6, v10, v5
	s_delay_alu instid0(VALU_DEP_1)
	v_dual_add_f32 v4, v4, v7 :: v_dual_add_f32 v3, v3, v6
	s_wait_alu 0xfffe
	s_and_not1_b32 exec_lo, exec_lo, s1
	s_cbranch_execnz .LBB116_221
; %bb.222:
	s_or_b32 exec_lo, exec_lo, s1
	v_mov_b32_e32 v1, 0
	ds_load_b64 v[1:2], v1 offset:416
	s_wait_dscnt 0x0
	v_mul_f32_e32 v6, v3, v2
	v_mul_f32_e32 v5, v4, v2
	s_delay_alu instid0(VALU_DEP_2) | instskip(NEXT) | instid1(VALU_DEP_2)
	v_fma_f32 v4, v4, v1, -v6
	v_fmac_f32_e32 v5, v3, v1
	scratch_store_b64 off, v[4:5], off offset:416
.LBB116_223:
	s_wait_alu 0xfffe
	s_or_b32 exec_lo, exec_lo, s0
	s_mov_b32 s1, -1
	s_wait_loadcnt 0x0
	s_wait_storecnt 0x0
	s_barrier_signal -1
	s_barrier_wait -1
	global_inv scope:SCOPE_SE
.LBB116_224:
	s_wait_alu 0xfffe
	s_and_b32 vcc_lo, exec_lo, s1
	s_wait_alu 0xfffe
	s_cbranch_vccz .LBB116_226
; %bb.225:
	v_mov_b32_e32 v1, 0
	s_lshl_b64 s[0:1], s[8:9], 2
	s_wait_alu 0xfffe
	s_add_nc_u64 s[0:1], s[6:7], s[0:1]
	global_load_b32 v1, v1, s[0:1]
	s_wait_loadcnt 0x0
	v_cmp_ne_u32_e32 vcc_lo, 0, v1
	s_cbranch_vccz .LBB116_227
.LBB116_226:
	s_nop 0
	s_sendmsg sendmsg(MSG_DEALLOC_VGPRS)
	s_endpgm
.LBB116_227:
	v_lshl_add_u32 v133, v0, 3, 0x1b0
	s_mov_b32 s0, exec_lo
	v_cmpx_eq_u32_e32 52, v0
	s_cbranch_execz .LBB116_229
; %bb.228:
	scratch_load_b64 v[1:2], off, off offset:408
	v_mov_b32_e32 v3, 0
	s_delay_alu instid0(VALU_DEP_1)
	v_mov_b32_e32 v4, v3
	scratch_store_b64 off, v[3:4], off offset:408
	s_wait_loadcnt 0x0
	ds_store_b64 v133, v[1:2]
.LBB116_229:
	s_wait_alu 0xfffe
	s_or_b32 exec_lo, exec_lo, s0
	s_wait_storecnt_dscnt 0x0
	s_barrier_signal -1
	s_barrier_wait -1
	global_inv scope:SCOPE_SE
	s_clause 0x1
	scratch_load_b64 v[2:3], off, off offset:416
	scratch_load_b64 v[4:5], off, off offset:408
	v_mov_b32_e32 v1, 0
	s_mov_b32 s0, exec_lo
	ds_load_b64 v[6:7], v1 offset:848
	s_wait_loadcnt_dscnt 0x100
	v_mul_f32_e32 v8, v7, v3
	v_mul_f32_e32 v3, v6, v3
	s_delay_alu instid0(VALU_DEP_2) | instskip(NEXT) | instid1(VALU_DEP_2)
	v_fma_f32 v6, v6, v2, -v8
	v_fmac_f32_e32 v3, v7, v2
	s_delay_alu instid0(VALU_DEP_1) | instskip(SKIP_1) | instid1(VALU_DEP_1)
	v_dual_add_f32 v2, 0, v6 :: v_dual_add_f32 v3, 0, v3
	s_wait_loadcnt 0x0
	v_dual_sub_f32 v2, v4, v2 :: v_dual_sub_f32 v3, v5, v3
	scratch_store_b64 off, v[2:3], off offset:408
	v_cmpx_lt_u32_e32 50, v0
	s_cbranch_execz .LBB116_231
; %bb.230:
	scratch_load_b64 v[3:4], off, off offset:400
	v_mov_b32_e32 v2, v1
	scratch_store_b64 off, v[1:2], off offset:400
	s_wait_loadcnt 0x0
	ds_store_b64 v133, v[3:4]
.LBB116_231:
	s_wait_alu 0xfffe
	s_or_b32 exec_lo, exec_lo, s0
	s_wait_storecnt_dscnt 0x0
	s_barrier_signal -1
	s_barrier_wait -1
	global_inv scope:SCOPE_SE
	s_clause 0x1
	scratch_load_b128 v[2:5], off, off offset:408
	scratch_load_b64 v[10:11], off, off offset:400
	ds_load_2addr_b64 v[6:9], v1 offset0:105 offset1:106
	s_mov_b32 s0, exec_lo
	s_wait_loadcnt_dscnt 0x100
	v_dual_mul_f32 v1, v7, v3 :: v_dual_mul_f32 v12, v8, v5
	v_mul_f32_e32 v3, v6, v3
	s_delay_alu instid0(VALU_DEP_2) | instskip(NEXT) | instid1(VALU_DEP_2)
	v_fma_f32 v1, v6, v2, -v1
	v_dual_fmac_f32 v12, v9, v4 :: v_dual_fmac_f32 v3, v7, v2
	s_delay_alu instid0(VALU_DEP_2) | instskip(NEXT) | instid1(VALU_DEP_2)
	v_add_f32_e32 v1, 0, v1
	v_add_f32_e32 v3, 0, v3
	v_mul_f32_e32 v5, v9, v5
	s_delay_alu instid0(VALU_DEP_1) | instskip(NEXT) | instid1(VALU_DEP_1)
	v_fma_f32 v2, v8, v4, -v5
	v_dual_add_f32 v1, v1, v2 :: v_dual_add_f32 v2, v3, v12
	s_wait_loadcnt 0x0
	s_delay_alu instid0(VALU_DEP_1)
	v_dual_sub_f32 v1, v10, v1 :: v_dual_sub_f32 v2, v11, v2
	scratch_store_b64 off, v[1:2], off offset:400
	v_cmpx_lt_u32_e32 49, v0
	s_cbranch_execz .LBB116_233
; %bb.232:
	scratch_load_b64 v[1:2], off, off offset:392
	v_mov_b32_e32 v3, 0
	s_delay_alu instid0(VALU_DEP_1)
	v_mov_b32_e32 v4, v3
	scratch_store_b64 off, v[3:4], off offset:392
	s_wait_loadcnt 0x0
	ds_store_b64 v133, v[1:2]
.LBB116_233:
	s_wait_alu 0xfffe
	s_or_b32 exec_lo, exec_lo, s0
	s_wait_storecnt_dscnt 0x0
	s_barrier_signal -1
	s_barrier_wait -1
	global_inv scope:SCOPE_SE
	s_clause 0x2
	scratch_load_b128 v[2:5], off, off offset:400
	scratch_load_b64 v[10:11], off, off offset:416
	scratch_load_b64 v[12:13], off, off offset:392
	v_mov_b32_e32 v1, 0
	ds_load_b128 v[6:9], v1 offset:832
	ds_load_b64 v[14:15], v1 offset:848
	s_mov_b32 s0, exec_lo
	s_wait_loadcnt_dscnt 0x201
	v_dual_mul_f32 v16, v7, v3 :: v_dual_mul_f32 v17, v8, v5
	s_wait_loadcnt_dscnt 0x100
	v_mul_f32_e32 v18, v14, v11
	v_mul_f32_e32 v3, v6, v3
	;; [unrolled: 1-line block ×3, first 2 shown]
	v_fma_f32 v6, v6, v2, -v16
	s_delay_alu instid0(VALU_DEP_4) | instskip(NEXT) | instid1(VALU_DEP_4)
	v_fmac_f32_e32 v18, v15, v10
	v_fmac_f32_e32 v3, v7, v2
	v_mul_f32_e32 v2, v15, v11
	s_delay_alu instid0(VALU_DEP_1) | instskip(SKIP_3) | instid1(VALU_DEP_1)
	v_fma_f32 v2, v14, v10, -v2
	v_fmac_f32_e32 v17, v9, v4
	v_fma_f32 v4, v8, v4, -v5
	v_add_f32_e32 v5, 0, v6
	v_add_f32_e32 v4, v5, v4
	s_delay_alu instid0(VALU_DEP_1) | instskip(SKIP_1) | instid1(VALU_DEP_1)
	v_dual_add_f32 v2, v4, v2 :: v_dual_add_f32 v3, 0, v3
	s_wait_loadcnt 0x0
	v_dual_sub_f32 v2, v12, v2 :: v_dual_add_f32 v3, v3, v17
	s_delay_alu instid0(VALU_DEP_1) | instskip(NEXT) | instid1(VALU_DEP_1)
	v_add_f32_e32 v3, v3, v18
	v_sub_f32_e32 v3, v13, v3
	scratch_store_b64 off, v[2:3], off offset:392
	v_cmpx_lt_u32_e32 48, v0
	s_cbranch_execz .LBB116_235
; %bb.234:
	scratch_load_b64 v[3:4], off, off offset:384
	v_mov_b32_e32 v2, v1
	scratch_store_b64 off, v[1:2], off offset:384
	s_wait_loadcnt 0x0
	ds_store_b64 v133, v[3:4]
.LBB116_235:
	s_wait_alu 0xfffe
	s_or_b32 exec_lo, exec_lo, s0
	s_wait_storecnt_dscnt 0x0
	s_barrier_signal -1
	s_barrier_wait -1
	global_inv scope:SCOPE_SE
	s_clause 0x2
	scratch_load_b128 v[2:5], off, off offset:392
	scratch_load_b128 v[6:9], off, off offset:408
	scratch_load_b64 v[18:19], off, off offset:384
	ds_load_2addr_b64 v[10:13], v1 offset0:103 offset1:104
	ds_load_2addr_b64 v[14:17], v1 offset0:105 offset1:106
	s_mov_b32 s0, exec_lo
	s_wait_loadcnt_dscnt 0x201
	v_dual_mul_f32 v1, v10, v3 :: v_dual_mul_f32 v20, v12, v5
	s_wait_loadcnt_dscnt 0x100
	v_dual_mul_f32 v3, v11, v3 :: v_dual_mul_f32 v22, v16, v9
	v_mul_f32_e32 v5, v13, v5
	s_delay_alu instid0(VALU_DEP_3) | instskip(NEXT) | instid1(VALU_DEP_3)
	v_dual_mul_f32 v21, v14, v7 :: v_dual_fmac_f32 v20, v13, v4
	v_fma_f32 v3, v10, v2, -v3
	s_delay_alu instid0(VALU_DEP_4) | instskip(SKIP_2) | instid1(VALU_DEP_4)
	v_dual_fmac_f32 v1, v11, v2 :: v_dual_fmac_f32 v22, v17, v8
	v_mul_f32_e32 v2, v15, v7
	v_fma_f32 v4, v12, v4, -v5
	v_add_f32_e32 v3, 0, v3
	v_fmac_f32_e32 v21, v15, v6
	s_delay_alu instid0(VALU_DEP_4) | instskip(NEXT) | instid1(VALU_DEP_3)
	v_fma_f32 v2, v14, v6, -v2
	v_add_f32_e32 v3, v3, v4
	s_delay_alu instid0(VALU_DEP_1) | instskip(NEXT) | instid1(VALU_DEP_1)
	v_dual_add_f32 v1, 0, v1 :: v_dual_add_f32 v2, v3, v2
	v_add_f32_e32 v1, v1, v20
	s_delay_alu instid0(VALU_DEP_1) | instskip(NEXT) | instid1(VALU_DEP_1)
	v_add_f32_e32 v1, v1, v21
	v_add_f32_e32 v3, v1, v22
	v_mul_f32_e32 v5, v17, v9
	s_delay_alu instid0(VALU_DEP_1) | instskip(NEXT) | instid1(VALU_DEP_1)
	v_fma_f32 v4, v16, v8, -v5
	v_add_f32_e32 v2, v2, v4
	s_wait_loadcnt 0x0
	s_delay_alu instid0(VALU_DEP_1)
	v_dual_sub_f32 v1, v18, v2 :: v_dual_sub_f32 v2, v19, v3
	scratch_store_b64 off, v[1:2], off offset:384
	v_cmpx_lt_u32_e32 47, v0
	s_cbranch_execz .LBB116_237
; %bb.236:
	scratch_load_b64 v[1:2], off, off offset:376
	v_mov_b32_e32 v3, 0
	s_delay_alu instid0(VALU_DEP_1)
	v_mov_b32_e32 v4, v3
	scratch_store_b64 off, v[3:4], off offset:376
	s_wait_loadcnt 0x0
	ds_store_b64 v133, v[1:2]
.LBB116_237:
	s_wait_alu 0xfffe
	s_or_b32 exec_lo, exec_lo, s0
	s_wait_storecnt_dscnt 0x0
	s_barrier_signal -1
	s_barrier_wait -1
	global_inv scope:SCOPE_SE
	s_clause 0x3
	scratch_load_b128 v[2:5], off, off offset:384
	scratch_load_b128 v[6:9], off, off offset:400
	scratch_load_b64 v[18:19], off, off offset:416
	scratch_load_b64 v[20:21], off, off offset:376
	v_mov_b32_e32 v1, 0
	ds_load_b128 v[10:13], v1 offset:816
	ds_load_b128 v[14:17], v1 offset:832
	ds_load_b64 v[22:23], v1 offset:848
	s_mov_b32 s0, exec_lo
	s_wait_loadcnt_dscnt 0x302
	v_mul_f32_e32 v24, v10, v3
	s_wait_loadcnt_dscnt 0x201
	v_dual_mul_f32 v3, v11, v3 :: v_dual_mul_f32 v134, v16, v9
	v_dual_mul_f32 v131, v12, v5 :: v_dual_mul_f32 v132, v14, v7
	v_mul_f32_e32 v5, v13, v5
	s_delay_alu instid0(VALU_DEP_3)
	v_fma_f32 v3, v10, v2, -v3
	s_wait_loadcnt_dscnt 0x100
	v_dual_mul_f32 v135, v22, v19 :: v_dual_fmac_f32 v24, v11, v2
	v_dual_mul_f32 v2, v15, v7 :: v_dual_fmac_f32 v131, v13, v4
	v_fmac_f32_e32 v132, v15, v6
	v_fma_f32 v4, v12, v4, -v5
	v_dual_add_f32 v3, 0, v3 :: v_dual_fmac_f32 v134, v17, v8
	s_delay_alu instid0(VALU_DEP_4) | instskip(SKIP_1) | instid1(VALU_DEP_3)
	v_fma_f32 v2, v14, v6, -v2
	v_fmac_f32_e32 v135, v23, v18
	v_add_f32_e32 v3, v3, v4
	s_delay_alu instid0(VALU_DEP_1) | instskip(SKIP_1) | instid1(VALU_DEP_2)
	v_dual_add_f32 v5, 0, v24 :: v_dual_add_f32 v2, v3, v2
	v_mul_f32_e32 v7, v17, v9
	v_add_f32_e32 v4, v5, v131
	s_delay_alu instid0(VALU_DEP_2) | instskip(NEXT) | instid1(VALU_DEP_1)
	v_fma_f32 v6, v16, v8, -v7
	v_dual_add_f32 v3, v4, v132 :: v_dual_add_f32 v2, v2, v6
	v_mul_f32_e32 v5, v23, v19
	s_delay_alu instid0(VALU_DEP_2) | instskip(NEXT) | instid1(VALU_DEP_2)
	v_add_f32_e32 v3, v3, v134
	v_fma_f32 v4, v22, v18, -v5
	s_delay_alu instid0(VALU_DEP_1) | instskip(SKIP_1) | instid1(VALU_DEP_1)
	v_dual_add_f32 v2, v2, v4 :: v_dual_add_f32 v3, v3, v135
	s_wait_loadcnt 0x0
	v_dual_sub_f32 v2, v20, v2 :: v_dual_sub_f32 v3, v21, v3
	scratch_store_b64 off, v[2:3], off offset:376
	v_cmpx_lt_u32_e32 46, v0
	s_cbranch_execz .LBB116_239
; %bb.238:
	scratch_load_b64 v[3:4], off, off offset:368
	v_mov_b32_e32 v2, v1
	scratch_store_b64 off, v[1:2], off offset:368
	s_wait_loadcnt 0x0
	ds_store_b64 v133, v[3:4]
.LBB116_239:
	s_wait_alu 0xfffe
	s_or_b32 exec_lo, exec_lo, s0
	s_wait_storecnt_dscnt 0x0
	s_barrier_signal -1
	s_barrier_wait -1
	global_inv scope:SCOPE_SE
	s_clause 0x3
	scratch_load_b128 v[2:5], off, off offset:376
	scratch_load_b128 v[6:9], off, off offset:392
	;; [unrolled: 1-line block ×3, first 2 shown]
	scratch_load_b64 v[22:23], off, off offset:368
	ds_load_2addr_b64 v[14:17], v1 offset0:101 offset1:102
	ds_load_2addr_b64 v[18:21], v1 offset0:103 offset1:104
	;; [unrolled: 1-line block ×3, first 2 shown]
	s_mov_b32 s0, exec_lo
	s_wait_loadcnt_dscnt 0x302
	v_dual_mul_f32 v1, v14, v3 :: v_dual_mul_f32 v24, v16, v5
	v_mul_f32_e32 v3, v15, v3
	v_mul_f32_e32 v5, v17, v5
	s_wait_loadcnt_dscnt 0x201
	v_dual_mul_f32 v131, v18, v7 :: v_dual_mul_f32 v132, v20, v9
	v_fmac_f32_e32 v24, v17, v4
	v_fma_f32 v3, v14, v2, -v3
	s_wait_loadcnt_dscnt 0x100
	v_dual_mul_f32 v138, v134, v11 :: v_dual_mul_f32 v139, v136, v13
	v_dual_fmac_f32 v1, v15, v2 :: v_dual_fmac_f32 v132, v21, v8
	v_mul_f32_e32 v2, v19, v7
	v_fma_f32 v4, v16, v4, -v5
	s_delay_alu instid0(VALU_DEP_4) | instskip(NEXT) | instid1(VALU_DEP_4)
	v_dual_add_f32 v3, 0, v3 :: v_dual_fmac_f32 v138, v135, v10
	v_add_f32_e32 v1, 0, v1
	s_delay_alu instid0(VALU_DEP_4) | instskip(SKIP_1) | instid1(VALU_DEP_4)
	v_fma_f32 v2, v18, v6, -v2
	v_fmac_f32_e32 v139, v137, v12
	v_add_f32_e32 v3, v3, v4
	v_dual_mul_f32 v5, v21, v9 :: v_dual_mul_f32 v4, v135, v11
	s_delay_alu instid0(VALU_DEP_2) | instskip(NEXT) | instid1(VALU_DEP_2)
	v_add_f32_e32 v2, v3, v2
	v_fma_f32 v5, v20, v8, -v5
	v_fmac_f32_e32 v131, v19, v6
	s_delay_alu instid0(VALU_DEP_4) | instskip(NEXT) | instid1(VALU_DEP_3)
	v_fma_f32 v4, v134, v10, -v4
	v_add_f32_e32 v2, v2, v5
	s_delay_alu instid0(VALU_DEP_1) | instskip(NEXT) | instid1(VALU_DEP_1)
	v_dual_mul_f32 v3, v137, v13 :: v_dual_add_f32 v2, v2, v4
	v_fma_f32 v3, v136, v12, -v3
	s_delay_alu instid0(VALU_DEP_1) | instskip(NEXT) | instid1(VALU_DEP_1)
	v_dual_add_f32 v1, v1, v24 :: v_dual_add_f32 v2, v2, v3
	v_add_f32_e32 v1, v1, v131
	s_delay_alu instid0(VALU_DEP_1) | instskip(NEXT) | instid1(VALU_DEP_1)
	v_add_f32_e32 v1, v1, v132
	v_add_f32_e32 v1, v1, v138
	s_delay_alu instid0(VALU_DEP_1) | instskip(SKIP_1) | instid1(VALU_DEP_1)
	v_add_f32_e32 v3, v1, v139
	s_wait_loadcnt 0x0
	v_dual_sub_f32 v1, v22, v2 :: v_dual_sub_f32 v2, v23, v3
	scratch_store_b64 off, v[1:2], off offset:368
	v_cmpx_lt_u32_e32 45, v0
	s_cbranch_execz .LBB116_241
; %bb.240:
	scratch_load_b64 v[1:2], off, off offset:360
	v_mov_b32_e32 v3, 0
	s_delay_alu instid0(VALU_DEP_1)
	v_mov_b32_e32 v4, v3
	scratch_store_b64 off, v[3:4], off offset:360
	s_wait_loadcnt 0x0
	ds_store_b64 v133, v[1:2]
.LBB116_241:
	s_wait_alu 0xfffe
	s_or_b32 exec_lo, exec_lo, s0
	s_wait_storecnt_dscnt 0x0
	s_barrier_signal -1
	s_barrier_wait -1
	global_inv scope:SCOPE_SE
	s_clause 0x4
	scratch_load_b128 v[2:5], off, off offset:368
	scratch_load_b128 v[6:9], off, off offset:384
	scratch_load_b128 v[10:13], off, off offset:400
	scratch_load_b64 v[22:23], off, off offset:416
	scratch_load_b64 v[131:132], off, off offset:360
	v_mov_b32_e32 v1, 0
	ds_load_b128 v[14:17], v1 offset:800
	ds_load_b128 v[18:21], v1 offset:816
	;; [unrolled: 1-line block ×3, first 2 shown]
	ds_load_b64 v[138:139], v1 offset:848
	s_mov_b32 s0, exec_lo
	s_wait_loadcnt_dscnt 0x403
	v_mul_f32_e32 v24, v14, v3
	s_wait_loadcnt_dscnt 0x302
	v_dual_mul_f32 v142, v20, v9 :: v_dual_mul_f32 v3, v15, v3
	v_dual_mul_f32 v140, v16, v5 :: v_dual_mul_f32 v141, v18, v7
	v_mul_f32_e32 v5, v17, v5
	s_wait_loadcnt_dscnt 0x100
	v_dual_mul_f32 v145, v138, v23 :: v_dual_fmac_f32 v24, v15, v2
	v_fma_f32 v3, v14, v2, -v3
	v_mul_f32_e32 v2, v19, v7
	v_fmac_f32_e32 v140, v17, v4
	v_fma_f32 v4, v16, v4, -v5
	v_dual_mul_f32 v143, v134, v11 :: v_dual_mul_f32 v144, v136, v13
	v_add_f32_e32 v3, 0, v3
	v_fma_f32 v2, v18, v6, -v2
	s_delay_alu instid0(VALU_DEP_3) | instskip(NEXT) | instid1(VALU_DEP_4)
	v_dual_fmac_f32 v142, v21, v8 :: v_dual_fmac_f32 v143, v135, v10
	v_fmac_f32_e32 v144, v137, v12
	s_delay_alu instid0(VALU_DEP_4) | instskip(NEXT) | instid1(VALU_DEP_1)
	v_add_f32_e32 v3, v3, v4
	v_dual_add_f32 v5, 0, v24 :: v_dual_add_f32 v2, v3, v2
	v_mul_f32_e32 v7, v21, v9
	s_delay_alu instid0(VALU_DEP_2) | instskip(SKIP_1) | instid1(VALU_DEP_3)
	v_dual_fmac_f32 v141, v19, v6 :: v_dual_add_f32 v4, v5, v140
	v_mul_f32_e32 v5, v135, v11
	v_fma_f32 v6, v20, v8, -v7
	s_delay_alu instid0(VALU_DEP_3) | instskip(SKIP_1) | instid1(VALU_DEP_4)
	v_add_f32_e32 v3, v4, v141
	v_mul_f32_e32 v4, v137, v13
	v_fma_f32 v5, v134, v10, -v5
	s_delay_alu instid0(VALU_DEP_4) | instskip(SKIP_3) | instid1(VALU_DEP_4)
	v_add_f32_e32 v2, v2, v6
	v_mul_f32_e32 v6, v139, v23
	v_add_f32_e32 v3, v3, v142
	v_fma_f32 v4, v136, v12, -v4
	v_add_f32_e32 v2, v2, v5
	s_delay_alu instid0(VALU_DEP_4) | instskip(NEXT) | instid1(VALU_DEP_2)
	v_fma_f32 v5, v138, v22, -v6
	v_dual_add_f32 v3, v3, v143 :: v_dual_add_f32 v2, v2, v4
	v_fmac_f32_e32 v145, v139, v22
	s_delay_alu instid0(VALU_DEP_2) | instskip(NEXT) | instid1(VALU_DEP_1)
	v_dual_add_f32 v3, v3, v144 :: v_dual_add_f32 v2, v2, v5
	v_add_f32_e32 v3, v3, v145
	s_wait_loadcnt 0x0
	s_delay_alu instid0(VALU_DEP_1)
	v_dual_sub_f32 v2, v131, v2 :: v_dual_sub_f32 v3, v132, v3
	scratch_store_b64 off, v[2:3], off offset:360
	v_cmpx_lt_u32_e32 44, v0
	s_cbranch_execz .LBB116_243
; %bb.242:
	scratch_load_b64 v[3:4], off, off offset:352
	v_mov_b32_e32 v2, v1
	scratch_store_b64 off, v[1:2], off offset:352
	s_wait_loadcnt 0x0
	ds_store_b64 v133, v[3:4]
.LBB116_243:
	s_wait_alu 0xfffe
	s_or_b32 exec_lo, exec_lo, s0
	s_wait_storecnt_dscnt 0x0
	s_barrier_signal -1
	s_barrier_wait -1
	global_inv scope:SCOPE_SE
	s_clause 0x4
	scratch_load_b128 v[2:5], off, off offset:360
	scratch_load_b128 v[6:9], off, off offset:376
	;; [unrolled: 1-line block ×4, first 2 shown]
	scratch_load_b64 v[22:23], off, off offset:352
	ds_load_2addr_b64 v[18:21], v1 offset0:99 offset1:100
	ds_load_2addr_b64 v[134:137], v1 offset0:101 offset1:102
	;; [unrolled: 1-line block ×4, first 2 shown]
	s_mov_b32 s0, exec_lo
	s_wait_loadcnt_dscnt 0x403
	v_dual_mul_f32 v1, v18, v3 :: v_dual_mul_f32 v24, v20, v5
	v_mul_f32_e32 v3, v19, v3
	v_mul_f32_e32 v5, v21, v5
	s_wait_loadcnt_dscnt 0x302
	v_dual_mul_f32 v131, v134, v7 :: v_dual_mul_f32 v132, v136, v9
	v_fmac_f32_e32 v24, v21, v4
	v_fma_f32 v3, v18, v2, -v3
	s_wait_loadcnt_dscnt 0x201
	v_dual_mul_f32 v146, v138, v11 :: v_dual_mul_f32 v147, v140, v13
	v_dual_fmac_f32 v1, v19, v2 :: v_dual_fmac_f32 v132, v137, v8
	v_mul_f32_e32 v2, v135, v7
	v_fma_f32 v4, v20, v4, -v5
	s_delay_alu instid0(VALU_DEP_4) | instskip(NEXT) | instid1(VALU_DEP_4)
	v_dual_add_f32 v3, 0, v3 :: v_dual_fmac_f32 v146, v139, v10
	v_add_f32_e32 v1, 0, v1
	s_delay_alu instid0(VALU_DEP_4) | instskip(SKIP_4) | instid1(VALU_DEP_3)
	v_fma_f32 v2, v134, v6, -v2
	s_wait_loadcnt_dscnt 0x100
	v_dual_mul_f32 v148, v142, v15 :: v_dual_mul_f32 v149, v144, v17
	v_add_f32_e32 v3, v3, v4
	v_dual_mul_f32 v5, v137, v9 :: v_dual_mul_f32 v4, v139, v11
	v_dual_add_f32 v1, v1, v24 :: v_dual_fmac_f32 v148, v143, v14
	s_delay_alu instid0(VALU_DEP_3) | instskip(NEXT) | instid1(VALU_DEP_3)
	v_add_f32_e32 v2, v3, v2
	v_fma_f32 v5, v136, v8, -v5
	v_fmac_f32_e32 v131, v135, v6
	v_mul_f32_e32 v3, v141, v13
	v_fma_f32 v4, v138, v10, -v4
	s_delay_alu instid0(VALU_DEP_4) | instskip(NEXT) | instid1(VALU_DEP_4)
	v_dual_fmac_f32 v149, v145, v16 :: v_dual_add_f32 v2, v2, v5
	v_add_f32_e32 v1, v1, v131
	v_mul_f32_e32 v5, v143, v15
	v_fma_f32 v3, v140, v12, -v3
	s_delay_alu instid0(VALU_DEP_4) | instskip(NEXT) | instid1(VALU_DEP_4)
	v_add_f32_e32 v2, v2, v4
	v_add_f32_e32 v1, v1, v132
	v_mul_f32_e32 v4, v145, v17
	v_fma_f32 v5, v142, v14, -v5
	s_delay_alu instid0(VALU_DEP_4) | instskip(NEXT) | instid1(VALU_DEP_3)
	v_dual_add_f32 v2, v2, v3 :: v_dual_fmac_f32 v147, v141, v12
	v_fma_f32 v3, v144, v16, -v4
	s_delay_alu instid0(VALU_DEP_2) | instskip(NEXT) | instid1(VALU_DEP_1)
	v_dual_add_f32 v2, v2, v5 :: v_dual_add_f32 v1, v1, v146
	v_add_f32_e32 v2, v2, v3
	s_delay_alu instid0(VALU_DEP_2) | instskip(NEXT) | instid1(VALU_DEP_1)
	v_add_f32_e32 v1, v1, v147
	v_add_f32_e32 v1, v1, v148
	s_delay_alu instid0(VALU_DEP_1) | instskip(SKIP_1) | instid1(VALU_DEP_1)
	v_add_f32_e32 v3, v1, v149
	s_wait_loadcnt 0x0
	v_dual_sub_f32 v1, v22, v2 :: v_dual_sub_f32 v2, v23, v3
	scratch_store_b64 off, v[1:2], off offset:352
	v_cmpx_lt_u32_e32 43, v0
	s_cbranch_execz .LBB116_245
; %bb.244:
	scratch_load_b64 v[1:2], off, off offset:344
	v_mov_b32_e32 v3, 0
	s_delay_alu instid0(VALU_DEP_1)
	v_mov_b32_e32 v4, v3
	scratch_store_b64 off, v[3:4], off offset:344
	s_wait_loadcnt 0x0
	ds_store_b64 v133, v[1:2]
.LBB116_245:
	s_wait_alu 0xfffe
	s_or_b32 exec_lo, exec_lo, s0
	s_wait_storecnt_dscnt 0x0
	s_barrier_signal -1
	s_barrier_wait -1
	global_inv scope:SCOPE_SE
	s_clause 0x5
	scratch_load_b128 v[2:5], off, off offset:352
	scratch_load_b128 v[6:9], off, off offset:368
	;; [unrolled: 1-line block ×4, first 2 shown]
	scratch_load_b64 v[22:23], off, off offset:416
	scratch_load_b64 v[131:132], off, off offset:344
	v_mov_b32_e32 v1, 0
	ds_load_b128 v[18:21], v1 offset:784
	ds_load_b128 v[134:137], v1 offset:800
	;; [unrolled: 1-line block ×4, first 2 shown]
	ds_load_b64 v[146:147], v1 offset:848
	s_mov_b32 s0, exec_lo
	s_wait_loadcnt_dscnt 0x504
	v_mul_f32_e32 v24, v18, v3
	s_wait_loadcnt_dscnt 0x302
	v_dual_mul_f32 v3, v19, v3 :: v_dual_mul_f32 v152, v140, v13
	v_dual_mul_f32 v148, v20, v5 :: v_dual_mul_f32 v149, v134, v7
	v_mul_f32_e32 v5, v21, v5
	s_delay_alu instid0(VALU_DEP_3) | instskip(SKIP_3) | instid1(VALU_DEP_3)
	v_fma_f32 v3, v18, v2, -v3
	s_wait_loadcnt_dscnt 0x100
	v_dual_mul_f32 v155, v146, v23 :: v_dual_fmac_f32 v24, v19, v2
	v_mul_f32_e32 v2, v135, v7
	v_dual_fmac_f32 v148, v21, v4 :: v_dual_add_f32 v3, 0, v3
	v_fma_f32 v4, v20, v4, -v5
	v_dual_mul_f32 v150, v136, v9 :: v_dual_mul_f32 v151, v138, v11
	s_delay_alu instid0(VALU_DEP_4) | instskip(SKIP_1) | instid1(VALU_DEP_4)
	v_fma_f32 v2, v134, v6, -v2
	v_dual_mul_f32 v153, v142, v15 :: v_dual_mul_f32 v154, v144, v17
	v_add_f32_e32 v3, v3, v4
	v_add_f32_e32 v5, 0, v24
	v_dual_fmac_f32 v150, v137, v8 :: v_dual_fmac_f32 v151, v139, v10
	v_fmac_f32_e32 v152, v141, v12
	s_delay_alu instid0(VALU_DEP_4) | instskip(NEXT) | instid1(VALU_DEP_4)
	v_dual_add_f32 v2, v3, v2 :: v_dual_mul_f32 v7, v137, v9
	v_dual_fmac_f32 v149, v135, v6 :: v_dual_add_f32 v4, v5, v148
	v_mul_f32_e32 v5, v139, v11
	v_dual_fmac_f32 v153, v143, v14 :: v_dual_fmac_f32 v154, v145, v16
	s_delay_alu instid0(VALU_DEP_4) | instskip(NEXT) | instid1(VALU_DEP_4)
	v_fma_f32 v6, v136, v8, -v7
	v_add_f32_e32 v3, v4, v149
	v_mul_f32_e32 v4, v141, v13
	v_fma_f32 v5, v138, v10, -v5
	s_delay_alu instid0(VALU_DEP_4) | instskip(SKIP_3) | instid1(VALU_DEP_4)
	v_add_f32_e32 v2, v2, v6
	v_mul_f32_e32 v6, v143, v15
	v_add_f32_e32 v3, v3, v150
	v_fma_f32 v4, v140, v12, -v4
	v_add_f32_e32 v2, v2, v5
	v_mul_f32_e32 v5, v145, v17
	s_delay_alu instid0(VALU_DEP_4) | instskip(SKIP_1) | instid1(VALU_DEP_4)
	v_add_f32_e32 v3, v3, v151
	v_fma_f32 v6, v142, v14, -v6
	v_add_f32_e32 v2, v2, v4
	v_mul_f32_e32 v4, v147, v23
	s_delay_alu instid0(VALU_DEP_4) | instskip(SKIP_1) | instid1(VALU_DEP_4)
	v_add_f32_e32 v3, v3, v152
	v_fma_f32 v5, v144, v16, -v5
	v_add_f32_e32 v2, v2, v6
	v_fmac_f32_e32 v155, v147, v22
	v_fma_f32 v4, v146, v22, -v4
	s_delay_alu instid0(VALU_DEP_3) | instskip(NEXT) | instid1(VALU_DEP_1)
	v_add_f32_e32 v2, v2, v5
	v_dual_add_f32 v3, v3, v153 :: v_dual_add_f32 v2, v2, v4
	s_delay_alu instid0(VALU_DEP_1) | instskip(NEXT) | instid1(VALU_DEP_1)
	v_add_f32_e32 v3, v3, v154
	v_add_f32_e32 v3, v3, v155
	s_wait_loadcnt 0x0
	s_delay_alu instid0(VALU_DEP_1)
	v_dual_sub_f32 v2, v131, v2 :: v_dual_sub_f32 v3, v132, v3
	scratch_store_b64 off, v[2:3], off offset:344
	v_cmpx_lt_u32_e32 42, v0
	s_cbranch_execz .LBB116_247
; %bb.246:
	scratch_load_b64 v[3:4], off, off offset:336
	v_mov_b32_e32 v2, v1
	scratch_store_b64 off, v[1:2], off offset:336
	s_wait_loadcnt 0x0
	ds_store_b64 v133, v[3:4]
.LBB116_247:
	s_wait_alu 0xfffe
	s_or_b32 exec_lo, exec_lo, s0
	s_wait_storecnt_dscnt 0x0
	s_barrier_signal -1
	s_barrier_wait -1
	global_inv scope:SCOPE_SE
	s_clause 0x5
	scratch_load_b128 v[2:5], off, off offset:344
	scratch_load_b128 v[6:9], off, off offset:360
	;; [unrolled: 1-line block ×5, first 2 shown]
	scratch_load_b64 v[22:23], off, off offset:336
	ds_load_2addr_b64 v[134:137], v1 offset0:97 offset1:98
	ds_load_2addr_b64 v[138:141], v1 offset0:99 offset1:100
	;; [unrolled: 1-line block ×5, first 2 shown]
	s_mov_b32 s0, exec_lo
	s_wait_loadcnt_dscnt 0x504
	v_dual_mul_f32 v1, v134, v3 :: v_dual_mul_f32 v24, v136, v5
	v_mul_f32_e32 v3, v135, v3
	v_mul_f32_e32 v5, v137, v5
	s_wait_loadcnt_dscnt 0x403
	v_dual_mul_f32 v131, v138, v7 :: v_dual_mul_f32 v132, v140, v9
	v_fmac_f32_e32 v24, v137, v4
	v_fma_f32 v3, v134, v2, -v3
	s_wait_loadcnt_dscnt 0x302
	v_dual_mul_f32 v154, v142, v11 :: v_dual_mul_f32 v155, v144, v13
	v_dual_fmac_f32 v1, v135, v2 :: v_dual_fmac_f32 v132, v141, v8
	v_mul_f32_e32 v2, v139, v7
	v_fma_f32 v4, v136, v4, -v5
	s_delay_alu instid0(VALU_DEP_4) | instskip(NEXT) | instid1(VALU_DEP_4)
	v_dual_add_f32 v3, 0, v3 :: v_dual_fmac_f32 v154, v143, v10
	v_add_f32_e32 v1, 0, v1
	s_delay_alu instid0(VALU_DEP_4) | instskip(SKIP_4) | instid1(VALU_DEP_3)
	v_fma_f32 v2, v138, v6, -v2
	s_wait_loadcnt_dscnt 0x201
	v_dual_mul_f32 v156, v146, v15 :: v_dual_mul_f32 v157, v148, v17
	v_add_f32_e32 v3, v3, v4
	v_dual_mul_f32 v5, v141, v9 :: v_dual_mul_f32 v4, v143, v11
	v_dual_add_f32 v1, v1, v24 :: v_dual_fmac_f32 v156, v147, v14
	s_delay_alu instid0(VALU_DEP_3) | instskip(NEXT) | instid1(VALU_DEP_3)
	v_add_f32_e32 v2, v3, v2
	v_fma_f32 v5, v140, v8, -v5
	v_fmac_f32_e32 v131, v139, v6
	v_fma_f32 v4, v142, v10, -v4
	s_wait_loadcnt_dscnt 0x100
	v_dual_mul_f32 v158, v150, v19 :: v_dual_mul_f32 v159, v152, v21
	s_delay_alu instid0(VALU_DEP_3) | instskip(NEXT) | instid1(VALU_DEP_2)
	v_dual_add_f32 v2, v2, v5 :: v_dual_add_f32 v1, v1, v131
	v_dual_mul_f32 v3, v145, v13 :: v_dual_fmac_f32 v158, v151, v18
	v_fmac_f32_e32 v157, v149, v16
	s_delay_alu instid0(VALU_DEP_3) | instskip(SKIP_1) | instid1(VALU_DEP_4)
	v_add_f32_e32 v2, v2, v4
	v_mul_f32_e32 v4, v149, v17
	v_fma_f32 v3, v144, v12, -v3
	v_add_f32_e32 v1, v1, v132
	v_fmac_f32_e32 v159, v153, v20
	s_delay_alu instid0(VALU_DEP_4) | instskip(SKIP_3) | instid1(VALU_DEP_3)
	v_fma_f32 v4, v148, v16, -v4
	v_mul_f32_e32 v5, v147, v15
	v_add_f32_e32 v2, v2, v3
	v_mul_f32_e32 v3, v151, v19
	v_fma_f32 v5, v146, v14, -v5
	v_fmac_f32_e32 v155, v145, v12
	s_delay_alu instid0(VALU_DEP_3) | instskip(NEXT) | instid1(VALU_DEP_3)
	v_fma_f32 v3, v150, v18, -v3
	v_add_f32_e32 v2, v2, v5
	s_delay_alu instid0(VALU_DEP_1) | instskip(SKIP_1) | instid1(VALU_DEP_2)
	v_dual_mul_f32 v5, v153, v21 :: v_dual_add_f32 v2, v2, v4
	v_add_f32_e32 v1, v1, v154
	v_fma_f32 v4, v152, v20, -v5
	s_delay_alu instid0(VALU_DEP_3) | instskip(NEXT) | instid1(VALU_DEP_1)
	v_add_f32_e32 v2, v2, v3
	v_dual_add_f32 v1, v1, v155 :: v_dual_add_f32 v2, v2, v4
	s_delay_alu instid0(VALU_DEP_1) | instskip(NEXT) | instid1(VALU_DEP_1)
	v_add_f32_e32 v1, v1, v156
	v_add_f32_e32 v1, v1, v157
	s_delay_alu instid0(VALU_DEP_1) | instskip(NEXT) | instid1(VALU_DEP_1)
	v_add_f32_e32 v1, v1, v158
	v_add_f32_e32 v3, v1, v159
	s_wait_loadcnt 0x0
	s_delay_alu instid0(VALU_DEP_1)
	v_dual_sub_f32 v1, v22, v2 :: v_dual_sub_f32 v2, v23, v3
	scratch_store_b64 off, v[1:2], off offset:336
	v_cmpx_lt_u32_e32 41, v0
	s_cbranch_execz .LBB116_249
; %bb.248:
	scratch_load_b64 v[1:2], off, off offset:328
	v_mov_b32_e32 v3, 0
	s_delay_alu instid0(VALU_DEP_1)
	v_mov_b32_e32 v4, v3
	scratch_store_b64 off, v[3:4], off offset:328
	s_wait_loadcnt 0x0
	ds_store_b64 v133, v[1:2]
.LBB116_249:
	s_wait_alu 0xfffe
	s_or_b32 exec_lo, exec_lo, s0
	s_wait_storecnt_dscnt 0x0
	s_barrier_signal -1
	s_barrier_wait -1
	global_inv scope:SCOPE_SE
	s_clause 0x6
	scratch_load_b128 v[2:5], off, off offset:336
	scratch_load_b128 v[6:9], off, off offset:352
	scratch_load_b128 v[10:13], off, off offset:368
	scratch_load_b128 v[14:17], off, off offset:384
	scratch_load_b128 v[18:21], off, off offset:400
	scratch_load_b64 v[22:23], off, off offset:416
	scratch_load_b64 v[131:132], off, off offset:328
	v_mov_b32_e32 v1, 0
	ds_load_b128 v[134:137], v1 offset:768
	ds_load_b128 v[138:141], v1 offset:784
	;; [unrolled: 1-line block ×5, first 2 shown]
	ds_load_b64 v[154:155], v1 offset:848
	s_mov_b32 s0, exec_lo
	s_wait_loadcnt_dscnt 0x605
	v_mul_f32_e32 v24, v134, v3
	v_dual_mul_f32 v3, v135, v3 :: v_dual_mul_f32 v156, v136, v5
	s_wait_loadcnt_dscnt 0x302
	v_dual_mul_f32 v157, v138, v7 :: v_dual_mul_f32 v162, v148, v17
	v_mul_f32_e32 v5, v137, v5
	s_delay_alu instid0(VALU_DEP_3) | instskip(SKIP_3) | instid1(VALU_DEP_3)
	v_fma_f32 v3, v134, v2, -v3
	s_wait_loadcnt_dscnt 0x100
	v_dual_mul_f32 v165, v154, v23 :: v_dual_fmac_f32 v24, v135, v2
	v_mul_f32_e32 v2, v139, v7
	v_dual_fmac_f32 v156, v137, v4 :: v_dual_add_f32 v3, 0, v3
	v_fma_f32 v4, v136, v4, -v5
	v_dual_mul_f32 v158, v140, v9 :: v_dual_mul_f32 v159, v142, v11
	s_delay_alu instid0(VALU_DEP_4) | instskip(SKIP_1) | instid1(VALU_DEP_4)
	v_fma_f32 v2, v138, v6, -v2
	v_dual_mul_f32 v160, v144, v13 :: v_dual_mul_f32 v161, v146, v15
	v_add_f32_e32 v3, v3, v4
	v_add_f32_e32 v5, 0, v24
	v_dual_fmac_f32 v158, v141, v8 :: v_dual_fmac_f32 v159, v143, v10
	s_delay_alu instid0(VALU_DEP_4) | instskip(NEXT) | instid1(VALU_DEP_4)
	v_fmac_f32_e32 v160, v145, v12
	v_dual_add_f32 v2, v3, v2 :: v_dual_mul_f32 v7, v141, v9
	s_delay_alu instid0(VALU_DEP_4) | instskip(SKIP_2) | instid1(VALU_DEP_4)
	v_dual_fmac_f32 v157, v139, v6 :: v_dual_add_f32 v4, v5, v156
	v_mul_f32_e32 v5, v143, v11
	v_dual_fmac_f32 v161, v147, v14 :: v_dual_fmac_f32 v162, v149, v16
	v_fma_f32 v6, v140, v8, -v7
	s_delay_alu instid0(VALU_DEP_4)
	v_add_f32_e32 v3, v4, v157
	v_mul_f32_e32 v4, v145, v13
	v_fma_f32 v5, v142, v10, -v5
	v_dual_mul_f32 v163, v150, v19 :: v_dual_mul_f32 v164, v152, v21
	v_add_f32_e32 v2, v2, v6
	v_mul_f32_e32 v6, v147, v15
	v_add_f32_e32 v3, v3, v158
	v_fma_f32 v4, v144, v12, -v4
	s_delay_alu instid0(VALU_DEP_4) | instskip(SKIP_1) | instid1(VALU_DEP_4)
	v_dual_fmac_f32 v163, v151, v18 :: v_dual_add_f32 v2, v2, v5
	v_mul_f32_e32 v5, v149, v17
	v_add_f32_e32 v3, v3, v159
	v_fma_f32 v6, v146, v14, -v6
	v_fmac_f32_e32 v164, v153, v20
	v_add_f32_e32 v2, v2, v4
	v_mul_f32_e32 v4, v151, v19
	v_add_f32_e32 v3, v3, v160
	v_fma_f32 v5, v148, v16, -v5
	s_delay_alu instid0(VALU_DEP_4) | instskip(SKIP_1) | instid1(VALU_DEP_4)
	v_add_f32_e32 v2, v2, v6
	v_mul_f32_e32 v6, v153, v21
	v_add_f32_e32 v3, v3, v161
	v_fma_f32 v4, v150, v18, -v4
	s_delay_alu instid0(VALU_DEP_4) | instskip(NEXT) | instid1(VALU_DEP_4)
	v_add_f32_e32 v2, v2, v5
	v_fma_f32 v6, v152, v20, -v6
	s_delay_alu instid0(VALU_DEP_4) | instskip(NEXT) | instid1(VALU_DEP_3)
	v_add_f32_e32 v3, v3, v162
	v_dual_mul_f32 v5, v155, v23 :: v_dual_add_f32 v2, v2, v4
	s_delay_alu instid0(VALU_DEP_2) | instskip(NEXT) | instid1(VALU_DEP_2)
	v_add_f32_e32 v3, v3, v163
	v_fma_f32 v4, v154, v22, -v5
	s_delay_alu instid0(VALU_DEP_3) | instskip(SKIP_1) | instid1(VALU_DEP_4)
	v_add_f32_e32 v2, v2, v6
	v_fmac_f32_e32 v165, v155, v22
	v_add_f32_e32 v3, v3, v164
	s_delay_alu instid0(VALU_DEP_1) | instskip(SKIP_1) | instid1(VALU_DEP_1)
	v_dual_add_f32 v2, v2, v4 :: v_dual_add_f32 v3, v3, v165
	s_wait_loadcnt 0x0
	v_dual_sub_f32 v2, v131, v2 :: v_dual_sub_f32 v3, v132, v3
	scratch_store_b64 off, v[2:3], off offset:328
	v_cmpx_lt_u32_e32 40, v0
	s_cbranch_execz .LBB116_251
; %bb.250:
	scratch_load_b64 v[3:4], off, off offset:320
	v_mov_b32_e32 v2, v1
	scratch_store_b64 off, v[1:2], off offset:320
	s_wait_loadcnt 0x0
	ds_store_b64 v133, v[3:4]
.LBB116_251:
	s_wait_alu 0xfffe
	s_or_b32 exec_lo, exec_lo, s0
	s_wait_storecnt_dscnt 0x0
	s_barrier_signal -1
	s_barrier_wait -1
	global_inv scope:SCOPE_SE
	s_clause 0x6
	scratch_load_b128 v[2:5], off, off offset:328
	scratch_load_b128 v[6:9], off, off offset:344
	;; [unrolled: 1-line block ×6, first 2 shown]
	scratch_load_b64 v[22:23], off, off offset:320
	ds_load_2addr_b64 v[138:141], v1 offset0:95 offset1:96
	ds_load_2addr_b64 v[142:145], v1 offset0:97 offset1:98
	;; [unrolled: 1-line block ×6, first 2 shown]
	s_mov_b32 s0, exec_lo
	s_wait_loadcnt_dscnt 0x605
	v_dual_mul_f32 v1, v138, v3 :: v_dual_mul_f32 v24, v140, v5
	v_mul_f32_e32 v3, v139, v3
	v_mul_f32_e32 v5, v141, v5
	s_wait_loadcnt_dscnt 0x504
	v_dual_mul_f32 v131, v142, v7 :: v_dual_mul_f32 v132, v144, v9
	v_fmac_f32_e32 v24, v141, v4
	v_fma_f32 v3, v138, v2, -v3
	s_wait_loadcnt_dscnt 0x403
	v_dual_mul_f32 v162, v146, v11 :: v_dual_mul_f32 v163, v148, v13
	v_dual_fmac_f32 v1, v139, v2 :: v_dual_fmac_f32 v132, v145, v8
	v_mul_f32_e32 v2, v143, v7
	v_fma_f32 v4, v140, v4, -v5
	s_delay_alu instid0(VALU_DEP_4) | instskip(NEXT) | instid1(VALU_DEP_4)
	v_dual_add_f32 v3, 0, v3 :: v_dual_fmac_f32 v162, v147, v10
	v_add_f32_e32 v1, 0, v1
	s_delay_alu instid0(VALU_DEP_4) | instskip(SKIP_4) | instid1(VALU_DEP_3)
	v_fma_f32 v2, v142, v6, -v2
	s_wait_loadcnt_dscnt 0x302
	v_dual_mul_f32 v164, v150, v15 :: v_dual_mul_f32 v165, v152, v17
	v_add_f32_e32 v3, v3, v4
	v_dual_mul_f32 v5, v145, v9 :: v_dual_mul_f32 v4, v147, v11
	v_dual_add_f32 v1, v1, v24 :: v_dual_fmac_f32 v164, v151, v14
	s_delay_alu instid0(VALU_DEP_3) | instskip(NEXT) | instid1(VALU_DEP_3)
	v_add_f32_e32 v2, v3, v2
	v_fma_f32 v5, v144, v8, -v5
	v_fmac_f32_e32 v131, v143, v6
	v_fma_f32 v4, v146, v10, -v4
	s_wait_loadcnt_dscnt 0x201
	v_dual_mul_f32 v166, v154, v19 :: v_dual_mul_f32 v167, v156, v21
	s_delay_alu instid0(VALU_DEP_3) | instskip(NEXT) | instid1(VALU_DEP_2)
	v_dual_add_f32 v2, v2, v5 :: v_dual_add_f32 v1, v1, v131
	v_dual_mul_f32 v3, v149, v13 :: v_dual_fmac_f32 v166, v155, v18
	s_wait_loadcnt_dscnt 0x100
	v_dual_mul_f32 v168, v158, v135 :: v_dual_mul_f32 v169, v160, v137
	s_delay_alu instid0(VALU_DEP_3)
	v_add_f32_e32 v2, v2, v4
	v_mul_f32_e32 v4, v153, v17
	v_fma_f32 v3, v148, v12, -v3
	v_add_f32_e32 v1, v1, v132
	v_fmac_f32_e32 v167, v157, v20
	v_fmac_f32_e32 v169, v161, v136
	v_fma_f32 v4, v152, v16, -v4
	v_mul_f32_e32 v5, v151, v15
	v_dual_add_f32 v2, v2, v3 :: v_dual_add_f32 v1, v1, v162
	v_fmac_f32_e32 v168, v159, v134
	s_delay_alu instid0(VALU_DEP_3) | instskip(NEXT) | instid1(VALU_DEP_1)
	v_fma_f32 v5, v150, v14, -v5
	v_dual_fmac_f32 v163, v149, v12 :: v_dual_add_f32 v2, v2, v5
	s_delay_alu instid0(VALU_DEP_1) | instskip(SKIP_1) | instid1(VALU_DEP_3)
	v_add_f32_e32 v2, v2, v4
	v_mul_f32_e32 v4, v159, v135
	v_add_f32_e32 v1, v1, v163
	s_delay_alu instid0(VALU_DEP_2) | instskip(SKIP_1) | instid1(VALU_DEP_1)
	v_fma_f32 v4, v158, v134, -v4
	v_mul_f32_e32 v5, v157, v21
	v_fma_f32 v5, v156, v20, -v5
	v_mul_f32_e32 v3, v155, v19
	s_delay_alu instid0(VALU_DEP_1) | instskip(NEXT) | instid1(VALU_DEP_1)
	v_fma_f32 v3, v154, v18, -v3
	v_dual_fmac_f32 v165, v153, v16 :: v_dual_add_f32 v2, v2, v3
	v_mul_f32_e32 v3, v161, v137
	s_delay_alu instid0(VALU_DEP_2) | instskip(NEXT) | instid1(VALU_DEP_2)
	v_add_f32_e32 v2, v2, v5
	v_fma_f32 v3, v160, v136, -v3
	s_delay_alu instid0(VALU_DEP_2) | instskip(NEXT) | instid1(VALU_DEP_1)
	v_add_f32_e32 v2, v2, v4
	v_dual_add_f32 v1, v1, v164 :: v_dual_add_f32 v2, v2, v3
	s_delay_alu instid0(VALU_DEP_1) | instskip(NEXT) | instid1(VALU_DEP_1)
	v_add_f32_e32 v1, v1, v165
	v_add_f32_e32 v1, v1, v166
	s_delay_alu instid0(VALU_DEP_1) | instskip(NEXT) | instid1(VALU_DEP_1)
	v_add_f32_e32 v1, v1, v167
	v_add_f32_e32 v1, v1, v168
	s_delay_alu instid0(VALU_DEP_1) | instskip(SKIP_1) | instid1(VALU_DEP_1)
	v_add_f32_e32 v3, v1, v169
	s_wait_loadcnt 0x0
	v_dual_sub_f32 v1, v22, v2 :: v_dual_sub_f32 v2, v23, v3
	scratch_store_b64 off, v[1:2], off offset:320
	v_cmpx_lt_u32_e32 39, v0
	s_cbranch_execz .LBB116_253
; %bb.252:
	scratch_load_b64 v[1:2], off, off offset:312
	v_mov_b32_e32 v3, 0
	s_delay_alu instid0(VALU_DEP_1)
	v_mov_b32_e32 v4, v3
	scratch_store_b64 off, v[3:4], off offset:312
	s_wait_loadcnt 0x0
	ds_store_b64 v133, v[1:2]
.LBB116_253:
	s_wait_alu 0xfffe
	s_or_b32 exec_lo, exec_lo, s0
	s_wait_storecnt_dscnt 0x0
	s_barrier_signal -1
	s_barrier_wait -1
	global_inv scope:SCOPE_SE
	s_clause 0x7
	scratch_load_b128 v[2:5], off, off offset:320
	scratch_load_b128 v[6:9], off, off offset:336
	;; [unrolled: 1-line block ×6, first 2 shown]
	scratch_load_b64 v[22:23], off, off offset:416
	scratch_load_b64 v[131:132], off, off offset:312
	v_mov_b32_e32 v1, 0
	ds_load_b128 v[138:141], v1 offset:752
	ds_load_b128 v[142:145], v1 offset:768
	;; [unrolled: 1-line block ×6, first 2 shown]
	ds_load_b64 v[162:163], v1 offset:848
	s_mov_b32 s0, exec_lo
	s_wait_loadcnt_dscnt 0x706
	v_mul_f32_e32 v24, v138, v3
	v_dual_mul_f32 v3, v139, v3 :: v_dual_mul_f32 v164, v140, v5
	s_wait_loadcnt_dscnt 0x302
	v_dual_mul_f32 v165, v142, v7 :: v_dual_mul_f32 v172, v156, v21
	v_mul_f32_e32 v5, v141, v5
	s_delay_alu instid0(VALU_DEP_3) | instskip(SKIP_3) | instid1(VALU_DEP_3)
	v_fma_f32 v3, v138, v2, -v3
	s_wait_loadcnt_dscnt 0x100
	v_dual_mul_f32 v175, v162, v23 :: v_dual_fmac_f32 v24, v139, v2
	v_mul_f32_e32 v2, v143, v7
	v_dual_fmac_f32 v164, v141, v4 :: v_dual_add_f32 v3, 0, v3
	v_fma_f32 v4, v140, v4, -v5
	v_dual_mul_f32 v166, v144, v9 :: v_dual_mul_f32 v167, v146, v11
	s_delay_alu instid0(VALU_DEP_4) | instskip(SKIP_1) | instid1(VALU_DEP_4)
	v_fma_f32 v2, v142, v6, -v2
	v_dual_mul_f32 v168, v148, v13 :: v_dual_mul_f32 v169, v150, v15
	v_add_f32_e32 v3, v3, v4
	v_add_f32_e32 v5, 0, v24
	v_dual_fmac_f32 v166, v145, v8 :: v_dual_fmac_f32 v167, v147, v10
	s_delay_alu instid0(VALU_DEP_4) | instskip(NEXT) | instid1(VALU_DEP_4)
	v_fmac_f32_e32 v168, v149, v12
	v_dual_add_f32 v2, v3, v2 :: v_dual_mul_f32 v7, v145, v9
	s_delay_alu instid0(VALU_DEP_4) | instskip(SKIP_2) | instid1(VALU_DEP_4)
	v_dual_fmac_f32 v165, v143, v6 :: v_dual_add_f32 v4, v5, v164
	v_dual_mul_f32 v5, v147, v11 :: v_dual_mul_f32 v170, v152, v17
	v_mul_f32_e32 v171, v154, v19
	v_fma_f32 v6, v144, v8, -v7
	s_delay_alu instid0(VALU_DEP_4)
	v_add_f32_e32 v3, v4, v165
	v_mul_f32_e32 v4, v149, v13
	v_fma_f32 v5, v146, v10, -v5
	v_dual_fmac_f32 v169, v151, v14 :: v_dual_fmac_f32 v170, v153, v16
	v_add_f32_e32 v2, v2, v6
	v_mul_f32_e32 v6, v151, v15
	v_add_f32_e32 v3, v3, v166
	v_fma_f32 v4, v148, v12, -v4
	v_dual_mul_f32 v173, v158, v135 :: v_dual_mul_f32 v174, v160, v137
	s_delay_alu instid0(VALU_DEP_3) | instskip(SKIP_2) | instid1(VALU_DEP_3)
	v_dual_add_f32 v2, v2, v5 :: v_dual_add_f32 v3, v3, v167
	v_mul_f32_e32 v5, v153, v17
	v_fma_f32 v6, v150, v14, -v6
	v_dual_fmac_f32 v171, v155, v18 :: v_dual_add_f32 v2, v2, v4
	s_delay_alu instid0(VALU_DEP_4) | instskip(SKIP_3) | instid1(VALU_DEP_4)
	v_add_f32_e32 v3, v3, v168
	v_mul_f32_e32 v4, v155, v19
	v_fma_f32 v5, v152, v16, -v5
	v_fmac_f32_e32 v172, v157, v20
	v_dual_add_f32 v2, v2, v6 :: v_dual_add_f32 v3, v3, v169
	v_mul_f32_e32 v6, v157, v21
	v_fma_f32 v4, v154, v18, -v4
	v_dual_fmac_f32 v173, v159, v134 :: v_dual_fmac_f32 v174, v161, v136
	s_delay_alu instid0(VALU_DEP_4) | instskip(SKIP_2) | instid1(VALU_DEP_3)
	v_dual_add_f32 v2, v2, v5 :: v_dual_add_f32 v3, v3, v170
	v_mul_f32_e32 v5, v159, v135
	v_fma_f32 v6, v156, v20, -v6
	v_dual_fmac_f32 v175, v163, v22 :: v_dual_add_f32 v2, v2, v4
	s_delay_alu instid0(VALU_DEP_4) | instskip(NEXT) | instid1(VALU_DEP_4)
	v_dual_add_f32 v3, v3, v171 :: v_dual_mul_f32 v4, v161, v137
	v_fma_f32 v5, v158, v134, -v5
	s_delay_alu instid0(VALU_DEP_2) | instskip(SKIP_1) | instid1(VALU_DEP_4)
	v_dual_add_f32 v2, v2, v6 :: v_dual_add_f32 v3, v3, v172
	v_mul_f32_e32 v6, v163, v23
	v_fma_f32 v4, v160, v136, -v4
	s_delay_alu instid0(VALU_DEP_3) | instskip(NEXT) | instid1(VALU_DEP_4)
	v_add_f32_e32 v2, v2, v5
	v_add_f32_e32 v3, v3, v173
	s_delay_alu instid0(VALU_DEP_4) | instskip(NEXT) | instid1(VALU_DEP_2)
	v_fma_f32 v5, v162, v22, -v6
	v_dual_add_f32 v2, v2, v4 :: v_dual_add_f32 v3, v3, v174
	s_delay_alu instid0(VALU_DEP_1) | instskip(SKIP_1) | instid1(VALU_DEP_1)
	v_dual_add_f32 v2, v2, v5 :: v_dual_add_f32 v3, v3, v175
	s_wait_loadcnt 0x0
	v_dual_sub_f32 v2, v131, v2 :: v_dual_sub_f32 v3, v132, v3
	scratch_store_b64 off, v[2:3], off offset:312
	v_cmpx_lt_u32_e32 38, v0
	s_cbranch_execz .LBB116_255
; %bb.254:
	scratch_load_b64 v[3:4], off, off offset:304
	v_mov_b32_e32 v2, v1
	scratch_store_b64 off, v[1:2], off offset:304
	s_wait_loadcnt 0x0
	ds_store_b64 v133, v[3:4]
.LBB116_255:
	s_wait_alu 0xfffe
	s_or_b32 exec_lo, exec_lo, s0
	s_wait_storecnt_dscnt 0x0
	s_barrier_signal -1
	s_barrier_wait -1
	global_inv scope:SCOPE_SE
	s_clause 0x7
	scratch_load_b128 v[2:5], off, off offset:312
	scratch_load_b128 v[6:9], off, off offset:328
	;; [unrolled: 1-line block ×7, first 2 shown]
	scratch_load_b64 v[22:23], off, off offset:304
	ds_load_2addr_b64 v[142:145], v1 offset0:93 offset1:94
	ds_load_2addr_b64 v[146:149], v1 offset0:95 offset1:96
	;; [unrolled: 1-line block ×7, first 2 shown]
	s_mov_b32 s0, exec_lo
	s_wait_loadcnt_dscnt 0x706
	v_dual_mul_f32 v1, v142, v3 :: v_dual_mul_f32 v24, v144, v5
	v_mul_f32_e32 v3, v143, v3
	v_mul_f32_e32 v5, v145, v5
	s_wait_loadcnt_dscnt 0x605
	v_dual_mul_f32 v131, v146, v7 :: v_dual_mul_f32 v132, v148, v9
	v_fmac_f32_e32 v24, v145, v4
	v_fma_f32 v3, v142, v2, -v3
	s_wait_loadcnt_dscnt 0x504
	v_dual_mul_f32 v170, v150, v11 :: v_dual_mul_f32 v171, v152, v13
	v_dual_fmac_f32 v1, v143, v2 :: v_dual_fmac_f32 v132, v149, v8
	v_mul_f32_e32 v2, v147, v7
	v_fma_f32 v4, v144, v4, -v5
	s_delay_alu instid0(VALU_DEP_4) | instskip(NEXT) | instid1(VALU_DEP_4)
	v_dual_add_f32 v3, 0, v3 :: v_dual_fmac_f32 v170, v151, v10
	v_add_f32_e32 v1, 0, v1
	s_delay_alu instid0(VALU_DEP_4) | instskip(SKIP_4) | instid1(VALU_DEP_3)
	v_fma_f32 v2, v146, v6, -v2
	s_wait_loadcnt_dscnt 0x403
	v_dual_mul_f32 v172, v154, v15 :: v_dual_mul_f32 v173, v156, v17
	v_add_f32_e32 v3, v3, v4
	v_dual_mul_f32 v5, v149, v9 :: v_dual_mul_f32 v4, v151, v11
	v_dual_add_f32 v1, v1, v24 :: v_dual_fmac_f32 v172, v155, v14
	s_delay_alu instid0(VALU_DEP_3) | instskip(NEXT) | instid1(VALU_DEP_3)
	v_add_f32_e32 v2, v3, v2
	v_fma_f32 v5, v148, v8, -v5
	v_fmac_f32_e32 v131, v147, v6
	v_fma_f32 v4, v150, v10, -v4
	s_wait_loadcnt_dscnt 0x302
	v_dual_mul_f32 v174, v158, v19 :: v_dual_mul_f32 v175, v160, v21
	s_delay_alu instid0(VALU_DEP_3) | instskip(NEXT) | instid1(VALU_DEP_2)
	v_dual_add_f32 v2, v2, v5 :: v_dual_add_f32 v1, v1, v131
	v_dual_mul_f32 v3, v153, v13 :: v_dual_fmac_f32 v174, v159, v18
	s_wait_loadcnt_dscnt 0x201
	v_dual_mul_f32 v176, v162, v135 :: v_dual_mul_f32 v177, v164, v137
	s_delay_alu instid0(VALU_DEP_3)
	v_add_f32_e32 v2, v2, v4
	v_mul_f32_e32 v4, v157, v17
	v_fma_f32 v3, v152, v12, -v3
	s_wait_loadcnt_dscnt 0x100
	v_dual_add_f32 v1, v1, v132 :: v_dual_mul_f32 v178, v166, v139
	v_mul_f32_e32 v179, v168, v141
	v_fma_f32 v4, v156, v16, -v4
	v_mul_f32_e32 v5, v155, v15
	s_delay_alu instid0(VALU_DEP_4) | instskip(SKIP_1) | instid1(VALU_DEP_3)
	v_dual_add_f32 v2, v2, v3 :: v_dual_add_f32 v1, v1, v170
	v_dual_fmac_f32 v176, v163, v134 :: v_dual_fmac_f32 v177, v165, v136
	v_fma_f32 v5, v154, v14, -v5
	v_dual_fmac_f32 v171, v153, v12 :: v_dual_fmac_f32 v178, v167, v138
	s_delay_alu instid0(VALU_DEP_2) | instskip(NEXT) | instid1(VALU_DEP_1)
	v_dual_fmac_f32 v179, v169, v140 :: v_dual_add_f32 v2, v2, v5
	v_add_f32_e32 v2, v2, v4
	v_mul_f32_e32 v4, v163, v135
	s_delay_alu instid0(VALU_DEP_4) | instskip(NEXT) | instid1(VALU_DEP_2)
	v_add_f32_e32 v1, v1, v171
	v_fma_f32 v4, v162, v134, -v4
	v_mul_f32_e32 v5, v161, v21
	s_delay_alu instid0(VALU_DEP_3) | instskip(NEXT) | instid1(VALU_DEP_2)
	v_add_f32_e32 v1, v1, v172
	v_fma_f32 v5, v160, v20, -v5
	v_mul_f32_e32 v3, v159, v19
	s_delay_alu instid0(VALU_DEP_1) | instskip(NEXT) | instid1(VALU_DEP_1)
	v_fma_f32 v3, v158, v18, -v3
	v_dual_fmac_f32 v173, v157, v16 :: v_dual_add_f32 v2, v2, v3
	v_mul_f32_e32 v3, v165, v137
	s_delay_alu instid0(VALU_DEP_2) | instskip(NEXT) | instid1(VALU_DEP_2)
	v_dual_add_f32 v2, v2, v5 :: v_dual_mul_f32 v5, v167, v139
	v_fma_f32 v3, v164, v136, -v3
	s_delay_alu instid0(VALU_DEP_2) | instskip(SKIP_1) | instid1(VALU_DEP_4)
	v_dual_add_f32 v2, v2, v4 :: v_dual_add_f32 v1, v1, v173
	v_mul_f32_e32 v4, v169, v141
	v_fma_f32 v5, v166, v138, -v5
	s_delay_alu instid0(VALU_DEP_3) | instskip(NEXT) | instid1(VALU_DEP_3)
	v_dual_add_f32 v2, v2, v3 :: v_dual_fmac_f32 v175, v161, v20
	v_fma_f32 v3, v168, v140, -v4
	s_delay_alu instid0(VALU_DEP_2) | instskip(NEXT) | instid1(VALU_DEP_1)
	v_dual_add_f32 v2, v2, v5 :: v_dual_add_f32 v1, v1, v174
	v_add_f32_e32 v2, v2, v3
	s_delay_alu instid0(VALU_DEP_2) | instskip(NEXT) | instid1(VALU_DEP_1)
	v_add_f32_e32 v1, v1, v175
	v_add_f32_e32 v1, v1, v176
	s_delay_alu instid0(VALU_DEP_1) | instskip(NEXT) | instid1(VALU_DEP_1)
	v_add_f32_e32 v1, v1, v177
	v_add_f32_e32 v1, v1, v178
	s_delay_alu instid0(VALU_DEP_1) | instskip(SKIP_1) | instid1(VALU_DEP_1)
	v_add_f32_e32 v3, v1, v179
	s_wait_loadcnt 0x0
	v_dual_sub_f32 v1, v22, v2 :: v_dual_sub_f32 v2, v23, v3
	scratch_store_b64 off, v[1:2], off offset:304
	v_cmpx_lt_u32_e32 37, v0
	s_cbranch_execz .LBB116_257
; %bb.256:
	scratch_load_b64 v[1:2], off, off offset:296
	v_mov_b32_e32 v3, 0
	s_delay_alu instid0(VALU_DEP_1)
	v_mov_b32_e32 v4, v3
	scratch_store_b64 off, v[3:4], off offset:296
	s_wait_loadcnt 0x0
	ds_store_b64 v133, v[1:2]
.LBB116_257:
	s_wait_alu 0xfffe
	s_or_b32 exec_lo, exec_lo, s0
	s_wait_storecnt_dscnt 0x0
	s_barrier_signal -1
	s_barrier_wait -1
	global_inv scope:SCOPE_SE
	s_clause 0x8
	scratch_load_b128 v[2:5], off, off offset:304
	scratch_load_b128 v[6:9], off, off offset:320
	;; [unrolled: 1-line block ×7, first 2 shown]
	scratch_load_b64 v[22:23], off, off offset:416
	scratch_load_b64 v[131:132], off, off offset:296
	v_mov_b32_e32 v1, 0
	ds_load_b128 v[142:145], v1 offset:736
	ds_load_b128 v[146:149], v1 offset:752
	;; [unrolled: 1-line block ×7, first 2 shown]
	ds_load_b64 v[170:171], v1 offset:848
	s_mov_b32 s0, exec_lo
	s_wait_loadcnt_dscnt 0x807
	v_mul_f32_e32 v24, v142, v3
	v_dual_mul_f32 v3, v143, v3 :: v_dual_mul_f32 v172, v144, v5
	s_wait_loadcnt_dscnt 0x706
	v_mul_f32_e32 v173, v146, v7
	v_mul_f32_e32 v5, v145, v5
	s_wait_loadcnt_dscnt 0x302
	v_mul_f32_e32 v182, v164, v137
	v_fma_f32 v3, v142, v2, -v3
	s_wait_loadcnt_dscnt 0x100
	v_dual_mul_f32 v185, v170, v23 :: v_dual_fmac_f32 v24, v143, v2
	v_mul_f32_e32 v2, v147, v7
	s_delay_alu instid0(VALU_DEP_3) | instskip(SKIP_2) | instid1(VALU_DEP_4)
	v_dual_fmac_f32 v172, v145, v4 :: v_dual_add_f32 v3, 0, v3
	v_fma_f32 v4, v144, v4, -v5
	v_dual_mul_f32 v174, v148, v9 :: v_dual_mul_f32 v175, v150, v11
	v_fma_f32 v2, v146, v6, -v2
	v_dual_mul_f32 v176, v152, v13 :: v_dual_mul_f32 v177, v154, v15
	s_delay_alu instid0(VALU_DEP_4) | instskip(SKIP_1) | instid1(VALU_DEP_3)
	v_add_f32_e32 v3, v3, v4
	v_add_f32_e32 v5, 0, v24
	v_dual_fmac_f32 v175, v151, v10 :: v_dual_fmac_f32 v176, v153, v12
	v_fmac_f32_e32 v174, v149, v8
	s_delay_alu instid0(VALU_DEP_4) | instskip(NEXT) | instid1(VALU_DEP_4)
	v_dual_add_f32 v2, v3, v2 :: v_dual_mul_f32 v7, v149, v9
	v_dual_fmac_f32 v173, v147, v6 :: v_dual_add_f32 v4, v5, v172
	v_dual_mul_f32 v5, v151, v11 :: v_dual_mul_f32 v178, v156, v17
	v_mul_f32_e32 v179, v158, v19
	s_delay_alu instid0(VALU_DEP_4) | instskip(NEXT) | instid1(VALU_DEP_4)
	v_fma_f32 v6, v148, v8, -v7
	v_add_f32_e32 v3, v4, v173
	v_mul_f32_e32 v4, v153, v13
	v_fma_f32 v5, v150, v10, -v5
	v_dual_fmac_f32 v177, v155, v14 :: v_dual_fmac_f32 v178, v157, v16
	v_add_f32_e32 v2, v2, v6
	v_mul_f32_e32 v6, v155, v15
	v_add_f32_e32 v3, v3, v174
	v_fma_f32 v4, v152, v12, -v4
	v_dual_mul_f32 v180, v160, v21 :: v_dual_mul_f32 v181, v162, v135
	s_delay_alu instid0(VALU_DEP_3) | instskip(SKIP_2) | instid1(VALU_DEP_3)
	v_dual_add_f32 v2, v2, v5 :: v_dual_add_f32 v3, v3, v175
	v_mul_f32_e32 v5, v157, v17
	v_fma_f32 v6, v154, v14, -v6
	v_dual_fmac_f32 v179, v159, v18 :: v_dual_add_f32 v2, v2, v4
	s_delay_alu instid0(VALU_DEP_4) | instskip(SKIP_3) | instid1(VALU_DEP_4)
	v_add_f32_e32 v3, v3, v176
	v_mul_f32_e32 v4, v159, v19
	v_fma_f32 v5, v156, v16, -v5
	v_fmac_f32_e32 v180, v161, v20
	v_dual_add_f32 v2, v2, v6 :: v_dual_add_f32 v3, v3, v177
	v_mul_f32_e32 v6, v161, v21
	v_fma_f32 v4, v158, v18, -v4
	v_dual_mul_f32 v183, v166, v139 :: v_dual_mul_f32 v184, v168, v141
	s_delay_alu instid0(VALU_DEP_4) | instskip(SKIP_3) | instid1(VALU_DEP_4)
	v_dual_add_f32 v2, v2, v5 :: v_dual_add_f32 v3, v3, v178
	v_mul_f32_e32 v5, v163, v135
	v_fma_f32 v6, v160, v20, -v6
	v_dual_fmac_f32 v181, v163, v134 :: v_dual_fmac_f32 v182, v165, v136
	v_dual_add_f32 v2, v2, v4 :: v_dual_add_f32 v3, v3, v179
	v_mul_f32_e32 v4, v165, v137
	v_fma_f32 v5, v162, v134, -v5
	v_fmac_f32_e32 v183, v167, v138
	s_delay_alu instid0(VALU_DEP_4) | instskip(SKIP_3) | instid1(VALU_DEP_4)
	v_dual_add_f32 v2, v2, v6 :: v_dual_add_f32 v3, v3, v180
	v_mul_f32_e32 v6, v167, v139
	v_fma_f32 v4, v164, v136, -v4
	v_fmac_f32_e32 v184, v169, v140
	v_add_f32_e32 v2, v2, v5
	v_add_f32_e32 v3, v3, v181
	v_mul_f32_e32 v5, v169, v141
	v_fma_f32 v6, v166, v138, -v6
	s_delay_alu instid0(VALU_DEP_3) | instskip(SKIP_1) | instid1(VALU_DEP_4)
	v_dual_add_f32 v2, v2, v4 :: v_dual_add_f32 v3, v3, v182
	v_mul_f32_e32 v4, v171, v23
	v_fma_f32 v5, v168, v140, -v5
	s_delay_alu instid0(VALU_DEP_3) | instskip(SKIP_1) | instid1(VALU_DEP_4)
	v_dual_add_f32 v2, v2, v6 :: v_dual_add_f32 v3, v3, v183
	v_fmac_f32_e32 v185, v171, v22
	v_fma_f32 v4, v170, v22, -v4
	s_delay_alu instid0(VALU_DEP_3) | instskip(NEXT) | instid1(VALU_DEP_1)
	v_dual_add_f32 v2, v2, v5 :: v_dual_add_f32 v3, v3, v184
	v_dual_add_f32 v2, v2, v4 :: v_dual_add_f32 v3, v3, v185
	s_wait_loadcnt 0x0
	s_delay_alu instid0(VALU_DEP_1)
	v_dual_sub_f32 v2, v131, v2 :: v_dual_sub_f32 v3, v132, v3
	scratch_store_b64 off, v[2:3], off offset:296
	v_cmpx_lt_u32_e32 36, v0
	s_cbranch_execz .LBB116_259
; %bb.258:
	scratch_load_b64 v[3:4], off, off offset:288
	v_mov_b32_e32 v2, v1
	scratch_store_b64 off, v[1:2], off offset:288
	s_wait_loadcnt 0x0
	ds_store_b64 v133, v[3:4]
.LBB116_259:
	s_wait_alu 0xfffe
	s_or_b32 exec_lo, exec_lo, s0
	s_wait_storecnt_dscnt 0x0
	s_barrier_signal -1
	s_barrier_wait -1
	global_inv scope:SCOPE_SE
	s_clause 0x8
	scratch_load_b128 v[2:5], off, off offset:296
	scratch_load_b128 v[6:9], off, off offset:312
	;; [unrolled: 1-line block ×8, first 2 shown]
	scratch_load_b64 v[22:23], off, off offset:288
	ds_load_2addr_b64 v[146:149], v1 offset0:91 offset1:92
	ds_load_2addr_b64 v[150:153], v1 offset0:93 offset1:94
	;; [unrolled: 1-line block ×8, first 2 shown]
	s_mov_b32 s0, exec_lo
	s_wait_loadcnt_dscnt 0x807
	v_dual_mul_f32 v1, v146, v3 :: v_dual_mul_f32 v24, v148, v5
	v_mul_f32_e32 v3, v147, v3
	v_mul_f32_e32 v5, v149, v5
	s_wait_loadcnt_dscnt 0x706
	v_dual_mul_f32 v131, v150, v7 :: v_dual_mul_f32 v132, v152, v9
	v_fmac_f32_e32 v24, v149, v4
	v_fma_f32 v3, v146, v2, -v3
	s_wait_loadcnt_dscnt 0x605
	v_dual_mul_f32 v178, v154, v11 :: v_dual_mul_f32 v179, v156, v13
	v_dual_fmac_f32 v1, v147, v2 :: v_dual_fmac_f32 v132, v153, v8
	v_mul_f32_e32 v2, v151, v7
	v_fma_f32 v4, v148, v4, -v5
	s_delay_alu instid0(VALU_DEP_4) | instskip(NEXT) | instid1(VALU_DEP_4)
	v_dual_add_f32 v3, 0, v3 :: v_dual_fmac_f32 v178, v155, v10
	v_add_f32_e32 v1, 0, v1
	s_delay_alu instid0(VALU_DEP_4) | instskip(SKIP_4) | instid1(VALU_DEP_3)
	v_fma_f32 v2, v150, v6, -v2
	s_wait_loadcnt_dscnt 0x504
	v_dual_mul_f32 v180, v158, v15 :: v_dual_mul_f32 v181, v160, v17
	v_add_f32_e32 v3, v3, v4
	v_dual_mul_f32 v5, v153, v9 :: v_dual_mul_f32 v4, v155, v11
	v_dual_add_f32 v1, v1, v24 :: v_dual_fmac_f32 v180, v159, v14
	s_delay_alu instid0(VALU_DEP_3) | instskip(NEXT) | instid1(VALU_DEP_3)
	v_add_f32_e32 v2, v3, v2
	v_fma_f32 v5, v152, v8, -v5
	v_fmac_f32_e32 v131, v151, v6
	v_fma_f32 v4, v154, v10, -v4
	s_wait_loadcnt_dscnt 0x403
	v_dual_mul_f32 v182, v162, v19 :: v_dual_mul_f32 v183, v164, v21
	s_delay_alu instid0(VALU_DEP_3) | instskip(NEXT) | instid1(VALU_DEP_2)
	v_dual_add_f32 v2, v2, v5 :: v_dual_add_f32 v1, v1, v131
	v_dual_mul_f32 v3, v157, v13 :: v_dual_fmac_f32 v182, v163, v18
	s_wait_loadcnt_dscnt 0x302
	v_dual_mul_f32 v184, v166, v135 :: v_dual_mul_f32 v185, v168, v137
	s_delay_alu instid0(VALU_DEP_3)
	v_add_f32_e32 v2, v2, v4
	v_mul_f32_e32 v4, v161, v17
	v_fma_f32 v3, v156, v12, -v3
	s_wait_loadcnt_dscnt 0x100
	v_dual_add_f32 v1, v1, v132 :: v_dual_mul_f32 v188, v174, v143
	v_mul_f32_e32 v189, v176, v145
	v_fma_f32 v4, v160, v16, -v4
	v_mul_f32_e32 v5, v159, v15
	s_delay_alu instid0(VALU_DEP_4) | instskip(SKIP_1) | instid1(VALU_DEP_3)
	v_dual_add_f32 v2, v2, v3 :: v_dual_add_f32 v1, v1, v178
	v_dual_mul_f32 v186, v170, v139 :: v_dual_mul_f32 v187, v172, v141
	v_fma_f32 v5, v158, v14, -v5
	v_dual_fmac_f32 v179, v157, v12 :: v_dual_fmac_f32 v184, v167, v134
	s_delay_alu instid0(VALU_DEP_3) | instskip(NEXT) | instid1(VALU_DEP_3)
	v_dual_fmac_f32 v186, v171, v138 :: v_dual_fmac_f32 v187, v173, v140
	v_dual_add_f32 v2, v2, v5 :: v_dual_fmac_f32 v189, v177, v144
	v_fmac_f32_e32 v188, v175, v142
	s_delay_alu instid0(VALU_DEP_2) | instskip(SKIP_2) | instid1(VALU_DEP_2)
	v_add_f32_e32 v2, v2, v4
	v_mul_f32_e32 v4, v167, v135
	v_add_f32_e32 v1, v1, v179
	v_fma_f32 v4, v166, v134, -v4
	v_mul_f32_e32 v5, v165, v21
	s_delay_alu instid0(VALU_DEP_3) | instskip(NEXT) | instid1(VALU_DEP_2)
	v_add_f32_e32 v1, v1, v180
	v_fma_f32 v5, v164, v20, -v5
	v_mul_f32_e32 v3, v163, v19
	s_delay_alu instid0(VALU_DEP_1) | instskip(NEXT) | instid1(VALU_DEP_1)
	v_fma_f32 v3, v162, v18, -v3
	v_dual_fmac_f32 v181, v161, v16 :: v_dual_add_f32 v2, v2, v3
	v_mul_f32_e32 v3, v169, v137
	s_delay_alu instid0(VALU_DEP_2) | instskip(NEXT) | instid1(VALU_DEP_2)
	v_dual_add_f32 v2, v2, v5 :: v_dual_mul_f32 v5, v171, v139
	v_fma_f32 v3, v168, v136, -v3
	s_delay_alu instid0(VALU_DEP_2) | instskip(SKIP_1) | instid1(VALU_DEP_4)
	v_dual_add_f32 v2, v2, v4 :: v_dual_add_f32 v1, v1, v181
	v_mul_f32_e32 v4, v173, v141
	v_fma_f32 v5, v170, v138, -v5
	s_delay_alu instid0(VALU_DEP_3) | instskip(SKIP_1) | instid1(VALU_DEP_4)
	v_dual_add_f32 v2, v2, v3 :: v_dual_fmac_f32 v183, v165, v20
	v_mul_f32_e32 v3, v175, v143
	v_fma_f32 v4, v172, v140, -v4
	s_delay_alu instid0(VALU_DEP_3) | instskip(SKIP_1) | instid1(VALU_DEP_4)
	v_dual_add_f32 v2, v2, v5 :: v_dual_add_f32 v1, v1, v182
	v_mul_f32_e32 v5, v177, v145
	v_fma_f32 v3, v174, v142, -v3
	s_delay_alu instid0(VALU_DEP_3) | instskip(SKIP_1) | instid1(VALU_DEP_4)
	v_add_f32_e32 v2, v2, v4
	v_fmac_f32_e32 v185, v169, v136
	v_fma_f32 v4, v176, v144, -v5
	s_delay_alu instid0(VALU_DEP_3) | instskip(NEXT) | instid1(VALU_DEP_1)
	v_add_f32_e32 v2, v2, v3
	v_dual_add_f32 v1, v1, v183 :: v_dual_add_f32 v2, v2, v4
	s_delay_alu instid0(VALU_DEP_1) | instskip(NEXT) | instid1(VALU_DEP_1)
	v_add_f32_e32 v1, v1, v184
	v_add_f32_e32 v1, v1, v185
	s_delay_alu instid0(VALU_DEP_1) | instskip(NEXT) | instid1(VALU_DEP_1)
	v_add_f32_e32 v1, v1, v186
	v_add_f32_e32 v1, v1, v187
	s_delay_alu instid0(VALU_DEP_1) | instskip(NEXT) | instid1(VALU_DEP_1)
	v_add_f32_e32 v1, v1, v188
	v_add_f32_e32 v3, v1, v189
	s_wait_loadcnt 0x0
	s_delay_alu instid0(VALU_DEP_1)
	v_dual_sub_f32 v1, v22, v2 :: v_dual_sub_f32 v2, v23, v3
	scratch_store_b64 off, v[1:2], off offset:288
	v_cmpx_lt_u32_e32 35, v0
	s_cbranch_execz .LBB116_261
; %bb.260:
	scratch_load_b64 v[1:2], off, off offset:280
	v_mov_b32_e32 v3, 0
	s_delay_alu instid0(VALU_DEP_1)
	v_mov_b32_e32 v4, v3
	scratch_store_b64 off, v[3:4], off offset:280
	s_wait_loadcnt 0x0
	ds_store_b64 v133, v[1:2]
.LBB116_261:
	s_wait_alu 0xfffe
	s_or_b32 exec_lo, exec_lo, s0
	s_wait_storecnt_dscnt 0x0
	s_barrier_signal -1
	s_barrier_wait -1
	global_inv scope:SCOPE_SE
	s_clause 0x9
	scratch_load_b128 v[2:5], off, off offset:288
	scratch_load_b128 v[6:9], off, off offset:304
	;; [unrolled: 1-line block ×8, first 2 shown]
	scratch_load_b64 v[22:23], off, off offset:416
	scratch_load_b64 v[131:132], off, off offset:280
	v_mov_b32_e32 v1, 0
	ds_load_b128 v[146:149], v1 offset:720
	ds_load_b128 v[150:153], v1 offset:736
	;; [unrolled: 1-line block ×8, first 2 shown]
	ds_load_b64 v[178:179], v1 offset:848
	s_mov_b32 s0, exec_lo
	s_wait_loadcnt_dscnt 0x908
	v_mul_f32_e32 v24, v146, v3
	s_wait_loadcnt_dscnt 0x807
	v_dual_mul_f32 v180, v148, v5 :: v_dual_mul_f32 v181, v150, v7
	v_mul_f32_e32 v3, v147, v3
	s_delay_alu instid0(VALU_DEP_3)
	v_dual_mul_f32 v5, v149, v5 :: v_dual_fmac_f32 v24, v147, v2
	s_wait_loadcnt_dscnt 0x302
	v_mul_f32_e32 v192, v172, v141
	v_dual_mul_f32 v182, v152, v9 :: v_dual_mul_f32 v183, v154, v11
	v_fma_f32 v3, v146, v2, -v3
	s_wait_loadcnt_dscnt 0x100
	v_mul_f32_e32 v195, v178, v23
	v_mul_f32_e32 v2, v151, v7
	v_fmac_f32_e32 v180, v149, v4
	v_fma_f32 v4, v148, v4, -v5
	v_dual_add_f32 v3, 0, v3 :: v_dual_mul_f32 v184, v156, v13
	v_mul_f32_e32 v185, v158, v15
	v_fma_f32 v2, v150, v6, -v2
	v_fmac_f32_e32 v183, v155, v10
	s_delay_alu instid0(VALU_DEP_4)
	v_add_f32_e32 v3, v3, v4
	v_add_f32_e32 v5, 0, v24
	v_fmac_f32_e32 v184, v157, v12
	v_fmac_f32_e32 v182, v153, v8
	v_dual_mul_f32 v186, v160, v17 :: v_dual_mul_f32 v187, v162, v19
	v_dual_add_f32 v2, v3, v2 :: v_dual_mul_f32 v7, v153, v9
	v_dual_fmac_f32 v181, v151, v6 :: v_dual_add_f32 v4, v5, v180
	v_mul_f32_e32 v5, v155, v11
	s_delay_alu instid0(VALU_DEP_4) | instskip(NEXT) | instid1(VALU_DEP_4)
	v_dual_fmac_f32 v185, v159, v14 :: v_dual_fmac_f32 v186, v161, v16
	v_fma_f32 v6, v152, v8, -v7
	s_delay_alu instid0(VALU_DEP_4)
	v_add_f32_e32 v3, v4, v181
	v_mul_f32_e32 v4, v157, v13
	v_fma_f32 v5, v154, v10, -v5
	v_dual_mul_f32 v188, v164, v21 :: v_dual_mul_f32 v189, v166, v135
	v_add_f32_e32 v2, v2, v6
	v_mul_f32_e32 v6, v159, v15
	v_add_f32_e32 v3, v3, v182
	v_fma_f32 v4, v156, v12, -v4
	v_dual_mul_f32 v190, v168, v137 :: v_dual_mul_f32 v191, v170, v139
	s_delay_alu instid0(VALU_DEP_3) | instskip(SKIP_2) | instid1(VALU_DEP_3)
	v_dual_add_f32 v2, v2, v5 :: v_dual_add_f32 v3, v3, v183
	v_mul_f32_e32 v5, v161, v17
	v_fma_f32 v6, v158, v14, -v6
	v_dual_fmac_f32 v187, v163, v18 :: v_dual_add_f32 v2, v2, v4
	s_delay_alu instid0(VALU_DEP_4) | instskip(SKIP_3) | instid1(VALU_DEP_4)
	v_add_f32_e32 v3, v3, v184
	v_mul_f32_e32 v4, v163, v19
	v_fma_f32 v5, v160, v16, -v5
	v_fmac_f32_e32 v188, v165, v20
	v_dual_add_f32 v2, v2, v6 :: v_dual_add_f32 v3, v3, v185
	v_mul_f32_e32 v6, v165, v21
	v_fma_f32 v4, v162, v18, -v4
	v_dual_fmac_f32 v189, v167, v134 :: v_dual_fmac_f32 v190, v169, v136
	s_delay_alu instid0(VALU_DEP_4) | instskip(SKIP_3) | instid1(VALU_DEP_4)
	v_dual_add_f32 v2, v2, v5 :: v_dual_add_f32 v3, v3, v186
	v_mul_f32_e32 v5, v167, v135
	v_fma_f32 v6, v164, v20, -v6
	v_dual_mul_f32 v193, v174, v143 :: v_dual_mul_f32 v194, v176, v145
	v_dual_add_f32 v2, v2, v4 :: v_dual_add_f32 v3, v3, v187
	v_mul_f32_e32 v4, v169, v137
	v_fma_f32 v5, v166, v134, -v5
	v_fmac_f32_e32 v191, v171, v138
	s_delay_alu instid0(VALU_DEP_4) | instskip(SKIP_3) | instid1(VALU_DEP_4)
	v_dual_add_f32 v2, v2, v6 :: v_dual_add_f32 v3, v3, v188
	v_mul_f32_e32 v6, v171, v139
	v_fma_f32 v4, v168, v136, -v4
	v_fmac_f32_e32 v192, v173, v140
	v_add_f32_e32 v2, v2, v5
	v_add_f32_e32 v3, v3, v189
	v_mul_f32_e32 v5, v173, v141
	v_fma_f32 v6, v170, v138, -v6
	s_delay_alu instid0(VALU_DEP_4) | instskip(NEXT) | instid1(VALU_DEP_4)
	v_dual_fmac_f32 v193, v175, v142 :: v_dual_add_f32 v2, v2, v4
	v_add_f32_e32 v3, v3, v190
	v_mul_f32_e32 v4, v175, v143
	v_fma_f32 v5, v172, v140, -v5
	v_fmac_f32_e32 v194, v177, v144
	s_delay_alu instid0(VALU_DEP_4) | instskip(SKIP_2) | instid1(VALU_DEP_3)
	v_dual_add_f32 v2, v2, v6 :: v_dual_add_f32 v3, v3, v191
	v_mul_f32_e32 v6, v177, v145
	v_fma_f32 v4, v174, v142, -v4
	v_dual_add_f32 v2, v2, v5 :: v_dual_add_f32 v3, v3, v192
	v_mul_f32_e32 v5, v179, v23
	s_delay_alu instid0(VALU_DEP_4) | instskip(NEXT) | instid1(VALU_DEP_3)
	v_fma_f32 v6, v176, v144, -v6
	v_dual_add_f32 v2, v2, v4 :: v_dual_add_f32 v3, v3, v193
	s_delay_alu instid0(VALU_DEP_3) | instskip(NEXT) | instid1(VALU_DEP_2)
	v_fma_f32 v4, v178, v22, -v5
	v_add_f32_e32 v3, v3, v194
	s_delay_alu instid0(VALU_DEP_3) | instskip(NEXT) | instid1(VALU_DEP_1)
	v_add_f32_e32 v2, v2, v6
	v_dual_fmac_f32 v195, v179, v22 :: v_dual_add_f32 v2, v2, v4
	s_delay_alu instid0(VALU_DEP_1) | instskip(SKIP_1) | instid1(VALU_DEP_1)
	v_add_f32_e32 v3, v3, v195
	s_wait_loadcnt 0x0
	v_dual_sub_f32 v2, v131, v2 :: v_dual_sub_f32 v3, v132, v3
	scratch_store_b64 off, v[2:3], off offset:280
	v_cmpx_lt_u32_e32 34, v0
	s_cbranch_execz .LBB116_263
; %bb.262:
	scratch_load_b64 v[3:4], off, off offset:272
	v_mov_b32_e32 v2, v1
	scratch_store_b64 off, v[1:2], off offset:272
	s_wait_loadcnt 0x0
	ds_store_b64 v133, v[3:4]
.LBB116_263:
	s_wait_alu 0xfffe
	s_or_b32 exec_lo, exec_lo, s0
	s_wait_storecnt_dscnt 0x0
	s_barrier_signal -1
	s_barrier_wait -1
	global_inv scope:SCOPE_SE
	s_clause 0x9
	scratch_load_b128 v[2:5], off, off offset:280
	scratch_load_b128 v[6:9], off, off offset:296
	;; [unrolled: 1-line block ×9, first 2 shown]
	scratch_load_b64 v[22:23], off, off offset:272
	ds_load_2addr_b64 v[150:153], v1 offset0:89 offset1:90
	ds_load_2addr_b64 v[154:157], v1 offset0:91 offset1:92
	ds_load_2addr_b64 v[158:161], v1 offset0:93 offset1:94
	ds_load_2addr_b64 v[162:165], v1 offset0:95 offset1:96
	ds_load_2addr_b64 v[166:169], v1 offset0:97 offset1:98
	ds_load_2addr_b64 v[170:173], v1 offset0:99 offset1:100
	ds_load_2addr_b64 v[174:177], v1 offset0:101 offset1:102
	ds_load_2addr_b64 v[178:181], v1 offset0:103 offset1:104
	ds_load_2addr_b64 v[182:185], v1 offset0:105 offset1:106
	s_mov_b32 s0, exec_lo
	s_wait_loadcnt_dscnt 0x908
	v_dual_mul_f32 v1, v150, v3 :: v_dual_mul_f32 v24, v152, v5
	v_mul_f32_e32 v3, v151, v3
	v_mul_f32_e32 v5, v153, v5
	s_wait_loadcnt_dscnt 0x807
	v_dual_mul_f32 v131, v154, v7 :: v_dual_mul_f32 v132, v156, v9
	v_fmac_f32_e32 v24, v153, v4
	v_fma_f32 v3, v150, v2, -v3
	s_wait_loadcnt_dscnt 0x706
	v_dual_mul_f32 v186, v158, v11 :: v_dual_mul_f32 v187, v160, v13
	v_dual_fmac_f32 v1, v151, v2 :: v_dual_fmac_f32 v132, v157, v8
	v_mul_f32_e32 v2, v155, v7
	v_fma_f32 v4, v152, v4, -v5
	s_delay_alu instid0(VALU_DEP_4) | instskip(NEXT) | instid1(VALU_DEP_4)
	v_dual_add_f32 v3, 0, v3 :: v_dual_fmac_f32 v186, v159, v10
	v_add_f32_e32 v1, 0, v1
	s_delay_alu instid0(VALU_DEP_4) | instskip(SKIP_4) | instid1(VALU_DEP_3)
	v_fma_f32 v2, v154, v6, -v2
	s_wait_loadcnt_dscnt 0x605
	v_dual_mul_f32 v188, v162, v15 :: v_dual_mul_f32 v189, v164, v17
	v_add_f32_e32 v3, v3, v4
	v_dual_mul_f32 v5, v157, v9 :: v_dual_mul_f32 v4, v159, v11
	v_dual_add_f32 v1, v1, v24 :: v_dual_fmac_f32 v188, v163, v14
	s_delay_alu instid0(VALU_DEP_3) | instskip(NEXT) | instid1(VALU_DEP_3)
	v_add_f32_e32 v2, v3, v2
	v_fma_f32 v5, v156, v8, -v5
	v_fmac_f32_e32 v131, v155, v6
	v_fma_f32 v4, v158, v10, -v4
	s_wait_loadcnt_dscnt 0x504
	v_dual_mul_f32 v190, v166, v19 :: v_dual_mul_f32 v191, v168, v21
	s_delay_alu instid0(VALU_DEP_3) | instskip(NEXT) | instid1(VALU_DEP_2)
	v_dual_add_f32 v2, v2, v5 :: v_dual_add_f32 v1, v1, v131
	v_dual_mul_f32 v3, v161, v13 :: v_dual_fmac_f32 v190, v167, v18
	s_wait_loadcnt_dscnt 0x403
	v_dual_mul_f32 v192, v170, v135 :: v_dual_mul_f32 v193, v172, v137
	s_delay_alu instid0(VALU_DEP_3)
	v_add_f32_e32 v2, v2, v4
	v_mul_f32_e32 v4, v165, v17
	v_fma_f32 v3, v160, v12, -v3
	s_wait_loadcnt_dscnt 0x201
	v_dual_add_f32 v1, v1, v132 :: v_dual_mul_f32 v196, v178, v143
	v_mul_f32_e32 v197, v180, v145
	v_fma_f32 v4, v164, v16, -v4
	v_mul_f32_e32 v5, v163, v15
	s_delay_alu instid0(VALU_DEP_4) | instskip(SKIP_1) | instid1(VALU_DEP_3)
	v_dual_add_f32 v2, v2, v3 :: v_dual_add_f32 v1, v1, v186
	v_dual_mul_f32 v194, v174, v139 :: v_dual_mul_f32 v195, v176, v141
	v_fma_f32 v5, v162, v14, -v5
	v_dual_fmac_f32 v187, v161, v12 :: v_dual_fmac_f32 v192, v171, v134
	s_delay_alu instid0(VALU_DEP_3) | instskip(SKIP_4) | instid1(VALU_DEP_3)
	v_fmac_f32_e32 v194, v175, v138
	s_wait_loadcnt_dscnt 0x100
	v_dual_mul_f32 v198, v182, v147 :: v_dual_mul_f32 v199, v184, v149
	v_dual_add_f32 v2, v2, v5 :: v_dual_fmac_f32 v193, v173, v136
	v_dual_fmac_f32 v197, v181, v144 :: v_dual_fmac_f32 v196, v179, v142
	v_fmac_f32_e32 v199, v185, v148
	s_delay_alu instid0(VALU_DEP_3) | instskip(SKIP_2) | instid1(VALU_DEP_2)
	v_add_f32_e32 v2, v2, v4
	v_mul_f32_e32 v4, v171, v135
	v_dual_add_f32 v1, v1, v187 :: v_dual_fmac_f32 v198, v183, v146
	v_fma_f32 v4, v170, v134, -v4
	v_mul_f32_e32 v5, v169, v21
	s_delay_alu instid0(VALU_DEP_3) | instskip(NEXT) | instid1(VALU_DEP_2)
	v_add_f32_e32 v1, v1, v188
	v_fma_f32 v5, v168, v20, -v5
	v_mul_f32_e32 v3, v167, v19
	s_delay_alu instid0(VALU_DEP_1) | instskip(NEXT) | instid1(VALU_DEP_1)
	v_fma_f32 v3, v166, v18, -v3
	v_dual_fmac_f32 v189, v165, v16 :: v_dual_add_f32 v2, v2, v3
	v_mul_f32_e32 v3, v173, v137
	s_delay_alu instid0(VALU_DEP_2) | instskip(NEXT) | instid1(VALU_DEP_2)
	v_dual_add_f32 v2, v2, v5 :: v_dual_mul_f32 v5, v175, v139
	v_fma_f32 v3, v172, v136, -v3
	s_delay_alu instid0(VALU_DEP_2) | instskip(SKIP_1) | instid1(VALU_DEP_4)
	v_dual_add_f32 v2, v2, v4 :: v_dual_add_f32 v1, v1, v189
	v_mul_f32_e32 v4, v177, v141
	v_fma_f32 v5, v174, v138, -v5
	s_delay_alu instid0(VALU_DEP_3) | instskip(NEXT) | instid1(VALU_DEP_3)
	v_dual_add_f32 v2, v2, v3 :: v_dual_fmac_f32 v191, v169, v20
	v_fma_f32 v4, v176, v140, -v4
	s_delay_alu instid0(VALU_DEP_2) | instskip(SKIP_1) | instid1(VALU_DEP_2)
	v_add_f32_e32 v2, v2, v5
	v_mul_f32_e32 v5, v181, v145
	v_dual_add_f32 v1, v1, v190 :: v_dual_add_f32 v2, v2, v4
	s_delay_alu instid0(VALU_DEP_2) | instskip(SKIP_1) | instid1(VALU_DEP_3)
	v_fma_f32 v5, v180, v144, -v5
	v_mul_f32_e32 v3, v179, v143
	v_add_f32_e32 v1, v1, v191
	v_mul_f32_e32 v4, v183, v147
	s_delay_alu instid0(VALU_DEP_3) | instskip(NEXT) | instid1(VALU_DEP_3)
	v_fma_f32 v3, v178, v142, -v3
	v_add_f32_e32 v1, v1, v192
	s_delay_alu instid0(VALU_DEP_3) | instskip(NEXT) | instid1(VALU_DEP_3)
	v_fma_f32 v4, v182, v146, -v4
	v_dual_add_f32 v2, v2, v3 :: v_dual_mul_f32 v3, v185, v149
	s_delay_alu instid0(VALU_DEP_1) | instskip(NEXT) | instid1(VALU_DEP_4)
	v_add_f32_e32 v2, v2, v5
	v_add_f32_e32 v1, v1, v193
	s_delay_alu instid0(VALU_DEP_3) | instskip(NEXT) | instid1(VALU_DEP_3)
	v_fma_f32 v3, v184, v148, -v3
	v_add_f32_e32 v2, v2, v4
	v_fmac_f32_e32 v195, v177, v140
	s_delay_alu instid0(VALU_DEP_2) | instskip(NEXT) | instid1(VALU_DEP_1)
	v_dual_add_f32 v1, v1, v194 :: v_dual_add_f32 v2, v2, v3
	v_add_f32_e32 v1, v1, v195
	s_delay_alu instid0(VALU_DEP_1) | instskip(NEXT) | instid1(VALU_DEP_1)
	v_add_f32_e32 v1, v1, v196
	v_add_f32_e32 v1, v1, v197
	s_delay_alu instid0(VALU_DEP_1) | instskip(NEXT) | instid1(VALU_DEP_1)
	v_add_f32_e32 v1, v1, v198
	v_add_f32_e32 v3, v1, v199
	s_wait_loadcnt 0x0
	s_delay_alu instid0(VALU_DEP_1)
	v_dual_sub_f32 v1, v22, v2 :: v_dual_sub_f32 v2, v23, v3
	scratch_store_b64 off, v[1:2], off offset:272
	v_cmpx_lt_u32_e32 33, v0
	s_cbranch_execz .LBB116_265
; %bb.264:
	scratch_load_b64 v[1:2], off, off offset:264
	v_mov_b32_e32 v3, 0
	s_delay_alu instid0(VALU_DEP_1)
	v_mov_b32_e32 v4, v3
	scratch_store_b64 off, v[3:4], off offset:264
	s_wait_loadcnt 0x0
	ds_store_b64 v133, v[1:2]
.LBB116_265:
	s_wait_alu 0xfffe
	s_or_b32 exec_lo, exec_lo, s0
	s_wait_storecnt_dscnt 0x0
	s_barrier_signal -1
	s_barrier_wait -1
	global_inv scope:SCOPE_SE
	s_clause 0xa
	scratch_load_b128 v[2:5], off, off offset:272
	scratch_load_b128 v[6:9], off, off offset:288
	;; [unrolled: 1-line block ×9, first 2 shown]
	scratch_load_b64 v[22:23], off, off offset:416
	scratch_load_b64 v[131:132], off, off offset:264
	v_mov_b32_e32 v1, 0
	ds_load_b128 v[150:153], v1 offset:704
	ds_load_b128 v[154:157], v1 offset:720
	;; [unrolled: 1-line block ×9, first 2 shown]
	ds_load_b64 v[186:187], v1 offset:848
	s_mov_b32 s0, exec_lo
	s_wait_loadcnt_dscnt 0xa09
	v_mul_f32_e32 v24, v150, v3
	s_wait_loadcnt_dscnt 0x908
	v_dual_mul_f32 v188, v152, v5 :: v_dual_mul_f32 v189, v154, v7
	v_mul_f32_e32 v3, v151, v3
	s_delay_alu instid0(VALU_DEP_3)
	v_dual_mul_f32 v5, v153, v5 :: v_dual_fmac_f32 v24, v151, v2
	s_wait_loadcnt_dscnt 0x807
	v_dual_mul_f32 v190, v156, v9 :: v_dual_mul_f32 v191, v158, v11
	s_wait_loadcnt_dscnt 0x302
	v_mul_f32_e32 v202, v180, v145
	v_fma_f32 v3, v150, v2, -v3
	s_wait_loadcnt_dscnt 0x100
	v_mul_f32_e32 v205, v186, v23
	v_mul_f32_e32 v2, v155, v7
	v_fmac_f32_e32 v188, v153, v4
	v_fma_f32 v4, v152, v4, -v5
	v_dual_add_f32 v3, 0, v3 :: v_dual_mul_f32 v192, v160, v13
	v_mul_f32_e32 v193, v162, v15
	v_fma_f32 v2, v154, v6, -v2
	v_fmac_f32_e32 v191, v159, v10
	s_delay_alu instid0(VALU_DEP_4) | instskip(SKIP_3) | instid1(VALU_DEP_4)
	v_add_f32_e32 v3, v3, v4
	v_add_f32_e32 v5, 0, v24
	v_fmac_f32_e32 v192, v161, v12
	v_dual_mul_f32 v194, v164, v17 :: v_dual_mul_f32 v195, v166, v19
	v_dual_add_f32 v2, v3, v2 :: v_dual_mul_f32 v7, v157, v9
	s_delay_alu instid0(VALU_DEP_4) | instskip(SKIP_1) | instid1(VALU_DEP_3)
	v_dual_fmac_f32 v189, v155, v6 :: v_dual_add_f32 v4, v5, v188
	v_dual_mul_f32 v5, v159, v11 :: v_dual_fmac_f32 v190, v157, v8
	v_fma_f32 v6, v156, v8, -v7
	v_dual_fmac_f32 v193, v163, v14 :: v_dual_fmac_f32 v194, v165, v16
	s_delay_alu instid0(VALU_DEP_4)
	v_add_f32_e32 v3, v4, v189
	v_mul_f32_e32 v4, v161, v13
	v_fma_f32 v5, v158, v10, -v5
	v_add_f32_e32 v2, v2, v6
	v_mul_f32_e32 v6, v163, v15
	v_add_f32_e32 v3, v3, v190
	v_fma_f32 v4, v160, v12, -v4
	v_dual_mul_f32 v196, v168, v21 :: v_dual_mul_f32 v197, v170, v135
	s_delay_alu instid0(VALU_DEP_3) | instskip(SKIP_3) | instid1(VALU_DEP_4)
	v_dual_add_f32 v2, v2, v5 :: v_dual_add_f32 v3, v3, v191
	v_mul_f32_e32 v5, v165, v17
	v_fma_f32 v6, v162, v14, -v6
	v_dual_mul_f32 v198, v172, v137 :: v_dual_mul_f32 v199, v174, v139
	v_add_f32_e32 v2, v2, v4
	v_add_f32_e32 v3, v3, v192
	v_mul_f32_e32 v4, v167, v19
	v_fma_f32 v5, v164, v16, -v5
	v_fmac_f32_e32 v195, v167, v18
	s_delay_alu instid0(VALU_DEP_4) | instskip(SKIP_3) | instid1(VALU_DEP_4)
	v_dual_add_f32 v2, v2, v6 :: v_dual_add_f32 v3, v3, v193
	v_fmac_f32_e32 v196, v169, v20
	v_mul_f32_e32 v6, v169, v21
	v_fma_f32 v4, v166, v18, -v4
	v_dual_add_f32 v2, v2, v5 :: v_dual_add_f32 v3, v3, v194
	v_mul_f32_e32 v5, v171, v135
	s_delay_alu instid0(VALU_DEP_4) | instskip(SKIP_1) | instid1(VALU_DEP_4)
	v_fma_f32 v6, v168, v20, -v6
	v_dual_fmac_f32 v197, v171, v134 :: v_dual_fmac_f32 v198, v173, v136
	v_dual_add_f32 v2, v2, v4 :: v_dual_add_f32 v3, v3, v195
	v_mul_f32_e32 v4, v173, v137
	v_fma_f32 v5, v170, v134, -v5
	v_fmac_f32_e32 v199, v175, v138
	s_delay_alu instid0(VALU_DEP_4) | instskip(SKIP_3) | instid1(VALU_DEP_4)
	v_dual_add_f32 v2, v2, v6 :: v_dual_add_f32 v3, v3, v196
	v_mul_f32_e32 v6, v175, v139
	v_fma_f32 v4, v172, v136, -v4
	v_dual_mul_f32 v200, v176, v141 :: v_dual_mul_f32 v201, v178, v143
	v_add_f32_e32 v2, v2, v5
	v_add_f32_e32 v3, v3, v197
	v_mul_f32_e32 v5, v177, v141
	v_fma_f32 v6, v174, v138, -v6
	v_fmac_f32_e32 v200, v177, v140
	s_delay_alu instid0(VALU_DEP_4) | instskip(SKIP_3) | instid1(VALU_DEP_4)
	v_dual_add_f32 v2, v2, v4 :: v_dual_add_f32 v3, v3, v198
	v_mul_f32_e32 v4, v179, v143
	v_fma_f32 v5, v176, v140, -v5
	v_fmac_f32_e32 v201, v179, v142
	v_dual_add_f32 v2, v2, v6 :: v_dual_add_f32 v3, v3, v199
	v_mul_f32_e32 v6, v181, v145
	v_fma_f32 v4, v178, v142, -v4
	v_dual_mul_f32 v203, v182, v147 :: v_dual_mul_f32 v204, v184, v149
	s_delay_alu instid0(VALU_DEP_4) | instskip(SKIP_2) | instid1(VALU_DEP_3)
	v_dual_add_f32 v2, v2, v5 :: v_dual_add_f32 v3, v3, v200
	v_dual_mul_f32 v5, v183, v147 :: v_dual_fmac_f32 v202, v181, v144
	v_fma_f32 v6, v180, v144, -v6
	v_dual_add_f32 v2, v2, v4 :: v_dual_add_f32 v3, v3, v201
	v_dual_mul_f32 v4, v185, v149 :: v_dual_fmac_f32 v203, v183, v146
	s_delay_alu instid0(VALU_DEP_4) | instskip(NEXT) | instid1(VALU_DEP_3)
	v_fma_f32 v5, v182, v146, -v5
	v_dual_fmac_f32 v204, v185, v148 :: v_dual_add_f32 v3, v3, v202
	s_delay_alu instid0(VALU_DEP_4) | instskip(SKIP_3) | instid1(VALU_DEP_4)
	v_add_f32_e32 v2, v2, v6
	v_mul_f32_e32 v6, v187, v23
	v_fma_f32 v4, v184, v148, -v4
	v_fmac_f32_e32 v205, v187, v22
	v_dual_add_f32 v3, v3, v203 :: v_dual_add_f32 v2, v2, v5
	s_delay_alu instid0(VALU_DEP_4) | instskip(NEXT) | instid1(VALU_DEP_2)
	v_fma_f32 v5, v186, v22, -v6
	v_add_f32_e32 v3, v3, v204
	s_delay_alu instid0(VALU_DEP_1) | instskip(SKIP_1) | instid1(VALU_DEP_1)
	v_dual_add_f32 v2, v2, v4 :: v_dual_add_f32 v3, v3, v205
	s_wait_loadcnt 0x0
	v_dual_add_f32 v2, v2, v5 :: v_dual_sub_f32 v3, v132, v3
	s_delay_alu instid0(VALU_DEP_1)
	v_sub_f32_e32 v2, v131, v2
	scratch_store_b64 off, v[2:3], off offset:264
	v_cmpx_lt_u32_e32 32, v0
	s_cbranch_execz .LBB116_267
; %bb.266:
	scratch_load_b64 v[3:4], off, off offset:256
	v_mov_b32_e32 v2, v1
	scratch_store_b64 off, v[1:2], off offset:256
	s_wait_loadcnt 0x0
	ds_store_b64 v133, v[3:4]
.LBB116_267:
	s_wait_alu 0xfffe
	s_or_b32 exec_lo, exec_lo, s0
	s_wait_storecnt_dscnt 0x0
	s_barrier_signal -1
	s_barrier_wait -1
	global_inv scope:SCOPE_SE
	s_clause 0xa
	scratch_load_b128 v[2:5], off, off offset:264
	scratch_load_b128 v[6:9], off, off offset:280
	;; [unrolled: 1-line block ×10, first 2 shown]
	scratch_load_b64 v[22:23], off, off offset:256
	ds_load_2addr_b64 v[154:157], v1 offset0:87 offset1:88
	ds_load_2addr_b64 v[158:161], v1 offset0:89 offset1:90
	;; [unrolled: 1-line block ×10, first 2 shown]
	s_mov_b32 s0, exec_lo
	s_wait_loadcnt_dscnt 0xa09
	v_dual_mul_f32 v1, v154, v3 :: v_dual_mul_f32 v24, v156, v5
	v_mul_f32_e32 v3, v155, v3
	v_mul_f32_e32 v5, v157, v5
	s_wait_loadcnt_dscnt 0x908
	v_dual_mul_f32 v131, v158, v7 :: v_dual_mul_f32 v132, v160, v9
	v_fmac_f32_e32 v24, v157, v4
	v_fma_f32 v3, v154, v2, -v3
	s_wait_loadcnt_dscnt 0x807
	v_dual_mul_f32 v194, v162, v11 :: v_dual_mul_f32 v195, v164, v13
	v_dual_fmac_f32 v1, v155, v2 :: v_dual_fmac_f32 v132, v161, v8
	v_mul_f32_e32 v2, v159, v7
	v_fma_f32 v4, v156, v4, -v5
	s_delay_alu instid0(VALU_DEP_4) | instskip(NEXT) | instid1(VALU_DEP_4)
	v_dual_add_f32 v3, 0, v3 :: v_dual_fmac_f32 v194, v163, v10
	v_add_f32_e32 v1, 0, v1
	s_delay_alu instid0(VALU_DEP_4) | instskip(SKIP_4) | instid1(VALU_DEP_3)
	v_fma_f32 v2, v158, v6, -v2
	s_wait_loadcnt_dscnt 0x706
	v_dual_mul_f32 v196, v166, v15 :: v_dual_mul_f32 v197, v168, v17
	v_add_f32_e32 v3, v3, v4
	v_dual_mul_f32 v5, v161, v9 :: v_dual_mul_f32 v4, v163, v11
	v_dual_add_f32 v1, v1, v24 :: v_dual_fmac_f32 v196, v167, v14
	s_delay_alu instid0(VALU_DEP_3) | instskip(NEXT) | instid1(VALU_DEP_3)
	v_add_f32_e32 v2, v3, v2
	v_fma_f32 v5, v160, v8, -v5
	v_fmac_f32_e32 v131, v159, v6
	v_fma_f32 v4, v162, v10, -v4
	s_wait_loadcnt_dscnt 0x605
	v_dual_mul_f32 v198, v170, v19 :: v_dual_mul_f32 v199, v172, v21
	s_delay_alu instid0(VALU_DEP_3) | instskip(NEXT) | instid1(VALU_DEP_2)
	v_dual_add_f32 v2, v2, v5 :: v_dual_add_f32 v1, v1, v131
	v_dual_mul_f32 v3, v165, v13 :: v_dual_fmac_f32 v198, v171, v18
	s_wait_loadcnt_dscnt 0x504
	v_dual_mul_f32 v200, v174, v135 :: v_dual_mul_f32 v201, v176, v137
	s_delay_alu instid0(VALU_DEP_3)
	v_add_f32_e32 v2, v2, v4
	v_mul_f32_e32 v4, v169, v17
	v_fma_f32 v3, v164, v12, -v3
	s_wait_loadcnt_dscnt 0x302
	v_dual_add_f32 v1, v1, v132 :: v_dual_mul_f32 v204, v182, v143
	v_mul_f32_e32 v205, v184, v145
	v_fma_f32 v4, v168, v16, -v4
	v_mul_f32_e32 v5, v167, v15
	s_delay_alu instid0(VALU_DEP_4) | instskip(SKIP_1) | instid1(VALU_DEP_3)
	v_dual_add_f32 v2, v2, v3 :: v_dual_add_f32 v1, v1, v194
	v_dual_mul_f32 v202, v178, v139 :: v_dual_mul_f32 v203, v180, v141
	v_fma_f32 v5, v166, v14, -v5
	v_dual_fmac_f32 v195, v165, v12 :: v_dual_fmac_f32 v200, v175, v134
	s_delay_alu instid0(VALU_DEP_3)
	v_fmac_f32_e32 v202, v179, v138
	s_wait_loadcnt_dscnt 0x201
	v_dual_mul_f32 v206, v186, v147 :: v_dual_mul_f32 v207, v188, v149
	v_dual_add_f32 v2, v2, v5 :: v_dual_fmac_f32 v201, v177, v136
	s_wait_loadcnt_dscnt 0x100
	v_dual_mul_f32 v208, v190, v151 :: v_dual_mul_f32 v209, v192, v153
	v_fmac_f32_e32 v203, v181, v140
	s_delay_alu instid0(VALU_DEP_3) | instskip(SKIP_1) | instid1(VALU_DEP_4)
	v_add_f32_e32 v2, v2, v4
	v_mul_f32_e32 v4, v175, v135
	v_dual_add_f32 v1, v1, v195 :: v_dual_fmac_f32 v208, v191, v150
	v_fmac_f32_e32 v205, v185, v144
	v_fmac_f32_e32 v207, v189, v148
	s_delay_alu instid0(VALU_DEP_4) | instskip(SKIP_3) | instid1(VALU_DEP_3)
	v_fma_f32 v4, v174, v134, -v4
	v_mul_f32_e32 v5, v173, v21
	v_dual_add_f32 v1, v1, v196 :: v_dual_fmac_f32 v204, v183, v142
	v_dual_fmac_f32 v209, v193, v152 :: v_dual_fmac_f32 v206, v187, v146
	v_fma_f32 v5, v172, v20, -v5
	v_mul_f32_e32 v3, v171, v19
	s_delay_alu instid0(VALU_DEP_1) | instskip(NEXT) | instid1(VALU_DEP_1)
	v_fma_f32 v3, v170, v18, -v3
	v_dual_fmac_f32 v197, v169, v16 :: v_dual_add_f32 v2, v2, v3
	v_mul_f32_e32 v3, v177, v137
	s_delay_alu instid0(VALU_DEP_2) | instskip(NEXT) | instid1(VALU_DEP_2)
	v_dual_add_f32 v2, v2, v5 :: v_dual_mul_f32 v5, v179, v139
	v_fma_f32 v3, v176, v136, -v3
	s_delay_alu instid0(VALU_DEP_2) | instskip(SKIP_1) | instid1(VALU_DEP_4)
	v_dual_add_f32 v2, v2, v4 :: v_dual_add_f32 v1, v1, v197
	v_mul_f32_e32 v4, v181, v141
	v_fma_f32 v5, v178, v138, -v5
	s_delay_alu instid0(VALU_DEP_3) | instskip(NEXT) | instid1(VALU_DEP_3)
	v_dual_add_f32 v2, v2, v3 :: v_dual_fmac_f32 v199, v173, v20
	v_fma_f32 v4, v180, v140, -v4
	s_delay_alu instid0(VALU_DEP_2) | instskip(SKIP_1) | instid1(VALU_DEP_2)
	v_add_f32_e32 v2, v2, v5
	v_mul_f32_e32 v5, v185, v145
	v_dual_add_f32 v1, v1, v198 :: v_dual_add_f32 v2, v2, v4
	s_delay_alu instid0(VALU_DEP_2) | instskip(SKIP_1) | instid1(VALU_DEP_3)
	v_fma_f32 v5, v184, v144, -v5
	v_mul_f32_e32 v3, v183, v143
	v_add_f32_e32 v1, v1, v199
	v_mul_f32_e32 v4, v187, v147
	s_delay_alu instid0(VALU_DEP_3) | instskip(NEXT) | instid1(VALU_DEP_3)
	v_fma_f32 v3, v182, v142, -v3
	v_add_f32_e32 v1, v1, v200
	s_delay_alu instid0(VALU_DEP_3) | instskip(NEXT) | instid1(VALU_DEP_3)
	v_fma_f32 v4, v186, v146, -v4
	v_dual_add_f32 v2, v2, v3 :: v_dual_mul_f32 v3, v189, v149
	s_delay_alu instid0(VALU_DEP_1) | instskip(NEXT) | instid1(VALU_DEP_4)
	v_add_f32_e32 v2, v2, v5
	v_add_f32_e32 v1, v1, v201
	v_mul_f32_e32 v5, v191, v151
	s_delay_alu instid0(VALU_DEP_4) | instskip(NEXT) | instid1(VALU_DEP_3)
	v_fma_f32 v3, v188, v148, -v3
	v_dual_add_f32 v2, v2, v4 :: v_dual_add_f32 v1, v1, v202
	v_mul_f32_e32 v4, v193, v153
	s_delay_alu instid0(VALU_DEP_4) | instskip(NEXT) | instid1(VALU_DEP_3)
	v_fma_f32 v5, v190, v150, -v5
	v_add_f32_e32 v2, v2, v3
	s_delay_alu instid0(VALU_DEP_4) | instskip(NEXT) | instid1(VALU_DEP_4)
	v_add_f32_e32 v1, v1, v203
	v_fma_f32 v3, v192, v152, -v4
	s_delay_alu instid0(VALU_DEP_2) | instskip(NEXT) | instid1(VALU_DEP_1)
	v_dual_add_f32 v2, v2, v5 :: v_dual_add_f32 v1, v1, v204
	v_dual_add_f32 v2, v2, v3 :: v_dual_add_f32 v1, v1, v205
	s_delay_alu instid0(VALU_DEP_1) | instskip(NEXT) | instid1(VALU_DEP_1)
	v_add_f32_e32 v1, v1, v206
	v_add_f32_e32 v1, v1, v207
	s_delay_alu instid0(VALU_DEP_1) | instskip(NEXT) | instid1(VALU_DEP_1)
	v_add_f32_e32 v1, v1, v208
	v_add_f32_e32 v3, v1, v209
	s_wait_loadcnt 0x0
	s_delay_alu instid0(VALU_DEP_1)
	v_dual_sub_f32 v1, v22, v2 :: v_dual_sub_f32 v2, v23, v3
	scratch_store_b64 off, v[1:2], off offset:256
	v_cmpx_lt_u32_e32 31, v0
	s_cbranch_execz .LBB116_269
; %bb.268:
	scratch_load_b64 v[1:2], off, off offset:248
	v_mov_b32_e32 v3, 0
	s_delay_alu instid0(VALU_DEP_1)
	v_mov_b32_e32 v4, v3
	scratch_store_b64 off, v[3:4], off offset:248
	s_wait_loadcnt 0x0
	ds_store_b64 v133, v[1:2]
.LBB116_269:
	s_wait_alu 0xfffe
	s_or_b32 exec_lo, exec_lo, s0
	s_wait_storecnt_dscnt 0x0
	s_barrier_signal -1
	s_barrier_wait -1
	global_inv scope:SCOPE_SE
	s_clause 0xb
	scratch_load_b128 v[2:5], off, off offset:256
	scratch_load_b128 v[6:9], off, off offset:272
	;; [unrolled: 1-line block ×10, first 2 shown]
	scratch_load_b64 v[22:23], off, off offset:416
	scratch_load_b64 v[131:132], off, off offset:248
	v_mov_b32_e32 v1, 0
	ds_load_b128 v[154:157], v1 offset:688
	ds_load_b128 v[158:161], v1 offset:704
	;; [unrolled: 1-line block ×10, first 2 shown]
	ds_load_b64 v[194:195], v1 offset:848
	s_mov_b32 s0, exec_lo
	s_wait_loadcnt_dscnt 0xb0a
	v_mul_f32_e32 v24, v154, v3
	s_wait_loadcnt_dscnt 0xa09
	v_dual_mul_f32 v196, v156, v5 :: v_dual_mul_f32 v197, v158, v7
	v_mul_f32_e32 v5, v157, v5
	v_dual_mul_f32 v3, v155, v3 :: v_dual_mul_f32 v198, v160, v9
	s_wait_loadcnt_dscnt 0x908
	v_dual_mul_f32 v199, v162, v11 :: v_dual_fmac_f32 v24, v155, v2
	s_wait_loadcnt_dscnt 0x302
	v_mul_f32_e32 v212, v188, v149
	v_fma_f32 v3, v154, v2, -v3
	s_wait_loadcnt_dscnt 0x100
	v_mul_f32_e32 v215, v194, v23
	v_mul_f32_e32 v2, v159, v7
	v_fmac_f32_e32 v196, v157, v4
	v_fma_f32 v4, v156, v4, -v5
	v_dual_add_f32 v3, 0, v3 :: v_dual_mul_f32 v200, v164, v13
	v_mul_f32_e32 v201, v166, v15
	v_fma_f32 v2, v158, v6, -v2
	v_fmac_f32_e32 v199, v163, v10
	s_delay_alu instid0(VALU_DEP_4) | instskip(SKIP_3) | instid1(VALU_DEP_4)
	v_add_f32_e32 v3, v3, v4
	v_add_f32_e32 v5, 0, v24
	v_fmac_f32_e32 v200, v165, v12
	v_dual_mul_f32 v202, v168, v17 :: v_dual_mul_f32 v203, v170, v19
	v_dual_add_f32 v2, v3, v2 :: v_dual_mul_f32 v7, v161, v9
	s_delay_alu instid0(VALU_DEP_4) | instskip(SKIP_1) | instid1(VALU_DEP_3)
	v_dual_fmac_f32 v197, v159, v6 :: v_dual_add_f32 v4, v5, v196
	v_dual_mul_f32 v5, v163, v11 :: v_dual_fmac_f32 v198, v161, v8
	v_fma_f32 v6, v160, v8, -v7
	v_dual_fmac_f32 v201, v167, v14 :: v_dual_fmac_f32 v202, v169, v16
	s_delay_alu instid0(VALU_DEP_4)
	v_add_f32_e32 v3, v4, v197
	v_mul_f32_e32 v4, v165, v13
	v_fma_f32 v5, v162, v10, -v5
	v_add_f32_e32 v2, v2, v6
	v_mul_f32_e32 v6, v167, v15
	v_add_f32_e32 v3, v3, v198
	v_fma_f32 v4, v164, v12, -v4
	v_dual_mul_f32 v204, v172, v21 :: v_dual_mul_f32 v205, v174, v135
	s_delay_alu instid0(VALU_DEP_3) | instskip(SKIP_3) | instid1(VALU_DEP_4)
	v_dual_add_f32 v2, v2, v5 :: v_dual_add_f32 v3, v3, v199
	v_mul_f32_e32 v5, v169, v17
	v_fma_f32 v6, v166, v14, -v6
	v_dual_mul_f32 v206, v176, v137 :: v_dual_mul_f32 v207, v178, v139
	v_add_f32_e32 v2, v2, v4
	v_add_f32_e32 v3, v3, v200
	v_mul_f32_e32 v4, v171, v19
	v_fma_f32 v5, v168, v16, -v5
	v_fmac_f32_e32 v203, v171, v18
	s_delay_alu instid0(VALU_DEP_4) | instskip(SKIP_3) | instid1(VALU_DEP_4)
	v_dual_add_f32 v2, v2, v6 :: v_dual_add_f32 v3, v3, v201
	v_fmac_f32_e32 v204, v173, v20
	v_mul_f32_e32 v6, v173, v21
	v_fma_f32 v4, v170, v18, -v4
	v_dual_add_f32 v2, v2, v5 :: v_dual_add_f32 v3, v3, v202
	v_mul_f32_e32 v5, v175, v135
	s_delay_alu instid0(VALU_DEP_4) | instskip(SKIP_1) | instid1(VALU_DEP_4)
	v_fma_f32 v6, v172, v20, -v6
	v_dual_fmac_f32 v205, v175, v134 :: v_dual_fmac_f32 v206, v177, v136
	v_dual_add_f32 v2, v2, v4 :: v_dual_add_f32 v3, v3, v203
	v_mul_f32_e32 v4, v177, v137
	v_fma_f32 v5, v174, v134, -v5
	v_dual_mul_f32 v208, v180, v141 :: v_dual_mul_f32 v209, v182, v143
	s_delay_alu instid0(VALU_DEP_4) | instskip(SKIP_2) | instid1(VALU_DEP_3)
	v_dual_add_f32 v2, v2, v6 :: v_dual_add_f32 v3, v3, v204
	v_mul_f32_e32 v6, v179, v139
	v_fma_f32 v4, v176, v136, -v4
	v_dual_fmac_f32 v207, v179, v138 :: v_dual_add_f32 v2, v2, v5
	s_delay_alu instid0(VALU_DEP_4) | instskip(SKIP_3) | instid1(VALU_DEP_4)
	v_add_f32_e32 v3, v3, v205
	v_mul_f32_e32 v5, v181, v141
	v_fma_f32 v6, v178, v138, -v6
	v_fmac_f32_e32 v208, v181, v140
	v_dual_add_f32 v2, v2, v4 :: v_dual_add_f32 v3, v3, v206
	v_mul_f32_e32 v4, v183, v143
	v_fma_f32 v5, v180, v140, -v5
	v_dual_mul_f32 v210, v184, v145 :: v_dual_mul_f32 v211, v186, v147
	s_delay_alu instid0(VALU_DEP_4) | instskip(SKIP_2) | instid1(VALU_DEP_3)
	v_dual_add_f32 v2, v2, v6 :: v_dual_add_f32 v3, v3, v207
	v_dual_mul_f32 v6, v185, v145 :: v_dual_fmac_f32 v209, v183, v142
	v_fma_f32 v4, v182, v142, -v4
	v_dual_add_f32 v2, v2, v5 :: v_dual_add_f32 v3, v3, v208
	v_dual_mul_f32 v5, v187, v147 :: v_dual_fmac_f32 v210, v185, v144
	s_delay_alu instid0(VALU_DEP_4) | instskip(NEXT) | instid1(VALU_DEP_3)
	v_fma_f32 v6, v184, v144, -v6
	v_dual_add_f32 v2, v2, v4 :: v_dual_add_f32 v3, v3, v209
	v_dual_mul_f32 v4, v189, v149 :: v_dual_fmac_f32 v211, v187, v146
	s_delay_alu instid0(VALU_DEP_4) | instskip(NEXT) | instid1(VALU_DEP_3)
	v_fma_f32 v5, v186, v146, -v5
	v_dual_fmac_f32 v212, v189, v148 :: v_dual_add_f32 v3, v3, v210
	s_delay_alu instid0(VALU_DEP_4) | instskip(SKIP_3) | instid1(VALU_DEP_4)
	v_add_f32_e32 v2, v2, v6
	v_dual_mul_f32 v213, v190, v151 :: v_dual_mul_f32 v214, v192, v153
	v_mul_f32_e32 v6, v191, v151
	v_fma_f32 v4, v188, v148, -v4
	v_dual_add_f32 v3, v3, v211 :: v_dual_add_f32 v2, v2, v5
	s_delay_alu instid0(VALU_DEP_4) | instskip(SKIP_2) | instid1(VALU_DEP_4)
	v_fmac_f32_e32 v213, v191, v150
	v_mul_f32_e32 v5, v193, v153
	v_fma_f32 v6, v190, v150, -v6
	v_add_f32_e32 v3, v3, v212
	v_add_f32_e32 v2, v2, v4
	v_mul_f32_e32 v4, v195, v23
	v_dual_fmac_f32 v214, v193, v152 :: v_dual_fmac_f32 v215, v195, v22
	v_fma_f32 v5, v192, v152, -v5
	s_delay_alu instid0(VALU_DEP_4) | instskip(NEXT) | instid1(VALU_DEP_4)
	v_dual_add_f32 v3, v3, v213 :: v_dual_add_f32 v2, v2, v6
	v_fma_f32 v4, v194, v22, -v4
	s_delay_alu instid0(VALU_DEP_2) | instskip(NEXT) | instid1(VALU_DEP_1)
	v_dual_add_f32 v3, v3, v214 :: v_dual_add_f32 v2, v2, v5
	v_dual_add_f32 v3, v3, v215 :: v_dual_add_f32 v2, v2, v4
	s_wait_loadcnt 0x0
	s_delay_alu instid0(VALU_DEP_1)
	v_dual_sub_f32 v3, v132, v3 :: v_dual_sub_f32 v2, v131, v2
	scratch_store_b64 off, v[2:3], off offset:248
	v_cmpx_lt_u32_e32 30, v0
	s_cbranch_execz .LBB116_271
; %bb.270:
	scratch_load_b64 v[3:4], off, off offset:240
	v_mov_b32_e32 v2, v1
	scratch_store_b64 off, v[1:2], off offset:240
	s_wait_loadcnt 0x0
	ds_store_b64 v133, v[3:4]
.LBB116_271:
	s_wait_alu 0xfffe
	s_or_b32 exec_lo, exec_lo, s0
	s_wait_storecnt_dscnt 0x0
	s_barrier_signal -1
	s_barrier_wait -1
	global_inv scope:SCOPE_SE
	s_clause 0xb
	scratch_load_b128 v[2:5], off, off offset:248
	scratch_load_b128 v[6:9], off, off offset:264
	;; [unrolled: 1-line block ×11, first 2 shown]
	scratch_load_b64 v[22:23], off, off offset:240
	ds_load_2addr_b64 v[158:161], v1 offset0:85 offset1:86
	ds_load_2addr_b64 v[162:165], v1 offset0:87 offset1:88
	;; [unrolled: 1-line block ×11, first 2 shown]
	s_mov_b32 s0, exec_lo
	s_wait_loadcnt_dscnt 0xb0a
	v_dual_mul_f32 v1, v158, v3 :: v_dual_mul_f32 v24, v160, v5
	v_mul_f32_e32 v3, v159, v3
	v_mul_f32_e32 v5, v161, v5
	s_wait_loadcnt_dscnt 0xa09
	v_dual_mul_f32 v131, v162, v7 :: v_dual_mul_f32 v132, v164, v9
	v_fmac_f32_e32 v24, v161, v4
	v_fma_f32 v3, v158, v2, -v3
	s_wait_loadcnt_dscnt 0x908
	v_dual_mul_f32 v202, v166, v11 :: v_dual_mul_f32 v203, v168, v13
	v_dual_fmac_f32 v1, v159, v2 :: v_dual_fmac_f32 v132, v165, v8
	v_mul_f32_e32 v2, v163, v7
	v_fma_f32 v4, v160, v4, -v5
	s_delay_alu instid0(VALU_DEP_4) | instskip(NEXT) | instid1(VALU_DEP_4)
	v_dual_add_f32 v3, 0, v3 :: v_dual_fmac_f32 v202, v167, v10
	v_add_f32_e32 v1, 0, v1
	s_delay_alu instid0(VALU_DEP_4) | instskip(SKIP_4) | instid1(VALU_DEP_3)
	v_fma_f32 v2, v162, v6, -v2
	s_wait_loadcnt_dscnt 0x807
	v_dual_mul_f32 v204, v170, v15 :: v_dual_mul_f32 v205, v172, v17
	v_add_f32_e32 v3, v3, v4
	v_dual_mul_f32 v5, v165, v9 :: v_dual_mul_f32 v4, v167, v11
	v_dual_add_f32 v1, v1, v24 :: v_dual_fmac_f32 v204, v171, v14
	s_delay_alu instid0(VALU_DEP_3) | instskip(NEXT) | instid1(VALU_DEP_3)
	v_add_f32_e32 v2, v3, v2
	v_fma_f32 v5, v164, v8, -v5
	v_fmac_f32_e32 v131, v163, v6
	v_fma_f32 v4, v166, v10, -v4
	s_wait_loadcnt_dscnt 0x706
	v_dual_mul_f32 v206, v174, v19 :: v_dual_mul_f32 v207, v176, v21
	s_delay_alu instid0(VALU_DEP_3) | instskip(NEXT) | instid1(VALU_DEP_2)
	v_dual_add_f32 v2, v2, v5 :: v_dual_add_f32 v1, v1, v131
	v_dual_mul_f32 v3, v169, v13 :: v_dual_fmac_f32 v206, v175, v18
	s_wait_loadcnt_dscnt 0x605
	v_dual_mul_f32 v208, v178, v135 :: v_dual_mul_f32 v209, v180, v137
	s_delay_alu instid0(VALU_DEP_3)
	v_add_f32_e32 v2, v2, v4
	v_mul_f32_e32 v4, v173, v17
	v_fma_f32 v3, v168, v12, -v3
	s_wait_loadcnt_dscnt 0x403
	v_dual_add_f32 v1, v1, v132 :: v_dual_mul_f32 v212, v186, v143
	v_mul_f32_e32 v213, v188, v145
	v_fma_f32 v4, v172, v16, -v4
	v_mul_f32_e32 v5, v171, v15
	s_delay_alu instid0(VALU_DEP_4) | instskip(SKIP_1) | instid1(VALU_DEP_3)
	v_dual_add_f32 v2, v2, v3 :: v_dual_add_f32 v1, v1, v202
	v_dual_mul_f32 v210, v182, v139 :: v_dual_mul_f32 v211, v184, v141
	v_fma_f32 v5, v170, v14, -v5
	v_dual_fmac_f32 v203, v169, v12 :: v_dual_fmac_f32 v208, v179, v134
	s_delay_alu instid0(VALU_DEP_3)
	v_fmac_f32_e32 v210, v183, v138
	s_wait_loadcnt_dscnt 0x100
	v_dual_mul_f32 v218, v198, v155 :: v_dual_mul_f32 v219, v200, v157
	v_add_f32_e32 v2, v2, v5
	v_dual_mul_f32 v214, v190, v147 :: v_dual_mul_f32 v215, v192, v149
	v_dual_fmac_f32 v209, v181, v136 :: v_dual_mul_f32 v216, v194, v151
	s_delay_alu instid0(VALU_DEP_3) | instskip(SKIP_2) | instid1(VALU_DEP_4)
	v_dual_mul_f32 v217, v196, v153 :: v_dual_add_f32 v2, v2, v4
	v_mul_f32_e32 v4, v179, v135
	v_add_f32_e32 v1, v1, v203
	v_dual_fmac_f32 v211, v185, v140 :: v_dual_fmac_f32 v216, v195, v150
	v_fmac_f32_e32 v212, v187, v142
	s_delay_alu instid0(VALU_DEP_4)
	v_fma_f32 v4, v178, v134, -v4
	v_mul_f32_e32 v5, v177, v21
	v_add_f32_e32 v1, v1, v204
	v_fmac_f32_e32 v215, v193, v148
	v_fmac_f32_e32 v217, v197, v152
	;; [unrolled: 1-line block ×3, first 2 shown]
	v_fma_f32 v5, v176, v20, -v5
	v_mul_f32_e32 v3, v175, v19
	v_fmac_f32_e32 v218, v199, v154
	v_fmac_f32_e32 v214, v191, v146
	s_delay_alu instid0(VALU_DEP_3) | instskip(NEXT) | instid1(VALU_DEP_1)
	v_fma_f32 v3, v174, v18, -v3
	v_dual_fmac_f32 v205, v173, v16 :: v_dual_add_f32 v2, v2, v3
	v_mul_f32_e32 v3, v181, v137
	s_delay_alu instid0(VALU_DEP_2) | instskip(NEXT) | instid1(VALU_DEP_2)
	v_dual_add_f32 v2, v2, v5 :: v_dual_mul_f32 v5, v183, v139
	v_fma_f32 v3, v180, v136, -v3
	s_delay_alu instid0(VALU_DEP_2) | instskip(SKIP_1) | instid1(VALU_DEP_4)
	v_dual_add_f32 v2, v2, v4 :: v_dual_add_f32 v1, v1, v205
	v_mul_f32_e32 v4, v185, v141
	v_fma_f32 v5, v182, v138, -v5
	s_delay_alu instid0(VALU_DEP_3) | instskip(NEXT) | instid1(VALU_DEP_3)
	v_dual_add_f32 v2, v2, v3 :: v_dual_fmac_f32 v207, v177, v20
	v_fma_f32 v4, v184, v140, -v4
	s_delay_alu instid0(VALU_DEP_2) | instskip(SKIP_1) | instid1(VALU_DEP_2)
	v_add_f32_e32 v2, v2, v5
	v_mul_f32_e32 v5, v189, v145
	v_dual_add_f32 v1, v1, v206 :: v_dual_add_f32 v2, v2, v4
	s_delay_alu instid0(VALU_DEP_2) | instskip(SKIP_1) | instid1(VALU_DEP_3)
	v_fma_f32 v5, v188, v144, -v5
	v_mul_f32_e32 v3, v187, v143
	v_add_f32_e32 v1, v1, v207
	v_mul_f32_e32 v4, v191, v147
	s_delay_alu instid0(VALU_DEP_3) | instskip(NEXT) | instid1(VALU_DEP_3)
	v_fma_f32 v3, v186, v142, -v3
	v_add_f32_e32 v1, v1, v208
	s_delay_alu instid0(VALU_DEP_3) | instskip(NEXT) | instid1(VALU_DEP_3)
	v_fma_f32 v4, v190, v146, -v4
	v_add_f32_e32 v2, v2, v3
	s_delay_alu instid0(VALU_DEP_1) | instskip(NEXT) | instid1(VALU_DEP_4)
	v_add_f32_e32 v2, v2, v5
	v_add_f32_e32 v1, v1, v209
	s_delay_alu instid0(VALU_DEP_2) | instskip(SKIP_1) | instid1(VALU_DEP_2)
	v_dual_mul_f32 v5, v195, v151 :: v_dual_add_f32 v2, v2, v4
	v_mul_f32_e32 v4, v197, v153
	v_fma_f32 v5, v194, v150, -v5
	s_delay_alu instid0(VALU_DEP_2) | instskip(SKIP_1) | instid1(VALU_DEP_1)
	v_fma_f32 v4, v196, v152, -v4
	v_mul_f32_e32 v3, v193, v149
	v_fma_f32 v3, v192, v148, -v3
	s_delay_alu instid0(VALU_DEP_1) | instskip(NEXT) | instid1(VALU_DEP_1)
	v_dual_add_f32 v1, v1, v210 :: v_dual_add_f32 v2, v2, v3
	v_add_f32_e32 v1, v1, v211
	s_delay_alu instid0(VALU_DEP_2) | instskip(NEXT) | instid1(VALU_DEP_2)
	v_dual_mul_f32 v3, v199, v155 :: v_dual_add_f32 v2, v2, v5
	v_add_f32_e32 v1, v1, v212
	v_mul_f32_e32 v5, v201, v157
	s_delay_alu instid0(VALU_DEP_3) | instskip(NEXT) | instid1(VALU_DEP_4)
	v_fma_f32 v3, v198, v154, -v3
	v_add_f32_e32 v2, v2, v4
	v_fmac_f32_e32 v213, v189, v144
	s_delay_alu instid0(VALU_DEP_4) | instskip(NEXT) | instid1(VALU_DEP_2)
	v_fma_f32 v4, v200, v156, -v5
	v_dual_add_f32 v2, v2, v3 :: v_dual_add_f32 v1, v1, v213
	s_delay_alu instid0(VALU_DEP_1) | instskip(NEXT) | instid1(VALU_DEP_1)
	v_dual_add_f32 v2, v2, v4 :: v_dual_add_f32 v1, v1, v214
	v_add_f32_e32 v1, v1, v215
	s_delay_alu instid0(VALU_DEP_1) | instskip(NEXT) | instid1(VALU_DEP_1)
	v_add_f32_e32 v1, v1, v216
	v_add_f32_e32 v1, v1, v217
	s_delay_alu instid0(VALU_DEP_1) | instskip(NEXT) | instid1(VALU_DEP_1)
	v_add_f32_e32 v1, v1, v218
	v_add_f32_e32 v3, v1, v219
	s_wait_loadcnt 0x0
	s_delay_alu instid0(VALU_DEP_1)
	v_dual_sub_f32 v1, v22, v2 :: v_dual_sub_f32 v2, v23, v3
	scratch_store_b64 off, v[1:2], off offset:240
	v_cmpx_lt_u32_e32 29, v0
	s_cbranch_execz .LBB116_273
; %bb.272:
	scratch_load_b64 v[1:2], off, off offset:232
	v_mov_b32_e32 v3, 0
	s_delay_alu instid0(VALU_DEP_1)
	v_mov_b32_e32 v4, v3
	scratch_store_b64 off, v[3:4], off offset:232
	s_wait_loadcnt 0x0
	ds_store_b64 v133, v[1:2]
.LBB116_273:
	s_wait_alu 0xfffe
	s_or_b32 exec_lo, exec_lo, s0
	s_wait_storecnt_dscnt 0x0
	s_barrier_signal -1
	s_barrier_wait -1
	global_inv scope:SCOPE_SE
	s_clause 0xc
	scratch_load_b128 v[2:5], off, off offset:240
	scratch_load_b128 v[6:9], off, off offset:256
	;; [unrolled: 1-line block ×11, first 2 shown]
	scratch_load_b64 v[22:23], off, off offset:416
	scratch_load_b64 v[131:132], off, off offset:232
	v_mov_b32_e32 v1, 0
	ds_load_b128 v[158:161], v1 offset:672
	ds_load_b128 v[162:165], v1 offset:688
	;; [unrolled: 1-line block ×11, first 2 shown]
	ds_load_b64 v[202:203], v1 offset:848
	s_mov_b32 s0, exec_lo
	s_wait_loadcnt_dscnt 0xc0b
	v_mul_f32_e32 v24, v158, v3
	s_wait_loadcnt_dscnt 0xb0a
	v_dual_mul_f32 v204, v160, v5 :: v_dual_mul_f32 v205, v162, v7
	v_mul_f32_e32 v5, v161, v5
	s_wait_loadcnt_dscnt 0xa09
	v_dual_mul_f32 v206, v164, v9 :: v_dual_mul_f32 v207, v166, v11
	v_mul_f32_e32 v3, v159, v3
	v_fmac_f32_e32 v24, v159, v2
	s_wait_loadcnt_dscnt 0x908
	v_dual_mul_f32 v208, v168, v13 :: v_dual_mul_f32 v209, v170, v15
	s_wait_loadcnt_dscnt 0x302
	v_mul_f32_e32 v222, v196, v153
	v_fma_f32 v3, v158, v2, -v3
	s_wait_loadcnt_dscnt 0x100
	v_mul_f32_e32 v225, v202, v23
	v_mul_f32_e32 v2, v163, v7
	v_fmac_f32_e32 v204, v161, v4
	v_fma_f32 v4, v160, v4, -v5
	v_add_f32_e32 v3, 0, v3
	v_dual_fmac_f32 v207, v167, v10 :: v_dual_fmac_f32 v208, v169, v12
	v_fma_f32 v2, v162, v6, -v2
	v_dual_mul_f32 v210, v172, v17 :: v_dual_mul_f32 v211, v174, v19
	s_delay_alu instid0(VALU_DEP_4) | instskip(SKIP_1) | instid1(VALU_DEP_3)
	v_add_f32_e32 v3, v3, v4
	v_add_f32_e32 v5, 0, v24
	v_dual_fmac_f32 v209, v171, v14 :: v_dual_fmac_f32 v210, v173, v16
	v_fmac_f32_e32 v206, v165, v8
	s_delay_alu instid0(VALU_DEP_4) | instskip(NEXT) | instid1(VALU_DEP_4)
	v_dual_add_f32 v2, v3, v2 :: v_dual_mul_f32 v7, v165, v9
	v_dual_fmac_f32 v205, v163, v6 :: v_dual_add_f32 v4, v5, v204
	v_dual_mul_f32 v5, v167, v11 :: v_dual_mul_f32 v212, v176, v21
	v_mul_f32_e32 v213, v178, v135
	s_delay_alu instid0(VALU_DEP_4) | instskip(NEXT) | instid1(VALU_DEP_4)
	v_fma_f32 v6, v164, v8, -v7
	v_add_f32_e32 v3, v4, v205
	v_mul_f32_e32 v4, v169, v13
	v_fma_f32 v5, v166, v10, -v5
	v_dual_mul_f32 v214, v180, v137 :: v_dual_mul_f32 v215, v182, v139
	v_add_f32_e32 v2, v2, v6
	v_mul_f32_e32 v6, v171, v15
	v_add_f32_e32 v3, v3, v206
	v_fma_f32 v4, v168, v12, -v4
	v_dual_fmac_f32 v213, v179, v134 :: v_dual_fmac_f32 v214, v181, v136
	s_delay_alu instid0(VALU_DEP_3) | instskip(SKIP_2) | instid1(VALU_DEP_3)
	v_dual_add_f32 v2, v2, v5 :: v_dual_add_f32 v3, v3, v207
	v_mul_f32_e32 v5, v173, v17
	v_fma_f32 v6, v170, v14, -v6
	v_dual_fmac_f32 v211, v175, v18 :: v_dual_add_f32 v2, v2, v4
	s_delay_alu instid0(VALU_DEP_4) | instskip(SKIP_3) | instid1(VALU_DEP_4)
	v_add_f32_e32 v3, v3, v208
	v_mul_f32_e32 v4, v175, v19
	v_fma_f32 v5, v172, v16, -v5
	v_fmac_f32_e32 v212, v177, v20
	v_dual_add_f32 v2, v2, v6 :: v_dual_add_f32 v3, v3, v209
	v_mul_f32_e32 v6, v177, v21
	v_fma_f32 v4, v174, v18, -v4
	v_dual_mul_f32 v216, v184, v141 :: v_dual_mul_f32 v217, v186, v143
	s_delay_alu instid0(VALU_DEP_4) | instskip(SKIP_3) | instid1(VALU_DEP_4)
	v_dual_add_f32 v2, v2, v5 :: v_dual_add_f32 v3, v3, v210
	v_mul_f32_e32 v5, v179, v135
	v_fma_f32 v6, v176, v20, -v6
	v_dual_mul_f32 v218, v188, v145 :: v_dual_mul_f32 v219, v190, v147
	v_dual_add_f32 v2, v2, v4 :: v_dual_add_f32 v3, v3, v211
	v_mul_f32_e32 v4, v181, v137
	v_fma_f32 v5, v178, v134, -v5
	v_fmac_f32_e32 v215, v183, v138
	s_delay_alu instid0(VALU_DEP_4) | instskip(SKIP_3) | instid1(VALU_DEP_4)
	v_dual_add_f32 v2, v2, v6 :: v_dual_add_f32 v3, v3, v212
	v_mul_f32_e32 v6, v183, v139
	v_fma_f32 v4, v180, v136, -v4
	v_fmac_f32_e32 v216, v185, v140
	v_add_f32_e32 v2, v2, v5
	v_add_f32_e32 v3, v3, v213
	v_mul_f32_e32 v5, v185, v141
	v_fma_f32 v6, v182, v138, -v6
	s_delay_alu instid0(VALU_DEP_4) | instskip(NEXT) | instid1(VALU_DEP_4)
	v_dual_fmac_f32 v217, v187, v142 :: v_dual_add_f32 v2, v2, v4
	v_add_f32_e32 v3, v3, v214
	v_mul_f32_e32 v4, v187, v143
	v_fma_f32 v5, v184, v140, -v5
	v_dual_mul_f32 v220, v192, v149 :: v_dual_mul_f32 v221, v194, v151
	s_delay_alu instid0(VALU_DEP_4) | instskip(SKIP_3) | instid1(VALU_DEP_4)
	v_dual_add_f32 v2, v2, v6 :: v_dual_add_f32 v3, v3, v215
	v_mul_f32_e32 v6, v189, v145
	v_fma_f32 v4, v186, v142, -v4
	v_fmac_f32_e32 v218, v189, v144
	v_dual_add_f32 v2, v2, v5 :: v_dual_add_f32 v3, v3, v216
	v_mul_f32_e32 v5, v191, v147
	v_fma_f32 v6, v188, v144, -v6
	s_delay_alu instid0(VALU_DEP_3) | instskip(NEXT) | instid1(VALU_DEP_4)
	v_dual_fmac_f32 v219, v191, v146 :: v_dual_add_f32 v2, v2, v4
	v_add_f32_e32 v3, v3, v217
	v_mul_f32_e32 v4, v193, v149
	v_fma_f32 v5, v190, v146, -v5
	v_dual_fmac_f32 v220, v193, v148 :: v_dual_fmac_f32 v221, v195, v150
	s_delay_alu instid0(VALU_DEP_4) | instskip(SKIP_4) | instid1(VALU_DEP_4)
	v_add_f32_e32 v3, v3, v218
	v_add_f32_e32 v2, v2, v6
	v_mul_f32_e32 v6, v195, v151
	v_fma_f32 v4, v192, v148, -v4
	v_dual_mul_f32 v223, v198, v155 :: v_dual_mul_f32 v224, v200, v157
	v_dual_add_f32 v3, v3, v219 :: v_dual_add_f32 v2, v2, v5
	v_mul_f32_e32 v5, v197, v153
	v_fma_f32 v6, v194, v150, -v6
	s_delay_alu instid0(VALU_DEP_4) | instskip(NEXT) | instid1(VALU_DEP_4)
	v_dual_fmac_f32 v222, v197, v152 :: v_dual_fmac_f32 v223, v199, v154
	v_add_f32_e32 v3, v3, v220
	v_add_f32_e32 v2, v2, v4
	v_mul_f32_e32 v4, v199, v155
	v_fma_f32 v5, v196, v152, -v5
	v_fmac_f32_e32 v225, v203, v22
	s_delay_alu instid0(VALU_DEP_4) | instskip(SKIP_2) | instid1(VALU_DEP_3)
	v_dual_add_f32 v3, v3, v221 :: v_dual_add_f32 v2, v2, v6
	v_mul_f32_e32 v6, v201, v157
	v_fma_f32 v4, v198, v154, -v4
	v_dual_add_f32 v3, v3, v222 :: v_dual_add_f32 v2, v2, v5
	v_dual_mul_f32 v5, v203, v23 :: v_dual_fmac_f32 v224, v201, v156
	s_delay_alu instid0(VALU_DEP_4) | instskip(NEXT) | instid1(VALU_DEP_3)
	v_fma_f32 v6, v200, v156, -v6
	v_dual_add_f32 v3, v3, v223 :: v_dual_add_f32 v2, v2, v4
	s_delay_alu instid0(VALU_DEP_3) | instskip(NEXT) | instid1(VALU_DEP_2)
	v_fma_f32 v4, v202, v22, -v5
	v_dual_add_f32 v3, v3, v224 :: v_dual_add_f32 v2, v2, v6
	s_delay_alu instid0(VALU_DEP_1) | instskip(SKIP_1) | instid1(VALU_DEP_1)
	v_dual_add_f32 v3, v3, v225 :: v_dual_add_f32 v2, v2, v4
	s_wait_loadcnt 0x0
	v_dual_sub_f32 v3, v132, v3 :: v_dual_sub_f32 v2, v131, v2
	scratch_store_b64 off, v[2:3], off offset:232
	v_cmpx_lt_u32_e32 28, v0
	s_cbranch_execz .LBB116_275
; %bb.274:
	scratch_load_b64 v[3:4], off, off offset:224
	v_mov_b32_e32 v2, v1
	scratch_store_b64 off, v[1:2], off offset:224
	s_wait_loadcnt 0x0
	ds_store_b64 v133, v[3:4]
.LBB116_275:
	s_wait_alu 0xfffe
	s_or_b32 exec_lo, exec_lo, s0
	s_wait_storecnt_dscnt 0x0
	s_barrier_signal -1
	s_barrier_wait -1
	global_inv scope:SCOPE_SE
	s_clause 0xc
	scratch_load_b128 v[2:5], off, off offset:232
	scratch_load_b128 v[6:9], off, off offset:248
	;; [unrolled: 1-line block ×12, first 2 shown]
	scratch_load_b64 v[22:23], off, off offset:224
	ds_load_2addr_b64 v[162:165], v1 offset0:83 offset1:84
	ds_load_2addr_b64 v[166:169], v1 offset0:85 offset1:86
	;; [unrolled: 1-line block ×12, first 2 shown]
	s_mov_b32 s0, exec_lo
	s_wait_loadcnt_dscnt 0xc0b
	v_dual_mul_f32 v1, v162, v3 :: v_dual_mul_f32 v24, v164, v5
	v_mul_f32_e32 v3, v163, v3
	v_mul_f32_e32 v5, v165, v5
	s_wait_loadcnt_dscnt 0xb0a
	v_dual_mul_f32 v131, v166, v7 :: v_dual_mul_f32 v132, v168, v9
	v_fmac_f32_e32 v24, v165, v4
	v_fma_f32 v3, v162, v2, -v3
	s_wait_loadcnt_dscnt 0xa09
	v_dual_mul_f32 v210, v170, v11 :: v_dual_mul_f32 v211, v172, v13
	v_dual_fmac_f32 v1, v163, v2 :: v_dual_fmac_f32 v132, v169, v8
	v_mul_f32_e32 v2, v167, v7
	v_fma_f32 v4, v164, v4, -v5
	s_delay_alu instid0(VALU_DEP_4) | instskip(NEXT) | instid1(VALU_DEP_4)
	v_dual_add_f32 v3, 0, v3 :: v_dual_fmac_f32 v210, v171, v10
	v_add_f32_e32 v1, 0, v1
	s_delay_alu instid0(VALU_DEP_4) | instskip(SKIP_4) | instid1(VALU_DEP_3)
	v_fma_f32 v2, v166, v6, -v2
	s_wait_loadcnt_dscnt 0x908
	v_dual_mul_f32 v212, v174, v15 :: v_dual_mul_f32 v213, v176, v17
	v_add_f32_e32 v3, v3, v4
	v_dual_mul_f32 v5, v169, v9 :: v_dual_mul_f32 v4, v171, v11
	v_dual_add_f32 v1, v1, v24 :: v_dual_fmac_f32 v212, v175, v14
	s_delay_alu instid0(VALU_DEP_3) | instskip(NEXT) | instid1(VALU_DEP_3)
	v_add_f32_e32 v2, v3, v2
	v_fma_f32 v5, v168, v8, -v5
	v_fmac_f32_e32 v131, v167, v6
	v_fma_f32 v4, v170, v10, -v4
	s_wait_loadcnt_dscnt 0x807
	v_dual_mul_f32 v214, v178, v19 :: v_dual_mul_f32 v215, v180, v21
	s_delay_alu instid0(VALU_DEP_3) | instskip(NEXT) | instid1(VALU_DEP_2)
	v_dual_add_f32 v2, v2, v5 :: v_dual_add_f32 v1, v1, v131
	v_dual_mul_f32 v3, v173, v13 :: v_dual_fmac_f32 v214, v179, v18
	s_wait_loadcnt_dscnt 0x706
	v_dual_mul_f32 v216, v182, v135 :: v_dual_mul_f32 v217, v184, v137
	s_delay_alu instid0(VALU_DEP_3)
	v_add_f32_e32 v2, v2, v4
	v_mul_f32_e32 v4, v177, v17
	v_fma_f32 v3, v172, v12, -v3
	s_wait_loadcnt_dscnt 0x504
	v_dual_add_f32 v1, v1, v132 :: v_dual_mul_f32 v220, v190, v143
	v_mul_f32_e32 v221, v192, v145
	v_fma_f32 v4, v176, v16, -v4
	v_mul_f32_e32 v5, v175, v15
	s_delay_alu instid0(VALU_DEP_4) | instskip(SKIP_1) | instid1(VALU_DEP_3)
	v_dual_add_f32 v2, v2, v3 :: v_dual_add_f32 v1, v1, v210
	v_dual_mul_f32 v218, v186, v139 :: v_dual_mul_f32 v219, v188, v141
	v_fma_f32 v5, v174, v14, -v5
	v_dual_fmac_f32 v211, v173, v12 :: v_dual_fmac_f32 v216, v183, v134
	s_delay_alu instid0(VALU_DEP_3)
	v_fmac_f32_e32 v218, v187, v138
	s_wait_loadcnt_dscnt 0x201
	v_dual_mul_f32 v226, v202, v155 :: v_dual_mul_f32 v227, v204, v157
	v_add_f32_e32 v2, v2, v5
	v_dual_mul_f32 v222, v194, v147 :: v_dual_mul_f32 v223, v196, v149
	v_dual_fmac_f32 v217, v185, v136 :: v_dual_mul_f32 v224, v198, v151
	s_delay_alu instid0(VALU_DEP_3) | instskip(SKIP_2) | instid1(VALU_DEP_4)
	v_dual_mul_f32 v225, v200, v153 :: v_dual_add_f32 v2, v2, v4
	v_mul_f32_e32 v4, v183, v135
	v_add_f32_e32 v1, v1, v211
	v_dual_fmac_f32 v219, v189, v140 :: v_dual_fmac_f32 v224, v199, v150
	v_fmac_f32_e32 v220, v191, v142
	s_delay_alu instid0(VALU_DEP_4)
	v_fma_f32 v4, v182, v134, -v4
	v_mul_f32_e32 v5, v181, v21
	v_add_f32_e32 v1, v1, v212
	s_wait_loadcnt_dscnt 0x100
	v_dual_fmac_f32 v221, v193, v144 :: v_dual_mul_f32 v228, v206, v159
	v_mul_f32_e32 v229, v208, v161
	v_fma_f32 v5, v180, v20, -v5
	v_mul_f32_e32 v3, v179, v19
	v_dual_fmac_f32 v227, v205, v156 :: v_dual_fmac_f32 v226, v203, v154
	s_delay_alu instid0(VALU_DEP_4) | instskip(NEXT) | instid1(VALU_DEP_3)
	v_dual_fmac_f32 v229, v209, v160 :: v_dual_fmac_f32 v222, v195, v146
	v_fma_f32 v3, v178, v18, -v3
	v_dual_fmac_f32 v213, v177, v16 :: v_dual_fmac_f32 v228, v207, v158
	s_delay_alu instid0(VALU_DEP_2) | instskip(NEXT) | instid1(VALU_DEP_1)
	v_dual_add_f32 v2, v2, v3 :: v_dual_mul_f32 v3, v185, v137
	v_dual_add_f32 v2, v2, v5 :: v_dual_mul_f32 v5, v187, v139
	s_delay_alu instid0(VALU_DEP_2) | instskip(NEXT) | instid1(VALU_DEP_2)
	v_fma_f32 v3, v184, v136, -v3
	v_dual_add_f32 v2, v2, v4 :: v_dual_add_f32 v1, v1, v213
	v_mul_f32_e32 v4, v189, v141
	s_delay_alu instid0(VALU_DEP_4) | instskip(NEXT) | instid1(VALU_DEP_3)
	v_fma_f32 v5, v186, v138, -v5
	v_dual_add_f32 v2, v2, v3 :: v_dual_fmac_f32 v215, v181, v20
	s_delay_alu instid0(VALU_DEP_3) | instskip(NEXT) | instid1(VALU_DEP_2)
	v_fma_f32 v4, v188, v140, -v4
	v_add_f32_e32 v2, v2, v5
	v_mul_f32_e32 v5, v193, v145
	s_delay_alu instid0(VALU_DEP_2) | instskip(NEXT) | instid1(VALU_DEP_2)
	v_dual_add_f32 v1, v1, v214 :: v_dual_add_f32 v2, v2, v4
	v_fma_f32 v5, v192, v144, -v5
	v_mul_f32_e32 v3, v191, v143
	s_delay_alu instid0(VALU_DEP_3) | instskip(SKIP_1) | instid1(VALU_DEP_3)
	v_add_f32_e32 v1, v1, v215
	v_mul_f32_e32 v4, v195, v147
	v_fma_f32 v3, v190, v142, -v3
	s_delay_alu instid0(VALU_DEP_3) | instskip(NEXT) | instid1(VALU_DEP_3)
	v_add_f32_e32 v1, v1, v216
	v_fma_f32 v4, v194, v146, -v4
	s_delay_alu instid0(VALU_DEP_3) | instskip(NEXT) | instid1(VALU_DEP_1)
	v_add_f32_e32 v2, v2, v3
	v_add_f32_e32 v2, v2, v5
	s_delay_alu instid0(VALU_DEP_4) | instskip(NEXT) | instid1(VALU_DEP_2)
	v_add_f32_e32 v1, v1, v217
	v_dual_mul_f32 v5, v199, v151 :: v_dual_add_f32 v2, v2, v4
	v_mul_f32_e32 v4, v201, v153
	s_delay_alu instid0(VALU_DEP_2) | instskip(NEXT) | instid1(VALU_DEP_2)
	v_fma_f32 v5, v198, v150, -v5
	v_fma_f32 v4, v200, v152, -v4
	v_mul_f32_e32 v3, v197, v149
	s_delay_alu instid0(VALU_DEP_1) | instskip(NEXT) | instid1(VALU_DEP_1)
	v_fma_f32 v3, v196, v148, -v3
	v_dual_add_f32 v1, v1, v218 :: v_dual_add_f32 v2, v2, v3
	s_delay_alu instid0(VALU_DEP_1) | instskip(NEXT) | instid1(VALU_DEP_2)
	v_add_f32_e32 v1, v1, v219
	v_dual_mul_f32 v3, v203, v155 :: v_dual_add_f32 v2, v2, v5
	v_mul_f32_e32 v5, v205, v157
	s_delay_alu instid0(VALU_DEP_2) | instskip(NEXT) | instid1(VALU_DEP_3)
	v_fma_f32 v3, v202, v154, -v3
	v_add_f32_e32 v2, v2, v4
	v_dual_add_f32 v1, v1, v220 :: v_dual_mul_f32 v4, v207, v159
	s_delay_alu instid0(VALU_DEP_4) | instskip(NEXT) | instid1(VALU_DEP_2)
	v_fma_f32 v5, v204, v156, -v5
	v_dual_add_f32 v2, v2, v3 :: v_dual_add_f32 v1, v1, v221
	v_fmac_f32_e32 v223, v197, v148
	s_delay_alu instid0(VALU_DEP_4) | instskip(SKIP_1) | instid1(VALU_DEP_4)
	v_fma_f32 v4, v206, v158, -v4
	v_mul_f32_e32 v3, v209, v161
	v_dual_add_f32 v2, v2, v5 :: v_dual_add_f32 v1, v1, v222
	s_delay_alu instid0(VALU_DEP_2) | instskip(NEXT) | instid1(VALU_DEP_2)
	v_fma_f32 v3, v208, v160, -v3
	v_dual_add_f32 v2, v2, v4 :: v_dual_add_f32 v1, v1, v223
	s_delay_alu instid0(VALU_DEP_1) | instskip(NEXT) | instid1(VALU_DEP_2)
	v_dual_fmac_f32 v225, v201, v152 :: v_dual_add_f32 v2, v2, v3
	v_add_f32_e32 v1, v1, v224
	s_delay_alu instid0(VALU_DEP_1) | instskip(NEXT) | instid1(VALU_DEP_1)
	v_add_f32_e32 v1, v1, v225
	v_add_f32_e32 v1, v1, v226
	s_delay_alu instid0(VALU_DEP_1) | instskip(NEXT) | instid1(VALU_DEP_1)
	v_add_f32_e32 v1, v1, v227
	v_add_f32_e32 v1, v1, v228
	s_delay_alu instid0(VALU_DEP_1) | instskip(SKIP_1) | instid1(VALU_DEP_1)
	v_add_f32_e32 v3, v1, v229
	s_wait_loadcnt 0x0
	v_dual_sub_f32 v1, v22, v2 :: v_dual_sub_f32 v2, v23, v3
	scratch_store_b64 off, v[1:2], off offset:224
	v_cmpx_lt_u32_e32 27, v0
	s_cbranch_execz .LBB116_277
; %bb.276:
	scratch_load_b64 v[1:2], off, off offset:216
	v_mov_b32_e32 v3, 0
	s_delay_alu instid0(VALU_DEP_1)
	v_mov_b32_e32 v4, v3
	scratch_store_b64 off, v[3:4], off offset:216
	s_wait_loadcnt 0x0
	ds_store_b64 v133, v[1:2]
.LBB116_277:
	s_wait_alu 0xfffe
	s_or_b32 exec_lo, exec_lo, s0
	s_wait_storecnt_dscnt 0x0
	s_barrier_signal -1
	s_barrier_wait -1
	global_inv scope:SCOPE_SE
	s_clause 0xd
	scratch_load_b128 v[2:5], off, off offset:224
	scratch_load_b128 v[6:9], off, off offset:240
	;; [unrolled: 1-line block ×12, first 2 shown]
	scratch_load_b64 v[22:23], off, off offset:416
	scratch_load_b64 v[131:132], off, off offset:216
	v_mov_b32_e32 v1, 0
	ds_load_b128 v[162:165], v1 offset:656
	ds_load_b128 v[166:169], v1 offset:672
	;; [unrolled: 1-line block ×12, first 2 shown]
	ds_load_b64 v[210:211], v1 offset:848
	s_mov_b32 s0, exec_lo
	s_wait_loadcnt_dscnt 0xd0c
	v_mul_f32_e32 v24, v162, v3
	s_wait_loadcnt_dscnt 0xc0b
	v_dual_mul_f32 v212, v164, v5 :: v_dual_mul_f32 v213, v166, v7
	v_mul_f32_e32 v5, v165, v5
	s_wait_loadcnt_dscnt 0xb0a
	v_dual_mul_f32 v214, v168, v9 :: v_dual_mul_f32 v215, v170, v11
	v_dual_mul_f32 v3, v163, v3 :: v_dual_mul_f32 v216, v172, v13
	s_wait_loadcnt_dscnt 0xa09
	v_dual_mul_f32 v217, v174, v15 :: v_dual_fmac_f32 v24, v163, v2
	s_wait_loadcnt_dscnt 0x302
	v_mul_f32_e32 v232, v204, v157
	v_fma_f32 v3, v162, v2, -v3
	s_wait_loadcnt_dscnt 0x100
	v_mul_f32_e32 v235, v210, v23
	v_mul_f32_e32 v2, v167, v7
	v_fmac_f32_e32 v212, v165, v4
	v_fma_f32 v4, v164, v4, -v5
	v_add_f32_e32 v3, 0, v3
	v_dual_fmac_f32 v215, v171, v10 :: v_dual_fmac_f32 v216, v173, v12
	v_fma_f32 v2, v166, v6, -v2
	v_dual_mul_f32 v218, v176, v17 :: v_dual_mul_f32 v219, v178, v19
	s_delay_alu instid0(VALU_DEP_4) | instskip(SKIP_1) | instid1(VALU_DEP_3)
	v_add_f32_e32 v3, v3, v4
	v_add_f32_e32 v5, 0, v24
	v_dual_fmac_f32 v217, v175, v14 :: v_dual_fmac_f32 v218, v177, v16
	v_fmac_f32_e32 v214, v169, v8
	s_delay_alu instid0(VALU_DEP_4) | instskip(NEXT) | instid1(VALU_DEP_4)
	v_dual_add_f32 v2, v3, v2 :: v_dual_mul_f32 v7, v169, v9
	v_dual_fmac_f32 v213, v167, v6 :: v_dual_add_f32 v4, v5, v212
	v_dual_mul_f32 v5, v171, v11 :: v_dual_mul_f32 v220, v180, v21
	v_mul_f32_e32 v221, v182, v135
	s_delay_alu instid0(VALU_DEP_4) | instskip(NEXT) | instid1(VALU_DEP_4)
	v_fma_f32 v6, v168, v8, -v7
	v_add_f32_e32 v3, v4, v213
	v_mul_f32_e32 v4, v173, v13
	v_fma_f32 v5, v170, v10, -v5
	v_dual_mul_f32 v222, v184, v137 :: v_dual_mul_f32 v223, v186, v139
	v_add_f32_e32 v2, v2, v6
	v_mul_f32_e32 v6, v175, v15
	v_add_f32_e32 v3, v3, v214
	v_fma_f32 v4, v172, v12, -v4
	v_dual_fmac_f32 v221, v183, v134 :: v_dual_fmac_f32 v222, v185, v136
	s_delay_alu instid0(VALU_DEP_3) | instskip(SKIP_3) | instid1(VALU_DEP_4)
	v_dual_add_f32 v2, v2, v5 :: v_dual_add_f32 v3, v3, v215
	v_mul_f32_e32 v5, v177, v17
	v_fma_f32 v6, v174, v14, -v6
	v_dual_mul_f32 v224, v188, v141 :: v_dual_mul_f32 v225, v190, v143
	v_add_f32_e32 v2, v2, v4
	v_add_f32_e32 v3, v3, v216
	v_mul_f32_e32 v4, v179, v19
	v_fma_f32 v5, v176, v16, -v5
	v_fmac_f32_e32 v219, v179, v18
	s_delay_alu instid0(VALU_DEP_4) | instskip(SKIP_3) | instid1(VALU_DEP_4)
	v_dual_add_f32 v2, v2, v6 :: v_dual_add_f32 v3, v3, v217
	v_fmac_f32_e32 v220, v181, v20
	v_mul_f32_e32 v6, v181, v21
	v_fma_f32 v4, v178, v18, -v4
	v_dual_add_f32 v2, v2, v5 :: v_dual_add_f32 v3, v3, v218
	v_mul_f32_e32 v5, v183, v135
	s_delay_alu instid0(VALU_DEP_4) | instskip(SKIP_1) | instid1(VALU_DEP_4)
	v_fma_f32 v6, v180, v20, -v6
	v_dual_mul_f32 v226, v192, v145 :: v_dual_mul_f32 v227, v194, v147
	v_dual_add_f32 v2, v2, v4 :: v_dual_add_f32 v3, v3, v219
	v_mul_f32_e32 v4, v185, v137
	v_fma_f32 v5, v182, v134, -v5
	v_fmac_f32_e32 v223, v187, v138
	s_delay_alu instid0(VALU_DEP_4) | instskip(SKIP_3) | instid1(VALU_DEP_4)
	v_dual_add_f32 v2, v2, v6 :: v_dual_add_f32 v3, v3, v220
	v_mul_f32_e32 v6, v187, v139
	v_fma_f32 v4, v184, v136, -v4
	v_fmac_f32_e32 v224, v189, v140
	v_add_f32_e32 v2, v2, v5
	v_add_f32_e32 v3, v3, v221
	v_mul_f32_e32 v5, v189, v141
	v_fma_f32 v6, v186, v138, -v6
	s_delay_alu instid0(VALU_DEP_4) | instskip(NEXT) | instid1(VALU_DEP_4)
	v_dual_fmac_f32 v225, v191, v142 :: v_dual_add_f32 v2, v2, v4
	v_add_f32_e32 v3, v3, v222
	v_mul_f32_e32 v4, v191, v143
	v_fma_f32 v5, v188, v140, -v5
	v_dual_mul_f32 v228, v196, v149 :: v_dual_mul_f32 v229, v198, v151
	s_delay_alu instid0(VALU_DEP_4) | instskip(SKIP_3) | instid1(VALU_DEP_4)
	v_dual_add_f32 v2, v2, v6 :: v_dual_add_f32 v3, v3, v223
	v_mul_f32_e32 v6, v193, v145
	v_fma_f32 v4, v190, v142, -v4
	v_fmac_f32_e32 v226, v193, v144
	v_dual_add_f32 v2, v2, v5 :: v_dual_add_f32 v3, v3, v224
	v_mul_f32_e32 v5, v195, v147
	v_fma_f32 v6, v192, v144, -v6
	s_delay_alu instid0(VALU_DEP_3) | instskip(NEXT) | instid1(VALU_DEP_4)
	v_dual_fmac_f32 v227, v195, v146 :: v_dual_add_f32 v2, v2, v4
	v_add_f32_e32 v3, v3, v225
	v_mul_f32_e32 v4, v197, v149
	v_fma_f32 v5, v194, v146, -v5
	v_fmac_f32_e32 v228, v197, v148
	v_dual_mul_f32 v230, v200, v153 :: v_dual_mul_f32 v231, v202, v155
	v_add_f32_e32 v3, v3, v226
	v_add_f32_e32 v2, v2, v6
	v_mul_f32_e32 v6, v199, v151
	v_fma_f32 v4, v196, v148, -v4
	v_fmac_f32_e32 v229, v199, v150
	s_delay_alu instid0(VALU_DEP_4) | instskip(SKIP_3) | instid1(VALU_DEP_4)
	v_dual_add_f32 v3, v3, v227 :: v_dual_add_f32 v2, v2, v5
	v_mul_f32_e32 v5, v201, v153
	v_fma_f32 v6, v198, v150, -v6
	v_dual_fmac_f32 v230, v201, v152 :: v_dual_fmac_f32 v231, v203, v154
	v_add_f32_e32 v3, v3, v228
	v_add_f32_e32 v2, v2, v4
	v_mul_f32_e32 v4, v203, v155
	v_fma_f32 v5, v200, v152, -v5
	v_dual_mul_f32 v233, v206, v159 :: v_dual_mul_f32 v234, v208, v161
	s_delay_alu instid0(VALU_DEP_4) | instskip(SKIP_2) | instid1(VALU_DEP_4)
	v_dual_add_f32 v3, v3, v229 :: v_dual_add_f32 v2, v2, v6
	v_mul_f32_e32 v6, v205, v157
	v_fma_f32 v4, v202, v154, -v4
	v_fmac_f32_e32 v233, v207, v158
	s_delay_alu instid0(VALU_DEP_4) | instskip(SKIP_2) | instid1(VALU_DEP_3)
	v_dual_add_f32 v3, v3, v230 :: v_dual_add_f32 v2, v2, v5
	v_dual_mul_f32 v5, v207, v159 :: v_dual_fmac_f32 v232, v205, v156
	v_fma_f32 v6, v204, v156, -v6
	v_dual_add_f32 v3, v3, v231 :: v_dual_add_f32 v2, v2, v4
	v_mul_f32_e32 v4, v209, v161
	s_delay_alu instid0(VALU_DEP_4) | instskip(SKIP_1) | instid1(VALU_DEP_4)
	v_fma_f32 v5, v206, v158, -v5
	v_dual_fmac_f32 v234, v209, v160 :: v_dual_fmac_f32 v235, v211, v22
	v_dual_add_f32 v3, v3, v232 :: v_dual_add_f32 v2, v2, v6
	v_mul_f32_e32 v6, v211, v23
	v_fma_f32 v4, v208, v160, -v4
	s_delay_alu instid0(VALU_DEP_3) | instskip(NEXT) | instid1(VALU_DEP_4)
	v_add_f32_e32 v3, v3, v233
	v_add_f32_e32 v2, v2, v5
	s_delay_alu instid0(VALU_DEP_4) | instskip(NEXT) | instid1(VALU_DEP_2)
	v_fma_f32 v5, v210, v22, -v6
	v_dual_add_f32 v3, v3, v234 :: v_dual_add_f32 v2, v2, v4
	s_delay_alu instid0(VALU_DEP_1) | instskip(SKIP_1) | instid1(VALU_DEP_1)
	v_dual_add_f32 v3, v3, v235 :: v_dual_add_f32 v2, v2, v5
	s_wait_loadcnt 0x0
	v_dual_sub_f32 v3, v132, v3 :: v_dual_sub_f32 v2, v131, v2
	scratch_store_b64 off, v[2:3], off offset:216
	v_cmpx_lt_u32_e32 26, v0
	s_cbranch_execz .LBB116_279
; %bb.278:
	scratch_load_b64 v[3:4], off, off offset:208
	v_mov_b32_e32 v2, v1
	scratch_store_b64 off, v[1:2], off offset:208
	s_wait_loadcnt 0x0
	ds_store_b64 v133, v[3:4]
.LBB116_279:
	s_wait_alu 0xfffe
	s_or_b32 exec_lo, exec_lo, s0
	s_wait_storecnt_dscnt 0x0
	s_barrier_signal -1
	s_barrier_wait -1
	global_inv scope:SCOPE_SE
	s_clause 0xd
	scratch_load_b128 v[2:5], off, off offset:216
	scratch_load_b128 v[6:9], off, off offset:232
	;; [unrolled: 1-line block ×13, first 2 shown]
	scratch_load_b64 v[22:23], off, off offset:208
	ds_load_2addr_b64 v[166:169], v1 offset0:81 offset1:82
	ds_load_2addr_b64 v[170:173], v1 offset0:83 offset1:84
	;; [unrolled: 1-line block ×13, first 2 shown]
	s_mov_b32 s0, exec_lo
	s_wait_loadcnt_dscnt 0xd0c
	v_dual_mul_f32 v1, v166, v3 :: v_dual_mul_f32 v24, v168, v5
	v_mul_f32_e32 v3, v167, v3
	v_mul_f32_e32 v5, v169, v5
	s_wait_loadcnt_dscnt 0xc0b
	v_dual_mul_f32 v131, v170, v7 :: v_dual_mul_f32 v132, v172, v9
	v_fmac_f32_e32 v24, v169, v4
	v_fma_f32 v3, v166, v2, -v3
	s_wait_loadcnt_dscnt 0xb0a
	v_dual_mul_f32 v218, v174, v11 :: v_dual_mul_f32 v219, v176, v13
	v_dual_fmac_f32 v1, v167, v2 :: v_dual_fmac_f32 v132, v173, v8
	v_mul_f32_e32 v2, v171, v7
	v_fma_f32 v4, v168, v4, -v5
	s_delay_alu instid0(VALU_DEP_4) | instskip(NEXT) | instid1(VALU_DEP_4)
	v_dual_add_f32 v3, 0, v3 :: v_dual_fmac_f32 v218, v175, v10
	v_add_f32_e32 v1, 0, v1
	s_delay_alu instid0(VALU_DEP_4) | instskip(SKIP_4) | instid1(VALU_DEP_3)
	v_fma_f32 v2, v170, v6, -v2
	s_wait_loadcnt_dscnt 0xa09
	v_dual_mul_f32 v220, v178, v15 :: v_dual_mul_f32 v221, v180, v17
	v_add_f32_e32 v3, v3, v4
	v_dual_mul_f32 v5, v173, v9 :: v_dual_mul_f32 v4, v175, v11
	v_dual_add_f32 v1, v1, v24 :: v_dual_fmac_f32 v220, v179, v14
	s_delay_alu instid0(VALU_DEP_3) | instskip(NEXT) | instid1(VALU_DEP_3)
	v_add_f32_e32 v2, v3, v2
	v_fma_f32 v5, v172, v8, -v5
	v_fmac_f32_e32 v131, v171, v6
	v_fma_f32 v4, v174, v10, -v4
	s_wait_loadcnt_dscnt 0x908
	v_dual_mul_f32 v222, v182, v19 :: v_dual_mul_f32 v223, v184, v21
	s_delay_alu instid0(VALU_DEP_3) | instskip(NEXT) | instid1(VALU_DEP_2)
	v_dual_add_f32 v2, v2, v5 :: v_dual_add_f32 v1, v1, v131
	v_dual_mul_f32 v3, v177, v13 :: v_dual_fmac_f32 v222, v183, v18
	s_wait_loadcnt_dscnt 0x807
	v_dual_mul_f32 v224, v186, v135 :: v_dual_mul_f32 v225, v188, v137
	s_delay_alu instid0(VALU_DEP_3)
	v_add_f32_e32 v2, v2, v4
	v_mul_f32_e32 v4, v181, v17
	v_fma_f32 v3, v176, v12, -v3
	s_wait_loadcnt_dscnt 0x605
	v_dual_add_f32 v1, v1, v132 :: v_dual_mul_f32 v228, v194, v143
	v_mul_f32_e32 v229, v196, v145
	v_fma_f32 v4, v180, v16, -v4
	v_mul_f32_e32 v5, v179, v15
	s_delay_alu instid0(VALU_DEP_4) | instskip(SKIP_1) | instid1(VALU_DEP_3)
	v_dual_add_f32 v2, v2, v3 :: v_dual_add_f32 v1, v1, v218
	v_dual_mul_f32 v226, v190, v139 :: v_dual_mul_f32 v227, v192, v141
	v_fma_f32 v5, v178, v14, -v5
	v_dual_fmac_f32 v219, v177, v12 :: v_dual_fmac_f32 v224, v187, v134
	s_delay_alu instid0(VALU_DEP_3)
	v_fmac_f32_e32 v226, v191, v138
	s_wait_loadcnt_dscnt 0x302
	v_dual_mul_f32 v234, v206, v155 :: v_dual_mul_f32 v235, v208, v157
	v_add_f32_e32 v2, v2, v5
	v_dual_mul_f32 v230, v198, v147 :: v_dual_mul_f32 v231, v200, v149
	v_dual_fmac_f32 v225, v189, v136 :: v_dual_mul_f32 v232, v202, v151
	s_delay_alu instid0(VALU_DEP_3) | instskip(SKIP_2) | instid1(VALU_DEP_4)
	v_dual_mul_f32 v233, v204, v153 :: v_dual_add_f32 v2, v2, v4
	v_mul_f32_e32 v4, v187, v135
	v_add_f32_e32 v1, v1, v219
	v_dual_fmac_f32 v227, v193, v140 :: v_dual_fmac_f32 v232, v203, v150
	v_fmac_f32_e32 v228, v195, v142
	s_delay_alu instid0(VALU_DEP_4)
	v_fma_f32 v4, v186, v134, -v4
	v_mul_f32_e32 v5, v185, v21
	v_add_f32_e32 v1, v1, v220
	s_wait_loadcnt_dscnt 0x201
	v_dual_fmac_f32 v229, v197, v144 :: v_dual_mul_f32 v236, v210, v159
	v_mul_f32_e32 v237, v212, v161
	v_fma_f32 v5, v184, v20, -v5
	v_mul_f32_e32 v3, v183, v19
	s_wait_loadcnt_dscnt 0x100
	v_dual_mul_f32 v238, v214, v163 :: v_dual_mul_f32 v239, v216, v165
	v_fmac_f32_e32 v235, v209, v156
	v_fmac_f32_e32 v237, v213, v160
	v_fma_f32 v3, v182, v18, -v3
	v_fmac_f32_e32 v221, v181, v16
	v_dual_fmac_f32 v239, v217, v164 :: v_dual_fmac_f32 v234, v207, v154
	v_fmac_f32_e32 v230, v199, v146
	s_delay_alu instid0(VALU_DEP_4) | instskip(SKIP_2) | instid1(VALU_DEP_3)
	v_dual_add_f32 v2, v2, v3 :: v_dual_mul_f32 v3, v189, v137
	v_fmac_f32_e32 v236, v211, v158
	v_fmac_f32_e32 v238, v215, v162
	v_dual_add_f32 v2, v2, v5 :: v_dual_mul_f32 v5, v191, v139
	s_delay_alu instid0(VALU_DEP_4) | instskip(NEXT) | instid1(VALU_DEP_2)
	v_fma_f32 v3, v188, v136, -v3
	v_dual_add_f32 v2, v2, v4 :: v_dual_add_f32 v1, v1, v221
	v_mul_f32_e32 v4, v193, v141
	s_delay_alu instid0(VALU_DEP_4) | instskip(NEXT) | instid1(VALU_DEP_3)
	v_fma_f32 v5, v190, v138, -v5
	v_dual_add_f32 v2, v2, v3 :: v_dual_fmac_f32 v223, v185, v20
	s_delay_alu instid0(VALU_DEP_3) | instskip(NEXT) | instid1(VALU_DEP_2)
	v_fma_f32 v4, v192, v140, -v4
	v_add_f32_e32 v2, v2, v5
	v_mul_f32_e32 v5, v197, v145
	s_delay_alu instid0(VALU_DEP_2) | instskip(NEXT) | instid1(VALU_DEP_2)
	v_dual_add_f32 v1, v1, v222 :: v_dual_add_f32 v2, v2, v4
	v_fma_f32 v5, v196, v144, -v5
	v_mul_f32_e32 v3, v195, v143
	s_delay_alu instid0(VALU_DEP_3) | instskip(SKIP_1) | instid1(VALU_DEP_3)
	v_add_f32_e32 v1, v1, v223
	v_mul_f32_e32 v4, v199, v147
	v_fma_f32 v3, v194, v142, -v3
	s_delay_alu instid0(VALU_DEP_3) | instskip(NEXT) | instid1(VALU_DEP_3)
	v_add_f32_e32 v1, v1, v224
	v_fma_f32 v4, v198, v146, -v4
	s_delay_alu instid0(VALU_DEP_3) | instskip(NEXT) | instid1(VALU_DEP_1)
	v_add_f32_e32 v2, v2, v3
	v_add_f32_e32 v2, v2, v5
	s_delay_alu instid0(VALU_DEP_4) | instskip(NEXT) | instid1(VALU_DEP_2)
	v_add_f32_e32 v1, v1, v225
	v_dual_mul_f32 v5, v203, v151 :: v_dual_add_f32 v2, v2, v4
	v_mul_f32_e32 v4, v205, v153
	s_delay_alu instid0(VALU_DEP_2) | instskip(NEXT) | instid1(VALU_DEP_2)
	v_fma_f32 v5, v202, v150, -v5
	v_fma_f32 v4, v204, v152, -v4
	v_mul_f32_e32 v3, v201, v149
	s_delay_alu instid0(VALU_DEP_1) | instskip(NEXT) | instid1(VALU_DEP_1)
	v_fma_f32 v3, v200, v148, -v3
	v_dual_add_f32 v1, v1, v226 :: v_dual_add_f32 v2, v2, v3
	s_delay_alu instid0(VALU_DEP_1) | instskip(NEXT) | instid1(VALU_DEP_2)
	v_add_f32_e32 v1, v1, v227
	v_dual_mul_f32 v3, v207, v155 :: v_dual_add_f32 v2, v2, v5
	v_mul_f32_e32 v5, v209, v157
	s_delay_alu instid0(VALU_DEP_2) | instskip(NEXT) | instid1(VALU_DEP_3)
	v_fma_f32 v3, v206, v154, -v3
	v_add_f32_e32 v2, v2, v4
	v_dual_add_f32 v1, v1, v228 :: v_dual_mul_f32 v4, v211, v159
	s_delay_alu instid0(VALU_DEP_4) | instskip(NEXT) | instid1(VALU_DEP_2)
	v_fma_f32 v5, v208, v156, -v5
	v_dual_add_f32 v2, v2, v3 :: v_dual_add_f32 v1, v1, v229
	v_fmac_f32_e32 v231, v201, v148
	v_mul_f32_e32 v3, v213, v161
	v_fma_f32 v4, v210, v158, -v4
	s_delay_alu instid0(VALU_DEP_4) | instskip(SKIP_1) | instid1(VALU_DEP_4)
	v_dual_add_f32 v2, v2, v5 :: v_dual_add_f32 v1, v1, v230
	v_mul_f32_e32 v5, v215, v163
	v_fma_f32 v3, v212, v160, -v3
	s_delay_alu instid0(VALU_DEP_3) | instskip(SKIP_1) | instid1(VALU_DEP_4)
	v_dual_add_f32 v2, v2, v4 :: v_dual_add_f32 v1, v1, v231
	v_fmac_f32_e32 v233, v205, v152
	v_fma_f32 v5, v214, v162, -v5
	v_mul_f32_e32 v4, v217, v165
	s_delay_alu instid0(VALU_DEP_4) | instskip(NEXT) | instid1(VALU_DEP_2)
	v_dual_add_f32 v2, v2, v3 :: v_dual_add_f32 v1, v1, v232
	v_fma_f32 v3, v216, v164, -v4
	s_delay_alu instid0(VALU_DEP_2) | instskip(NEXT) | instid1(VALU_DEP_1)
	v_add_f32_e32 v2, v2, v5
	v_dual_add_f32 v1, v1, v233 :: v_dual_add_f32 v2, v2, v3
	s_delay_alu instid0(VALU_DEP_1) | instskip(NEXT) | instid1(VALU_DEP_1)
	v_add_f32_e32 v1, v1, v234
	v_add_f32_e32 v1, v1, v235
	s_delay_alu instid0(VALU_DEP_1) | instskip(NEXT) | instid1(VALU_DEP_1)
	v_add_f32_e32 v1, v1, v236
	v_add_f32_e32 v1, v1, v237
	;; [unrolled: 3-line block ×3, first 2 shown]
	s_wait_loadcnt 0x0
	s_delay_alu instid0(VALU_DEP_1)
	v_dual_sub_f32 v1, v22, v2 :: v_dual_sub_f32 v2, v23, v3
	scratch_store_b64 off, v[1:2], off offset:208
	v_cmpx_lt_u32_e32 25, v0
	s_cbranch_execz .LBB116_281
; %bb.280:
	scratch_load_b64 v[1:2], off, off offset:200
	v_mov_b32_e32 v3, 0
	s_delay_alu instid0(VALU_DEP_1)
	v_mov_b32_e32 v4, v3
	scratch_store_b64 off, v[3:4], off offset:200
	s_wait_loadcnt 0x0
	ds_store_b64 v133, v[1:2]
.LBB116_281:
	s_wait_alu 0xfffe
	s_or_b32 exec_lo, exec_lo, s0
	s_wait_storecnt_dscnt 0x0
	s_barrier_signal -1
	s_barrier_wait -1
	global_inv scope:SCOPE_SE
	s_clause 0xe
	scratch_load_b128 v[2:5], off, off offset:208
	scratch_load_b128 v[6:9], off, off offset:224
	;; [unrolled: 1-line block ×13, first 2 shown]
	scratch_load_b64 v[22:23], off, off offset:416
	scratch_load_b64 v[131:132], off, off offset:200
	v_mov_b32_e32 v1, 0
	ds_load_b128 v[166:169], v1 offset:640
	ds_load_b128 v[170:173], v1 offset:656
	;; [unrolled: 1-line block ×13, first 2 shown]
	ds_load_b64 v[218:219], v1 offset:848
	s_mov_b32 s0, exec_lo
	s_wait_loadcnt_dscnt 0xe0d
	v_mul_f32_e32 v24, v166, v3
	s_wait_loadcnt_dscnt 0xd0c
	v_dual_mul_f32 v220, v168, v5 :: v_dual_mul_f32 v221, v170, v7
	v_mul_f32_e32 v5, v169, v5
	s_wait_loadcnt_dscnt 0xc0b
	v_dual_mul_f32 v222, v172, v9 :: v_dual_mul_f32 v223, v174, v11
	s_wait_loadcnt_dscnt 0xb0a
	v_dual_mul_f32 v224, v176, v13 :: v_dual_mul_f32 v225, v178, v15
	v_mul_f32_e32 v3, v167, v3
	v_fmac_f32_e32 v24, v167, v2
	s_delay_alu instid0(VALU_DEP_3)
	v_dual_fmac_f32 v223, v175, v10 :: v_dual_fmac_f32 v224, v177, v12
	s_wait_loadcnt_dscnt 0x302
	v_mul_f32_e32 v242, v212, v161
	v_fma_f32 v3, v166, v2, -v3
	s_wait_loadcnt_dscnt 0x100
	v_mul_f32_e32 v245, v218, v23
	v_mul_f32_e32 v2, v171, v7
	v_fmac_f32_e32 v220, v169, v4
	v_fma_f32 v4, v168, v4, -v5
	v_dual_add_f32 v3, 0, v3 :: v_dual_mul_f32 v226, v180, v17
	v_mul_f32_e32 v227, v182, v19
	v_fma_f32 v2, v170, v6, -v2
	v_fmac_f32_e32 v225, v179, v14
	s_delay_alu instid0(VALU_DEP_4) | instskip(SKIP_2) | instid1(VALU_DEP_3)
	v_add_f32_e32 v3, v3, v4
	v_dual_add_f32 v5, 0, v24 :: v_dual_mul_f32 v228, v184, v21
	v_dual_mul_f32 v229, v186, v135 :: v_dual_fmac_f32 v222, v173, v8
	v_dual_add_f32 v2, v3, v2 :: v_dual_mul_f32 v7, v173, v9
	s_delay_alu instid0(VALU_DEP_3) | instskip(SKIP_1) | instid1(VALU_DEP_3)
	v_dual_fmac_f32 v221, v171, v6 :: v_dual_add_f32 v4, v5, v220
	v_dual_mul_f32 v5, v175, v11 :: v_dual_fmac_f32 v226, v181, v16
	v_fma_f32 v6, v172, v8, -v7
	v_dual_mul_f32 v230, v188, v137 :: v_dual_mul_f32 v231, v190, v139
	s_delay_alu instid0(VALU_DEP_4)
	v_add_f32_e32 v3, v4, v221
	v_mul_f32_e32 v4, v177, v13
	v_fma_f32 v5, v174, v10, -v5
	v_add_f32_e32 v2, v2, v6
	v_mul_f32_e32 v6, v179, v15
	v_add_f32_e32 v3, v3, v222
	v_fma_f32 v4, v176, v12, -v4
	v_dual_fmac_f32 v229, v187, v134 :: v_dual_fmac_f32 v230, v189, v136
	s_delay_alu instid0(VALU_DEP_3) | instskip(SKIP_3) | instid1(VALU_DEP_4)
	v_dual_add_f32 v2, v2, v5 :: v_dual_add_f32 v3, v3, v223
	v_mul_f32_e32 v5, v181, v17
	v_fma_f32 v6, v178, v14, -v6
	v_dual_mul_f32 v232, v192, v141 :: v_dual_mul_f32 v233, v194, v143
	v_add_f32_e32 v2, v2, v4
	v_add_f32_e32 v3, v3, v224
	v_mul_f32_e32 v4, v183, v19
	v_fma_f32 v5, v180, v16, -v5
	v_fmac_f32_e32 v227, v183, v18
	s_delay_alu instid0(VALU_DEP_4) | instskip(SKIP_3) | instid1(VALU_DEP_4)
	v_dual_add_f32 v2, v2, v6 :: v_dual_add_f32 v3, v3, v225
	v_fmac_f32_e32 v228, v185, v20
	v_mul_f32_e32 v6, v185, v21
	v_fma_f32 v4, v182, v18, -v4
	v_dual_add_f32 v2, v2, v5 :: v_dual_add_f32 v3, v3, v226
	v_mul_f32_e32 v5, v187, v135
	s_delay_alu instid0(VALU_DEP_4) | instskip(SKIP_1) | instid1(VALU_DEP_4)
	v_fma_f32 v6, v184, v20, -v6
	v_dual_mul_f32 v234, v196, v145 :: v_dual_mul_f32 v235, v198, v147
	v_dual_add_f32 v2, v2, v4 :: v_dual_add_f32 v3, v3, v227
	v_mul_f32_e32 v4, v189, v137
	v_fma_f32 v5, v186, v134, -v5
	v_fmac_f32_e32 v231, v191, v138
	s_delay_alu instid0(VALU_DEP_4) | instskip(SKIP_3) | instid1(VALU_DEP_4)
	v_dual_add_f32 v2, v2, v6 :: v_dual_add_f32 v3, v3, v228
	v_mul_f32_e32 v6, v191, v139
	v_fma_f32 v4, v188, v136, -v4
	v_fmac_f32_e32 v232, v193, v140
	v_add_f32_e32 v2, v2, v5
	v_add_f32_e32 v3, v3, v229
	v_mul_f32_e32 v5, v193, v141
	v_fma_f32 v6, v190, v138, -v6
	s_delay_alu instid0(VALU_DEP_4) | instskip(NEXT) | instid1(VALU_DEP_4)
	v_dual_fmac_f32 v233, v195, v142 :: v_dual_add_f32 v2, v2, v4
	v_add_f32_e32 v3, v3, v230
	v_mul_f32_e32 v4, v195, v143
	v_fma_f32 v5, v192, v140, -v5
	v_fmac_f32_e32 v234, v197, v144
	s_delay_alu instid0(VALU_DEP_4) | instskip(SKIP_3) | instid1(VALU_DEP_4)
	v_dual_add_f32 v2, v2, v6 :: v_dual_add_f32 v3, v3, v231
	v_mul_f32_e32 v6, v197, v145
	v_fma_f32 v4, v194, v142, -v4
	v_dual_mul_f32 v236, v200, v149 :: v_dual_mul_f32 v237, v202, v151
	v_dual_add_f32 v2, v2, v5 :: v_dual_add_f32 v3, v3, v232
	v_mul_f32_e32 v5, v199, v147
	v_fma_f32 v6, v196, v144, -v6
	s_delay_alu instid0(VALU_DEP_3) | instskip(NEXT) | instid1(VALU_DEP_4)
	v_dual_fmac_f32 v235, v199, v146 :: v_dual_add_f32 v2, v2, v4
	v_add_f32_e32 v3, v3, v233
	v_mul_f32_e32 v4, v201, v149
	v_fma_f32 v5, v198, v146, -v5
	v_fmac_f32_e32 v236, v201, v148
	v_dual_mul_f32 v238, v204, v153 :: v_dual_mul_f32 v239, v206, v155
	v_add_f32_e32 v3, v3, v234
	v_add_f32_e32 v2, v2, v6
	v_mul_f32_e32 v6, v203, v151
	v_fma_f32 v4, v200, v148, -v4
	v_fmac_f32_e32 v237, v203, v150
	s_delay_alu instid0(VALU_DEP_4) | instskip(NEXT) | instid1(VALU_DEP_4)
	v_dual_add_f32 v3, v3, v235 :: v_dual_add_f32 v2, v2, v5
	v_fma_f32 v6, v202, v150, -v6
	v_mul_f32_e32 v5, v205, v153
	v_dual_fmac_f32 v238, v205, v152 :: v_dual_fmac_f32 v239, v207, v154
	s_delay_alu instid0(VALU_DEP_4) | instskip(SKIP_3) | instid1(VALU_DEP_4)
	v_add_f32_e32 v3, v3, v236
	v_add_f32_e32 v2, v2, v4
	v_dual_mul_f32 v240, v208, v157 :: v_dual_mul_f32 v241, v210, v159
	v_mul_f32_e32 v4, v207, v155
	v_add_f32_e32 v3, v3, v237
	v_fma_f32 v5, v204, v152, -v5
	v_add_f32_e32 v2, v2, v6
	v_mul_f32_e32 v6, v209, v157
	v_fma_f32 v4, v206, v154, -v4
	v_dual_add_f32 v3, v3, v238 :: v_dual_fmac_f32 v240, v209, v156
	s_delay_alu instid0(VALU_DEP_4) | instskip(NEXT) | instid1(VALU_DEP_4)
	v_dual_add_f32 v2, v2, v5 :: v_dual_mul_f32 v5, v211, v159
	v_fma_f32 v6, v208, v156, -v6
	s_delay_alu instid0(VALU_DEP_3) | instskip(NEXT) | instid1(VALU_DEP_3)
	v_add_f32_e32 v3, v3, v239
	v_dual_fmac_f32 v241, v211, v158 :: v_dual_add_f32 v2, v2, v4
	v_dual_mul_f32 v4, v213, v161 :: v_dual_mul_f32 v243, v214, v163
	s_delay_alu instid0(VALU_DEP_3) | instskip(SKIP_1) | instid1(VALU_DEP_4)
	v_dual_mul_f32 v244, v216, v165 :: v_dual_add_f32 v3, v3, v240
	v_fma_f32 v5, v210, v158, -v5
	v_add_f32_e32 v2, v2, v6
	s_delay_alu instid0(VALU_DEP_4) | instskip(NEXT) | instid1(VALU_DEP_4)
	v_dual_fmac_f32 v242, v213, v160 :: v_dual_fmac_f32 v243, v215, v162
	v_add_f32_e32 v3, v3, v241
	v_mul_f32_e32 v6, v215, v163
	v_fma_f32 v4, v212, v160, -v4
	v_add_f32_e32 v2, v2, v5
	v_mul_f32_e32 v5, v217, v165
	v_add_f32_e32 v3, v3, v242
	v_fma_f32 v6, v214, v162, -v6
	v_dual_fmac_f32 v244, v217, v164 :: v_dual_fmac_f32 v245, v219, v22
	s_delay_alu instid0(VALU_DEP_3) | instskip(SKIP_2) | instid1(VALU_DEP_3)
	v_dual_add_f32 v2, v2, v4 :: v_dual_add_f32 v3, v3, v243
	v_mul_f32_e32 v4, v219, v23
	v_fma_f32 v5, v216, v164, -v5
	v_dual_add_f32 v2, v2, v6 :: v_dual_add_f32 v3, v3, v244
	s_delay_alu instid0(VALU_DEP_3) | instskip(NEXT) | instid1(VALU_DEP_2)
	v_fma_f32 v4, v218, v22, -v4
	v_add_f32_e32 v3, v3, v245
	s_wait_loadcnt 0x0
	s_delay_alu instid0(VALU_DEP_1) | instskip(NEXT) | instid1(VALU_DEP_1)
	v_dual_add_f32 v2, v2, v5 :: v_dual_sub_f32 v3, v132, v3
	v_add_f32_e32 v2, v2, v4
	s_delay_alu instid0(VALU_DEP_1)
	v_sub_f32_e32 v2, v131, v2
	scratch_store_b64 off, v[2:3], off offset:200
	v_cmpx_lt_u32_e32 24, v0
	s_cbranch_execz .LBB116_283
; %bb.282:
	scratch_load_b64 v[3:4], off, off offset:192
	v_mov_b32_e32 v2, v1
	scratch_store_b64 off, v[1:2], off offset:192
	s_wait_loadcnt 0x0
	ds_store_b64 v133, v[3:4]
.LBB116_283:
	s_wait_alu 0xfffe
	s_or_b32 exec_lo, exec_lo, s0
	s_wait_storecnt_dscnt 0x0
	s_barrier_signal -1
	s_barrier_wait -1
	global_inv scope:SCOPE_SE
	s_clause 0xe
	scratch_load_b128 v[2:5], off, off offset:200
	scratch_load_b128 v[6:9], off, off offset:216
	;; [unrolled: 1-line block ×14, first 2 shown]
	scratch_load_b64 v[22:23], off, off offset:192
	ds_load_2addr_b64 v[170:173], v1 offset0:79 offset1:80
	ds_load_2addr_b64 v[174:177], v1 offset0:81 offset1:82
	;; [unrolled: 1-line block ×14, first 2 shown]
	s_mov_b32 s0, exec_lo
	s_wait_loadcnt_dscnt 0xe0d
	v_dual_mul_f32 v1, v170, v3 :: v_dual_mul_f32 v24, v172, v5
	v_mul_f32_e32 v3, v171, v3
	v_mul_f32_e32 v5, v173, v5
	s_wait_loadcnt_dscnt 0xd0c
	v_dual_mul_f32 v131, v174, v7 :: v_dual_mul_f32 v132, v176, v9
	v_fmac_f32_e32 v24, v173, v4
	v_fma_f32 v3, v170, v2, -v3
	s_wait_loadcnt_dscnt 0xc0b
	v_dual_mul_f32 v226, v178, v11 :: v_dual_mul_f32 v227, v180, v13
	v_dual_fmac_f32 v1, v171, v2 :: v_dual_fmac_f32 v132, v177, v8
	v_mul_f32_e32 v2, v175, v7
	v_fma_f32 v4, v172, v4, -v5
	s_delay_alu instid0(VALU_DEP_4) | instskip(NEXT) | instid1(VALU_DEP_4)
	v_dual_add_f32 v3, 0, v3 :: v_dual_fmac_f32 v226, v179, v10
	v_add_f32_e32 v1, 0, v1
	s_delay_alu instid0(VALU_DEP_4) | instskip(SKIP_4) | instid1(VALU_DEP_3)
	v_fma_f32 v2, v174, v6, -v2
	s_wait_loadcnt_dscnt 0xb0a
	v_dual_mul_f32 v228, v182, v15 :: v_dual_mul_f32 v229, v184, v17
	v_add_f32_e32 v3, v3, v4
	v_dual_mul_f32 v5, v177, v9 :: v_dual_mul_f32 v4, v179, v11
	v_dual_add_f32 v1, v1, v24 :: v_dual_fmac_f32 v228, v183, v14
	s_delay_alu instid0(VALU_DEP_3) | instskip(NEXT) | instid1(VALU_DEP_3)
	v_add_f32_e32 v2, v3, v2
	v_fma_f32 v5, v176, v8, -v5
	v_fmac_f32_e32 v131, v175, v6
	v_fma_f32 v4, v178, v10, -v4
	s_wait_loadcnt_dscnt 0xa09
	v_dual_mul_f32 v230, v186, v19 :: v_dual_mul_f32 v231, v188, v21
	s_delay_alu instid0(VALU_DEP_3) | instskip(NEXT) | instid1(VALU_DEP_2)
	v_dual_add_f32 v2, v2, v5 :: v_dual_add_f32 v1, v1, v131
	v_dual_mul_f32 v3, v181, v13 :: v_dual_fmac_f32 v230, v187, v18
	s_wait_loadcnt_dscnt 0x908
	v_dual_mul_f32 v232, v190, v135 :: v_dual_mul_f32 v233, v192, v137
	s_delay_alu instid0(VALU_DEP_3)
	v_add_f32_e32 v2, v2, v4
	v_mul_f32_e32 v4, v185, v17
	v_fma_f32 v3, v180, v12, -v3
	s_wait_loadcnt_dscnt 0x706
	v_dual_add_f32 v1, v1, v132 :: v_dual_mul_f32 v236, v198, v143
	v_mul_f32_e32 v237, v200, v145
	v_fma_f32 v4, v184, v16, -v4
	v_mul_f32_e32 v5, v183, v15
	s_delay_alu instid0(VALU_DEP_4) | instskip(SKIP_1) | instid1(VALU_DEP_3)
	v_dual_add_f32 v2, v2, v3 :: v_dual_add_f32 v1, v1, v226
	v_dual_mul_f32 v234, v194, v139 :: v_dual_mul_f32 v235, v196, v141
	v_fma_f32 v5, v182, v14, -v5
	v_dual_fmac_f32 v227, v181, v12 :: v_dual_fmac_f32 v232, v191, v134
	s_delay_alu instid0(VALU_DEP_3)
	v_fmac_f32_e32 v234, v195, v138
	s_wait_loadcnt_dscnt 0x403
	v_dual_mul_f32 v242, v210, v155 :: v_dual_mul_f32 v243, v212, v157
	v_add_f32_e32 v2, v2, v5
	v_dual_mul_f32 v238, v202, v147 :: v_dual_mul_f32 v239, v204, v149
	v_dual_fmac_f32 v233, v193, v136 :: v_dual_mul_f32 v240, v206, v151
	s_delay_alu instid0(VALU_DEP_3) | instskip(SKIP_2) | instid1(VALU_DEP_4)
	v_dual_mul_f32 v241, v208, v153 :: v_dual_add_f32 v2, v2, v4
	v_mul_f32_e32 v4, v191, v135
	v_add_f32_e32 v1, v1, v227
	v_dual_fmac_f32 v235, v197, v140 :: v_dual_fmac_f32 v240, v207, v150
	v_fmac_f32_e32 v236, v199, v142
	s_delay_alu instid0(VALU_DEP_4)
	v_fma_f32 v4, v190, v134, -v4
	v_mul_f32_e32 v5, v189, v21
	s_wait_loadcnt_dscnt 0x100
	v_dual_add_f32 v1, v1, v228 :: v_dual_mul_f32 v248, v222, v167
	v_mul_f32_e32 v249, v224, v169
	v_fmac_f32_e32 v237, v201, v144
	v_fma_f32 v5, v188, v20, -v5
	v_mul_f32_e32 v3, v187, v19
	v_dual_mul_f32 v244, v214, v159 :: v_dual_mul_f32 v245, v216, v161
	v_dual_mul_f32 v246, v218, v163 :: v_dual_mul_f32 v247, v220, v165
	s_delay_alu instid0(VALU_DEP_3) | instskip(SKIP_1) | instid1(VALU_DEP_4)
	v_fma_f32 v3, v186, v18, -v3
	v_fmac_f32_e32 v229, v185, v16
	v_fmac_f32_e32 v245, v217, v160
	;; [unrolled: 1-line block ×3, first 2 shown]
	s_delay_alu instid0(VALU_DEP_4) | instskip(SKIP_3) | instid1(VALU_DEP_4)
	v_dual_fmac_f32 v247, v221, v164 :: v_dual_add_f32 v2, v2, v3
	v_dual_mul_f32 v3, v193, v137 :: v_dual_fmac_f32 v242, v211, v154
	v_fmac_f32_e32 v238, v203, v146
	v_fmac_f32_e32 v248, v223, v166
	v_dual_add_f32 v2, v2, v5 :: v_dual_mul_f32 v5, v195, v139
	s_delay_alu instid0(VALU_DEP_4) | instskip(SKIP_2) | instid1(VALU_DEP_4)
	v_fma_f32 v3, v192, v136, -v3
	v_fmac_f32_e32 v244, v215, v158
	v_fmac_f32_e32 v246, v219, v162
	v_dual_add_f32 v2, v2, v4 :: v_dual_add_f32 v1, v1, v229
	v_mul_f32_e32 v4, v197, v141
	v_fma_f32 v5, v194, v138, -v5
	s_delay_alu instid0(VALU_DEP_3) | instskip(NEXT) | instid1(VALU_DEP_3)
	v_dual_add_f32 v2, v2, v3 :: v_dual_fmac_f32 v231, v189, v20
	v_fma_f32 v4, v196, v140, -v4
	s_delay_alu instid0(VALU_DEP_2) | instskip(SKIP_1) | instid1(VALU_DEP_2)
	v_add_f32_e32 v2, v2, v5
	v_mul_f32_e32 v5, v201, v145
	v_dual_add_f32 v1, v1, v230 :: v_dual_add_f32 v2, v2, v4
	s_delay_alu instid0(VALU_DEP_2) | instskip(SKIP_1) | instid1(VALU_DEP_3)
	v_fma_f32 v5, v200, v144, -v5
	v_mul_f32_e32 v3, v199, v143
	v_add_f32_e32 v1, v1, v231
	v_mul_f32_e32 v4, v203, v147
	s_delay_alu instid0(VALU_DEP_3) | instskip(NEXT) | instid1(VALU_DEP_3)
	v_fma_f32 v3, v198, v142, -v3
	v_add_f32_e32 v1, v1, v232
	s_delay_alu instid0(VALU_DEP_3) | instskip(NEXT) | instid1(VALU_DEP_3)
	v_fma_f32 v4, v202, v146, -v4
	v_add_f32_e32 v2, v2, v3
	s_delay_alu instid0(VALU_DEP_1) | instskip(NEXT) | instid1(VALU_DEP_4)
	v_add_f32_e32 v2, v2, v5
	v_add_f32_e32 v1, v1, v233
	s_delay_alu instid0(VALU_DEP_2) | instskip(SKIP_1) | instid1(VALU_DEP_2)
	v_dual_mul_f32 v5, v207, v151 :: v_dual_add_f32 v2, v2, v4
	v_mul_f32_e32 v4, v209, v153
	v_fma_f32 v5, v206, v150, -v5
	s_delay_alu instid0(VALU_DEP_2) | instskip(SKIP_1) | instid1(VALU_DEP_1)
	v_fma_f32 v4, v208, v152, -v4
	v_mul_f32_e32 v3, v205, v149
	v_fma_f32 v3, v204, v148, -v3
	s_delay_alu instid0(VALU_DEP_1) | instskip(NEXT) | instid1(VALU_DEP_1)
	v_dual_add_f32 v1, v1, v234 :: v_dual_add_f32 v2, v2, v3
	v_add_f32_e32 v1, v1, v235
	s_delay_alu instid0(VALU_DEP_2) | instskip(SKIP_1) | instid1(VALU_DEP_2)
	v_dual_mul_f32 v3, v211, v155 :: v_dual_add_f32 v2, v2, v5
	v_mul_f32_e32 v5, v213, v157
	v_fma_f32 v3, v210, v154, -v3
	s_delay_alu instid0(VALU_DEP_3) | instskip(SKIP_1) | instid1(VALU_DEP_4)
	v_add_f32_e32 v2, v2, v4
	v_dual_add_f32 v1, v1, v236 :: v_dual_mul_f32 v4, v215, v159
	v_fma_f32 v5, v212, v156, -v5
	s_delay_alu instid0(VALU_DEP_2) | instskip(SKIP_3) | instid1(VALU_DEP_4)
	v_dual_add_f32 v2, v2, v3 :: v_dual_add_f32 v1, v1, v237
	v_fmac_f32_e32 v239, v205, v148
	v_mul_f32_e32 v3, v217, v161
	v_fma_f32 v4, v214, v158, -v4
	v_dual_add_f32 v2, v2, v5 :: v_dual_add_f32 v1, v1, v238
	v_mul_f32_e32 v5, v219, v163
	s_delay_alu instid0(VALU_DEP_4) | instskip(NEXT) | instid1(VALU_DEP_3)
	v_fma_f32 v3, v216, v160, -v3
	v_dual_add_f32 v2, v2, v4 :: v_dual_add_f32 v1, v1, v239
	v_fmac_f32_e32 v241, v209, v152
	v_mul_f32_e32 v4, v221, v165
	v_fma_f32 v5, v218, v162, -v5
	s_delay_alu instid0(VALU_DEP_4) | instskip(SKIP_1) | instid1(VALU_DEP_4)
	v_dual_add_f32 v2, v2, v3 :: v_dual_add_f32 v1, v1, v240
	v_mul_f32_e32 v3, v223, v167
	v_fma_f32 v4, v220, v164, -v4
	s_delay_alu instid0(VALU_DEP_3) | instskip(NEXT) | instid1(VALU_DEP_4)
	v_add_f32_e32 v2, v2, v5
	v_add_f32_e32 v1, v1, v241
	v_mul_f32_e32 v5, v225, v169
	v_fma_f32 v3, v222, v166, -v3
	s_delay_alu instid0(VALU_DEP_4) | instskip(SKIP_1) | instid1(VALU_DEP_4)
	v_add_f32_e32 v2, v2, v4
	v_fmac_f32_e32 v243, v213, v156
	v_fma_f32 v4, v224, v168, -v5
	s_delay_alu instid0(VALU_DEP_3) | instskip(NEXT) | instid1(VALU_DEP_1)
	v_dual_add_f32 v2, v2, v3 :: v_dual_add_f32 v1, v1, v242
	v_dual_add_f32 v2, v2, v4 :: v_dual_add_f32 v1, v1, v243
	s_delay_alu instid0(VALU_DEP_1) | instskip(NEXT) | instid1(VALU_DEP_1)
	v_add_f32_e32 v1, v1, v244
	v_add_f32_e32 v1, v1, v245
	s_delay_alu instid0(VALU_DEP_1) | instskip(NEXT) | instid1(VALU_DEP_1)
	v_add_f32_e32 v1, v1, v246
	v_add_f32_e32 v1, v1, v247
	;; [unrolled: 3-line block ×3, first 2 shown]
	s_wait_loadcnt 0x0
	s_delay_alu instid0(VALU_DEP_1)
	v_dual_sub_f32 v1, v22, v2 :: v_dual_sub_f32 v2, v23, v3
	scratch_store_b64 off, v[1:2], off offset:192
	v_cmpx_lt_u32_e32 23, v0
	s_cbranch_execz .LBB116_285
; %bb.284:
	scratch_load_b64 v[1:2], off, off offset:184
	v_mov_b32_e32 v3, 0
	s_delay_alu instid0(VALU_DEP_1)
	v_mov_b32_e32 v4, v3
	scratch_store_b64 off, v[3:4], off offset:184
	s_wait_loadcnt 0x0
	ds_store_b64 v133, v[1:2]
.LBB116_285:
	s_wait_alu 0xfffe
	s_or_b32 exec_lo, exec_lo, s0
	s_wait_storecnt_dscnt 0x0
	s_barrier_signal -1
	s_barrier_wait -1
	global_inv scope:SCOPE_SE
	s_clause 0x4
	scratch_load_b128 v[2:5], off, off offset:192
	scratch_load_b128 v[6:9], off, off offset:208
	;; [unrolled: 1-line block ×5, first 2 shown]
	v_mov_b32_e32 v1, 0
	ds_load_b128 v[134:137], v1 offset:624
	ds_load_b128 v[138:141], v1 offset:640
	;; [unrolled: 1-line block ×3, first 2 shown]
	scratch_load_b64 v[22:23], off, off offset:184
	s_mov_b32 s0, exec_lo
	s_wait_loadcnt_dscnt 0x502
	v_mul_f32_e32 v24, v135, v3
	v_dual_mul_f32 v131, v134, v3 :: v_dual_mul_f32 v132, v136, v5
	v_mul_f32_e32 v3, v137, v5
	s_wait_loadcnt_dscnt 0x300
	v_mul_f32_e32 v146, v144, v13
	v_fma_f32 v24, v134, v2, -v24
	v_dual_fmac_f32 v131, v135, v2 :: v_dual_fmac_f32 v132, v137, v4
	v_fma_f32 v134, v136, v4, -v3
	ds_load_b128 v[2:5], v1 offset:672
	v_dual_mul_f32 v135, v138, v7 :: v_dual_mul_f32 v136, v140, v9
	v_mul_f32_e32 v7, v139, v7
	v_mul_f32_e32 v9, v141, v9
	;; [unrolled: 1-line block ×3, first 2 shown]
	v_dual_mul_f32 v11, v143, v11 :: v_dual_fmac_f32 v146, v145, v12
	v_mul_f32_e32 v13, v145, v13
	v_fmac_f32_e32 v135, v139, v6
	v_fma_f32 v138, v138, v6, -v7
	v_fmac_f32_e32 v136, v141, v8
	v_fma_f32 v139, v140, v8, -v9
	scratch_load_b128 v[6:9], off, off offset:272
	v_fmac_f32_e32 v137, v143, v10
	v_fma_f32 v140, v142, v10, -v11
	v_fma_f32 v141, v144, v12, -v13
	ds_load_b128 v[10:13], v1 offset:688
	s_wait_loadcnt_dscnt 0x301
	v_mul_f32_e32 v142, v2, v15
	v_mul_f32_e32 v15, v3, v15
	;; [unrolled: 1-line block ×3, first 2 shown]
	s_delay_alu instid0(VALU_DEP_3) | instskip(NEXT) | instid1(VALU_DEP_3)
	v_dual_mul_f32 v17, v5, v17 :: v_dual_fmac_f32 v142, v3, v14
	v_fma_f32 v14, v2, v14, -v15
	s_delay_alu instid0(VALU_DEP_3) | instskip(NEXT) | instid1(VALU_DEP_3)
	v_fmac_f32_e32 v143, v5, v16
	v_fma_f32 v15, v4, v16, -v17
	ds_load_b128 v[2:5], v1 offset:704
	s_wait_loadcnt_dscnt 0x201
	v_mul_f32_e32 v16, v10, v19
	v_mul_f32_e32 v17, v11, v19
	;; [unrolled: 1-line block ×3, first 2 shown]
	s_delay_alu instid0(VALU_DEP_3) | instskip(NEXT) | instid1(VALU_DEP_3)
	v_dual_mul_f32 v21, v13, v21 :: v_dual_fmac_f32 v16, v11, v18
	v_fma_f32 v17, v10, v18, -v17
	s_delay_alu instid0(VALU_DEP_3) | instskip(NEXT) | instid1(VALU_DEP_3)
	v_fmac_f32_e32 v19, v13, v20
	v_fma_f32 v18, v12, v20, -v21
	scratch_load_b128 v[10:13], off, off offset:288
	s_wait_loadcnt_dscnt 0x100
	v_mul_f32_e32 v20, v2, v7
	v_mul_f32_e32 v7, v3, v7
	;; [unrolled: 1-line block ×3, first 2 shown]
	s_delay_alu instid0(VALU_DEP_3) | instskip(NEXT) | instid1(VALU_DEP_3)
	v_dual_mul_f32 v9, v5, v9 :: v_dual_fmac_f32 v20, v3, v6
	v_fma_f32 v144, v2, v6, -v7
	s_delay_alu instid0(VALU_DEP_3) | instskip(NEXT) | instid1(VALU_DEP_3)
	v_fmac_f32_e32 v21, v5, v8
	v_fma_f32 v145, v4, v8, -v9
	ds_load_b128 v[2:5], v1 offset:720
	ds_load_b128 v[6:9], v1 offset:736
	s_wait_loadcnt_dscnt 0x1
	v_mul_f32_e32 v147, v2, v11
	v_dual_mul_f32 v11, v3, v11 :: v_dual_mul_f32 v148, v4, v13
	s_delay_alu instid0(VALU_DEP_2) | instskip(NEXT) | instid1(VALU_DEP_2)
	v_fmac_f32_e32 v147, v3, v10
	v_fma_f32 v149, v2, v10, -v11
	v_mul_f32_e32 v2, v5, v13
	s_delay_alu instid0(VALU_DEP_4) | instskip(NEXT) | instid1(VALU_DEP_2)
	v_fmac_f32_e32 v148, v5, v12
	v_fma_f32 v150, v4, v12, -v2
	s_clause 0x1
	scratch_load_b128 v[2:5], off, off offset:304
	scratch_load_b128 v[10:13], off, off offset:320
	s_wait_loadcnt_dscnt 0x100
	v_mul_f32_e32 v151, v6, v3
	v_mul_f32_e32 v3, v7, v3
	;; [unrolled: 1-line block ×3, first 2 shown]
	s_delay_alu instid0(VALU_DEP_3) | instskip(NEXT) | instid1(VALU_DEP_3)
	v_fmac_f32_e32 v151, v7, v2
	v_fma_f32 v152, v6, v2, -v3
	v_mul_f32_e32 v2, v9, v5
	s_delay_alu instid0(VALU_DEP_4) | instskip(NEXT) | instid1(VALU_DEP_2)
	v_fmac_f32_e32 v153, v9, v4
	v_fma_f32 v154, v8, v4, -v2
	ds_load_b128 v[2:5], v1 offset:752
	ds_load_b128 v[6:9], v1 offset:768
	s_wait_loadcnt_dscnt 0x1
	v_mul_f32_e32 v155, v2, v11
	v_mul_f32_e32 v157, v4, v13
	s_delay_alu instid0(VALU_DEP_2) | instskip(SKIP_1) | instid1(VALU_DEP_3)
	v_fmac_f32_e32 v155, v3, v10
	v_mul_f32_e32 v3, v3, v11
	v_fmac_f32_e32 v157, v5, v12
	s_delay_alu instid0(VALU_DEP_2) | instskip(SKIP_1) | instid1(VALU_DEP_1)
	v_fma_f32 v156, v2, v10, -v3
	v_mul_f32_e32 v2, v5, v13
	v_fma_f32 v158, v4, v12, -v2
	s_clause 0x1
	scratch_load_b128 v[2:5], off, off offset:336
	scratch_load_b128 v[10:13], off, off offset:352
	s_wait_loadcnt_dscnt 0x100
	v_mul_f32_e32 v159, v6, v3
	v_mul_f32_e32 v3, v7, v3
	s_delay_alu instid0(VALU_DEP_2) | instskip(NEXT) | instid1(VALU_DEP_2)
	v_fmac_f32_e32 v159, v7, v2
	v_fma_f32 v160, v6, v2, -v3
	v_dual_mul_f32 v2, v9, v5 :: v_dual_add_f32 v3, 0, v131
	s_delay_alu instid0(VALU_DEP_1) | instskip(SKIP_1) | instid1(VALU_DEP_3)
	v_fma_f32 v162, v8, v4, -v2
	v_add_f32_e32 v2, 0, v24
	v_add_f32_e32 v3, v3, v132
	scratch_load_b64 v[131:132], off, off offset:416
	v_dual_add_f32 v2, v2, v134 :: v_dual_add_f32 v3, v3, v135
	s_delay_alu instid0(VALU_DEP_1) | instskip(NEXT) | instid1(VALU_DEP_1)
	v_dual_add_f32 v2, v2, v138 :: v_dual_add_f32 v3, v3, v136
	v_add_f32_e32 v2, v2, v139
	s_delay_alu instid0(VALU_DEP_2) | instskip(NEXT) | instid1(VALU_DEP_2)
	v_add_f32_e32 v6, v3, v137
	v_add_f32_e32 v2, v2, v140
	s_delay_alu instid0(VALU_DEP_2) | instskip(NEXT) | instid1(VALU_DEP_2)
	v_add_f32_e32 v6, v6, v146
	;; [unrolled: 3-line block ×3, first 2 shown]
	v_add_f32_e32 v7, v7, v14
	s_delay_alu instid0(VALU_DEP_1) | instskip(NEXT) | instid1(VALU_DEP_3)
	v_add_f32_e32 v14, v7, v15
	v_add_f32_e32 v15, v6, v143
	s_delay_alu instid0(VALU_DEP_1) | instskip(NEXT) | instid1(VALU_DEP_1)
	v_dual_add_f32 v14, v14, v17 :: v_dual_add_f32 v15, v15, v16
	v_dual_add_f32 v14, v14, v18 :: v_dual_add_f32 v15, v15, v19
	s_delay_alu instid0(VALU_DEP_1) | instskip(NEXT) | instid1(VALU_DEP_1)
	v_add_f32_e32 v14, v14, v144
	v_dual_add_f32 v18, v15, v20 :: v_dual_add_f32 v19, v14, v145
	scratch_load_b128 v[14:17], off, off offset:400
	v_add_f32_e32 v18, v18, v21
	s_delay_alu instid0(VALU_DEP_1) | instskip(NEXT) | instid1(VALU_DEP_1)
	v_dual_add_f32 v19, v19, v149 :: v_dual_add_f32 v18, v18, v147
	v_dual_add_f32 v19, v19, v150 :: v_dual_add_f32 v18, v18, v148
	v_mul_f32_e32 v161, v8, v5
	s_delay_alu instid0(VALU_DEP_2) | instskip(NEXT) | instid1(VALU_DEP_2)
	v_dual_add_f32 v19, v19, v152 :: v_dual_add_f32 v18, v18, v151
	v_fmac_f32_e32 v161, v9, v4
	ds_load_b128 v[2:5], v1 offset:784
	ds_load_b128 v[6:9], v1 offset:800
	v_add_f32_e32 v19, v19, v154
	s_delay_alu instid0(VALU_DEP_1)
	v_add_f32_e32 v138, v19, v156
	s_wait_loadcnt_dscnt 0x201
	v_mul_f32_e32 v24, v2, v11
	v_mul_f32_e32 v140, v4, v13
	v_add_f32_e32 v134, v18, v153
	ds_load_b128 v[18:21], v1 offset:816
	v_fmac_f32_e32 v24, v3, v10
	v_dual_fmac_f32 v140, v5, v12 :: v_dual_add_f32 v139, v134, v155
	ds_load_b128 v[134:137], v1 offset:832
	v_dual_add_f32 v143, v138, v158 :: v_dual_add_f32 v144, v139, v157
	ds_load_b64 v[138:139], v1 offset:848
	v_dual_mul_f32 v13, v5, v13 :: v_dual_add_f32 v144, v144, v159
	s_delay_alu instid0(VALU_DEP_1) | instskip(NEXT) | instid1(VALU_DEP_1)
	v_add_f32_e32 v144, v144, v161
	v_dual_add_f32 v24, v144, v24 :: v_dual_mul_f32 v11, v3, v11
	s_delay_alu instid0(VALU_DEP_1) | instskip(NEXT) | instid1(VALU_DEP_2)
	v_add_f32_e32 v24, v24, v140
	v_fma_f32 v141, v2, v10, -v11
	s_wait_loadcnt_dscnt 0x100
	v_mul_f32_e32 v140, v138, v132
	v_fma_f32 v142, v4, v12, -v13
	s_clause 0x1
	scratch_load_b128 v[2:5], off, off offset:368
	scratch_load_b128 v[10:13], off, off offset:384
	v_fmac_f32_e32 v140, v139, v131
	s_wait_loadcnt 0x2
	v_mul_f32_e32 v147, v134, v15
	s_delay_alu instid0(VALU_DEP_1)
	v_fmac_f32_e32 v147, v135, v14
	s_wait_loadcnt 0x1
	v_mul_f32_e32 v145, v6, v3
	v_dual_mul_f32 v3, v7, v3 :: v_dual_mul_f32 v146, v8, v5
	v_mul_f32_e32 v5, v9, v5
	s_wait_loadcnt 0x0
	s_delay_alu instid0(VALU_DEP_3) | instskip(NEXT) | instid1(VALU_DEP_3)
	v_dual_mul_f32 v144, v20, v13 :: v_dual_fmac_f32 v145, v7, v2
	v_fma_f32 v3, v6, v2, -v3
	v_mul_f32_e32 v6, v21, v13
	v_fmac_f32_e32 v146, v9, v4
	v_fma_f32 v2, v8, v4, -v5
	v_mul_f32_e32 v4, v19, v11
	v_fmac_f32_e32 v144, v21, v12
	v_fma_f32 v6, v20, v12, -v6
	v_add_f32_e32 v143, v143, v160
	v_add_f32_e32 v5, v24, v145
	v_fma_f32 v4, v18, v10, -v4
	s_delay_alu instid0(VALU_DEP_3) | instskip(NEXT) | instid1(VALU_DEP_1)
	v_add_f32_e32 v143, v143, v162
	v_add_f32_e32 v141, v143, v141
	v_mul_f32_e32 v143, v18, v11
	s_delay_alu instid0(VALU_DEP_2) | instskip(NEXT) | instid1(VALU_DEP_2)
	v_add_f32_e32 v141, v141, v142
	v_dual_fmac_f32 v143, v19, v10 :: v_dual_mul_f32 v142, v136, v17
	s_delay_alu instid0(VALU_DEP_2) | instskip(NEXT) | instid1(VALU_DEP_2)
	v_add_f32_e32 v3, v141, v3
	v_fmac_f32_e32 v142, v137, v16
	s_delay_alu instid0(VALU_DEP_2) | instskip(SKIP_1) | instid1(VALU_DEP_2)
	v_add_f32_e32 v2, v3, v2
	v_add_f32_e32 v3, v5, v146
	v_dual_mul_f32 v5, v135, v15 :: v_dual_add_f32 v2, v2, v4
	s_delay_alu instid0(VALU_DEP_2) | instskip(NEXT) | instid1(VALU_DEP_2)
	v_dual_add_f32 v3, v3, v143 :: v_dual_mul_f32 v4, v137, v17
	v_fma_f32 v5, v134, v14, -v5
	s_delay_alu instid0(VALU_DEP_2) | instskip(SKIP_1) | instid1(VALU_DEP_4)
	v_dual_add_f32 v2, v2, v6 :: v_dual_add_f32 v3, v3, v144
	v_mul_f32_e32 v6, v139, v132
	v_fma_f32 v4, v136, v16, -v4
	s_delay_alu instid0(VALU_DEP_3) | instskip(NEXT) | instid1(VALU_DEP_3)
	v_dual_add_f32 v2, v2, v5 :: v_dual_add_f32 v3, v3, v147
	v_fma_f32 v5, v138, v131, -v6
	s_delay_alu instid0(VALU_DEP_2) | instskip(NEXT) | instid1(VALU_DEP_1)
	v_dual_add_f32 v2, v2, v4 :: v_dual_add_f32 v3, v3, v142
	v_dual_add_f32 v2, v2, v5 :: v_dual_add_f32 v3, v3, v140
	s_delay_alu instid0(VALU_DEP_1)
	v_dual_sub_f32 v2, v22, v2 :: v_dual_sub_f32 v3, v23, v3
	scratch_store_b64 off, v[2:3], off offset:184
	v_cmpx_lt_u32_e32 22, v0
	s_cbranch_execz .LBB116_287
; %bb.286:
	scratch_load_b64 v[3:4], off, off offset:176
	v_mov_b32_e32 v2, v1
	scratch_store_b64 off, v[1:2], off offset:176
	s_wait_loadcnt 0x0
	ds_store_b64 v133, v[3:4]
.LBB116_287:
	s_wait_alu 0xfffe
	s_or_b32 exec_lo, exec_lo, s0
	s_wait_storecnt_dscnt 0x0
	s_barrier_signal -1
	s_barrier_wait -1
	global_inv scope:SCOPE_SE
	s_clause 0x4
	scratch_load_b128 v[2:5], off, off offset:184
	scratch_load_b128 v[6:9], off, off offset:200
	;; [unrolled: 1-line block ×5, first 2 shown]
	ds_load_2addr_b64 v[134:137], v1 offset0:77 offset1:78
	ds_load_2addr_b64 v[138:141], v1 offset0:79 offset1:80
	;; [unrolled: 1-line block ×3, first 2 shown]
	scratch_load_b64 v[22:23], off, off offset:176
	s_mov_b32 s0, exec_lo
	s_wait_loadcnt_dscnt 0x502
	v_mul_f32_e32 v24, v135, v3
	v_dual_mul_f32 v131, v134, v3 :: v_dual_mul_f32 v132, v136, v5
	v_mul_f32_e32 v3, v137, v5
	s_wait_loadcnt_dscnt 0x300
	v_mul_f32_e32 v146, v144, v13
	v_fma_f32 v24, v134, v2, -v24
	v_dual_fmac_f32 v131, v135, v2 :: v_dual_fmac_f32 v132, v137, v4
	v_fma_f32 v134, v136, v4, -v3
	ds_load_2addr_b64 v[2:5], v1 offset0:83 offset1:84
	v_dual_mul_f32 v135, v138, v7 :: v_dual_mul_f32 v136, v140, v9
	v_mul_f32_e32 v7, v139, v7
	v_mul_f32_e32 v9, v141, v9
	v_mul_f32_e32 v137, v142, v11
	v_dual_mul_f32 v11, v143, v11 :: v_dual_fmac_f32 v146, v145, v12
	v_mul_f32_e32 v13, v145, v13
	v_fmac_f32_e32 v135, v139, v6
	v_fma_f32 v138, v138, v6, -v7
	v_fmac_f32_e32 v136, v141, v8
	v_fma_f32 v139, v140, v8, -v9
	scratch_load_b128 v[6:9], off, off offset:264
	v_fmac_f32_e32 v137, v143, v10
	v_fma_f32 v140, v142, v10, -v11
	v_fma_f32 v141, v144, v12, -v13
	ds_load_2addr_b64 v[10:13], v1 offset0:85 offset1:86
	s_wait_loadcnt_dscnt 0x301
	v_mul_f32_e32 v142, v2, v15
	v_mul_f32_e32 v15, v3, v15
	;; [unrolled: 1-line block ×3, first 2 shown]
	s_delay_alu instid0(VALU_DEP_3) | instskip(NEXT) | instid1(VALU_DEP_3)
	v_dual_mul_f32 v17, v5, v17 :: v_dual_fmac_f32 v142, v3, v14
	v_fma_f32 v14, v2, v14, -v15
	s_delay_alu instid0(VALU_DEP_3) | instskip(NEXT) | instid1(VALU_DEP_3)
	v_fmac_f32_e32 v143, v5, v16
	v_fma_f32 v15, v4, v16, -v17
	ds_load_2addr_b64 v[2:5], v1 offset0:87 offset1:88
	s_wait_loadcnt_dscnt 0x201
	v_mul_f32_e32 v16, v10, v19
	v_mul_f32_e32 v17, v11, v19
	;; [unrolled: 1-line block ×3, first 2 shown]
	s_delay_alu instid0(VALU_DEP_3) | instskip(NEXT) | instid1(VALU_DEP_3)
	v_dual_mul_f32 v21, v13, v21 :: v_dual_fmac_f32 v16, v11, v18
	v_fma_f32 v17, v10, v18, -v17
	s_delay_alu instid0(VALU_DEP_3) | instskip(NEXT) | instid1(VALU_DEP_3)
	v_fmac_f32_e32 v19, v13, v20
	v_fma_f32 v18, v12, v20, -v21
	scratch_load_b128 v[10:13], off, off offset:280
	s_wait_loadcnt_dscnt 0x100
	v_mul_f32_e32 v20, v2, v7
	v_mul_f32_e32 v7, v3, v7
	;; [unrolled: 1-line block ×3, first 2 shown]
	s_delay_alu instid0(VALU_DEP_3) | instskip(NEXT) | instid1(VALU_DEP_3)
	v_dual_mul_f32 v9, v5, v9 :: v_dual_fmac_f32 v20, v3, v6
	v_fma_f32 v144, v2, v6, -v7
	s_delay_alu instid0(VALU_DEP_3) | instskip(NEXT) | instid1(VALU_DEP_3)
	v_fmac_f32_e32 v21, v5, v8
	v_fma_f32 v145, v4, v8, -v9
	ds_load_2addr_b64 v[2:5], v1 offset0:89 offset1:90
	ds_load_2addr_b64 v[6:9], v1 offset0:91 offset1:92
	s_wait_loadcnt_dscnt 0x1
	v_mul_f32_e32 v147, v2, v11
	v_dual_mul_f32 v11, v3, v11 :: v_dual_mul_f32 v148, v4, v13
	s_delay_alu instid0(VALU_DEP_2) | instskip(NEXT) | instid1(VALU_DEP_2)
	v_fmac_f32_e32 v147, v3, v10
	v_fma_f32 v149, v2, v10, -v11
	v_mul_f32_e32 v2, v5, v13
	s_delay_alu instid0(VALU_DEP_4) | instskip(NEXT) | instid1(VALU_DEP_2)
	v_fmac_f32_e32 v148, v5, v12
	v_fma_f32 v150, v4, v12, -v2
	s_clause 0x1
	scratch_load_b128 v[2:5], off, off offset:296
	scratch_load_b128 v[10:13], off, off offset:312
	s_wait_loadcnt_dscnt 0x100
	v_mul_f32_e32 v151, v6, v3
	v_mul_f32_e32 v3, v7, v3
	;; [unrolled: 1-line block ×3, first 2 shown]
	s_delay_alu instid0(VALU_DEP_3) | instskip(NEXT) | instid1(VALU_DEP_3)
	v_fmac_f32_e32 v151, v7, v2
	v_fma_f32 v152, v6, v2, -v3
	v_mul_f32_e32 v2, v9, v5
	s_delay_alu instid0(VALU_DEP_4) | instskip(NEXT) | instid1(VALU_DEP_2)
	v_fmac_f32_e32 v153, v9, v4
	v_fma_f32 v154, v8, v4, -v2
	ds_load_2addr_b64 v[2:5], v1 offset0:93 offset1:94
	ds_load_2addr_b64 v[6:9], v1 offset0:95 offset1:96
	s_wait_loadcnt_dscnt 0x1
	v_mul_f32_e32 v155, v2, v11
	v_mul_f32_e32 v157, v4, v13
	s_delay_alu instid0(VALU_DEP_2) | instskip(SKIP_1) | instid1(VALU_DEP_3)
	v_fmac_f32_e32 v155, v3, v10
	v_mul_f32_e32 v3, v3, v11
	v_fmac_f32_e32 v157, v5, v12
	s_delay_alu instid0(VALU_DEP_2) | instskip(SKIP_1) | instid1(VALU_DEP_1)
	v_fma_f32 v156, v2, v10, -v3
	v_mul_f32_e32 v2, v5, v13
	v_fma_f32 v158, v4, v12, -v2
	s_clause 0x1
	scratch_load_b128 v[2:5], off, off offset:328
	scratch_load_b128 v[10:13], off, off offset:344
	s_wait_loadcnt_dscnt 0x100
	v_mul_f32_e32 v159, v6, v3
	v_mul_f32_e32 v3, v7, v3
	s_delay_alu instid0(VALU_DEP_2) | instskip(NEXT) | instid1(VALU_DEP_2)
	v_fmac_f32_e32 v159, v7, v2
	v_fma_f32 v160, v6, v2, -v3
	v_dual_mul_f32 v2, v9, v5 :: v_dual_add_f32 v3, 0, v131
	s_delay_alu instid0(VALU_DEP_1) | instskip(SKIP_1) | instid1(VALU_DEP_1)
	v_fma_f32 v162, v8, v4, -v2
	v_add_f32_e32 v2, 0, v24
	v_dual_add_f32 v3, v3, v132 :: v_dual_add_f32 v2, v2, v134
	s_delay_alu instid0(VALU_DEP_1) | instskip(NEXT) | instid1(VALU_DEP_1)
	v_dual_add_f32 v3, v3, v135 :: v_dual_add_f32 v2, v2, v138
	v_dual_add_f32 v3, v3, v136 :: v_dual_add_f32 v2, v2, v139
	s_delay_alu instid0(VALU_DEP_1) | instskip(NEXT) | instid1(VALU_DEP_1)
	v_dual_add_f32 v3, v3, v137 :: v_dual_add_f32 v2, v2, v140
	v_add_f32_e32 v6, v3, v146
	s_delay_alu instid0(VALU_DEP_2) | instskip(NEXT) | instid1(VALU_DEP_1)
	v_add_f32_e32 v2, v2, v141
	v_add_f32_e32 v7, v2, v14
	s_delay_alu instid0(VALU_DEP_1) | instskip(NEXT) | instid1(VALU_DEP_1)
	v_dual_add_f32 v14, v6, v142 :: v_dual_add_f32 v15, v7, v15
	v_dual_add_f32 v14, v14, v143 :: v_dual_add_f32 v15, v15, v17
	s_delay_alu instid0(VALU_DEP_1) | instskip(NEXT) | instid1(VALU_DEP_1)
	v_add_f32_e32 v14, v14, v16
	v_dual_add_f32 v18, v15, v18 :: v_dual_add_f32 v19, v14, v19
	ds_load_2addr_b64 v[14:17], v1 offset0:99 offset1:100
	v_add_f32_e32 v18, v18, v144
	s_delay_alu instid0(VALU_DEP_1) | instskip(NEXT) | instid1(VALU_DEP_1)
	v_dual_add_f32 v19, v19, v20 :: v_dual_add_f32 v18, v18, v145
	v_add_f32_e32 v19, v19, v21
	s_delay_alu instid0(VALU_DEP_2) | instskip(NEXT) | instid1(VALU_DEP_1)
	v_add_f32_e32 v18, v18, v149
	v_dual_add_f32 v134, v19, v147 :: v_dual_add_f32 v135, v18, v150
	s_delay_alu instid0(VALU_DEP_1)
	v_dual_add_f32 v134, v134, v148 :: v_dual_mul_f32 v161, v8, v5
	scratch_load_b128 v[18:21], off, off offset:408
	v_dual_add_f32 v135, v135, v152 :: v_dual_add_f32 v134, v134, v151
	v_fmac_f32_e32 v161, v9, v4
	scratch_load_b128 v[6:9], off, off offset:360
	ds_load_2addr_b64 v[2:5], v1 offset0:97 offset1:98
	s_wait_loadcnt_dscnt 0x200
	v_dual_add_f32 v135, v135, v154 :: v_dual_mul_f32 v24, v2, v11
	v_mul_f32_e32 v11, v3, v11
	v_mul_f32_e32 v131, v4, v13
	s_delay_alu instid0(VALU_DEP_3) | instskip(NEXT) | instid1(VALU_DEP_3)
	v_dual_mul_f32 v13, v5, v13 :: v_dual_fmac_f32 v24, v3, v10
	v_fma_f32 v132, v2, v10, -v11
	s_delay_alu instid0(VALU_DEP_3) | instskip(NEXT) | instid1(VALU_DEP_3)
	v_fmac_f32_e32 v131, v5, v12
	v_fma_f32 v138, v4, v12, -v13
	s_clause 0x1
	scratch_load_b128 v[2:5], off, off offset:376
	scratch_load_b128 v[10:13], off, off offset:392
	s_wait_loadcnt 0x2
	v_mul_f32_e32 v139, v14, v7
	v_dual_mul_f32 v7, v15, v7 :: v_dual_mul_f32 v140, v16, v9
	v_mul_f32_e32 v9, v17, v9
	s_delay_alu instid0(VALU_DEP_3) | instskip(NEXT) | instid1(VALU_DEP_3)
	v_fmac_f32_e32 v139, v15, v6
	v_fma_f32 v141, v14, v6, -v7
	v_add_f32_e32 v14, v134, v153
	v_add_f32_e32 v134, v135, v156
	v_fmac_f32_e32 v140, v17, v8
	v_fma_f32 v142, v16, v8, -v9
	ds_load_2addr_b64 v[6:9], v1 offset0:101 offset1:102
	v_add_f32_e32 v135, v14, v155
	v_add_f32_e32 v143, v134, v158
	ds_load_2addr_b64 v[14:17], v1 offset0:103 offset1:104
	v_add_f32_e32 v144, v135, v157
	ds_load_2addr_b64 v[134:137], v1 offset0:105 offset1:106
	v_add_f32_e32 v1, v143, v160
	v_add_f32_e32 v143, v144, v159
	s_delay_alu instid0(VALU_DEP_2) | instskip(NEXT) | instid1(VALU_DEP_2)
	v_add_f32_e32 v1, v1, v162
	v_add_f32_e32 v143, v143, v161
	s_wait_loadcnt_dscnt 0x102
	s_delay_alu instid0(VALU_DEP_2) | instskip(SKIP_1) | instid1(VALU_DEP_2)
	v_dual_add_f32 v1, v1, v132 :: v_dual_mul_f32 v144, v6, v3
	v_dual_mul_f32 v3, v7, v3 :: v_dual_mul_f32 v132, v8, v5
	v_add_f32_e32 v1, v1, v138
	v_dual_mul_f32 v5, v9, v5 :: v_dual_add_f32 v24, v143, v24
	s_delay_alu instid0(VALU_DEP_3) | instskip(NEXT) | instid1(VALU_DEP_4)
	v_fma_f32 v3, v6, v2, -v3
	v_fmac_f32_e32 v132, v9, v4
	s_delay_alu instid0(VALU_DEP_4) | instskip(NEXT) | instid1(VALU_DEP_4)
	v_add_f32_e32 v1, v1, v141
	v_fma_f32 v4, v8, v4, -v5
	s_wait_loadcnt_dscnt 0x1
	v_dual_fmac_f32 v144, v7, v2 :: v_dual_mul_f32 v143, v14, v11
	s_delay_alu instid0(VALU_DEP_3) | instskip(SKIP_2) | instid1(VALU_DEP_3)
	v_dual_mul_f32 v6, v15, v11 :: v_dual_add_f32 v1, v1, v142
	v_mul_f32_e32 v145, v16, v13
	s_wait_dscnt 0x0
	v_dual_mul_f32 v138, v136, v21 :: v_dual_fmac_f32 v143, v15, v10
	s_delay_alu instid0(VALU_DEP_3) | instskip(SKIP_4) | instid1(VALU_DEP_4)
	v_fma_f32 v5, v14, v10, -v6
	v_add_f32_e32 v1, v1, v3
	v_mul_f32_e32 v3, v17, v13
	v_fmac_f32_e32 v145, v17, v12
	v_fmac_f32_e32 v138, v137, v20
	v_dual_add_f32 v1, v1, v4 :: v_dual_mul_f32 v4, v135, v19
	v_add_f32_e32 v24, v24, v131
	v_mul_f32_e32 v131, v134, v19
	v_fma_f32 v3, v16, v12, -v3
	s_delay_alu instid0(VALU_DEP_4) | instskip(NEXT) | instid1(VALU_DEP_4)
	v_add_f32_e32 v1, v1, v5
	v_dual_mul_f32 v5, v137, v21 :: v_dual_add_f32 v24, v24, v139
	s_delay_alu instid0(VALU_DEP_4) | instskip(SKIP_1) | instid1(VALU_DEP_4)
	v_fmac_f32_e32 v131, v135, v18
	v_fma_f32 v4, v134, v18, -v4
	v_add_f32_e32 v1, v1, v3
	s_delay_alu instid0(VALU_DEP_4) | instskip(SKIP_1) | instid1(VALU_DEP_3)
	v_fma_f32 v3, v136, v20, -v5
	v_add_f32_e32 v2, v24, v140
	v_add_f32_e32 v1, v1, v4
	s_delay_alu instid0(VALU_DEP_1) | instskip(NEXT) | instid1(VALU_DEP_1)
	v_dual_add_f32 v2, v2, v144 :: v_dual_add_f32 v1, v1, v3
	v_add_f32_e32 v2, v2, v132
	s_delay_alu instid0(VALU_DEP_2) | instskip(NEXT) | instid1(VALU_DEP_2)
	v_sub_f32_e32 v1, v22, v1
	v_add_f32_e32 v2, v2, v143
	s_delay_alu instid0(VALU_DEP_1) | instskip(NEXT) | instid1(VALU_DEP_1)
	v_add_f32_e32 v2, v2, v145
	v_add_f32_e32 v2, v2, v131
	s_delay_alu instid0(VALU_DEP_1) | instskip(NEXT) | instid1(VALU_DEP_1)
	v_add_f32_e32 v2, v2, v138
	v_sub_f32_e32 v2, v23, v2
	scratch_store_b64 off, v[1:2], off offset:176
	v_cmpx_lt_u32_e32 21, v0
	s_cbranch_execz .LBB116_289
; %bb.288:
	scratch_load_b64 v[1:2], off, off offset:168
	v_mov_b32_e32 v3, 0
	s_delay_alu instid0(VALU_DEP_1)
	v_mov_b32_e32 v4, v3
	scratch_store_b64 off, v[3:4], off offset:168
	s_wait_loadcnt 0x0
	ds_store_b64 v133, v[1:2]
.LBB116_289:
	s_wait_alu 0xfffe
	s_or_b32 exec_lo, exec_lo, s0
	s_wait_storecnt_dscnt 0x0
	s_barrier_signal -1
	s_barrier_wait -1
	global_inv scope:SCOPE_SE
	s_clause 0x4
	scratch_load_b128 v[5:8], off, off offset:176
	scratch_load_b128 v[1:4], off, off offset:192
	;; [unrolled: 1-line block ×5, first 2 shown]
	v_mov_b32_e32 v21, 0
	ds_load_b128 v[134:137], v21 offset:608
	ds_load_b128 v[138:141], v21 offset:624
	ds_load_b128 v[142:145], v21 offset:640
	scratch_load_b64 v[22:23], off, off offset:168
	s_mov_b32 s0, exec_lo
	s_wait_loadcnt_dscnt 0x502
	v_mul_f32_e32 v24, v135, v6
	v_dual_mul_f32 v131, v134, v6 :: v_dual_mul_f32 v132, v136, v8
	v_mul_f32_e32 v6, v137, v8
	s_delay_alu instid0(VALU_DEP_3) | instskip(NEXT) | instid1(VALU_DEP_3)
	v_fma_f32 v24, v134, v5, -v24
	v_dual_fmac_f32 v131, v135, v5 :: v_dual_fmac_f32 v132, v137, v7
	s_wait_loadcnt_dscnt 0x401
	v_mul_f32_e32 v135, v138, v2
	v_fma_f32 v134, v136, v7, -v6
	ds_load_b128 v[5:8], v21 offset:656
	s_wait_loadcnt_dscnt 0x301
	v_dual_mul_f32 v136, v140, v4 :: v_dual_mul_f32 v137, v142, v10
	v_dual_mul_f32 v4, v141, v4 :: v_dual_fmac_f32 v135, v139, v1
	v_mul_f32_e32 v10, v143, v10
	s_delay_alu instid0(VALU_DEP_3)
	v_dual_mul_f32 v146, v144, v12 :: v_dual_fmac_f32 v137, v143, v9
	v_mul_f32_e32 v12, v145, v12
	v_mul_f32_e32 v2, v139, v2
	v_fmac_f32_e32 v136, v141, v3
	v_fma_f32 v139, v140, v3, -v4
	v_fma_f32 v140, v142, v9, -v10
	v_fmac_f32_e32 v146, v145, v11
	v_fma_f32 v141, v144, v11, -v12
	ds_load_b128 v[9:12], v21 offset:672
	s_wait_loadcnt_dscnt 0x201
	v_dual_mul_f32 v143, v7, v16 :: v_dual_mul_f32 v142, v5, v14
	v_mul_f32_e32 v14, v6, v14
	v_mul_f32_e32 v16, v8, v16
	s_delay_alu instid0(VALU_DEP_3)
	v_fmac_f32_e32 v143, v8, v15
	v_fma_f32 v138, v138, v1, -v2
	scratch_load_b128 v[1:4], off, off offset:256
	v_fmac_f32_e32 v142, v6, v13
	v_fma_f32 v13, v5, v13, -v14
	v_fma_f32 v14, v7, v15, -v16
	ds_load_b128 v[5:8], v21 offset:688
	s_wait_loadcnt_dscnt 0x201
	v_mul_f32_e32 v15, v9, v18
	v_mul_f32_e32 v16, v10, v18
	;; [unrolled: 1-line block ×3, first 2 shown]
	s_delay_alu instid0(VALU_DEP_3) | instskip(NEXT) | instid1(VALU_DEP_3)
	v_dual_mul_f32 v20, v12, v20 :: v_dual_fmac_f32 v15, v10, v17
	v_fma_f32 v16, v9, v17, -v16
	s_delay_alu instid0(VALU_DEP_3) | instskip(NEXT) | instid1(VALU_DEP_3)
	v_fmac_f32_e32 v18, v12, v19
	v_fma_f32 v17, v11, v19, -v20
	scratch_load_b128 v[9:12], off, off offset:272
	s_wait_loadcnt_dscnt 0x100
	v_mul_f32_e32 v19, v5, v2
	v_mul_f32_e32 v2, v6, v2
	;; [unrolled: 1-line block ×3, first 2 shown]
	s_delay_alu instid0(VALU_DEP_3) | instskip(NEXT) | instid1(VALU_DEP_3)
	v_dual_mul_f32 v4, v8, v4 :: v_dual_fmac_f32 v19, v6, v1
	v_fma_f32 v144, v5, v1, -v2
	s_delay_alu instid0(VALU_DEP_3) | instskip(NEXT) | instid1(VALU_DEP_3)
	v_fmac_f32_e32 v20, v8, v3
	v_fma_f32 v145, v7, v3, -v4
	ds_load_b128 v[1:4], v21 offset:704
	ds_load_b128 v[5:8], v21 offset:720
	s_wait_loadcnt_dscnt 0x1
	v_mul_f32_e32 v147, v1, v10
	v_mul_f32_e32 v10, v2, v10
	s_delay_alu instid0(VALU_DEP_2) | instskip(NEXT) | instid1(VALU_DEP_2)
	v_dual_mul_f32 v148, v3, v12 :: v_dual_fmac_f32 v147, v2, v9
	v_fma_f32 v149, v1, v9, -v10
	v_mul_f32_e32 v1, v4, v12
	s_delay_alu instid0(VALU_DEP_3) | instskip(NEXT) | instid1(VALU_DEP_2)
	v_fmac_f32_e32 v148, v4, v11
	v_fma_f32 v150, v3, v11, -v1
	s_clause 0x1
	scratch_load_b128 v[1:4], off, off offset:288
	scratch_load_b128 v[9:12], off, off offset:304
	s_wait_loadcnt_dscnt 0x100
	v_mul_f32_e32 v151, v5, v2
	v_dual_mul_f32 v2, v6, v2 :: v_dual_mul_f32 v153, v7, v4
	s_delay_alu instid0(VALU_DEP_2) | instskip(NEXT) | instid1(VALU_DEP_2)
	v_fmac_f32_e32 v151, v6, v1
	v_fma_f32 v152, v5, v1, -v2
	v_mul_f32_e32 v1, v8, v4
	s_delay_alu instid0(VALU_DEP_4) | instskip(NEXT) | instid1(VALU_DEP_2)
	v_fmac_f32_e32 v153, v8, v3
	v_fma_f32 v154, v7, v3, -v1
	ds_load_b128 v[1:4], v21 offset:736
	ds_load_b128 v[5:8], v21 offset:752
	s_wait_loadcnt_dscnt 0x1
	v_mul_f32_e32 v155, v1, v10
	v_mul_f32_e32 v157, v3, v12
	s_delay_alu instid0(VALU_DEP_2) | instskip(NEXT) | instid1(VALU_DEP_2)
	v_fmac_f32_e32 v155, v2, v9
	v_dual_mul_f32 v2, v2, v10 :: v_dual_fmac_f32 v157, v4, v11
	s_delay_alu instid0(VALU_DEP_1) | instskip(SKIP_1) | instid1(VALU_DEP_1)
	v_fma_f32 v156, v1, v9, -v2
	v_mul_f32_e32 v1, v4, v12
	v_fma_f32 v158, v3, v11, -v1
	s_clause 0x1
	scratch_load_b128 v[1:4], off, off offset:320
	scratch_load_b128 v[9:12], off, off offset:336
	s_wait_loadcnt_dscnt 0x100
	v_mul_f32_e32 v159, v5, v2
	v_dual_mul_f32 v161, v7, v4 :: v_dual_mul_f32 v2, v6, v2
	s_delay_alu instid0(VALU_DEP_2) | instskip(NEXT) | instid1(VALU_DEP_2)
	v_fmac_f32_e32 v159, v6, v1
	v_fmac_f32_e32 v161, v8, v3
	s_delay_alu instid0(VALU_DEP_3) | instskip(SKIP_1) | instid1(VALU_DEP_1)
	v_fma_f32 v160, v5, v1, -v2
	v_dual_mul_f32 v1, v8, v4 :: v_dual_add_f32 v2, 0, v131
	v_fma_f32 v162, v7, v3, -v1
	s_delay_alu instid0(VALU_DEP_2) | instskip(NEXT) | instid1(VALU_DEP_1)
	v_add_f32_e32 v2, v2, v132
	v_dual_add_f32 v1, 0, v24 :: v_dual_add_f32 v2, v2, v135
	s_delay_alu instid0(VALU_DEP_1) | instskip(NEXT) | instid1(VALU_DEP_1)
	v_dual_add_f32 v1, v1, v134 :: v_dual_add_f32 v2, v2, v136
	v_dual_add_f32 v1, v1, v138 :: v_dual_add_f32 v2, v2, v137
	s_delay_alu instid0(VALU_DEP_1) | instskip(NEXT) | instid1(VALU_DEP_1)
	v_add_f32_e32 v1, v1, v139
	v_add_f32_e32 v1, v1, v140
	s_delay_alu instid0(VALU_DEP_1) | instskip(NEXT) | instid1(VALU_DEP_1)
	v_add_f32_e32 v1, v1, v141
	v_dual_add_f32 v5, v2, v146 :: v_dual_add_f32 v6, v1, v13
	scratch_load_b128 v[1:4], off, off offset:352
	v_add_f32_e32 v13, v5, v142
	v_add_f32_e32 v14, v6, v14
	ds_load_b128 v[5:8], v21 offset:768
	v_dual_add_f32 v13, v13, v143 :: v_dual_add_f32 v14, v14, v16
	s_delay_alu instid0(VALU_DEP_1) | instskip(NEXT) | instid1(VALU_DEP_1)
	v_add_f32_e32 v13, v13, v15
	v_dual_add_f32 v17, v14, v17 :: v_dual_add_f32 v18, v13, v18
	ds_load_b128 v[13:16], v21 offset:784
	v_add_f32_e32 v18, v18, v19
	s_wait_loadcnt_dscnt 0x101
	v_mul_f32_e32 v140, v7, v12
	s_delay_alu instid0(VALU_DEP_2) | instskip(SKIP_2) | instid1(VALU_DEP_3)
	v_add_f32_e32 v18, v18, v20
	v_mul_f32_e32 v24, v5, v10
	v_mul_f32_e32 v10, v6, v10
	v_dual_mul_f32 v12, v8, v12 :: v_dual_add_f32 v131, v18, v147
	s_delay_alu instid0(VALU_DEP_3) | instskip(NEXT) | instid1(VALU_DEP_3)
	v_dual_add_f32 v17, v17, v144 :: v_dual_fmac_f32 v24, v6, v9
	v_fma_f32 v141, v5, v9, -v10
	s_delay_alu instid0(VALU_DEP_3) | instskip(NEXT) | instid1(VALU_DEP_3)
	v_fma_f32 v142, v7, v11, -v12
	v_dual_add_f32 v17, v17, v145 :: v_dual_fmac_f32 v140, v8, v11
	s_clause 0x1
	scratch_load_b128 v[5:8], off, off offset:368
	scratch_load_b128 v[9:12], off, off offset:384
	v_dual_add_f32 v134, v131, v148 :: v_dual_add_f32 v17, v17, v149
	s_delay_alu instid0(VALU_DEP_1)
	v_add_f32_e32 v132, v17, v150
	scratch_load_b128 v[17:20], off, off offset:400
	s_wait_loadcnt_dscnt 0x300
	v_mul_f32_e32 v143, v13, v2
	v_dual_add_f32 v135, v132, v152 :: v_dual_add_f32 v134, v134, v151
	scratch_load_b64 v[131:132], off, off offset:416
	v_mul_f32_e32 v2, v14, v2
	v_dual_mul_f32 v144, v15, v4 :: v_dual_fmac_f32 v143, v14, v1
	v_dual_add_f32 v135, v135, v154 :: v_dual_mul_f32 v4, v16, v4
	s_delay_alu instid0(VALU_DEP_1) | instskip(NEXT) | instid1(VALU_DEP_2)
	v_add_f32_e32 v135, v135, v156
	v_fma_f32 v146, v15, v3, -v4
	s_delay_alu instid0(VALU_DEP_2) | instskip(NEXT) | instid1(VALU_DEP_1)
	v_add_f32_e32 v14, v135, v158
	v_add_f32_e32 v138, v14, v160
	s_delay_alu instid0(VALU_DEP_1) | instskip(NEXT) | instid1(VALU_DEP_1)
	v_dual_fmac_f32 v144, v16, v3 :: v_dual_add_f32 v147, v138, v162
	v_add_f32_e32 v141, v147, v141
	v_fma_f32 v145, v13, v1, -v2
	ds_load_b128 v[1:4], v21 offset:800
	v_dual_add_f32 v134, v134, v153 :: v_dual_add_f32 v141, v141, v142
	s_delay_alu instid0(VALU_DEP_1) | instskip(NEXT) | instid1(VALU_DEP_2)
	v_add_f32_e32 v13, v134, v155
	v_add_f32_e32 v141, v141, v145
	s_delay_alu instid0(VALU_DEP_2)
	v_add_f32_e32 v134, v13, v157
	ds_load_b128 v[13:16], v21 offset:816
	v_add_f32_e32 v141, v141, v146
	v_add_f32_e32 v139, v134, v159
	ds_load_b128 v[134:137], v21 offset:832
	s_wait_loadcnt_dscnt 0x302
	v_dual_mul_f32 v147, v1, v6 :: v_dual_add_f32 v148, v139, v161
	ds_load_b64 v[138:139], v21 offset:848
	v_mul_f32_e32 v6, v2, v6
	v_fmac_f32_e32 v147, v2, v5
	s_delay_alu instid0(VALU_DEP_2) | instskip(SKIP_2) | instid1(VALU_DEP_2)
	v_fma_f32 v1, v1, v5, -v6
	s_wait_loadcnt_dscnt 0x202
	v_dual_mul_f32 v142, v13, v10 :: v_dual_mul_f32 v5, v16, v12
	v_add_f32_e32 v1, v141, v1
	s_wait_loadcnt_dscnt 0x101
	v_dual_mul_f32 v145, v134, v18 :: v_dual_add_f32 v24, v148, v24
	s_delay_alu instid0(VALU_DEP_3) | instskip(SKIP_1) | instid1(VALU_DEP_3)
	v_fma_f32 v5, v15, v11, -v5
	v_fmac_f32_e32 v142, v14, v9
	v_dual_fmac_f32 v145, v135, v17 :: v_dual_add_f32 v24, v24, v140
	v_mul_f32_e32 v140, v3, v8
	v_mul_f32_e32 v8, v4, v8
	s_delay_alu instid0(VALU_DEP_1) | instskip(NEXT) | instid1(VALU_DEP_4)
	v_fma_f32 v2, v3, v7, -v8
	v_dual_add_f32 v24, v24, v143 :: v_dual_mul_f32 v3, v14, v10
	s_delay_alu instid0(VALU_DEP_4) | instskip(NEXT) | instid1(VALU_DEP_2)
	v_dual_fmac_f32 v140, v4, v7 :: v_dual_mul_f32 v143, v15, v12
	v_dual_add_f32 v1, v1, v2 :: v_dual_add_f32 v24, v24, v144
	s_delay_alu instid0(VALU_DEP_3) | instskip(SKIP_1) | instid1(VALU_DEP_4)
	v_fma_f32 v3, v13, v9, -v3
	v_mul_f32_e32 v146, v136, v20
	v_fmac_f32_e32 v143, v16, v11
	s_delay_alu instid0(VALU_DEP_3) | instskip(SKIP_1) | instid1(VALU_DEP_4)
	v_add_f32_e32 v1, v1, v3
	v_dual_add_f32 v4, v24, v147 :: v_dual_mul_f32 v3, v137, v20
	v_fmac_f32_e32 v146, v137, v19
	s_delay_alu instid0(VALU_DEP_3) | instskip(NEXT) | instid1(VALU_DEP_3)
	v_add_f32_e32 v1, v1, v5
	v_fma_f32 v3, v136, v19, -v3
	s_delay_alu instid0(VALU_DEP_4) | instskip(SKIP_1) | instid1(VALU_DEP_1)
	v_add_f32_e32 v2, v4, v140
	v_mul_f32_e32 v4, v135, v18
	v_fma_f32 v4, v134, v17, -v4
	s_delay_alu instid0(VALU_DEP_1) | instskip(NEXT) | instid1(VALU_DEP_1)
	v_add_f32_e32 v1, v1, v4
	v_add_f32_e32 v1, v1, v3
	s_wait_loadcnt_dscnt 0x0
	v_mul_f32_e32 v5, v139, v132
	v_mul_f32_e32 v144, v138, v132
	s_delay_alu instid0(VALU_DEP_2) | instskip(SKIP_1) | instid1(VALU_DEP_2)
	v_fma_f32 v4, v138, v131, -v5
	v_add_f32_e32 v2, v2, v142
	v_dual_fmac_f32 v144, v139, v131 :: v_dual_add_f32 v1, v1, v4
	s_delay_alu instid0(VALU_DEP_2) | instskip(NEXT) | instid1(VALU_DEP_2)
	v_add_f32_e32 v2, v2, v143
	v_sub_f32_e32 v1, v22, v1
	s_delay_alu instid0(VALU_DEP_2) | instskip(NEXT) | instid1(VALU_DEP_1)
	v_add_f32_e32 v2, v2, v145
	v_add_f32_e32 v2, v2, v146
	s_delay_alu instid0(VALU_DEP_1) | instskip(NEXT) | instid1(VALU_DEP_1)
	v_add_f32_e32 v2, v2, v144
	v_sub_f32_e32 v2, v23, v2
	scratch_store_b64 off, v[1:2], off offset:168
	v_cmpx_lt_u32_e32 20, v0
	s_cbranch_execz .LBB116_291
; %bb.290:
	scratch_load_b64 v[1:2], off, off offset:160
	v_mov_b32_e32 v22, v21
	scratch_store_b64 off, v[21:22], off offset:160
	s_wait_loadcnt 0x0
	ds_store_b64 v133, v[1:2]
.LBB116_291:
	s_wait_alu 0xfffe
	s_or_b32 exec_lo, exec_lo, s0
	s_wait_storecnt_dscnt 0x0
	s_barrier_signal -1
	s_barrier_wait -1
	global_inv scope:SCOPE_SE
	s_clause 0x4
	scratch_load_b128 v[5:8], off, off offset:168
	scratch_load_b128 v[1:4], off, off offset:184
	;; [unrolled: 1-line block ×5, first 2 shown]
	ds_load_2addr_b64 v[134:137], v21 offset0:75 offset1:76
	ds_load_2addr_b64 v[138:141], v21 offset0:77 offset1:78
	ds_load_2addr_b64 v[142:145], v21 offset0:79 offset1:80
	scratch_load_b64 v[131:132], off, off offset:160
	s_mov_b32 s0, exec_lo
	s_wait_loadcnt_dscnt 0x502
	v_mul_f32_e32 v22, v135, v6
	v_dual_mul_f32 v23, v134, v6 :: v_dual_mul_f32 v24, v136, v8
	v_mul_f32_e32 v6, v137, v8
	s_delay_alu instid0(VALU_DEP_3) | instskip(NEXT) | instid1(VALU_DEP_3)
	v_fma_f32 v22, v134, v5, -v22
	v_dual_fmac_f32 v23, v135, v5 :: v_dual_fmac_f32 v24, v137, v7
	s_wait_loadcnt_dscnt 0x401
	v_mul_f32_e32 v135, v138, v2
	v_fma_f32 v134, v136, v7, -v6
	ds_load_2addr_b64 v[5:8], v21 offset0:81 offset1:82
	s_wait_loadcnt_dscnt 0x301
	v_dual_mul_f32 v136, v140, v4 :: v_dual_mul_f32 v137, v142, v10
	v_dual_mul_f32 v4, v141, v4 :: v_dual_fmac_f32 v135, v139, v1
	v_mul_f32_e32 v10, v143, v10
	s_delay_alu instid0(VALU_DEP_3)
	v_dual_mul_f32 v146, v144, v12 :: v_dual_fmac_f32 v137, v143, v9
	v_mul_f32_e32 v12, v145, v12
	v_mul_f32_e32 v2, v139, v2
	v_fmac_f32_e32 v136, v141, v3
	v_fma_f32 v139, v140, v3, -v4
	v_fma_f32 v140, v142, v9, -v10
	v_fmac_f32_e32 v146, v145, v11
	v_fma_f32 v141, v144, v11, -v12
	ds_load_2addr_b64 v[9:12], v21 offset0:83 offset1:84
	s_wait_loadcnt_dscnt 0x201
	v_mul_f32_e32 v142, v5, v14
	v_dual_mul_f32 v14, v6, v14 :: v_dual_mul_f32 v143, v7, v16
	v_mul_f32_e32 v16, v8, v16
	s_delay_alu instid0(VALU_DEP_3) | instskip(NEXT) | instid1(VALU_DEP_3)
	v_fmac_f32_e32 v142, v6, v13
	v_fma_f32 v13, v5, v13, -v14
	s_delay_alu instid0(VALU_DEP_4) | instskip(NEXT) | instid1(VALU_DEP_4)
	v_fmac_f32_e32 v143, v8, v15
	v_fma_f32 v14, v7, v15, -v16
	ds_load_2addr_b64 v[5:8], v21 offset0:85 offset1:86
	s_wait_loadcnt_dscnt 0x101
	v_mul_f32_e32 v15, v9, v18
	v_mul_f32_e32 v16, v10, v18
	;; [unrolled: 1-line block ×3, first 2 shown]
	s_delay_alu instid0(VALU_DEP_3)
	v_dual_mul_f32 v20, v12, v20 :: v_dual_fmac_f32 v15, v10, v17
	v_fma_f32 v138, v138, v1, -v2
	scratch_load_b128 v[1:4], off, off offset:248
	v_fma_f32 v16, v9, v17, -v16
	v_fmac_f32_e32 v18, v12, v19
	v_fma_f32 v17, v11, v19, -v20
	scratch_load_b128 v[9:12], off, off offset:264
	s_wait_loadcnt_dscnt 0x100
	v_mul_f32_e32 v19, v5, v2
	v_mul_f32_e32 v2, v6, v2
	;; [unrolled: 1-line block ×3, first 2 shown]
	s_delay_alu instid0(VALU_DEP_3) | instskip(NEXT) | instid1(VALU_DEP_3)
	v_dual_mul_f32 v4, v8, v4 :: v_dual_fmac_f32 v19, v6, v1
	v_fma_f32 v144, v5, v1, -v2
	s_delay_alu instid0(VALU_DEP_3) | instskip(NEXT) | instid1(VALU_DEP_3)
	v_fmac_f32_e32 v20, v8, v3
	v_fma_f32 v145, v7, v3, -v4
	ds_load_2addr_b64 v[1:4], v21 offset0:87 offset1:88
	ds_load_2addr_b64 v[5:8], v21 offset0:89 offset1:90
	s_wait_loadcnt_dscnt 0x1
	v_mul_f32_e32 v147, v1, v10
	v_mul_f32_e32 v10, v2, v10
	s_delay_alu instid0(VALU_DEP_2) | instskip(NEXT) | instid1(VALU_DEP_2)
	v_dual_mul_f32 v148, v3, v12 :: v_dual_fmac_f32 v147, v2, v9
	v_fma_f32 v149, v1, v9, -v10
	v_mul_f32_e32 v1, v4, v12
	s_delay_alu instid0(VALU_DEP_3) | instskip(NEXT) | instid1(VALU_DEP_2)
	v_fmac_f32_e32 v148, v4, v11
	v_fma_f32 v150, v3, v11, -v1
	s_clause 0x1
	scratch_load_b128 v[1:4], off, off offset:280
	scratch_load_b128 v[9:12], off, off offset:296
	s_wait_loadcnt_dscnt 0x100
	v_mul_f32_e32 v151, v5, v2
	v_dual_mul_f32 v2, v6, v2 :: v_dual_mul_f32 v153, v7, v4
	s_delay_alu instid0(VALU_DEP_2) | instskip(NEXT) | instid1(VALU_DEP_2)
	v_fmac_f32_e32 v151, v6, v1
	v_fma_f32 v152, v5, v1, -v2
	v_mul_f32_e32 v1, v8, v4
	s_delay_alu instid0(VALU_DEP_4) | instskip(NEXT) | instid1(VALU_DEP_2)
	v_fmac_f32_e32 v153, v8, v3
	v_fma_f32 v154, v7, v3, -v1
	ds_load_2addr_b64 v[1:4], v21 offset0:91 offset1:92
	ds_load_2addr_b64 v[5:8], v21 offset0:93 offset1:94
	s_wait_loadcnt_dscnt 0x1
	v_mul_f32_e32 v155, v1, v10
	v_mul_f32_e32 v157, v3, v12
	s_delay_alu instid0(VALU_DEP_2) | instskip(NEXT) | instid1(VALU_DEP_2)
	v_fmac_f32_e32 v155, v2, v9
	v_dual_mul_f32 v2, v2, v10 :: v_dual_fmac_f32 v157, v4, v11
	s_delay_alu instid0(VALU_DEP_1) | instskip(SKIP_1) | instid1(VALU_DEP_1)
	v_fma_f32 v156, v1, v9, -v2
	v_mul_f32_e32 v1, v4, v12
	v_fma_f32 v158, v3, v11, -v1
	s_clause 0x1
	scratch_load_b128 v[1:4], off, off offset:312
	scratch_load_b128 v[9:12], off, off offset:328
	s_wait_loadcnt_dscnt 0x100
	v_mul_f32_e32 v159, v5, v2
	v_dual_mul_f32 v2, v6, v2 :: v_dual_mul_f32 v161, v7, v4
	s_delay_alu instid0(VALU_DEP_2) | instskip(NEXT) | instid1(VALU_DEP_2)
	v_fmac_f32_e32 v159, v6, v1
	v_fma_f32 v160, v5, v1, -v2
	v_mul_f32_e32 v1, v8, v4
	s_delay_alu instid0(VALU_DEP_4) | instskip(NEXT) | instid1(VALU_DEP_2)
	v_fmac_f32_e32 v161, v8, v3
	v_fma_f32 v162, v7, v3, -v1
	ds_load_2addr_b64 v[1:4], v21 offset0:95 offset1:96
	ds_load_2addr_b64 v[5:8], v21 offset0:97 offset1:98
	s_wait_loadcnt_dscnt 0x1
	v_mul_f32_e32 v163, v1, v10
	v_mul_f32_e32 v165, v3, v12
	s_delay_alu instid0(VALU_DEP_2) | instskip(NEXT) | instid1(VALU_DEP_2)
	v_fmac_f32_e32 v163, v2, v9
	v_dual_mul_f32 v2, v2, v10 :: v_dual_fmac_f32 v165, v4, v11
	s_delay_alu instid0(VALU_DEP_1) | instskip(SKIP_1) | instid1(VALU_DEP_1)
	v_fma_f32 v164, v1, v9, -v2
	v_mul_f32_e32 v1, v4, v12
	v_fma_f32 v166, v3, v11, -v1
	s_clause 0x1
	scratch_load_b128 v[1:4], off, off offset:344
	scratch_load_b128 v[9:12], off, off offset:360
	s_wait_loadcnt_dscnt 0x100
	v_mul_f32_e32 v167, v5, v2
	v_mul_f32_e32 v2, v6, v2
	s_delay_alu instid0(VALU_DEP_1) | instskip(SKIP_1) | instid1(VALU_DEP_1)
	v_fma_f32 v168, v5, v1, -v2
	v_add_f32_e32 v2, 0, v23
	v_add_f32_e32 v2, v2, v24
	v_fmac_f32_e32 v167, v6, v1
	s_delay_alu instid0(VALU_DEP_2) | instskip(NEXT) | instid1(VALU_DEP_1)
	v_add_f32_e32 v2, v2, v135
	v_add_f32_e32 v2, v2, v136
	s_delay_alu instid0(VALU_DEP_1) | instskip(NEXT) | instid1(VALU_DEP_1)
	v_dual_mul_f32 v169, v7, v4 :: v_dual_add_f32 v2, v2, v137
	v_dual_fmac_f32 v169, v8, v3 :: v_dual_add_f32 v2, v2, v146
	s_delay_alu instid0(VALU_DEP_1) | instskip(NEXT) | instid1(VALU_DEP_1)
	v_dual_mul_f32 v1, v8, v4 :: v_dual_add_f32 v2, v2, v142
	v_fma_f32 v170, v7, v3, -v1
	s_delay_alu instid0(VALU_DEP_2) | instskip(NEXT) | instid1(VALU_DEP_1)
	v_dual_add_f32 v1, 0, v22 :: v_dual_add_f32 v2, v2, v143
	v_add_f32_e32 v1, v1, v134
	s_delay_alu instid0(VALU_DEP_2) | instskip(NEXT) | instid1(VALU_DEP_2)
	v_add_f32_e32 v5, v2, v15
	v_add_f32_e32 v1, v1, v138
	s_delay_alu instid0(VALU_DEP_2) | instskip(NEXT) | instid1(VALU_DEP_2)
	v_add_f32_e32 v5, v5, v18
	;; [unrolled: 3-line block ×3, first 2 shown]
	v_add_f32_e32 v1, v1, v140
	s_delay_alu instid0(VALU_DEP_1) | instskip(NEXT) | instid1(VALU_DEP_1)
	v_add_f32_e32 v1, v1, v141
	v_add_f32_e32 v1, v1, v13
	s_delay_alu instid0(VALU_DEP_1) | instskip(SKIP_1) | instid1(VALU_DEP_1)
	v_add_f32_e32 v1, v1, v14
	v_add_f32_e32 v14, v5, v20
	;; [unrolled: 1-line block ×3, first 2 shown]
	s_delay_alu instid0(VALU_DEP_1) | instskip(NEXT) | instid1(VALU_DEP_4)
	v_add_f32_e32 v14, v14, v148
	v_add_f32_e32 v1, v1, v16
	s_delay_alu instid0(VALU_DEP_1) | instskip(SKIP_3) | instid1(VALU_DEP_1)
	v_add_f32_e32 v6, v1, v17
	ds_load_2addr_b64 v[1:4], v21 offset0:99 offset1:100
	v_add_f32_e32 v17, v14, v151
	v_add_f32_e32 v6, v6, v144
	;; [unrolled: 1-line block ×3, first 2 shown]
	ds_load_2addr_b64 v[5:8], v21 offset0:101 offset1:102
	s_wait_loadcnt_dscnt 0x1
	v_dual_mul_f32 v134, v1, v10 :: v_dual_mul_f32 v135, v3, v12
	v_mul_f32_e32 v10, v2, v10
	v_mul_f32_e32 v12, v4, v12
	s_delay_alu instid0(VALU_DEP_3) | instskip(NEXT) | instid1(VALU_DEP_3)
	v_dual_fmac_f32 v134, v2, v9 :: v_dual_fmac_f32 v135, v4, v11
	v_fma_f32 v136, v1, v9, -v10
	s_delay_alu instid0(VALU_DEP_3)
	v_fma_f32 v137, v3, v11, -v12
	s_clause 0x1
	scratch_load_b128 v[1:4], off, off offset:376
	scratch_load_b128 v[9:12], off, off offset:392
	s_wait_loadcnt_dscnt 0x100
	v_mul_f32_e32 v140, v5, v2
	v_dual_add_f32 v13, v13, v149 :: v_dual_mul_f32 v2, v6, v2
	v_mul_f32_e32 v141, v7, v4
	v_mul_f32_e32 v4, v8, v4
	s_delay_alu instid0(VALU_DEP_3) | instskip(NEXT) | instid1(VALU_DEP_4)
	v_dual_fmac_f32 v140, v6, v1 :: v_dual_add_f32 v13, v13, v150
	v_fma_f32 v2, v5, v1, -v2
	s_delay_alu instid0(VALU_DEP_2) | instskip(NEXT) | instid1(VALU_DEP_1)
	v_add_f32_e32 v13, v13, v152
	v_add_f32_e32 v18, v13, v154
	scratch_load_b128 v[13:16], off, off offset:408
	v_add_f32_e32 v18, v18, v156
	s_delay_alu instid0(VALU_DEP_1) | instskip(NEXT) | instid1(VALU_DEP_1)
	v_add_f32_e32 v18, v18, v158
	v_add_f32_e32 v22, v18, v160
	s_delay_alu instid0(VALU_DEP_1) | instskip(NEXT) | instid1(VALU_DEP_1)
	v_add_f32_e32 v138, v22, v162
	v_add_f32_e32 v138, v138, v164
	s_delay_alu instid0(VALU_DEP_1) | instskip(NEXT) | instid1(VALU_DEP_1)
	v_dual_add_f32 v138, v138, v166 :: v_dual_add_f32 v17, v17, v153
	v_dual_add_f32 v138, v138, v168 :: v_dual_add_f32 v17, v17, v155
	s_delay_alu instid0(VALU_DEP_1) | instskip(NEXT) | instid1(VALU_DEP_1)
	v_dual_add_f32 v138, v138, v170 :: v_dual_add_f32 v17, v17, v157
	v_dual_add_f32 v136, v138, v136 :: v_dual_add_f32 v23, v17, v159
	ds_load_2addr_b64 v[17:20], v21 offset0:103 offset1:104
	v_add_f32_e32 v1, v136, v137
	v_add_f32_e32 v139, v23, v161
	ds_load_2addr_b64 v[21:24], v21 offset0:105 offset1:106
	s_wait_loadcnt_dscnt 0x101
	v_dual_mul_f32 v142, v17, v10 :: v_dual_add_f32 v139, v139, v163
	v_mul_f32_e32 v6, v18, v10
	s_delay_alu instid0(VALU_DEP_2) | instskip(NEXT) | instid1(VALU_DEP_3)
	v_fmac_f32_e32 v142, v18, v9
	v_add_f32_e32 v139, v139, v165
	v_fmac_f32_e32 v141, v8, v3
	v_fma_f32 v3, v7, v3, -v4
	s_delay_alu instid0(VALU_DEP_3) | instskip(NEXT) | instid1(VALU_DEP_1)
	v_dual_mul_f32 v4, v20, v12 :: v_dual_add_f32 v139, v139, v167
	v_fma_f32 v4, v19, v11, -v4
	s_delay_alu instid0(VALU_DEP_2) | instskip(NEXT) | instid1(VALU_DEP_1)
	v_add_f32_e32 v139, v139, v169
	v_add_f32_e32 v134, v139, v134
	s_wait_loadcnt_dscnt 0x0
	s_delay_alu instid0(VALU_DEP_1) | instskip(SKIP_2) | instid1(VALU_DEP_3)
	v_dual_add_f32 v5, v134, v135 :: v_dual_mul_f32 v138, v23, v16
	v_mul_f32_e32 v144, v21, v14
	v_add_f32_e32 v1, v1, v2
	v_add_f32_e32 v2, v5, v140
	v_mul_f32_e32 v143, v19, v12
	v_fma_f32 v5, v17, v9, -v6
	v_fmac_f32_e32 v144, v22, v13
	v_fmac_f32_e32 v138, v24, v15
	s_delay_alu instid0(VALU_DEP_4) | instskip(NEXT) | instid1(VALU_DEP_1)
	v_dual_add_f32 v2, v2, v141 :: v_dual_fmac_f32 v143, v20, v11
	v_add_f32_e32 v2, v2, v142
	s_delay_alu instid0(VALU_DEP_1) | instskip(SKIP_2) | instid1(VALU_DEP_3)
	v_add_f32_e32 v2, v2, v143
	v_add_f32_e32 v1, v1, v3
	v_mul_f32_e32 v3, v22, v14
	v_add_f32_e32 v2, v2, v144
	s_delay_alu instid0(VALU_DEP_2) | instskip(NEXT) | instid1(VALU_DEP_2)
	v_fma_f32 v3, v21, v13, -v3
	v_dual_add_f32 v2, v2, v138 :: v_dual_add_f32 v1, v1, v5
	v_mul_f32_e32 v5, v24, v16
	s_delay_alu instid0(VALU_DEP_2) | instskip(NEXT) | instid1(VALU_DEP_2)
	v_dual_sub_f32 v2, v132, v2 :: v_dual_add_f32 v1, v1, v4
	v_fma_f32 v4, v23, v15, -v5
	s_delay_alu instid0(VALU_DEP_2) | instskip(NEXT) | instid1(VALU_DEP_1)
	v_add_f32_e32 v1, v1, v3
	v_add_f32_e32 v1, v1, v4
	s_delay_alu instid0(VALU_DEP_1)
	v_sub_f32_e32 v1, v131, v1
	scratch_store_b64 off, v[1:2], off offset:160
	v_cmpx_lt_u32_e32 19, v0
	s_cbranch_execz .LBB116_293
; %bb.292:
	scratch_load_b64 v[1:2], off, off offset:152
	v_mov_b32_e32 v3, 0
	s_delay_alu instid0(VALU_DEP_1)
	v_mov_b32_e32 v4, v3
	scratch_store_b64 off, v[3:4], off offset:152
	s_wait_loadcnt 0x0
	ds_store_b64 v133, v[1:2]
.LBB116_293:
	s_wait_alu 0xfffe
	s_or_b32 exec_lo, exec_lo, s0
	s_wait_storecnt_dscnt 0x0
	s_barrier_signal -1
	s_barrier_wait -1
	global_inv scope:SCOPE_SE
	s_clause 0x4
	scratch_load_b128 v[5:8], off, off offset:160
	scratch_load_b128 v[1:4], off, off offset:176
	;; [unrolled: 1-line block ×5, first 2 shown]
	v_mov_b32_e32 v21, 0
	ds_load_b128 v[134:137], v21 offset:592
	ds_load_b128 v[138:141], v21 offset:608
	;; [unrolled: 1-line block ×3, first 2 shown]
	scratch_load_b64 v[22:23], off, off offset:152
	s_mov_b32 s0, exec_lo
	s_wait_loadcnt_dscnt 0x502
	v_mul_f32_e32 v24, v135, v6
	v_dual_mul_f32 v131, v134, v6 :: v_dual_mul_f32 v132, v136, v8
	v_mul_f32_e32 v6, v137, v8
	s_delay_alu instid0(VALU_DEP_3) | instskip(NEXT) | instid1(VALU_DEP_3)
	v_fma_f32 v24, v134, v5, -v24
	v_dual_fmac_f32 v131, v135, v5 :: v_dual_fmac_f32 v132, v137, v7
	s_wait_loadcnt_dscnt 0x401
	v_mul_f32_e32 v135, v138, v2
	v_fma_f32 v134, v136, v7, -v6
	ds_load_b128 v[5:8], v21 offset:640
	s_wait_loadcnt_dscnt 0x301
	v_dual_mul_f32 v136, v140, v4 :: v_dual_mul_f32 v137, v142, v10
	v_dual_mul_f32 v4, v141, v4 :: v_dual_fmac_f32 v135, v139, v1
	v_mul_f32_e32 v10, v143, v10
	s_delay_alu instid0(VALU_DEP_3)
	v_dual_mul_f32 v146, v144, v12 :: v_dual_fmac_f32 v137, v143, v9
	v_mul_f32_e32 v12, v145, v12
	v_mul_f32_e32 v2, v139, v2
	v_fmac_f32_e32 v136, v141, v3
	v_fma_f32 v139, v140, v3, -v4
	v_fma_f32 v140, v142, v9, -v10
	v_fmac_f32_e32 v146, v145, v11
	v_fma_f32 v141, v144, v11, -v12
	ds_load_b128 v[9:12], v21 offset:656
	s_wait_loadcnt_dscnt 0x201
	v_dual_mul_f32 v143, v7, v16 :: v_dual_mul_f32 v142, v5, v14
	v_mul_f32_e32 v14, v6, v14
	v_mul_f32_e32 v16, v8, v16
	s_delay_alu instid0(VALU_DEP_3)
	v_fmac_f32_e32 v143, v8, v15
	v_fma_f32 v138, v138, v1, -v2
	scratch_load_b128 v[1:4], off, off offset:240
	v_fmac_f32_e32 v142, v6, v13
	v_fma_f32 v13, v5, v13, -v14
	v_fma_f32 v14, v7, v15, -v16
	ds_load_b128 v[5:8], v21 offset:672
	s_wait_loadcnt_dscnt 0x201
	v_mul_f32_e32 v15, v9, v18
	v_mul_f32_e32 v16, v10, v18
	;; [unrolled: 1-line block ×3, first 2 shown]
	s_delay_alu instid0(VALU_DEP_3) | instskip(NEXT) | instid1(VALU_DEP_3)
	v_dual_mul_f32 v20, v12, v20 :: v_dual_fmac_f32 v15, v10, v17
	v_fma_f32 v16, v9, v17, -v16
	s_delay_alu instid0(VALU_DEP_3) | instskip(NEXT) | instid1(VALU_DEP_3)
	v_fmac_f32_e32 v18, v12, v19
	v_fma_f32 v17, v11, v19, -v20
	scratch_load_b128 v[9:12], off, off offset:256
	s_wait_loadcnt_dscnt 0x100
	v_mul_f32_e32 v19, v5, v2
	v_mul_f32_e32 v2, v6, v2
	;; [unrolled: 1-line block ×3, first 2 shown]
	s_delay_alu instid0(VALU_DEP_3) | instskip(NEXT) | instid1(VALU_DEP_3)
	v_dual_mul_f32 v4, v8, v4 :: v_dual_fmac_f32 v19, v6, v1
	v_fma_f32 v144, v5, v1, -v2
	s_delay_alu instid0(VALU_DEP_3) | instskip(NEXT) | instid1(VALU_DEP_3)
	v_fmac_f32_e32 v20, v8, v3
	v_fma_f32 v145, v7, v3, -v4
	ds_load_b128 v[1:4], v21 offset:688
	ds_load_b128 v[5:8], v21 offset:704
	s_wait_loadcnt_dscnt 0x1
	v_mul_f32_e32 v147, v1, v10
	v_mul_f32_e32 v10, v2, v10
	s_delay_alu instid0(VALU_DEP_2) | instskip(NEXT) | instid1(VALU_DEP_2)
	v_dual_mul_f32 v148, v3, v12 :: v_dual_fmac_f32 v147, v2, v9
	v_fma_f32 v149, v1, v9, -v10
	v_mul_f32_e32 v1, v4, v12
	s_delay_alu instid0(VALU_DEP_3) | instskip(NEXT) | instid1(VALU_DEP_2)
	v_fmac_f32_e32 v148, v4, v11
	v_fma_f32 v150, v3, v11, -v1
	s_clause 0x1
	scratch_load_b128 v[1:4], off, off offset:272
	scratch_load_b128 v[9:12], off, off offset:288
	s_wait_loadcnt_dscnt 0x100
	v_mul_f32_e32 v151, v5, v2
	v_dual_mul_f32 v2, v6, v2 :: v_dual_mul_f32 v153, v7, v4
	s_delay_alu instid0(VALU_DEP_2) | instskip(NEXT) | instid1(VALU_DEP_2)
	v_fmac_f32_e32 v151, v6, v1
	v_fma_f32 v152, v5, v1, -v2
	v_mul_f32_e32 v1, v8, v4
	s_delay_alu instid0(VALU_DEP_4) | instskip(NEXT) | instid1(VALU_DEP_2)
	v_fmac_f32_e32 v153, v8, v3
	v_fma_f32 v154, v7, v3, -v1
	ds_load_b128 v[1:4], v21 offset:720
	ds_load_b128 v[5:8], v21 offset:736
	s_wait_loadcnt_dscnt 0x1
	v_mul_f32_e32 v155, v1, v10
	v_mul_f32_e32 v157, v3, v12
	s_delay_alu instid0(VALU_DEP_2) | instskip(NEXT) | instid1(VALU_DEP_2)
	v_fmac_f32_e32 v155, v2, v9
	v_dual_mul_f32 v2, v2, v10 :: v_dual_fmac_f32 v157, v4, v11
	s_delay_alu instid0(VALU_DEP_1) | instskip(SKIP_1) | instid1(VALU_DEP_1)
	v_fma_f32 v156, v1, v9, -v2
	v_mul_f32_e32 v1, v4, v12
	v_fma_f32 v158, v3, v11, -v1
	s_clause 0x1
	scratch_load_b128 v[1:4], off, off offset:304
	scratch_load_b128 v[9:12], off, off offset:320
	s_wait_loadcnt_dscnt 0x100
	v_mul_f32_e32 v159, v5, v2
	v_dual_mul_f32 v161, v7, v4 :: v_dual_mul_f32 v2, v6, v2
	s_delay_alu instid0(VALU_DEP_2) | instskip(NEXT) | instid1(VALU_DEP_2)
	v_fmac_f32_e32 v159, v6, v1
	v_fmac_f32_e32 v161, v8, v3
	s_delay_alu instid0(VALU_DEP_3) | instskip(SKIP_1) | instid1(VALU_DEP_1)
	v_fma_f32 v160, v5, v1, -v2
	v_mul_f32_e32 v1, v8, v4
	v_fma_f32 v162, v7, v3, -v1
	ds_load_b128 v[1:4], v21 offset:752
	ds_load_b128 v[5:8], v21 offset:768
	s_wait_loadcnt_dscnt 0x1
	v_mul_f32_e32 v163, v1, v10
	v_mul_f32_e32 v165, v3, v12
	s_delay_alu instid0(VALU_DEP_2) | instskip(NEXT) | instid1(VALU_DEP_2)
	v_fmac_f32_e32 v163, v2, v9
	v_dual_mul_f32 v2, v2, v10 :: v_dual_fmac_f32 v165, v4, v11
	s_delay_alu instid0(VALU_DEP_1) | instskip(SKIP_1) | instid1(VALU_DEP_1)
	v_fma_f32 v164, v1, v9, -v2
	v_mul_f32_e32 v1, v4, v12
	v_fma_f32 v166, v3, v11, -v1
	s_clause 0x1
	scratch_load_b128 v[1:4], off, off offset:336
	scratch_load_b128 v[9:12], off, off offset:352
	s_wait_loadcnt_dscnt 0x100
	v_mul_f32_e32 v167, v5, v2
	v_mul_f32_e32 v2, v6, v2
	s_delay_alu instid0(VALU_DEP_1) | instskip(SKIP_1) | instid1(VALU_DEP_1)
	v_fma_f32 v168, v5, v1, -v2
	v_add_f32_e32 v2, 0, v131
	v_add_f32_e32 v2, v2, v132
	scratch_load_b64 v[131:132], off, off offset:416
	v_add_f32_e32 v2, v2, v135
	s_delay_alu instid0(VALU_DEP_1) | instskip(SKIP_2) | instid1(VALU_DEP_2)
	v_add_f32_e32 v2, v2, v136
	v_mul_f32_e32 v169, v7, v4
	v_fmac_f32_e32 v167, v6, v1
	v_dual_add_f32 v2, v2, v137 :: v_dual_fmac_f32 v169, v8, v3
	s_delay_alu instid0(VALU_DEP_1) | instskip(NEXT) | instid1(VALU_DEP_1)
	v_dual_add_f32 v2, v2, v146 :: v_dual_mul_f32 v1, v8, v4
	v_add_f32_e32 v2, v2, v142
	s_delay_alu instid0(VALU_DEP_2) | instskip(NEXT) | instid1(VALU_DEP_2)
	v_fma_f32 v170, v7, v3, -v1
	v_dual_add_f32 v1, 0, v24 :: v_dual_add_f32 v2, v2, v143
	s_delay_alu instid0(VALU_DEP_1) | instskip(NEXT) | instid1(VALU_DEP_1)
	v_add_f32_e32 v1, v1, v134
	v_add_f32_e32 v1, v1, v138
	s_delay_alu instid0(VALU_DEP_1) | instskip(NEXT) | instid1(VALU_DEP_1)
	v_add_f32_e32 v1, v1, v139
	v_add_f32_e32 v1, v1, v140
	;; [unrolled: 3-line block ×4, first 2 shown]
	s_delay_alu instid0(VALU_DEP_1) | instskip(SKIP_2) | instid1(VALU_DEP_1)
	v_dual_add_f32 v5, v2, v15 :: v_dual_add_f32 v6, v1, v17
	ds_load_b128 v[1:4], v21 offset:784
	v_dual_add_f32 v5, v5, v18 :: v_dual_add_f32 v6, v6, v144
	v_add_f32_e32 v13, v6, v145
	s_delay_alu instid0(VALU_DEP_1) | instskip(NEXT) | instid1(VALU_DEP_1)
	v_add_f32_e32 v13, v13, v149
	v_add_f32_e32 v13, v13, v150
	s_delay_alu instid0(VALU_DEP_1) | instskip(NEXT) | instid1(VALU_DEP_1)
	v_add_f32_e32 v13, v13, v152
	v_add_f32_e32 v18, v13, v154
	s_delay_alu instid0(VALU_DEP_1) | instskip(NEXT) | instid1(VALU_DEP_1)
	v_dual_add_f32 v5, v5, v19 :: v_dual_add_f32 v18, v18, v156
	v_add_f32_e32 v14, v5, v20
	ds_load_b128 v[5:8], v21 offset:800
	s_wait_loadcnt_dscnt 0x101
	v_mul_f32_e32 v24, v1, v10
	v_mul_f32_e32 v10, v2, v10
	;; [unrolled: 1-line block ×4, first 2 shown]
	v_add_f32_e32 v14, v14, v147
	v_fmac_f32_e32 v24, v2, v9
	v_fma_f32 v141, v1, v9, -v10
	v_fmac_f32_e32 v140, v4, v11
	v_fma_f32 v142, v3, v11, -v12
	s_clause 0x1
	scratch_load_b128 v[1:4], off, off offset:368
	scratch_load_b128 v[9:12], off, off offset:384
	v_add_f32_e32 v14, v14, v148
	v_add_f32_e32 v18, v18, v158
	s_delay_alu instid0(VALU_DEP_2) | instskip(SKIP_2) | instid1(VALU_DEP_1)
	v_add_f32_e32 v17, v14, v151
	scratch_load_b128 v[13:16], off, off offset:400
	v_dual_add_f32 v18, v18, v160 :: v_dual_add_f32 v17, v17, v153
	v_add_f32_e32 v18, v18, v162
	s_delay_alu instid0(VALU_DEP_1) | instskip(NEXT) | instid1(VALU_DEP_1)
	v_add_f32_e32 v138, v18, v164
	v_add_f32_e32 v143, v138, v166
	s_wait_loadcnt_dscnt 0x200
	v_mul_f32_e32 v145, v5, v2
	v_dual_mul_f32 v2, v6, v2 :: v_dual_add_f32 v17, v17, v155
	v_mul_f32_e32 v146, v7, v4
	v_mul_f32_e32 v4, v8, v4
	v_add_f32_e32 v143, v143, v168
	s_delay_alu instid0(VALU_DEP_4) | instskip(NEXT) | instid1(VALU_DEP_4)
	v_fma_f32 v2, v5, v1, -v2
	v_dual_add_f32 v17, v17, v157 :: v_dual_fmac_f32 v146, v8, v3
	s_delay_alu instid0(VALU_DEP_1) | instskip(NEXT) | instid1(VALU_DEP_1)
	v_add_f32_e32 v17, v17, v159
	v_add_f32_e32 v134, v17, v161
	ds_load_b128 v[17:20], v21 offset:816
	v_add_f32_e32 v139, v134, v163
	ds_load_b128 v[134:137], v21 offset:832
	v_add_f32_e32 v143, v143, v170
	v_add_f32_e32 v144, v139, v165
	ds_load_b64 v[138:139], v21 offset:848
	v_add_f32_e32 v144, v144, v167
	s_delay_alu instid0(VALU_DEP_1) | instskip(SKIP_2) | instid1(VALU_DEP_2)
	v_add_f32_e32 v144, v144, v169
	s_wait_loadcnt_dscnt 0x102
	v_mul_f32_e32 v5, v20, v12
	v_dual_add_f32 v24, v144, v24 :: v_dual_add_f32 v141, v143, v141
	v_dual_mul_f32 v143, v17, v10 :: v_dual_mul_f32 v144, v19, v12
	s_delay_alu instid0(VALU_DEP_2)
	v_dual_add_f32 v24, v24, v140 :: v_dual_add_f32 v141, v141, v142
	s_wait_dscnt 0x0
	v_mul_f32_e32 v140, v138, v132
	v_fmac_f32_e32 v145, v6, v1
	v_fma_f32 v1, v7, v3, -v4
	v_dual_mul_f32 v3, v18, v10 :: v_dual_fmac_f32 v144, v20, v11
	v_add_f32_e32 v2, v141, v2
	s_wait_loadcnt 0x0
	v_dual_mul_f32 v147, v134, v14 :: v_dual_add_f32 v4, v24, v145
	v_dual_mul_f32 v142, v136, v16 :: v_dual_fmac_f32 v143, v18, v9
	v_fma_f32 v3, v17, v9, -v3
	s_delay_alu instid0(VALU_DEP_3) | instskip(SKIP_3) | instid1(VALU_DEP_4)
	v_dual_add_f32 v1, v2, v1 :: v_dual_add_f32 v2, v4, v146
	v_mul_f32_e32 v4, v135, v14
	v_fma_f32 v5, v19, v11, -v5
	v_dual_fmac_f32 v142, v137, v15 :: v_dual_fmac_f32 v147, v135, v13
	v_add_f32_e32 v2, v2, v143
	v_add_f32_e32 v1, v1, v3
	v_mul_f32_e32 v3, v137, v16
	v_fma_f32 v4, v134, v13, -v4
	v_fmac_f32_e32 v140, v139, v131
	s_delay_alu instid0(VALU_DEP_4) | instskip(SKIP_2) | instid1(VALU_DEP_3)
	v_dual_add_f32 v2, v2, v144 :: v_dual_add_f32 v1, v1, v5
	v_mul_f32_e32 v5, v139, v132
	v_fma_f32 v3, v136, v15, -v3
	v_dual_add_f32 v2, v2, v147 :: v_dual_add_f32 v1, v1, v4
	s_delay_alu instid0(VALU_DEP_3) | instskip(NEXT) | instid1(VALU_DEP_2)
	v_fma_f32 v4, v138, v131, -v5
	v_dual_add_f32 v2, v2, v142 :: v_dual_add_f32 v1, v1, v3
	s_delay_alu instid0(VALU_DEP_1) | instskip(NEXT) | instid1(VALU_DEP_1)
	v_add_f32_e32 v2, v2, v140
	v_dual_add_f32 v1, v1, v4 :: v_dual_sub_f32 v2, v23, v2
	s_delay_alu instid0(VALU_DEP_1)
	v_sub_f32_e32 v1, v22, v1
	scratch_store_b64 off, v[1:2], off offset:152
	v_cmpx_lt_u32_e32 18, v0
	s_cbranch_execz .LBB116_295
; %bb.294:
	scratch_load_b64 v[1:2], off, off offset:144
	v_mov_b32_e32 v22, v21
	scratch_store_b64 off, v[21:22], off offset:144
	s_wait_loadcnt 0x0
	ds_store_b64 v133, v[1:2]
.LBB116_295:
	s_wait_alu 0xfffe
	s_or_b32 exec_lo, exec_lo, s0
	s_wait_storecnt_dscnt 0x0
	s_barrier_signal -1
	s_barrier_wait -1
	global_inv scope:SCOPE_SE
	s_clause 0x4
	scratch_load_b128 v[5:8], off, off offset:152
	scratch_load_b128 v[1:4], off, off offset:168
	;; [unrolled: 1-line block ×5, first 2 shown]
	ds_load_2addr_b64 v[134:137], v21 offset0:73 offset1:74
	ds_load_2addr_b64 v[138:141], v21 offset0:75 offset1:76
	;; [unrolled: 1-line block ×3, first 2 shown]
	scratch_load_b64 v[131:132], off, off offset:144
	s_mov_b32 s0, exec_lo
	s_wait_loadcnt_dscnt 0x502
	v_mul_f32_e32 v22, v135, v6
	v_dual_mul_f32 v23, v134, v6 :: v_dual_mul_f32 v24, v136, v8
	v_mul_f32_e32 v6, v137, v8
	s_delay_alu instid0(VALU_DEP_3) | instskip(NEXT) | instid1(VALU_DEP_3)
	v_fma_f32 v22, v134, v5, -v22
	v_dual_fmac_f32 v23, v135, v5 :: v_dual_fmac_f32 v24, v137, v7
	s_wait_loadcnt_dscnt 0x401
	v_mul_f32_e32 v135, v138, v2
	v_fma_f32 v134, v136, v7, -v6
	ds_load_2addr_b64 v[5:8], v21 offset0:79 offset1:80
	s_wait_loadcnt_dscnt 0x301
	v_dual_mul_f32 v136, v140, v4 :: v_dual_mul_f32 v137, v142, v10
	v_dual_mul_f32 v4, v141, v4 :: v_dual_fmac_f32 v135, v139, v1
	v_mul_f32_e32 v10, v143, v10
	s_delay_alu instid0(VALU_DEP_3)
	v_dual_mul_f32 v146, v144, v12 :: v_dual_fmac_f32 v137, v143, v9
	v_mul_f32_e32 v12, v145, v12
	v_mul_f32_e32 v2, v139, v2
	v_fmac_f32_e32 v136, v141, v3
	v_fma_f32 v139, v140, v3, -v4
	v_fma_f32 v140, v142, v9, -v10
	v_fmac_f32_e32 v146, v145, v11
	v_fma_f32 v141, v144, v11, -v12
	ds_load_2addr_b64 v[9:12], v21 offset0:81 offset1:82
	s_wait_loadcnt_dscnt 0x201
	v_mul_f32_e32 v142, v5, v14
	v_dual_mul_f32 v14, v6, v14 :: v_dual_mul_f32 v143, v7, v16
	v_mul_f32_e32 v16, v8, v16
	s_delay_alu instid0(VALU_DEP_3) | instskip(NEXT) | instid1(VALU_DEP_3)
	v_fmac_f32_e32 v142, v6, v13
	v_fma_f32 v13, v5, v13, -v14
	s_delay_alu instid0(VALU_DEP_4) | instskip(NEXT) | instid1(VALU_DEP_4)
	v_fmac_f32_e32 v143, v8, v15
	v_fma_f32 v14, v7, v15, -v16
	ds_load_2addr_b64 v[5:8], v21 offset0:83 offset1:84
	s_wait_loadcnt_dscnt 0x101
	v_mul_f32_e32 v15, v9, v18
	v_mul_f32_e32 v16, v10, v18
	;; [unrolled: 1-line block ×3, first 2 shown]
	s_delay_alu instid0(VALU_DEP_3)
	v_dual_mul_f32 v20, v12, v20 :: v_dual_fmac_f32 v15, v10, v17
	v_fma_f32 v138, v138, v1, -v2
	scratch_load_b128 v[1:4], off, off offset:232
	v_fma_f32 v16, v9, v17, -v16
	v_fmac_f32_e32 v18, v12, v19
	v_fma_f32 v17, v11, v19, -v20
	scratch_load_b128 v[9:12], off, off offset:248
	s_wait_loadcnt_dscnt 0x100
	v_mul_f32_e32 v19, v5, v2
	v_mul_f32_e32 v2, v6, v2
	;; [unrolled: 1-line block ×3, first 2 shown]
	s_delay_alu instid0(VALU_DEP_3) | instskip(NEXT) | instid1(VALU_DEP_3)
	v_dual_mul_f32 v4, v8, v4 :: v_dual_fmac_f32 v19, v6, v1
	v_fma_f32 v144, v5, v1, -v2
	s_delay_alu instid0(VALU_DEP_3) | instskip(NEXT) | instid1(VALU_DEP_3)
	v_fmac_f32_e32 v20, v8, v3
	v_fma_f32 v145, v7, v3, -v4
	ds_load_2addr_b64 v[1:4], v21 offset0:85 offset1:86
	ds_load_2addr_b64 v[5:8], v21 offset0:87 offset1:88
	s_wait_loadcnt_dscnt 0x1
	v_mul_f32_e32 v147, v1, v10
	v_mul_f32_e32 v10, v2, v10
	s_delay_alu instid0(VALU_DEP_2) | instskip(NEXT) | instid1(VALU_DEP_2)
	v_dual_mul_f32 v148, v3, v12 :: v_dual_fmac_f32 v147, v2, v9
	v_fma_f32 v149, v1, v9, -v10
	v_mul_f32_e32 v1, v4, v12
	s_delay_alu instid0(VALU_DEP_3) | instskip(NEXT) | instid1(VALU_DEP_2)
	v_fmac_f32_e32 v148, v4, v11
	v_fma_f32 v150, v3, v11, -v1
	s_clause 0x1
	scratch_load_b128 v[1:4], off, off offset:264
	scratch_load_b128 v[9:12], off, off offset:280
	s_wait_loadcnt_dscnt 0x100
	v_mul_f32_e32 v151, v5, v2
	v_dual_mul_f32 v2, v6, v2 :: v_dual_mul_f32 v153, v7, v4
	s_delay_alu instid0(VALU_DEP_2) | instskip(NEXT) | instid1(VALU_DEP_2)
	v_fmac_f32_e32 v151, v6, v1
	v_fma_f32 v152, v5, v1, -v2
	v_mul_f32_e32 v1, v8, v4
	s_delay_alu instid0(VALU_DEP_4) | instskip(NEXT) | instid1(VALU_DEP_2)
	v_fmac_f32_e32 v153, v8, v3
	v_fma_f32 v154, v7, v3, -v1
	ds_load_2addr_b64 v[1:4], v21 offset0:89 offset1:90
	ds_load_2addr_b64 v[5:8], v21 offset0:91 offset1:92
	s_wait_loadcnt_dscnt 0x1
	v_mul_f32_e32 v155, v1, v10
	v_mul_f32_e32 v157, v3, v12
	s_delay_alu instid0(VALU_DEP_2) | instskip(NEXT) | instid1(VALU_DEP_2)
	v_fmac_f32_e32 v155, v2, v9
	v_dual_mul_f32 v2, v2, v10 :: v_dual_fmac_f32 v157, v4, v11
	s_delay_alu instid0(VALU_DEP_1) | instskip(SKIP_1) | instid1(VALU_DEP_1)
	v_fma_f32 v156, v1, v9, -v2
	v_mul_f32_e32 v1, v4, v12
	v_fma_f32 v158, v3, v11, -v1
	s_clause 0x1
	scratch_load_b128 v[1:4], off, off offset:296
	scratch_load_b128 v[9:12], off, off offset:312
	s_wait_loadcnt_dscnt 0x100
	v_mul_f32_e32 v159, v5, v2
	v_dual_mul_f32 v2, v6, v2 :: v_dual_mul_f32 v161, v7, v4
	s_delay_alu instid0(VALU_DEP_2) | instskip(NEXT) | instid1(VALU_DEP_2)
	v_fmac_f32_e32 v159, v6, v1
	v_fma_f32 v160, v5, v1, -v2
	v_mul_f32_e32 v1, v8, v4
	s_delay_alu instid0(VALU_DEP_4) | instskip(NEXT) | instid1(VALU_DEP_2)
	v_fmac_f32_e32 v161, v8, v3
	v_fma_f32 v162, v7, v3, -v1
	ds_load_2addr_b64 v[1:4], v21 offset0:93 offset1:94
	ds_load_2addr_b64 v[5:8], v21 offset0:95 offset1:96
	s_wait_loadcnt_dscnt 0x1
	v_mul_f32_e32 v163, v1, v10
	v_mul_f32_e32 v165, v3, v12
	s_delay_alu instid0(VALU_DEP_2) | instskip(NEXT) | instid1(VALU_DEP_2)
	v_fmac_f32_e32 v163, v2, v9
	v_dual_mul_f32 v2, v2, v10 :: v_dual_fmac_f32 v165, v4, v11
	s_delay_alu instid0(VALU_DEP_1) | instskip(SKIP_1) | instid1(VALU_DEP_1)
	v_fma_f32 v164, v1, v9, -v2
	v_mul_f32_e32 v1, v4, v12
	v_fma_f32 v166, v3, v11, -v1
	s_clause 0x1
	scratch_load_b128 v[1:4], off, off offset:328
	scratch_load_b128 v[9:12], off, off offset:344
	s_wait_loadcnt_dscnt 0x100
	v_mul_f32_e32 v167, v5, v2
	v_mul_f32_e32 v2, v6, v2
	s_delay_alu instid0(VALU_DEP_1) | instskip(SKIP_1) | instid1(VALU_DEP_1)
	v_fma_f32 v168, v5, v1, -v2
	v_add_f32_e32 v2, 0, v23
	v_add_f32_e32 v2, v2, v24
	v_fmac_f32_e32 v167, v6, v1
	s_delay_alu instid0(VALU_DEP_2) | instskip(NEXT) | instid1(VALU_DEP_1)
	v_add_f32_e32 v2, v2, v135
	v_add_f32_e32 v2, v2, v136
	s_delay_alu instid0(VALU_DEP_1) | instskip(NEXT) | instid1(VALU_DEP_1)
	v_dual_mul_f32 v169, v7, v4 :: v_dual_add_f32 v2, v2, v137
	v_dual_fmac_f32 v169, v8, v3 :: v_dual_add_f32 v2, v2, v146
	s_delay_alu instid0(VALU_DEP_1) | instskip(NEXT) | instid1(VALU_DEP_1)
	v_dual_mul_f32 v1, v8, v4 :: v_dual_add_f32 v2, v2, v142
	v_fma_f32 v170, v7, v3, -v1
	s_delay_alu instid0(VALU_DEP_2) | instskip(NEXT) | instid1(VALU_DEP_1)
	v_dual_add_f32 v1, 0, v22 :: v_dual_add_f32 v2, v2, v143
	v_dual_add_f32 v1, v1, v134 :: v_dual_add_f32 v2, v2, v15
	s_delay_alu instid0(VALU_DEP_1) | instskip(NEXT) | instid1(VALU_DEP_2)
	v_add_f32_e32 v1, v1, v138
	v_add_f32_e32 v5, v2, v18
	s_delay_alu instid0(VALU_DEP_2) | instskip(NEXT) | instid1(VALU_DEP_1)
	v_add_f32_e32 v1, v1, v139
	v_add_f32_e32 v1, v1, v140
	s_delay_alu instid0(VALU_DEP_1) | instskip(NEXT) | instid1(VALU_DEP_1)
	v_add_f32_e32 v1, v1, v141
	v_add_f32_e32 v1, v1, v13
	;; [unrolled: 1-line block ×3, first 2 shown]
	s_delay_alu instid0(VALU_DEP_1) | instskip(NEXT) | instid1(VALU_DEP_1)
	v_add_f32_e32 v13, v13, v20
	v_add_f32_e32 v13, v13, v147
	s_delay_alu instid0(VALU_DEP_1) | instskip(NEXT) | instid1(VALU_DEP_1)
	v_add_f32_e32 v18, v13, v148
	v_dual_add_f32 v18, v18, v151 :: v_dual_add_f32 v1, v1, v14
	s_delay_alu instid0(VALU_DEP_1) | instskip(NEXT) | instid1(VALU_DEP_1)
	v_dual_add_f32 v18, v18, v153 :: v_dual_add_f32 v1, v1, v16
	v_dual_add_f32 v22, v18, v155 :: v_dual_add_f32 v1, v1, v17
	s_delay_alu instid0(VALU_DEP_1) | instskip(NEXT) | instid1(VALU_DEP_2)
	v_add_f32_e32 v22, v22, v157
	v_add_f32_e32 v6, v1, v144
	ds_load_2addr_b64 v[1:4], v21 offset0:97 offset1:98
	v_add_f32_e32 v22, v22, v159
	v_add_f32_e32 v14, v6, v145
	scratch_load_b128 v[5:8], off, off offset:360
	v_add_f32_e32 v14, v14, v149
	s_delay_alu instid0(VALU_DEP_1)
	v_add_f32_e32 v17, v14, v150
	ds_load_2addr_b64 v[13:16], v21 offset0:99 offset1:100
	v_add_f32_e32 v17, v17, v152
	s_wait_loadcnt_dscnt 0x101
	v_dual_mul_f32 v134, v1, v10 :: v_dual_mul_f32 v135, v3, v12
	v_mul_f32_e32 v10, v2, v10
	v_mul_f32_e32 v12, v4, v12
	s_delay_alu instid0(VALU_DEP_3) | instskip(NEXT) | instid1(VALU_DEP_3)
	v_dual_fmac_f32 v134, v2, v9 :: v_dual_fmac_f32 v135, v4, v11
	v_fma_f32 v136, v1, v9, -v10
	s_delay_alu instid0(VALU_DEP_3)
	v_fma_f32 v137, v3, v11, -v12
	s_clause 0x1
	scratch_load_b128 v[1:4], off, off offset:376
	scratch_load_b128 v[9:12], off, off offset:392
	s_wait_loadcnt_dscnt 0x200
	v_mul_f32_e32 v138, v13, v6
	v_add_f32_e32 v17, v17, v154
	v_dual_mul_f32 v6, v14, v6 :: v_dual_mul_f32 v139, v15, v8
	v_mul_f32_e32 v8, v16, v8
	s_delay_alu instid0(VALU_DEP_3) | instskip(NEXT) | instid1(VALU_DEP_3)
	v_dual_fmac_f32 v138, v14, v5 :: v_dual_add_f32 v17, v17, v156
	v_fma_f32 v140, v13, v5, -v6
	v_add_f32_e32 v13, v22, v161
	v_fmac_f32_e32 v139, v16, v7
	v_fma_f32 v141, v15, v7, -v8
	v_add_f32_e32 v23, v17, v158
	scratch_load_b128 v[17:20], off, off offset:408
	ds_load_2addr_b64 v[5:8], v21 offset0:101 offset1:102
	v_add_f32_e32 v23, v23, v160
	s_delay_alu instid0(VALU_DEP_1) | instskip(NEXT) | instid1(VALU_DEP_1)
	v_add_f32_e32 v23, v23, v162
	v_add_f32_e32 v22, v23, v164
	s_delay_alu instid0(VALU_DEP_1) | instskip(NEXT) | instid1(VALU_DEP_1)
	v_add_f32_e32 v142, v22, v166
	;; [unrolled: 3-line block ×3, first 2 shown]
	v_dual_add_f32 v136, v142, v136 :: v_dual_add_f32 v23, v13, v163
	ds_load_2addr_b64 v[13:16], v21 offset0:103 offset1:104
	s_wait_loadcnt_dscnt 0x201
	v_mul_f32_e32 v144, v5, v2
	v_mul_f32_e32 v2, v6, v2
	v_add_f32_e32 v136, v136, v137
	v_add_f32_e32 v143, v23, v165
	ds_load_2addr_b64 v[21:24], v21 offset0:105 offset1:106
	v_mul_f32_e32 v142, v7, v4
	v_mul_f32_e32 v4, v8, v4
	v_dual_add_f32 v136, v136, v140 :: v_dual_add_f32 v143, v143, v167
	v_fma_f32 v2, v5, v1, -v2
	s_delay_alu instid0(VALU_DEP_4) | instskip(NEXT) | instid1(VALU_DEP_4)
	v_fmac_f32_e32 v142, v8, v3
	v_fma_f32 v3, v7, v3, -v4
	v_fmac_f32_e32 v144, v6, v1
	v_add_f32_e32 v143, v143, v169
	s_delay_alu instid0(VALU_DEP_1) | instskip(SKIP_3) | instid1(VALU_DEP_3)
	v_add_f32_e32 v134, v143, v134
	s_wait_loadcnt_dscnt 0x101
	v_dual_mul_f32 v143, v13, v10 :: v_dual_mul_f32 v4, v16, v12
	v_mul_f32_e32 v6, v14, v10
	v_dual_add_f32 v134, v134, v135 :: v_dual_mul_f32 v145, v15, v12
	s_delay_alu instid0(VALU_DEP_3) | instskip(NEXT) | instid1(VALU_DEP_4)
	v_fmac_f32_e32 v143, v14, v9
	v_fma_f32 v4, v15, v11, -v4
	s_delay_alu instid0(VALU_DEP_3) | instskip(NEXT) | instid1(VALU_DEP_1)
	v_add_f32_e32 v134, v134, v138
	v_add_f32_e32 v5, v134, v139
	;; [unrolled: 1-line block ×3, first 2 shown]
	s_delay_alu instid0(VALU_DEP_1) | instskip(NEXT) | instid1(VALU_DEP_3)
	v_add_f32_e32 v1, v1, v2
	v_add_f32_e32 v2, v5, v144
	v_fma_f32 v5, v13, v9, -v6
	s_delay_alu instid0(VALU_DEP_2) | instskip(NEXT) | instid1(VALU_DEP_1)
	v_dual_add_f32 v1, v1, v3 :: v_dual_add_f32 v2, v2, v142
	v_dual_add_f32 v1, v1, v5 :: v_dual_add_f32 v2, v2, v143
	s_wait_loadcnt_dscnt 0x0
	v_mul_f32_e32 v135, v21, v18
	v_mul_f32_e32 v137, v23, v20
	;; [unrolled: 1-line block ×3, first 2 shown]
	s_delay_alu instid0(VALU_DEP_3) | instskip(NEXT) | instid1(VALU_DEP_3)
	v_fmac_f32_e32 v135, v22, v17
	v_fmac_f32_e32 v137, v24, v19
	;; [unrolled: 1-line block ×3, first 2 shown]
	v_mul_f32_e32 v5, v24, v20
	v_fma_f32 v3, v21, v17, -v3
	s_delay_alu instid0(VALU_DEP_3) | instskip(NEXT) | instid1(VALU_DEP_3)
	v_dual_add_f32 v2, v2, v145 :: v_dual_add_f32 v1, v1, v4
	v_fma_f32 v4, v23, v19, -v5
	s_delay_alu instid0(VALU_DEP_2) | instskip(NEXT) | instid1(VALU_DEP_1)
	v_add_f32_e32 v2, v2, v135
	v_dual_add_f32 v1, v1, v3 :: v_dual_add_f32 v2, v2, v137
	s_delay_alu instid0(VALU_DEP_1) | instskip(NEXT) | instid1(VALU_DEP_1)
	v_dual_add_f32 v1, v1, v4 :: v_dual_sub_f32 v2, v132, v2
	v_sub_f32_e32 v1, v131, v1
	scratch_store_b64 off, v[1:2], off offset:144
	v_cmpx_lt_u32_e32 17, v0
	s_cbranch_execz .LBB116_297
; %bb.296:
	scratch_load_b64 v[1:2], off, off offset:136
	v_mov_b32_e32 v3, 0
	s_delay_alu instid0(VALU_DEP_1)
	v_mov_b32_e32 v4, v3
	scratch_store_b64 off, v[3:4], off offset:136
	s_wait_loadcnt 0x0
	ds_store_b64 v133, v[1:2]
.LBB116_297:
	s_wait_alu 0xfffe
	s_or_b32 exec_lo, exec_lo, s0
	s_wait_storecnt_dscnt 0x0
	s_barrier_signal -1
	s_barrier_wait -1
	global_inv scope:SCOPE_SE
	s_clause 0x4
	scratch_load_b128 v[5:8], off, off offset:144
	scratch_load_b128 v[1:4], off, off offset:160
	;; [unrolled: 1-line block ×5, first 2 shown]
	v_mov_b32_e32 v21, 0
	ds_load_b128 v[134:137], v21 offset:576
	ds_load_b128 v[138:141], v21 offset:592
	;; [unrolled: 1-line block ×3, first 2 shown]
	scratch_load_b64 v[22:23], off, off offset:136
	s_mov_b32 s0, exec_lo
	s_wait_loadcnt_dscnt 0x502
	v_mul_f32_e32 v24, v135, v6
	v_dual_mul_f32 v131, v134, v6 :: v_dual_mul_f32 v132, v136, v8
	v_mul_f32_e32 v6, v137, v8
	s_delay_alu instid0(VALU_DEP_3) | instskip(NEXT) | instid1(VALU_DEP_3)
	v_fma_f32 v24, v134, v5, -v24
	v_dual_fmac_f32 v131, v135, v5 :: v_dual_fmac_f32 v132, v137, v7
	s_wait_loadcnt_dscnt 0x401
	v_mul_f32_e32 v135, v138, v2
	v_fma_f32 v134, v136, v7, -v6
	ds_load_b128 v[5:8], v21 offset:624
	s_wait_loadcnt_dscnt 0x301
	v_dual_mul_f32 v136, v140, v4 :: v_dual_mul_f32 v137, v142, v10
	v_dual_mul_f32 v4, v141, v4 :: v_dual_fmac_f32 v135, v139, v1
	v_mul_f32_e32 v10, v143, v10
	s_delay_alu instid0(VALU_DEP_3)
	v_dual_mul_f32 v146, v144, v12 :: v_dual_fmac_f32 v137, v143, v9
	v_mul_f32_e32 v12, v145, v12
	v_mul_f32_e32 v2, v139, v2
	v_fmac_f32_e32 v136, v141, v3
	v_fma_f32 v139, v140, v3, -v4
	v_fma_f32 v140, v142, v9, -v10
	v_fmac_f32_e32 v146, v145, v11
	v_fma_f32 v141, v144, v11, -v12
	ds_load_b128 v[9:12], v21 offset:640
	s_wait_loadcnt_dscnt 0x201
	v_dual_mul_f32 v143, v7, v16 :: v_dual_mul_f32 v142, v5, v14
	v_mul_f32_e32 v14, v6, v14
	v_mul_f32_e32 v16, v8, v16
	s_delay_alu instid0(VALU_DEP_3)
	v_fmac_f32_e32 v143, v8, v15
	v_fma_f32 v138, v138, v1, -v2
	scratch_load_b128 v[1:4], off, off offset:224
	v_fmac_f32_e32 v142, v6, v13
	v_fma_f32 v13, v5, v13, -v14
	v_fma_f32 v14, v7, v15, -v16
	ds_load_b128 v[5:8], v21 offset:656
	s_wait_loadcnt_dscnt 0x201
	v_mul_f32_e32 v15, v9, v18
	v_mul_f32_e32 v16, v10, v18
	;; [unrolled: 1-line block ×3, first 2 shown]
	s_delay_alu instid0(VALU_DEP_3) | instskip(NEXT) | instid1(VALU_DEP_3)
	v_dual_mul_f32 v20, v12, v20 :: v_dual_fmac_f32 v15, v10, v17
	v_fma_f32 v16, v9, v17, -v16
	s_delay_alu instid0(VALU_DEP_3) | instskip(NEXT) | instid1(VALU_DEP_3)
	v_fmac_f32_e32 v18, v12, v19
	v_fma_f32 v17, v11, v19, -v20
	scratch_load_b128 v[9:12], off, off offset:240
	s_wait_loadcnt_dscnt 0x100
	v_mul_f32_e32 v19, v5, v2
	v_mul_f32_e32 v2, v6, v2
	;; [unrolled: 1-line block ×3, first 2 shown]
	s_delay_alu instid0(VALU_DEP_3) | instskip(NEXT) | instid1(VALU_DEP_3)
	v_dual_mul_f32 v4, v8, v4 :: v_dual_fmac_f32 v19, v6, v1
	v_fma_f32 v144, v5, v1, -v2
	s_delay_alu instid0(VALU_DEP_3) | instskip(NEXT) | instid1(VALU_DEP_3)
	v_fmac_f32_e32 v20, v8, v3
	v_fma_f32 v145, v7, v3, -v4
	ds_load_b128 v[1:4], v21 offset:672
	ds_load_b128 v[5:8], v21 offset:688
	s_wait_loadcnt_dscnt 0x1
	v_mul_f32_e32 v147, v1, v10
	v_mul_f32_e32 v10, v2, v10
	s_delay_alu instid0(VALU_DEP_2) | instskip(NEXT) | instid1(VALU_DEP_2)
	v_dual_mul_f32 v148, v3, v12 :: v_dual_fmac_f32 v147, v2, v9
	v_fma_f32 v149, v1, v9, -v10
	v_mul_f32_e32 v1, v4, v12
	s_delay_alu instid0(VALU_DEP_3) | instskip(NEXT) | instid1(VALU_DEP_2)
	v_fmac_f32_e32 v148, v4, v11
	v_fma_f32 v150, v3, v11, -v1
	s_clause 0x1
	scratch_load_b128 v[1:4], off, off offset:256
	scratch_load_b128 v[9:12], off, off offset:272
	s_wait_loadcnt_dscnt 0x100
	v_mul_f32_e32 v151, v5, v2
	v_dual_mul_f32 v2, v6, v2 :: v_dual_mul_f32 v153, v7, v4
	s_delay_alu instid0(VALU_DEP_2) | instskip(NEXT) | instid1(VALU_DEP_2)
	v_fmac_f32_e32 v151, v6, v1
	v_fma_f32 v152, v5, v1, -v2
	v_mul_f32_e32 v1, v8, v4
	s_delay_alu instid0(VALU_DEP_4) | instskip(NEXT) | instid1(VALU_DEP_2)
	v_fmac_f32_e32 v153, v8, v3
	v_fma_f32 v154, v7, v3, -v1
	ds_load_b128 v[1:4], v21 offset:704
	ds_load_b128 v[5:8], v21 offset:720
	s_wait_loadcnt_dscnt 0x1
	v_mul_f32_e32 v155, v1, v10
	v_mul_f32_e32 v157, v3, v12
	s_delay_alu instid0(VALU_DEP_2) | instskip(NEXT) | instid1(VALU_DEP_2)
	v_fmac_f32_e32 v155, v2, v9
	v_dual_mul_f32 v2, v2, v10 :: v_dual_fmac_f32 v157, v4, v11
	s_delay_alu instid0(VALU_DEP_1) | instskip(SKIP_1) | instid1(VALU_DEP_1)
	v_fma_f32 v156, v1, v9, -v2
	v_mul_f32_e32 v1, v4, v12
	v_fma_f32 v158, v3, v11, -v1
	s_clause 0x1
	scratch_load_b128 v[1:4], off, off offset:288
	scratch_load_b128 v[9:12], off, off offset:304
	s_wait_loadcnt_dscnt 0x100
	v_mul_f32_e32 v159, v5, v2
	v_dual_mul_f32 v161, v7, v4 :: v_dual_mul_f32 v2, v6, v2
	s_delay_alu instid0(VALU_DEP_2) | instskip(NEXT) | instid1(VALU_DEP_2)
	v_fmac_f32_e32 v159, v6, v1
	v_fmac_f32_e32 v161, v8, v3
	s_delay_alu instid0(VALU_DEP_3) | instskip(SKIP_1) | instid1(VALU_DEP_1)
	v_fma_f32 v160, v5, v1, -v2
	v_mul_f32_e32 v1, v8, v4
	v_fma_f32 v162, v7, v3, -v1
	ds_load_b128 v[1:4], v21 offset:736
	ds_load_b128 v[5:8], v21 offset:752
	s_wait_loadcnt_dscnt 0x1
	v_mul_f32_e32 v163, v1, v10
	v_mul_f32_e32 v165, v3, v12
	s_delay_alu instid0(VALU_DEP_2) | instskip(NEXT) | instid1(VALU_DEP_2)
	v_fmac_f32_e32 v163, v2, v9
	v_dual_mul_f32 v2, v2, v10 :: v_dual_fmac_f32 v165, v4, v11
	s_delay_alu instid0(VALU_DEP_1) | instskip(SKIP_1) | instid1(VALU_DEP_1)
	v_fma_f32 v164, v1, v9, -v2
	v_mul_f32_e32 v1, v4, v12
	v_fma_f32 v166, v3, v11, -v1
	s_clause 0x1
	scratch_load_b128 v[1:4], off, off offset:320
	scratch_load_b128 v[9:12], off, off offset:336
	s_wait_loadcnt_dscnt 0x100
	v_mul_f32_e32 v167, v5, v2
	v_mul_f32_e32 v2, v6, v2
	s_delay_alu instid0(VALU_DEP_1) | instskip(SKIP_1) | instid1(VALU_DEP_1)
	v_fma_f32 v168, v5, v1, -v2
	v_add_f32_e32 v2, 0, v131
	v_add_f32_e32 v2, v2, v132
	s_delay_alu instid0(VALU_DEP_1) | instskip(NEXT) | instid1(VALU_DEP_1)
	v_add_f32_e32 v2, v2, v135
	v_add_f32_e32 v2, v2, v136
	v_mul_f32_e32 v169, v7, v4
	v_fmac_f32_e32 v167, v6, v1
	s_delay_alu instid0(VALU_DEP_2) | instskip(NEXT) | instid1(VALU_DEP_1)
	v_dual_add_f32 v2, v2, v137 :: v_dual_fmac_f32 v169, v8, v3
	v_dual_add_f32 v2, v2, v146 :: v_dual_mul_f32 v1, v8, v4
	s_delay_alu instid0(VALU_DEP_1) | instskip(NEXT) | instid1(VALU_DEP_2)
	v_add_f32_e32 v2, v2, v142
	v_fma_f32 v170, v7, v3, -v1
	s_delay_alu instid0(VALU_DEP_2) | instskip(NEXT) | instid1(VALU_DEP_1)
	v_dual_add_f32 v1, 0, v24 :: v_dual_add_f32 v2, v2, v143
	v_dual_add_f32 v1, v1, v134 :: v_dual_add_f32 v2, v2, v15
	s_delay_alu instid0(VALU_DEP_1) | instskip(NEXT) | instid1(VALU_DEP_2)
	v_add_f32_e32 v1, v1, v138
	v_add_f32_e32 v5, v2, v18
	s_delay_alu instid0(VALU_DEP_2) | instskip(NEXT) | instid1(VALU_DEP_1)
	v_add_f32_e32 v1, v1, v139
	v_add_f32_e32 v1, v1, v140
	s_delay_alu instid0(VALU_DEP_1) | instskip(NEXT) | instid1(VALU_DEP_1)
	v_add_f32_e32 v1, v1, v141
	v_add_f32_e32 v1, v1, v13
	v_add_f32_e32 v13, v5, v19
	s_delay_alu instid0(VALU_DEP_2) | instskip(NEXT) | instid1(VALU_DEP_2)
	v_add_f32_e32 v1, v1, v14
	v_add_f32_e32 v13, v13, v20
	s_delay_alu instid0(VALU_DEP_2) | instskip(NEXT) | instid1(VALU_DEP_1)
	v_add_f32_e32 v1, v1, v16
	v_add_f32_e32 v1, v1, v17
	s_delay_alu instid0(VALU_DEP_1)
	v_add_f32_e32 v6, v1, v144
	scratch_load_b128 v[1:4], off, off offset:352
	v_dual_add_f32 v13, v13, v147 :: v_dual_add_f32 v14, v6, v145
	ds_load_b128 v[5:8], v21 offset:768
	v_add_f32_e32 v18, v13, v148
	v_add_f32_e32 v14, v14, v149
	s_delay_alu instid0(VALU_DEP_2) | instskip(NEXT) | instid1(VALU_DEP_2)
	v_add_f32_e32 v18, v18, v151
	v_add_f32_e32 v17, v14, v150
	ds_load_b128 v[13:16], v21 offset:784
	v_add_f32_e32 v18, v18, v153
	s_wait_loadcnt_dscnt 0x101
	s_delay_alu instid0(VALU_DEP_1) | instskip(SKIP_3) | instid1(VALU_DEP_4)
	v_dual_add_f32 v131, v18, v155 :: v_dual_mul_f32 v24, v5, v10
	v_mul_f32_e32 v10, v6, v10
	v_mul_f32_e32 v140, v7, v12
	;; [unrolled: 1-line block ×3, first 2 shown]
	v_add_f32_e32 v134, v131, v157
	v_fmac_f32_e32 v24, v6, v9
	v_fma_f32 v141, v5, v9, -v10
	v_fmac_f32_e32 v140, v8, v11
	v_fma_f32 v142, v7, v11, -v12
	scratch_load_b128 v[5:8], off, off offset:368
	v_add_f32_e32 v134, v134, v159
	scratch_load_b128 v[9:12], off, off offset:384
	v_add_f32_e32 v134, v134, v161
	s_wait_loadcnt_dscnt 0x200
	v_mul_f32_e32 v144, v15, v4
	v_add_f32_e32 v17, v17, v152
	v_dual_mul_f32 v4, v16, v4 :: v_dual_mul_f32 v143, v13, v2
	v_mul_f32_e32 v2, v14, v2
	s_delay_alu instid0(VALU_DEP_3) | instskip(NEXT) | instid1(VALU_DEP_3)
	v_dual_fmac_f32 v144, v16, v3 :: v_dual_add_f32 v17, v17, v154
	v_fma_f32 v146, v15, v3, -v4
	s_delay_alu instid0(VALU_DEP_3) | instskip(SKIP_1) | instid1(VALU_DEP_4)
	v_fma_f32 v145, v13, v1, -v2
	v_add_f32_e32 v13, v134, v163
	v_add_f32_e32 v17, v17, v156
	s_delay_alu instid0(VALU_DEP_2) | instskip(NEXT) | instid1(VALU_DEP_2)
	v_add_f32_e32 v134, v13, v165
	v_add_f32_e32 v132, v17, v158
	scratch_load_b128 v[17:20], off, off offset:400
	v_add_f32_e32 v139, v134, v167
	v_add_f32_e32 v135, v132, v160
	scratch_load_b64 v[131:132], off, off offset:416
	v_add_f32_e32 v148, v139, v169
	s_delay_alu instid0(VALU_DEP_1) | instskip(NEXT) | instid1(VALU_DEP_1)
	v_dual_add_f32 v135, v135, v162 :: v_dual_add_f32 v24, v148, v24
	v_add_f32_e32 v135, v135, v164
	v_fmac_f32_e32 v143, v14, v1
	ds_load_b128 v[1:4], v21 offset:800
	v_add_f32_e32 v24, v24, v140
	v_add_f32_e32 v14, v135, v166
	ds_load_b128 v[134:137], v21 offset:832
	v_add_f32_e32 v24, v24, v143
	v_add_f32_e32 v138, v14, v168
	ds_load_b128 v[13:16], v21 offset:816
	v_dual_add_f32 v24, v24, v144 :: v_dual_add_f32 v147, v138, v170
	ds_load_b64 v[138:139], v21 offset:848
	s_wait_loadcnt_dscnt 0x303
	v_mul_f32_e32 v140, v3, v8
	v_add_f32_e32 v141, v147, v141
	v_dual_mul_f32 v147, v1, v6 :: v_dual_mul_f32 v8, v4, v8
	v_mul_f32_e32 v6, v2, v6
	s_delay_alu instid0(VALU_DEP_3) | instskip(NEXT) | instid1(VALU_DEP_3)
	v_dual_fmac_f32 v140, v4, v7 :: v_dual_add_f32 v141, v141, v142
	v_fmac_f32_e32 v147, v2, v5
	s_delay_alu instid0(VALU_DEP_4) | instskip(NEXT) | instid1(VALU_DEP_4)
	v_fma_f32 v2, v3, v7, -v8
	v_fma_f32 v1, v1, v5, -v6
	s_wait_loadcnt_dscnt 0x201
	v_dual_mul_f32 v142, v13, v10 :: v_dual_mul_f32 v143, v15, v12
	v_add_f32_e32 v141, v141, v145
	v_dual_mul_f32 v3, v14, v10 :: v_dual_add_f32 v4, v24, v147
	s_delay_alu instid0(VALU_DEP_3) | instskip(NEXT) | instid1(VALU_DEP_3)
	v_dual_mul_f32 v5, v16, v12 :: v_dual_fmac_f32 v142, v14, v9
	v_add_f32_e32 v141, v141, v146
	v_fmac_f32_e32 v143, v16, v11
	s_delay_alu instid0(VALU_DEP_4) | instskip(NEXT) | instid1(VALU_DEP_4)
	v_fma_f32 v3, v13, v9, -v3
	v_fma_f32 v5, v15, v11, -v5
	s_wait_loadcnt 0x1
	v_dual_mul_f32 v145, v134, v18 :: v_dual_mul_f32 v146, v136, v20
	s_wait_loadcnt_dscnt 0x0
	v_dual_mul_f32 v144, v138, v132 :: v_dual_add_f32 v1, v141, v1
	s_delay_alu instid0(VALU_DEP_2) | instskip(NEXT) | instid1(VALU_DEP_2)
	v_dual_fmac_f32 v145, v135, v17 :: v_dual_fmac_f32 v146, v137, v19
	v_dual_fmac_f32 v144, v139, v131 :: v_dual_add_f32 v1, v1, v2
	v_add_f32_e32 v2, v4, v140
	s_delay_alu instid0(VALU_DEP_1) | instskip(NEXT) | instid1(VALU_DEP_1)
	v_add_f32_e32 v2, v2, v142
	v_add_f32_e32 v2, v2, v143
	s_delay_alu instid0(VALU_DEP_4) | instskip(NEXT) | instid1(VALU_DEP_2)
	v_dual_mul_f32 v4, v135, v18 :: v_dual_add_f32 v1, v1, v3
	v_dual_mul_f32 v3, v137, v20 :: v_dual_add_f32 v2, v2, v145
	s_delay_alu instid0(VALU_DEP_2) | instskip(NEXT) | instid1(VALU_DEP_3)
	v_fma_f32 v4, v134, v17, -v4
	v_add_f32_e32 v1, v1, v5
	v_mul_f32_e32 v5, v139, v132
	s_delay_alu instid0(VALU_DEP_4) | instskip(SKIP_1) | instid1(VALU_DEP_1)
	v_fma_f32 v3, v136, v19, -v3
	v_add_f32_e32 v2, v2, v146
	v_add_f32_e32 v2, v2, v144
	;; [unrolled: 1-line block ×3, first 2 shown]
	v_fma_f32 v4, v138, v131, -v5
	s_delay_alu instid0(VALU_DEP_2) | instskip(NEXT) | instid1(VALU_DEP_1)
	v_dual_sub_f32 v2, v23, v2 :: v_dual_add_f32 v1, v1, v3
	v_add_f32_e32 v1, v1, v4
	s_delay_alu instid0(VALU_DEP_1)
	v_sub_f32_e32 v1, v22, v1
	scratch_store_b64 off, v[1:2], off offset:136
	v_cmpx_lt_u32_e32 16, v0
	s_cbranch_execz .LBB116_299
; %bb.298:
	scratch_load_b64 v[1:2], off, off offset:128
	v_mov_b32_e32 v22, v21
	scratch_store_b64 off, v[21:22], off offset:128
	s_wait_loadcnt 0x0
	ds_store_b64 v133, v[1:2]
.LBB116_299:
	s_wait_alu 0xfffe
	s_or_b32 exec_lo, exec_lo, s0
	s_wait_storecnt_dscnt 0x0
	s_barrier_signal -1
	s_barrier_wait -1
	global_inv scope:SCOPE_SE
	s_clause 0x4
	scratch_load_b128 v[5:8], off, off offset:136
	scratch_load_b128 v[1:4], off, off offset:152
	;; [unrolled: 1-line block ×5, first 2 shown]
	ds_load_2addr_b64 v[134:137], v21 offset0:71 offset1:72
	ds_load_2addr_b64 v[138:141], v21 offset0:73 offset1:74
	;; [unrolled: 1-line block ×3, first 2 shown]
	scratch_load_b64 v[131:132], off, off offset:128
	s_mov_b32 s0, exec_lo
	s_wait_loadcnt_dscnt 0x502
	v_mul_f32_e32 v22, v135, v6
	v_dual_mul_f32 v23, v134, v6 :: v_dual_mul_f32 v24, v136, v8
	v_mul_f32_e32 v6, v137, v8
	s_delay_alu instid0(VALU_DEP_3) | instskip(NEXT) | instid1(VALU_DEP_3)
	v_fma_f32 v22, v134, v5, -v22
	v_dual_fmac_f32 v23, v135, v5 :: v_dual_fmac_f32 v24, v137, v7
	s_wait_loadcnt_dscnt 0x401
	v_mul_f32_e32 v135, v138, v2
	v_fma_f32 v134, v136, v7, -v6
	ds_load_2addr_b64 v[5:8], v21 offset0:77 offset1:78
	s_wait_loadcnt_dscnt 0x301
	v_dual_mul_f32 v136, v140, v4 :: v_dual_mul_f32 v137, v142, v10
	v_dual_mul_f32 v4, v141, v4 :: v_dual_fmac_f32 v135, v139, v1
	v_mul_f32_e32 v10, v143, v10
	s_delay_alu instid0(VALU_DEP_3)
	v_dual_mul_f32 v146, v144, v12 :: v_dual_fmac_f32 v137, v143, v9
	v_mul_f32_e32 v12, v145, v12
	v_mul_f32_e32 v2, v139, v2
	v_fmac_f32_e32 v136, v141, v3
	v_fma_f32 v139, v140, v3, -v4
	v_fma_f32 v140, v142, v9, -v10
	v_fmac_f32_e32 v146, v145, v11
	v_fma_f32 v141, v144, v11, -v12
	ds_load_2addr_b64 v[9:12], v21 offset0:79 offset1:80
	s_wait_loadcnt_dscnt 0x201
	v_mul_f32_e32 v142, v5, v14
	v_dual_mul_f32 v14, v6, v14 :: v_dual_mul_f32 v143, v7, v16
	v_mul_f32_e32 v16, v8, v16
	s_delay_alu instid0(VALU_DEP_3) | instskip(NEXT) | instid1(VALU_DEP_3)
	v_fmac_f32_e32 v142, v6, v13
	v_fma_f32 v13, v5, v13, -v14
	s_delay_alu instid0(VALU_DEP_4) | instskip(NEXT) | instid1(VALU_DEP_4)
	v_fmac_f32_e32 v143, v8, v15
	v_fma_f32 v14, v7, v15, -v16
	ds_load_2addr_b64 v[5:8], v21 offset0:81 offset1:82
	s_wait_loadcnt_dscnt 0x101
	v_mul_f32_e32 v15, v9, v18
	v_mul_f32_e32 v16, v10, v18
	;; [unrolled: 1-line block ×3, first 2 shown]
	s_delay_alu instid0(VALU_DEP_3)
	v_dual_mul_f32 v20, v12, v20 :: v_dual_fmac_f32 v15, v10, v17
	v_fma_f32 v138, v138, v1, -v2
	scratch_load_b128 v[1:4], off, off offset:216
	v_fma_f32 v16, v9, v17, -v16
	v_fmac_f32_e32 v18, v12, v19
	v_fma_f32 v17, v11, v19, -v20
	scratch_load_b128 v[9:12], off, off offset:232
	s_wait_loadcnt_dscnt 0x100
	v_mul_f32_e32 v19, v5, v2
	v_mul_f32_e32 v2, v6, v2
	;; [unrolled: 1-line block ×3, first 2 shown]
	s_delay_alu instid0(VALU_DEP_3) | instskip(NEXT) | instid1(VALU_DEP_3)
	v_dual_mul_f32 v4, v8, v4 :: v_dual_fmac_f32 v19, v6, v1
	v_fma_f32 v144, v5, v1, -v2
	s_delay_alu instid0(VALU_DEP_3) | instskip(NEXT) | instid1(VALU_DEP_3)
	v_fmac_f32_e32 v20, v8, v3
	v_fma_f32 v145, v7, v3, -v4
	ds_load_2addr_b64 v[1:4], v21 offset0:83 offset1:84
	ds_load_2addr_b64 v[5:8], v21 offset0:85 offset1:86
	s_wait_loadcnt_dscnt 0x1
	v_mul_f32_e32 v147, v1, v10
	v_mul_f32_e32 v10, v2, v10
	s_delay_alu instid0(VALU_DEP_2) | instskip(NEXT) | instid1(VALU_DEP_2)
	v_dual_mul_f32 v148, v3, v12 :: v_dual_fmac_f32 v147, v2, v9
	v_fma_f32 v149, v1, v9, -v10
	v_mul_f32_e32 v1, v4, v12
	s_delay_alu instid0(VALU_DEP_3) | instskip(NEXT) | instid1(VALU_DEP_2)
	v_fmac_f32_e32 v148, v4, v11
	v_fma_f32 v150, v3, v11, -v1
	s_clause 0x1
	scratch_load_b128 v[1:4], off, off offset:248
	scratch_load_b128 v[9:12], off, off offset:264
	s_wait_loadcnt_dscnt 0x100
	v_mul_f32_e32 v151, v5, v2
	v_dual_mul_f32 v2, v6, v2 :: v_dual_mul_f32 v153, v7, v4
	s_delay_alu instid0(VALU_DEP_2) | instskip(NEXT) | instid1(VALU_DEP_2)
	v_fmac_f32_e32 v151, v6, v1
	v_fma_f32 v152, v5, v1, -v2
	v_mul_f32_e32 v1, v8, v4
	s_delay_alu instid0(VALU_DEP_4) | instskip(NEXT) | instid1(VALU_DEP_2)
	v_fmac_f32_e32 v153, v8, v3
	v_fma_f32 v154, v7, v3, -v1
	ds_load_2addr_b64 v[1:4], v21 offset0:87 offset1:88
	ds_load_2addr_b64 v[5:8], v21 offset0:89 offset1:90
	s_wait_loadcnt_dscnt 0x1
	v_mul_f32_e32 v155, v1, v10
	v_mul_f32_e32 v157, v3, v12
	s_delay_alu instid0(VALU_DEP_2) | instskip(NEXT) | instid1(VALU_DEP_2)
	v_fmac_f32_e32 v155, v2, v9
	v_dual_mul_f32 v2, v2, v10 :: v_dual_fmac_f32 v157, v4, v11
	s_delay_alu instid0(VALU_DEP_1) | instskip(SKIP_1) | instid1(VALU_DEP_1)
	v_fma_f32 v156, v1, v9, -v2
	v_mul_f32_e32 v1, v4, v12
	v_fma_f32 v158, v3, v11, -v1
	s_clause 0x1
	scratch_load_b128 v[1:4], off, off offset:280
	scratch_load_b128 v[9:12], off, off offset:296
	s_wait_loadcnt_dscnt 0x100
	v_mul_f32_e32 v159, v5, v2
	v_dual_mul_f32 v2, v6, v2 :: v_dual_mul_f32 v161, v7, v4
	s_delay_alu instid0(VALU_DEP_2) | instskip(NEXT) | instid1(VALU_DEP_2)
	v_fmac_f32_e32 v159, v6, v1
	v_fma_f32 v160, v5, v1, -v2
	v_mul_f32_e32 v1, v8, v4
	s_delay_alu instid0(VALU_DEP_4) | instskip(NEXT) | instid1(VALU_DEP_2)
	v_fmac_f32_e32 v161, v8, v3
	v_fma_f32 v162, v7, v3, -v1
	ds_load_2addr_b64 v[1:4], v21 offset0:91 offset1:92
	ds_load_2addr_b64 v[5:8], v21 offset0:93 offset1:94
	s_wait_loadcnt_dscnt 0x1
	v_mul_f32_e32 v163, v1, v10
	v_mul_f32_e32 v165, v3, v12
	s_delay_alu instid0(VALU_DEP_2) | instskip(NEXT) | instid1(VALU_DEP_2)
	v_fmac_f32_e32 v163, v2, v9
	v_dual_mul_f32 v2, v2, v10 :: v_dual_fmac_f32 v165, v4, v11
	s_delay_alu instid0(VALU_DEP_1) | instskip(SKIP_1) | instid1(VALU_DEP_1)
	v_fma_f32 v164, v1, v9, -v2
	v_mul_f32_e32 v1, v4, v12
	;; [unrolled: 25-line block ×3, first 2 shown]
	v_fma_f32 v174, v3, v11, -v1
	s_clause 0x1
	scratch_load_b128 v[1:4], off, off offset:344
	scratch_load_b128 v[9:12], off, off offset:360
	s_wait_loadcnt_dscnt 0x100
	v_mul_f32_e32 v175, v5, v2
	v_mul_f32_e32 v2, v6, v2
	s_delay_alu instid0(VALU_DEP_1) | instskip(SKIP_1) | instid1(VALU_DEP_1)
	v_fma_f32 v176, v5, v1, -v2
	v_add_f32_e32 v2, 0, v23
	v_add_f32_e32 v2, v2, v24
	s_delay_alu instid0(VALU_DEP_1) | instskip(NEXT) | instid1(VALU_DEP_1)
	v_add_f32_e32 v2, v2, v135
	v_add_f32_e32 v2, v2, v136
	s_delay_alu instid0(VALU_DEP_1) | instskip(NEXT) | instid1(VALU_DEP_1)
	;; [unrolled: 3-line block ×3, first 2 shown]
	v_add_f32_e32 v2, v2, v142
	v_add_f32_e32 v2, v2, v143
	s_delay_alu instid0(VALU_DEP_1) | instskip(SKIP_1) | instid1(VALU_DEP_2)
	v_add_f32_e32 v2, v2, v15
	v_fmac_f32_e32 v175, v6, v1
	v_dual_mul_f32 v177, v7, v4 :: v_dual_add_f32 v2, v2, v18
	s_delay_alu instid0(VALU_DEP_1) | instskip(NEXT) | instid1(VALU_DEP_1)
	v_dual_mul_f32 v1, v8, v4 :: v_dual_add_f32 v2, v2, v19
	v_fma_f32 v178, v7, v3, -v1
	v_add_f32_e32 v1, 0, v22
	s_delay_alu instid0(VALU_DEP_3) | instskip(NEXT) | instid1(VALU_DEP_2)
	v_dual_fmac_f32 v177, v8, v3 :: v_dual_add_f32 v2, v2, v20
	v_add_f32_e32 v1, v1, v134
	s_delay_alu instid0(VALU_DEP_2) | instskip(NEXT) | instid1(VALU_DEP_2)
	v_add_f32_e32 v5, v2, v147
	v_add_f32_e32 v1, v1, v138
	s_delay_alu instid0(VALU_DEP_2) | instskip(NEXT) | instid1(VALU_DEP_2)
	v_add_f32_e32 v5, v5, v148
	v_add_f32_e32 v1, v1, v139
	s_delay_alu instid0(VALU_DEP_2) | instskip(NEXT) | instid1(VALU_DEP_2)
	v_add_f32_e32 v5, v5, v151
	v_add_f32_e32 v1, v1, v140
	s_delay_alu instid0(VALU_DEP_1) | instskip(NEXT) | instid1(VALU_DEP_1)
	v_add_f32_e32 v1, v1, v141
	v_add_f32_e32 v1, v1, v13
	s_delay_alu instid0(VALU_DEP_1) | instskip(SKIP_1) | instid1(VALU_DEP_1)
	v_add_f32_e32 v1, v1, v14
	v_add_f32_e32 v14, v5, v153
	v_dual_add_f32 v1, v1, v16 :: v_dual_add_f32 v14, v14, v155
	s_delay_alu instid0(VALU_DEP_1) | instskip(NEXT) | instid1(VALU_DEP_1)
	v_add_f32_e32 v1, v1, v17
	v_dual_add_f32 v14, v14, v157 :: v_dual_add_f32 v1, v1, v144
	s_delay_alu instid0(VALU_DEP_1) | instskip(NEXT) | instid1(VALU_DEP_2)
	v_add_f32_e32 v17, v14, v159
	v_add_f32_e32 v1, v1, v145
	s_delay_alu instid0(VALU_DEP_2) | instskip(NEXT) | instid1(VALU_DEP_2)
	v_add_f32_e32 v17, v17, v161
	v_add_f32_e32 v1, v1, v149
	s_delay_alu instid0(VALU_DEP_1) | instskip(SKIP_2) | instid1(VALU_DEP_1)
	v_add_f32_e32 v6, v1, v150
	ds_load_2addr_b64 v[1:4], v21 offset0:99 offset1:100
	v_dual_add_f32 v17, v17, v163 :: v_dual_add_f32 v6, v6, v152
	v_add_f32_e32 v17, v17, v165
	s_delay_alu instid0(VALU_DEP_2)
	v_add_f32_e32 v13, v6, v154
	ds_load_2addr_b64 v[5:8], v21 offset0:101 offset1:102
	s_wait_loadcnt_dscnt 0x1
	v_mul_f32_e32 v134, v1, v10
	v_dual_mul_f32 v10, v2, v10 :: v_dual_mul_f32 v135, v3, v12
	v_dual_mul_f32 v12, v4, v12 :: v_dual_add_f32 v23, v17, v167
	s_delay_alu instid0(VALU_DEP_3) | instskip(NEXT) | instid1(VALU_DEP_3)
	v_dual_fmac_f32 v134, v2, v9 :: v_dual_add_f32 v13, v13, v156
	v_fma_f32 v136, v1, v9, -v10
	s_delay_alu instid0(VALU_DEP_3) | instskip(NEXT) | instid1(VALU_DEP_4)
	v_fma_f32 v137, v3, v11, -v12
	v_add_f32_e32 v139, v23, v169
	s_delay_alu instid0(VALU_DEP_4) | instskip(NEXT) | instid1(VALU_DEP_1)
	v_add_f32_e32 v13, v13, v158
	v_add_f32_e32 v13, v13, v160
	s_delay_alu instid0(VALU_DEP_1) | instskip(SKIP_2) | instid1(VALU_DEP_1)
	v_add_f32_e32 v18, v13, v162
	scratch_load_b128 v[13:16], off, off offset:408
	v_add_f32_e32 v18, v18, v164
	v_add_f32_e32 v18, v18, v166
	s_delay_alu instid0(VALU_DEP_1)
	v_add_f32_e32 v22, v18, v168
	ds_load_2addr_b64 v[17:20], v21 offset0:103 offset1:104
	v_add_f32_e32 v138, v22, v170
	ds_load_2addr_b64 v[21:24], v21 offset0:105 offset1:106
	v_fmac_f32_e32 v135, v4, v11
	s_clause 0x1
	scratch_load_b128 v[1:4], off, off offset:376
	scratch_load_b128 v[9:12], off, off offset:392
	v_add_f32_e32 v138, v138, v172
	s_delay_alu instid0(VALU_DEP_1) | instskip(NEXT) | instid1(VALU_DEP_1)
	v_add_f32_e32 v138, v138, v174
	v_add_f32_e32 v138, v138, v176
	s_delay_alu instid0(VALU_DEP_1) | instskip(NEXT) | instid1(VALU_DEP_1)
	v_add_f32_e32 v138, v138, v178
	v_add_f32_e32 v136, v138, v136
	s_wait_loadcnt_dscnt 0x200
	v_mul_f32_e32 v138, v23, v16
	v_mul_f32_e32 v144, v21, v14
	s_delay_alu instid0(VALU_DEP_2) | instskip(SKIP_1) | instid1(VALU_DEP_2)
	v_fmac_f32_e32 v138, v24, v15
	s_wait_loadcnt 0x1
	v_dual_fmac_f32 v144, v22, v13 :: v_dual_mul_f32 v141, v7, v4
	s_wait_loadcnt 0x0
	v_dual_mul_f32 v143, v19, v12 :: v_dual_mul_f32 v140, v5, v2
	v_mul_f32_e32 v2, v6, v2
	v_mul_f32_e32 v4, v8, v4
	v_fmac_f32_e32 v141, v8, v3
	v_add_f32_e32 v139, v139, v171
	v_fmac_f32_e32 v143, v20, v11
	v_fma_f32 v2, v5, v1, -v2
	v_fmac_f32_e32 v140, v6, v1
	v_add_f32_e32 v1, v136, v137
	v_dual_add_f32 v139, v139, v173 :: v_dual_mul_f32 v142, v17, v10
	v_mul_f32_e32 v6, v18, v10
	v_fma_f32 v3, v7, v3, -v4
	s_delay_alu instid0(VALU_DEP_4) | instskip(NEXT) | instid1(VALU_DEP_4)
	v_add_f32_e32 v1, v1, v2
	v_dual_add_f32 v139, v139, v175 :: v_dual_mul_f32 v4, v20, v12
	s_delay_alu instid0(VALU_DEP_2) | instskip(NEXT) | instid1(VALU_DEP_2)
	v_dual_fmac_f32 v142, v18, v9 :: v_dual_add_f32 v1, v1, v3
	v_add_f32_e32 v139, v139, v177
	v_mul_f32_e32 v3, v22, v14
	s_delay_alu instid0(VALU_DEP_4) | instskip(NEXT) | instid1(VALU_DEP_3)
	v_fma_f32 v4, v19, v11, -v4
	v_add_f32_e32 v134, v139, v134
	s_delay_alu instid0(VALU_DEP_3) | instskip(NEXT) | instid1(VALU_DEP_2)
	v_fma_f32 v3, v21, v13, -v3
	v_add_f32_e32 v5, v134, v135
	s_delay_alu instid0(VALU_DEP_1) | instskip(SKIP_1) | instid1(VALU_DEP_2)
	v_add_f32_e32 v2, v5, v140
	v_fma_f32 v5, v17, v9, -v6
	v_add_f32_e32 v2, v2, v141
	s_delay_alu instid0(VALU_DEP_2) | instskip(NEXT) | instid1(VALU_DEP_2)
	v_add_f32_e32 v1, v1, v5
	v_dual_mul_f32 v5, v24, v16 :: v_dual_add_f32 v2, v2, v142
	s_delay_alu instid0(VALU_DEP_2) | instskip(NEXT) | instid1(VALU_DEP_2)
	v_add_f32_e32 v1, v1, v4
	v_fma_f32 v4, v23, v15, -v5
	s_delay_alu instid0(VALU_DEP_3) | instskip(NEXT) | instid1(VALU_DEP_1)
	v_add_f32_e32 v2, v2, v143
	v_dual_add_f32 v1, v1, v3 :: v_dual_add_f32 v2, v2, v144
	s_delay_alu instid0(VALU_DEP_1) | instskip(NEXT) | instid1(VALU_DEP_1)
	v_dual_add_f32 v1, v1, v4 :: v_dual_add_f32 v2, v2, v138
	v_dual_sub_f32 v1, v131, v1 :: v_dual_sub_f32 v2, v132, v2
	scratch_store_b64 off, v[1:2], off offset:128
	v_cmpx_lt_u32_e32 15, v0
	s_cbranch_execz .LBB116_301
; %bb.300:
	scratch_load_b64 v[1:2], off, off offset:120
	v_mov_b32_e32 v3, 0
	s_delay_alu instid0(VALU_DEP_1)
	v_mov_b32_e32 v4, v3
	scratch_store_b64 off, v[3:4], off offset:120
	s_wait_loadcnt 0x0
	ds_store_b64 v133, v[1:2]
.LBB116_301:
	s_wait_alu 0xfffe
	s_or_b32 exec_lo, exec_lo, s0
	s_wait_storecnt_dscnt 0x0
	s_barrier_signal -1
	s_barrier_wait -1
	global_inv scope:SCOPE_SE
	s_clause 0x4
	scratch_load_b128 v[5:8], off, off offset:128
	scratch_load_b128 v[1:4], off, off offset:144
	;; [unrolled: 1-line block ×5, first 2 shown]
	v_mov_b32_e32 v21, 0
	ds_load_b128 v[134:137], v21 offset:560
	ds_load_b128 v[138:141], v21 offset:576
	;; [unrolled: 1-line block ×3, first 2 shown]
	scratch_load_b64 v[22:23], off, off offset:120
	s_mov_b32 s0, exec_lo
	s_wait_loadcnt_dscnt 0x502
	v_mul_f32_e32 v24, v135, v6
	v_dual_mul_f32 v131, v134, v6 :: v_dual_mul_f32 v132, v136, v8
	v_mul_f32_e32 v6, v137, v8
	s_delay_alu instid0(VALU_DEP_3) | instskip(NEXT) | instid1(VALU_DEP_3)
	v_fma_f32 v24, v134, v5, -v24
	v_dual_fmac_f32 v131, v135, v5 :: v_dual_fmac_f32 v132, v137, v7
	s_wait_loadcnt_dscnt 0x401
	v_mul_f32_e32 v135, v138, v2
	v_fma_f32 v134, v136, v7, -v6
	ds_load_b128 v[5:8], v21 offset:608
	s_wait_loadcnt_dscnt 0x301
	v_dual_mul_f32 v136, v140, v4 :: v_dual_mul_f32 v137, v142, v10
	v_dual_mul_f32 v4, v141, v4 :: v_dual_fmac_f32 v135, v139, v1
	v_mul_f32_e32 v10, v143, v10
	s_delay_alu instid0(VALU_DEP_3)
	v_dual_mul_f32 v146, v144, v12 :: v_dual_fmac_f32 v137, v143, v9
	v_mul_f32_e32 v12, v145, v12
	v_mul_f32_e32 v2, v139, v2
	v_fmac_f32_e32 v136, v141, v3
	v_fma_f32 v139, v140, v3, -v4
	v_fma_f32 v140, v142, v9, -v10
	v_fmac_f32_e32 v146, v145, v11
	v_fma_f32 v141, v144, v11, -v12
	ds_load_b128 v[9:12], v21 offset:624
	s_wait_loadcnt_dscnt 0x201
	v_dual_mul_f32 v143, v7, v16 :: v_dual_mul_f32 v142, v5, v14
	v_mul_f32_e32 v14, v6, v14
	v_mul_f32_e32 v16, v8, v16
	s_delay_alu instid0(VALU_DEP_3)
	v_fmac_f32_e32 v143, v8, v15
	v_fma_f32 v138, v138, v1, -v2
	scratch_load_b128 v[1:4], off, off offset:208
	v_fmac_f32_e32 v142, v6, v13
	v_fma_f32 v13, v5, v13, -v14
	v_fma_f32 v14, v7, v15, -v16
	ds_load_b128 v[5:8], v21 offset:640
	s_wait_loadcnt_dscnt 0x201
	v_mul_f32_e32 v15, v9, v18
	v_mul_f32_e32 v16, v10, v18
	;; [unrolled: 1-line block ×3, first 2 shown]
	s_delay_alu instid0(VALU_DEP_3) | instskip(NEXT) | instid1(VALU_DEP_3)
	v_dual_mul_f32 v20, v12, v20 :: v_dual_fmac_f32 v15, v10, v17
	v_fma_f32 v16, v9, v17, -v16
	s_delay_alu instid0(VALU_DEP_3) | instskip(NEXT) | instid1(VALU_DEP_3)
	v_fmac_f32_e32 v18, v12, v19
	v_fma_f32 v17, v11, v19, -v20
	scratch_load_b128 v[9:12], off, off offset:224
	s_wait_loadcnt_dscnt 0x100
	v_mul_f32_e32 v19, v5, v2
	v_mul_f32_e32 v2, v6, v2
	;; [unrolled: 1-line block ×3, first 2 shown]
	s_delay_alu instid0(VALU_DEP_3) | instskip(NEXT) | instid1(VALU_DEP_3)
	v_dual_mul_f32 v4, v8, v4 :: v_dual_fmac_f32 v19, v6, v1
	v_fma_f32 v144, v5, v1, -v2
	s_delay_alu instid0(VALU_DEP_3) | instskip(NEXT) | instid1(VALU_DEP_3)
	v_fmac_f32_e32 v20, v8, v3
	v_fma_f32 v145, v7, v3, -v4
	ds_load_b128 v[1:4], v21 offset:656
	ds_load_b128 v[5:8], v21 offset:672
	s_wait_loadcnt_dscnt 0x1
	v_mul_f32_e32 v147, v1, v10
	v_mul_f32_e32 v10, v2, v10
	s_delay_alu instid0(VALU_DEP_2) | instskip(NEXT) | instid1(VALU_DEP_2)
	v_dual_mul_f32 v148, v3, v12 :: v_dual_fmac_f32 v147, v2, v9
	v_fma_f32 v149, v1, v9, -v10
	v_mul_f32_e32 v1, v4, v12
	s_delay_alu instid0(VALU_DEP_3) | instskip(NEXT) | instid1(VALU_DEP_2)
	v_fmac_f32_e32 v148, v4, v11
	v_fma_f32 v150, v3, v11, -v1
	s_clause 0x1
	scratch_load_b128 v[1:4], off, off offset:240
	scratch_load_b128 v[9:12], off, off offset:256
	s_wait_loadcnt_dscnt 0x100
	v_mul_f32_e32 v151, v5, v2
	v_dual_mul_f32 v2, v6, v2 :: v_dual_mul_f32 v153, v7, v4
	s_delay_alu instid0(VALU_DEP_2) | instskip(NEXT) | instid1(VALU_DEP_2)
	v_fmac_f32_e32 v151, v6, v1
	v_fma_f32 v152, v5, v1, -v2
	v_mul_f32_e32 v1, v8, v4
	s_delay_alu instid0(VALU_DEP_4) | instskip(NEXT) | instid1(VALU_DEP_2)
	v_fmac_f32_e32 v153, v8, v3
	v_fma_f32 v154, v7, v3, -v1
	ds_load_b128 v[1:4], v21 offset:688
	ds_load_b128 v[5:8], v21 offset:704
	s_wait_loadcnt_dscnt 0x1
	v_mul_f32_e32 v155, v1, v10
	v_mul_f32_e32 v157, v3, v12
	s_delay_alu instid0(VALU_DEP_2) | instskip(NEXT) | instid1(VALU_DEP_2)
	v_fmac_f32_e32 v155, v2, v9
	v_dual_mul_f32 v2, v2, v10 :: v_dual_fmac_f32 v157, v4, v11
	s_delay_alu instid0(VALU_DEP_1) | instskip(SKIP_1) | instid1(VALU_DEP_1)
	v_fma_f32 v156, v1, v9, -v2
	v_mul_f32_e32 v1, v4, v12
	v_fma_f32 v158, v3, v11, -v1
	s_clause 0x1
	scratch_load_b128 v[1:4], off, off offset:272
	scratch_load_b128 v[9:12], off, off offset:288
	s_wait_loadcnt_dscnt 0x100
	v_mul_f32_e32 v159, v5, v2
	v_dual_mul_f32 v161, v7, v4 :: v_dual_mul_f32 v2, v6, v2
	s_delay_alu instid0(VALU_DEP_2) | instskip(NEXT) | instid1(VALU_DEP_2)
	v_fmac_f32_e32 v159, v6, v1
	v_fmac_f32_e32 v161, v8, v3
	s_delay_alu instid0(VALU_DEP_3) | instskip(SKIP_1) | instid1(VALU_DEP_1)
	v_fma_f32 v160, v5, v1, -v2
	v_mul_f32_e32 v1, v8, v4
	v_fma_f32 v162, v7, v3, -v1
	ds_load_b128 v[1:4], v21 offset:720
	ds_load_b128 v[5:8], v21 offset:736
	s_wait_loadcnt_dscnt 0x1
	v_mul_f32_e32 v163, v1, v10
	v_mul_f32_e32 v165, v3, v12
	s_delay_alu instid0(VALU_DEP_2) | instskip(NEXT) | instid1(VALU_DEP_2)
	v_fmac_f32_e32 v163, v2, v9
	v_dual_mul_f32 v2, v2, v10 :: v_dual_fmac_f32 v165, v4, v11
	s_delay_alu instid0(VALU_DEP_1) | instskip(SKIP_1) | instid1(VALU_DEP_1)
	v_fma_f32 v164, v1, v9, -v2
	v_mul_f32_e32 v1, v4, v12
	v_fma_f32 v166, v3, v11, -v1
	s_clause 0x1
	scratch_load_b128 v[1:4], off, off offset:304
	scratch_load_b128 v[9:12], off, off offset:320
	s_wait_loadcnt_dscnt 0x100
	v_mul_f32_e32 v167, v5, v2
	v_dual_mul_f32 v2, v6, v2 :: v_dual_mul_f32 v169, v7, v4
	s_delay_alu instid0(VALU_DEP_2) | instskip(NEXT) | instid1(VALU_DEP_2)
	v_fmac_f32_e32 v167, v6, v1
	v_fma_f32 v168, v5, v1, -v2
	v_mul_f32_e32 v1, v8, v4
	s_delay_alu instid0(VALU_DEP_4) | instskip(NEXT) | instid1(VALU_DEP_2)
	v_fmac_f32_e32 v169, v8, v3
	v_fma_f32 v170, v7, v3, -v1
	ds_load_b128 v[1:4], v21 offset:752
	ds_load_b128 v[5:8], v21 offset:768
	s_wait_loadcnt_dscnt 0x1
	v_mul_f32_e32 v171, v1, v10
	v_mul_f32_e32 v173, v3, v12
	s_delay_alu instid0(VALU_DEP_2) | instskip(NEXT) | instid1(VALU_DEP_2)
	v_fmac_f32_e32 v171, v2, v9
	v_dual_mul_f32 v2, v2, v10 :: v_dual_fmac_f32 v173, v4, v11
	s_delay_alu instid0(VALU_DEP_1) | instskip(SKIP_1) | instid1(VALU_DEP_1)
	v_fma_f32 v172, v1, v9, -v2
	v_mul_f32_e32 v1, v4, v12
	v_fma_f32 v174, v3, v11, -v1
	s_clause 0x1
	scratch_load_b128 v[1:4], off, off offset:336
	scratch_load_b128 v[9:12], off, off offset:352
	s_wait_loadcnt_dscnt 0x100
	v_mul_f32_e32 v175, v5, v2
	v_mul_f32_e32 v2, v6, v2
	s_delay_alu instid0(VALU_DEP_1) | instskip(SKIP_1) | instid1(VALU_DEP_1)
	v_fma_f32 v176, v5, v1, -v2
	v_add_f32_e32 v2, 0, v131
	v_add_f32_e32 v2, v2, v132
	scratch_load_b64 v[131:132], off, off offset:416
	v_add_f32_e32 v2, v2, v135
	s_delay_alu instid0(VALU_DEP_1) | instskip(NEXT) | instid1(VALU_DEP_1)
	v_add_f32_e32 v2, v2, v136
	v_add_f32_e32 v2, v2, v137
	s_delay_alu instid0(VALU_DEP_1) | instskip(NEXT) | instid1(VALU_DEP_1)
	v_add_f32_e32 v2, v2, v146
	;; [unrolled: 3-line block ×3, first 2 shown]
	v_dual_add_f32 v2, v2, v15 :: v_dual_mul_f32 v177, v7, v4
	s_delay_alu instid0(VALU_DEP_1) | instskip(NEXT) | instid1(VALU_DEP_1)
	v_add_f32_e32 v2, v2, v18
	v_add_f32_e32 v2, v2, v19
	s_delay_alu instid0(VALU_DEP_3) | instskip(SKIP_1) | instid1(VALU_DEP_3)
	v_fmac_f32_e32 v177, v8, v3
	v_fmac_f32_e32 v175, v6, v1
	v_add_f32_e32 v2, v2, v20
	s_delay_alu instid0(VALU_DEP_1) | instskip(NEXT) | instid1(VALU_DEP_1)
	v_add_f32_e32 v5, v2, v147
	v_add_f32_e32 v5, v5, v148
	s_delay_alu instid0(VALU_DEP_1) | instskip(SKIP_1) | instid1(VALU_DEP_1)
	v_add_f32_e32 v5, v5, v151
	v_mul_f32_e32 v1, v8, v4
	v_fma_f32 v178, v7, v3, -v1
	v_add_f32_e32 v1, 0, v24
	s_delay_alu instid0(VALU_DEP_1) | instskip(NEXT) | instid1(VALU_DEP_1)
	v_add_f32_e32 v1, v1, v134
	v_add_f32_e32 v1, v1, v138
	s_delay_alu instid0(VALU_DEP_1) | instskip(NEXT) | instid1(VALU_DEP_1)
	v_add_f32_e32 v1, v1, v139
	;; [unrolled: 3-line block ×3, first 2 shown]
	v_add_f32_e32 v1, v1, v13
	s_delay_alu instid0(VALU_DEP_1) | instskip(SKIP_1) | instid1(VALU_DEP_1)
	v_add_f32_e32 v1, v1, v14
	v_add_f32_e32 v14, v5, v153
	;; [unrolled: 1-line block ×3, first 2 shown]
	s_delay_alu instid0(VALU_DEP_1) | instskip(NEXT) | instid1(VALU_DEP_1)
	v_dual_add_f32 v14, v14, v157 :: v_dual_add_f32 v1, v1, v16
	v_add_f32_e32 v1, v1, v17
	s_delay_alu instid0(VALU_DEP_1) | instskip(NEXT) | instid1(VALU_DEP_1)
	v_add_f32_e32 v1, v1, v144
	v_add_f32_e32 v1, v1, v145
	s_delay_alu instid0(VALU_DEP_1) | instskip(NEXT) | instid1(VALU_DEP_1)
	v_add_f32_e32 v1, v1, v149
	v_add_f32_e32 v6, v1, v150
	ds_load_b128 v[1:4], v21 offset:784
	v_add_f32_e32 v6, v6, v152
	s_delay_alu instid0(VALU_DEP_1)
	v_add_f32_e32 v13, v6, v154
	ds_load_b128 v[5:8], v21 offset:800
	s_wait_loadcnt_dscnt 0x101
	v_mul_f32_e32 v24, v1, v10
	v_mul_f32_e32 v10, v2, v10
	;; [unrolled: 1-line block ×4, first 2 shown]
	s_delay_alu instid0(VALU_DEP_4) | instskip(NEXT) | instid1(VALU_DEP_4)
	v_fmac_f32_e32 v24, v2, v9
	v_fma_f32 v141, v1, v9, -v10
	s_delay_alu instid0(VALU_DEP_4) | instskip(NEXT) | instid1(VALU_DEP_4)
	v_fmac_f32_e32 v140, v4, v11
	v_fma_f32 v142, v3, v11, -v12
	s_clause 0x1
	scratch_load_b128 v[1:4], off, off offset:368
	scratch_load_b128 v[9:12], off, off offset:384
	s_wait_loadcnt_dscnt 0x100
	v_dual_add_f32 v17, v14, v159 :: v_dual_mul_f32 v146, v7, v4
	s_delay_alu instid0(VALU_DEP_1)
	v_add_f32_e32 v17, v17, v161
	v_mul_f32_e32 v145, v5, v2
	v_mul_f32_e32 v2, v6, v2
	;; [unrolled: 1-line block ×3, first 2 shown]
	v_fmac_f32_e32 v146, v8, v3
	v_add_f32_e32 v17, v17, v163
	v_fmac_f32_e32 v145, v6, v1
	v_fma_f32 v2, v5, v1, -v2
	v_fma_f32 v1, v7, v3, -v4
	s_delay_alu instid0(VALU_DEP_4) | instskip(NEXT) | instid1(VALU_DEP_1)
	v_add_f32_e32 v17, v17, v165
	v_add_f32_e32 v17, v17, v167
	s_delay_alu instid0(VALU_DEP_1) | instskip(SKIP_1) | instid1(VALU_DEP_2)
	v_add_f32_e32 v134, v17, v169
	v_add_f32_e32 v13, v13, v156
	;; [unrolled: 1-line block ×3, first 2 shown]
	s_delay_alu instid0(VALU_DEP_2) | instskip(SKIP_2) | instid1(VALU_DEP_1)
	v_add_f32_e32 v13, v13, v158
	ds_load_b128 v[134:137], v21 offset:832
	v_add_f32_e32 v144, v139, v173
	v_add_f32_e32 v144, v144, v175
	s_delay_alu instid0(VALU_DEP_1) | instskip(NEXT) | instid1(VALU_DEP_1)
	v_add_f32_e32 v144, v144, v177
	v_add_f32_e32 v24, v144, v24
	s_delay_alu instid0(VALU_DEP_1) | instskip(NEXT) | instid1(VALU_DEP_1)
	v_add_f32_e32 v24, v24, v140
	v_dual_add_f32 v13, v13, v160 :: v_dual_add_f32 v4, v24, v145
	s_delay_alu instid0(VALU_DEP_1) | instskip(SKIP_2) | instid1(VALU_DEP_1)
	v_add_f32_e32 v18, v13, v162
	scratch_load_b128 v[13:16], off, off offset:400
	v_add_f32_e32 v18, v18, v164
	v_add_f32_e32 v18, v18, v166
	s_delay_alu instid0(VALU_DEP_1) | instskip(NEXT) | instid1(VALU_DEP_1)
	v_add_f32_e32 v18, v18, v168
	v_add_f32_e32 v18, v18, v170
	s_delay_alu instid0(VALU_DEP_1)
	v_add_f32_e32 v138, v18, v172
	ds_load_b128 v[17:20], v21 offset:816
	s_wait_loadcnt_dscnt 0x100
	v_dual_mul_f32 v144, v19, v12 :: v_dual_add_f32 v143, v138, v174
	ds_load_b64 v[138:139], v21 offset:848
	v_dual_mul_f32 v3, v18, v10 :: v_dual_fmac_f32 v144, v20, v11
	v_add_f32_e32 v143, v143, v176
	s_delay_alu instid0(VALU_DEP_2) | instskip(NEXT) | instid1(VALU_DEP_2)
	v_fma_f32 v3, v17, v9, -v3
	v_add_f32_e32 v143, v143, v178
	s_wait_dscnt 0x0
	s_delay_alu instid0(VALU_DEP_1) | instskip(NEXT) | instid1(VALU_DEP_1)
	v_dual_add_f32 v141, v143, v141 :: v_dual_mul_f32 v140, v138, v132
	v_dual_add_f32 v141, v141, v142 :: v_dual_fmac_f32 v140, v139, v131
	s_delay_alu instid0(VALU_DEP_1) | instskip(NEXT) | instid1(VALU_DEP_1)
	v_add_f32_e32 v2, v141, v2
	v_dual_add_f32 v1, v2, v1 :: v_dual_add_f32 v2, v4, v146
	s_wait_loadcnt 0x0
	v_dual_mul_f32 v142, v136, v16 :: v_dual_mul_f32 v147, v134, v14
	v_mul_f32_e32 v4, v135, v14
	s_delay_alu instid0(VALU_DEP_2) | instskip(SKIP_1) | instid1(VALU_DEP_3)
	v_dual_fmac_f32 v142, v137, v15 :: v_dual_fmac_f32 v147, v135, v13
	v_mul_f32_e32 v143, v17, v10
	v_fma_f32 v4, v134, v13, -v4
	s_delay_alu instid0(VALU_DEP_2) | instskip(NEXT) | instid1(VALU_DEP_1)
	v_fmac_f32_e32 v143, v18, v9
	v_add_f32_e32 v2, v2, v143
	s_delay_alu instid0(VALU_DEP_1) | instskip(NEXT) | instid1(VALU_DEP_1)
	v_add_f32_e32 v2, v2, v144
	v_dual_add_f32 v2, v2, v147 :: v_dual_mul_f32 v5, v20, v12
	s_delay_alu instid0(VALU_DEP_1) | instskip(NEXT) | instid1(VALU_DEP_2)
	v_add_f32_e32 v2, v2, v142
	v_fma_f32 v5, v19, v11, -v5
	v_add_f32_e32 v1, v1, v3
	v_mul_f32_e32 v3, v137, v16
	s_delay_alu instid0(VALU_DEP_2) | instskip(SKIP_1) | instid1(VALU_DEP_3)
	v_dual_add_f32 v2, v2, v140 :: v_dual_add_f32 v1, v1, v5
	v_mul_f32_e32 v5, v139, v132
	v_fma_f32 v3, v136, v15, -v3
	s_delay_alu instid0(VALU_DEP_3) | instskip(NEXT) | instid1(VALU_DEP_3)
	v_dual_sub_f32 v2, v23, v2 :: v_dual_add_f32 v1, v1, v4
	v_fma_f32 v4, v138, v131, -v5
	s_delay_alu instid0(VALU_DEP_2) | instskip(NEXT) | instid1(VALU_DEP_1)
	v_add_f32_e32 v1, v1, v3
	v_add_f32_e32 v1, v1, v4
	s_delay_alu instid0(VALU_DEP_1)
	v_sub_f32_e32 v1, v22, v1
	scratch_store_b64 off, v[1:2], off offset:120
	v_cmpx_lt_u32_e32 14, v0
	s_cbranch_execz .LBB116_303
; %bb.302:
	scratch_load_b64 v[1:2], off, off offset:112
	v_mov_b32_e32 v22, v21
	scratch_store_b64 off, v[21:22], off offset:112
	s_wait_loadcnt 0x0
	ds_store_b64 v133, v[1:2]
.LBB116_303:
	s_wait_alu 0xfffe
	s_or_b32 exec_lo, exec_lo, s0
	s_wait_storecnt_dscnt 0x0
	s_barrier_signal -1
	s_barrier_wait -1
	global_inv scope:SCOPE_SE
	s_clause 0x4
	scratch_load_b128 v[5:8], off, off offset:120
	scratch_load_b128 v[1:4], off, off offset:136
	;; [unrolled: 1-line block ×5, first 2 shown]
	ds_load_2addr_b64 v[134:137], v21 offset0:69 offset1:70
	ds_load_2addr_b64 v[138:141], v21 offset0:71 offset1:72
	;; [unrolled: 1-line block ×3, first 2 shown]
	scratch_load_b64 v[131:132], off, off offset:112
	s_mov_b32 s0, exec_lo
	s_wait_loadcnt_dscnt 0x502
	v_mul_f32_e32 v22, v135, v6
	v_dual_mul_f32 v23, v134, v6 :: v_dual_mul_f32 v24, v136, v8
	v_mul_f32_e32 v6, v137, v8
	s_delay_alu instid0(VALU_DEP_3) | instskip(NEXT) | instid1(VALU_DEP_3)
	v_fma_f32 v22, v134, v5, -v22
	v_dual_fmac_f32 v23, v135, v5 :: v_dual_fmac_f32 v24, v137, v7
	s_wait_loadcnt_dscnt 0x401
	v_mul_f32_e32 v135, v138, v2
	v_fma_f32 v134, v136, v7, -v6
	ds_load_2addr_b64 v[5:8], v21 offset0:75 offset1:76
	s_wait_loadcnt_dscnt 0x301
	v_dual_mul_f32 v136, v140, v4 :: v_dual_mul_f32 v137, v142, v10
	v_dual_mul_f32 v4, v141, v4 :: v_dual_fmac_f32 v135, v139, v1
	v_mul_f32_e32 v10, v143, v10
	s_delay_alu instid0(VALU_DEP_3)
	v_dual_mul_f32 v146, v144, v12 :: v_dual_fmac_f32 v137, v143, v9
	v_mul_f32_e32 v12, v145, v12
	v_mul_f32_e32 v2, v139, v2
	v_fmac_f32_e32 v136, v141, v3
	v_fma_f32 v139, v140, v3, -v4
	v_fma_f32 v140, v142, v9, -v10
	v_fmac_f32_e32 v146, v145, v11
	v_fma_f32 v141, v144, v11, -v12
	ds_load_2addr_b64 v[9:12], v21 offset0:77 offset1:78
	s_wait_loadcnt_dscnt 0x201
	v_mul_f32_e32 v142, v5, v14
	v_dual_mul_f32 v14, v6, v14 :: v_dual_mul_f32 v143, v7, v16
	v_mul_f32_e32 v16, v8, v16
	s_delay_alu instid0(VALU_DEP_3) | instskip(NEXT) | instid1(VALU_DEP_3)
	v_fmac_f32_e32 v142, v6, v13
	v_fma_f32 v13, v5, v13, -v14
	s_delay_alu instid0(VALU_DEP_4) | instskip(NEXT) | instid1(VALU_DEP_4)
	v_fmac_f32_e32 v143, v8, v15
	v_fma_f32 v14, v7, v15, -v16
	ds_load_2addr_b64 v[5:8], v21 offset0:79 offset1:80
	s_wait_loadcnt_dscnt 0x101
	v_mul_f32_e32 v15, v9, v18
	v_mul_f32_e32 v16, v10, v18
	;; [unrolled: 1-line block ×3, first 2 shown]
	s_delay_alu instid0(VALU_DEP_3)
	v_dual_mul_f32 v20, v12, v20 :: v_dual_fmac_f32 v15, v10, v17
	v_fma_f32 v138, v138, v1, -v2
	scratch_load_b128 v[1:4], off, off offset:200
	v_fma_f32 v16, v9, v17, -v16
	v_fmac_f32_e32 v18, v12, v19
	v_fma_f32 v17, v11, v19, -v20
	scratch_load_b128 v[9:12], off, off offset:216
	s_wait_loadcnt_dscnt 0x100
	v_mul_f32_e32 v19, v5, v2
	v_mul_f32_e32 v2, v6, v2
	;; [unrolled: 1-line block ×3, first 2 shown]
	s_delay_alu instid0(VALU_DEP_3) | instskip(NEXT) | instid1(VALU_DEP_3)
	v_dual_mul_f32 v4, v8, v4 :: v_dual_fmac_f32 v19, v6, v1
	v_fma_f32 v144, v5, v1, -v2
	s_delay_alu instid0(VALU_DEP_3) | instskip(NEXT) | instid1(VALU_DEP_3)
	v_fmac_f32_e32 v20, v8, v3
	v_fma_f32 v145, v7, v3, -v4
	ds_load_2addr_b64 v[1:4], v21 offset0:81 offset1:82
	ds_load_2addr_b64 v[5:8], v21 offset0:83 offset1:84
	s_wait_loadcnt_dscnt 0x1
	v_mul_f32_e32 v147, v1, v10
	v_mul_f32_e32 v10, v2, v10
	s_delay_alu instid0(VALU_DEP_2) | instskip(NEXT) | instid1(VALU_DEP_2)
	v_dual_mul_f32 v148, v3, v12 :: v_dual_fmac_f32 v147, v2, v9
	v_fma_f32 v149, v1, v9, -v10
	v_mul_f32_e32 v1, v4, v12
	s_delay_alu instid0(VALU_DEP_3) | instskip(NEXT) | instid1(VALU_DEP_2)
	v_fmac_f32_e32 v148, v4, v11
	v_fma_f32 v150, v3, v11, -v1
	s_clause 0x1
	scratch_load_b128 v[1:4], off, off offset:232
	scratch_load_b128 v[9:12], off, off offset:248
	s_wait_loadcnt_dscnt 0x100
	v_mul_f32_e32 v151, v5, v2
	v_dual_mul_f32 v2, v6, v2 :: v_dual_mul_f32 v153, v7, v4
	s_delay_alu instid0(VALU_DEP_2) | instskip(NEXT) | instid1(VALU_DEP_2)
	v_fmac_f32_e32 v151, v6, v1
	v_fma_f32 v152, v5, v1, -v2
	v_mul_f32_e32 v1, v8, v4
	s_delay_alu instid0(VALU_DEP_4) | instskip(NEXT) | instid1(VALU_DEP_2)
	v_fmac_f32_e32 v153, v8, v3
	v_fma_f32 v154, v7, v3, -v1
	ds_load_2addr_b64 v[1:4], v21 offset0:85 offset1:86
	ds_load_2addr_b64 v[5:8], v21 offset0:87 offset1:88
	s_wait_loadcnt_dscnt 0x1
	v_mul_f32_e32 v155, v1, v10
	v_mul_f32_e32 v157, v3, v12
	s_delay_alu instid0(VALU_DEP_2) | instskip(NEXT) | instid1(VALU_DEP_2)
	v_fmac_f32_e32 v155, v2, v9
	v_dual_mul_f32 v2, v2, v10 :: v_dual_fmac_f32 v157, v4, v11
	s_delay_alu instid0(VALU_DEP_1) | instskip(SKIP_1) | instid1(VALU_DEP_1)
	v_fma_f32 v156, v1, v9, -v2
	v_mul_f32_e32 v1, v4, v12
	v_fma_f32 v158, v3, v11, -v1
	s_clause 0x1
	scratch_load_b128 v[1:4], off, off offset:264
	scratch_load_b128 v[9:12], off, off offset:280
	s_wait_loadcnt_dscnt 0x100
	v_mul_f32_e32 v159, v5, v2
	v_dual_mul_f32 v2, v6, v2 :: v_dual_mul_f32 v161, v7, v4
	s_delay_alu instid0(VALU_DEP_2) | instskip(NEXT) | instid1(VALU_DEP_2)
	v_fmac_f32_e32 v159, v6, v1
	v_fma_f32 v160, v5, v1, -v2
	v_mul_f32_e32 v1, v8, v4
	s_delay_alu instid0(VALU_DEP_4) | instskip(NEXT) | instid1(VALU_DEP_2)
	v_fmac_f32_e32 v161, v8, v3
	v_fma_f32 v162, v7, v3, -v1
	ds_load_2addr_b64 v[1:4], v21 offset0:89 offset1:90
	ds_load_2addr_b64 v[5:8], v21 offset0:91 offset1:92
	s_wait_loadcnt_dscnt 0x1
	v_mul_f32_e32 v163, v1, v10
	v_mul_f32_e32 v165, v3, v12
	s_delay_alu instid0(VALU_DEP_2) | instskip(NEXT) | instid1(VALU_DEP_2)
	v_fmac_f32_e32 v163, v2, v9
	v_dual_mul_f32 v2, v2, v10 :: v_dual_fmac_f32 v165, v4, v11
	s_delay_alu instid0(VALU_DEP_1) | instskip(SKIP_1) | instid1(VALU_DEP_1)
	v_fma_f32 v164, v1, v9, -v2
	v_mul_f32_e32 v1, v4, v12
	;; [unrolled: 25-line block ×3, first 2 shown]
	v_fma_f32 v174, v3, v11, -v1
	s_clause 0x1
	scratch_load_b128 v[1:4], off, off offset:328
	scratch_load_b128 v[9:12], off, off offset:344
	s_wait_loadcnt_dscnt 0x100
	v_mul_f32_e32 v175, v5, v2
	v_mul_f32_e32 v2, v6, v2
	s_delay_alu instid0(VALU_DEP_1) | instskip(SKIP_1) | instid1(VALU_DEP_1)
	v_fma_f32 v176, v5, v1, -v2
	v_add_f32_e32 v2, 0, v23
	v_add_f32_e32 v2, v2, v24
	s_delay_alu instid0(VALU_DEP_1) | instskip(NEXT) | instid1(VALU_DEP_1)
	v_add_f32_e32 v2, v2, v135
	v_add_f32_e32 v2, v2, v136
	s_delay_alu instid0(VALU_DEP_1) | instskip(NEXT) | instid1(VALU_DEP_1)
	;; [unrolled: 3-line block ×3, first 2 shown]
	v_add_f32_e32 v2, v2, v142
	v_add_f32_e32 v2, v2, v143
	s_delay_alu instid0(VALU_DEP_1) | instskip(SKIP_1) | instid1(VALU_DEP_2)
	v_dual_add_f32 v2, v2, v15 :: v_dual_mul_f32 v177, v7, v4
	v_fmac_f32_e32 v175, v6, v1
	v_dual_add_f32 v2, v2, v18 :: v_dual_mul_f32 v1, v8, v4
	s_delay_alu instid0(VALU_DEP_1) | instskip(NEXT) | instid1(VALU_DEP_4)
	v_add_f32_e32 v2, v2, v19
	v_fmac_f32_e32 v177, v8, v3
	s_delay_alu instid0(VALU_DEP_3) | instskip(NEXT) | instid1(VALU_DEP_3)
	v_fma_f32 v178, v7, v3, -v1
	v_dual_add_f32 v2, v2, v20 :: v_dual_add_f32 v1, 0, v22
	s_delay_alu instid0(VALU_DEP_1) | instskip(NEXT) | instid1(VALU_DEP_1)
	v_dual_add_f32 v2, v2, v147 :: v_dual_add_f32 v1, v1, v134
	v_add_f32_e32 v5, v2, v148
	s_delay_alu instid0(VALU_DEP_2) | instskip(NEXT) | instid1(VALU_DEP_1)
	v_add_f32_e32 v1, v1, v138
	v_add_f32_e32 v1, v1, v139
	s_delay_alu instid0(VALU_DEP_1) | instskip(NEXT) | instid1(VALU_DEP_1)
	v_add_f32_e32 v1, v1, v140
	v_add_f32_e32 v1, v1, v141
	s_delay_alu instid0(VALU_DEP_1) | instskip(SKIP_1) | instid1(VALU_DEP_2)
	v_add_f32_e32 v1, v1, v13
	v_add_f32_e32 v13, v5, v151
	;; [unrolled: 1-line block ×3, first 2 shown]
	s_delay_alu instid0(VALU_DEP_2) | instskip(NEXT) | instid1(VALU_DEP_1)
	v_add_f32_e32 v13, v13, v153
	v_add_f32_e32 v13, v13, v155
	s_delay_alu instid0(VALU_DEP_1) | instskip(NEXT) | instid1(VALU_DEP_1)
	v_add_f32_e32 v18, v13, v157
	v_dual_add_f32 v18, v18, v159 :: v_dual_add_f32 v1, v1, v16
	s_delay_alu instid0(VALU_DEP_1) | instskip(NEXT) | instid1(VALU_DEP_2)
	v_add_f32_e32 v18, v18, v161
	v_add_f32_e32 v1, v1, v17
	s_delay_alu instid0(VALU_DEP_1) | instskip(NEXT) | instid1(VALU_DEP_1)
	v_add_f32_e32 v1, v1, v144
	v_add_f32_e32 v1, v1, v145
	s_delay_alu instid0(VALU_DEP_1) | instskip(NEXT) | instid1(VALU_DEP_1)
	v_add_f32_e32 v1, v1, v149
	v_add_f32_e32 v1, v1, v150
	s_delay_alu instid0(VALU_DEP_1)
	v_add_f32_e32 v6, v1, v152
	ds_load_2addr_b64 v[1:4], v21 offset0:97 offset1:98
	v_add_f32_e32 v22, v18, v163
	v_add_f32_e32 v14, v6, v154
	scratch_load_b128 v[5:8], off, off offset:360
	v_add_f32_e32 v22, v22, v165
	v_add_f32_e32 v14, v14, v156
	s_delay_alu instid0(VALU_DEP_1)
	v_add_f32_e32 v17, v14, v158
	ds_load_2addr_b64 v[13:16], v21 offset0:99 offset1:100
	s_wait_loadcnt_dscnt 0x101
	v_mul_f32_e32 v134, v1, v10
	v_dual_mul_f32 v10, v2, v10 :: v_dual_mul_f32 v135, v3, v12
	v_mul_f32_e32 v12, v4, v12
	v_add_f32_e32 v22, v22, v167
	s_delay_alu instid0(VALU_DEP_4) | instskip(NEXT) | instid1(VALU_DEP_4)
	v_fmac_f32_e32 v134, v2, v9
	v_fma_f32 v136, v1, v9, -v10
	v_fmac_f32_e32 v135, v4, v11
	v_fma_f32 v137, v3, v11, -v12
	s_clause 0x1
	scratch_load_b128 v[1:4], off, off offset:376
	scratch_load_b128 v[9:12], off, off offset:392
	v_add_f32_e32 v17, v17, v160
	s_delay_alu instid0(VALU_DEP_1) | instskip(NEXT) | instid1(VALU_DEP_1)
	v_add_f32_e32 v17, v17, v162
	v_add_f32_e32 v17, v17, v164
	s_delay_alu instid0(VALU_DEP_1)
	v_add_f32_e32 v23, v17, v166
	scratch_load_b128 v[17:20], off, off offset:408
	s_wait_loadcnt_dscnt 0x300
	v_mul_f32_e32 v138, v13, v6
	v_dual_mul_f32 v6, v14, v6 :: v_dual_mul_f32 v139, v15, v8
	v_mul_f32_e32 v8, v16, v8
	s_delay_alu instid0(VALU_DEP_3) | instskip(NEXT) | instid1(VALU_DEP_3)
	v_dual_fmac_f32 v138, v14, v5 :: v_dual_add_f32 v23, v23, v168
	v_fma_f32 v140, v13, v5, -v6
	s_delay_alu instid0(VALU_DEP_4) | instskip(NEXT) | instid1(VALU_DEP_4)
	v_fmac_f32_e32 v139, v16, v7
	v_fma_f32 v141, v15, v7, -v8
	ds_load_2addr_b64 v[5:8], v21 offset0:101 offset1:102
	v_add_f32_e32 v23, v23, v170
	s_delay_alu instid0(VALU_DEP_1) | instskip(NEXT) | instid1(VALU_DEP_1)
	v_dual_add_f32 v13, v22, v169 :: v_dual_add_f32 v22, v23, v172
	v_add_f32_e32 v142, v22, v174
	s_delay_alu instid0(VALU_DEP_1) | instskip(NEXT) | instid1(VALU_DEP_1)
	v_add_f32_e32 v142, v142, v176
	v_add_f32_e32 v142, v142, v178
	s_delay_alu instid0(VALU_DEP_1) | instskip(NEXT) | instid1(VALU_DEP_1)
	v_add_f32_e32 v136, v142, v136
	v_add_f32_e32 v136, v136, v137
	s_delay_alu instid0(VALU_DEP_1)
	v_dual_add_f32 v136, v136, v140 :: v_dual_add_f32 v23, v13, v171
	ds_load_2addr_b64 v[13:16], v21 offset0:103 offset1:104
	s_wait_loadcnt_dscnt 0x201
	v_mul_f32_e32 v144, v5, v2
	v_mul_f32_e32 v142, v7, v4
	;; [unrolled: 1-line block ×4, first 2 shown]
	s_delay_alu instid0(VALU_DEP_4) | instskip(NEXT) | instid1(VALU_DEP_4)
	v_fmac_f32_e32 v144, v6, v1
	v_fmac_f32_e32 v142, v8, v3
	s_delay_alu instid0(VALU_DEP_4) | instskip(NEXT) | instid1(VALU_DEP_4)
	v_fma_f32 v3, v7, v3, -v4
	v_fma_f32 v2, v5, v1, -v2
	v_add_f32_e32 v1, v136, v141
	s_wait_loadcnt_dscnt 0x100
	v_mul_f32_e32 v145, v15, v12
	v_dual_mul_f32 v4, v16, v12 :: v_dual_add_f32 v143, v23, v173
	ds_load_2addr_b64 v[21:24], v21 offset0:105 offset1:106
	v_dual_mul_f32 v6, v14, v10 :: v_dual_fmac_f32 v145, v16, v11
	v_fma_f32 v4, v15, v11, -v4
	v_add_f32_e32 v143, v143, v175
	s_delay_alu instid0(VALU_DEP_1) | instskip(NEXT) | instid1(VALU_DEP_1)
	v_add_f32_e32 v143, v143, v177
	v_add_f32_e32 v134, v143, v134
	s_delay_alu instid0(VALU_DEP_1) | instskip(SKIP_2) | instid1(VALU_DEP_2)
	v_dual_mul_f32 v143, v13, v10 :: v_dual_add_f32 v134, v134, v135
	s_wait_loadcnt_dscnt 0x0
	v_mul_f32_e32 v137, v23, v20
	v_fmac_f32_e32 v143, v14, v9
	s_delay_alu instid0(VALU_DEP_2) | instskip(SKIP_1) | instid1(VALU_DEP_2)
	v_dual_add_f32 v134, v134, v138 :: v_dual_fmac_f32 v137, v24, v19
	v_add_f32_e32 v1, v1, v2
	v_add_f32_e32 v5, v134, v139
	s_delay_alu instid0(VALU_DEP_1) | instskip(SKIP_1) | instid1(VALU_DEP_2)
	v_add_f32_e32 v2, v5, v144
	v_fma_f32 v5, v13, v9, -v6
	v_add_f32_e32 v2, v2, v142
	s_delay_alu instid0(VALU_DEP_1) | instskip(NEXT) | instid1(VALU_DEP_1)
	v_dual_mul_f32 v135, v21, v18 :: v_dual_add_f32 v2, v2, v143
	v_fmac_f32_e32 v135, v22, v17
	s_delay_alu instid0(VALU_DEP_2) | instskip(NEXT) | instid1(VALU_DEP_1)
	v_add_f32_e32 v2, v2, v145
	v_add_f32_e32 v2, v2, v135
	s_delay_alu instid0(VALU_DEP_1) | instskip(SKIP_1) | instid1(VALU_DEP_2)
	v_dual_add_f32 v2, v2, v137 :: v_dual_add_f32 v1, v1, v3
	v_mul_f32_e32 v3, v22, v18
	v_dual_sub_f32 v2, v132, v2 :: v_dual_add_f32 v1, v1, v5
	v_mul_f32_e32 v5, v24, v20
	s_delay_alu instid0(VALU_DEP_3) | instskip(NEXT) | instid1(VALU_DEP_3)
	v_fma_f32 v3, v21, v17, -v3
	v_add_f32_e32 v1, v1, v4
	s_delay_alu instid0(VALU_DEP_3) | instskip(NEXT) | instid1(VALU_DEP_2)
	v_fma_f32 v4, v23, v19, -v5
	v_add_f32_e32 v1, v1, v3
	s_delay_alu instid0(VALU_DEP_1) | instskip(NEXT) | instid1(VALU_DEP_1)
	v_add_f32_e32 v1, v1, v4
	v_sub_f32_e32 v1, v131, v1
	scratch_store_b64 off, v[1:2], off offset:112
	v_cmpx_lt_u32_e32 13, v0
	s_cbranch_execz .LBB116_305
; %bb.304:
	scratch_load_b64 v[1:2], off, off offset:104
	v_mov_b32_e32 v3, 0
	s_delay_alu instid0(VALU_DEP_1)
	v_mov_b32_e32 v4, v3
	scratch_store_b64 off, v[3:4], off offset:104
	s_wait_loadcnt 0x0
	ds_store_b64 v133, v[1:2]
.LBB116_305:
	s_wait_alu 0xfffe
	s_or_b32 exec_lo, exec_lo, s0
	s_wait_storecnt_dscnt 0x0
	s_barrier_signal -1
	s_barrier_wait -1
	global_inv scope:SCOPE_SE
	s_clause 0x4
	scratch_load_b128 v[5:8], off, off offset:112
	scratch_load_b128 v[1:4], off, off offset:128
	scratch_load_b128 v[9:12], off, off offset:144
	scratch_load_b128 v[13:16], off, off offset:160
	scratch_load_b128 v[17:20], off, off offset:176
	v_mov_b32_e32 v21, 0
	ds_load_b128 v[134:137], v21 offset:544
	ds_load_b128 v[138:141], v21 offset:560
	ds_load_b128 v[142:145], v21 offset:576
	scratch_load_b64 v[22:23], off, off offset:104
	s_mov_b32 s0, exec_lo
	s_wait_loadcnt_dscnt 0x502
	v_mul_f32_e32 v24, v135, v6
	v_dual_mul_f32 v131, v134, v6 :: v_dual_mul_f32 v132, v136, v8
	v_mul_f32_e32 v6, v137, v8
	s_delay_alu instid0(VALU_DEP_3) | instskip(NEXT) | instid1(VALU_DEP_3)
	v_fma_f32 v24, v134, v5, -v24
	v_dual_fmac_f32 v131, v135, v5 :: v_dual_fmac_f32 v132, v137, v7
	s_wait_loadcnt_dscnt 0x401
	v_mul_f32_e32 v135, v138, v2
	v_fma_f32 v134, v136, v7, -v6
	ds_load_b128 v[5:8], v21 offset:592
	s_wait_loadcnt_dscnt 0x301
	v_dual_mul_f32 v136, v140, v4 :: v_dual_mul_f32 v137, v142, v10
	v_dual_mul_f32 v4, v141, v4 :: v_dual_fmac_f32 v135, v139, v1
	v_mul_f32_e32 v10, v143, v10
	s_delay_alu instid0(VALU_DEP_3)
	v_dual_mul_f32 v146, v144, v12 :: v_dual_fmac_f32 v137, v143, v9
	v_mul_f32_e32 v12, v145, v12
	v_mul_f32_e32 v2, v139, v2
	v_fmac_f32_e32 v136, v141, v3
	v_fma_f32 v139, v140, v3, -v4
	v_fma_f32 v140, v142, v9, -v10
	v_fmac_f32_e32 v146, v145, v11
	v_fma_f32 v141, v144, v11, -v12
	ds_load_b128 v[9:12], v21 offset:608
	s_wait_loadcnt_dscnt 0x201
	v_dual_mul_f32 v143, v7, v16 :: v_dual_mul_f32 v142, v5, v14
	v_mul_f32_e32 v14, v6, v14
	v_mul_f32_e32 v16, v8, v16
	s_delay_alu instid0(VALU_DEP_3)
	v_fmac_f32_e32 v143, v8, v15
	v_fma_f32 v138, v138, v1, -v2
	scratch_load_b128 v[1:4], off, off offset:192
	v_fmac_f32_e32 v142, v6, v13
	v_fma_f32 v13, v5, v13, -v14
	v_fma_f32 v14, v7, v15, -v16
	ds_load_b128 v[5:8], v21 offset:624
	s_wait_loadcnt_dscnt 0x201
	v_mul_f32_e32 v15, v9, v18
	v_mul_f32_e32 v16, v10, v18
	;; [unrolled: 1-line block ×3, first 2 shown]
	s_delay_alu instid0(VALU_DEP_3) | instskip(NEXT) | instid1(VALU_DEP_3)
	v_dual_mul_f32 v20, v12, v20 :: v_dual_fmac_f32 v15, v10, v17
	v_fma_f32 v16, v9, v17, -v16
	s_delay_alu instid0(VALU_DEP_3) | instskip(NEXT) | instid1(VALU_DEP_3)
	v_fmac_f32_e32 v18, v12, v19
	v_fma_f32 v17, v11, v19, -v20
	scratch_load_b128 v[9:12], off, off offset:208
	s_wait_loadcnt_dscnt 0x100
	v_mul_f32_e32 v19, v5, v2
	v_mul_f32_e32 v2, v6, v2
	;; [unrolled: 1-line block ×3, first 2 shown]
	s_delay_alu instid0(VALU_DEP_3) | instskip(NEXT) | instid1(VALU_DEP_3)
	v_dual_mul_f32 v4, v8, v4 :: v_dual_fmac_f32 v19, v6, v1
	v_fma_f32 v144, v5, v1, -v2
	s_delay_alu instid0(VALU_DEP_3) | instskip(NEXT) | instid1(VALU_DEP_3)
	v_fmac_f32_e32 v20, v8, v3
	v_fma_f32 v145, v7, v3, -v4
	ds_load_b128 v[1:4], v21 offset:640
	ds_load_b128 v[5:8], v21 offset:656
	s_wait_loadcnt_dscnt 0x1
	v_mul_f32_e32 v147, v1, v10
	v_mul_f32_e32 v10, v2, v10
	s_delay_alu instid0(VALU_DEP_2) | instskip(NEXT) | instid1(VALU_DEP_2)
	v_dual_mul_f32 v148, v3, v12 :: v_dual_fmac_f32 v147, v2, v9
	v_fma_f32 v149, v1, v9, -v10
	v_mul_f32_e32 v1, v4, v12
	s_delay_alu instid0(VALU_DEP_3) | instskip(NEXT) | instid1(VALU_DEP_2)
	v_fmac_f32_e32 v148, v4, v11
	v_fma_f32 v150, v3, v11, -v1
	s_clause 0x1
	scratch_load_b128 v[1:4], off, off offset:224
	scratch_load_b128 v[9:12], off, off offset:240
	s_wait_loadcnt_dscnt 0x100
	v_mul_f32_e32 v151, v5, v2
	v_dual_mul_f32 v2, v6, v2 :: v_dual_mul_f32 v153, v7, v4
	s_delay_alu instid0(VALU_DEP_2) | instskip(NEXT) | instid1(VALU_DEP_2)
	v_fmac_f32_e32 v151, v6, v1
	v_fma_f32 v152, v5, v1, -v2
	v_mul_f32_e32 v1, v8, v4
	s_delay_alu instid0(VALU_DEP_4) | instskip(NEXT) | instid1(VALU_DEP_2)
	v_fmac_f32_e32 v153, v8, v3
	v_fma_f32 v154, v7, v3, -v1
	ds_load_b128 v[1:4], v21 offset:672
	ds_load_b128 v[5:8], v21 offset:688
	s_wait_loadcnt_dscnt 0x1
	v_mul_f32_e32 v155, v1, v10
	v_mul_f32_e32 v157, v3, v12
	s_delay_alu instid0(VALU_DEP_2) | instskip(NEXT) | instid1(VALU_DEP_2)
	v_fmac_f32_e32 v155, v2, v9
	v_dual_mul_f32 v2, v2, v10 :: v_dual_fmac_f32 v157, v4, v11
	s_delay_alu instid0(VALU_DEP_1) | instskip(SKIP_1) | instid1(VALU_DEP_1)
	v_fma_f32 v156, v1, v9, -v2
	v_mul_f32_e32 v1, v4, v12
	v_fma_f32 v158, v3, v11, -v1
	s_clause 0x1
	scratch_load_b128 v[1:4], off, off offset:256
	scratch_load_b128 v[9:12], off, off offset:272
	s_wait_loadcnt_dscnt 0x100
	v_mul_f32_e32 v159, v5, v2
	v_dual_mul_f32 v161, v7, v4 :: v_dual_mul_f32 v2, v6, v2
	s_delay_alu instid0(VALU_DEP_2) | instskip(NEXT) | instid1(VALU_DEP_2)
	v_fmac_f32_e32 v159, v6, v1
	v_fmac_f32_e32 v161, v8, v3
	s_delay_alu instid0(VALU_DEP_3) | instskip(SKIP_1) | instid1(VALU_DEP_1)
	v_fma_f32 v160, v5, v1, -v2
	v_mul_f32_e32 v1, v8, v4
	v_fma_f32 v162, v7, v3, -v1
	ds_load_b128 v[1:4], v21 offset:704
	ds_load_b128 v[5:8], v21 offset:720
	s_wait_loadcnt_dscnt 0x1
	v_mul_f32_e32 v163, v1, v10
	v_mul_f32_e32 v165, v3, v12
	s_delay_alu instid0(VALU_DEP_2) | instskip(NEXT) | instid1(VALU_DEP_2)
	v_fmac_f32_e32 v163, v2, v9
	v_dual_mul_f32 v2, v2, v10 :: v_dual_fmac_f32 v165, v4, v11
	s_delay_alu instid0(VALU_DEP_1) | instskip(SKIP_1) | instid1(VALU_DEP_1)
	v_fma_f32 v164, v1, v9, -v2
	v_mul_f32_e32 v1, v4, v12
	v_fma_f32 v166, v3, v11, -v1
	s_clause 0x1
	scratch_load_b128 v[1:4], off, off offset:288
	scratch_load_b128 v[9:12], off, off offset:304
	s_wait_loadcnt_dscnt 0x100
	v_mul_f32_e32 v167, v5, v2
	v_dual_mul_f32 v2, v6, v2 :: v_dual_mul_f32 v169, v7, v4
	s_delay_alu instid0(VALU_DEP_2) | instskip(NEXT) | instid1(VALU_DEP_2)
	v_fmac_f32_e32 v167, v6, v1
	v_fma_f32 v168, v5, v1, -v2
	v_mul_f32_e32 v1, v8, v4
	s_delay_alu instid0(VALU_DEP_4) | instskip(NEXT) | instid1(VALU_DEP_2)
	v_fmac_f32_e32 v169, v8, v3
	v_fma_f32 v170, v7, v3, -v1
	ds_load_b128 v[1:4], v21 offset:736
	ds_load_b128 v[5:8], v21 offset:752
	s_wait_loadcnt_dscnt 0x1
	v_mul_f32_e32 v171, v1, v10
	v_mul_f32_e32 v173, v3, v12
	s_delay_alu instid0(VALU_DEP_2) | instskip(NEXT) | instid1(VALU_DEP_2)
	v_fmac_f32_e32 v171, v2, v9
	v_dual_mul_f32 v2, v2, v10 :: v_dual_fmac_f32 v173, v4, v11
	s_delay_alu instid0(VALU_DEP_1) | instskip(SKIP_1) | instid1(VALU_DEP_1)
	v_fma_f32 v172, v1, v9, -v2
	v_mul_f32_e32 v1, v4, v12
	v_fma_f32 v174, v3, v11, -v1
	s_clause 0x1
	scratch_load_b128 v[1:4], off, off offset:320
	scratch_load_b128 v[9:12], off, off offset:336
	s_wait_loadcnt_dscnt 0x100
	v_mul_f32_e32 v175, v5, v2
	v_mul_f32_e32 v2, v6, v2
	s_delay_alu instid0(VALU_DEP_1) | instskip(SKIP_1) | instid1(VALU_DEP_1)
	v_fma_f32 v176, v5, v1, -v2
	v_add_f32_e32 v2, 0, v131
	v_add_f32_e32 v2, v2, v132
	s_delay_alu instid0(VALU_DEP_1) | instskip(NEXT) | instid1(VALU_DEP_1)
	v_add_f32_e32 v2, v2, v135
	v_add_f32_e32 v2, v2, v136
	s_delay_alu instid0(VALU_DEP_1) | instskip(NEXT) | instid1(VALU_DEP_1)
	;; [unrolled: 3-line block ×4, first 2 shown]
	v_dual_add_f32 v2, v2, v15 :: v_dual_mul_f32 v177, v7, v4
	v_add_f32_e32 v2, v2, v18
	s_delay_alu instid0(VALU_DEP_1) | instskip(SKIP_1) | instid1(VALU_DEP_2)
	v_add_f32_e32 v2, v2, v19
	v_fmac_f32_e32 v175, v6, v1
	v_dual_fmac_f32 v177, v8, v3 :: v_dual_add_f32 v2, v2, v20
	s_delay_alu instid0(VALU_DEP_1) | instskip(NEXT) | instid1(VALU_DEP_1)
	v_dual_mul_f32 v1, v8, v4 :: v_dual_add_f32 v2, v2, v147
	v_fma_f32 v178, v7, v3, -v1
	v_add_f32_e32 v1, 0, v24
	s_delay_alu instid0(VALU_DEP_3) | instskip(NEXT) | instid1(VALU_DEP_2)
	v_add_f32_e32 v5, v2, v148
	v_add_f32_e32 v1, v1, v134
	s_delay_alu instid0(VALU_DEP_1) | instskip(NEXT) | instid1(VALU_DEP_1)
	v_add_f32_e32 v1, v1, v138
	v_add_f32_e32 v1, v1, v139
	s_delay_alu instid0(VALU_DEP_1) | instskip(NEXT) | instid1(VALU_DEP_1)
	v_add_f32_e32 v1, v1, v140
	v_add_f32_e32 v1, v1, v141
	s_delay_alu instid0(VALU_DEP_1) | instskip(SKIP_1) | instid1(VALU_DEP_1)
	v_add_f32_e32 v1, v1, v13
	v_add_f32_e32 v13, v5, v151
	;; [unrolled: 1-line block ×3, first 2 shown]
	s_delay_alu instid0(VALU_DEP_1) | instskip(NEXT) | instid1(VALU_DEP_1)
	v_add_f32_e32 v13, v13, v155
	v_add_f32_e32 v18, v13, v157
	s_delay_alu instid0(VALU_DEP_1) | instskip(NEXT) | instid1(VALU_DEP_1)
	v_dual_add_f32 v18, v18, v159 :: v_dual_add_f32 v1, v1, v14
	v_dual_add_f32 v18, v18, v161 :: v_dual_add_f32 v1, v1, v16
	s_delay_alu instid0(VALU_DEP_1) | instskip(NEXT) | instid1(VALU_DEP_1)
	v_add_f32_e32 v1, v1, v17
	v_add_f32_e32 v1, v1, v144
	s_delay_alu instid0(VALU_DEP_1) | instskip(NEXT) | instid1(VALU_DEP_1)
	v_add_f32_e32 v1, v1, v145
	v_add_f32_e32 v1, v1, v149
	;; [unrolled: 3-line block ×3, first 2 shown]
	scratch_load_b128 v[1:4], off, off offset:352
	v_add_f32_e32 v131, v18, v163
	v_add_f32_e32 v14, v6, v154
	ds_load_b128 v[5:8], v21 offset:768
	v_add_f32_e32 v134, v131, v165
	v_add_f32_e32 v14, v14, v156
	s_delay_alu instid0(VALU_DEP_1)
	v_add_f32_e32 v17, v14, v158
	ds_load_b128 v[13:16], v21 offset:784
	s_wait_loadcnt_dscnt 0x101
	v_mul_f32_e32 v24, v5, v10
	v_mul_f32_e32 v10, v6, v10
	;; [unrolled: 1-line block ×4, first 2 shown]
	v_add_f32_e32 v134, v134, v167
	v_fmac_f32_e32 v24, v6, v9
	v_fma_f32 v141, v5, v9, -v10
	v_fmac_f32_e32 v140, v8, v11
	v_fma_f32 v142, v7, v11, -v12
	scratch_load_b128 v[5:8], off, off offset:368
	v_add_f32_e32 v134, v134, v169
	scratch_load_b128 v[9:12], off, off offset:384
	s_wait_loadcnt_dscnt 0x200
	v_mul_f32_e32 v143, v13, v2
	v_mul_f32_e32 v2, v14, v2
	;; [unrolled: 1-line block ×3, first 2 shown]
	s_delay_alu instid0(VALU_DEP_3) | instskip(NEXT) | instid1(VALU_DEP_3)
	v_dual_mul_f32 v4, v16, v4 :: v_dual_fmac_f32 v143, v14, v1
	v_fma_f32 v145, v13, v1, -v2
	v_add_f32_e32 v13, v134, v171
	s_delay_alu instid0(VALU_DEP_4) | instskip(NEXT) | instid1(VALU_DEP_4)
	v_fmac_f32_e32 v144, v16, v3
	v_fma_f32 v146, v15, v3, -v4
	ds_load_b128 v[1:4], v21 offset:800
	v_add_f32_e32 v134, v13, v173
	v_add_f32_e32 v17, v17, v160
	s_delay_alu instid0(VALU_DEP_2) | instskip(NEXT) | instid1(VALU_DEP_1)
	v_add_f32_e32 v139, v134, v175
	v_dual_add_f32 v148, v139, v177 :: v_dual_add_f32 v17, v17, v162
	s_delay_alu instid0(VALU_DEP_1) | instskip(NEXT) | instid1(VALU_DEP_1)
	v_add_f32_e32 v24, v148, v24
	v_add_f32_e32 v24, v24, v140
	s_delay_alu instid0(VALU_DEP_1) | instskip(NEXT) | instid1(VALU_DEP_1)
	v_dual_add_f32 v17, v17, v164 :: v_dual_add_f32 v24, v24, v143
	v_add_f32_e32 v132, v17, v166
	scratch_load_b128 v[17:20], off, off offset:400
	v_add_f32_e32 v24, v24, v144
	v_add_f32_e32 v135, v132, v168
	scratch_load_b64 v[131:132], off, off offset:416
	v_add_f32_e32 v135, v135, v170
	s_delay_alu instid0(VALU_DEP_1) | instskip(NEXT) | instid1(VALU_DEP_1)
	v_add_f32_e32 v135, v135, v172
	v_add_f32_e32 v14, v135, v174
	ds_load_b128 v[134:137], v21 offset:832
	v_add_f32_e32 v138, v14, v176
	ds_load_b128 v[13:16], v21 offset:816
	s_wait_loadcnt_dscnt 0x302
	v_mul_f32_e32 v140, v3, v8
	v_mul_f32_e32 v8, v4, v8
	s_delay_alu instid0(VALU_DEP_2) | instskip(SKIP_3) | instid1(VALU_DEP_1)
	v_dual_fmac_f32 v140, v4, v7 :: v_dual_add_f32 v147, v138, v178
	ds_load_b64 v[138:139], v21 offset:848
	s_wait_loadcnt_dscnt 0x0
	v_dual_add_f32 v141, v147, v141 :: v_dual_mul_f32 v144, v138, v132
	v_add_f32_e32 v141, v141, v142
	v_mul_f32_e32 v142, v13, v10
	v_mul_f32_e32 v147, v1, v6
	;; [unrolled: 1-line block ×3, first 2 shown]
	v_fmac_f32_e32 v144, v139, v131
	s_delay_alu instid0(VALU_DEP_4) | instskip(NEXT) | instid1(VALU_DEP_4)
	v_fmac_f32_e32 v142, v14, v9
	v_fmac_f32_e32 v147, v2, v5
	s_delay_alu instid0(VALU_DEP_4) | instskip(SKIP_1) | instid1(VALU_DEP_3)
	v_fma_f32 v1, v1, v5, -v6
	v_fma_f32 v2, v3, v7, -v8
	v_dual_mul_f32 v3, v14, v10 :: v_dual_add_f32 v4, v24, v147
	v_add_f32_e32 v141, v141, v145
	s_delay_alu instid0(VALU_DEP_2) | instskip(NEXT) | instid1(VALU_DEP_2)
	v_fma_f32 v3, v13, v9, -v3
	v_dual_add_f32 v141, v141, v146 :: v_dual_mul_f32 v146, v136, v20
	s_delay_alu instid0(VALU_DEP_1) | instskip(NEXT) | instid1(VALU_DEP_2)
	v_dual_mul_f32 v145, v134, v18 :: v_dual_fmac_f32 v146, v137, v19
	v_add_f32_e32 v1, v141, v1
	s_delay_alu instid0(VALU_DEP_2) | instskip(NEXT) | instid1(VALU_DEP_2)
	v_fmac_f32_e32 v145, v135, v17
	v_dual_add_f32 v1, v1, v2 :: v_dual_add_f32 v2, v4, v140
	v_mul_f32_e32 v143, v15, v12
	v_mul_f32_e32 v4, v135, v18
	s_delay_alu instid0(VALU_DEP_2) | instskip(NEXT) | instid1(VALU_DEP_2)
	v_dual_add_f32 v2, v2, v142 :: v_dual_fmac_f32 v143, v16, v11
	v_fma_f32 v4, v134, v17, -v4
	s_delay_alu instid0(VALU_DEP_2) | instskip(NEXT) | instid1(VALU_DEP_1)
	v_dual_add_f32 v2, v2, v143 :: v_dual_mul_f32 v5, v16, v12
	v_add_f32_e32 v2, v2, v145
	s_delay_alu instid0(VALU_DEP_2) | instskip(NEXT) | instid1(VALU_DEP_2)
	v_fma_f32 v5, v15, v11, -v5
	v_add_f32_e32 v2, v2, v146
	s_delay_alu instid0(VALU_DEP_1) | instskip(NEXT) | instid1(VALU_DEP_1)
	v_dual_add_f32 v2, v2, v144 :: v_dual_add_f32 v1, v1, v3
	v_dual_mul_f32 v3, v137, v20 :: v_dual_sub_f32 v2, v23, v2
	s_delay_alu instid0(VALU_DEP_2) | instskip(SKIP_1) | instid1(VALU_DEP_3)
	v_add_f32_e32 v1, v1, v5
	v_mul_f32_e32 v5, v139, v132
	v_fma_f32 v3, v136, v19, -v3
	s_delay_alu instid0(VALU_DEP_3) | instskip(NEXT) | instid1(VALU_DEP_3)
	v_add_f32_e32 v1, v1, v4
	v_fma_f32 v4, v138, v131, -v5
	s_delay_alu instid0(VALU_DEP_2) | instskip(NEXT) | instid1(VALU_DEP_1)
	v_add_f32_e32 v1, v1, v3
	v_add_f32_e32 v1, v1, v4
	s_delay_alu instid0(VALU_DEP_1)
	v_sub_f32_e32 v1, v22, v1
	scratch_store_b64 off, v[1:2], off offset:104
	v_cmpx_lt_u32_e32 12, v0
	s_cbranch_execz .LBB116_307
; %bb.306:
	scratch_load_b64 v[1:2], off, off offset:96
	v_mov_b32_e32 v22, v21
	scratch_store_b64 off, v[21:22], off offset:96
	s_wait_loadcnt 0x0
	ds_store_b64 v133, v[1:2]
.LBB116_307:
	s_wait_alu 0xfffe
	s_or_b32 exec_lo, exec_lo, s0
	s_wait_storecnt_dscnt 0x0
	s_barrier_signal -1
	s_barrier_wait -1
	global_inv scope:SCOPE_SE
	s_clause 0x4
	scratch_load_b128 v[5:8], off, off offset:104
	scratch_load_b128 v[1:4], off, off offset:120
	;; [unrolled: 1-line block ×5, first 2 shown]
	ds_load_2addr_b64 v[134:137], v21 offset0:67 offset1:68
	ds_load_2addr_b64 v[138:141], v21 offset0:69 offset1:70
	ds_load_2addr_b64 v[142:145], v21 offset0:71 offset1:72
	scratch_load_b64 v[131:132], off, off offset:96
	s_mov_b32 s0, exec_lo
	s_wait_loadcnt_dscnt 0x502
	v_mul_f32_e32 v22, v135, v6
	v_dual_mul_f32 v23, v134, v6 :: v_dual_mul_f32 v24, v136, v8
	v_mul_f32_e32 v6, v137, v8
	s_delay_alu instid0(VALU_DEP_3) | instskip(NEXT) | instid1(VALU_DEP_3)
	v_fma_f32 v22, v134, v5, -v22
	v_dual_fmac_f32 v23, v135, v5 :: v_dual_fmac_f32 v24, v137, v7
	s_wait_loadcnt_dscnt 0x401
	v_mul_f32_e32 v135, v138, v2
	v_fma_f32 v134, v136, v7, -v6
	ds_load_2addr_b64 v[5:8], v21 offset0:73 offset1:74
	s_wait_loadcnt_dscnt 0x301
	v_dual_mul_f32 v136, v140, v4 :: v_dual_mul_f32 v137, v142, v10
	v_dual_mul_f32 v4, v141, v4 :: v_dual_fmac_f32 v135, v139, v1
	v_mul_f32_e32 v10, v143, v10
	s_delay_alu instid0(VALU_DEP_3)
	v_dual_mul_f32 v146, v144, v12 :: v_dual_fmac_f32 v137, v143, v9
	v_mul_f32_e32 v12, v145, v12
	v_mul_f32_e32 v2, v139, v2
	v_fmac_f32_e32 v136, v141, v3
	v_fma_f32 v139, v140, v3, -v4
	v_fma_f32 v140, v142, v9, -v10
	v_fmac_f32_e32 v146, v145, v11
	v_fma_f32 v141, v144, v11, -v12
	ds_load_2addr_b64 v[9:12], v21 offset0:75 offset1:76
	s_wait_loadcnt_dscnt 0x201
	v_mul_f32_e32 v142, v5, v14
	v_dual_mul_f32 v14, v6, v14 :: v_dual_mul_f32 v143, v7, v16
	v_mul_f32_e32 v16, v8, v16
	s_delay_alu instid0(VALU_DEP_3) | instskip(NEXT) | instid1(VALU_DEP_3)
	v_fmac_f32_e32 v142, v6, v13
	v_fma_f32 v13, v5, v13, -v14
	s_delay_alu instid0(VALU_DEP_4) | instskip(NEXT) | instid1(VALU_DEP_4)
	v_fmac_f32_e32 v143, v8, v15
	v_fma_f32 v14, v7, v15, -v16
	ds_load_2addr_b64 v[5:8], v21 offset0:77 offset1:78
	s_wait_loadcnt_dscnt 0x101
	v_mul_f32_e32 v15, v9, v18
	v_mul_f32_e32 v16, v10, v18
	;; [unrolled: 1-line block ×3, first 2 shown]
	s_delay_alu instid0(VALU_DEP_3)
	v_dual_mul_f32 v20, v12, v20 :: v_dual_fmac_f32 v15, v10, v17
	v_fma_f32 v138, v138, v1, -v2
	scratch_load_b128 v[1:4], off, off offset:184
	v_fma_f32 v16, v9, v17, -v16
	v_fmac_f32_e32 v18, v12, v19
	v_fma_f32 v17, v11, v19, -v20
	scratch_load_b128 v[9:12], off, off offset:200
	s_wait_loadcnt_dscnt 0x100
	v_mul_f32_e32 v19, v5, v2
	v_mul_f32_e32 v2, v6, v2
	;; [unrolled: 1-line block ×3, first 2 shown]
	s_delay_alu instid0(VALU_DEP_3) | instskip(NEXT) | instid1(VALU_DEP_3)
	v_dual_mul_f32 v4, v8, v4 :: v_dual_fmac_f32 v19, v6, v1
	v_fma_f32 v144, v5, v1, -v2
	s_delay_alu instid0(VALU_DEP_3) | instskip(NEXT) | instid1(VALU_DEP_3)
	v_fmac_f32_e32 v20, v8, v3
	v_fma_f32 v145, v7, v3, -v4
	ds_load_2addr_b64 v[1:4], v21 offset0:79 offset1:80
	ds_load_2addr_b64 v[5:8], v21 offset0:81 offset1:82
	s_wait_loadcnt_dscnt 0x1
	v_mul_f32_e32 v147, v1, v10
	v_mul_f32_e32 v10, v2, v10
	s_delay_alu instid0(VALU_DEP_2) | instskip(NEXT) | instid1(VALU_DEP_2)
	v_dual_mul_f32 v148, v3, v12 :: v_dual_fmac_f32 v147, v2, v9
	v_fma_f32 v149, v1, v9, -v10
	v_mul_f32_e32 v1, v4, v12
	s_delay_alu instid0(VALU_DEP_3) | instskip(NEXT) | instid1(VALU_DEP_2)
	v_fmac_f32_e32 v148, v4, v11
	v_fma_f32 v150, v3, v11, -v1
	s_clause 0x1
	scratch_load_b128 v[1:4], off, off offset:216
	scratch_load_b128 v[9:12], off, off offset:232
	s_wait_loadcnt_dscnt 0x100
	v_mul_f32_e32 v151, v5, v2
	v_dual_mul_f32 v2, v6, v2 :: v_dual_mul_f32 v153, v7, v4
	s_delay_alu instid0(VALU_DEP_2) | instskip(NEXT) | instid1(VALU_DEP_2)
	v_fmac_f32_e32 v151, v6, v1
	v_fma_f32 v152, v5, v1, -v2
	v_mul_f32_e32 v1, v8, v4
	s_delay_alu instid0(VALU_DEP_4) | instskip(NEXT) | instid1(VALU_DEP_2)
	v_fmac_f32_e32 v153, v8, v3
	v_fma_f32 v154, v7, v3, -v1
	ds_load_2addr_b64 v[1:4], v21 offset0:83 offset1:84
	ds_load_2addr_b64 v[5:8], v21 offset0:85 offset1:86
	s_wait_loadcnt_dscnt 0x1
	v_mul_f32_e32 v155, v1, v10
	v_mul_f32_e32 v157, v3, v12
	s_delay_alu instid0(VALU_DEP_2) | instskip(NEXT) | instid1(VALU_DEP_2)
	v_fmac_f32_e32 v155, v2, v9
	v_dual_mul_f32 v2, v2, v10 :: v_dual_fmac_f32 v157, v4, v11
	s_delay_alu instid0(VALU_DEP_1) | instskip(SKIP_1) | instid1(VALU_DEP_1)
	v_fma_f32 v156, v1, v9, -v2
	v_mul_f32_e32 v1, v4, v12
	v_fma_f32 v158, v3, v11, -v1
	s_clause 0x1
	scratch_load_b128 v[1:4], off, off offset:248
	scratch_load_b128 v[9:12], off, off offset:264
	s_wait_loadcnt_dscnt 0x100
	v_mul_f32_e32 v159, v5, v2
	v_dual_mul_f32 v2, v6, v2 :: v_dual_mul_f32 v161, v7, v4
	s_delay_alu instid0(VALU_DEP_2) | instskip(NEXT) | instid1(VALU_DEP_2)
	v_fmac_f32_e32 v159, v6, v1
	v_fma_f32 v160, v5, v1, -v2
	v_mul_f32_e32 v1, v8, v4
	s_delay_alu instid0(VALU_DEP_4) | instskip(NEXT) | instid1(VALU_DEP_2)
	v_fmac_f32_e32 v161, v8, v3
	v_fma_f32 v162, v7, v3, -v1
	ds_load_2addr_b64 v[1:4], v21 offset0:87 offset1:88
	ds_load_2addr_b64 v[5:8], v21 offset0:89 offset1:90
	s_wait_loadcnt_dscnt 0x1
	v_mul_f32_e32 v163, v1, v10
	v_mul_f32_e32 v165, v3, v12
	s_delay_alu instid0(VALU_DEP_2) | instskip(NEXT) | instid1(VALU_DEP_2)
	v_fmac_f32_e32 v163, v2, v9
	v_dual_mul_f32 v2, v2, v10 :: v_dual_fmac_f32 v165, v4, v11
	s_delay_alu instid0(VALU_DEP_1) | instskip(SKIP_1) | instid1(VALU_DEP_1)
	v_fma_f32 v164, v1, v9, -v2
	v_mul_f32_e32 v1, v4, v12
	v_fma_f32 v166, v3, v11, -v1
	s_clause 0x1
	scratch_load_b128 v[1:4], off, off offset:280
	scratch_load_b128 v[9:12], off, off offset:296
	s_wait_loadcnt_dscnt 0x100
	v_mul_f32_e32 v167, v5, v2
	v_dual_mul_f32 v2, v6, v2 :: v_dual_mul_f32 v169, v7, v4
	s_delay_alu instid0(VALU_DEP_2) | instskip(NEXT) | instid1(VALU_DEP_2)
	v_fmac_f32_e32 v167, v6, v1
	v_fma_f32 v168, v5, v1, -v2
	v_mul_f32_e32 v1, v8, v4
	s_delay_alu instid0(VALU_DEP_4) | instskip(NEXT) | instid1(VALU_DEP_2)
	v_fmac_f32_e32 v169, v8, v3
	v_fma_f32 v170, v7, v3, -v1
	ds_load_2addr_b64 v[1:4], v21 offset0:91 offset1:92
	ds_load_2addr_b64 v[5:8], v21 offset0:93 offset1:94
	s_wait_loadcnt_dscnt 0x1
	v_mul_f32_e32 v171, v1, v10
	v_mul_f32_e32 v173, v3, v12
	s_delay_alu instid0(VALU_DEP_2) | instskip(NEXT) | instid1(VALU_DEP_2)
	v_fmac_f32_e32 v171, v2, v9
	v_dual_mul_f32 v2, v2, v10 :: v_dual_fmac_f32 v173, v4, v11
	s_delay_alu instid0(VALU_DEP_1) | instskip(SKIP_1) | instid1(VALU_DEP_1)
	v_fma_f32 v172, v1, v9, -v2
	v_mul_f32_e32 v1, v4, v12
	v_fma_f32 v174, v3, v11, -v1
	s_clause 0x1
	scratch_load_b128 v[1:4], off, off offset:312
	scratch_load_b128 v[9:12], off, off offset:328
	s_wait_loadcnt_dscnt 0x100
	v_mul_f32_e32 v175, v5, v2
	v_dual_mul_f32 v2, v6, v2 :: v_dual_mul_f32 v177, v7, v4
	s_delay_alu instid0(VALU_DEP_2) | instskip(NEXT) | instid1(VALU_DEP_2)
	v_fmac_f32_e32 v175, v6, v1
	v_fma_f32 v176, v5, v1, -v2
	v_mul_f32_e32 v1, v8, v4
	s_delay_alu instid0(VALU_DEP_4) | instskip(NEXT) | instid1(VALU_DEP_2)
	v_fmac_f32_e32 v177, v8, v3
	v_fma_f32 v178, v7, v3, -v1
	ds_load_2addr_b64 v[1:4], v21 offset0:95 offset1:96
	ds_load_2addr_b64 v[5:8], v21 offset0:97 offset1:98
	s_wait_loadcnt_dscnt 0x1
	v_mul_f32_e32 v179, v1, v10
	v_mul_f32_e32 v181, v3, v12
	s_delay_alu instid0(VALU_DEP_2) | instskip(NEXT) | instid1(VALU_DEP_2)
	v_fmac_f32_e32 v179, v2, v9
	v_dual_mul_f32 v2, v2, v10 :: v_dual_fmac_f32 v181, v4, v11
	s_delay_alu instid0(VALU_DEP_1) | instskip(SKIP_1) | instid1(VALU_DEP_1)
	v_fma_f32 v180, v1, v9, -v2
	v_mul_f32_e32 v1, v4, v12
	v_fma_f32 v182, v3, v11, -v1
	s_clause 0x1
	scratch_load_b128 v[1:4], off, off offset:344
	scratch_load_b128 v[9:12], off, off offset:360
	s_wait_loadcnt_dscnt 0x100
	v_mul_f32_e32 v183, v5, v2
	v_mul_f32_e32 v2, v6, v2
	s_delay_alu instid0(VALU_DEP_1) | instskip(SKIP_1) | instid1(VALU_DEP_1)
	v_fma_f32 v184, v5, v1, -v2
	v_add_f32_e32 v2, 0, v23
	v_add_f32_e32 v2, v2, v24
	s_delay_alu instid0(VALU_DEP_1) | instskip(NEXT) | instid1(VALU_DEP_1)
	v_add_f32_e32 v2, v2, v135
	v_add_f32_e32 v2, v2, v136
	s_delay_alu instid0(VALU_DEP_1) | instskip(NEXT) | instid1(VALU_DEP_1)
	;; [unrolled: 3-line block ×6, first 2 shown]
	v_add_f32_e32 v2, v2, v147
	v_add_f32_e32 v2, v2, v148
	v_fmac_f32_e32 v183, v6, v1
	s_delay_alu instid0(VALU_DEP_2) | instskip(NEXT) | instid1(VALU_DEP_1)
	v_dual_add_f32 v2, v2, v151 :: v_dual_mul_f32 v185, v7, v4
	v_add_f32_e32 v2, v2, v153
	s_delay_alu instid0(VALU_DEP_1) | instskip(NEXT) | instid1(VALU_DEP_1)
	v_add_f32_e32 v5, v2, v155
	v_add_f32_e32 v5, v5, v157
	s_delay_alu instid0(VALU_DEP_1) | instskip(SKIP_1) | instid1(VALU_DEP_1)
	v_add_f32_e32 v5, v5, v159
	v_mul_f32_e32 v1, v8, v4
	v_fma_f32 v186, v7, v3, -v1
	v_add_f32_e32 v1, 0, v22
	s_delay_alu instid0(VALU_DEP_1) | instskip(NEXT) | instid1(VALU_DEP_1)
	v_add_f32_e32 v1, v1, v134
	v_add_f32_e32 v1, v1, v138
	s_delay_alu instid0(VALU_DEP_1) | instskip(NEXT) | instid1(VALU_DEP_1)
	v_add_f32_e32 v1, v1, v139
	;; [unrolled: 3-line block ×3, first 2 shown]
	v_add_f32_e32 v1, v1, v13
	s_delay_alu instid0(VALU_DEP_1) | instskip(SKIP_1) | instid1(VALU_DEP_2)
	v_add_f32_e32 v1, v1, v14
	v_add_f32_e32 v14, v5, v161
	;; [unrolled: 1-line block ×3, first 2 shown]
	s_delay_alu instid0(VALU_DEP_1) | instskip(NEXT) | instid1(VALU_DEP_1)
	v_add_f32_e32 v1, v1, v17
	v_add_f32_e32 v1, v1, v144
	s_delay_alu instid0(VALU_DEP_1) | instskip(NEXT) | instid1(VALU_DEP_1)
	v_add_f32_e32 v1, v1, v145
	v_add_f32_e32 v1, v1, v149
	;; [unrolled: 3-line block ×4, first 2 shown]
	s_delay_alu instid0(VALU_DEP_1) | instskip(SKIP_3) | instid1(VALU_DEP_2)
	v_dual_add_f32 v6, v1, v158 :: v_dual_fmac_f32 v185, v8, v3
	ds_load_2addr_b64 v[1:4], v21 offset0:99 offset1:100
	v_add_f32_e32 v14, v14, v163
	v_add_f32_e32 v6, v6, v160
	;; [unrolled: 1-line block ×3, first 2 shown]
	s_delay_alu instid0(VALU_DEP_2)
	v_add_f32_e32 v13, v6, v162
	ds_load_2addr_b64 v[5:8], v21 offset0:101 offset1:102
	s_wait_loadcnt_dscnt 0x1
	v_dual_mul_f32 v134, v1, v10 :: v_dual_mul_f32 v135, v3, v12
	v_mul_f32_e32 v10, v2, v10
	v_dual_mul_f32 v12, v4, v12 :: v_dual_add_f32 v17, v14, v167
	s_delay_alu instid0(VALU_DEP_3) | instskip(NEXT) | instid1(VALU_DEP_3)
	v_dual_fmac_f32 v134, v2, v9 :: v_dual_fmac_f32 v135, v4, v11
	v_fma_f32 v136, v1, v9, -v10
	s_delay_alu instid0(VALU_DEP_3) | instskip(SKIP_4) | instid1(VALU_DEP_1)
	v_fma_f32 v137, v3, v11, -v12
	s_clause 0x1
	scratch_load_b128 v[1:4], off, off offset:376
	scratch_load_b128 v[9:12], off, off offset:392
	v_add_f32_e32 v13, v13, v164
	v_add_f32_e32 v13, v13, v166
	s_delay_alu instid0(VALU_DEP_1) | instskip(NEXT) | instid1(VALU_DEP_1)
	v_add_f32_e32 v13, v13, v168
	v_add_f32_e32 v18, v13, v170
	scratch_load_b128 v[13:16], off, off offset:408
	v_dual_add_f32 v17, v17, v169 :: v_dual_add_f32 v18, v18, v172
	s_delay_alu instid0(VALU_DEP_1) | instskip(NEXT) | instid1(VALU_DEP_1)
	v_dual_add_f32 v17, v17, v171 :: v_dual_add_f32 v18, v18, v174
	v_dual_add_f32 v17, v17, v173 :: v_dual_add_f32 v22, v18, v176
	s_delay_alu instid0(VALU_DEP_1) | instskip(SKIP_4) | instid1(VALU_DEP_1)
	v_add_f32_e32 v23, v17, v175
	ds_load_2addr_b64 v[17:20], v21 offset0:103 offset1:104
	v_dual_add_f32 v138, v22, v178 :: v_dual_add_f32 v139, v23, v177
	ds_load_2addr_b64 v[21:24], v21 offset0:105 offset1:106
	v_add_f32_e32 v138, v138, v180
	v_add_f32_e32 v138, v138, v182
	s_delay_alu instid0(VALU_DEP_1) | instskip(NEXT) | instid1(VALU_DEP_1)
	v_add_f32_e32 v138, v138, v184
	v_add_f32_e32 v138, v138, v186
	s_delay_alu instid0(VALU_DEP_1)
	v_add_f32_e32 v136, v138, v136
	s_wait_loadcnt_dscnt 0x202
	v_dual_mul_f32 v140, v5, v2 :: v_dual_add_f32 v139, v139, v179
	s_wait_loadcnt_dscnt 0x101
	v_mul_f32_e32 v142, v17, v10
	v_dual_mul_f32 v2, v6, v2 :: v_dual_mul_f32 v141, v7, v4
	s_delay_alu instid0(VALU_DEP_3) | instskip(SKIP_1) | instid1(VALU_DEP_3)
	v_dual_mul_f32 v4, v8, v4 :: v_dual_add_f32 v139, v139, v181
	v_fmac_f32_e32 v140, v6, v1
	v_fma_f32 v2, v5, v1, -v2
	v_dual_add_f32 v1, v136, v137 :: v_dual_mul_f32 v6, v18, v10
	s_delay_alu instid0(VALU_DEP_4) | instskip(SKIP_2) | instid1(VALU_DEP_4)
	v_add_f32_e32 v139, v139, v183
	v_fmac_f32_e32 v141, v8, v3
	v_fma_f32 v3, v7, v3, -v4
	v_add_f32_e32 v1, v1, v2
	v_mul_f32_e32 v143, v19, v12
	v_dual_add_f32 v139, v139, v185 :: v_dual_mul_f32 v4, v20, v12
	s_delay_alu instid0(VALU_DEP_3) | instskip(SKIP_2) | instid1(VALU_DEP_3)
	v_dual_fmac_f32 v142, v18, v9 :: v_dual_add_f32 v1, v1, v3
	s_wait_loadcnt_dscnt 0x0
	v_mul_f32_e32 v144, v21, v14
	v_add_f32_e32 v134, v139, v134
	v_mul_f32_e32 v3, v22, v14
	v_fmac_f32_e32 v143, v20, v11
	v_fma_f32 v4, v19, v11, -v4
	s_delay_alu instid0(VALU_DEP_4) | instskip(SKIP_2) | instid1(VALU_DEP_3)
	v_dual_mul_f32 v138, v23, v16 :: v_dual_add_f32 v5, v134, v135
	v_fmac_f32_e32 v144, v22, v13
	v_fma_f32 v3, v21, v13, -v3
	v_fmac_f32_e32 v138, v24, v15
	s_delay_alu instid0(VALU_DEP_4) | instskip(SKIP_1) | instid1(VALU_DEP_2)
	v_add_f32_e32 v2, v5, v140
	v_fma_f32 v5, v17, v9, -v6
	v_add_f32_e32 v2, v2, v141
	s_delay_alu instid0(VALU_DEP_2) | instskip(NEXT) | instid1(VALU_DEP_2)
	v_add_f32_e32 v1, v1, v5
	v_dual_mul_f32 v5, v24, v16 :: v_dual_add_f32 v2, v2, v142
	s_delay_alu instid0(VALU_DEP_2) | instskip(NEXT) | instid1(VALU_DEP_2)
	v_add_f32_e32 v1, v1, v4
	v_fma_f32 v4, v23, v15, -v5
	s_delay_alu instid0(VALU_DEP_3) | instskip(NEXT) | instid1(VALU_DEP_1)
	v_add_f32_e32 v2, v2, v143
	v_dual_add_f32 v1, v1, v3 :: v_dual_add_f32 v2, v2, v144
	s_delay_alu instid0(VALU_DEP_1) | instskip(NEXT) | instid1(VALU_DEP_1)
	v_dual_add_f32 v1, v1, v4 :: v_dual_add_f32 v2, v2, v138
	v_dual_sub_f32 v1, v131, v1 :: v_dual_sub_f32 v2, v132, v2
	scratch_store_b64 off, v[1:2], off offset:96
	v_cmpx_lt_u32_e32 11, v0
	s_cbranch_execz .LBB116_309
; %bb.308:
	scratch_load_b64 v[1:2], off, off offset:88
	v_mov_b32_e32 v3, 0
	s_delay_alu instid0(VALU_DEP_1)
	v_mov_b32_e32 v4, v3
	scratch_store_b64 off, v[3:4], off offset:88
	s_wait_loadcnt 0x0
	ds_store_b64 v133, v[1:2]
.LBB116_309:
	s_wait_alu 0xfffe
	s_or_b32 exec_lo, exec_lo, s0
	s_wait_storecnt_dscnt 0x0
	s_barrier_signal -1
	s_barrier_wait -1
	global_inv scope:SCOPE_SE
	s_clause 0x4
	scratch_load_b128 v[5:8], off, off offset:96
	scratch_load_b128 v[1:4], off, off offset:112
	scratch_load_b128 v[9:12], off, off offset:128
	scratch_load_b128 v[13:16], off, off offset:144
	scratch_load_b128 v[17:20], off, off offset:160
	v_mov_b32_e32 v21, 0
	ds_load_b128 v[134:137], v21 offset:528
	ds_load_b128 v[138:141], v21 offset:544
	;; [unrolled: 1-line block ×3, first 2 shown]
	scratch_load_b64 v[22:23], off, off offset:88
	s_mov_b32 s0, exec_lo
	s_wait_loadcnt_dscnt 0x502
	v_mul_f32_e32 v24, v135, v6
	v_dual_mul_f32 v131, v134, v6 :: v_dual_mul_f32 v132, v136, v8
	v_mul_f32_e32 v6, v137, v8
	s_delay_alu instid0(VALU_DEP_3) | instskip(NEXT) | instid1(VALU_DEP_3)
	v_fma_f32 v24, v134, v5, -v24
	v_dual_fmac_f32 v131, v135, v5 :: v_dual_fmac_f32 v132, v137, v7
	s_wait_loadcnt_dscnt 0x401
	v_mul_f32_e32 v135, v138, v2
	v_fma_f32 v134, v136, v7, -v6
	ds_load_b128 v[5:8], v21 offset:576
	s_wait_loadcnt_dscnt 0x301
	v_dual_mul_f32 v136, v140, v4 :: v_dual_mul_f32 v137, v142, v10
	v_dual_mul_f32 v4, v141, v4 :: v_dual_fmac_f32 v135, v139, v1
	v_mul_f32_e32 v10, v143, v10
	s_delay_alu instid0(VALU_DEP_3)
	v_dual_mul_f32 v146, v144, v12 :: v_dual_fmac_f32 v137, v143, v9
	v_mul_f32_e32 v12, v145, v12
	v_mul_f32_e32 v2, v139, v2
	v_fmac_f32_e32 v136, v141, v3
	v_fma_f32 v139, v140, v3, -v4
	v_fma_f32 v140, v142, v9, -v10
	v_fmac_f32_e32 v146, v145, v11
	v_fma_f32 v141, v144, v11, -v12
	ds_load_b128 v[9:12], v21 offset:592
	s_wait_loadcnt_dscnt 0x201
	v_dual_mul_f32 v143, v7, v16 :: v_dual_mul_f32 v142, v5, v14
	v_mul_f32_e32 v14, v6, v14
	v_mul_f32_e32 v16, v8, v16
	s_delay_alu instid0(VALU_DEP_3)
	v_fmac_f32_e32 v143, v8, v15
	v_fma_f32 v138, v138, v1, -v2
	scratch_load_b128 v[1:4], off, off offset:176
	v_fmac_f32_e32 v142, v6, v13
	v_fma_f32 v13, v5, v13, -v14
	v_fma_f32 v14, v7, v15, -v16
	ds_load_b128 v[5:8], v21 offset:608
	s_wait_loadcnt_dscnt 0x201
	v_mul_f32_e32 v15, v9, v18
	v_mul_f32_e32 v16, v10, v18
	;; [unrolled: 1-line block ×3, first 2 shown]
	s_delay_alu instid0(VALU_DEP_3) | instskip(NEXT) | instid1(VALU_DEP_3)
	v_dual_mul_f32 v20, v12, v20 :: v_dual_fmac_f32 v15, v10, v17
	v_fma_f32 v16, v9, v17, -v16
	s_delay_alu instid0(VALU_DEP_3) | instskip(NEXT) | instid1(VALU_DEP_3)
	v_fmac_f32_e32 v18, v12, v19
	v_fma_f32 v17, v11, v19, -v20
	scratch_load_b128 v[9:12], off, off offset:192
	s_wait_loadcnt_dscnt 0x100
	v_mul_f32_e32 v19, v5, v2
	v_mul_f32_e32 v2, v6, v2
	;; [unrolled: 1-line block ×3, first 2 shown]
	s_delay_alu instid0(VALU_DEP_3) | instskip(NEXT) | instid1(VALU_DEP_3)
	v_dual_mul_f32 v4, v8, v4 :: v_dual_fmac_f32 v19, v6, v1
	v_fma_f32 v144, v5, v1, -v2
	s_delay_alu instid0(VALU_DEP_3) | instskip(NEXT) | instid1(VALU_DEP_3)
	v_fmac_f32_e32 v20, v8, v3
	v_fma_f32 v145, v7, v3, -v4
	ds_load_b128 v[1:4], v21 offset:624
	ds_load_b128 v[5:8], v21 offset:640
	s_wait_loadcnt_dscnt 0x1
	v_mul_f32_e32 v147, v1, v10
	v_mul_f32_e32 v10, v2, v10
	s_delay_alu instid0(VALU_DEP_2) | instskip(NEXT) | instid1(VALU_DEP_2)
	v_dual_mul_f32 v148, v3, v12 :: v_dual_fmac_f32 v147, v2, v9
	v_fma_f32 v149, v1, v9, -v10
	v_mul_f32_e32 v1, v4, v12
	s_delay_alu instid0(VALU_DEP_3) | instskip(NEXT) | instid1(VALU_DEP_2)
	v_fmac_f32_e32 v148, v4, v11
	v_fma_f32 v150, v3, v11, -v1
	s_clause 0x1
	scratch_load_b128 v[1:4], off, off offset:208
	scratch_load_b128 v[9:12], off, off offset:224
	s_wait_loadcnt_dscnt 0x100
	v_mul_f32_e32 v151, v5, v2
	v_dual_mul_f32 v2, v6, v2 :: v_dual_mul_f32 v153, v7, v4
	s_delay_alu instid0(VALU_DEP_2) | instskip(NEXT) | instid1(VALU_DEP_2)
	v_fmac_f32_e32 v151, v6, v1
	v_fma_f32 v152, v5, v1, -v2
	v_mul_f32_e32 v1, v8, v4
	s_delay_alu instid0(VALU_DEP_4) | instskip(NEXT) | instid1(VALU_DEP_2)
	v_fmac_f32_e32 v153, v8, v3
	v_fma_f32 v154, v7, v3, -v1
	ds_load_b128 v[1:4], v21 offset:656
	ds_load_b128 v[5:8], v21 offset:672
	s_wait_loadcnt_dscnt 0x1
	v_mul_f32_e32 v155, v1, v10
	v_mul_f32_e32 v157, v3, v12
	s_delay_alu instid0(VALU_DEP_2) | instskip(NEXT) | instid1(VALU_DEP_2)
	v_fmac_f32_e32 v155, v2, v9
	v_dual_mul_f32 v2, v2, v10 :: v_dual_fmac_f32 v157, v4, v11
	s_delay_alu instid0(VALU_DEP_1) | instskip(SKIP_1) | instid1(VALU_DEP_1)
	v_fma_f32 v156, v1, v9, -v2
	v_mul_f32_e32 v1, v4, v12
	v_fma_f32 v158, v3, v11, -v1
	s_clause 0x1
	scratch_load_b128 v[1:4], off, off offset:240
	scratch_load_b128 v[9:12], off, off offset:256
	s_wait_loadcnt_dscnt 0x100
	v_mul_f32_e32 v159, v5, v2
	v_dual_mul_f32 v161, v7, v4 :: v_dual_mul_f32 v2, v6, v2
	s_delay_alu instid0(VALU_DEP_2) | instskip(NEXT) | instid1(VALU_DEP_2)
	v_fmac_f32_e32 v159, v6, v1
	v_fmac_f32_e32 v161, v8, v3
	s_delay_alu instid0(VALU_DEP_3) | instskip(SKIP_1) | instid1(VALU_DEP_1)
	v_fma_f32 v160, v5, v1, -v2
	v_mul_f32_e32 v1, v8, v4
	v_fma_f32 v162, v7, v3, -v1
	ds_load_b128 v[1:4], v21 offset:688
	ds_load_b128 v[5:8], v21 offset:704
	s_wait_loadcnt_dscnt 0x1
	v_mul_f32_e32 v163, v1, v10
	v_mul_f32_e32 v165, v3, v12
	s_delay_alu instid0(VALU_DEP_2) | instskip(NEXT) | instid1(VALU_DEP_2)
	v_fmac_f32_e32 v163, v2, v9
	v_dual_mul_f32 v2, v2, v10 :: v_dual_fmac_f32 v165, v4, v11
	s_delay_alu instid0(VALU_DEP_1) | instskip(SKIP_1) | instid1(VALU_DEP_1)
	v_fma_f32 v164, v1, v9, -v2
	v_mul_f32_e32 v1, v4, v12
	v_fma_f32 v166, v3, v11, -v1
	s_clause 0x1
	scratch_load_b128 v[1:4], off, off offset:272
	scratch_load_b128 v[9:12], off, off offset:288
	s_wait_loadcnt_dscnt 0x100
	v_mul_f32_e32 v167, v5, v2
	v_dual_mul_f32 v2, v6, v2 :: v_dual_mul_f32 v169, v7, v4
	s_delay_alu instid0(VALU_DEP_2) | instskip(NEXT) | instid1(VALU_DEP_2)
	v_fmac_f32_e32 v167, v6, v1
	v_fma_f32 v168, v5, v1, -v2
	v_mul_f32_e32 v1, v8, v4
	s_delay_alu instid0(VALU_DEP_4) | instskip(NEXT) | instid1(VALU_DEP_2)
	v_fmac_f32_e32 v169, v8, v3
	v_fma_f32 v170, v7, v3, -v1
	ds_load_b128 v[1:4], v21 offset:720
	ds_load_b128 v[5:8], v21 offset:736
	s_wait_loadcnt_dscnt 0x1
	v_mul_f32_e32 v171, v1, v10
	v_mul_f32_e32 v173, v3, v12
	s_delay_alu instid0(VALU_DEP_2) | instskip(NEXT) | instid1(VALU_DEP_2)
	v_fmac_f32_e32 v171, v2, v9
	v_dual_mul_f32 v2, v2, v10 :: v_dual_fmac_f32 v173, v4, v11
	s_delay_alu instid0(VALU_DEP_1) | instskip(SKIP_1) | instid1(VALU_DEP_1)
	v_fma_f32 v172, v1, v9, -v2
	v_mul_f32_e32 v1, v4, v12
	v_fma_f32 v174, v3, v11, -v1
	s_clause 0x1
	scratch_load_b128 v[1:4], off, off offset:304
	scratch_load_b128 v[9:12], off, off offset:320
	s_wait_loadcnt_dscnt 0x100
	v_mul_f32_e32 v175, v5, v2
	v_dual_mul_f32 v2, v6, v2 :: v_dual_mul_f32 v177, v7, v4
	s_delay_alu instid0(VALU_DEP_2) | instskip(NEXT) | instid1(VALU_DEP_2)
	v_fmac_f32_e32 v175, v6, v1
	v_fma_f32 v176, v5, v1, -v2
	v_mul_f32_e32 v1, v8, v4
	s_delay_alu instid0(VALU_DEP_4) | instskip(NEXT) | instid1(VALU_DEP_2)
	v_fmac_f32_e32 v177, v8, v3
	v_fma_f32 v178, v7, v3, -v1
	ds_load_b128 v[1:4], v21 offset:752
	ds_load_b128 v[5:8], v21 offset:768
	s_wait_loadcnt_dscnt 0x1
	v_mul_f32_e32 v179, v1, v10
	v_mul_f32_e32 v181, v3, v12
	s_delay_alu instid0(VALU_DEP_2) | instskip(NEXT) | instid1(VALU_DEP_2)
	v_fmac_f32_e32 v179, v2, v9
	v_dual_mul_f32 v2, v2, v10 :: v_dual_fmac_f32 v181, v4, v11
	s_delay_alu instid0(VALU_DEP_1) | instskip(SKIP_1) | instid1(VALU_DEP_1)
	v_fma_f32 v180, v1, v9, -v2
	v_mul_f32_e32 v1, v4, v12
	v_fma_f32 v182, v3, v11, -v1
	s_clause 0x1
	scratch_load_b128 v[1:4], off, off offset:336
	scratch_load_b128 v[9:12], off, off offset:352
	s_wait_loadcnt_dscnt 0x100
	v_mul_f32_e32 v183, v5, v2
	v_mul_f32_e32 v2, v6, v2
	s_delay_alu instid0(VALU_DEP_1) | instskip(SKIP_1) | instid1(VALU_DEP_1)
	v_fma_f32 v184, v5, v1, -v2
	v_add_f32_e32 v2, 0, v131
	v_add_f32_e32 v2, v2, v132
	scratch_load_b64 v[131:132], off, off offset:416
	v_add_f32_e32 v2, v2, v135
	s_delay_alu instid0(VALU_DEP_1) | instskip(NEXT) | instid1(VALU_DEP_1)
	v_add_f32_e32 v2, v2, v136
	v_add_f32_e32 v2, v2, v137
	s_delay_alu instid0(VALU_DEP_1) | instskip(NEXT) | instid1(VALU_DEP_1)
	v_add_f32_e32 v2, v2, v146
	;; [unrolled: 3-line block ×6, first 2 shown]
	v_add_f32_e32 v2, v2, v151
	s_delay_alu instid0(VALU_DEP_1) | instskip(SKIP_2) | instid1(VALU_DEP_3)
	v_add_f32_e32 v2, v2, v153
	v_fmac_f32_e32 v183, v6, v1
	v_mul_f32_e32 v1, v8, v4
	v_add_f32_e32 v5, v2, v155
	s_delay_alu instid0(VALU_DEP_2) | instskip(SKIP_1) | instid1(VALU_DEP_3)
	v_fma_f32 v186, v7, v3, -v1
	v_add_f32_e32 v1, 0, v24
	v_add_f32_e32 v5, v5, v157
	s_delay_alu instid0(VALU_DEP_2) | instskip(NEXT) | instid1(VALU_DEP_2)
	v_add_f32_e32 v1, v1, v134
	v_add_f32_e32 v5, v5, v159
	v_mul_f32_e32 v185, v7, v4
	s_delay_alu instid0(VALU_DEP_3) | instskip(NEXT) | instid1(VALU_DEP_1)
	v_add_f32_e32 v1, v1, v138
	v_add_f32_e32 v1, v1, v139
	s_delay_alu instid0(VALU_DEP_1) | instskip(NEXT) | instid1(VALU_DEP_1)
	v_add_f32_e32 v1, v1, v140
	v_add_f32_e32 v1, v1, v141
	s_delay_alu instid0(VALU_DEP_1) | instskip(NEXT) | instid1(VALU_DEP_1)
	v_add_f32_e32 v1, v1, v13
	v_add_f32_e32 v1, v1, v14
	;; [unrolled: 1-line block ×3, first 2 shown]
	s_delay_alu instid0(VALU_DEP_2) | instskip(NEXT) | instid1(VALU_DEP_1)
	v_add_f32_e32 v1, v1, v16
	v_add_f32_e32 v1, v1, v17
	s_delay_alu instid0(VALU_DEP_1) | instskip(NEXT) | instid1(VALU_DEP_1)
	v_add_f32_e32 v1, v1, v144
	v_add_f32_e32 v1, v1, v145
	s_delay_alu instid0(VALU_DEP_1) | instskip(NEXT) | instid1(VALU_DEP_1)
	;; [unrolled: 3-line block ×4, first 2 shown]
	v_add_f32_e32 v1, v1, v156
	v_dual_add_f32 v6, v1, v158 :: v_dual_fmac_f32 v185, v8, v3
	ds_load_b128 v[1:4], v21 offset:784
	v_add_f32_e32 v14, v14, v163
	v_add_f32_e32 v6, v6, v160
	s_delay_alu instid0(VALU_DEP_2) | instskip(NEXT) | instid1(VALU_DEP_2)
	v_add_f32_e32 v14, v14, v165
	v_add_f32_e32 v13, v6, v162
	ds_load_b128 v[5:8], v21 offset:800
	s_wait_loadcnt_dscnt 0x101
	v_mul_f32_e32 v24, v1, v10
	v_mul_f32_e32 v10, v2, v10
	;; [unrolled: 1-line block ×4, first 2 shown]
	s_delay_alu instid0(VALU_DEP_4) | instskip(NEXT) | instid1(VALU_DEP_4)
	v_fmac_f32_e32 v24, v2, v9
	v_fma_f32 v141, v1, v9, -v10
	s_delay_alu instid0(VALU_DEP_4) | instskip(NEXT) | instid1(VALU_DEP_4)
	v_fmac_f32_e32 v140, v4, v11
	v_fma_f32 v142, v3, v11, -v12
	s_clause 0x1
	scratch_load_b128 v[1:4], off, off offset:368
	scratch_load_b128 v[9:12], off, off offset:384
	s_wait_loadcnt_dscnt 0x100
	v_dual_mul_f32 v146, v7, v4 :: v_dual_mul_f32 v145, v5, v2
	v_mul_f32_e32 v2, v6, v2
	v_mul_f32_e32 v4, v8, v4
	s_delay_alu instid0(VALU_DEP_3) | instskip(NEXT) | instid1(VALU_DEP_3)
	v_dual_fmac_f32 v146, v8, v3 :: v_dual_add_f32 v13, v13, v164
	v_fma_f32 v2, v5, v1, -v2
	s_delay_alu instid0(VALU_DEP_2) | instskip(NEXT) | instid1(VALU_DEP_1)
	v_add_f32_e32 v13, v13, v166
	v_add_f32_e32 v13, v13, v168
	s_delay_alu instid0(VALU_DEP_1) | instskip(NEXT) | instid1(VALU_DEP_1)
	v_add_f32_e32 v18, v13, v170
	v_add_f32_e32 v18, v18, v172
	s_delay_alu instid0(VALU_DEP_1) | instskip(NEXT) | instid1(VALU_DEP_1)
	;; [unrolled: 3-line block ×5, first 2 shown]
	v_add_f32_e32 v143, v143, v186
	v_add_f32_e32 v141, v143, v141
	s_delay_alu instid0(VALU_DEP_1) | instskip(SKIP_4) | instid1(VALU_DEP_1)
	v_add_f32_e32 v141, v141, v142
	v_add_f32_e32 v17, v14, v167
	scratch_load_b128 v[13:16], off, off offset:400
	v_add_f32_e32 v2, v141, v2
	v_add_f32_e32 v17, v17, v169
	;; [unrolled: 1-line block ×3, first 2 shown]
	s_delay_alu instid0(VALU_DEP_1) | instskip(NEXT) | instid1(VALU_DEP_1)
	v_add_f32_e32 v17, v17, v173
	v_add_f32_e32 v17, v17, v175
	s_delay_alu instid0(VALU_DEP_1)
	v_add_f32_e32 v134, v17, v177
	ds_load_b128 v[17:20], v21 offset:816
	v_add_f32_e32 v139, v134, v179
	ds_load_b128 v[134:137], v21 offset:832
	v_add_f32_e32 v144, v139, v181
	ds_load_b64 v[138:139], v21 offset:848
	v_add_f32_e32 v144, v144, v183
	s_wait_loadcnt_dscnt 0x102
	s_delay_alu instid0(VALU_DEP_1) | instskip(SKIP_1) | instid1(VALU_DEP_2)
	v_dual_add_f32 v144, v144, v185 :: v_dual_mul_f32 v143, v17, v10
	v_mul_f32_e32 v5, v20, v12
	v_add_f32_e32 v24, v144, v24
	s_delay_alu instid0(VALU_DEP_3) | instskip(NEXT) | instid1(VALU_DEP_3)
	v_dual_mul_f32 v144, v19, v12 :: v_dual_fmac_f32 v143, v18, v9
	v_fma_f32 v5, v19, v11, -v5
	s_delay_alu instid0(VALU_DEP_3) | instskip(NEXT) | instid1(VALU_DEP_3)
	v_add_f32_e32 v24, v24, v140
	v_fmac_f32_e32 v144, v20, v11
	s_wait_dscnt 0x0
	v_mul_f32_e32 v140, v138, v132
	s_delay_alu instid0(VALU_DEP_1) | instskip(SKIP_1) | instid1(VALU_DEP_2)
	v_dual_fmac_f32 v140, v139, v131 :: v_dual_fmac_f32 v145, v6, v1
	v_fma_f32 v1, v7, v3, -v4
	v_dual_mul_f32 v3, v18, v10 :: v_dual_add_f32 v4, v24, v145
	s_delay_alu instid0(VALU_DEP_2) | instskip(NEXT) | instid1(VALU_DEP_2)
	v_add_f32_e32 v1, v2, v1
	v_fma_f32 v3, v17, v9, -v3
	s_delay_alu instid0(VALU_DEP_1) | instskip(NEXT) | instid1(VALU_DEP_1)
	v_dual_add_f32 v2, v4, v146 :: v_dual_add_f32 v1, v1, v3
	v_dual_add_f32 v2, v2, v143 :: v_dual_add_f32 v1, v1, v5
	v_mul_f32_e32 v5, v139, v132
	s_delay_alu instid0(VALU_DEP_2)
	v_add_f32_e32 v2, v2, v144
	s_wait_loadcnt 0x0
	v_mul_f32_e32 v147, v134, v14
	v_mul_f32_e32 v4, v135, v14
	;; [unrolled: 1-line block ×4, first 2 shown]
	s_delay_alu instid0(VALU_DEP_4) | instskip(NEXT) | instid1(VALU_DEP_4)
	v_fmac_f32_e32 v147, v135, v13
	v_fma_f32 v4, v134, v13, -v4
	s_delay_alu instid0(VALU_DEP_4) | instskip(NEXT) | instid1(VALU_DEP_4)
	v_fmac_f32_e32 v142, v137, v15
	v_fma_f32 v3, v136, v15, -v3
	s_delay_alu instid0(VALU_DEP_3) | instskip(SKIP_1) | instid1(VALU_DEP_2)
	v_dual_add_f32 v2, v2, v147 :: v_dual_add_f32 v1, v1, v4
	v_fma_f32 v4, v138, v131, -v5
	v_dual_add_f32 v2, v2, v142 :: v_dual_add_f32 v1, v1, v3
	s_delay_alu instid0(VALU_DEP_1) | instskip(NEXT) | instid1(VALU_DEP_1)
	v_add_f32_e32 v2, v2, v140
	v_dual_add_f32 v1, v1, v4 :: v_dual_sub_f32 v2, v23, v2
	s_delay_alu instid0(VALU_DEP_1)
	v_sub_f32_e32 v1, v22, v1
	scratch_store_b64 off, v[1:2], off offset:88
	v_cmpx_lt_u32_e32 10, v0
	s_cbranch_execz .LBB116_311
; %bb.310:
	scratch_load_b64 v[1:2], off, off offset:80
	v_mov_b32_e32 v22, v21
	scratch_store_b64 off, v[21:22], off offset:80
	s_wait_loadcnt 0x0
	ds_store_b64 v133, v[1:2]
.LBB116_311:
	s_wait_alu 0xfffe
	s_or_b32 exec_lo, exec_lo, s0
	s_wait_storecnt_dscnt 0x0
	s_barrier_signal -1
	s_barrier_wait -1
	global_inv scope:SCOPE_SE
	s_clause 0x4
	scratch_load_b128 v[5:8], off, off offset:88
	scratch_load_b128 v[1:4], off, off offset:104
	;; [unrolled: 1-line block ×5, first 2 shown]
	ds_load_2addr_b64 v[134:137], v21 offset0:65 offset1:66
	ds_load_2addr_b64 v[138:141], v21 offset0:67 offset1:68
	;; [unrolled: 1-line block ×3, first 2 shown]
	scratch_load_b64 v[131:132], off, off offset:80
	s_mov_b32 s0, exec_lo
	s_wait_loadcnt_dscnt 0x502
	v_mul_f32_e32 v22, v135, v6
	v_dual_mul_f32 v23, v134, v6 :: v_dual_mul_f32 v24, v136, v8
	v_mul_f32_e32 v6, v137, v8
	s_delay_alu instid0(VALU_DEP_3) | instskip(NEXT) | instid1(VALU_DEP_3)
	v_fma_f32 v22, v134, v5, -v22
	v_dual_fmac_f32 v23, v135, v5 :: v_dual_fmac_f32 v24, v137, v7
	s_wait_loadcnt_dscnt 0x401
	v_mul_f32_e32 v135, v138, v2
	v_fma_f32 v134, v136, v7, -v6
	ds_load_2addr_b64 v[5:8], v21 offset0:71 offset1:72
	s_wait_loadcnt_dscnt 0x301
	v_dual_mul_f32 v136, v140, v4 :: v_dual_mul_f32 v137, v142, v10
	v_dual_mul_f32 v4, v141, v4 :: v_dual_fmac_f32 v135, v139, v1
	v_mul_f32_e32 v10, v143, v10
	s_delay_alu instid0(VALU_DEP_3)
	v_dual_mul_f32 v146, v144, v12 :: v_dual_fmac_f32 v137, v143, v9
	v_mul_f32_e32 v12, v145, v12
	v_mul_f32_e32 v2, v139, v2
	v_fmac_f32_e32 v136, v141, v3
	v_fma_f32 v139, v140, v3, -v4
	v_fma_f32 v140, v142, v9, -v10
	v_fmac_f32_e32 v146, v145, v11
	v_fma_f32 v141, v144, v11, -v12
	ds_load_2addr_b64 v[9:12], v21 offset0:73 offset1:74
	s_wait_loadcnt_dscnt 0x201
	v_mul_f32_e32 v142, v5, v14
	v_dual_mul_f32 v14, v6, v14 :: v_dual_mul_f32 v143, v7, v16
	v_mul_f32_e32 v16, v8, v16
	s_delay_alu instid0(VALU_DEP_3) | instskip(NEXT) | instid1(VALU_DEP_3)
	v_fmac_f32_e32 v142, v6, v13
	v_fma_f32 v13, v5, v13, -v14
	s_delay_alu instid0(VALU_DEP_4) | instskip(NEXT) | instid1(VALU_DEP_4)
	v_fmac_f32_e32 v143, v8, v15
	v_fma_f32 v14, v7, v15, -v16
	ds_load_2addr_b64 v[5:8], v21 offset0:75 offset1:76
	s_wait_loadcnt_dscnt 0x101
	v_mul_f32_e32 v15, v9, v18
	v_mul_f32_e32 v16, v10, v18
	;; [unrolled: 1-line block ×3, first 2 shown]
	s_delay_alu instid0(VALU_DEP_3)
	v_dual_mul_f32 v20, v12, v20 :: v_dual_fmac_f32 v15, v10, v17
	v_fma_f32 v138, v138, v1, -v2
	scratch_load_b128 v[1:4], off, off offset:168
	v_fma_f32 v16, v9, v17, -v16
	v_fmac_f32_e32 v18, v12, v19
	v_fma_f32 v17, v11, v19, -v20
	scratch_load_b128 v[9:12], off, off offset:184
	s_wait_loadcnt_dscnt 0x100
	v_mul_f32_e32 v19, v5, v2
	v_mul_f32_e32 v2, v6, v2
	;; [unrolled: 1-line block ×3, first 2 shown]
	s_delay_alu instid0(VALU_DEP_3) | instskip(NEXT) | instid1(VALU_DEP_3)
	v_dual_mul_f32 v4, v8, v4 :: v_dual_fmac_f32 v19, v6, v1
	v_fma_f32 v144, v5, v1, -v2
	s_delay_alu instid0(VALU_DEP_3) | instskip(NEXT) | instid1(VALU_DEP_3)
	v_fmac_f32_e32 v20, v8, v3
	v_fma_f32 v145, v7, v3, -v4
	ds_load_2addr_b64 v[1:4], v21 offset0:77 offset1:78
	ds_load_2addr_b64 v[5:8], v21 offset0:79 offset1:80
	s_wait_loadcnt_dscnt 0x1
	v_mul_f32_e32 v147, v1, v10
	v_mul_f32_e32 v10, v2, v10
	s_delay_alu instid0(VALU_DEP_2) | instskip(NEXT) | instid1(VALU_DEP_2)
	v_dual_mul_f32 v148, v3, v12 :: v_dual_fmac_f32 v147, v2, v9
	v_fma_f32 v149, v1, v9, -v10
	v_mul_f32_e32 v1, v4, v12
	s_delay_alu instid0(VALU_DEP_3) | instskip(NEXT) | instid1(VALU_DEP_2)
	v_fmac_f32_e32 v148, v4, v11
	v_fma_f32 v150, v3, v11, -v1
	s_clause 0x1
	scratch_load_b128 v[1:4], off, off offset:200
	scratch_load_b128 v[9:12], off, off offset:216
	s_wait_loadcnt_dscnt 0x100
	v_mul_f32_e32 v151, v5, v2
	v_dual_mul_f32 v2, v6, v2 :: v_dual_mul_f32 v153, v7, v4
	s_delay_alu instid0(VALU_DEP_2) | instskip(NEXT) | instid1(VALU_DEP_2)
	v_fmac_f32_e32 v151, v6, v1
	v_fma_f32 v152, v5, v1, -v2
	v_mul_f32_e32 v1, v8, v4
	s_delay_alu instid0(VALU_DEP_4) | instskip(NEXT) | instid1(VALU_DEP_2)
	v_fmac_f32_e32 v153, v8, v3
	v_fma_f32 v154, v7, v3, -v1
	ds_load_2addr_b64 v[1:4], v21 offset0:81 offset1:82
	ds_load_2addr_b64 v[5:8], v21 offset0:83 offset1:84
	s_wait_loadcnt_dscnt 0x1
	v_mul_f32_e32 v155, v1, v10
	v_mul_f32_e32 v157, v3, v12
	s_delay_alu instid0(VALU_DEP_2) | instskip(NEXT) | instid1(VALU_DEP_2)
	v_fmac_f32_e32 v155, v2, v9
	v_dual_mul_f32 v2, v2, v10 :: v_dual_fmac_f32 v157, v4, v11
	s_delay_alu instid0(VALU_DEP_1) | instskip(SKIP_1) | instid1(VALU_DEP_1)
	v_fma_f32 v156, v1, v9, -v2
	v_mul_f32_e32 v1, v4, v12
	v_fma_f32 v158, v3, v11, -v1
	s_clause 0x1
	scratch_load_b128 v[1:4], off, off offset:232
	scratch_load_b128 v[9:12], off, off offset:248
	s_wait_loadcnt_dscnt 0x100
	v_mul_f32_e32 v159, v5, v2
	v_dual_mul_f32 v2, v6, v2 :: v_dual_mul_f32 v161, v7, v4
	s_delay_alu instid0(VALU_DEP_2) | instskip(NEXT) | instid1(VALU_DEP_2)
	v_fmac_f32_e32 v159, v6, v1
	v_fma_f32 v160, v5, v1, -v2
	v_mul_f32_e32 v1, v8, v4
	s_delay_alu instid0(VALU_DEP_4) | instskip(NEXT) | instid1(VALU_DEP_2)
	v_fmac_f32_e32 v161, v8, v3
	v_fma_f32 v162, v7, v3, -v1
	ds_load_2addr_b64 v[1:4], v21 offset0:85 offset1:86
	ds_load_2addr_b64 v[5:8], v21 offset0:87 offset1:88
	s_wait_loadcnt_dscnt 0x1
	v_mul_f32_e32 v163, v1, v10
	v_mul_f32_e32 v165, v3, v12
	s_delay_alu instid0(VALU_DEP_2) | instskip(NEXT) | instid1(VALU_DEP_2)
	v_fmac_f32_e32 v163, v2, v9
	v_dual_mul_f32 v2, v2, v10 :: v_dual_fmac_f32 v165, v4, v11
	s_delay_alu instid0(VALU_DEP_1) | instskip(SKIP_1) | instid1(VALU_DEP_1)
	v_fma_f32 v164, v1, v9, -v2
	v_mul_f32_e32 v1, v4, v12
	;; [unrolled: 25-line block ×4, first 2 shown]
	v_fma_f32 v182, v3, v11, -v1
	s_clause 0x1
	scratch_load_b128 v[1:4], off, off offset:328
	scratch_load_b128 v[9:12], off, off offset:344
	s_wait_loadcnt_dscnt 0x100
	v_mul_f32_e32 v183, v5, v2
	v_mul_f32_e32 v2, v6, v2
	s_delay_alu instid0(VALU_DEP_1) | instskip(SKIP_1) | instid1(VALU_DEP_1)
	v_fma_f32 v184, v5, v1, -v2
	v_add_f32_e32 v2, 0, v23
	v_add_f32_e32 v2, v2, v24
	s_delay_alu instid0(VALU_DEP_1) | instskip(NEXT) | instid1(VALU_DEP_1)
	v_add_f32_e32 v2, v2, v135
	v_add_f32_e32 v2, v2, v136
	s_delay_alu instid0(VALU_DEP_1) | instskip(NEXT) | instid1(VALU_DEP_1)
	;; [unrolled: 3-line block ×6, first 2 shown]
	v_add_f32_e32 v2, v2, v147
	v_add_f32_e32 v2, v2, v148
	v_fmac_f32_e32 v183, v6, v1
	s_delay_alu instid0(VALU_DEP_2) | instskip(NEXT) | instid1(VALU_DEP_1)
	v_dual_add_f32 v2, v2, v151 :: v_dual_mul_f32 v185, v7, v4
	v_dual_add_f32 v2, v2, v153 :: v_dual_mul_f32 v1, v8, v4
	s_delay_alu instid0(VALU_DEP_1) | instskip(NEXT) | instid1(VALU_DEP_2)
	v_add_f32_e32 v2, v2, v155
	v_fma_f32 v186, v7, v3, -v1
	v_add_f32_e32 v1, 0, v22
	s_delay_alu instid0(VALU_DEP_3) | instskip(NEXT) | instid1(VALU_DEP_2)
	v_add_f32_e32 v5, v2, v157
	v_add_f32_e32 v1, v1, v134
	s_delay_alu instid0(VALU_DEP_1) | instskip(NEXT) | instid1(VALU_DEP_1)
	v_add_f32_e32 v1, v1, v138
	v_add_f32_e32 v1, v1, v139
	s_delay_alu instid0(VALU_DEP_1) | instskip(NEXT) | instid1(VALU_DEP_1)
	v_add_f32_e32 v1, v1, v140
	v_add_f32_e32 v1, v1, v141
	s_delay_alu instid0(VALU_DEP_1) | instskip(SKIP_1) | instid1(VALU_DEP_2)
	v_add_f32_e32 v1, v1, v13
	v_add_f32_e32 v13, v5, v159
	;; [unrolled: 1-line block ×3, first 2 shown]
	s_delay_alu instid0(VALU_DEP_2) | instskip(NEXT) | instid1(VALU_DEP_2)
	v_add_f32_e32 v13, v13, v161
	v_add_f32_e32 v1, v1, v16
	s_delay_alu instid0(VALU_DEP_1) | instskip(NEXT) | instid1(VALU_DEP_1)
	v_add_f32_e32 v1, v1, v17
	v_add_f32_e32 v1, v1, v144
	s_delay_alu instid0(VALU_DEP_1) | instskip(NEXT) | instid1(VALU_DEP_1)
	;; [unrolled: 3-line block ×5, first 2 shown]
	v_add_f32_e32 v1, v1, v158
	v_dual_add_f32 v6, v1, v160 :: v_dual_fmac_f32 v185, v8, v3
	ds_load_2addr_b64 v[1:4], v21 offset0:97 offset1:98
	v_dual_add_f32 v13, v13, v163 :: v_dual_add_f32 v14, v6, v162
	scratch_load_b128 v[5:8], off, off offset:360
	v_add_f32_e32 v18, v13, v165
	v_add_f32_e32 v14, v14, v164
	s_delay_alu instid0(VALU_DEP_1)
	v_add_f32_e32 v17, v14, v166
	ds_load_2addr_b64 v[13:16], v21 offset0:99 offset1:100
	s_wait_loadcnt_dscnt 0x101
	v_mul_f32_e32 v134, v1, v10
	v_dual_mul_f32 v10, v2, v10 :: v_dual_mul_f32 v135, v3, v12
	v_mul_f32_e32 v12, v4, v12
	v_add_f32_e32 v18, v18, v167
	s_delay_alu instid0(VALU_DEP_4) | instskip(NEXT) | instid1(VALU_DEP_4)
	v_fmac_f32_e32 v134, v2, v9
	v_fma_f32 v136, v1, v9, -v10
	v_fmac_f32_e32 v135, v4, v11
	v_fma_f32 v137, v3, v11, -v12
	s_clause 0x1
	scratch_load_b128 v[1:4], off, off offset:376
	scratch_load_b128 v[9:12], off, off offset:392
	v_add_f32_e32 v18, v18, v169
	s_delay_alu instid0(VALU_DEP_1) | instskip(NEXT) | instid1(VALU_DEP_1)
	v_add_f32_e32 v22, v18, v171
	v_add_f32_e32 v22, v22, v173
	s_wait_loadcnt_dscnt 0x200
	v_mul_f32_e32 v138, v13, v6
	v_dual_mul_f32 v6, v14, v6 :: v_dual_mul_f32 v139, v15, v8
	v_mul_f32_e32 v8, v16, v8
	v_add_f32_e32 v22, v22, v175
	s_delay_alu instid0(VALU_DEP_4) | instskip(NEXT) | instid1(VALU_DEP_4)
	v_fmac_f32_e32 v138, v14, v5
	v_fma_f32 v140, v13, v5, -v6
	v_fmac_f32_e32 v139, v16, v7
	v_fma_f32 v141, v15, v7, -v8
	ds_load_2addr_b64 v[5:8], v21 offset0:101 offset1:102
	v_add_f32_e32 v17, v17, v168
	v_add_f32_e32 v13, v22, v177
	s_delay_alu instid0(VALU_DEP_2) | instskip(NEXT) | instid1(VALU_DEP_1)
	v_add_f32_e32 v17, v17, v170
	v_add_f32_e32 v17, v17, v172
	s_delay_alu instid0(VALU_DEP_1) | instskip(SKIP_2) | instid1(VALU_DEP_1)
	v_add_f32_e32 v23, v17, v174
	scratch_load_b128 v[17:20], off, off offset:408
	v_add_f32_e32 v23, v23, v176
	v_add_f32_e32 v23, v23, v178
	s_delay_alu instid0(VALU_DEP_1)
	v_dual_add_f32 v22, v23, v180 :: v_dual_add_f32 v23, v13, v179
	ds_load_2addr_b64 v[13:16], v21 offset0:103 offset1:104
	s_wait_loadcnt_dscnt 0x201
	v_mul_f32_e32 v144, v5, v2
	v_mul_f32_e32 v2, v6, v2
	v_dual_add_f32 v142, v22, v182 :: v_dual_add_f32 v143, v23, v181
	ds_load_2addr_b64 v[21:24], v21 offset0:105 offset1:106
	v_fmac_f32_e32 v144, v6, v1
	v_fma_f32 v2, v5, v1, -v2
	v_dual_add_f32 v142, v142, v184 :: v_dual_add_f32 v143, v143, v183
	s_delay_alu instid0(VALU_DEP_1) | instskip(NEXT) | instid1(VALU_DEP_1)
	v_dual_add_f32 v142, v142, v186 :: v_dual_add_f32 v143, v143, v185
	v_add_f32_e32 v136, v142, v136
	s_delay_alu instid0(VALU_DEP_2)
	v_add_f32_e32 v134, v143, v134
	s_wait_loadcnt_dscnt 0x101
	v_mul_f32_e32 v6, v14, v10
	v_mul_f32_e32 v142, v7, v4
	v_mul_f32_e32 v4, v8, v4
	v_add_f32_e32 v136, v136, v137
	v_dual_add_f32 v134, v134, v135 :: v_dual_mul_f32 v143, v13, v10
	s_delay_alu instid0(VALU_DEP_4) | instskip(NEXT) | instid1(VALU_DEP_4)
	v_fmac_f32_e32 v142, v8, v3
	v_fma_f32 v3, v7, v3, -v4
	s_delay_alu instid0(VALU_DEP_4) | instskip(NEXT) | instid1(VALU_DEP_4)
	v_add_f32_e32 v136, v136, v140
	v_dual_add_f32 v134, v134, v138 :: v_dual_mul_f32 v145, v15, v12
	v_dual_mul_f32 v4, v16, v12 :: v_dual_fmac_f32 v143, v14, v9
	s_delay_alu instid0(VALU_DEP_3) | instskip(NEXT) | instid1(VALU_DEP_3)
	v_add_f32_e32 v1, v136, v141
	v_add_f32_e32 v5, v134, v139
	s_delay_alu instid0(VALU_DEP_4) | instskip(NEXT) | instid1(VALU_DEP_4)
	v_fmac_f32_e32 v145, v16, v11
	v_fma_f32 v4, v15, v11, -v4
	s_delay_alu instid0(VALU_DEP_4) | instskip(NEXT) | instid1(VALU_DEP_4)
	v_add_f32_e32 v1, v1, v2
	v_add_f32_e32 v2, v5, v144
	v_fma_f32 v5, v13, v9, -v6
	s_delay_alu instid0(VALU_DEP_2) | instskip(NEXT) | instid1(VALU_DEP_1)
	v_dual_add_f32 v1, v1, v3 :: v_dual_add_f32 v2, v2, v142
	v_dual_add_f32 v1, v1, v5 :: v_dual_add_f32 v2, v2, v143
	s_delay_alu instid0(VALU_DEP_1)
	v_dual_add_f32 v1, v1, v4 :: v_dual_add_f32 v2, v2, v145
	s_wait_loadcnt_dscnt 0x0
	v_mul_f32_e32 v135, v21, v18
	v_mul_f32_e32 v3, v22, v18
	;; [unrolled: 1-line block ×4, first 2 shown]
	s_delay_alu instid0(VALU_DEP_4) | instskip(NEXT) | instid1(VALU_DEP_4)
	v_fmac_f32_e32 v135, v22, v17
	v_fma_f32 v3, v21, v17, -v3
	s_delay_alu instid0(VALU_DEP_4) | instskip(NEXT) | instid1(VALU_DEP_4)
	v_fmac_f32_e32 v137, v24, v19
	v_fma_f32 v4, v23, v19, -v5
	s_delay_alu instid0(VALU_DEP_4) | instskip(NEXT) | instid1(VALU_DEP_1)
	v_add_f32_e32 v2, v2, v135
	v_dual_add_f32 v1, v1, v3 :: v_dual_add_f32 v2, v2, v137
	s_delay_alu instid0(VALU_DEP_1) | instskip(NEXT) | instid1(VALU_DEP_1)
	v_dual_add_f32 v1, v1, v4 :: v_dual_sub_f32 v2, v132, v2
	v_sub_f32_e32 v1, v131, v1
	scratch_store_b64 off, v[1:2], off offset:80
	v_cmpx_lt_u32_e32 9, v0
	s_cbranch_execz .LBB116_313
; %bb.312:
	scratch_load_b64 v[1:2], off, off offset:72
	v_mov_b32_e32 v3, 0
	s_delay_alu instid0(VALU_DEP_1)
	v_mov_b32_e32 v4, v3
	scratch_store_b64 off, v[3:4], off offset:72
	s_wait_loadcnt 0x0
	ds_store_b64 v133, v[1:2]
.LBB116_313:
	s_wait_alu 0xfffe
	s_or_b32 exec_lo, exec_lo, s0
	s_wait_storecnt_dscnt 0x0
	s_barrier_signal -1
	s_barrier_wait -1
	global_inv scope:SCOPE_SE
	s_clause 0x4
	scratch_load_b128 v[5:8], off, off offset:80
	scratch_load_b128 v[1:4], off, off offset:96
	;; [unrolled: 1-line block ×5, first 2 shown]
	v_mov_b32_e32 v21, 0
	ds_load_b128 v[134:137], v21 offset:512
	ds_load_b128 v[138:141], v21 offset:528
	;; [unrolled: 1-line block ×3, first 2 shown]
	scratch_load_b64 v[22:23], off, off offset:72
	s_mov_b32 s0, exec_lo
	s_wait_loadcnt_dscnt 0x502
	v_mul_f32_e32 v24, v135, v6
	v_dual_mul_f32 v131, v134, v6 :: v_dual_mul_f32 v132, v136, v8
	v_mul_f32_e32 v6, v137, v8
	s_delay_alu instid0(VALU_DEP_3) | instskip(NEXT) | instid1(VALU_DEP_3)
	v_fma_f32 v24, v134, v5, -v24
	v_dual_fmac_f32 v131, v135, v5 :: v_dual_fmac_f32 v132, v137, v7
	s_wait_loadcnt_dscnt 0x401
	v_mul_f32_e32 v135, v138, v2
	v_fma_f32 v134, v136, v7, -v6
	ds_load_b128 v[5:8], v21 offset:560
	s_wait_loadcnt_dscnt 0x301
	v_dual_mul_f32 v136, v140, v4 :: v_dual_mul_f32 v137, v142, v10
	v_dual_mul_f32 v4, v141, v4 :: v_dual_fmac_f32 v135, v139, v1
	v_mul_f32_e32 v10, v143, v10
	s_delay_alu instid0(VALU_DEP_3)
	v_dual_mul_f32 v146, v144, v12 :: v_dual_fmac_f32 v137, v143, v9
	v_mul_f32_e32 v12, v145, v12
	v_mul_f32_e32 v2, v139, v2
	v_fmac_f32_e32 v136, v141, v3
	v_fma_f32 v139, v140, v3, -v4
	v_fma_f32 v140, v142, v9, -v10
	v_fmac_f32_e32 v146, v145, v11
	v_fma_f32 v141, v144, v11, -v12
	ds_load_b128 v[9:12], v21 offset:576
	s_wait_loadcnt_dscnt 0x201
	v_dual_mul_f32 v143, v7, v16 :: v_dual_mul_f32 v142, v5, v14
	v_mul_f32_e32 v14, v6, v14
	v_mul_f32_e32 v16, v8, v16
	s_delay_alu instid0(VALU_DEP_3)
	v_fmac_f32_e32 v143, v8, v15
	v_fma_f32 v138, v138, v1, -v2
	scratch_load_b128 v[1:4], off, off offset:160
	v_fmac_f32_e32 v142, v6, v13
	v_fma_f32 v13, v5, v13, -v14
	v_fma_f32 v14, v7, v15, -v16
	ds_load_b128 v[5:8], v21 offset:592
	s_wait_loadcnt_dscnt 0x201
	v_mul_f32_e32 v15, v9, v18
	v_mul_f32_e32 v16, v10, v18
	v_mul_f32_e32 v18, v11, v20
	s_delay_alu instid0(VALU_DEP_3) | instskip(NEXT) | instid1(VALU_DEP_3)
	v_dual_mul_f32 v20, v12, v20 :: v_dual_fmac_f32 v15, v10, v17
	v_fma_f32 v16, v9, v17, -v16
	s_delay_alu instid0(VALU_DEP_3) | instskip(NEXT) | instid1(VALU_DEP_3)
	v_fmac_f32_e32 v18, v12, v19
	v_fma_f32 v17, v11, v19, -v20
	scratch_load_b128 v[9:12], off, off offset:176
	s_wait_loadcnt_dscnt 0x100
	v_mul_f32_e32 v19, v5, v2
	v_mul_f32_e32 v2, v6, v2
	;; [unrolled: 1-line block ×3, first 2 shown]
	s_delay_alu instid0(VALU_DEP_3) | instskip(NEXT) | instid1(VALU_DEP_3)
	v_dual_mul_f32 v4, v8, v4 :: v_dual_fmac_f32 v19, v6, v1
	v_fma_f32 v144, v5, v1, -v2
	s_delay_alu instid0(VALU_DEP_3) | instskip(NEXT) | instid1(VALU_DEP_3)
	v_fmac_f32_e32 v20, v8, v3
	v_fma_f32 v145, v7, v3, -v4
	ds_load_b128 v[1:4], v21 offset:608
	ds_load_b128 v[5:8], v21 offset:624
	s_wait_loadcnt_dscnt 0x1
	v_mul_f32_e32 v147, v1, v10
	v_mul_f32_e32 v10, v2, v10
	s_delay_alu instid0(VALU_DEP_2) | instskip(NEXT) | instid1(VALU_DEP_2)
	v_dual_mul_f32 v148, v3, v12 :: v_dual_fmac_f32 v147, v2, v9
	v_fma_f32 v149, v1, v9, -v10
	v_mul_f32_e32 v1, v4, v12
	s_delay_alu instid0(VALU_DEP_3) | instskip(NEXT) | instid1(VALU_DEP_2)
	v_fmac_f32_e32 v148, v4, v11
	v_fma_f32 v150, v3, v11, -v1
	s_clause 0x1
	scratch_load_b128 v[1:4], off, off offset:192
	scratch_load_b128 v[9:12], off, off offset:208
	s_wait_loadcnt_dscnt 0x100
	v_mul_f32_e32 v151, v5, v2
	v_dual_mul_f32 v2, v6, v2 :: v_dual_mul_f32 v153, v7, v4
	s_delay_alu instid0(VALU_DEP_2) | instskip(NEXT) | instid1(VALU_DEP_2)
	v_fmac_f32_e32 v151, v6, v1
	v_fma_f32 v152, v5, v1, -v2
	v_mul_f32_e32 v1, v8, v4
	s_delay_alu instid0(VALU_DEP_4) | instskip(NEXT) | instid1(VALU_DEP_2)
	v_fmac_f32_e32 v153, v8, v3
	v_fma_f32 v154, v7, v3, -v1
	ds_load_b128 v[1:4], v21 offset:640
	ds_load_b128 v[5:8], v21 offset:656
	s_wait_loadcnt_dscnt 0x1
	v_mul_f32_e32 v155, v1, v10
	v_mul_f32_e32 v157, v3, v12
	s_delay_alu instid0(VALU_DEP_2) | instskip(NEXT) | instid1(VALU_DEP_2)
	v_fmac_f32_e32 v155, v2, v9
	v_dual_mul_f32 v2, v2, v10 :: v_dual_fmac_f32 v157, v4, v11
	s_delay_alu instid0(VALU_DEP_1) | instskip(SKIP_1) | instid1(VALU_DEP_1)
	v_fma_f32 v156, v1, v9, -v2
	v_mul_f32_e32 v1, v4, v12
	v_fma_f32 v158, v3, v11, -v1
	s_clause 0x1
	scratch_load_b128 v[1:4], off, off offset:224
	scratch_load_b128 v[9:12], off, off offset:240
	s_wait_loadcnt_dscnt 0x100
	v_mul_f32_e32 v159, v5, v2
	v_dual_mul_f32 v161, v7, v4 :: v_dual_mul_f32 v2, v6, v2
	s_delay_alu instid0(VALU_DEP_2) | instskip(NEXT) | instid1(VALU_DEP_2)
	v_fmac_f32_e32 v159, v6, v1
	v_fmac_f32_e32 v161, v8, v3
	s_delay_alu instid0(VALU_DEP_3) | instskip(SKIP_1) | instid1(VALU_DEP_1)
	v_fma_f32 v160, v5, v1, -v2
	v_mul_f32_e32 v1, v8, v4
	v_fma_f32 v162, v7, v3, -v1
	ds_load_b128 v[1:4], v21 offset:672
	ds_load_b128 v[5:8], v21 offset:688
	s_wait_loadcnt_dscnt 0x1
	v_mul_f32_e32 v163, v1, v10
	v_mul_f32_e32 v165, v3, v12
	s_delay_alu instid0(VALU_DEP_2) | instskip(NEXT) | instid1(VALU_DEP_2)
	v_fmac_f32_e32 v163, v2, v9
	v_dual_mul_f32 v2, v2, v10 :: v_dual_fmac_f32 v165, v4, v11
	s_delay_alu instid0(VALU_DEP_1) | instskip(SKIP_1) | instid1(VALU_DEP_1)
	v_fma_f32 v164, v1, v9, -v2
	v_mul_f32_e32 v1, v4, v12
	v_fma_f32 v166, v3, v11, -v1
	s_clause 0x1
	scratch_load_b128 v[1:4], off, off offset:256
	scratch_load_b128 v[9:12], off, off offset:272
	s_wait_loadcnt_dscnt 0x100
	v_mul_f32_e32 v167, v5, v2
	v_dual_mul_f32 v2, v6, v2 :: v_dual_mul_f32 v169, v7, v4
	s_delay_alu instid0(VALU_DEP_2) | instskip(NEXT) | instid1(VALU_DEP_2)
	v_fmac_f32_e32 v167, v6, v1
	v_fma_f32 v168, v5, v1, -v2
	v_mul_f32_e32 v1, v8, v4
	s_delay_alu instid0(VALU_DEP_4) | instskip(NEXT) | instid1(VALU_DEP_2)
	v_fmac_f32_e32 v169, v8, v3
	v_fma_f32 v170, v7, v3, -v1
	ds_load_b128 v[1:4], v21 offset:704
	ds_load_b128 v[5:8], v21 offset:720
	s_wait_loadcnt_dscnt 0x1
	v_mul_f32_e32 v171, v1, v10
	v_mul_f32_e32 v173, v3, v12
	s_delay_alu instid0(VALU_DEP_2) | instskip(NEXT) | instid1(VALU_DEP_2)
	v_fmac_f32_e32 v171, v2, v9
	v_dual_mul_f32 v2, v2, v10 :: v_dual_fmac_f32 v173, v4, v11
	s_delay_alu instid0(VALU_DEP_1) | instskip(SKIP_1) | instid1(VALU_DEP_1)
	v_fma_f32 v172, v1, v9, -v2
	v_mul_f32_e32 v1, v4, v12
	v_fma_f32 v174, v3, v11, -v1
	s_clause 0x1
	scratch_load_b128 v[1:4], off, off offset:288
	scratch_load_b128 v[9:12], off, off offset:304
	s_wait_loadcnt_dscnt 0x100
	v_mul_f32_e32 v175, v5, v2
	v_dual_mul_f32 v2, v6, v2 :: v_dual_mul_f32 v177, v7, v4
	s_delay_alu instid0(VALU_DEP_2) | instskip(NEXT) | instid1(VALU_DEP_2)
	v_fmac_f32_e32 v175, v6, v1
	v_fma_f32 v176, v5, v1, -v2
	v_mul_f32_e32 v1, v8, v4
	s_delay_alu instid0(VALU_DEP_4) | instskip(NEXT) | instid1(VALU_DEP_2)
	v_fmac_f32_e32 v177, v8, v3
	v_fma_f32 v178, v7, v3, -v1
	ds_load_b128 v[1:4], v21 offset:736
	ds_load_b128 v[5:8], v21 offset:752
	s_wait_loadcnt_dscnt 0x1
	v_mul_f32_e32 v179, v1, v10
	v_mul_f32_e32 v181, v3, v12
	s_delay_alu instid0(VALU_DEP_2) | instskip(NEXT) | instid1(VALU_DEP_2)
	v_fmac_f32_e32 v179, v2, v9
	v_dual_mul_f32 v2, v2, v10 :: v_dual_fmac_f32 v181, v4, v11
	s_delay_alu instid0(VALU_DEP_1) | instskip(SKIP_1) | instid1(VALU_DEP_1)
	v_fma_f32 v180, v1, v9, -v2
	v_mul_f32_e32 v1, v4, v12
	v_fma_f32 v182, v3, v11, -v1
	s_clause 0x1
	scratch_load_b128 v[1:4], off, off offset:320
	scratch_load_b128 v[9:12], off, off offset:336
	s_wait_loadcnt_dscnt 0x100
	v_mul_f32_e32 v183, v5, v2
	v_mul_f32_e32 v2, v6, v2
	s_delay_alu instid0(VALU_DEP_1) | instskip(SKIP_1) | instid1(VALU_DEP_1)
	v_fma_f32 v184, v5, v1, -v2
	v_add_f32_e32 v2, 0, v131
	v_add_f32_e32 v2, v2, v132
	s_delay_alu instid0(VALU_DEP_1) | instskip(NEXT) | instid1(VALU_DEP_1)
	v_add_f32_e32 v2, v2, v135
	v_add_f32_e32 v2, v2, v136
	s_delay_alu instid0(VALU_DEP_1) | instskip(NEXT) | instid1(VALU_DEP_1)
	;; [unrolled: 3-line block ×7, first 2 shown]
	v_add_f32_e32 v2, v2, v151
	v_add_f32_e32 v2, v2, v153
	v_fmac_f32_e32 v183, v6, v1
	v_mul_f32_e32 v1, v8, v4
	s_delay_alu instid0(VALU_DEP_3) | instskip(NEXT) | instid1(VALU_DEP_2)
	v_dual_mul_f32 v185, v7, v4 :: v_dual_add_f32 v2, v2, v155
	v_fma_f32 v186, v7, v3, -v1
	v_add_f32_e32 v1, 0, v24
	s_delay_alu instid0(VALU_DEP_3) | instskip(NEXT) | instid1(VALU_DEP_2)
	v_add_f32_e32 v5, v2, v157
	v_add_f32_e32 v1, v1, v134
	s_delay_alu instid0(VALU_DEP_1) | instskip(NEXT) | instid1(VALU_DEP_1)
	v_add_f32_e32 v1, v1, v138
	v_add_f32_e32 v1, v1, v139
	s_delay_alu instid0(VALU_DEP_1) | instskip(NEXT) | instid1(VALU_DEP_1)
	v_add_f32_e32 v1, v1, v140
	v_add_f32_e32 v1, v1, v141
	s_delay_alu instid0(VALU_DEP_1) | instskip(SKIP_1) | instid1(VALU_DEP_2)
	v_add_f32_e32 v1, v1, v13
	v_add_f32_e32 v13, v5, v159
	;; [unrolled: 1-line block ×3, first 2 shown]
	s_delay_alu instid0(VALU_DEP_2) | instskip(NEXT) | instid1(VALU_DEP_2)
	v_add_f32_e32 v13, v13, v161
	v_add_f32_e32 v1, v1, v16
	s_delay_alu instid0(VALU_DEP_1) | instskip(NEXT) | instid1(VALU_DEP_1)
	v_add_f32_e32 v1, v1, v17
	v_add_f32_e32 v1, v1, v144
	s_delay_alu instid0(VALU_DEP_1) | instskip(NEXT) | instid1(VALU_DEP_1)
	;; [unrolled: 3-line block ×5, first 2 shown]
	v_add_f32_e32 v1, v1, v158
	v_dual_add_f32 v6, v1, v160 :: v_dual_fmac_f32 v185, v8, v3
	scratch_load_b128 v[1:4], off, off offset:352
	v_dual_add_f32 v13, v13, v163 :: v_dual_add_f32 v14, v6, v162
	ds_load_b128 v[5:8], v21 offset:768
	v_add_f32_e32 v18, v13, v165
	v_add_f32_e32 v14, v14, v164
	s_delay_alu instid0(VALU_DEP_1)
	v_add_f32_e32 v17, v14, v166
	ds_load_b128 v[13:16], v21 offset:784
	s_wait_loadcnt_dscnt 0x101
	v_mul_f32_e32 v24, v5, v10
	v_add_f32_e32 v18, v18, v167
	v_mul_f32_e32 v10, v6, v10
	v_mul_f32_e32 v140, v7, v12
	;; [unrolled: 1-line block ×3, first 2 shown]
	v_fmac_f32_e32 v24, v6, v9
	v_add_f32_e32 v18, v18, v169
	v_fma_f32 v141, v5, v9, -v10
	v_fmac_f32_e32 v140, v8, v11
	v_fma_f32 v142, v7, v11, -v12
	scratch_load_b128 v[9:12], off, off offset:384
	v_add_f32_e32 v131, v18, v171
	scratch_load_b128 v[5:8], off, off offset:368
	v_add_f32_e32 v134, v131, v173
	s_delay_alu instid0(VALU_DEP_1) | instskip(SKIP_1) | instid1(VALU_DEP_1)
	v_add_f32_e32 v134, v134, v175
	s_wait_loadcnt_dscnt 0x200
	v_dual_add_f32 v134, v134, v177 :: v_dual_mul_f32 v143, v13, v2
	v_mul_f32_e32 v2, v14, v2
	v_mul_f32_e32 v144, v15, v4
	s_delay_alu instid0(VALU_DEP_3) | instskip(NEXT) | instid1(VALU_DEP_3)
	v_dual_mul_f32 v4, v16, v4 :: v_dual_fmac_f32 v143, v14, v1
	v_fma_f32 v145, v13, v1, -v2
	v_add_f32_e32 v13, v134, v179
	s_delay_alu instid0(VALU_DEP_4) | instskip(NEXT) | instid1(VALU_DEP_4)
	v_fmac_f32_e32 v144, v16, v3
	v_fma_f32 v146, v15, v3, -v4
	ds_load_b128 v[1:4], v21 offset:800
	v_add_f32_e32 v134, v13, v181
	v_add_f32_e32 v17, v17, v168
	s_delay_alu instid0(VALU_DEP_1) | instskip(NEXT) | instid1(VALU_DEP_1)
	v_add_f32_e32 v17, v17, v170
	v_add_f32_e32 v17, v17, v172
	s_delay_alu instid0(VALU_DEP_1)
	v_add_f32_e32 v132, v17, v174
	scratch_load_b128 v[17:20], off, off offset:400
	v_add_f32_e32 v139, v134, v183
	v_add_f32_e32 v135, v132, v176
	scratch_load_b64 v[131:132], off, off offset:416
	v_add_f32_e32 v148, v139, v185
	s_delay_alu instid0(VALU_DEP_1) | instskip(NEXT) | instid1(VALU_DEP_1)
	v_dual_add_f32 v135, v135, v178 :: v_dual_add_f32 v24, v148, v24
	v_add_f32_e32 v135, v135, v180
	s_delay_alu instid0(VALU_DEP_2) | instskip(NEXT) | instid1(VALU_DEP_2)
	v_add_f32_e32 v24, v24, v140
	v_add_f32_e32 v14, v135, v182
	ds_load_b128 v[134:137], v21 offset:832
	v_add_f32_e32 v24, v24, v143
	v_add_f32_e32 v138, v14, v184
	ds_load_b128 v[13:16], v21 offset:816
	v_add_f32_e32 v24, v24, v144
	s_wait_loadcnt_dscnt 0x202
	v_mul_f32_e32 v140, v3, v8
	v_dual_mul_f32 v8, v4, v8 :: v_dual_add_f32 v147, v138, v186
	ds_load_b64 v[138:139], v21 offset:848
	s_wait_dscnt 0x1
	v_dual_fmac_f32 v140, v4, v7 :: v_dual_mul_f32 v143, v15, v12
	s_delay_alu instid0(VALU_DEP_1) | instskip(SKIP_2) | instid1(VALU_DEP_1)
	v_fmac_f32_e32 v143, v16, v11
	s_wait_loadcnt_dscnt 0x0
	v_dual_add_f32 v141, v147, v141 :: v_dual_mul_f32 v144, v138, v132
	v_add_f32_e32 v141, v141, v142
	v_mul_f32_e32 v142, v13, v10
	s_delay_alu instid0(VALU_DEP_2) | instskip(SKIP_1) | instid1(VALU_DEP_2)
	v_dual_fmac_f32 v144, v139, v131 :: v_dual_add_f32 v141, v141, v145
	v_mul_f32_e32 v145, v134, v18
	v_dual_fmac_f32 v142, v14, v9 :: v_dual_add_f32 v141, v141, v146
	s_delay_alu instid0(VALU_DEP_2) | instskip(SKIP_2) | instid1(VALU_DEP_2)
	v_fmac_f32_e32 v145, v135, v17
	v_mul_f32_e32 v147, v1, v6
	v_mul_f32_e32 v6, v2, v6
	v_dual_mul_f32 v146, v136, v20 :: v_dual_fmac_f32 v147, v2, v5
	s_delay_alu instid0(VALU_DEP_2) | instskip(SKIP_3) | instid1(VALU_DEP_4)
	v_fma_f32 v1, v1, v5, -v6
	v_fma_f32 v2, v3, v7, -v8
	v_mul_f32_e32 v3, v14, v10
	v_mul_f32_e32 v5, v16, v12
	v_dual_add_f32 v4, v24, v147 :: v_dual_add_f32 v1, v141, v1
	v_fmac_f32_e32 v146, v137, v19
	s_delay_alu instid0(VALU_DEP_4) | instskip(NEXT) | instid1(VALU_DEP_4)
	v_fma_f32 v3, v13, v9, -v3
	v_fma_f32 v5, v15, v11, -v5
	s_delay_alu instid0(VALU_DEP_4) | instskip(NEXT) | instid1(VALU_DEP_1)
	v_dual_add_f32 v1, v1, v2 :: v_dual_add_f32 v2, v4, v140
	v_dual_mul_f32 v4, v135, v18 :: v_dual_add_f32 v1, v1, v3
	s_delay_alu instid0(VALU_DEP_2) | instskip(NEXT) | instid1(VALU_DEP_2)
	v_dual_add_f32 v2, v2, v142 :: v_dual_mul_f32 v3, v137, v20
	v_fma_f32 v4, v134, v17, -v4
	s_delay_alu instid0(VALU_DEP_2) | instskip(SKIP_1) | instid1(VALU_DEP_4)
	v_dual_add_f32 v1, v1, v5 :: v_dual_add_f32 v2, v2, v143
	v_mul_f32_e32 v5, v139, v132
	v_fma_f32 v3, v136, v19, -v3
	s_delay_alu instid0(VALU_DEP_3) | instskip(NEXT) | instid1(VALU_DEP_3)
	v_dual_add_f32 v1, v1, v4 :: v_dual_add_f32 v2, v2, v145
	v_fma_f32 v4, v138, v131, -v5
	s_delay_alu instid0(VALU_DEP_2) | instskip(NEXT) | instid1(VALU_DEP_1)
	v_dual_add_f32 v1, v1, v3 :: v_dual_add_f32 v2, v2, v146
	v_add_f32_e32 v1, v1, v4
	s_delay_alu instid0(VALU_DEP_2) | instskip(NEXT) | instid1(VALU_DEP_1)
	v_add_f32_e32 v2, v2, v144
	v_dual_sub_f32 v1, v22, v1 :: v_dual_sub_f32 v2, v23, v2
	scratch_store_b64 off, v[1:2], off offset:72
	v_cmpx_lt_u32_e32 8, v0
	s_cbranch_execz .LBB116_315
; %bb.314:
	scratch_load_b64 v[1:2], off, off offset:64
	v_mov_b32_e32 v22, v21
	scratch_store_b64 off, v[21:22], off offset:64
	s_wait_loadcnt 0x0
	ds_store_b64 v133, v[1:2]
.LBB116_315:
	s_wait_alu 0xfffe
	s_or_b32 exec_lo, exec_lo, s0
	s_wait_storecnt_dscnt 0x0
	s_barrier_signal -1
	s_barrier_wait -1
	global_inv scope:SCOPE_SE
	s_clause 0x4
	scratch_load_b128 v[5:8], off, off offset:72
	scratch_load_b128 v[1:4], off, off offset:88
	;; [unrolled: 1-line block ×5, first 2 shown]
	ds_load_2addr_b64 v[134:137], v21 offset0:63 offset1:64
	ds_load_2addr_b64 v[138:141], v21 offset0:65 offset1:66
	;; [unrolled: 1-line block ×3, first 2 shown]
	scratch_load_b64 v[131:132], off, off offset:64
	s_mov_b32 s0, exec_lo
	s_wait_loadcnt_dscnt 0x502
	v_mul_f32_e32 v22, v135, v6
	v_dual_mul_f32 v23, v134, v6 :: v_dual_mul_f32 v24, v136, v8
	v_mul_f32_e32 v6, v137, v8
	s_delay_alu instid0(VALU_DEP_3) | instskip(NEXT) | instid1(VALU_DEP_3)
	v_fma_f32 v22, v134, v5, -v22
	v_dual_fmac_f32 v23, v135, v5 :: v_dual_fmac_f32 v24, v137, v7
	s_wait_loadcnt_dscnt 0x401
	v_mul_f32_e32 v135, v138, v2
	v_fma_f32 v134, v136, v7, -v6
	ds_load_2addr_b64 v[5:8], v21 offset0:69 offset1:70
	s_wait_loadcnt_dscnt 0x301
	v_dual_mul_f32 v136, v140, v4 :: v_dual_mul_f32 v137, v142, v10
	v_dual_mul_f32 v4, v141, v4 :: v_dual_fmac_f32 v135, v139, v1
	v_mul_f32_e32 v10, v143, v10
	s_delay_alu instid0(VALU_DEP_3)
	v_dual_mul_f32 v146, v144, v12 :: v_dual_fmac_f32 v137, v143, v9
	v_mul_f32_e32 v12, v145, v12
	v_mul_f32_e32 v2, v139, v2
	v_fmac_f32_e32 v136, v141, v3
	v_fma_f32 v139, v140, v3, -v4
	v_fma_f32 v140, v142, v9, -v10
	v_fmac_f32_e32 v146, v145, v11
	v_fma_f32 v141, v144, v11, -v12
	ds_load_2addr_b64 v[9:12], v21 offset0:71 offset1:72
	s_wait_loadcnt_dscnt 0x201
	v_mul_f32_e32 v142, v5, v14
	v_dual_mul_f32 v14, v6, v14 :: v_dual_mul_f32 v143, v7, v16
	v_mul_f32_e32 v16, v8, v16
	s_delay_alu instid0(VALU_DEP_3) | instskip(NEXT) | instid1(VALU_DEP_3)
	v_fmac_f32_e32 v142, v6, v13
	v_fma_f32 v13, v5, v13, -v14
	s_delay_alu instid0(VALU_DEP_4) | instskip(NEXT) | instid1(VALU_DEP_4)
	v_fmac_f32_e32 v143, v8, v15
	v_fma_f32 v14, v7, v15, -v16
	ds_load_2addr_b64 v[5:8], v21 offset0:73 offset1:74
	s_wait_loadcnt_dscnt 0x101
	v_mul_f32_e32 v15, v9, v18
	v_mul_f32_e32 v16, v10, v18
	;; [unrolled: 1-line block ×3, first 2 shown]
	s_delay_alu instid0(VALU_DEP_3)
	v_dual_mul_f32 v20, v12, v20 :: v_dual_fmac_f32 v15, v10, v17
	v_fma_f32 v138, v138, v1, -v2
	scratch_load_b128 v[1:4], off, off offset:152
	v_fma_f32 v16, v9, v17, -v16
	v_fmac_f32_e32 v18, v12, v19
	v_fma_f32 v17, v11, v19, -v20
	scratch_load_b128 v[9:12], off, off offset:168
	s_wait_loadcnt_dscnt 0x100
	v_mul_f32_e32 v19, v5, v2
	v_mul_f32_e32 v2, v6, v2
	;; [unrolled: 1-line block ×3, first 2 shown]
	s_delay_alu instid0(VALU_DEP_3) | instskip(NEXT) | instid1(VALU_DEP_3)
	v_dual_mul_f32 v4, v8, v4 :: v_dual_fmac_f32 v19, v6, v1
	v_fma_f32 v144, v5, v1, -v2
	s_delay_alu instid0(VALU_DEP_3) | instskip(NEXT) | instid1(VALU_DEP_3)
	v_fmac_f32_e32 v20, v8, v3
	v_fma_f32 v145, v7, v3, -v4
	ds_load_2addr_b64 v[1:4], v21 offset0:75 offset1:76
	ds_load_2addr_b64 v[5:8], v21 offset0:77 offset1:78
	s_wait_loadcnt_dscnt 0x1
	v_mul_f32_e32 v147, v1, v10
	v_mul_f32_e32 v10, v2, v10
	s_delay_alu instid0(VALU_DEP_2) | instskip(NEXT) | instid1(VALU_DEP_2)
	v_dual_mul_f32 v148, v3, v12 :: v_dual_fmac_f32 v147, v2, v9
	v_fma_f32 v149, v1, v9, -v10
	v_mul_f32_e32 v1, v4, v12
	s_delay_alu instid0(VALU_DEP_3) | instskip(NEXT) | instid1(VALU_DEP_2)
	v_fmac_f32_e32 v148, v4, v11
	v_fma_f32 v150, v3, v11, -v1
	s_clause 0x1
	scratch_load_b128 v[1:4], off, off offset:184
	scratch_load_b128 v[9:12], off, off offset:200
	s_wait_loadcnt_dscnt 0x100
	v_mul_f32_e32 v151, v5, v2
	v_dual_mul_f32 v2, v6, v2 :: v_dual_mul_f32 v153, v7, v4
	s_delay_alu instid0(VALU_DEP_2) | instskip(NEXT) | instid1(VALU_DEP_2)
	v_fmac_f32_e32 v151, v6, v1
	v_fma_f32 v152, v5, v1, -v2
	v_mul_f32_e32 v1, v8, v4
	s_delay_alu instid0(VALU_DEP_4) | instskip(NEXT) | instid1(VALU_DEP_2)
	v_fmac_f32_e32 v153, v8, v3
	v_fma_f32 v154, v7, v3, -v1
	ds_load_2addr_b64 v[1:4], v21 offset0:79 offset1:80
	ds_load_2addr_b64 v[5:8], v21 offset0:81 offset1:82
	s_wait_loadcnt_dscnt 0x1
	v_mul_f32_e32 v155, v1, v10
	v_mul_f32_e32 v157, v3, v12
	s_delay_alu instid0(VALU_DEP_2) | instskip(NEXT) | instid1(VALU_DEP_2)
	v_fmac_f32_e32 v155, v2, v9
	v_dual_mul_f32 v2, v2, v10 :: v_dual_fmac_f32 v157, v4, v11
	s_delay_alu instid0(VALU_DEP_1) | instskip(SKIP_1) | instid1(VALU_DEP_1)
	v_fma_f32 v156, v1, v9, -v2
	v_mul_f32_e32 v1, v4, v12
	v_fma_f32 v158, v3, v11, -v1
	s_clause 0x1
	scratch_load_b128 v[1:4], off, off offset:216
	scratch_load_b128 v[9:12], off, off offset:232
	s_wait_loadcnt_dscnt 0x100
	v_mul_f32_e32 v159, v5, v2
	v_dual_mul_f32 v2, v6, v2 :: v_dual_mul_f32 v161, v7, v4
	s_delay_alu instid0(VALU_DEP_2) | instskip(NEXT) | instid1(VALU_DEP_2)
	v_fmac_f32_e32 v159, v6, v1
	v_fma_f32 v160, v5, v1, -v2
	v_mul_f32_e32 v1, v8, v4
	s_delay_alu instid0(VALU_DEP_4) | instskip(NEXT) | instid1(VALU_DEP_2)
	v_fmac_f32_e32 v161, v8, v3
	v_fma_f32 v162, v7, v3, -v1
	ds_load_2addr_b64 v[1:4], v21 offset0:83 offset1:84
	ds_load_2addr_b64 v[5:8], v21 offset0:85 offset1:86
	s_wait_loadcnt_dscnt 0x1
	v_mul_f32_e32 v163, v1, v10
	v_mul_f32_e32 v165, v3, v12
	s_delay_alu instid0(VALU_DEP_2) | instskip(NEXT) | instid1(VALU_DEP_2)
	v_fmac_f32_e32 v163, v2, v9
	v_dual_mul_f32 v2, v2, v10 :: v_dual_fmac_f32 v165, v4, v11
	s_delay_alu instid0(VALU_DEP_1) | instskip(SKIP_1) | instid1(VALU_DEP_1)
	v_fma_f32 v164, v1, v9, -v2
	v_mul_f32_e32 v1, v4, v12
	;; [unrolled: 25-line block ×5, first 2 shown]
	v_fma_f32 v190, v3, v11, -v1
	s_clause 0x1
	scratch_load_b128 v[1:4], off, off offset:344
	scratch_load_b128 v[9:12], off, off offset:360
	s_wait_loadcnt_dscnt 0x100
	v_mul_f32_e32 v191, v5, v2
	v_mul_f32_e32 v2, v6, v2
	s_delay_alu instid0(VALU_DEP_2) | instskip(NEXT) | instid1(VALU_DEP_2)
	v_fmac_f32_e32 v191, v6, v1
	v_fma_f32 v192, v5, v1, -v2
	v_dual_mul_f32 v1, v8, v4 :: v_dual_add_f32 v2, 0, v23
	s_delay_alu instid0(VALU_DEP_1) | instskip(NEXT) | instid1(VALU_DEP_2)
	v_fma_f32 v194, v7, v3, -v1
	v_dual_add_f32 v1, 0, v22 :: v_dual_add_f32 v2, v2, v24
	s_delay_alu instid0(VALU_DEP_1) | instskip(NEXT) | instid1(VALU_DEP_1)
	v_dual_add_f32 v1, v1, v134 :: v_dual_add_f32 v2, v2, v135
	v_dual_add_f32 v1, v1, v138 :: v_dual_add_f32 v2, v2, v136
	s_delay_alu instid0(VALU_DEP_1) | instskip(NEXT) | instid1(VALU_DEP_1)
	v_dual_add_f32 v1, v1, v139 :: v_dual_add_f32 v2, v2, v137
	;; [unrolled: 3-line block ×5, first 2 shown]
	v_add_f32_e32 v1, v1, v144
	s_delay_alu instid0(VALU_DEP_1) | instskip(NEXT) | instid1(VALU_DEP_1)
	v_dual_add_f32 v2, v2, v20 :: v_dual_add_f32 v1, v1, v145
	v_dual_add_f32 v2, v2, v147 :: v_dual_add_f32 v1, v1, v149
	s_delay_alu instid0(VALU_DEP_1) | instskip(NEXT) | instid1(VALU_DEP_1)
	v_dual_add_f32 v2, v2, v148 :: v_dual_add_f32 v1, v1, v150
	v_dual_add_f32 v2, v2, v151 :: v_dual_add_f32 v1, v1, v152
	;; [unrolled: 3-line block ×4, first 2 shown]
	s_delay_alu instid0(VALU_DEP_1) | instskip(NEXT) | instid1(VALU_DEP_1)
	v_dual_add_f32 v2, v2, v161 :: v_dual_add_f32 v1, v1, v162
	v_add_f32_e32 v1, v1, v164
	s_delay_alu instid0(VALU_DEP_1) | instskip(NEXT) | instid1(VALU_DEP_1)
	v_dual_add_f32 v6, v1, v166 :: v_dual_add_f32 v5, v2, v163
	v_dual_add_f32 v6, v6, v168 :: v_dual_add_f32 v5, v5, v165
	s_delay_alu instid0(VALU_DEP_1) | instskip(NEXT) | instid1(VALU_DEP_2)
	v_add_f32_e32 v13, v6, v170
	v_add_f32_e32 v5, v5, v167
	v_mul_f32_e32 v193, v7, v4
	s_delay_alu instid0(VALU_DEP_3) | instskip(NEXT) | instid1(VALU_DEP_2)
	v_add_f32_e32 v13, v13, v172
	v_dual_add_f32 v14, v5, v169 :: v_dual_fmac_f32 v193, v8, v3
	ds_load_2addr_b64 v[1:4], v21 offset0:99 offset1:100
	ds_load_2addr_b64 v[5:8], v21 offset0:101 offset1:102
	v_add_f32_e32 v13, v13, v174
	s_delay_alu instid0(VALU_DEP_1) | instskip(NEXT) | instid1(VALU_DEP_1)
	v_add_f32_e32 v13, v13, v176
	v_add_f32_e32 v18, v13, v178
	s_delay_alu instid0(VALU_DEP_1)
	v_add_f32_e32 v18, v18, v180
	s_wait_loadcnt_dscnt 0x1
	v_dual_mul_f32 v134, v1, v10 :: v_dual_mul_f32 v135, v3, v12
	v_mul_f32_e32 v10, v2, v10
	v_mul_f32_e32 v12, v4, v12
	v_add_f32_e32 v14, v14, v171
	s_delay_alu instid0(VALU_DEP_4) | instskip(NEXT) | instid1(VALU_DEP_4)
	v_dual_fmac_f32 v134, v2, v9 :: v_dual_fmac_f32 v135, v4, v11
	v_fma_f32 v136, v1, v9, -v10
	s_delay_alu instid0(VALU_DEP_4)
	v_fma_f32 v137, v3, v11, -v12
	s_clause 0x1
	scratch_load_b128 v[1:4], off, off offset:376
	scratch_load_b128 v[9:12], off, off offset:392
	v_add_f32_e32 v14, v14, v173
	v_add_f32_e32 v18, v18, v182
	s_delay_alu instid0(VALU_DEP_2) | instskip(SKIP_2) | instid1(VALU_DEP_1)
	v_add_f32_e32 v17, v14, v175
	scratch_load_b128 v[13:16], off, off offset:408
	v_dual_add_f32 v22, v18, v184 :: v_dual_add_f32 v17, v17, v177
	v_add_f32_e32 v138, v22, v186
	s_delay_alu instid0(VALU_DEP_1) | instskip(NEXT) | instid1(VALU_DEP_1)
	v_add_f32_e32 v138, v138, v188
	v_add_f32_e32 v138, v138, v190
	s_delay_alu instid0(VALU_DEP_1) | instskip(NEXT) | instid1(VALU_DEP_1)
	v_add_f32_e32 v138, v138, v192
	v_add_f32_e32 v138, v138, v194
	s_delay_alu instid0(VALU_DEP_1)
	v_add_f32_e32 v136, v138, v136
	s_wait_loadcnt_dscnt 0x200
	v_mul_f32_e32 v140, v5, v2
	v_add_f32_e32 v17, v17, v179
	v_mul_f32_e32 v141, v7, v4
	v_mul_f32_e32 v4, v8, v4
	;; [unrolled: 1-line block ×3, first 2 shown]
	v_fmac_f32_e32 v140, v6, v1
	v_add_f32_e32 v17, v17, v181
	v_fmac_f32_e32 v141, v8, v3
	v_fma_f32 v3, v7, v3, -v4
	v_fma_f32 v2, v5, v1, -v2
	v_add_f32_e32 v1, v136, v137
	v_add_f32_e32 v23, v17, v183
	ds_load_2addr_b64 v[17:20], v21 offset0:103 offset1:104
	v_add_f32_e32 v1, v1, v2
	v_add_f32_e32 v139, v23, v185
	ds_load_2addr_b64 v[21:24], v21 offset0:105 offset1:106
	v_add_f32_e32 v1, v1, v3
	s_wait_loadcnt_dscnt 0x101
	v_mul_f32_e32 v142, v17, v10
	v_dual_mul_f32 v6, v18, v10 :: v_dual_mul_f32 v143, v19, v12
	v_mul_f32_e32 v4, v20, v12
	s_wait_loadcnt_dscnt 0x0
	v_dual_mul_f32 v144, v21, v14 :: v_dual_add_f32 v139, v139, v187
	v_fmac_f32_e32 v142, v18, v9
	v_mul_f32_e32 v3, v22, v14
	v_fmac_f32_e32 v143, v20, v11
	v_fma_f32 v4, v19, v11, -v4
	v_add_f32_e32 v139, v139, v189
	v_mul_f32_e32 v138, v23, v16
	v_fmac_f32_e32 v144, v22, v13
	v_fma_f32 v3, v21, v13, -v3
	s_delay_alu instid0(VALU_DEP_4) | instskip(NEXT) | instid1(VALU_DEP_1)
	v_add_f32_e32 v139, v139, v191
	v_dual_fmac_f32 v138, v24, v15 :: v_dual_add_f32 v139, v139, v193
	s_delay_alu instid0(VALU_DEP_1) | instskip(NEXT) | instid1(VALU_DEP_1)
	v_add_f32_e32 v134, v139, v134
	v_add_f32_e32 v5, v134, v135
	s_delay_alu instid0(VALU_DEP_1) | instskip(SKIP_1) | instid1(VALU_DEP_2)
	v_add_f32_e32 v2, v5, v140
	v_fma_f32 v5, v17, v9, -v6
	v_add_f32_e32 v2, v2, v141
	s_delay_alu instid0(VALU_DEP_2) | instskip(NEXT) | instid1(VALU_DEP_2)
	v_add_f32_e32 v1, v1, v5
	v_dual_mul_f32 v5, v24, v16 :: v_dual_add_f32 v2, v2, v142
	s_delay_alu instid0(VALU_DEP_2) | instskip(NEXT) | instid1(VALU_DEP_2)
	v_add_f32_e32 v1, v1, v4
	v_fma_f32 v4, v23, v15, -v5
	s_delay_alu instid0(VALU_DEP_3) | instskip(NEXT) | instid1(VALU_DEP_1)
	v_add_f32_e32 v2, v2, v143
	v_dual_add_f32 v1, v1, v3 :: v_dual_add_f32 v2, v2, v144
	s_delay_alu instid0(VALU_DEP_1) | instskip(NEXT) | instid1(VALU_DEP_1)
	v_dual_add_f32 v1, v1, v4 :: v_dual_add_f32 v2, v2, v138
	v_dual_sub_f32 v1, v131, v1 :: v_dual_sub_f32 v2, v132, v2
	scratch_store_b64 off, v[1:2], off offset:64
	v_cmpx_lt_u32_e32 7, v0
	s_cbranch_execz .LBB116_317
; %bb.316:
	scratch_load_b64 v[1:2], off, off offset:56
	v_mov_b32_e32 v3, 0
	s_delay_alu instid0(VALU_DEP_1)
	v_mov_b32_e32 v4, v3
	scratch_store_b64 off, v[3:4], off offset:56
	s_wait_loadcnt 0x0
	ds_store_b64 v133, v[1:2]
.LBB116_317:
	s_wait_alu 0xfffe
	s_or_b32 exec_lo, exec_lo, s0
	s_wait_storecnt_dscnt 0x0
	s_barrier_signal -1
	s_barrier_wait -1
	global_inv scope:SCOPE_SE
	s_clause 0x4
	scratch_load_b128 v[5:8], off, off offset:64
	scratch_load_b128 v[1:4], off, off offset:80
	;; [unrolled: 1-line block ×5, first 2 shown]
	v_mov_b32_e32 v21, 0
	ds_load_b128 v[134:137], v21 offset:496
	ds_load_b128 v[138:141], v21 offset:512
	;; [unrolled: 1-line block ×3, first 2 shown]
	scratch_load_b64 v[22:23], off, off offset:56
	s_mov_b32 s0, exec_lo
	s_wait_loadcnt_dscnt 0x502
	v_mul_f32_e32 v24, v135, v6
	v_dual_mul_f32 v131, v134, v6 :: v_dual_mul_f32 v132, v136, v8
	v_mul_f32_e32 v6, v137, v8
	s_delay_alu instid0(VALU_DEP_3) | instskip(NEXT) | instid1(VALU_DEP_3)
	v_fma_f32 v24, v134, v5, -v24
	v_dual_fmac_f32 v131, v135, v5 :: v_dual_fmac_f32 v132, v137, v7
	s_wait_loadcnt_dscnt 0x401
	v_mul_f32_e32 v135, v138, v2
	v_fma_f32 v134, v136, v7, -v6
	ds_load_b128 v[5:8], v21 offset:544
	s_wait_loadcnt_dscnt 0x301
	v_dual_mul_f32 v136, v140, v4 :: v_dual_mul_f32 v137, v142, v10
	v_dual_mul_f32 v4, v141, v4 :: v_dual_fmac_f32 v135, v139, v1
	v_mul_f32_e32 v10, v143, v10
	s_delay_alu instid0(VALU_DEP_3)
	v_dual_mul_f32 v146, v144, v12 :: v_dual_fmac_f32 v137, v143, v9
	v_mul_f32_e32 v12, v145, v12
	v_mul_f32_e32 v2, v139, v2
	v_fmac_f32_e32 v136, v141, v3
	v_fma_f32 v139, v140, v3, -v4
	v_fma_f32 v140, v142, v9, -v10
	v_fmac_f32_e32 v146, v145, v11
	v_fma_f32 v141, v144, v11, -v12
	ds_load_b128 v[9:12], v21 offset:560
	s_wait_loadcnt_dscnt 0x201
	v_dual_mul_f32 v143, v7, v16 :: v_dual_mul_f32 v142, v5, v14
	v_mul_f32_e32 v14, v6, v14
	v_mul_f32_e32 v16, v8, v16
	s_delay_alu instid0(VALU_DEP_3)
	v_fmac_f32_e32 v143, v8, v15
	v_fma_f32 v138, v138, v1, -v2
	scratch_load_b128 v[1:4], off, off offset:144
	v_fmac_f32_e32 v142, v6, v13
	v_fma_f32 v13, v5, v13, -v14
	v_fma_f32 v14, v7, v15, -v16
	ds_load_b128 v[5:8], v21 offset:576
	s_wait_loadcnt_dscnt 0x201
	v_mul_f32_e32 v15, v9, v18
	v_mul_f32_e32 v16, v10, v18
	;; [unrolled: 1-line block ×3, first 2 shown]
	s_delay_alu instid0(VALU_DEP_3) | instskip(NEXT) | instid1(VALU_DEP_3)
	v_dual_mul_f32 v20, v12, v20 :: v_dual_fmac_f32 v15, v10, v17
	v_fma_f32 v16, v9, v17, -v16
	s_delay_alu instid0(VALU_DEP_3) | instskip(NEXT) | instid1(VALU_DEP_3)
	v_fmac_f32_e32 v18, v12, v19
	v_fma_f32 v17, v11, v19, -v20
	scratch_load_b128 v[9:12], off, off offset:160
	s_wait_loadcnt_dscnt 0x100
	v_mul_f32_e32 v19, v5, v2
	v_mul_f32_e32 v2, v6, v2
	;; [unrolled: 1-line block ×3, first 2 shown]
	s_delay_alu instid0(VALU_DEP_3) | instskip(NEXT) | instid1(VALU_DEP_3)
	v_dual_mul_f32 v4, v8, v4 :: v_dual_fmac_f32 v19, v6, v1
	v_fma_f32 v144, v5, v1, -v2
	s_delay_alu instid0(VALU_DEP_3) | instskip(NEXT) | instid1(VALU_DEP_3)
	v_fmac_f32_e32 v20, v8, v3
	v_fma_f32 v145, v7, v3, -v4
	ds_load_b128 v[1:4], v21 offset:592
	ds_load_b128 v[5:8], v21 offset:608
	s_wait_loadcnt_dscnt 0x1
	v_mul_f32_e32 v147, v1, v10
	v_mul_f32_e32 v10, v2, v10
	s_delay_alu instid0(VALU_DEP_2) | instskip(NEXT) | instid1(VALU_DEP_2)
	v_dual_mul_f32 v148, v3, v12 :: v_dual_fmac_f32 v147, v2, v9
	v_fma_f32 v149, v1, v9, -v10
	v_mul_f32_e32 v1, v4, v12
	s_delay_alu instid0(VALU_DEP_3) | instskip(NEXT) | instid1(VALU_DEP_2)
	v_fmac_f32_e32 v148, v4, v11
	v_fma_f32 v150, v3, v11, -v1
	s_clause 0x1
	scratch_load_b128 v[1:4], off, off offset:176
	scratch_load_b128 v[9:12], off, off offset:192
	s_wait_loadcnt_dscnt 0x100
	v_mul_f32_e32 v151, v5, v2
	v_dual_mul_f32 v2, v6, v2 :: v_dual_mul_f32 v153, v7, v4
	s_delay_alu instid0(VALU_DEP_2) | instskip(NEXT) | instid1(VALU_DEP_2)
	v_fmac_f32_e32 v151, v6, v1
	v_fma_f32 v152, v5, v1, -v2
	v_mul_f32_e32 v1, v8, v4
	s_delay_alu instid0(VALU_DEP_4) | instskip(NEXT) | instid1(VALU_DEP_2)
	v_fmac_f32_e32 v153, v8, v3
	v_fma_f32 v154, v7, v3, -v1
	ds_load_b128 v[1:4], v21 offset:624
	ds_load_b128 v[5:8], v21 offset:640
	s_wait_loadcnt_dscnt 0x1
	v_mul_f32_e32 v155, v1, v10
	v_mul_f32_e32 v157, v3, v12
	s_delay_alu instid0(VALU_DEP_2) | instskip(NEXT) | instid1(VALU_DEP_2)
	v_fmac_f32_e32 v155, v2, v9
	v_dual_mul_f32 v2, v2, v10 :: v_dual_fmac_f32 v157, v4, v11
	s_delay_alu instid0(VALU_DEP_1) | instskip(SKIP_1) | instid1(VALU_DEP_1)
	v_fma_f32 v156, v1, v9, -v2
	v_mul_f32_e32 v1, v4, v12
	v_fma_f32 v158, v3, v11, -v1
	s_clause 0x1
	scratch_load_b128 v[1:4], off, off offset:208
	scratch_load_b128 v[9:12], off, off offset:224
	s_wait_loadcnt_dscnt 0x100
	v_mul_f32_e32 v159, v5, v2
	v_dual_mul_f32 v161, v7, v4 :: v_dual_mul_f32 v2, v6, v2
	s_delay_alu instid0(VALU_DEP_2) | instskip(NEXT) | instid1(VALU_DEP_2)
	v_fmac_f32_e32 v159, v6, v1
	v_fmac_f32_e32 v161, v8, v3
	s_delay_alu instid0(VALU_DEP_3) | instskip(SKIP_1) | instid1(VALU_DEP_1)
	v_fma_f32 v160, v5, v1, -v2
	v_mul_f32_e32 v1, v8, v4
	v_fma_f32 v162, v7, v3, -v1
	ds_load_b128 v[1:4], v21 offset:656
	ds_load_b128 v[5:8], v21 offset:672
	s_wait_loadcnt_dscnt 0x1
	v_mul_f32_e32 v163, v1, v10
	v_mul_f32_e32 v165, v3, v12
	s_delay_alu instid0(VALU_DEP_2) | instskip(NEXT) | instid1(VALU_DEP_2)
	v_fmac_f32_e32 v163, v2, v9
	v_dual_mul_f32 v2, v2, v10 :: v_dual_fmac_f32 v165, v4, v11
	s_delay_alu instid0(VALU_DEP_1) | instskip(SKIP_1) | instid1(VALU_DEP_1)
	v_fma_f32 v164, v1, v9, -v2
	v_mul_f32_e32 v1, v4, v12
	v_fma_f32 v166, v3, v11, -v1
	s_clause 0x1
	scratch_load_b128 v[1:4], off, off offset:240
	scratch_load_b128 v[9:12], off, off offset:256
	s_wait_loadcnt_dscnt 0x100
	v_mul_f32_e32 v167, v5, v2
	v_dual_mul_f32 v2, v6, v2 :: v_dual_mul_f32 v169, v7, v4
	s_delay_alu instid0(VALU_DEP_2) | instskip(NEXT) | instid1(VALU_DEP_2)
	v_fmac_f32_e32 v167, v6, v1
	v_fma_f32 v168, v5, v1, -v2
	v_mul_f32_e32 v1, v8, v4
	s_delay_alu instid0(VALU_DEP_4) | instskip(NEXT) | instid1(VALU_DEP_2)
	v_fmac_f32_e32 v169, v8, v3
	v_fma_f32 v170, v7, v3, -v1
	ds_load_b128 v[1:4], v21 offset:688
	ds_load_b128 v[5:8], v21 offset:704
	s_wait_loadcnt_dscnt 0x1
	v_mul_f32_e32 v171, v1, v10
	v_mul_f32_e32 v173, v3, v12
	s_delay_alu instid0(VALU_DEP_2) | instskip(NEXT) | instid1(VALU_DEP_2)
	v_fmac_f32_e32 v171, v2, v9
	v_dual_mul_f32 v2, v2, v10 :: v_dual_fmac_f32 v173, v4, v11
	s_delay_alu instid0(VALU_DEP_1) | instskip(SKIP_1) | instid1(VALU_DEP_1)
	v_fma_f32 v172, v1, v9, -v2
	v_mul_f32_e32 v1, v4, v12
	v_fma_f32 v174, v3, v11, -v1
	s_clause 0x1
	scratch_load_b128 v[1:4], off, off offset:272
	scratch_load_b128 v[9:12], off, off offset:288
	s_wait_loadcnt_dscnt 0x100
	v_mul_f32_e32 v175, v5, v2
	v_dual_mul_f32 v2, v6, v2 :: v_dual_mul_f32 v177, v7, v4
	s_delay_alu instid0(VALU_DEP_2) | instskip(NEXT) | instid1(VALU_DEP_2)
	v_fmac_f32_e32 v175, v6, v1
	v_fma_f32 v176, v5, v1, -v2
	v_mul_f32_e32 v1, v8, v4
	s_delay_alu instid0(VALU_DEP_4) | instskip(NEXT) | instid1(VALU_DEP_2)
	v_fmac_f32_e32 v177, v8, v3
	;; [unrolled: 25-line block ×3, first 2 shown]
	v_fma_f32 v186, v7, v3, -v1
	ds_load_b128 v[1:4], v21 offset:752
	ds_load_b128 v[5:8], v21 offset:768
	s_wait_loadcnt_dscnt 0x1
	v_mul_f32_e32 v187, v1, v10
	v_mul_f32_e32 v189, v3, v12
	s_delay_alu instid0(VALU_DEP_2) | instskip(NEXT) | instid1(VALU_DEP_2)
	v_fmac_f32_e32 v187, v2, v9
	v_dual_mul_f32 v2, v2, v10 :: v_dual_fmac_f32 v189, v4, v11
	s_delay_alu instid0(VALU_DEP_1) | instskip(SKIP_1) | instid1(VALU_DEP_1)
	v_fma_f32 v188, v1, v9, -v2
	v_mul_f32_e32 v1, v4, v12
	v_fma_f32 v190, v3, v11, -v1
	s_clause 0x1
	scratch_load_b128 v[1:4], off, off offset:336
	scratch_load_b128 v[9:12], off, off offset:352
	s_wait_loadcnt_dscnt 0x100
	v_mul_f32_e32 v191, v5, v2
	v_dual_mul_f32 v2, v6, v2 :: v_dual_mul_f32 v193, v7, v4
	s_delay_alu instid0(VALU_DEP_2) | instskip(NEXT) | instid1(VALU_DEP_2)
	v_fmac_f32_e32 v191, v6, v1
	v_fma_f32 v192, v5, v1, -v2
	v_dual_add_f32 v2, 0, v131 :: v_dual_mul_f32 v1, v8, v4
	s_delay_alu instid0(VALU_DEP_1) | instskip(NEXT) | instid1(VALU_DEP_2)
	v_dual_fmac_f32 v193, v8, v3 :: v_dual_add_f32 v2, v2, v132
	v_fma_f32 v194, v7, v3, -v1
	scratch_load_b64 v[131:132], off, off offset:416
	v_add_f32_e32 v2, v2, v135
	s_delay_alu instid0(VALU_DEP_1) | instskip(NEXT) | instid1(VALU_DEP_1)
	v_add_f32_e32 v2, v2, v136
	v_dual_add_f32 v1, 0, v24 :: v_dual_add_f32 v2, v2, v137
	s_delay_alu instid0(VALU_DEP_1) | instskip(NEXT) | instid1(VALU_DEP_2)
	v_add_f32_e32 v1, v1, v134
	v_add_f32_e32 v2, v2, v146
	s_delay_alu instid0(VALU_DEP_2) | instskip(NEXT) | instid1(VALU_DEP_1)
	v_add_f32_e32 v1, v1, v138
	v_dual_add_f32 v2, v2, v142 :: v_dual_add_f32 v1, v1, v139
	s_delay_alu instid0(VALU_DEP_1) | instskip(NEXT) | instid1(VALU_DEP_1)
	v_dual_add_f32 v2, v2, v143 :: v_dual_add_f32 v1, v1, v140
	v_dual_add_f32 v2, v2, v15 :: v_dual_add_f32 v1, v1, v141
	s_delay_alu instid0(VALU_DEP_1) | instskip(NEXT) | instid1(VALU_DEP_1)
	v_dual_add_f32 v2, v2, v18 :: v_dual_add_f32 v1, v1, v13
	v_add_f32_e32 v2, v2, v19
	s_delay_alu instid0(VALU_DEP_1) | instskip(NEXT) | instid1(VALU_DEP_1)
	v_add_f32_e32 v2, v2, v20
	v_add_f32_e32 v2, v2, v147
	s_delay_alu instid0(VALU_DEP_1) | instskip(NEXT) | instid1(VALU_DEP_1)
	v_add_f32_e32 v2, v2, v148
	;; [unrolled: 3-line block ×4, first 2 shown]
	v_add_f32_e32 v2, v2, v159
	s_delay_alu instid0(VALU_DEP_1) | instskip(NEXT) | instid1(VALU_DEP_1)
	v_dual_add_f32 v2, v2, v161 :: v_dual_add_f32 v1, v1, v14
	v_add_f32_e32 v1, v1, v16
	s_delay_alu instid0(VALU_DEP_1) | instskip(NEXT) | instid1(VALU_DEP_1)
	v_add_f32_e32 v1, v1, v17
	v_add_f32_e32 v1, v1, v144
	s_delay_alu instid0(VALU_DEP_1) | instskip(NEXT) | instid1(VALU_DEP_1)
	v_add_f32_e32 v1, v1, v145
	;; [unrolled: 3-line block ×6, first 2 shown]
	v_add_f32_e32 v1, v1, v164
	s_delay_alu instid0(VALU_DEP_1) | instskip(SKIP_2) | instid1(VALU_DEP_1)
	v_dual_add_f32 v6, v1, v166 :: v_dual_add_f32 v5, v2, v163
	ds_load_b128 v[1:4], v21 offset:784
	v_dual_add_f32 v6, v6, v168 :: v_dual_add_f32 v5, v5, v165
	v_add_f32_e32 v13, v6, v170
	s_delay_alu instid0(VALU_DEP_2) | instskip(NEXT) | instid1(VALU_DEP_2)
	v_add_f32_e32 v5, v5, v167
	v_add_f32_e32 v13, v13, v172
	s_delay_alu instid0(VALU_DEP_2)
	v_add_f32_e32 v14, v5, v169
	ds_load_b128 v[5:8], v21 offset:800
	v_add_f32_e32 v13, v13, v174
	s_wait_loadcnt_dscnt 0x101
	v_mul_f32_e32 v24, v1, v10
	v_mul_f32_e32 v10, v2, v10
	v_mul_f32_e32 v140, v3, v12
	v_mul_f32_e32 v12, v4, v12
	s_delay_alu instid0(VALU_DEP_4) | instskip(NEXT) | instid1(VALU_DEP_4)
	v_dual_add_f32 v13, v13, v176 :: v_dual_fmac_f32 v24, v2, v9
	v_fma_f32 v141, v1, v9, -v10
	s_delay_alu instid0(VALU_DEP_4) | instskip(NEXT) | instid1(VALU_DEP_4)
	v_fmac_f32_e32 v140, v4, v11
	v_fma_f32 v142, v3, v11, -v12
	s_clause 0x1
	scratch_load_b128 v[1:4], off, off offset:368
	scratch_load_b128 v[9:12], off, off offset:384
	v_add_f32_e32 v18, v13, v178
	v_add_f32_e32 v14, v14, v171
	s_delay_alu instid0(VALU_DEP_2) | instskip(NEXT) | instid1(VALU_DEP_2)
	v_add_f32_e32 v18, v18, v180
	v_add_f32_e32 v14, v14, v173
	s_delay_alu instid0(VALU_DEP_2) | instskip(NEXT) | instid1(VALU_DEP_1)
	v_add_f32_e32 v18, v18, v182
	v_add_f32_e32 v18, v18, v184
	s_delay_alu instid0(VALU_DEP_1) | instskip(NEXT) | instid1(VALU_DEP_1)
	v_add_f32_e32 v18, v18, v186
	v_add_f32_e32 v138, v18, v188
	s_delay_alu instid0(VALU_DEP_1) | instskip(NEXT) | instid1(VALU_DEP_1)
	;; [unrolled: 3-line block ×3, first 2 shown]
	v_add_f32_e32 v143, v143, v194
	v_add_f32_e32 v141, v143, v141
	s_delay_alu instid0(VALU_DEP_1) | instskip(SKIP_4) | instid1(VALU_DEP_3)
	v_add_f32_e32 v141, v141, v142
	s_wait_loadcnt_dscnt 0x100
	v_mul_f32_e32 v145, v5, v2
	v_mul_f32_e32 v2, v6, v2
	;; [unrolled: 1-line block ×3, first 2 shown]
	v_dual_mul_f32 v4, v8, v4 :: v_dual_fmac_f32 v145, v6, v1
	s_delay_alu instid0(VALU_DEP_3)
	v_fma_f32 v2, v5, v1, -v2
	v_add_f32_e32 v17, v14, v175
	scratch_load_b128 v[13:16], off, off offset:400
	v_fmac_f32_e32 v146, v8, v3
	v_fma_f32 v1, v7, v3, -v4
	v_add_f32_e32 v2, v141, v2
	v_add_f32_e32 v17, v17, v177
	s_delay_alu instid0(VALU_DEP_2) | instskip(NEXT) | instid1(VALU_DEP_2)
	v_add_f32_e32 v1, v2, v1
	v_add_f32_e32 v17, v17, v179
	s_delay_alu instid0(VALU_DEP_1) | instskip(NEXT) | instid1(VALU_DEP_1)
	v_add_f32_e32 v17, v17, v181
	v_add_f32_e32 v17, v17, v183
	s_delay_alu instid0(VALU_DEP_1)
	v_add_f32_e32 v134, v17, v185
	ds_load_b128 v[17:20], v21 offset:816
	v_add_f32_e32 v139, v134, v187
	ds_load_b128 v[134:137], v21 offset:832
	v_add_f32_e32 v144, v139, v189
	ds_load_b64 v[138:139], v21 offset:848
	v_add_f32_e32 v144, v144, v191
	s_wait_loadcnt_dscnt 0x102
	s_delay_alu instid0(VALU_DEP_1) | instskip(SKIP_2) | instid1(VALU_DEP_3)
	v_dual_add_f32 v144, v144, v193 :: v_dual_mul_f32 v143, v17, v10
	v_mul_f32_e32 v3, v18, v10
	v_mul_f32_e32 v5, v20, v12
	v_add_f32_e32 v24, v144, v24
	s_delay_alu instid0(VALU_DEP_4) | instskip(NEXT) | instid1(VALU_DEP_4)
	v_dual_mul_f32 v144, v19, v12 :: v_dual_fmac_f32 v143, v18, v9
	v_fma_f32 v3, v17, v9, -v3
	s_delay_alu instid0(VALU_DEP_4) | instskip(NEXT) | instid1(VALU_DEP_4)
	v_fma_f32 v5, v19, v11, -v5
	v_add_f32_e32 v24, v24, v140
	s_delay_alu instid0(VALU_DEP_4) | instskip(SKIP_2) | instid1(VALU_DEP_3)
	v_fmac_f32_e32 v144, v20, v11
	s_wait_dscnt 0x0
	v_dual_mul_f32 v140, v138, v132 :: v_dual_add_f32 v1, v1, v3
	v_add_f32_e32 v4, v24, v145
	s_delay_alu instid0(VALU_DEP_2) | instskip(NEXT) | instid1(VALU_DEP_2)
	v_dual_fmac_f32 v140, v139, v131 :: v_dual_add_f32 v1, v1, v5
	v_dual_mul_f32 v5, v139, v132 :: v_dual_add_f32 v2, v4, v146
	s_delay_alu instid0(VALU_DEP_1) | instskip(NEXT) | instid1(VALU_DEP_1)
	v_add_f32_e32 v2, v2, v143
	v_add_f32_e32 v2, v2, v144
	s_wait_loadcnt 0x0
	v_mul_f32_e32 v147, v134, v14
	v_mul_f32_e32 v4, v135, v14
	;; [unrolled: 1-line block ×4, first 2 shown]
	s_delay_alu instid0(VALU_DEP_4) | instskip(NEXT) | instid1(VALU_DEP_4)
	v_fmac_f32_e32 v147, v135, v13
	v_fma_f32 v4, v134, v13, -v4
	s_delay_alu instid0(VALU_DEP_4) | instskip(NEXT) | instid1(VALU_DEP_4)
	v_fmac_f32_e32 v142, v137, v15
	v_fma_f32 v3, v136, v15, -v3
	s_delay_alu instid0(VALU_DEP_3) | instskip(SKIP_1) | instid1(VALU_DEP_2)
	v_dual_add_f32 v2, v2, v147 :: v_dual_add_f32 v1, v1, v4
	v_fma_f32 v4, v138, v131, -v5
	v_dual_add_f32 v2, v2, v142 :: v_dual_add_f32 v1, v1, v3
	s_delay_alu instid0(VALU_DEP_1) | instskip(NEXT) | instid1(VALU_DEP_1)
	v_add_f32_e32 v2, v2, v140
	v_dual_add_f32 v1, v1, v4 :: v_dual_sub_f32 v2, v23, v2
	s_delay_alu instid0(VALU_DEP_1)
	v_sub_f32_e32 v1, v22, v1
	scratch_store_b64 off, v[1:2], off offset:56
	v_cmpx_lt_u32_e32 6, v0
	s_cbranch_execz .LBB116_319
; %bb.318:
	scratch_load_b64 v[1:2], off, off offset:48
	v_mov_b32_e32 v22, v21
	scratch_store_b64 off, v[21:22], off offset:48
	s_wait_loadcnt 0x0
	ds_store_b64 v133, v[1:2]
.LBB116_319:
	s_wait_alu 0xfffe
	s_or_b32 exec_lo, exec_lo, s0
	s_wait_storecnt_dscnt 0x0
	s_barrier_signal -1
	s_barrier_wait -1
	global_inv scope:SCOPE_SE
	s_clause 0x4
	scratch_load_b128 v[5:8], off, off offset:56
	scratch_load_b128 v[1:4], off, off offset:72
	;; [unrolled: 1-line block ×5, first 2 shown]
	ds_load_2addr_b64 v[134:137], v21 offset0:61 offset1:62
	ds_load_2addr_b64 v[138:141], v21 offset0:63 offset1:64
	;; [unrolled: 1-line block ×3, first 2 shown]
	scratch_load_b64 v[131:132], off, off offset:48
	s_mov_b32 s0, exec_lo
	s_wait_loadcnt_dscnt 0x502
	v_mul_f32_e32 v22, v135, v6
	v_dual_mul_f32 v23, v134, v6 :: v_dual_mul_f32 v24, v136, v8
	v_mul_f32_e32 v6, v137, v8
	s_delay_alu instid0(VALU_DEP_3) | instskip(NEXT) | instid1(VALU_DEP_3)
	v_fma_f32 v22, v134, v5, -v22
	v_dual_fmac_f32 v23, v135, v5 :: v_dual_fmac_f32 v24, v137, v7
	s_wait_loadcnt_dscnt 0x401
	v_mul_f32_e32 v135, v138, v2
	v_fma_f32 v134, v136, v7, -v6
	ds_load_2addr_b64 v[5:8], v21 offset0:67 offset1:68
	s_wait_loadcnt_dscnt 0x301
	v_dual_mul_f32 v136, v140, v4 :: v_dual_mul_f32 v137, v142, v10
	v_dual_mul_f32 v4, v141, v4 :: v_dual_fmac_f32 v135, v139, v1
	v_mul_f32_e32 v10, v143, v10
	s_delay_alu instid0(VALU_DEP_3)
	v_dual_mul_f32 v146, v144, v12 :: v_dual_fmac_f32 v137, v143, v9
	v_mul_f32_e32 v12, v145, v12
	v_mul_f32_e32 v2, v139, v2
	v_fmac_f32_e32 v136, v141, v3
	v_fma_f32 v139, v140, v3, -v4
	v_fma_f32 v140, v142, v9, -v10
	v_fmac_f32_e32 v146, v145, v11
	v_fma_f32 v141, v144, v11, -v12
	ds_load_2addr_b64 v[9:12], v21 offset0:69 offset1:70
	s_wait_loadcnt_dscnt 0x201
	v_mul_f32_e32 v142, v5, v14
	v_dual_mul_f32 v14, v6, v14 :: v_dual_mul_f32 v143, v7, v16
	v_mul_f32_e32 v16, v8, v16
	s_delay_alu instid0(VALU_DEP_3) | instskip(NEXT) | instid1(VALU_DEP_3)
	v_fmac_f32_e32 v142, v6, v13
	v_fma_f32 v13, v5, v13, -v14
	s_delay_alu instid0(VALU_DEP_4) | instskip(NEXT) | instid1(VALU_DEP_4)
	v_fmac_f32_e32 v143, v8, v15
	v_fma_f32 v14, v7, v15, -v16
	ds_load_2addr_b64 v[5:8], v21 offset0:71 offset1:72
	s_wait_loadcnt_dscnt 0x101
	v_mul_f32_e32 v15, v9, v18
	v_mul_f32_e32 v16, v10, v18
	;; [unrolled: 1-line block ×3, first 2 shown]
	s_delay_alu instid0(VALU_DEP_3)
	v_dual_mul_f32 v20, v12, v20 :: v_dual_fmac_f32 v15, v10, v17
	v_fma_f32 v138, v138, v1, -v2
	scratch_load_b128 v[1:4], off, off offset:136
	v_fma_f32 v16, v9, v17, -v16
	v_fmac_f32_e32 v18, v12, v19
	v_fma_f32 v17, v11, v19, -v20
	scratch_load_b128 v[9:12], off, off offset:152
	s_wait_loadcnt_dscnt 0x100
	v_mul_f32_e32 v19, v5, v2
	v_mul_f32_e32 v2, v6, v2
	;; [unrolled: 1-line block ×3, first 2 shown]
	s_delay_alu instid0(VALU_DEP_3) | instskip(NEXT) | instid1(VALU_DEP_3)
	v_dual_mul_f32 v4, v8, v4 :: v_dual_fmac_f32 v19, v6, v1
	v_fma_f32 v144, v5, v1, -v2
	s_delay_alu instid0(VALU_DEP_3) | instskip(NEXT) | instid1(VALU_DEP_3)
	v_fmac_f32_e32 v20, v8, v3
	v_fma_f32 v145, v7, v3, -v4
	ds_load_2addr_b64 v[1:4], v21 offset0:73 offset1:74
	ds_load_2addr_b64 v[5:8], v21 offset0:75 offset1:76
	s_wait_loadcnt_dscnt 0x1
	v_mul_f32_e32 v147, v1, v10
	v_mul_f32_e32 v10, v2, v10
	s_delay_alu instid0(VALU_DEP_2) | instskip(NEXT) | instid1(VALU_DEP_2)
	v_dual_mul_f32 v148, v3, v12 :: v_dual_fmac_f32 v147, v2, v9
	v_fma_f32 v149, v1, v9, -v10
	v_mul_f32_e32 v1, v4, v12
	s_delay_alu instid0(VALU_DEP_3) | instskip(NEXT) | instid1(VALU_DEP_2)
	v_fmac_f32_e32 v148, v4, v11
	v_fma_f32 v150, v3, v11, -v1
	s_clause 0x1
	scratch_load_b128 v[1:4], off, off offset:168
	scratch_load_b128 v[9:12], off, off offset:184
	s_wait_loadcnt_dscnt 0x100
	v_mul_f32_e32 v151, v5, v2
	v_dual_mul_f32 v2, v6, v2 :: v_dual_mul_f32 v153, v7, v4
	s_delay_alu instid0(VALU_DEP_2) | instskip(NEXT) | instid1(VALU_DEP_2)
	v_fmac_f32_e32 v151, v6, v1
	v_fma_f32 v152, v5, v1, -v2
	v_mul_f32_e32 v1, v8, v4
	s_delay_alu instid0(VALU_DEP_4) | instskip(NEXT) | instid1(VALU_DEP_2)
	v_fmac_f32_e32 v153, v8, v3
	v_fma_f32 v154, v7, v3, -v1
	ds_load_2addr_b64 v[1:4], v21 offset0:77 offset1:78
	ds_load_2addr_b64 v[5:8], v21 offset0:79 offset1:80
	s_wait_loadcnt_dscnt 0x1
	v_mul_f32_e32 v155, v1, v10
	v_mul_f32_e32 v157, v3, v12
	s_delay_alu instid0(VALU_DEP_2) | instskip(NEXT) | instid1(VALU_DEP_2)
	v_fmac_f32_e32 v155, v2, v9
	v_dual_mul_f32 v2, v2, v10 :: v_dual_fmac_f32 v157, v4, v11
	s_delay_alu instid0(VALU_DEP_1) | instskip(SKIP_1) | instid1(VALU_DEP_1)
	v_fma_f32 v156, v1, v9, -v2
	v_mul_f32_e32 v1, v4, v12
	v_fma_f32 v158, v3, v11, -v1
	s_clause 0x1
	scratch_load_b128 v[1:4], off, off offset:200
	scratch_load_b128 v[9:12], off, off offset:216
	s_wait_loadcnt_dscnt 0x100
	v_mul_f32_e32 v159, v5, v2
	v_dual_mul_f32 v2, v6, v2 :: v_dual_mul_f32 v161, v7, v4
	s_delay_alu instid0(VALU_DEP_2) | instskip(NEXT) | instid1(VALU_DEP_2)
	v_fmac_f32_e32 v159, v6, v1
	v_fma_f32 v160, v5, v1, -v2
	v_mul_f32_e32 v1, v8, v4
	s_delay_alu instid0(VALU_DEP_4) | instskip(NEXT) | instid1(VALU_DEP_2)
	v_fmac_f32_e32 v161, v8, v3
	v_fma_f32 v162, v7, v3, -v1
	ds_load_2addr_b64 v[1:4], v21 offset0:81 offset1:82
	ds_load_2addr_b64 v[5:8], v21 offset0:83 offset1:84
	s_wait_loadcnt_dscnt 0x1
	v_mul_f32_e32 v163, v1, v10
	v_mul_f32_e32 v165, v3, v12
	s_delay_alu instid0(VALU_DEP_2) | instskip(NEXT) | instid1(VALU_DEP_2)
	v_fmac_f32_e32 v163, v2, v9
	v_dual_mul_f32 v2, v2, v10 :: v_dual_fmac_f32 v165, v4, v11
	s_delay_alu instid0(VALU_DEP_1) | instskip(SKIP_1) | instid1(VALU_DEP_1)
	v_fma_f32 v164, v1, v9, -v2
	v_mul_f32_e32 v1, v4, v12
	;; [unrolled: 25-line block ×5, first 2 shown]
	v_fma_f32 v190, v3, v11, -v1
	s_clause 0x1
	scratch_load_b128 v[1:4], off, off offset:328
	scratch_load_b128 v[9:12], off, off offset:344
	s_wait_loadcnt_dscnt 0x100
	v_mul_f32_e32 v191, v5, v2
	v_mul_f32_e32 v2, v6, v2
	s_delay_alu instid0(VALU_DEP_2) | instskip(NEXT) | instid1(VALU_DEP_2)
	v_fmac_f32_e32 v191, v6, v1
	v_fma_f32 v192, v5, v1, -v2
	v_dual_add_f32 v2, 0, v23 :: v_dual_mul_f32 v1, v8, v4
	s_delay_alu instid0(VALU_DEP_1) | instskip(NEXT) | instid1(VALU_DEP_2)
	v_add_f32_e32 v2, v2, v24
	v_fma_f32 v194, v7, v3, -v1
	s_delay_alu instid0(VALU_DEP_2) | instskip(NEXT) | instid1(VALU_DEP_1)
	v_dual_add_f32 v1, 0, v22 :: v_dual_add_f32 v2, v2, v135
	v_dual_add_f32 v1, v1, v134 :: v_dual_add_f32 v2, v2, v136
	s_delay_alu instid0(VALU_DEP_1) | instskip(NEXT) | instid1(VALU_DEP_1)
	v_add_f32_e32 v2, v2, v137
	v_add_f32_e32 v2, v2, v146
	s_delay_alu instid0(VALU_DEP_1) | instskip(NEXT) | instid1(VALU_DEP_1)
	v_add_f32_e32 v2, v2, v142
	v_dual_add_f32 v1, v1, v138 :: v_dual_add_f32 v2, v2, v143
	s_delay_alu instid0(VALU_DEP_1) | instskip(NEXT) | instid1(VALU_DEP_1)
	v_add_f32_e32 v1, v1, v139
	v_dual_add_f32 v2, v2, v15 :: v_dual_add_f32 v1, v1, v140
	s_delay_alu instid0(VALU_DEP_1) | instskip(NEXT) | instid1(VALU_DEP_1)
	v_dual_add_f32 v2, v2, v18 :: v_dual_add_f32 v1, v1, v141
	v_dual_add_f32 v2, v2, v19 :: v_dual_add_f32 v1, v1, v13
	s_delay_alu instid0(VALU_DEP_1) | instskip(NEXT) | instid1(VALU_DEP_1)
	v_dual_add_f32 v2, v2, v20 :: v_dual_add_f32 v1, v1, v14
	;; [unrolled: 3-line block ×3, first 2 shown]
	v_dual_add_f32 v2, v2, v151 :: v_dual_add_f32 v1, v1, v144
	s_delay_alu instid0(VALU_DEP_1) | instskip(NEXT) | instid1(VALU_DEP_1)
	v_add_f32_e32 v2, v2, v153
	v_dual_add_f32 v1, v1, v145 :: v_dual_add_f32 v2, v2, v155
	s_delay_alu instid0(VALU_DEP_1) | instskip(NEXT) | instid1(VALU_DEP_1)
	v_add_f32_e32 v1, v1, v149
	v_dual_add_f32 v2, v2, v157 :: v_dual_add_f32 v1, v1, v150
	s_delay_alu instid0(VALU_DEP_1) | instskip(NEXT) | instid1(VALU_DEP_1)
	v_dual_add_f32 v2, v2, v159 :: v_dual_add_f32 v1, v1, v152
	v_dual_add_f32 v2, v2, v161 :: v_dual_add_f32 v1, v1, v154
	s_delay_alu instid0(VALU_DEP_1) | instskip(NEXT) | instid1(VALU_DEP_1)
	v_add_f32_e32 v1, v1, v156
	v_add_f32_e32 v1, v1, v158
	s_delay_alu instid0(VALU_DEP_1) | instskip(NEXT) | instid1(VALU_DEP_1)
	v_add_f32_e32 v1, v1, v160
	v_add_f32_e32 v1, v1, v162
	;; [unrolled: 3-line block ×3, first 2 shown]
	s_delay_alu instid0(VALU_DEP_1) | instskip(SKIP_1) | instid1(VALU_DEP_2)
	v_add_f32_e32 v6, v1, v168
	v_dual_add_f32 v2, v2, v163 :: v_dual_mul_f32 v193, v7, v4
	v_add_f32_e32 v14, v6, v170
	s_delay_alu instid0(VALU_DEP_2) | instskip(NEXT) | instid1(VALU_DEP_3)
	v_add_f32_e32 v5, v2, v165
	v_fmac_f32_e32 v193, v8, v3
	ds_load_2addr_b64 v[1:4], v21 offset0:97 offset1:98
	v_dual_add_f32 v14, v14, v172 :: v_dual_add_f32 v13, v5, v167
	scratch_load_b128 v[5:8], off, off offset:360
	v_add_f32_e32 v17, v14, v174
	v_add_f32_e32 v13, v13, v169
	s_delay_alu instid0(VALU_DEP_2) | instskip(NEXT) | instid1(VALU_DEP_2)
	v_add_f32_e32 v17, v17, v176
	v_add_f32_e32 v13, v13, v171
	s_delay_alu instid0(VALU_DEP_2) | instskip(NEXT) | instid1(VALU_DEP_2)
	v_add_f32_e32 v17, v17, v178
	v_add_f32_e32 v18, v13, v173
	ds_load_2addr_b64 v[13:16], v21 offset0:99 offset1:100
	s_wait_loadcnt_dscnt 0x101
	v_mul_f32_e32 v134, v1, v10
	v_dual_mul_f32 v10, v2, v10 :: v_dual_mul_f32 v135, v3, v12
	v_mul_f32_e32 v12, v4, v12
	s_delay_alu instid0(VALU_DEP_3) | instskip(NEXT) | instid1(VALU_DEP_3)
	v_dual_add_f32 v17, v17, v180 :: v_dual_fmac_f32 v134, v2, v9
	v_fma_f32 v136, v1, v9, -v10
	s_delay_alu instid0(VALU_DEP_4) | instskip(NEXT) | instid1(VALU_DEP_4)
	v_fmac_f32_e32 v135, v4, v11
	v_fma_f32 v137, v3, v11, -v12
	s_clause 0x1
	scratch_load_b128 v[1:4], off, off offset:376
	scratch_load_b128 v[9:12], off, off offset:392
	v_add_f32_e32 v23, v17, v182
	s_delay_alu instid0(VALU_DEP_1) | instskip(NEXT) | instid1(VALU_DEP_1)
	v_add_f32_e32 v23, v23, v184
	v_add_f32_e32 v23, v23, v186
	s_wait_loadcnt_dscnt 0x200
	v_mul_f32_e32 v138, v13, v6
	v_dual_add_f32 v18, v18, v175 :: v_dual_mul_f32 v139, v15, v8
	v_mul_f32_e32 v8, v16, v8
	v_mul_f32_e32 v6, v14, v6
	s_delay_alu instid0(VALU_DEP_4) | instskip(NEXT) | instid1(VALU_DEP_4)
	v_fmac_f32_e32 v138, v14, v5
	v_dual_add_f32 v18, v18, v177 :: v_dual_fmac_f32 v139, v16, v7
	s_delay_alu instid0(VALU_DEP_4) | instskip(NEXT) | instid1(VALU_DEP_4)
	v_fma_f32 v141, v15, v7, -v8
	v_fma_f32 v140, v13, v5, -v6
	ds_load_2addr_b64 v[5:8], v21 offset0:101 offset1:102
	v_add_f32_e32 v22, v18, v179
	scratch_load_b128 v[17:20], off, off offset:408
	v_add_f32_e32 v22, v22, v181
	s_delay_alu instid0(VALU_DEP_1) | instskip(NEXT) | instid1(VALU_DEP_1)
	v_add_f32_e32 v22, v22, v183
	v_dual_add_f32 v13, v22, v185 :: v_dual_add_f32 v22, v23, v188
	s_delay_alu instid0(VALU_DEP_1)
	v_dual_add_f32 v23, v13, v187 :: v_dual_add_f32 v142, v22, v190
	ds_load_2addr_b64 v[13:16], v21 offset0:103 offset1:104
	s_wait_loadcnt_dscnt 0x201
	v_mul_f32_e32 v144, v5, v2
	v_dual_mul_f32 v2, v6, v2 :: v_dual_add_f32 v143, v23, v189
	v_add_f32_e32 v142, v142, v192
	ds_load_2addr_b64 v[21:24], v21 offset0:105 offset1:106
	v_fmac_f32_e32 v144, v6, v1
	v_fma_f32 v2, v5, v1, -v2
	v_dual_add_f32 v143, v143, v191 :: v_dual_add_f32 v142, v142, v194
	s_delay_alu instid0(VALU_DEP_1) | instskip(SKIP_2) | instid1(VALU_DEP_3)
	v_dual_add_f32 v143, v143, v193 :: v_dual_add_f32 v136, v142, v136
	v_mul_f32_e32 v142, v7, v4
	v_mul_f32_e32 v4, v8, v4
	v_add_f32_e32 v134, v143, v134
	s_wait_loadcnt_dscnt 0x101
	v_dual_add_f32 v136, v136, v137 :: v_dual_mul_f32 v143, v13, v10
	v_mul_f32_e32 v6, v14, v10
	v_fmac_f32_e32 v142, v8, v3
	v_add_f32_e32 v134, v134, v135
	s_delay_alu instid0(VALU_DEP_4) | instskip(SKIP_3) | instid1(VALU_DEP_4)
	v_add_f32_e32 v136, v136, v140
	v_fma_f32 v3, v7, v3, -v4
	v_mul_f32_e32 v145, v15, v12
	v_mul_f32_e32 v4, v16, v12
	v_dual_add_f32 v134, v134, v138 :: v_dual_add_f32 v1, v136, v141
	v_fmac_f32_e32 v143, v14, v9
	s_delay_alu instid0(VALU_DEP_4) | instskip(NEXT) | instid1(VALU_DEP_4)
	v_fmac_f32_e32 v145, v16, v11
	v_fma_f32 v4, v15, v11, -v4
	s_delay_alu instid0(VALU_DEP_4) | instskip(SKIP_1) | instid1(VALU_DEP_2)
	v_add_f32_e32 v5, v134, v139
	v_add_f32_e32 v1, v1, v2
	;; [unrolled: 1-line block ×3, first 2 shown]
	v_fma_f32 v5, v13, v9, -v6
	s_delay_alu instid0(VALU_DEP_2) | instskip(NEXT) | instid1(VALU_DEP_1)
	v_dual_add_f32 v1, v1, v3 :: v_dual_add_f32 v2, v2, v142
	v_dual_add_f32 v1, v1, v5 :: v_dual_add_f32 v2, v2, v143
	s_delay_alu instid0(VALU_DEP_1)
	v_dual_add_f32 v1, v1, v4 :: v_dual_add_f32 v2, v2, v145
	s_wait_loadcnt_dscnt 0x0
	v_mul_f32_e32 v135, v21, v18
	v_mul_f32_e32 v3, v22, v18
	;; [unrolled: 1-line block ×4, first 2 shown]
	s_delay_alu instid0(VALU_DEP_4) | instskip(NEXT) | instid1(VALU_DEP_4)
	v_fmac_f32_e32 v135, v22, v17
	v_fma_f32 v3, v21, v17, -v3
	s_delay_alu instid0(VALU_DEP_4) | instskip(NEXT) | instid1(VALU_DEP_4)
	v_fmac_f32_e32 v137, v24, v19
	v_fma_f32 v4, v23, v19, -v5
	s_delay_alu instid0(VALU_DEP_4) | instskip(NEXT) | instid1(VALU_DEP_1)
	v_add_f32_e32 v2, v2, v135
	v_dual_add_f32 v1, v1, v3 :: v_dual_add_f32 v2, v2, v137
	s_delay_alu instid0(VALU_DEP_1) | instskip(NEXT) | instid1(VALU_DEP_1)
	v_dual_add_f32 v1, v1, v4 :: v_dual_sub_f32 v2, v132, v2
	v_sub_f32_e32 v1, v131, v1
	scratch_store_b64 off, v[1:2], off offset:48
	v_cmpx_lt_u32_e32 5, v0
	s_cbranch_execz .LBB116_321
; %bb.320:
	scratch_load_b64 v[1:2], off, off offset:40
	v_mov_b32_e32 v3, 0
	s_delay_alu instid0(VALU_DEP_1)
	v_mov_b32_e32 v4, v3
	scratch_store_b64 off, v[3:4], off offset:40
	s_wait_loadcnt 0x0
	ds_store_b64 v133, v[1:2]
.LBB116_321:
	s_wait_alu 0xfffe
	s_or_b32 exec_lo, exec_lo, s0
	s_wait_storecnt_dscnt 0x0
	s_barrier_signal -1
	s_barrier_wait -1
	global_inv scope:SCOPE_SE
	s_clause 0x4
	scratch_load_b128 v[5:8], off, off offset:48
	scratch_load_b128 v[1:4], off, off offset:64
	;; [unrolled: 1-line block ×5, first 2 shown]
	v_mov_b32_e32 v21, 0
	ds_load_b128 v[134:137], v21 offset:480
	ds_load_b128 v[138:141], v21 offset:496
	;; [unrolled: 1-line block ×3, first 2 shown]
	scratch_load_b64 v[22:23], off, off offset:40
	s_mov_b32 s0, exec_lo
	s_wait_loadcnt_dscnt 0x502
	v_mul_f32_e32 v24, v135, v6
	v_dual_mul_f32 v131, v134, v6 :: v_dual_mul_f32 v132, v136, v8
	v_mul_f32_e32 v6, v137, v8
	s_delay_alu instid0(VALU_DEP_3) | instskip(NEXT) | instid1(VALU_DEP_3)
	v_fma_f32 v24, v134, v5, -v24
	v_dual_fmac_f32 v131, v135, v5 :: v_dual_fmac_f32 v132, v137, v7
	s_wait_loadcnt_dscnt 0x401
	v_mul_f32_e32 v135, v138, v2
	v_fma_f32 v134, v136, v7, -v6
	ds_load_b128 v[5:8], v21 offset:528
	s_wait_loadcnt_dscnt 0x301
	v_dual_mul_f32 v136, v140, v4 :: v_dual_mul_f32 v137, v142, v10
	v_dual_mul_f32 v4, v141, v4 :: v_dual_fmac_f32 v135, v139, v1
	v_mul_f32_e32 v10, v143, v10
	s_delay_alu instid0(VALU_DEP_3)
	v_dual_mul_f32 v146, v144, v12 :: v_dual_fmac_f32 v137, v143, v9
	v_mul_f32_e32 v12, v145, v12
	v_mul_f32_e32 v2, v139, v2
	v_fmac_f32_e32 v136, v141, v3
	v_fma_f32 v139, v140, v3, -v4
	v_fma_f32 v140, v142, v9, -v10
	v_fmac_f32_e32 v146, v145, v11
	v_fma_f32 v141, v144, v11, -v12
	ds_load_b128 v[9:12], v21 offset:544
	s_wait_loadcnt_dscnt 0x201
	v_dual_mul_f32 v143, v7, v16 :: v_dual_mul_f32 v142, v5, v14
	v_mul_f32_e32 v14, v6, v14
	v_mul_f32_e32 v16, v8, v16
	s_delay_alu instid0(VALU_DEP_3)
	v_fmac_f32_e32 v143, v8, v15
	v_fma_f32 v138, v138, v1, -v2
	scratch_load_b128 v[1:4], off, off offset:128
	v_fmac_f32_e32 v142, v6, v13
	v_fma_f32 v13, v5, v13, -v14
	v_fma_f32 v14, v7, v15, -v16
	ds_load_b128 v[5:8], v21 offset:560
	s_wait_loadcnt_dscnt 0x201
	v_mul_f32_e32 v15, v9, v18
	v_mul_f32_e32 v16, v10, v18
	;; [unrolled: 1-line block ×3, first 2 shown]
	s_delay_alu instid0(VALU_DEP_3) | instskip(NEXT) | instid1(VALU_DEP_3)
	v_dual_mul_f32 v20, v12, v20 :: v_dual_fmac_f32 v15, v10, v17
	v_fma_f32 v16, v9, v17, -v16
	s_delay_alu instid0(VALU_DEP_3) | instskip(NEXT) | instid1(VALU_DEP_3)
	v_fmac_f32_e32 v18, v12, v19
	v_fma_f32 v17, v11, v19, -v20
	scratch_load_b128 v[9:12], off, off offset:144
	s_wait_loadcnt_dscnt 0x100
	v_mul_f32_e32 v19, v5, v2
	v_mul_f32_e32 v2, v6, v2
	;; [unrolled: 1-line block ×3, first 2 shown]
	s_delay_alu instid0(VALU_DEP_3) | instskip(NEXT) | instid1(VALU_DEP_3)
	v_dual_mul_f32 v4, v8, v4 :: v_dual_fmac_f32 v19, v6, v1
	v_fma_f32 v144, v5, v1, -v2
	s_delay_alu instid0(VALU_DEP_3) | instskip(NEXT) | instid1(VALU_DEP_3)
	v_fmac_f32_e32 v20, v8, v3
	v_fma_f32 v145, v7, v3, -v4
	ds_load_b128 v[1:4], v21 offset:576
	ds_load_b128 v[5:8], v21 offset:592
	s_wait_loadcnt_dscnt 0x1
	v_mul_f32_e32 v147, v1, v10
	v_mul_f32_e32 v10, v2, v10
	s_delay_alu instid0(VALU_DEP_2) | instskip(NEXT) | instid1(VALU_DEP_2)
	v_dual_mul_f32 v148, v3, v12 :: v_dual_fmac_f32 v147, v2, v9
	v_fma_f32 v149, v1, v9, -v10
	v_mul_f32_e32 v1, v4, v12
	s_delay_alu instid0(VALU_DEP_3) | instskip(NEXT) | instid1(VALU_DEP_2)
	v_fmac_f32_e32 v148, v4, v11
	v_fma_f32 v150, v3, v11, -v1
	s_clause 0x1
	scratch_load_b128 v[1:4], off, off offset:160
	scratch_load_b128 v[9:12], off, off offset:176
	s_wait_loadcnt_dscnt 0x100
	v_mul_f32_e32 v151, v5, v2
	v_dual_mul_f32 v2, v6, v2 :: v_dual_mul_f32 v153, v7, v4
	s_delay_alu instid0(VALU_DEP_2) | instskip(NEXT) | instid1(VALU_DEP_2)
	v_fmac_f32_e32 v151, v6, v1
	v_fma_f32 v152, v5, v1, -v2
	v_mul_f32_e32 v1, v8, v4
	s_delay_alu instid0(VALU_DEP_4) | instskip(NEXT) | instid1(VALU_DEP_2)
	v_fmac_f32_e32 v153, v8, v3
	v_fma_f32 v154, v7, v3, -v1
	ds_load_b128 v[1:4], v21 offset:608
	ds_load_b128 v[5:8], v21 offset:624
	s_wait_loadcnt_dscnt 0x1
	v_mul_f32_e32 v155, v1, v10
	v_mul_f32_e32 v157, v3, v12
	s_delay_alu instid0(VALU_DEP_2) | instskip(NEXT) | instid1(VALU_DEP_2)
	v_fmac_f32_e32 v155, v2, v9
	v_dual_mul_f32 v2, v2, v10 :: v_dual_fmac_f32 v157, v4, v11
	s_delay_alu instid0(VALU_DEP_1) | instskip(SKIP_1) | instid1(VALU_DEP_1)
	v_fma_f32 v156, v1, v9, -v2
	v_mul_f32_e32 v1, v4, v12
	v_fma_f32 v158, v3, v11, -v1
	s_clause 0x1
	scratch_load_b128 v[1:4], off, off offset:192
	scratch_load_b128 v[9:12], off, off offset:208
	s_wait_loadcnt_dscnt 0x100
	v_mul_f32_e32 v159, v5, v2
	v_dual_mul_f32 v161, v7, v4 :: v_dual_mul_f32 v2, v6, v2
	s_delay_alu instid0(VALU_DEP_2) | instskip(NEXT) | instid1(VALU_DEP_2)
	v_fmac_f32_e32 v159, v6, v1
	v_fmac_f32_e32 v161, v8, v3
	s_delay_alu instid0(VALU_DEP_3) | instskip(SKIP_1) | instid1(VALU_DEP_1)
	v_fma_f32 v160, v5, v1, -v2
	v_mul_f32_e32 v1, v8, v4
	v_fma_f32 v162, v7, v3, -v1
	ds_load_b128 v[1:4], v21 offset:640
	ds_load_b128 v[5:8], v21 offset:656
	s_wait_loadcnt_dscnt 0x1
	v_mul_f32_e32 v163, v1, v10
	v_mul_f32_e32 v165, v3, v12
	s_delay_alu instid0(VALU_DEP_2) | instskip(NEXT) | instid1(VALU_DEP_2)
	v_fmac_f32_e32 v163, v2, v9
	v_dual_mul_f32 v2, v2, v10 :: v_dual_fmac_f32 v165, v4, v11
	s_delay_alu instid0(VALU_DEP_1) | instskip(SKIP_1) | instid1(VALU_DEP_1)
	v_fma_f32 v164, v1, v9, -v2
	v_mul_f32_e32 v1, v4, v12
	v_fma_f32 v166, v3, v11, -v1
	s_clause 0x1
	scratch_load_b128 v[1:4], off, off offset:224
	scratch_load_b128 v[9:12], off, off offset:240
	s_wait_loadcnt_dscnt 0x100
	v_mul_f32_e32 v167, v5, v2
	v_dual_mul_f32 v2, v6, v2 :: v_dual_mul_f32 v169, v7, v4
	s_delay_alu instid0(VALU_DEP_2) | instskip(NEXT) | instid1(VALU_DEP_2)
	v_fmac_f32_e32 v167, v6, v1
	v_fma_f32 v168, v5, v1, -v2
	v_mul_f32_e32 v1, v8, v4
	s_delay_alu instid0(VALU_DEP_4) | instskip(NEXT) | instid1(VALU_DEP_2)
	v_fmac_f32_e32 v169, v8, v3
	v_fma_f32 v170, v7, v3, -v1
	ds_load_b128 v[1:4], v21 offset:672
	ds_load_b128 v[5:8], v21 offset:688
	s_wait_loadcnt_dscnt 0x1
	v_mul_f32_e32 v171, v1, v10
	v_mul_f32_e32 v173, v3, v12
	s_delay_alu instid0(VALU_DEP_2) | instskip(NEXT) | instid1(VALU_DEP_2)
	v_fmac_f32_e32 v171, v2, v9
	v_dual_mul_f32 v2, v2, v10 :: v_dual_fmac_f32 v173, v4, v11
	s_delay_alu instid0(VALU_DEP_1) | instskip(SKIP_1) | instid1(VALU_DEP_1)
	v_fma_f32 v172, v1, v9, -v2
	v_mul_f32_e32 v1, v4, v12
	v_fma_f32 v174, v3, v11, -v1
	s_clause 0x1
	scratch_load_b128 v[1:4], off, off offset:256
	scratch_load_b128 v[9:12], off, off offset:272
	s_wait_loadcnt_dscnt 0x100
	v_mul_f32_e32 v175, v5, v2
	v_dual_mul_f32 v2, v6, v2 :: v_dual_mul_f32 v177, v7, v4
	s_delay_alu instid0(VALU_DEP_2) | instskip(NEXT) | instid1(VALU_DEP_2)
	v_fmac_f32_e32 v175, v6, v1
	v_fma_f32 v176, v5, v1, -v2
	v_mul_f32_e32 v1, v8, v4
	s_delay_alu instid0(VALU_DEP_4) | instskip(NEXT) | instid1(VALU_DEP_2)
	v_fmac_f32_e32 v177, v8, v3
	;; [unrolled: 25-line block ×3, first 2 shown]
	v_fma_f32 v186, v7, v3, -v1
	ds_load_b128 v[1:4], v21 offset:736
	ds_load_b128 v[5:8], v21 offset:752
	s_wait_loadcnt_dscnt 0x1
	v_mul_f32_e32 v187, v1, v10
	v_mul_f32_e32 v189, v3, v12
	s_delay_alu instid0(VALU_DEP_2) | instskip(NEXT) | instid1(VALU_DEP_2)
	v_fmac_f32_e32 v187, v2, v9
	v_dual_mul_f32 v2, v2, v10 :: v_dual_fmac_f32 v189, v4, v11
	s_delay_alu instid0(VALU_DEP_1) | instskip(SKIP_1) | instid1(VALU_DEP_1)
	v_fma_f32 v188, v1, v9, -v2
	v_mul_f32_e32 v1, v4, v12
	v_fma_f32 v190, v3, v11, -v1
	s_clause 0x1
	scratch_load_b128 v[1:4], off, off offset:320
	scratch_load_b128 v[9:12], off, off offset:336
	s_wait_loadcnt_dscnt 0x100
	v_mul_f32_e32 v191, v5, v2
	v_mul_f32_e32 v2, v6, v2
	s_delay_alu instid0(VALU_DEP_2) | instskip(NEXT) | instid1(VALU_DEP_2)
	v_fmac_f32_e32 v191, v6, v1
	v_fma_f32 v192, v5, v1, -v2
	v_dual_add_f32 v2, 0, v131 :: v_dual_mul_f32 v1, v8, v4
	s_delay_alu instid0(VALU_DEP_1) | instskip(NEXT) | instid1(VALU_DEP_2)
	v_add_f32_e32 v2, v2, v132
	v_fma_f32 v194, v7, v3, -v1
	s_delay_alu instid0(VALU_DEP_2) | instskip(NEXT) | instid1(VALU_DEP_1)
	v_dual_add_f32 v1, 0, v24 :: v_dual_add_f32 v2, v2, v135
	v_dual_add_f32 v1, v1, v134 :: v_dual_add_f32 v2, v2, v136
	s_delay_alu instid0(VALU_DEP_1) | instskip(NEXT) | instid1(VALU_DEP_1)
	v_add_f32_e32 v2, v2, v137
	v_add_f32_e32 v2, v2, v146
	s_delay_alu instid0(VALU_DEP_1) | instskip(NEXT) | instid1(VALU_DEP_1)
	v_add_f32_e32 v2, v2, v142
	v_dual_add_f32 v1, v1, v138 :: v_dual_add_f32 v2, v2, v143
	s_delay_alu instid0(VALU_DEP_1) | instskip(NEXT) | instid1(VALU_DEP_1)
	v_add_f32_e32 v2, v2, v15
	v_add_f32_e32 v2, v2, v18
	s_delay_alu instid0(VALU_DEP_1) | instskip(NEXT) | instid1(VALU_DEP_1)
	v_add_f32_e32 v2, v2, v19
	v_dual_add_f32 v2, v2, v20 :: v_dual_add_f32 v1, v1, v139
	s_delay_alu instid0(VALU_DEP_1) | instskip(NEXT) | instid1(VALU_DEP_1)
	v_dual_add_f32 v2, v2, v147 :: v_dual_add_f32 v1, v1, v140
	v_dual_add_f32 v2, v2, v148 :: v_dual_add_f32 v1, v1, v141
	s_delay_alu instid0(VALU_DEP_1) | instskip(NEXT) | instid1(VALU_DEP_1)
	v_dual_add_f32 v2, v2, v151 :: v_dual_add_f32 v1, v1, v13
	;; [unrolled: 3-line block ×3, first 2 shown]
	v_add_f32_e32 v2, v2, v157
	s_delay_alu instid0(VALU_DEP_1) | instskip(NEXT) | instid1(VALU_DEP_1)
	v_dual_add_f32 v1, v1, v17 :: v_dual_add_f32 v2, v2, v159
	v_dual_add_f32 v1, v1, v144 :: v_dual_add_f32 v2, v2, v161
	s_delay_alu instid0(VALU_DEP_1) | instskip(NEXT) | instid1(VALU_DEP_1)
	v_add_f32_e32 v1, v1, v145
	v_add_f32_e32 v1, v1, v149
	s_delay_alu instid0(VALU_DEP_1) | instskip(NEXT) | instid1(VALU_DEP_1)
	v_add_f32_e32 v1, v1, v150
	v_add_f32_e32 v1, v1, v152
	;; [unrolled: 3-line block ×6, first 2 shown]
	v_dual_add_f32 v2, v2, v163 :: v_dual_mul_f32 v193, v7, v4
	s_delay_alu instid0(VALU_DEP_2) | instskip(NEXT) | instid1(VALU_DEP_2)
	v_add_f32_e32 v14, v6, v170
	v_add_f32_e32 v5, v2, v165
	s_delay_alu instid0(VALU_DEP_1) | instskip(NEXT) | instid1(VALU_DEP_1)
	v_dual_add_f32 v14, v14, v172 :: v_dual_add_f32 v13, v5, v167
	v_add_f32_e32 v17, v14, v174
	s_delay_alu instid0(VALU_DEP_2) | instskip(NEXT) | instid1(VALU_DEP_2)
	v_add_f32_e32 v13, v13, v169
	v_add_f32_e32 v17, v17, v176
	s_delay_alu instid0(VALU_DEP_2)
	v_add_f32_e32 v13, v13, v171
	v_fmac_f32_e32 v193, v8, v3
	scratch_load_b128 v[1:4], off, off offset:352
	ds_load_b128 v[5:8], v21 offset:768
	v_add_f32_e32 v17, v17, v178
	v_add_f32_e32 v18, v13, v173
	ds_load_b128 v[13:16], v21 offset:784
	v_add_f32_e32 v17, v17, v180
	s_delay_alu instid0(VALU_DEP_1)
	v_add_f32_e32 v132, v17, v182
	s_wait_loadcnt_dscnt 0x101
	v_mul_f32_e32 v24, v5, v10
	v_mul_f32_e32 v10, v6, v10
	;; [unrolled: 1-line block ×4, first 2 shown]
	v_add_f32_e32 v18, v18, v175
	v_fmac_f32_e32 v24, v6, v9
	v_fma_f32 v141, v5, v9, -v10
	v_fmac_f32_e32 v140, v8, v11
	v_fma_f32 v142, v7, v11, -v12
	s_clause 0x1
	scratch_load_b128 v[5:8], off, off offset:368
	scratch_load_b128 v[9:12], off, off offset:384
	v_add_f32_e32 v18, v18, v177
	s_delay_alu instid0(VALU_DEP_1) | instskip(SKIP_4) | instid1(VALU_DEP_1)
	v_add_f32_e32 v131, v18, v179
	scratch_load_b128 v[17:20], off, off offset:400
	v_dual_add_f32 v135, v132, v184 :: v_dual_add_f32 v134, v131, v181
	scratch_load_b64 v[131:132], off, off offset:416
	v_dual_add_f32 v135, v135, v186 :: v_dual_add_f32 v134, v134, v183
	v_dual_add_f32 v135, v135, v188 :: v_dual_add_f32 v134, v134, v185
	s_wait_loadcnt_dscnt 0x400
	v_mul_f32_e32 v143, v13, v2
	v_mul_f32_e32 v2, v14, v2
	v_mul_f32_e32 v144, v15, v4
	s_delay_alu instid0(VALU_DEP_3) | instskip(NEXT) | instid1(VALU_DEP_3)
	v_dual_mul_f32 v4, v16, v4 :: v_dual_fmac_f32 v143, v14, v1
	v_fma_f32 v145, v13, v1, -v2
	v_dual_add_f32 v13, v134, v187 :: v_dual_add_f32 v14, v135, v190
	s_delay_alu instid0(VALU_DEP_4) | instskip(NEXT) | instid1(VALU_DEP_4)
	v_fmac_f32_e32 v144, v16, v3
	v_fma_f32 v146, v15, v3, -v4
	ds_load_b128 v[1:4], v21 offset:800
	v_add_f32_e32 v134, v13, v189
	v_add_f32_e32 v138, v14, v192
	ds_load_b128 v[13:16], v21 offset:816
	v_add_f32_e32 v139, v134, v191
	v_add_f32_e32 v147, v138, v194
	;; [unrolled: 3-line block ×3, first 2 shown]
	ds_load_b64 v[138:139], v21 offset:848
	v_dual_add_f32 v24, v148, v24 :: v_dual_add_f32 v141, v141, v142
	s_wait_loadcnt_dscnt 0x303
	s_delay_alu instid0(VALU_DEP_1) | instskip(NEXT) | instid1(VALU_DEP_2)
	v_dual_mul_f32 v147, v1, v6 :: v_dual_add_f32 v24, v24, v140
	v_dual_mul_f32 v6, v2, v6 :: v_dual_add_f32 v141, v141, v145
	v_mul_f32_e32 v140, v3, v8
	v_mul_f32_e32 v8, v4, v8
	s_delay_alu instid0(VALU_DEP_4) | instskip(NEXT) | instid1(VALU_DEP_4)
	v_add_f32_e32 v24, v24, v143
	v_fma_f32 v1, v1, v5, -v6
	v_add_f32_e32 v141, v141, v146
	s_wait_loadcnt_dscnt 0x202
	v_dual_fmac_f32 v147, v2, v5 :: v_dual_mul_f32 v142, v13, v10
	v_add_f32_e32 v24, v24, v144
	v_fmac_f32_e32 v140, v4, v7
	v_fma_f32 v2, v3, v7, -v8
	v_mul_f32_e32 v3, v14, v10
	s_delay_alu instid0(VALU_DEP_4) | instskip(SKIP_2) | instid1(VALU_DEP_4)
	v_dual_add_f32 v1, v141, v1 :: v_dual_add_f32 v4, v24, v147
	v_mul_f32_e32 v143, v15, v12
	v_dual_mul_f32 v5, v16, v12 :: v_dual_fmac_f32 v142, v14, v9
	v_fma_f32 v3, v13, v9, -v3
	s_delay_alu instid0(VALU_DEP_4)
	v_dual_add_f32 v1, v1, v2 :: v_dual_add_f32 v2, v4, v140
	s_wait_loadcnt_dscnt 0x101
	v_mul_f32_e32 v145, v134, v18
	v_dual_mul_f32 v4, v135, v18 :: v_dual_fmac_f32 v143, v16, v11
	v_fma_f32 v5, v15, v11, -v5
	v_dual_add_f32 v1, v1, v3 :: v_dual_add_f32 v2, v2, v142
	v_mul_f32_e32 v146, v136, v20
	v_mul_f32_e32 v3, v137, v20
	v_fmac_f32_e32 v145, v135, v17
	v_fma_f32 v4, v134, v17, -v4
	v_dual_add_f32 v1, v1, v5 :: v_dual_add_f32 v2, v2, v143
	s_wait_loadcnt_dscnt 0x0
	v_mul_f32_e32 v144, v138, v132
	v_dual_mul_f32 v5, v139, v132 :: v_dual_fmac_f32 v146, v137, v19
	v_fma_f32 v3, v136, v19, -v3
	v_dual_add_f32 v1, v1, v4 :: v_dual_add_f32 v2, v2, v145
	s_delay_alu instid0(VALU_DEP_4) | instskip(NEXT) | instid1(VALU_DEP_4)
	v_fmac_f32_e32 v144, v139, v131
	v_fma_f32 v4, v138, v131, -v5
	s_delay_alu instid0(VALU_DEP_3) | instskip(NEXT) | instid1(VALU_DEP_1)
	v_dual_add_f32 v1, v1, v3 :: v_dual_add_f32 v2, v2, v146
	v_add_f32_e32 v1, v1, v4
	s_delay_alu instid0(VALU_DEP_2) | instskip(NEXT) | instid1(VALU_DEP_1)
	v_add_f32_e32 v2, v2, v144
	v_dual_sub_f32 v1, v22, v1 :: v_dual_sub_f32 v2, v23, v2
	scratch_store_b64 off, v[1:2], off offset:40
	v_cmpx_lt_u32_e32 4, v0
	s_cbranch_execz .LBB116_323
; %bb.322:
	scratch_load_b64 v[1:2], off, off offset:32
	v_mov_b32_e32 v22, v21
	scratch_store_b64 off, v[21:22], off offset:32
	s_wait_loadcnt 0x0
	ds_store_b64 v133, v[1:2]
.LBB116_323:
	s_wait_alu 0xfffe
	s_or_b32 exec_lo, exec_lo, s0
	s_wait_storecnt_dscnt 0x0
	s_barrier_signal -1
	s_barrier_wait -1
	global_inv scope:SCOPE_SE
	s_clause 0x4
	scratch_load_b128 v[5:8], off, off offset:40
	scratch_load_b128 v[1:4], off, off offset:56
	;; [unrolled: 1-line block ×5, first 2 shown]
	ds_load_2addr_b64 v[134:137], v21 offset0:59 offset1:60
	ds_load_2addr_b64 v[138:141], v21 offset0:61 offset1:62
	;; [unrolled: 1-line block ×3, first 2 shown]
	scratch_load_b64 v[131:132], off, off offset:32
	s_mov_b32 s0, exec_lo
	s_wait_loadcnt_dscnt 0x502
	v_mul_f32_e32 v22, v135, v6
	v_dual_mul_f32 v23, v134, v6 :: v_dual_mul_f32 v24, v136, v8
	v_mul_f32_e32 v6, v137, v8
	s_delay_alu instid0(VALU_DEP_3) | instskip(NEXT) | instid1(VALU_DEP_3)
	v_fma_f32 v22, v134, v5, -v22
	v_dual_fmac_f32 v23, v135, v5 :: v_dual_fmac_f32 v24, v137, v7
	s_wait_loadcnt_dscnt 0x401
	v_mul_f32_e32 v135, v138, v2
	v_fma_f32 v134, v136, v7, -v6
	ds_load_2addr_b64 v[5:8], v21 offset0:65 offset1:66
	s_wait_loadcnt_dscnt 0x301
	v_dual_mul_f32 v136, v140, v4 :: v_dual_mul_f32 v137, v142, v10
	v_dual_mul_f32 v4, v141, v4 :: v_dual_fmac_f32 v135, v139, v1
	v_mul_f32_e32 v10, v143, v10
	s_delay_alu instid0(VALU_DEP_3)
	v_dual_mul_f32 v146, v144, v12 :: v_dual_fmac_f32 v137, v143, v9
	v_mul_f32_e32 v12, v145, v12
	v_mul_f32_e32 v2, v139, v2
	v_fmac_f32_e32 v136, v141, v3
	v_fma_f32 v139, v140, v3, -v4
	v_fma_f32 v140, v142, v9, -v10
	v_fmac_f32_e32 v146, v145, v11
	v_fma_f32 v141, v144, v11, -v12
	ds_load_2addr_b64 v[9:12], v21 offset0:67 offset1:68
	s_wait_loadcnt_dscnt 0x201
	v_mul_f32_e32 v142, v5, v14
	v_dual_mul_f32 v14, v6, v14 :: v_dual_mul_f32 v143, v7, v16
	v_mul_f32_e32 v16, v8, v16
	s_delay_alu instid0(VALU_DEP_3) | instskip(NEXT) | instid1(VALU_DEP_3)
	v_fmac_f32_e32 v142, v6, v13
	v_fma_f32 v13, v5, v13, -v14
	s_delay_alu instid0(VALU_DEP_4) | instskip(NEXT) | instid1(VALU_DEP_4)
	v_fmac_f32_e32 v143, v8, v15
	v_fma_f32 v14, v7, v15, -v16
	ds_load_2addr_b64 v[5:8], v21 offset0:69 offset1:70
	s_wait_loadcnt_dscnt 0x101
	v_mul_f32_e32 v15, v9, v18
	v_mul_f32_e32 v16, v10, v18
	;; [unrolled: 1-line block ×3, first 2 shown]
	s_delay_alu instid0(VALU_DEP_3)
	v_dual_mul_f32 v20, v12, v20 :: v_dual_fmac_f32 v15, v10, v17
	v_fma_f32 v138, v138, v1, -v2
	scratch_load_b128 v[1:4], off, off offset:120
	v_fma_f32 v16, v9, v17, -v16
	v_fmac_f32_e32 v18, v12, v19
	v_fma_f32 v17, v11, v19, -v20
	scratch_load_b128 v[9:12], off, off offset:136
	s_wait_loadcnt_dscnt 0x100
	v_mul_f32_e32 v19, v5, v2
	v_mul_f32_e32 v2, v6, v2
	;; [unrolled: 1-line block ×3, first 2 shown]
	s_delay_alu instid0(VALU_DEP_3) | instskip(NEXT) | instid1(VALU_DEP_3)
	v_dual_mul_f32 v4, v8, v4 :: v_dual_fmac_f32 v19, v6, v1
	v_fma_f32 v144, v5, v1, -v2
	s_delay_alu instid0(VALU_DEP_3) | instskip(NEXT) | instid1(VALU_DEP_3)
	v_fmac_f32_e32 v20, v8, v3
	v_fma_f32 v145, v7, v3, -v4
	ds_load_2addr_b64 v[1:4], v21 offset0:71 offset1:72
	ds_load_2addr_b64 v[5:8], v21 offset0:73 offset1:74
	s_wait_loadcnt_dscnt 0x1
	v_mul_f32_e32 v147, v1, v10
	v_mul_f32_e32 v10, v2, v10
	s_delay_alu instid0(VALU_DEP_2) | instskip(NEXT) | instid1(VALU_DEP_2)
	v_dual_mul_f32 v148, v3, v12 :: v_dual_fmac_f32 v147, v2, v9
	v_fma_f32 v149, v1, v9, -v10
	v_mul_f32_e32 v1, v4, v12
	s_delay_alu instid0(VALU_DEP_3) | instskip(NEXT) | instid1(VALU_DEP_2)
	v_fmac_f32_e32 v148, v4, v11
	v_fma_f32 v150, v3, v11, -v1
	s_clause 0x1
	scratch_load_b128 v[1:4], off, off offset:152
	scratch_load_b128 v[9:12], off, off offset:168
	s_wait_loadcnt_dscnt 0x100
	v_mul_f32_e32 v151, v5, v2
	v_dual_mul_f32 v2, v6, v2 :: v_dual_mul_f32 v153, v7, v4
	s_delay_alu instid0(VALU_DEP_2) | instskip(NEXT) | instid1(VALU_DEP_2)
	v_fmac_f32_e32 v151, v6, v1
	v_fma_f32 v152, v5, v1, -v2
	v_mul_f32_e32 v1, v8, v4
	s_delay_alu instid0(VALU_DEP_4) | instskip(NEXT) | instid1(VALU_DEP_2)
	v_fmac_f32_e32 v153, v8, v3
	v_fma_f32 v154, v7, v3, -v1
	ds_load_2addr_b64 v[1:4], v21 offset0:75 offset1:76
	ds_load_2addr_b64 v[5:8], v21 offset0:77 offset1:78
	s_wait_loadcnt_dscnt 0x1
	v_mul_f32_e32 v155, v1, v10
	v_mul_f32_e32 v157, v3, v12
	s_delay_alu instid0(VALU_DEP_2) | instskip(NEXT) | instid1(VALU_DEP_2)
	v_fmac_f32_e32 v155, v2, v9
	v_dual_mul_f32 v2, v2, v10 :: v_dual_fmac_f32 v157, v4, v11
	s_delay_alu instid0(VALU_DEP_1) | instskip(SKIP_1) | instid1(VALU_DEP_1)
	v_fma_f32 v156, v1, v9, -v2
	v_mul_f32_e32 v1, v4, v12
	v_fma_f32 v158, v3, v11, -v1
	s_clause 0x1
	scratch_load_b128 v[1:4], off, off offset:184
	scratch_load_b128 v[9:12], off, off offset:200
	s_wait_loadcnt_dscnt 0x100
	v_mul_f32_e32 v159, v5, v2
	v_dual_mul_f32 v2, v6, v2 :: v_dual_mul_f32 v161, v7, v4
	s_delay_alu instid0(VALU_DEP_2) | instskip(NEXT) | instid1(VALU_DEP_2)
	v_fmac_f32_e32 v159, v6, v1
	v_fma_f32 v160, v5, v1, -v2
	v_mul_f32_e32 v1, v8, v4
	s_delay_alu instid0(VALU_DEP_4) | instskip(NEXT) | instid1(VALU_DEP_2)
	v_fmac_f32_e32 v161, v8, v3
	v_fma_f32 v162, v7, v3, -v1
	ds_load_2addr_b64 v[1:4], v21 offset0:79 offset1:80
	ds_load_2addr_b64 v[5:8], v21 offset0:81 offset1:82
	s_wait_loadcnt_dscnt 0x1
	v_mul_f32_e32 v163, v1, v10
	v_mul_f32_e32 v165, v3, v12
	s_delay_alu instid0(VALU_DEP_2) | instskip(NEXT) | instid1(VALU_DEP_2)
	v_fmac_f32_e32 v163, v2, v9
	v_dual_mul_f32 v2, v2, v10 :: v_dual_fmac_f32 v165, v4, v11
	s_delay_alu instid0(VALU_DEP_1) | instskip(SKIP_1) | instid1(VALU_DEP_1)
	v_fma_f32 v164, v1, v9, -v2
	v_mul_f32_e32 v1, v4, v12
	;; [unrolled: 25-line block ×6, first 2 shown]
	v_fma_f32 v198, v3, v11, -v1
	s_clause 0x1
	scratch_load_b128 v[1:4], off, off offset:344
	scratch_load_b128 v[9:12], off, off offset:360
	s_wait_loadcnt_dscnt 0x100
	v_mul_f32_e32 v199, v5, v2
	v_dual_mul_f32 v2, v6, v2 :: v_dual_mul_f32 v201, v7, v4
	s_delay_alu instid0(VALU_DEP_2) | instskip(NEXT) | instid1(VALU_DEP_2)
	v_fmac_f32_e32 v199, v6, v1
	v_fma_f32 v200, v5, v1, -v2
	v_add_f32_e32 v2, 0, v23
	s_delay_alu instid0(VALU_DEP_1) | instskip(NEXT) | instid1(VALU_DEP_1)
	v_dual_fmac_f32 v201, v8, v3 :: v_dual_add_f32 v2, v2, v24
	v_add_f32_e32 v2, v2, v135
	s_delay_alu instid0(VALU_DEP_1) | instskip(NEXT) | instid1(VALU_DEP_1)
	v_add_f32_e32 v2, v2, v136
	v_add_f32_e32 v2, v2, v137
	s_delay_alu instid0(VALU_DEP_1) | instskip(NEXT) | instid1(VALU_DEP_1)
	v_add_f32_e32 v2, v2, v146
	;; [unrolled: 3-line block ×3, first 2 shown]
	v_add_f32_e32 v2, v2, v15
	s_delay_alu instid0(VALU_DEP_1) | instskip(NEXT) | instid1(VALU_DEP_1)
	v_dual_add_f32 v2, v2, v18 :: v_dual_mul_f32 v1, v8, v4
	v_add_f32_e32 v2, v2, v19
	s_delay_alu instid0(VALU_DEP_2) | instskip(NEXT) | instid1(VALU_DEP_2)
	v_fma_f32 v202, v7, v3, -v1
	v_dual_add_f32 v1, 0, v22 :: v_dual_add_f32 v2, v2, v20
	s_delay_alu instid0(VALU_DEP_1) | instskip(NEXT) | instid1(VALU_DEP_1)
	v_dual_add_f32 v1, v1, v134 :: v_dual_add_f32 v2, v2, v147
	v_dual_add_f32 v1, v1, v138 :: v_dual_add_f32 v2, v2, v148
	s_delay_alu instid0(VALU_DEP_1) | instskip(NEXT) | instid1(VALU_DEP_1)
	v_add_f32_e32 v1, v1, v139
	v_dual_add_f32 v2, v2, v151 :: v_dual_add_f32 v1, v1, v140
	s_delay_alu instid0(VALU_DEP_1) | instskip(NEXT) | instid1(VALU_DEP_1)
	v_add_f32_e32 v2, v2, v153
	;; [unrolled: 3-line block ×3, first 2 shown]
	v_dual_add_f32 v2, v2, v157 :: v_dual_add_f32 v1, v1, v14
	s_delay_alu instid0(VALU_DEP_1) | instskip(NEXT) | instid1(VALU_DEP_1)
	v_dual_add_f32 v2, v2, v159 :: v_dual_add_f32 v1, v1, v16
	v_add_f32_e32 v2, v2, v161
	s_delay_alu instid0(VALU_DEP_2) | instskip(NEXT) | instid1(VALU_DEP_1)
	v_add_f32_e32 v1, v1, v17
	v_add_f32_e32 v1, v1, v144
	s_delay_alu instid0(VALU_DEP_1) | instskip(NEXT) | instid1(VALU_DEP_1)
	v_add_f32_e32 v1, v1, v145
	v_add_f32_e32 v1, v1, v149
	s_delay_alu instid0(VALU_DEP_1) | instskip(NEXT) | instid1(VALU_DEP_1)
	;; [unrolled: 3-line block ×7, first 2 shown]
	v_add_f32_e32 v1, v1, v170
	v_add_f32_e32 v1, v1, v172
	s_delay_alu instid0(VALU_DEP_1) | instskip(SKIP_1) | instid1(VALU_DEP_2)
	v_add_f32_e32 v6, v1, v174
	v_add_f32_e32 v2, v2, v163
	;; [unrolled: 1-line block ×3, first 2 shown]
	s_delay_alu instid0(VALU_DEP_2) | instskip(NEXT) | instid1(VALU_DEP_2)
	v_add_f32_e32 v2, v2, v165
	v_add_f32_e32 v13, v6, v178
	s_delay_alu instid0(VALU_DEP_1) | instskip(NEXT) | instid1(VALU_DEP_1)
	v_dual_add_f32 v2, v2, v167 :: v_dual_add_f32 v13, v13, v180
	v_dual_add_f32 v2, v2, v169 :: v_dual_add_f32 v13, v13, v182
	s_delay_alu instid0(VALU_DEP_1) | instskip(SKIP_3) | instid1(VALU_DEP_2)
	v_add_f32_e32 v5, v2, v171
	ds_load_2addr_b64 v[1:4], v21 offset0:99 offset1:100
	v_add_f32_e32 v13, v13, v184
	v_add_f32_e32 v5, v5, v173
	;; [unrolled: 1-line block ×3, first 2 shown]
	s_delay_alu instid0(VALU_DEP_1) | instskip(NEXT) | instid1(VALU_DEP_1)
	v_dual_add_f32 v5, v5, v175 :: v_dual_add_f32 v18, v18, v188
	v_add_f32_e32 v14, v5, v177
	ds_load_2addr_b64 v[5:8], v21 offset0:101 offset1:102
	v_add_f32_e32 v18, v18, v190
	s_wait_loadcnt_dscnt 0x1
	v_dual_mul_f32 v134, v1, v10 :: v_dual_mul_f32 v135, v3, v12
	v_mul_f32_e32 v10, v2, v10
	v_mul_f32_e32 v12, v4, v12
	v_add_f32_e32 v22, v18, v192
	s_delay_alu instid0(VALU_DEP_4) | instskip(NEXT) | instid1(VALU_DEP_4)
	v_dual_fmac_f32 v134, v2, v9 :: v_dual_fmac_f32 v135, v4, v11
	v_fma_f32 v136, v1, v9, -v10
	s_delay_alu instid0(VALU_DEP_4) | instskip(SKIP_4) | instid1(VALU_DEP_1)
	v_fma_f32 v137, v3, v11, -v12
	s_clause 0x1
	scratch_load_b128 v[1:4], off, off offset:376
	scratch_load_b128 v[9:12], off, off offset:392
	v_add_f32_e32 v138, v22, v194
	v_add_f32_e32 v138, v138, v196
	s_delay_alu instid0(VALU_DEP_1) | instskip(NEXT) | instid1(VALU_DEP_1)
	v_add_f32_e32 v138, v138, v198
	v_add_f32_e32 v138, v138, v200
	s_delay_alu instid0(VALU_DEP_1) | instskip(NEXT) | instid1(VALU_DEP_1)
	v_add_f32_e32 v138, v138, v202
	v_add_f32_e32 v136, v138, v136
	s_wait_loadcnt_dscnt 0x100
	v_mul_f32_e32 v140, v5, v2
	v_dual_add_f32 v14, v14, v179 :: v_dual_mul_f32 v141, v7, v4
	v_mul_f32_e32 v4, v8, v4
	v_mul_f32_e32 v2, v6, v2
	s_delay_alu instid0(VALU_DEP_4) | instskip(NEXT) | instid1(VALU_DEP_4)
	v_fmac_f32_e32 v140, v6, v1
	v_dual_add_f32 v14, v14, v181 :: v_dual_fmac_f32 v141, v8, v3
	s_delay_alu instid0(VALU_DEP_4) | instskip(NEXT) | instid1(VALU_DEP_4)
	v_fma_f32 v3, v7, v3, -v4
	v_fma_f32 v2, v5, v1, -v2
	v_add_f32_e32 v1, v136, v137
	s_delay_alu instid0(VALU_DEP_4) | instskip(SKIP_3) | instid1(VALU_DEP_2)
	v_add_f32_e32 v17, v14, v183
	scratch_load_b128 v[13:16], off, off offset:408
	v_add_f32_e32 v1, v1, v2
	v_add_f32_e32 v17, v17, v185
	;; [unrolled: 1-line block ×3, first 2 shown]
	s_delay_alu instid0(VALU_DEP_2) | instskip(NEXT) | instid1(VALU_DEP_1)
	v_add_f32_e32 v17, v17, v187
	v_add_f32_e32 v17, v17, v189
	s_delay_alu instid0(VALU_DEP_1)
	v_add_f32_e32 v23, v17, v191
	ds_load_2addr_b64 v[17:20], v21 offset0:103 offset1:104
	v_add_f32_e32 v139, v23, v193
	ds_load_2addr_b64 v[21:24], v21 offset0:105 offset1:106
	v_add_f32_e32 v139, v139, v195
	s_wait_loadcnt_dscnt 0x101
	s_delay_alu instid0(VALU_DEP_1) | instskip(SKIP_2) | instid1(VALU_DEP_2)
	v_dual_add_f32 v139, v139, v197 :: v_dual_mul_f32 v142, v17, v10
	v_dual_mul_f32 v6, v18, v10 :: v_dual_mul_f32 v143, v19, v12
	v_mul_f32_e32 v4, v20, v12
	v_dual_fmac_f32 v142, v18, v9 :: v_dual_fmac_f32 v143, v20, v11
	s_delay_alu instid0(VALU_DEP_2) | instskip(SKIP_3) | instid1(VALU_DEP_2)
	v_fma_f32 v4, v19, v11, -v4
	s_wait_loadcnt_dscnt 0x0
	v_mul_f32_e32 v138, v23, v16
	v_dual_add_f32 v139, v139, v199 :: v_dual_mul_f32 v144, v21, v14
	v_dual_mul_f32 v3, v22, v14 :: v_dual_fmac_f32 v138, v24, v15
	s_delay_alu instid0(VALU_DEP_2) | instskip(NEXT) | instid1(VALU_DEP_3)
	v_add_f32_e32 v139, v139, v201
	v_fmac_f32_e32 v144, v22, v13
	s_delay_alu instid0(VALU_DEP_3) | instskip(NEXT) | instid1(VALU_DEP_3)
	v_fma_f32 v3, v21, v13, -v3
	v_add_f32_e32 v134, v139, v134
	s_delay_alu instid0(VALU_DEP_1) | instskip(NEXT) | instid1(VALU_DEP_1)
	v_add_f32_e32 v5, v134, v135
	v_add_f32_e32 v2, v5, v140
	v_fma_f32 v5, v17, v9, -v6
	s_delay_alu instid0(VALU_DEP_2) | instskip(NEXT) | instid1(VALU_DEP_2)
	v_add_f32_e32 v2, v2, v141
	v_add_f32_e32 v1, v1, v5
	s_delay_alu instid0(VALU_DEP_2) | instskip(NEXT) | instid1(VALU_DEP_2)
	v_dual_mul_f32 v5, v24, v16 :: v_dual_add_f32 v2, v2, v142
	v_add_f32_e32 v1, v1, v4
	s_delay_alu instid0(VALU_DEP_2) | instskip(NEXT) | instid1(VALU_DEP_3)
	v_fma_f32 v4, v23, v15, -v5
	v_add_f32_e32 v2, v2, v143
	s_delay_alu instid0(VALU_DEP_1) | instskip(NEXT) | instid1(VALU_DEP_1)
	v_dual_add_f32 v1, v1, v3 :: v_dual_add_f32 v2, v2, v144
	v_dual_add_f32 v1, v1, v4 :: v_dual_add_f32 v2, v2, v138
	s_delay_alu instid0(VALU_DEP_1)
	v_dual_sub_f32 v1, v131, v1 :: v_dual_sub_f32 v2, v132, v2
	scratch_store_b64 off, v[1:2], off offset:32
	v_cmpx_lt_u32_e32 3, v0
	s_cbranch_execz .LBB116_325
; %bb.324:
	scratch_load_b64 v[1:2], off, off offset:24
	v_mov_b32_e32 v3, 0
	s_delay_alu instid0(VALU_DEP_1)
	v_mov_b32_e32 v4, v3
	scratch_store_b64 off, v[3:4], off offset:24
	s_wait_loadcnt 0x0
	ds_store_b64 v133, v[1:2]
.LBB116_325:
	s_wait_alu 0xfffe
	s_or_b32 exec_lo, exec_lo, s0
	s_wait_storecnt_dscnt 0x0
	s_barrier_signal -1
	s_barrier_wait -1
	global_inv scope:SCOPE_SE
	s_clause 0x4
	scratch_load_b128 v[5:8], off, off offset:32
	scratch_load_b128 v[1:4], off, off offset:48
	;; [unrolled: 1-line block ×5, first 2 shown]
	v_mov_b32_e32 v131, 0
	ds_load_b128 v[21:24], v131 offset:464
	ds_load_b128 v[134:137], v131 offset:480
	ds_load_b128 v[138:141], v131 offset:496
	scratch_load_b64 v[142:143], off, off offset:24
	s_mov_b32 s0, exec_lo
	s_wait_loadcnt_dscnt 0x502
	v_mul_f32_e32 v132, v22, v6
	v_dual_mul_f32 v144, v21, v6 :: v_dual_mul_f32 v145, v23, v8
	v_mul_f32_e32 v6, v24, v8
	s_wait_loadcnt_dscnt 0x300
	v_mul_f32_e32 v146, v140, v12
	v_fma_f32 v21, v21, v5, -v132
	v_dual_fmac_f32 v144, v22, v5 :: v_dual_fmac_f32 v145, v24, v7
	v_fma_f32 v22, v23, v7, -v6
	ds_load_b128 v[5:8], v131 offset:512
	v_dual_mul_f32 v23, v134, v2 :: v_dual_mul_f32 v24, v136, v4
	v_mul_f32_e32 v4, v137, v4
	v_mul_f32_e32 v132, v138, v10
	;; [unrolled: 1-line block ×5, first 2 shown]
	v_dual_fmac_f32 v23, v135, v1 :: v_dual_fmac_f32 v24, v137, v3
	v_fma_f32 v135, v136, v3, -v4
	v_fmac_f32_e32 v132, v139, v9
	v_fma_f32 v136, v138, v9, -v10
	v_fmac_f32_e32 v146, v141, v11
	v_fma_f32 v137, v140, v11, -v12
	ds_load_b128 v[9:12], v131 offset:528
	s_wait_loadcnt_dscnt 0x201
	v_dual_mul_f32 v139, v7, v16 :: v_dual_mul_f32 v138, v5, v14
	v_mul_f32_e32 v14, v6, v14
	v_mul_f32_e32 v16, v8, v16
	s_delay_alu instid0(VALU_DEP_3)
	v_fmac_f32_e32 v139, v8, v15
	v_fma_f32 v134, v134, v1, -v2
	scratch_load_b128 v[1:4], off, off offset:112
	v_fmac_f32_e32 v138, v6, v13
	v_fma_f32 v13, v5, v13, -v14
	v_fma_f32 v14, v7, v15, -v16
	ds_load_b128 v[5:8], v131 offset:544
	s_wait_loadcnt_dscnt 0x201
	v_mul_f32_e32 v15, v9, v18
	v_mul_f32_e32 v16, v10, v18
	;; [unrolled: 1-line block ×3, first 2 shown]
	s_delay_alu instid0(VALU_DEP_3) | instskip(NEXT) | instid1(VALU_DEP_3)
	v_dual_mul_f32 v20, v12, v20 :: v_dual_fmac_f32 v15, v10, v17
	v_fma_f32 v16, v9, v17, -v16
	s_delay_alu instid0(VALU_DEP_3) | instskip(NEXT) | instid1(VALU_DEP_3)
	v_fmac_f32_e32 v18, v12, v19
	v_fma_f32 v17, v11, v19, -v20
	scratch_load_b128 v[9:12], off, off offset:128
	s_wait_loadcnt_dscnt 0x100
	v_mul_f32_e32 v19, v5, v2
	v_mul_f32_e32 v2, v6, v2
	;; [unrolled: 1-line block ×3, first 2 shown]
	s_delay_alu instid0(VALU_DEP_3) | instskip(NEXT) | instid1(VALU_DEP_3)
	v_dual_mul_f32 v4, v8, v4 :: v_dual_fmac_f32 v19, v6, v1
	v_fma_f32 v140, v5, v1, -v2
	s_delay_alu instid0(VALU_DEP_3) | instskip(NEXT) | instid1(VALU_DEP_3)
	v_fmac_f32_e32 v20, v8, v3
	v_fma_f32 v141, v7, v3, -v4
	ds_load_b128 v[1:4], v131 offset:560
	ds_load_b128 v[5:8], v131 offset:576
	s_wait_loadcnt_dscnt 0x1
	v_mul_f32_e32 v147, v1, v10
	v_mul_f32_e32 v10, v2, v10
	s_delay_alu instid0(VALU_DEP_2) | instskip(NEXT) | instid1(VALU_DEP_2)
	v_dual_mul_f32 v148, v3, v12 :: v_dual_fmac_f32 v147, v2, v9
	v_fma_f32 v149, v1, v9, -v10
	v_mul_f32_e32 v1, v4, v12
	s_delay_alu instid0(VALU_DEP_3) | instskip(NEXT) | instid1(VALU_DEP_2)
	v_fmac_f32_e32 v148, v4, v11
	v_fma_f32 v150, v3, v11, -v1
	s_clause 0x1
	scratch_load_b128 v[1:4], off, off offset:144
	scratch_load_b128 v[9:12], off, off offset:160
	s_wait_loadcnt_dscnt 0x100
	v_mul_f32_e32 v151, v5, v2
	v_dual_mul_f32 v2, v6, v2 :: v_dual_mul_f32 v153, v7, v4
	s_delay_alu instid0(VALU_DEP_2) | instskip(NEXT) | instid1(VALU_DEP_2)
	v_fmac_f32_e32 v151, v6, v1
	v_fma_f32 v152, v5, v1, -v2
	v_mul_f32_e32 v1, v8, v4
	s_delay_alu instid0(VALU_DEP_4) | instskip(NEXT) | instid1(VALU_DEP_2)
	v_fmac_f32_e32 v153, v8, v3
	v_fma_f32 v154, v7, v3, -v1
	ds_load_b128 v[1:4], v131 offset:592
	ds_load_b128 v[5:8], v131 offset:608
	s_wait_loadcnt_dscnt 0x1
	v_mul_f32_e32 v155, v1, v10
	v_mul_f32_e32 v157, v3, v12
	s_delay_alu instid0(VALU_DEP_2) | instskip(NEXT) | instid1(VALU_DEP_2)
	v_fmac_f32_e32 v155, v2, v9
	v_dual_mul_f32 v2, v2, v10 :: v_dual_fmac_f32 v157, v4, v11
	s_delay_alu instid0(VALU_DEP_1) | instskip(SKIP_1) | instid1(VALU_DEP_1)
	v_fma_f32 v156, v1, v9, -v2
	v_mul_f32_e32 v1, v4, v12
	v_fma_f32 v158, v3, v11, -v1
	s_clause 0x1
	scratch_load_b128 v[1:4], off, off offset:176
	scratch_load_b128 v[9:12], off, off offset:192
	s_wait_loadcnt_dscnt 0x100
	v_mul_f32_e32 v159, v5, v2
	v_dual_mul_f32 v2, v6, v2 :: v_dual_mul_f32 v161, v7, v4
	s_delay_alu instid0(VALU_DEP_2) | instskip(NEXT) | instid1(VALU_DEP_2)
	v_fmac_f32_e32 v159, v6, v1
	v_fma_f32 v160, v5, v1, -v2
	v_mul_f32_e32 v1, v8, v4
	s_delay_alu instid0(VALU_DEP_4) | instskip(NEXT) | instid1(VALU_DEP_2)
	v_fmac_f32_e32 v161, v8, v3
	v_fma_f32 v162, v7, v3, -v1
	ds_load_b128 v[1:4], v131 offset:624
	ds_load_b128 v[5:8], v131 offset:640
	s_wait_loadcnt_dscnt 0x1
	v_mul_f32_e32 v163, v1, v10
	v_mul_f32_e32 v165, v3, v12
	s_delay_alu instid0(VALU_DEP_2) | instskip(NEXT) | instid1(VALU_DEP_2)
	v_fmac_f32_e32 v163, v2, v9
	v_dual_mul_f32 v2, v2, v10 :: v_dual_fmac_f32 v165, v4, v11
	s_delay_alu instid0(VALU_DEP_1) | instskip(SKIP_1) | instid1(VALU_DEP_1)
	v_fma_f32 v164, v1, v9, -v2
	v_mul_f32_e32 v1, v4, v12
	;; [unrolled: 25-line block ×6, first 2 shown]
	v_fma_f32 v198, v3, v11, -v1
	s_clause 0x1
	scratch_load_b128 v[1:4], off, off offset:336
	scratch_load_b128 v[9:12], off, off offset:352
	s_wait_loadcnt_dscnt 0x100
	v_mul_f32_e32 v199, v5, v2
	v_mul_f32_e32 v2, v6, v2
	s_delay_alu instid0(VALU_DEP_2) | instskip(NEXT) | instid1(VALU_DEP_2)
	v_fmac_f32_e32 v199, v6, v1
	v_fma_f32 v200, v5, v1, -v2
	v_add_f32_e32 v2, 0, v144
	s_delay_alu instid0(VALU_DEP_1) | instskip(NEXT) | instid1(VALU_DEP_1)
	v_dual_mul_f32 v1, v8, v4 :: v_dual_add_f32 v2, v2, v145
	v_fma_f32 v202, v7, v3, -v1
	s_delay_alu instid0(VALU_DEP_2) | instskip(NEXT) | instid1(VALU_DEP_1)
	v_dual_add_f32 v1, 0, v21 :: v_dual_add_f32 v2, v2, v23
	v_dual_add_f32 v1, v1, v22 :: v_dual_add_f32 v2, v2, v24
	s_delay_alu instid0(VALU_DEP_1) | instskip(NEXT) | instid1(VALU_DEP_1)
	v_add_f32_e32 v2, v2, v132
	v_add_f32_e32 v2, v2, v146
	s_delay_alu instid0(VALU_DEP_1) | instskip(NEXT) | instid1(VALU_DEP_1)
	v_add_f32_e32 v2, v2, v138
	v_dual_add_f32 v1, v1, v134 :: v_dual_add_f32 v2, v2, v139
	s_delay_alu instid0(VALU_DEP_1) | instskip(SKIP_2) | instid1(VALU_DEP_1)
	v_add_f32_e32 v1, v1, v135
	scratch_load_b64 v[134:135], off, off offset:416
	v_dual_add_f32 v2, v2, v15 :: v_dual_add_f32 v1, v1, v136
	v_dual_add_f32 v2, v2, v18 :: v_dual_add_f32 v1, v1, v137
	s_delay_alu instid0(VALU_DEP_1) | instskip(NEXT) | instid1(VALU_DEP_1)
	v_dual_add_f32 v2, v2, v19 :: v_dual_add_f32 v1, v1, v13
	v_dual_add_f32 v2, v2, v20 :: v_dual_add_f32 v1, v1, v14
	s_delay_alu instid0(VALU_DEP_1) | instskip(NEXT) | instid1(VALU_DEP_1)
	;; [unrolled: 3-line block ×3, first 2 shown]
	v_dual_add_f32 v2, v2, v151 :: v_dual_add_f32 v1, v1, v140
	v_add_f32_e32 v2, v2, v153
	s_delay_alu instid0(VALU_DEP_1) | instskip(NEXT) | instid1(VALU_DEP_1)
	v_dual_add_f32 v1, v1, v141 :: v_dual_add_f32 v2, v2, v155
	v_add_f32_e32 v1, v1, v149
	s_delay_alu instid0(VALU_DEP_1) | instskip(NEXT) | instid1(VALU_DEP_1)
	v_dual_add_f32 v2, v2, v157 :: v_dual_add_f32 v1, v1, v150
	v_dual_add_f32 v2, v2, v159 :: v_dual_add_f32 v1, v1, v152
	s_delay_alu instid0(VALU_DEP_1) | instskip(NEXT) | instid1(VALU_DEP_1)
	v_dual_add_f32 v2, v2, v161 :: v_dual_add_f32 v1, v1, v154
	v_dual_add_f32 v2, v2, v163 :: v_dual_add_f32 v1, v1, v156
	s_delay_alu instid0(VALU_DEP_1) | instskip(NEXT) | instid1(VALU_DEP_1)
	v_dual_add_f32 v2, v2, v165 :: v_dual_add_f32 v1, v1, v158
	v_add_f32_e32 v1, v1, v160
	s_delay_alu instid0(VALU_DEP_1) | instskip(NEXT) | instid1(VALU_DEP_1)
	v_add_f32_e32 v1, v1, v162
	v_add_f32_e32 v1, v1, v164
	s_delay_alu instid0(VALU_DEP_1) | instskip(NEXT) | instid1(VALU_DEP_1)
	v_add_f32_e32 v1, v1, v166
	;; [unrolled: 3-line block ×3, first 2 shown]
	v_add_f32_e32 v1, v1, v172
	s_delay_alu instid0(VALU_DEP_1) | instskip(SKIP_1) | instid1(VALU_DEP_2)
	v_add_f32_e32 v6, v1, v174
	v_add_f32_e32 v2, v2, v167
	;; [unrolled: 1-line block ×3, first 2 shown]
	s_delay_alu instid0(VALU_DEP_2) | instskip(NEXT) | instid1(VALU_DEP_2)
	v_add_f32_e32 v2, v2, v169
	v_add_f32_e32 v13, v6, v178
	s_delay_alu instid0(VALU_DEP_2) | instskip(NEXT) | instid1(VALU_DEP_2)
	v_add_f32_e32 v5, v2, v171
	v_add_f32_e32 v13, v13, v180
	;; [unrolled: 3-line block ×3, first 2 shown]
	s_delay_alu instid0(VALU_DEP_2) | instskip(SKIP_1) | instid1(VALU_DEP_3)
	v_add_f32_e32 v5, v5, v175
	v_mul_f32_e32 v201, v7, v4
	v_add_f32_e32 v13, v13, v184
	s_delay_alu instid0(VALU_DEP_2) | instskip(SKIP_3) | instid1(VALU_DEP_1)
	v_dual_add_f32 v14, v5, v177 :: v_dual_fmac_f32 v201, v8, v3
	ds_load_b128 v[1:4], v131 offset:784
	ds_load_b128 v[5:8], v131 offset:800
	v_add_f32_e32 v18, v13, v186
	v_add_f32_e32 v18, v18, v188
	s_delay_alu instid0(VALU_DEP_1) | instskip(NEXT) | instid1(VALU_DEP_1)
	v_add_f32_e32 v18, v18, v190
	v_add_f32_e32 v18, v18, v192
	s_wait_loadcnt_dscnt 0x101
	v_mul_f32_e32 v132, v1, v10
	v_mul_f32_e32 v10, v2, v10
	;; [unrolled: 1-line block ×4, first 2 shown]
	v_add_f32_e32 v14, v14, v179
	v_fmac_f32_e32 v132, v2, v9
	v_fma_f32 v139, v1, v9, -v10
	v_fmac_f32_e32 v138, v4, v11
	v_fma_f32 v140, v3, v11, -v12
	s_clause 0x1
	scratch_load_b128 v[1:4], off, off offset:368
	scratch_load_b128 v[9:12], off, off offset:384
	v_add_f32_e32 v14, v14, v181
	v_add_f32_e32 v18, v18, v194
	s_delay_alu instid0(VALU_DEP_2) | instskip(SKIP_2) | instid1(VALU_DEP_1)
	v_add_f32_e32 v17, v14, v183
	scratch_load_b128 v[13:16], off, off offset:400
	v_dual_add_f32 v136, v18, v196 :: v_dual_add_f32 v17, v17, v185
	v_add_f32_e32 v141, v136, v198
	s_delay_alu instid0(VALU_DEP_2) | instskip(NEXT) | instid1(VALU_DEP_2)
	v_add_f32_e32 v17, v17, v187
	v_add_f32_e32 v141, v141, v200
	s_delay_alu instid0(VALU_DEP_2) | instskip(NEXT) | instid1(VALU_DEP_2)
	v_add_f32_e32 v17, v17, v189
	;; [unrolled: 3-line block ×3, first 2 shown]
	v_add_f32_e32 v139, v141, v139
	s_delay_alu instid0(VALU_DEP_2)
	v_add_f32_e32 v21, v17, v193
	ds_load_b128 v[17:20], v131 offset:816
	v_add_f32_e32 v139, v139, v140
	s_wait_loadcnt_dscnt 0x201
	v_dual_mul_f32 v146, v7, v4 :: v_dual_add_f32 v137, v21, v195
	v_mul_f32_e32 v4, v8, v4
	ds_load_b128 v[21:24], v131 offset:832
	v_mul_f32_e32 v145, v5, v2
	v_mul_f32_e32 v2, v6, v2
	v_add_f32_e32 v144, v137, v197
	ds_load_b64 v[136:137], v131 offset:848
	s_wait_loadcnt_dscnt 0x102
	v_mul_f32_e32 v141, v17, v10
	v_fmac_f32_e32 v145, v6, v1
	v_fma_f32 v2, v5, v1, -v2
	v_add_f32_e32 v144, v144, v199
	v_fmac_f32_e32 v146, v8, v3
	v_fma_f32 v1, v7, v3, -v4
	v_mul_f32_e32 v3, v18, v10
	v_add_f32_e32 v2, v139, v2
	v_add_f32_e32 v144, v144, v201
	v_mul_f32_e32 v5, v20, v12
	v_fmac_f32_e32 v141, v18, v9
	v_fma_f32 v3, v17, v9, -v3
	s_delay_alu instid0(VALU_DEP_4) | instskip(SKIP_3) | instid1(VALU_DEP_3)
	v_dual_add_f32 v1, v2, v1 :: v_dual_add_f32 v132, v144, v132
	s_wait_loadcnt_dscnt 0x1
	v_dual_mul_f32 v144, v19, v12 :: v_dual_mul_f32 v147, v21, v14
	v_fma_f32 v5, v19, v11, -v5
	v_dual_add_f32 v1, v1, v3 :: v_dual_add_f32 v132, v132, v138
	s_delay_alu instid0(VALU_DEP_3)
	v_fmac_f32_e32 v144, v20, v11
	v_mul_f32_e32 v140, v23, v16
	v_mul_f32_e32 v3, v24, v16
	v_fmac_f32_e32 v147, v22, v13
	v_add_f32_e32 v4, v132, v145
	s_wait_dscnt 0x0
	v_dual_add_f32 v1, v1, v5 :: v_dual_mul_f32 v138, v136, v135
	v_mul_f32_e32 v5, v137, v135
	v_fmac_f32_e32 v140, v24, v15
	v_add_f32_e32 v2, v4, v146
	v_mul_f32_e32 v4, v22, v14
	v_fma_f32 v3, v23, v15, -v3
	v_fmac_f32_e32 v138, v137, v134
	s_delay_alu instid0(VALU_DEP_4) | instskip(NEXT) | instid1(VALU_DEP_4)
	v_add_f32_e32 v2, v2, v141
	v_fma_f32 v4, v21, v13, -v4
	s_delay_alu instid0(VALU_DEP_2) | instskip(NEXT) | instid1(VALU_DEP_2)
	v_add_f32_e32 v2, v2, v144
	v_add_f32_e32 v1, v1, v4
	v_fma_f32 v4, v136, v134, -v5
	s_delay_alu instid0(VALU_DEP_3) | instskip(NEXT) | instid1(VALU_DEP_1)
	v_add_f32_e32 v2, v2, v147
	v_dual_add_f32 v1, v1, v3 :: v_dual_add_f32 v2, v2, v140
	s_delay_alu instid0(VALU_DEP_1) | instskip(NEXT) | instid1(VALU_DEP_1)
	v_dual_add_f32 v1, v1, v4 :: v_dual_add_f32 v2, v2, v138
	v_dual_sub_f32 v1, v142, v1 :: v_dual_sub_f32 v2, v143, v2
	scratch_store_b64 off, v[1:2], off offset:24
	v_cmpx_lt_u32_e32 2, v0
	s_cbranch_execz .LBB116_327
; %bb.326:
	scratch_load_b64 v[1:2], off, off offset:16
	v_mov_b32_e32 v132, v131
	scratch_store_b64 off, v[131:132], off offset:16
	s_wait_loadcnt 0x0
	ds_store_b64 v133, v[1:2]
.LBB116_327:
	s_wait_alu 0xfffe
	s_or_b32 exec_lo, exec_lo, s0
	s_wait_storecnt_dscnt 0x0
	s_barrier_signal -1
	s_barrier_wait -1
	global_inv scope:SCOPE_SE
	s_clause 0x4
	scratch_load_b128 v[5:8], off, off offset:24
	scratch_load_b128 v[1:4], off, off offset:40
	;; [unrolled: 1-line block ×5, first 2 shown]
	ds_load_2addr_b64 v[21:24], v131 offset0:57 offset1:58
	ds_load_2addr_b64 v[134:137], v131 offset0:59 offset1:60
	ds_load_2addr_b64 v[138:141], v131 offset0:61 offset1:62
	scratch_load_b64 v[142:143], off, off offset:16
	s_mov_b32 s0, exec_lo
	s_wait_loadcnt_dscnt 0x502
	v_mul_f32_e32 v132, v21, v6
	v_mul_f32_e32 v144, v23, v8
	s_wait_loadcnt_dscnt 0x300
	v_dual_mul_f32 v8, v24, v8 :: v_dual_mul_f32 v145, v138, v10
	v_mul_f32_e32 v6, v22, v6
	v_fmac_f32_e32 v132, v22, v5
	v_mul_f32_e32 v10, v139, v10
	s_delay_alu instid0(VALU_DEP_4)
	v_fma_f32 v22, v23, v7, -v8
	v_dual_mul_f32 v23, v134, v2 :: v_dual_fmac_f32 v144, v24, v7
	v_fmac_f32_e32 v145, v139, v9
	v_fma_f32 v21, v21, v5, -v6
	ds_load_2addr_b64 v[5:8], v131 offset0:63 offset1:64
	v_mul_f32_e32 v24, v136, v4
	v_mul_f32_e32 v4, v137, v4
	;; [unrolled: 1-line block ×5, first 2 shown]
	v_dual_fmac_f32 v23, v135, v1 :: v_dual_fmac_f32 v24, v137, v3
	v_fma_f32 v135, v136, v3, -v4
	v_fma_f32 v136, v138, v9, -v10
	v_fmac_f32_e32 v146, v141, v11
	v_fma_f32 v137, v140, v11, -v12
	ds_load_2addr_b64 v[9:12], v131 offset0:65 offset1:66
	s_wait_loadcnt_dscnt 0x201
	v_dual_mul_f32 v139, v7, v16 :: v_dual_mul_f32 v138, v5, v14
	v_mul_f32_e32 v14, v6, v14
	v_mul_f32_e32 v16, v8, v16
	s_delay_alu instid0(VALU_DEP_3)
	v_fmac_f32_e32 v139, v8, v15
	v_fma_f32 v134, v134, v1, -v2
	scratch_load_b128 v[1:4], off, off offset:104
	v_fmac_f32_e32 v138, v6, v13
	v_fma_f32 v13, v5, v13, -v14
	v_fma_f32 v14, v7, v15, -v16
	ds_load_2addr_b64 v[5:8], v131 offset0:67 offset1:68
	s_wait_loadcnt_dscnt 0x201
	v_mul_f32_e32 v15, v9, v18
	v_mul_f32_e32 v16, v10, v18
	;; [unrolled: 1-line block ×3, first 2 shown]
	s_delay_alu instid0(VALU_DEP_3) | instskip(NEXT) | instid1(VALU_DEP_3)
	v_dual_mul_f32 v20, v12, v20 :: v_dual_fmac_f32 v15, v10, v17
	v_fma_f32 v16, v9, v17, -v16
	s_delay_alu instid0(VALU_DEP_3) | instskip(NEXT) | instid1(VALU_DEP_3)
	v_fmac_f32_e32 v18, v12, v19
	v_fma_f32 v17, v11, v19, -v20
	scratch_load_b128 v[9:12], off, off offset:120
	s_wait_loadcnt_dscnt 0x100
	v_mul_f32_e32 v19, v5, v2
	v_mul_f32_e32 v2, v6, v2
	;; [unrolled: 1-line block ×3, first 2 shown]
	s_delay_alu instid0(VALU_DEP_3) | instskip(NEXT) | instid1(VALU_DEP_3)
	v_dual_mul_f32 v4, v8, v4 :: v_dual_fmac_f32 v19, v6, v1
	v_fma_f32 v140, v5, v1, -v2
	s_delay_alu instid0(VALU_DEP_3) | instskip(NEXT) | instid1(VALU_DEP_3)
	v_fmac_f32_e32 v20, v8, v3
	v_fma_f32 v141, v7, v3, -v4
	ds_load_2addr_b64 v[1:4], v131 offset0:69 offset1:70
	ds_load_2addr_b64 v[5:8], v131 offset0:71 offset1:72
	s_wait_loadcnt_dscnt 0x1
	v_mul_f32_e32 v147, v1, v10
	v_mul_f32_e32 v10, v2, v10
	s_delay_alu instid0(VALU_DEP_2) | instskip(NEXT) | instid1(VALU_DEP_2)
	v_dual_mul_f32 v148, v3, v12 :: v_dual_fmac_f32 v147, v2, v9
	v_fma_f32 v149, v1, v9, -v10
	v_mul_f32_e32 v1, v4, v12
	s_delay_alu instid0(VALU_DEP_3) | instskip(NEXT) | instid1(VALU_DEP_2)
	v_fmac_f32_e32 v148, v4, v11
	v_fma_f32 v150, v3, v11, -v1
	s_clause 0x1
	scratch_load_b128 v[1:4], off, off offset:136
	scratch_load_b128 v[9:12], off, off offset:152
	s_wait_loadcnt_dscnt 0x100
	v_mul_f32_e32 v151, v5, v2
	v_dual_mul_f32 v2, v6, v2 :: v_dual_mul_f32 v153, v7, v4
	s_delay_alu instid0(VALU_DEP_2) | instskip(NEXT) | instid1(VALU_DEP_2)
	v_fmac_f32_e32 v151, v6, v1
	v_fma_f32 v152, v5, v1, -v2
	v_mul_f32_e32 v1, v8, v4
	s_delay_alu instid0(VALU_DEP_4) | instskip(NEXT) | instid1(VALU_DEP_2)
	v_fmac_f32_e32 v153, v8, v3
	v_fma_f32 v154, v7, v3, -v1
	ds_load_2addr_b64 v[1:4], v131 offset0:73 offset1:74
	ds_load_2addr_b64 v[5:8], v131 offset0:75 offset1:76
	s_wait_loadcnt_dscnt 0x1
	v_mul_f32_e32 v155, v1, v10
	v_mul_f32_e32 v157, v3, v12
	s_delay_alu instid0(VALU_DEP_2) | instskip(NEXT) | instid1(VALU_DEP_2)
	v_fmac_f32_e32 v155, v2, v9
	v_dual_mul_f32 v2, v2, v10 :: v_dual_fmac_f32 v157, v4, v11
	s_delay_alu instid0(VALU_DEP_1) | instskip(SKIP_1) | instid1(VALU_DEP_1)
	v_fma_f32 v156, v1, v9, -v2
	v_mul_f32_e32 v1, v4, v12
	v_fma_f32 v158, v3, v11, -v1
	s_clause 0x1
	scratch_load_b128 v[1:4], off, off offset:168
	scratch_load_b128 v[9:12], off, off offset:184
	s_wait_loadcnt_dscnt 0x100
	v_mul_f32_e32 v159, v5, v2
	v_dual_mul_f32 v2, v6, v2 :: v_dual_mul_f32 v161, v7, v4
	s_delay_alu instid0(VALU_DEP_2) | instskip(NEXT) | instid1(VALU_DEP_2)
	v_fmac_f32_e32 v159, v6, v1
	v_fma_f32 v160, v5, v1, -v2
	v_mul_f32_e32 v1, v8, v4
	s_delay_alu instid0(VALU_DEP_4) | instskip(NEXT) | instid1(VALU_DEP_2)
	v_fmac_f32_e32 v161, v8, v3
	v_fma_f32 v162, v7, v3, -v1
	ds_load_2addr_b64 v[1:4], v131 offset0:77 offset1:78
	ds_load_2addr_b64 v[5:8], v131 offset0:79 offset1:80
	s_wait_loadcnt_dscnt 0x1
	v_mul_f32_e32 v163, v1, v10
	v_mul_f32_e32 v165, v3, v12
	s_delay_alu instid0(VALU_DEP_2) | instskip(NEXT) | instid1(VALU_DEP_2)
	v_fmac_f32_e32 v163, v2, v9
	v_dual_mul_f32 v2, v2, v10 :: v_dual_fmac_f32 v165, v4, v11
	s_delay_alu instid0(VALU_DEP_1) | instskip(SKIP_1) | instid1(VALU_DEP_1)
	v_fma_f32 v164, v1, v9, -v2
	v_mul_f32_e32 v1, v4, v12
	;; [unrolled: 25-line block ×6, first 2 shown]
	v_fma_f32 v198, v3, v11, -v1
	s_clause 0x1
	scratch_load_b128 v[1:4], off, off offset:328
	scratch_load_b128 v[9:12], off, off offset:344
	s_wait_loadcnt_dscnt 0x100
	v_mul_f32_e32 v199, v5, v2
	v_mul_f32_e32 v2, v6, v2
	s_delay_alu instid0(VALU_DEP_2) | instskip(NEXT) | instid1(VALU_DEP_2)
	v_fmac_f32_e32 v199, v6, v1
	v_fma_f32 v200, v5, v1, -v2
	v_add_f32_e32 v2, 0, v132
	s_delay_alu instid0(VALU_DEP_1) | instskip(NEXT) | instid1(VALU_DEP_1)
	v_add_f32_e32 v2, v2, v144
	v_add_f32_e32 v2, v2, v23
	s_delay_alu instid0(VALU_DEP_1) | instskip(NEXT) | instid1(VALU_DEP_1)
	v_add_f32_e32 v2, v2, v24
	v_add_f32_e32 v2, v2, v145
	s_delay_alu instid0(VALU_DEP_1) | instskip(NEXT) | instid1(VALU_DEP_1)
	v_dual_add_f32 v2, v2, v146 :: v_dual_mul_f32 v1, v8, v4
	v_add_f32_e32 v2, v2, v138
	s_delay_alu instid0(VALU_DEP_2) | instskip(NEXT) | instid1(VALU_DEP_2)
	v_fma_f32 v202, v7, v3, -v1
	v_dual_add_f32 v1, 0, v21 :: v_dual_add_f32 v2, v2, v139
	s_delay_alu instid0(VALU_DEP_1) | instskip(NEXT) | instid1(VALU_DEP_1)
	v_dual_add_f32 v1, v1, v22 :: v_dual_add_f32 v2, v2, v15
	v_add_f32_e32 v1, v1, v134
	s_delay_alu instid0(VALU_DEP_1) | instskip(NEXT) | instid1(VALU_DEP_1)
	v_dual_add_f32 v2, v2, v18 :: v_dual_add_f32 v1, v1, v135
	v_dual_add_f32 v2, v2, v19 :: v_dual_add_f32 v1, v1, v136
	s_delay_alu instid0(VALU_DEP_1) | instskip(NEXT) | instid1(VALU_DEP_1)
	v_dual_add_f32 v2, v2, v20 :: v_dual_add_f32 v1, v1, v137
	v_dual_add_f32 v2, v2, v147 :: v_dual_add_f32 v1, v1, v13
	s_delay_alu instid0(VALU_DEP_1) | instskip(NEXT) | instid1(VALU_DEP_1)
	v_add_f32_e32 v2, v2, v148
	v_add_f32_e32 v2, v2, v151
	s_delay_alu instid0(VALU_DEP_1) | instskip(NEXT) | instid1(VALU_DEP_1)
	v_add_f32_e32 v2, v2, v153
	v_add_f32_e32 v2, v2, v155
	;; [unrolled: 3-line block ×4, first 2 shown]
	s_delay_alu instid0(VALU_DEP_1) | instskip(NEXT) | instid1(VALU_DEP_1)
	v_dual_add_f32 v2, v2, v165 :: v_dual_add_f32 v1, v1, v14
	v_add_f32_e32 v1, v1, v16
	s_delay_alu instid0(VALU_DEP_1) | instskip(NEXT) | instid1(VALU_DEP_1)
	v_add_f32_e32 v1, v1, v17
	v_add_f32_e32 v1, v1, v140
	s_delay_alu instid0(VALU_DEP_1) | instskip(NEXT) | instid1(VALU_DEP_1)
	v_add_f32_e32 v1, v1, v141
	;; [unrolled: 3-line block ×9, first 2 shown]
	v_add_f32_e32 v6, v1, v176
	v_add_f32_e32 v2, v2, v167
	s_delay_alu instid0(VALU_DEP_2) | instskip(NEXT) | instid1(VALU_DEP_2)
	v_add_f32_e32 v14, v6, v178
	v_dual_add_f32 v2, v2, v169 :: v_dual_mul_f32 v201, v7, v4
	s_delay_alu instid0(VALU_DEP_2) | instskip(NEXT) | instid1(VALU_DEP_2)
	v_add_f32_e32 v14, v14, v180
	v_add_f32_e32 v2, v2, v171
	s_delay_alu instid0(VALU_DEP_3) | instskip(NEXT) | instid1(VALU_DEP_3)
	v_fmac_f32_e32 v201, v8, v3
	v_add_f32_e32 v17, v14, v182
	s_delay_alu instid0(VALU_DEP_3)
	v_add_f32_e32 v5, v2, v173
	ds_load_2addr_b64 v[1:4], v131 offset0:97 offset1:98
	v_add_f32_e32 v17, v17, v184
	v_add_f32_e32 v13, v5, v175
	scratch_load_b128 v[5:8], off, off offset:360
	v_add_f32_e32 v17, v17, v186
	v_add_f32_e32 v13, v13, v177
	s_delay_alu instid0(VALU_DEP_2) | instskip(NEXT) | instid1(VALU_DEP_2)
	v_add_f32_e32 v17, v17, v188
	v_add_f32_e32 v13, v13, v179
	s_delay_alu instid0(VALU_DEP_2) | instskip(NEXT) | instid1(VALU_DEP_2)
	v_add_f32_e32 v22, v17, v190
	v_add_f32_e32 v18, v13, v181
	ds_load_2addr_b64 v[13:16], v131 offset0:99 offset1:100
	s_wait_loadcnt_dscnt 0x101
	v_mul_f32_e32 v134, v3, v12
	v_mul_f32_e32 v132, v1, v10
	;; [unrolled: 1-line block ×4, first 2 shown]
	v_add_f32_e32 v22, v22, v192
	v_fmac_f32_e32 v134, v4, v11
	v_add_f32_e32 v18, v18, v183
	v_fmac_f32_e32 v132, v2, v9
	v_fma_f32 v135, v1, v9, -v10
	v_fma_f32 v136, v3, v11, -v12
	scratch_load_b128 v[1:4], off, off offset:376
	v_add_f32_e32 v18, v18, v185
	scratch_load_b128 v[9:12], off, off offset:392
	v_add_f32_e32 v22, v22, v194
	s_wait_loadcnt_dscnt 0x200
	v_mul_f32_e32 v137, v13, v6
	v_mul_f32_e32 v6, v14, v6
	;; [unrolled: 1-line block ×3, first 2 shown]
	s_delay_alu instid0(VALU_DEP_3) | instskip(NEXT) | instid1(VALU_DEP_3)
	v_dual_mul_f32 v8, v16, v8 :: v_dual_fmac_f32 v137, v14, v5
	v_fma_f32 v139, v13, v5, -v6
	s_delay_alu instid0(VALU_DEP_3) | instskip(NEXT) | instid1(VALU_DEP_3)
	v_fmac_f32_e32 v138, v16, v7
	v_fma_f32 v140, v15, v7, -v8
	ds_load_2addr_b64 v[5:8], v131 offset0:101 offset1:102
	v_add_f32_e32 v21, v18, v187
	scratch_load_b128 v[17:20], off, off offset:408
	v_add_f32_e32 v21, v21, v189
	s_delay_alu instid0(VALU_DEP_1) | instskip(NEXT) | instid1(VALU_DEP_1)
	v_add_f32_e32 v21, v21, v191
	v_add_f32_e32 v13, v21, v193
	s_delay_alu instid0(VALU_DEP_1) | instskip(NEXT) | instid1(VALU_DEP_1)
	v_dual_add_f32 v21, v22, v196 :: v_dual_add_f32 v22, v13, v195
	v_add_f32_e32 v141, v21, v198
	ds_load_2addr_b64 v[13:16], v131 offset0:103 offset1:104
	v_add_f32_e32 v144, v22, v197
	ds_load_2addr_b64 v[21:24], v131 offset0:105 offset1:106
	v_add_f32_e32 v131, v141, v200
	s_wait_loadcnt_dscnt 0x202
	v_dual_add_f32 v141, v144, v199 :: v_dual_mul_f32 v144, v5, v2
	s_delay_alu instid0(VALU_DEP_2) | instskip(NEXT) | instid1(VALU_DEP_2)
	v_add_f32_e32 v131, v131, v202
	v_dual_mul_f32 v2, v6, v2 :: v_dual_add_f32 v141, v141, v201
	s_delay_alu instid0(VALU_DEP_2) | instskip(SKIP_2) | instid1(VALU_DEP_4)
	v_dual_fmac_f32 v144, v6, v1 :: v_dual_add_f32 v131, v131, v135
	v_mul_f32_e32 v135, v7, v4
	v_mul_f32_e32 v4, v8, v4
	v_add_f32_e32 v132, v141, v132
	v_fma_f32 v2, v5, v1, -v2
	v_add_f32_e32 v131, v131, v136
	s_wait_loadcnt_dscnt 0x101
	v_mul_f32_e32 v141, v13, v10
	v_mul_f32_e32 v6, v14, v10
	v_add_f32_e32 v132, v132, v134
	v_fmac_f32_e32 v135, v8, v3
	v_add_f32_e32 v131, v131, v139
	v_fma_f32 v3, v7, v3, -v4
	v_mul_f32_e32 v145, v15, v12
	v_dual_mul_f32 v4, v16, v12 :: v_dual_fmac_f32 v141, v14, v9
	s_delay_alu instid0(VALU_DEP_4) | instskip(NEXT) | instid1(VALU_DEP_3)
	v_add_f32_e32 v1, v131, v140
	v_fmac_f32_e32 v145, v16, v11
	s_delay_alu instid0(VALU_DEP_3) | instskip(NEXT) | instid1(VALU_DEP_3)
	v_fma_f32 v4, v15, v11, -v4
	v_add_f32_e32 v1, v1, v2
	s_delay_alu instid0(VALU_DEP_1) | instskip(SKIP_4) | instid1(VALU_DEP_2)
	v_add_f32_e32 v1, v1, v3
	s_wait_loadcnt_dscnt 0x0
	v_mul_f32_e32 v134, v21, v18
	v_dual_add_f32 v132, v132, v137 :: v_dual_mul_f32 v3, v22, v18
	v_mul_f32_e32 v136, v23, v20
	v_dual_fmac_f32 v134, v22, v17 :: v_dual_add_f32 v5, v132, v138
	s_delay_alu instid0(VALU_DEP_3) | instskip(NEXT) | instid1(VALU_DEP_3)
	v_fma_f32 v3, v21, v17, -v3
	v_fmac_f32_e32 v136, v24, v19
	s_delay_alu instid0(VALU_DEP_3) | instskip(SKIP_1) | instid1(VALU_DEP_1)
	v_add_f32_e32 v2, v5, v144
	v_fma_f32 v5, v13, v9, -v6
	v_dual_add_f32 v2, v2, v135 :: v_dual_add_f32 v1, v1, v5
	s_delay_alu instid0(VALU_DEP_1) | instskip(NEXT) | instid1(VALU_DEP_2)
	v_dual_mul_f32 v5, v24, v20 :: v_dual_add_f32 v2, v2, v141
	v_add_f32_e32 v1, v1, v4
	s_delay_alu instid0(VALU_DEP_2) | instskip(NEXT) | instid1(VALU_DEP_2)
	v_fma_f32 v4, v23, v19, -v5
	v_dual_add_f32 v2, v2, v145 :: v_dual_add_f32 v1, v1, v3
	s_delay_alu instid0(VALU_DEP_1) | instskip(NEXT) | instid1(VALU_DEP_1)
	v_dual_add_f32 v2, v2, v134 :: v_dual_add_f32 v1, v1, v4
	v_add_f32_e32 v2, v2, v136
	s_delay_alu instid0(VALU_DEP_1)
	v_dual_sub_f32 v1, v142, v1 :: v_dual_sub_f32 v2, v143, v2
	scratch_store_b64 off, v[1:2], off offset:16
	v_cmpx_lt_u32_e32 1, v0
	s_cbranch_execz .LBB116_329
; %bb.328:
	scratch_load_b64 v[1:2], off, off offset:8
	v_mov_b32_e32 v3, 0
	s_delay_alu instid0(VALU_DEP_1)
	v_mov_b32_e32 v4, v3
	scratch_store_b64 off, v[3:4], off offset:8
	s_wait_loadcnt 0x0
	ds_store_b64 v133, v[1:2]
.LBB116_329:
	s_wait_alu 0xfffe
	s_or_b32 exec_lo, exec_lo, s0
	s_wait_storecnt_dscnt 0x0
	s_barrier_signal -1
	s_barrier_wait -1
	global_inv scope:SCOPE_SE
	s_clause 0x4
	scratch_load_b128 v[5:8], off, off offset:16
	scratch_load_b128 v[1:4], off, off offset:32
	scratch_load_b128 v[9:12], off, off offset:48
	scratch_load_b128 v[13:16], off, off offset:64
	scratch_load_b128 v[17:20], off, off offset:80
	v_mov_b32_e32 v131, 0
	ds_load_b128 v[21:24], v131 offset:448
	ds_load_b128 v[134:137], v131 offset:464
	;; [unrolled: 1-line block ×3, first 2 shown]
	scratch_load_b64 v[142:143], off, off offset:8
	s_mov_b32 s0, exec_lo
	s_wait_loadcnt_dscnt 0x502
	v_mul_f32_e32 v132, v21, v6
	v_mul_f32_e32 v144, v23, v8
	s_wait_loadcnt_dscnt 0x300
	v_dual_mul_f32 v8, v24, v8 :: v_dual_mul_f32 v145, v138, v10
	v_mul_f32_e32 v6, v22, v6
	v_fmac_f32_e32 v132, v22, v5
	v_mul_f32_e32 v10, v139, v10
	s_delay_alu instid0(VALU_DEP_4) | instskip(SKIP_2) | instid1(VALU_DEP_2)
	v_fma_f32 v22, v23, v7, -v8
	v_dual_mul_f32 v23, v134, v2 :: v_dual_fmac_f32 v144, v24, v7
	v_dual_fmac_f32 v145, v139, v9 :: v_dual_mul_f32 v24, v136, v4
	v_dual_mul_f32 v4, v137, v4 :: v_dual_fmac_f32 v23, v135, v1
	v_fma_f32 v21, v21, v5, -v6
	ds_load_b128 v[5:8], v131 offset:496
	v_mul_f32_e32 v146, v140, v12
	v_mul_f32_e32 v12, v141, v12
	;; [unrolled: 1-line block ×3, first 2 shown]
	v_fmac_f32_e32 v24, v137, v3
	v_fma_f32 v135, v136, v3, -v4
	v_fma_f32 v136, v138, v9, -v10
	v_fmac_f32_e32 v146, v141, v11
	v_fma_f32 v137, v140, v11, -v12
	ds_load_b128 v[9:12], v131 offset:512
	s_wait_loadcnt_dscnt 0x201
	v_dual_mul_f32 v139, v7, v16 :: v_dual_mul_f32 v138, v5, v14
	v_mul_f32_e32 v14, v6, v14
	v_mul_f32_e32 v16, v8, v16
	s_delay_alu instid0(VALU_DEP_3)
	v_fmac_f32_e32 v139, v8, v15
	v_fma_f32 v134, v134, v1, -v2
	scratch_load_b128 v[1:4], off, off offset:96
	v_fmac_f32_e32 v138, v6, v13
	v_fma_f32 v13, v5, v13, -v14
	v_fma_f32 v14, v7, v15, -v16
	s_wait_loadcnt_dscnt 0x200
	v_mul_f32_e32 v15, v9, v18
	v_mul_f32_e32 v16, v10, v18
	;; [unrolled: 1-line block ×4, first 2 shown]
	ds_load_b128 v[5:8], v131 offset:528
	v_fmac_f32_e32 v15, v10, v17
	v_fma_f32 v16, v9, v17, -v16
	v_fmac_f32_e32 v18, v12, v19
	v_fma_f32 v17, v11, v19, -v20
	scratch_load_b128 v[9:12], off, off offset:112
	s_wait_loadcnt_dscnt 0x100
	v_mul_f32_e32 v19, v5, v2
	v_mul_f32_e32 v2, v6, v2
	;; [unrolled: 1-line block ×3, first 2 shown]
	s_delay_alu instid0(VALU_DEP_3) | instskip(NEXT) | instid1(VALU_DEP_3)
	v_dual_mul_f32 v4, v8, v4 :: v_dual_fmac_f32 v19, v6, v1
	v_fma_f32 v140, v5, v1, -v2
	s_delay_alu instid0(VALU_DEP_3) | instskip(NEXT) | instid1(VALU_DEP_3)
	v_fmac_f32_e32 v20, v8, v3
	v_fma_f32 v141, v7, v3, -v4
	ds_load_b128 v[1:4], v131 offset:544
	ds_load_b128 v[5:8], v131 offset:560
	s_wait_loadcnt_dscnt 0x1
	v_mul_f32_e32 v147, v1, v10
	v_mul_f32_e32 v10, v2, v10
	s_delay_alu instid0(VALU_DEP_2) | instskip(NEXT) | instid1(VALU_DEP_2)
	v_dual_mul_f32 v148, v3, v12 :: v_dual_fmac_f32 v147, v2, v9
	v_fma_f32 v149, v1, v9, -v10
	v_mul_f32_e32 v1, v4, v12
	s_delay_alu instid0(VALU_DEP_3) | instskip(NEXT) | instid1(VALU_DEP_2)
	v_fmac_f32_e32 v148, v4, v11
	v_fma_f32 v150, v3, v11, -v1
	s_clause 0x1
	scratch_load_b128 v[1:4], off, off offset:128
	scratch_load_b128 v[9:12], off, off offset:144
	s_wait_loadcnt_dscnt 0x100
	v_mul_f32_e32 v151, v5, v2
	v_dual_mul_f32 v2, v6, v2 :: v_dual_mul_f32 v153, v7, v4
	s_delay_alu instid0(VALU_DEP_2) | instskip(NEXT) | instid1(VALU_DEP_2)
	v_fmac_f32_e32 v151, v6, v1
	v_fma_f32 v152, v5, v1, -v2
	v_mul_f32_e32 v1, v8, v4
	s_delay_alu instid0(VALU_DEP_4) | instskip(NEXT) | instid1(VALU_DEP_2)
	v_fmac_f32_e32 v153, v8, v3
	v_fma_f32 v154, v7, v3, -v1
	ds_load_b128 v[1:4], v131 offset:576
	ds_load_b128 v[5:8], v131 offset:592
	s_wait_loadcnt_dscnt 0x1
	v_mul_f32_e32 v155, v1, v10
	v_mul_f32_e32 v157, v3, v12
	s_delay_alu instid0(VALU_DEP_2) | instskip(NEXT) | instid1(VALU_DEP_2)
	v_fmac_f32_e32 v155, v2, v9
	v_dual_mul_f32 v2, v2, v10 :: v_dual_fmac_f32 v157, v4, v11
	s_delay_alu instid0(VALU_DEP_1) | instskip(SKIP_1) | instid1(VALU_DEP_1)
	v_fma_f32 v156, v1, v9, -v2
	v_mul_f32_e32 v1, v4, v12
	v_fma_f32 v158, v3, v11, -v1
	s_clause 0x1
	scratch_load_b128 v[1:4], off, off offset:160
	scratch_load_b128 v[9:12], off, off offset:176
	s_wait_loadcnt_dscnt 0x100
	v_mul_f32_e32 v159, v5, v2
	v_dual_mul_f32 v2, v6, v2 :: v_dual_mul_f32 v161, v7, v4
	s_delay_alu instid0(VALU_DEP_2) | instskip(NEXT) | instid1(VALU_DEP_2)
	v_fmac_f32_e32 v159, v6, v1
	v_fma_f32 v160, v5, v1, -v2
	v_mul_f32_e32 v1, v8, v4
	s_delay_alu instid0(VALU_DEP_4) | instskip(NEXT) | instid1(VALU_DEP_2)
	v_fmac_f32_e32 v161, v8, v3
	v_fma_f32 v162, v7, v3, -v1
	ds_load_b128 v[1:4], v131 offset:608
	ds_load_b128 v[5:8], v131 offset:624
	s_wait_loadcnt_dscnt 0x1
	v_mul_f32_e32 v163, v1, v10
	v_mul_f32_e32 v165, v3, v12
	s_delay_alu instid0(VALU_DEP_2) | instskip(NEXT) | instid1(VALU_DEP_2)
	v_fmac_f32_e32 v163, v2, v9
	v_dual_mul_f32 v2, v2, v10 :: v_dual_fmac_f32 v165, v4, v11
	s_delay_alu instid0(VALU_DEP_1) | instskip(SKIP_1) | instid1(VALU_DEP_1)
	v_fma_f32 v164, v1, v9, -v2
	v_mul_f32_e32 v1, v4, v12
	;; [unrolled: 25-line block ×6, first 2 shown]
	v_fma_f32 v198, v3, v11, -v1
	s_clause 0x1
	scratch_load_b128 v[1:4], off, off offset:320
	scratch_load_b128 v[9:12], off, off offset:336
	s_wait_loadcnt_dscnt 0x100
	v_mul_f32_e32 v199, v5, v2
	v_mul_f32_e32 v2, v6, v2
	s_delay_alu instid0(VALU_DEP_2) | instskip(NEXT) | instid1(VALU_DEP_2)
	v_fmac_f32_e32 v199, v6, v1
	v_fma_f32 v200, v5, v1, -v2
	v_add_f32_e32 v2, 0, v132
	s_delay_alu instid0(VALU_DEP_1) | instskip(NEXT) | instid1(VALU_DEP_1)
	v_add_f32_e32 v2, v2, v144
	v_add_f32_e32 v2, v2, v23
	s_delay_alu instid0(VALU_DEP_1) | instskip(NEXT) | instid1(VALU_DEP_1)
	v_add_f32_e32 v2, v2, v24
	;; [unrolled: 3-line block ×3, first 2 shown]
	v_dual_add_f32 v2, v2, v138 :: v_dual_mul_f32 v1, v8, v4
	s_delay_alu instid0(VALU_DEP_1) | instskip(NEXT) | instid1(VALU_DEP_2)
	v_add_f32_e32 v2, v2, v139
	v_fma_f32 v202, v7, v3, -v1
	s_delay_alu instid0(VALU_DEP_2) | instskip(NEXT) | instid1(VALU_DEP_1)
	v_dual_add_f32 v1, 0, v21 :: v_dual_add_f32 v2, v2, v15
	v_add_f32_e32 v1, v1, v22
	s_delay_alu instid0(VALU_DEP_2) | instskip(NEXT) | instid1(VALU_DEP_1)
	v_add_f32_e32 v2, v2, v18
	v_dual_add_f32 v1, v1, v134 :: v_dual_add_f32 v2, v2, v19
	s_delay_alu instid0(VALU_DEP_1) | instskip(SKIP_2) | instid1(VALU_DEP_1)
	v_dual_add_f32 v2, v2, v20 :: v_dual_add_f32 v1, v1, v135
	scratch_load_b64 v[134:135], off, off offset:416
	v_dual_add_f32 v2, v2, v147 :: v_dual_add_f32 v1, v1, v136
	v_dual_add_f32 v2, v2, v148 :: v_dual_add_f32 v1, v1, v137
	s_delay_alu instid0(VALU_DEP_1) | instskip(NEXT) | instid1(VALU_DEP_1)
	v_dual_add_f32 v2, v2, v151 :: v_dual_add_f32 v1, v1, v13
	v_dual_add_f32 v2, v2, v153 :: v_dual_add_f32 v1, v1, v14
	s_delay_alu instid0(VALU_DEP_1) | instskip(NEXT) | instid1(VALU_DEP_1)
	v_dual_add_f32 v2, v2, v155 :: v_dual_add_f32 v1, v1, v16
	v_add_f32_e32 v2, v2, v157
	s_delay_alu instid0(VALU_DEP_1) | instskip(NEXT) | instid1(VALU_DEP_1)
	v_dual_add_f32 v1, v1, v17 :: v_dual_add_f32 v2, v2, v159
	v_dual_add_f32 v1, v1, v140 :: v_dual_add_f32 v2, v2, v161
	s_delay_alu instid0(VALU_DEP_1) | instskip(NEXT) | instid1(VALU_DEP_1)
	v_dual_add_f32 v1, v1, v141 :: v_dual_add_f32 v2, v2, v163
	v_add_f32_e32 v1, v1, v149
	s_delay_alu instid0(VALU_DEP_1) | instskip(NEXT) | instid1(VALU_DEP_1)
	v_dual_add_f32 v2, v2, v165 :: v_dual_add_f32 v1, v1, v150
	v_add_f32_e32 v1, v1, v152
	s_delay_alu instid0(VALU_DEP_1) | instskip(NEXT) | instid1(VALU_DEP_1)
	v_add_f32_e32 v1, v1, v154
	v_add_f32_e32 v1, v1, v156
	s_delay_alu instid0(VALU_DEP_1) | instskip(NEXT) | instid1(VALU_DEP_1)
	v_add_f32_e32 v1, v1, v158
	;; [unrolled: 3-line block ×6, first 2 shown]
	v_add_f32_e32 v6, v1, v176
	v_dual_add_f32 v2, v2, v167 :: v_dual_mul_f32 v201, v7, v4
	s_delay_alu instid0(VALU_DEP_2) | instskip(NEXT) | instid1(VALU_DEP_2)
	v_add_f32_e32 v14, v6, v178
	v_dual_add_f32 v2, v2, v169 :: v_dual_fmac_f32 v201, v8, v3
	s_delay_alu instid0(VALU_DEP_2) | instskip(NEXT) | instid1(VALU_DEP_2)
	v_add_f32_e32 v14, v14, v180
	v_add_f32_e32 v2, v2, v171
	s_delay_alu instid0(VALU_DEP_2) | instskip(NEXT) | instid1(VALU_DEP_2)
	v_add_f32_e32 v17, v14, v182
	v_add_f32_e32 v5, v2, v173
	scratch_load_b128 v[1:4], off, off offset:352
	v_add_f32_e32 v17, v17, v184
	v_add_f32_e32 v13, v5, v175
	ds_load_b128 v[5:8], v131 offset:768
	v_add_f32_e32 v17, v17, v186
	v_add_f32_e32 v13, v13, v177
	s_delay_alu instid0(VALU_DEP_2) | instskip(NEXT) | instid1(VALU_DEP_2)
	v_add_f32_e32 v17, v17, v188
	v_add_f32_e32 v13, v13, v179
	s_delay_alu instid0(VALU_DEP_2) | instskip(NEXT) | instid1(VALU_DEP_2)
	v_add_f32_e32 v22, v17, v190
	v_add_f32_e32 v18, v13, v181
	ds_load_b128 v[13:16], v131 offset:784
	v_add_f32_e32 v22, v22, v192
	s_wait_loadcnt_dscnt 0x201
	v_mul_f32_e32 v132, v5, v10
	v_mul_f32_e32 v10, v6, v10
	;; [unrolled: 1-line block ×4, first 2 shown]
	v_add_f32_e32 v22, v22, v194
	v_fmac_f32_e32 v132, v6, v9
	v_fma_f32 v139, v5, v9, -v10
	v_fmac_f32_e32 v138, v8, v11
	v_fma_f32 v140, v7, v11, -v12
	scratch_load_b128 v[5:8], off, off offset:368
	v_add_f32_e32 v18, v18, v183
	scratch_load_b128 v[9:12], off, off offset:384
	v_add_f32_e32 v22, v22, v196
	v_add_f32_e32 v18, v18, v185
	s_delay_alu instid0(VALU_DEP_1) | instskip(SKIP_3) | instid1(VALU_DEP_1)
	v_add_f32_e32 v21, v18, v187
	scratch_load_b128 v[17:20], off, off offset:400
	s_wait_loadcnt_dscnt 0x300
	v_dual_add_f32 v21, v21, v189 :: v_dual_mul_f32 v144, v15, v4
	v_add_f32_e32 v21, v21, v191
	v_mul_f32_e32 v141, v13, v2
	v_mul_f32_e32 v2, v14, v2
	;; [unrolled: 1-line block ×3, first 2 shown]
	s_delay_alu instid0(VALU_DEP_4) | instskip(NEXT) | instid1(VALU_DEP_4)
	v_dual_fmac_f32 v144, v16, v3 :: v_dual_add_f32 v21, v21, v193
	v_fmac_f32_e32 v141, v14, v1
	s_delay_alu instid0(VALU_DEP_4)
	v_fma_f32 v145, v13, v1, -v2
	v_add_f32_e32 v14, v22, v198
	v_fma_f32 v146, v15, v3, -v4
	v_add_f32_e32 v13, v21, v195
	ds_load_b128 v[1:4], v131 offset:800
	v_dual_add_f32 v136, v14, v200 :: v_dual_add_f32 v21, v13, v197
	ds_load_b128 v[13:16], v131 offset:816
	v_add_f32_e32 v147, v136, v202
	v_add_f32_e32 v137, v21, v199
	ds_load_b128 v[21:24], v131 offset:832
	v_dual_add_f32 v139, v147, v139 :: v_dual_add_f32 v148, v137, v201
	ds_load_b64 v[136:137], v131 offset:848
	v_add_f32_e32 v139, v139, v140
	s_wait_loadcnt_dscnt 0x203
	v_dual_add_f32 v132, v148, v132 :: v_dual_mul_f32 v147, v1, v6
	v_mul_f32_e32 v6, v2, v6
	s_delay_alu instid0(VALU_DEP_2) | instskip(SKIP_2) | instid1(VALU_DEP_4)
	v_dual_add_f32 v132, v132, v138 :: v_dual_add_f32 v139, v139, v145
	v_mul_f32_e32 v138, v3, v8
	v_mul_f32_e32 v8, v4, v8
	v_fma_f32 v1, v1, v5, -v6
	s_delay_alu instid0(VALU_DEP_4) | instskip(SKIP_3) | instid1(VALU_DEP_3)
	v_dual_add_f32 v132, v132, v141 :: v_dual_add_f32 v139, v139, v146
	s_wait_loadcnt_dscnt 0x102
	v_dual_fmac_f32 v147, v2, v5 :: v_dual_mul_f32 v140, v13, v10
	v_fmac_f32_e32 v138, v4, v7
	v_add_f32_e32 v132, v132, v144
	v_fma_f32 v2, v3, v7, -v8
	v_mul_f32_e32 v3, v14, v10
	v_add_f32_e32 v1, v139, v1
	s_delay_alu instid0(VALU_DEP_4) | instskip(SKIP_1) | instid1(VALU_DEP_4)
	v_dual_mul_f32 v141, v15, v12 :: v_dual_add_f32 v4, v132, v147
	v_dual_mul_f32 v5, v16, v12 :: v_dual_fmac_f32 v140, v14, v9
	v_fma_f32 v3, v13, v9, -v3
	s_delay_alu instid0(VALU_DEP_4) | instskip(NEXT) | instid1(VALU_DEP_4)
	v_add_f32_e32 v1, v1, v2
	v_add_f32_e32 v2, v4, v138
	s_wait_loadcnt_dscnt 0x1
	v_mul_f32_e32 v145, v21, v18
	v_dual_mul_f32 v4, v22, v18 :: v_dual_fmac_f32 v141, v16, v11
	v_fma_f32 v5, v15, v11, -v5
	v_dual_add_f32 v1, v1, v3 :: v_dual_add_f32 v2, v2, v140
	v_mul_f32_e32 v146, v23, v20
	v_mul_f32_e32 v3, v24, v20
	v_fmac_f32_e32 v145, v22, v17
	v_fma_f32 v4, v21, v17, -v4
	v_add_f32_e32 v1, v1, v5
	v_add_f32_e32 v2, v2, v141
	s_wait_dscnt 0x0
	v_mul_f32_e32 v144, v136, v135
	v_mul_f32_e32 v5, v137, v135
	v_fmac_f32_e32 v146, v24, v19
	v_fma_f32 v3, v23, v19, -v3
	v_dual_add_f32 v1, v1, v4 :: v_dual_add_f32 v2, v2, v145
	v_fmac_f32_e32 v144, v137, v134
	v_fma_f32 v4, v136, v134, -v5
	s_delay_alu instid0(VALU_DEP_3) | instskip(NEXT) | instid1(VALU_DEP_1)
	v_dual_add_f32 v1, v1, v3 :: v_dual_add_f32 v2, v2, v146
	v_add_f32_e32 v1, v1, v4
	s_delay_alu instid0(VALU_DEP_2) | instskip(NEXT) | instid1(VALU_DEP_1)
	v_add_f32_e32 v2, v2, v144
	v_dual_sub_f32 v1, v142, v1 :: v_dual_sub_f32 v2, v143, v2
	scratch_store_b64 off, v[1:2], off offset:8
	v_cmpx_ne_u32_e32 0, v0
	s_cbranch_execz .LBB116_331
; %bb.330:
	scratch_load_b64 v[0:1], off, off
	v_mov_b32_e32 v132, v131
	scratch_store_b64 off, v[131:132], off
	s_wait_loadcnt 0x0
	ds_store_b64 v133, v[0:1]
.LBB116_331:
	s_wait_alu 0xfffe
	s_or_b32 exec_lo, exec_lo, s0
	s_wait_storecnt_dscnt 0x0
	s_barrier_signal -1
	s_barrier_wait -1
	global_inv scope:SCOPE_SE
	s_clause 0x6
	scratch_load_b128 v[0:3], off, off offset:8
	scratch_load_b128 v[4:7], off, off offset:24
	;; [unrolled: 1-line block ×7, first 2 shown]
	ds_load_2addr_b64 v[136:139], v131 offset0:55 offset1:56
	ds_load_2addr_b64 v[140:143], v131 offset0:57 offset1:58
	scratch_load_b64 v[144:145], off, off
	s_and_b32 vcc_lo, exec_lo, s12
	s_wait_loadcnt_dscnt 0x701
	v_mul_f32_e32 v24, v136, v1
	v_dual_mul_f32 v146, v138, v3 :: v_dual_mul_f32 v1, v137, v1
	s_delay_alu instid0(VALU_DEP_2) | instskip(NEXT) | instid1(VALU_DEP_2)
	v_dual_mul_f32 v3, v139, v3 :: v_dual_fmac_f32 v24, v137, v0
	v_fmac_f32_e32 v146, v139, v2
	s_delay_alu instid0(VALU_DEP_3) | instskip(NEXT) | instid1(VALU_DEP_3)
	v_fma_f32 v136, v136, v0, -v1
	v_fma_f32 v137, v138, v2, -v3
	ds_load_2addr_b64 v[0:3], v131 offset0:59 offset1:60
	s_wait_loadcnt_dscnt 0x601
	v_dual_mul_f32 v138, v140, v5 :: v_dual_mul_f32 v139, v142, v7
	v_mul_f32_e32 v5, v141, v5
	s_delay_alu instid0(VALU_DEP_2) | instskip(NEXT) | instid1(VALU_DEP_3)
	v_dual_mul_f32 v7, v143, v7 :: v_dual_fmac_f32 v138, v141, v4
	v_fmac_f32_e32 v139, v143, v6
	s_delay_alu instid0(VALU_DEP_3) | instskip(NEXT) | instid1(VALU_DEP_3)
	v_fma_f32 v140, v140, v4, -v5
	v_fma_f32 v141, v142, v6, -v7
	ds_load_2addr_b64 v[4:7], v131 offset0:61 offset1:62
	s_wait_loadcnt_dscnt 0x501
	v_dual_mul_f32 v142, v0, v9 :: v_dual_mul_f32 v143, v2, v11
	v_mul_f32_e32 v9, v1, v9
	s_delay_alu instid0(VALU_DEP_2) | instskip(NEXT) | instid1(VALU_DEP_3)
	v_dual_mul_f32 v11, v3, v11 :: v_dual_fmac_f32 v142, v1, v8
	v_fmac_f32_e32 v143, v3, v10
	s_delay_alu instid0(VALU_DEP_3) | instskip(NEXT) | instid1(VALU_DEP_3)
	v_fma_f32 v147, v0, v8, -v9
	v_fma_f32 v148, v2, v10, -v11
	ds_load_2addr_b64 v[0:3], v131 offset0:63 offset1:64
	s_wait_loadcnt_dscnt 0x401
	v_mul_f32_e32 v149, v4, v13
	v_dual_mul_f32 v8, v5, v13 :: v_dual_mul_f32 v13, v6, v15
	v_mul_f32_e32 v9, v7, v15
	s_delay_alu instid0(VALU_DEP_3) | instskip(NEXT) | instid1(VALU_DEP_3)
	v_fmac_f32_e32 v149, v5, v12
	v_fma_f32 v12, v4, v12, -v8
	s_delay_alu instid0(VALU_DEP_4) | instskip(NEXT) | instid1(VALU_DEP_4)
	v_fmac_f32_e32 v13, v7, v14
	v_fma_f32 v14, v6, v14, -v9
	ds_load_2addr_b64 v[4:7], v131 offset0:65 offset1:66
	s_wait_loadcnt_dscnt 0x301
	v_mul_f32_e32 v15, v0, v17
	v_dual_mul_f32 v8, v1, v17 :: v_dual_mul_f32 v17, v2, v19
	v_mul_f32_e32 v9, v3, v19
	s_delay_alu instid0(VALU_DEP_3) | instskip(NEXT) | instid1(VALU_DEP_3)
	v_fmac_f32_e32 v15, v1, v16
	v_fma_f32 v16, v0, v16, -v8
	s_delay_alu instid0(VALU_DEP_4) | instskip(NEXT) | instid1(VALU_DEP_4)
	v_fmac_f32_e32 v17, v3, v18
	;; [unrolled: 11-line block ×4, first 2 shown]
	v_fma_f32 v134, v2, v134, -v9
	s_clause 0x1
	scratch_load_b128 v[0:3], off, off offset:120
	scratch_load_b128 v[8:11], off, off offset:136
	s_wait_loadcnt_dscnt 0x100
	v_mul_f32_e32 v135, v4, v1
	v_mul_f32_e32 v1, v5, v1
	;; [unrolled: 1-line block ×3, first 2 shown]
	s_delay_alu instid0(VALU_DEP_3) | instskip(NEXT) | instid1(VALU_DEP_3)
	v_fmac_f32_e32 v135, v5, v0
	v_fma_f32 v150, v4, v0, -v1
	v_mul_f32_e32 v0, v7, v3
	s_delay_alu instid0(VALU_DEP_4) | instskip(NEXT) | instid1(VALU_DEP_2)
	v_fmac_f32_e32 v151, v7, v2
	v_fma_f32 v152, v6, v2, -v0
	ds_load_2addr_b64 v[0:3], v131 offset0:71 offset1:72
	ds_load_2addr_b64 v[4:7], v131 offset0:73 offset1:74
	s_wait_loadcnt_dscnt 0x1
	v_mul_f32_e32 v153, v0, v9
	v_mul_f32_e32 v155, v2, v11
	s_delay_alu instid0(VALU_DEP_2) | instskip(SKIP_1) | instid1(VALU_DEP_3)
	v_fmac_f32_e32 v153, v1, v8
	v_mul_f32_e32 v1, v1, v9
	v_fmac_f32_e32 v155, v3, v10
	s_delay_alu instid0(VALU_DEP_2) | instskip(SKIP_1) | instid1(VALU_DEP_1)
	v_fma_f32 v154, v0, v8, -v1
	v_mul_f32_e32 v0, v3, v11
	v_fma_f32 v156, v2, v10, -v0
	s_clause 0x1
	scratch_load_b128 v[0:3], off, off offset:152
	scratch_load_b128 v[8:11], off, off offset:168
	s_wait_loadcnt_dscnt 0x100
	v_mul_f32_e32 v157, v4, v1
	v_mul_f32_e32 v1, v5, v1
	;; [unrolled: 1-line block ×3, first 2 shown]
	s_delay_alu instid0(VALU_DEP_3) | instskip(NEXT) | instid1(VALU_DEP_3)
	v_fmac_f32_e32 v157, v5, v0
	v_fma_f32 v158, v4, v0, -v1
	v_mul_f32_e32 v0, v7, v3
	s_delay_alu instid0(VALU_DEP_1)
	v_fma_f32 v160, v6, v2, -v0
	v_fmac_f32_e32 v159, v7, v2
	ds_load_2addr_b64 v[0:3], v131 offset0:75 offset1:76
	ds_load_2addr_b64 v[4:7], v131 offset0:77 offset1:78
	s_wait_loadcnt_dscnt 0x1
	v_mul_f32_e32 v161, v0, v9
	s_delay_alu instid0(VALU_DEP_1) | instskip(SKIP_1) | instid1(VALU_DEP_1)
	v_fmac_f32_e32 v161, v1, v8
	v_mul_f32_e32 v1, v1, v9
	v_fma_f32 v162, v0, v8, -v1
	v_mul_f32_e32 v0, v3, v11
	s_delay_alu instid0(VALU_DEP_1) | instskip(SKIP_1) | instid1(VALU_DEP_1)
	v_fma_f32 v164, v2, v10, -v0
	v_mul_f32_e32 v163, v2, v11
	v_fmac_f32_e32 v163, v3, v10
	s_clause 0x1
	scratch_load_b128 v[0:3], off, off offset:184
	scratch_load_b128 v[8:11], off, off offset:200
	s_wait_loadcnt_dscnt 0x100
	v_mul_f32_e32 v165, v4, v1
	v_mul_f32_e32 v1, v5, v1
	;; [unrolled: 1-line block ×3, first 2 shown]
	s_delay_alu instid0(VALU_DEP_2) | instskip(NEXT) | instid1(VALU_DEP_4)
	v_fma_f32 v166, v4, v0, -v1
	v_dual_fmac_f32 v165, v5, v0 :: v_dual_mul_f32 v0, v7, v3
	s_delay_alu instid0(VALU_DEP_3) | instskip(NEXT) | instid1(VALU_DEP_2)
	v_fmac_f32_e32 v167, v7, v2
	v_fma_f32 v168, v6, v2, -v0
	ds_load_2addr_b64 v[0:3], v131 offset0:79 offset1:80
	ds_load_2addr_b64 v[4:7], v131 offset0:81 offset1:82
	s_wait_loadcnt_dscnt 0x1
	v_mul_f32_e32 v169, v0, v9
	v_mul_f32_e32 v171, v2, v11
	s_delay_alu instid0(VALU_DEP_2) | instskip(SKIP_1) | instid1(VALU_DEP_3)
	v_fmac_f32_e32 v169, v1, v8
	v_mul_f32_e32 v1, v1, v9
	v_fmac_f32_e32 v171, v3, v10
	s_delay_alu instid0(VALU_DEP_2) | instskip(SKIP_1) | instid1(VALU_DEP_1)
	v_fma_f32 v170, v0, v8, -v1
	v_mul_f32_e32 v0, v3, v11
	v_fma_f32 v172, v2, v10, -v0
	s_clause 0x1
	scratch_load_b128 v[0:3], off, off offset:216
	scratch_load_b128 v[8:11], off, off offset:232
	s_wait_loadcnt_dscnt 0x100
	v_mul_f32_e32 v173, v4, v1
	v_mul_f32_e32 v1, v5, v1
	v_mul_f32_e32 v175, v6, v3
	s_delay_alu instid0(VALU_DEP_3) | instskip(NEXT) | instid1(VALU_DEP_3)
	v_fmac_f32_e32 v173, v5, v0
	v_fma_f32 v174, v4, v0, -v1
	v_mul_f32_e32 v0, v7, v3
	s_delay_alu instid0(VALU_DEP_4) | instskip(NEXT) | instid1(VALU_DEP_2)
	v_fmac_f32_e32 v175, v7, v2
	v_fma_f32 v176, v6, v2, -v0
	ds_load_2addr_b64 v[0:3], v131 offset0:83 offset1:84
	ds_load_2addr_b64 v[4:7], v131 offset0:85 offset1:86
	s_wait_loadcnt_dscnt 0x1
	v_mul_f32_e32 v177, v0, v9
	v_mul_f32_e32 v179, v2, v11
	s_delay_alu instid0(VALU_DEP_2) | instskip(SKIP_1) | instid1(VALU_DEP_3)
	v_fmac_f32_e32 v177, v1, v8
	v_mul_f32_e32 v1, v1, v9
	v_fmac_f32_e32 v179, v3, v10
	s_delay_alu instid0(VALU_DEP_2) | instskip(SKIP_1) | instid1(VALU_DEP_1)
	v_fma_f32 v178, v0, v8, -v1
	v_mul_f32_e32 v0, v3, v11
	v_fma_f32 v180, v2, v10, -v0
	s_clause 0x1
	scratch_load_b128 v[0:3], off, off offset:248
	scratch_load_b128 v[8:11], off, off offset:264
	s_wait_loadcnt_dscnt 0x100
	v_mul_f32_e32 v181, v4, v1
	v_mul_f32_e32 v1, v5, v1
	v_mul_f32_e32 v183, v6, v3
	s_delay_alu instid0(VALU_DEP_3) | instskip(NEXT) | instid1(VALU_DEP_3)
	v_fmac_f32_e32 v181, v5, v0
	v_fma_f32 v182, v4, v0, -v1
	v_mul_f32_e32 v0, v7, v3
	s_delay_alu instid0(VALU_DEP_4) | instskip(NEXT) | instid1(VALU_DEP_2)
	;; [unrolled: 27-line block ×3, first 2 shown]
	v_fmac_f32_e32 v191, v7, v2
	v_fma_f32 v192, v6, v2, -v0
	ds_load_2addr_b64 v[0:3], v131 offset0:91 offset1:92
	ds_load_2addr_b64 v[4:7], v131 offset0:93 offset1:94
	s_wait_loadcnt_dscnt 0x1
	v_mul_f32_e32 v193, v0, v9
	v_mul_f32_e32 v195, v2, v11
	s_delay_alu instid0(VALU_DEP_2) | instskip(SKIP_1) | instid1(VALU_DEP_3)
	v_fmac_f32_e32 v193, v1, v8
	v_mul_f32_e32 v1, v1, v9
	v_fmac_f32_e32 v195, v3, v10
	s_delay_alu instid0(VALU_DEP_2) | instskip(SKIP_1) | instid1(VALU_DEP_1)
	v_fma_f32 v194, v0, v8, -v1
	v_mul_f32_e32 v0, v3, v11
	v_fma_f32 v196, v2, v10, -v0
	s_clause 0x1
	scratch_load_b128 v[0:3], off, off offset:312
	scratch_load_b128 v[8:11], off, off offset:328
	s_wait_loadcnt_dscnt 0x100
	v_mul_f32_e32 v197, v4, v1
	v_mul_f32_e32 v1, v5, v1
	v_mul_f32_e32 v199, v6, v3
	s_delay_alu instid0(VALU_DEP_3) | instskip(NEXT) | instid1(VALU_DEP_3)
	v_fmac_f32_e32 v197, v5, v0
	v_fma_f32 v198, v4, v0, -v1
	v_dual_mul_f32 v0, v7, v3 :: v_dual_add_f32 v1, 0, v24
	s_delay_alu instid0(VALU_DEP_4) | instskip(NEXT) | instid1(VALU_DEP_2)
	v_fmac_f32_e32 v199, v7, v2
	v_fma_f32 v200, v6, v2, -v0
	s_delay_alu instid0(VALU_DEP_3) | instskip(NEXT) | instid1(VALU_DEP_1)
	v_dual_add_f32 v0, 0, v136 :: v_dual_add_f32 v1, v1, v146
	v_dual_add_f32 v0, v0, v137 :: v_dual_add_f32 v1, v1, v138
	s_delay_alu instid0(VALU_DEP_1) | instskip(NEXT) | instid1(VALU_DEP_1)
	v_dual_add_f32 v0, v0, v140 :: v_dual_add_f32 v1, v1, v139
	v_dual_add_f32 v0, v0, v141 :: v_dual_add_f32 v1, v1, v142
	s_delay_alu instid0(VALU_DEP_1) | instskip(NEXT) | instid1(VALU_DEP_1)
	v_add_f32_e32 v0, v0, v147
	v_dual_add_f32 v1, v1, v143 :: v_dual_add_f32 v0, v0, v148
	s_delay_alu instid0(VALU_DEP_1) | instskip(NEXT) | instid1(VALU_DEP_1)
	v_dual_add_f32 v1, v1, v149 :: v_dual_add_f32 v0, v0, v12
	v_dual_add_f32 v1, v1, v13 :: v_dual_add_f32 v0, v0, v14
	s_delay_alu instid0(VALU_DEP_1) | instskip(NEXT) | instid1(VALU_DEP_1)
	v_dual_add_f32 v1, v1, v15 :: v_dual_add_f32 v0, v0, v16
	;; [unrolled: 3-line block ×8, first 2 shown]
	v_add_f32_e32 v0, v0, v164
	s_delay_alu instid0(VALU_DEP_1) | instskip(NEXT) | instid1(VALU_DEP_1)
	v_add_f32_e32 v0, v0, v166
	v_dual_add_f32 v0, v0, v168 :: v_dual_add_f32 v1, v1, v163
	s_delay_alu instid0(VALU_DEP_1) | instskip(NEXT) | instid1(VALU_DEP_1)
	v_dual_add_f32 v0, v0, v170 :: v_dual_add_f32 v1, v1, v165
	v_add_f32_e32 v4, v0, v172
	s_delay_alu instid0(VALU_DEP_1) | instskip(NEXT) | instid1(VALU_DEP_1)
	v_add_f32_e32 v12, v4, v174
	v_dual_add_f32 v12, v12, v176 :: v_dual_add_f32 v1, v1, v167
	s_delay_alu instid0(VALU_DEP_1) | instskip(NEXT) | instid1(VALU_DEP_1)
	v_dual_add_f32 v12, v12, v178 :: v_dual_add_f32 v1, v1, v169
	v_add_f32_e32 v17, v12, v180
	s_delay_alu instid0(VALU_DEP_2)
	v_add_f32_e32 v5, v1, v171
	ds_load_2addr_b64 v[0:3], v131 offset0:95 offset1:96
	v_add_f32_e32 v17, v17, v182
	v_add_f32_e32 v13, v5, v173
	scratch_load_b128 v[4:7], off, off offset:344
	v_add_f32_e32 v17, v17, v184
	v_add_f32_e32 v13, v13, v175
	s_delay_alu instid0(VALU_DEP_2) | instskip(NEXT) | instid1(VALU_DEP_1)
	v_add_f32_e32 v17, v17, v186
	v_add_f32_e32 v20, v17, v188
	s_delay_alu instid0(VALU_DEP_1) | instskip(NEXT) | instid1(VALU_DEP_4)
	v_add_f32_e32 v132, v20, v190
	v_add_f32_e32 v16, v13, v177
	ds_load_2addr_b64 v[12:15], v131 offset0:97 offset1:98
	s_wait_loadcnt_dscnt 0x101
	v_mul_f32_e32 v24, v0, v9
	v_dual_mul_f32 v9, v1, v9 :: v_dual_mul_f32 v140, v2, v11
	v_dual_mul_f32 v11, v3, v11 :: v_dual_add_f32 v132, v132, v192
	s_delay_alu instid0(VALU_DEP_3) | instskip(NEXT) | instid1(VALU_DEP_3)
	v_fmac_f32_e32 v24, v1, v8
	v_fma_f32 v136, v0, v8, -v9
	s_delay_alu instid0(VALU_DEP_4) | instskip(NEXT) | instid1(VALU_DEP_4)
	v_fmac_f32_e32 v140, v3, v10
	v_fma_f32 v141, v2, v10, -v11
	scratch_load_b128 v[0:3], off, off offset:360
	v_add_f32_e32 v132, v132, v194
	scratch_load_b128 v[8:11], off, off offset:376
	s_wait_loadcnt_dscnt 0x200
	v_mul_f32_e32 v142, v12, v5
	v_mul_f32_e32 v5, v13, v5
	;; [unrolled: 1-line block ×3, first 2 shown]
	s_delay_alu instid0(VALU_DEP_3) | instskip(NEXT) | instid1(VALU_DEP_3)
	v_dual_mul_f32 v7, v15, v7 :: v_dual_fmac_f32 v142, v13, v4
	v_fma_f32 v146, v12, v4, -v5
	v_add_f32_e32 v12, v132, v196
	s_delay_alu instid0(VALU_DEP_4) | instskip(NEXT) | instid1(VALU_DEP_4)
	v_dual_add_f32 v16, v16, v179 :: v_dual_fmac_f32 v143, v15, v6
	v_fma_f32 v147, v14, v6, -v7
	ds_load_2addr_b64 v[4:7], v131 offset0:99 offset1:100
	v_add_f32_e32 v16, v16, v181
	s_delay_alu instid0(VALU_DEP_1) | instskip(NEXT) | instid1(VALU_DEP_1)
	v_add_f32_e32 v16, v16, v183
	v_add_f32_e32 v16, v16, v185
	s_delay_alu instid0(VALU_DEP_1) | instskip(SKIP_4) | instid1(VALU_DEP_1)
	v_add_f32_e32 v21, v16, v187
	scratch_load_b128 v[16:19], off, off offset:392
	v_add_f32_e32 v133, v21, v189
	scratch_load_b128 v[20:23], off, off offset:408
	v_add_f32_e32 v133, v133, v191
	v_add_f32_e32 v133, v133, v193
	s_delay_alu instid0(VALU_DEP_1) | instskip(SKIP_2) | instid1(VALU_DEP_1)
	v_dual_add_f32 v132, v133, v195 :: v_dual_add_f32 v133, v12, v198
	ds_load_2addr_b64 v[12:15], v131 offset0:101 offset1:102
	v_dual_add_f32 v132, v132, v197 :: v_dual_add_f32 v137, v133, v200
	v_dual_add_f32 v148, v132, v199 :: v_dual_add_f32 v149, v137, v136
	ds_load_2addr_b64 v[132:135], v131 offset0:103 offset1:104
	ds_load_2addr_b64 v[136:139], v131 offset0:105 offset1:106
	s_wait_loadcnt_dscnt 0x303
	v_mul_f32_e32 v131, v4, v1
	v_dual_add_f32 v24, v148, v24 :: v_dual_add_f32 v141, v149, v141
	v_dual_mul_f32 v1, v5, v1 :: v_dual_mul_f32 v148, v6, v3
	s_delay_alu instid0(VALU_DEP_2) | instskip(NEXT) | instid1(VALU_DEP_3)
	v_dual_mul_f32 v3, v7, v3 :: v_dual_add_f32 v24, v24, v140
	v_add_f32_e32 v140, v141, v146
	v_fmac_f32_e32 v131, v5, v0
	s_delay_alu instid0(VALU_DEP_4)
	v_fma_f32 v0, v4, v0, -v1
	s_wait_loadcnt_dscnt 0x202
	v_mul_f32_e32 v141, v12, v9
	v_add_f32_e32 v24, v24, v142
	v_add_f32_e32 v4, v140, v147
	v_fmac_f32_e32 v148, v7, v2
	v_fma_f32 v1, v6, v2, -v3
	v_mul_f32_e32 v7, v13, v9
	v_add_f32_e32 v5, v24, v143
	v_add_f32_e32 v0, v4, v0
	v_dual_mul_f32 v142, v14, v11 :: v_dual_fmac_f32 v141, v13, v8
	s_delay_alu instid0(VALU_DEP_4) | instskip(NEXT) | instid1(VALU_DEP_4)
	v_fma_f32 v7, v12, v8, -v7
	v_add_f32_e32 v4, v5, v131
	s_delay_alu instid0(VALU_DEP_4) | instskip(NEXT) | instid1(VALU_DEP_2)
	v_dual_mul_f32 v5, v15, v11 :: v_dual_add_f32 v0, v0, v1
	v_dual_fmac_f32 v142, v15, v10 :: v_dual_add_f32 v1, v4, v148
	s_delay_alu instid0(VALU_DEP_2) | instskip(NEXT) | instid1(VALU_DEP_2)
	v_fma_f32 v5, v14, v10, -v5
	v_dual_add_f32 v0, v0, v7 :: v_dual_add_f32 v1, v1, v141
	s_delay_alu instid0(VALU_DEP_1) | instskip(SKIP_3) | instid1(VALU_DEP_2)
	v_dual_add_f32 v0, v0, v5 :: v_dual_add_f32 v1, v1, v142
	s_wait_loadcnt_dscnt 0x101
	v_mul_f32_e32 v2, v132, v17
	v_dual_mul_f32 v4, v133, v17 :: v_dual_mul_f32 v3, v134, v19
	v_dual_mul_f32 v7, v135, v19 :: v_dual_fmac_f32 v2, v133, v16
	s_delay_alu instid0(VALU_DEP_2)
	v_fma_f32 v4, v132, v16, -v4
	s_wait_loadcnt_dscnt 0x0
	v_mul_f32_e32 v6, v136, v21
	v_mul_f32_e32 v5, v137, v21
	v_fmac_f32_e32 v3, v135, v18
	v_fma_f32 v7, v134, v18, -v7
	v_dual_add_f32 v0, v0, v4 :: v_dual_add_f32 v1, v1, v2
	v_mul_f32_e32 v9, v138, v23
	v_mul_f32_e32 v2, v139, v23
	v_fmac_f32_e32 v6, v137, v20
	v_fma_f32 v4, v136, v20, -v5
	v_add_f32_e32 v0, v0, v7
	v_add_f32_e32 v1, v1, v3
	v_fmac_f32_e32 v9, v139, v22
	v_fma_f32 v2, v138, v22, -v2
	s_delay_alu instid0(VALU_DEP_3) | instskip(NEXT) | instid1(VALU_DEP_1)
	v_dual_add_f32 v0, v0, v4 :: v_dual_add_f32 v1, v1, v6
	v_dual_add_f32 v0, v0, v2 :: v_dual_add_f32 v1, v1, v9
	s_delay_alu instid0(VALU_DEP_1)
	v_dual_sub_f32 v0, v144, v0 :: v_dual_sub_f32 v1, v145, v1
	scratch_store_b64 off, v[0:1], off
	s_wait_alu 0xfffe
	s_cbranch_vccz .LBB116_436
; %bb.332:
	v_mov_b32_e32 v0, 0
	global_load_b32 v1, v0, s[2:3] offset:204
	s_wait_loadcnt 0x0
	v_cmp_ne_u32_e32 vcc_lo, 52, v1
	s_cbranch_vccz .LBB116_334
; %bb.333:
	v_lshlrev_b32_e32 v1, 3, v1
	s_delay_alu instid0(VALU_DEP_1)
	v_mov_b32_e32 v5, v1
	scratch_load_b64 v[1:2], v5, off offset:-8
	scratch_load_b64 v[3:4], off, off offset:408
	s_wait_loadcnt 0x1
	scratch_store_b64 off, v[1:2], off offset:408
	s_wait_loadcnt 0x0
	scratch_store_b64 v5, v[3:4], off offset:-8
.LBB116_334:
	global_load_b32 v0, v0, s[2:3] offset:200
	s_wait_loadcnt 0x0
	v_cmp_eq_u32_e32 vcc_lo, 51, v0
	s_cbranch_vccnz .LBB116_336
; %bb.335:
	v_lshlrev_b32_e32 v0, 3, v0
	s_delay_alu instid0(VALU_DEP_1)
	v_mov_b32_e32 v4, v0
	scratch_load_b64 v[0:1], v4, off offset:-8
	scratch_load_b64 v[2:3], off, off offset:400
	s_wait_loadcnt 0x1
	scratch_store_b64 off, v[0:1], off offset:400
	s_wait_loadcnt 0x0
	scratch_store_b64 v4, v[2:3], off offset:-8
.LBB116_336:
	v_mov_b32_e32 v0, 0
	global_load_b32 v1, v0, s[2:3] offset:196
	s_wait_loadcnt 0x0
	v_cmp_eq_u32_e32 vcc_lo, 50, v1
	s_cbranch_vccnz .LBB116_338
; %bb.337:
	v_lshlrev_b32_e32 v1, 3, v1
	s_delay_alu instid0(VALU_DEP_1)
	v_mov_b32_e32 v5, v1
	scratch_load_b64 v[1:2], v5, off offset:-8
	scratch_load_b64 v[3:4], off, off offset:392
	s_wait_loadcnt 0x1
	scratch_store_b64 off, v[1:2], off offset:392
	s_wait_loadcnt 0x0
	scratch_store_b64 v5, v[3:4], off offset:-8
.LBB116_338:
	global_load_b32 v0, v0, s[2:3] offset:192
	s_wait_loadcnt 0x0
	v_cmp_eq_u32_e32 vcc_lo, 49, v0
	s_cbranch_vccnz .LBB116_340
; %bb.339:
	v_lshlrev_b32_e32 v0, 3, v0
	s_delay_alu instid0(VALU_DEP_1)
	v_mov_b32_e32 v4, v0
	scratch_load_b64 v[0:1], v4, off offset:-8
	scratch_load_b64 v[2:3], off, off offset:384
	s_wait_loadcnt 0x1
	scratch_store_b64 off, v[0:1], off offset:384
	s_wait_loadcnt 0x0
	scratch_store_b64 v4, v[2:3], off offset:-8
.LBB116_340:
	v_mov_b32_e32 v0, 0
	global_load_b32 v1, v0, s[2:3] offset:188
	s_wait_loadcnt 0x0
	v_cmp_eq_u32_e32 vcc_lo, 48, v1
	s_cbranch_vccnz .LBB116_342
; %bb.341:
	v_lshlrev_b32_e32 v1, 3, v1
	s_delay_alu instid0(VALU_DEP_1)
	v_mov_b32_e32 v5, v1
	scratch_load_b64 v[1:2], v5, off offset:-8
	scratch_load_b64 v[3:4], off, off offset:376
	s_wait_loadcnt 0x1
	scratch_store_b64 off, v[1:2], off offset:376
	s_wait_loadcnt 0x0
	scratch_store_b64 v5, v[3:4], off offset:-8
.LBB116_342:
	;; [unrolled: 31-line block ×25, first 2 shown]
	global_load_b32 v0, v0, s[2:3]
	s_wait_loadcnt 0x0
	v_cmp_eq_u32_e32 vcc_lo, 1, v0
	s_cbranch_vccnz .LBB116_436
; %bb.435:
	v_lshlrev_b32_e32 v0, 3, v0
	s_delay_alu instid0(VALU_DEP_1)
	v_mov_b32_e32 v4, v0
	scratch_load_b64 v[0:1], v4, off offset:-8
	scratch_load_b64 v[2:3], off, off
	s_wait_loadcnt 0x1
	scratch_store_b64 off, v[0:1], off
	s_wait_loadcnt 0x0
	scratch_store_b64 v4, v[2:3], off offset:-8
.LBB116_436:
	scratch_load_b64 v[0:1], off, off
	s_wait_loadcnt 0x0
	flat_store_b64 v[25:26], v[0:1]
	scratch_load_b64 v[0:1], off, off offset:8
	s_wait_loadcnt 0x0
	flat_store_b64 v[27:28], v[0:1]
	scratch_load_b64 v[0:1], off, off offset:16
	;; [unrolled: 3-line block ×52, first 2 shown]
	s_wait_loadcnt 0x0
	flat_store_b64 v[129:130], v[0:1]
	s_nop 0
	s_sendmsg sendmsg(MSG_DEALLOC_VGPRS)
	s_endpgm
	.section	.rodata,"a",@progbits
	.p2align	6, 0x0
	.amdhsa_kernel _ZN9rocsolver6v33100L18getri_kernel_smallILi53E19rocblas_complex_numIfEPKPS3_EEvT1_iilPiilS8_bb
		.amdhsa_group_segment_fixed_size 856
		.amdhsa_private_segment_fixed_size 432
		.amdhsa_kernarg_size 60
		.amdhsa_user_sgpr_count 2
		.amdhsa_user_sgpr_dispatch_ptr 0
		.amdhsa_user_sgpr_queue_ptr 0
		.amdhsa_user_sgpr_kernarg_segment_ptr 1
		.amdhsa_user_sgpr_dispatch_id 0
		.amdhsa_user_sgpr_private_segment_size 0
		.amdhsa_wavefront_size32 1
		.amdhsa_uses_dynamic_stack 0
		.amdhsa_enable_private_segment 1
		.amdhsa_system_sgpr_workgroup_id_x 1
		.amdhsa_system_sgpr_workgroup_id_y 0
		.amdhsa_system_sgpr_workgroup_id_z 0
		.amdhsa_system_sgpr_workgroup_info 0
		.amdhsa_system_vgpr_workitem_id 0
		.amdhsa_next_free_vgpr 250
		.amdhsa_next_free_sgpr 19
		.amdhsa_reserve_vcc 1
		.amdhsa_float_round_mode_32 0
		.amdhsa_float_round_mode_16_64 0
		.amdhsa_float_denorm_mode_32 3
		.amdhsa_float_denorm_mode_16_64 3
		.amdhsa_fp16_overflow 0
		.amdhsa_workgroup_processor_mode 1
		.amdhsa_memory_ordered 1
		.amdhsa_forward_progress 1
		.amdhsa_inst_pref_size 255
		.amdhsa_round_robin_scheduling 0
		.amdhsa_exception_fp_ieee_invalid_op 0
		.amdhsa_exception_fp_denorm_src 0
		.amdhsa_exception_fp_ieee_div_zero 0
		.amdhsa_exception_fp_ieee_overflow 0
		.amdhsa_exception_fp_ieee_underflow 0
		.amdhsa_exception_fp_ieee_inexact 0
		.amdhsa_exception_int_div_zero 0
	.end_amdhsa_kernel
	.section	.text._ZN9rocsolver6v33100L18getri_kernel_smallILi53E19rocblas_complex_numIfEPKPS3_EEvT1_iilPiilS8_bb,"axG",@progbits,_ZN9rocsolver6v33100L18getri_kernel_smallILi53E19rocblas_complex_numIfEPKPS3_EEvT1_iilPiilS8_bb,comdat
.Lfunc_end116:
	.size	_ZN9rocsolver6v33100L18getri_kernel_smallILi53E19rocblas_complex_numIfEPKPS3_EEvT1_iilPiilS8_bb, .Lfunc_end116-_ZN9rocsolver6v33100L18getri_kernel_smallILi53E19rocblas_complex_numIfEPKPS3_EEvT1_iilPiilS8_bb
                                        ; -- End function
	.set _ZN9rocsolver6v33100L18getri_kernel_smallILi53E19rocblas_complex_numIfEPKPS3_EEvT1_iilPiilS8_bb.num_vgpr, 250
	.set _ZN9rocsolver6v33100L18getri_kernel_smallILi53E19rocblas_complex_numIfEPKPS3_EEvT1_iilPiilS8_bb.num_agpr, 0
	.set _ZN9rocsolver6v33100L18getri_kernel_smallILi53E19rocblas_complex_numIfEPKPS3_EEvT1_iilPiilS8_bb.numbered_sgpr, 19
	.set _ZN9rocsolver6v33100L18getri_kernel_smallILi53E19rocblas_complex_numIfEPKPS3_EEvT1_iilPiilS8_bb.num_named_barrier, 0
	.set _ZN9rocsolver6v33100L18getri_kernel_smallILi53E19rocblas_complex_numIfEPKPS3_EEvT1_iilPiilS8_bb.private_seg_size, 432
	.set _ZN9rocsolver6v33100L18getri_kernel_smallILi53E19rocblas_complex_numIfEPKPS3_EEvT1_iilPiilS8_bb.uses_vcc, 1
	.set _ZN9rocsolver6v33100L18getri_kernel_smallILi53E19rocblas_complex_numIfEPKPS3_EEvT1_iilPiilS8_bb.uses_flat_scratch, 1
	.set _ZN9rocsolver6v33100L18getri_kernel_smallILi53E19rocblas_complex_numIfEPKPS3_EEvT1_iilPiilS8_bb.has_dyn_sized_stack, 0
	.set _ZN9rocsolver6v33100L18getri_kernel_smallILi53E19rocblas_complex_numIfEPKPS3_EEvT1_iilPiilS8_bb.has_recursion, 0
	.set _ZN9rocsolver6v33100L18getri_kernel_smallILi53E19rocblas_complex_numIfEPKPS3_EEvT1_iilPiilS8_bb.has_indirect_call, 0
	.section	.AMDGPU.csdata,"",@progbits
; Kernel info:
; codeLenInByte = 95200
; TotalNumSgprs: 21
; NumVgprs: 250
; ScratchSize: 432
; MemoryBound: 0
; FloatMode: 240
; IeeeMode: 1
; LDSByteSize: 856 bytes/workgroup (compile time only)
; SGPRBlocks: 0
; VGPRBlocks: 31
; NumSGPRsForWavesPerEU: 21
; NumVGPRsForWavesPerEU: 250
; Occupancy: 5
; WaveLimiterHint : 1
; COMPUTE_PGM_RSRC2:SCRATCH_EN: 1
; COMPUTE_PGM_RSRC2:USER_SGPR: 2
; COMPUTE_PGM_RSRC2:TRAP_HANDLER: 0
; COMPUTE_PGM_RSRC2:TGID_X_EN: 1
; COMPUTE_PGM_RSRC2:TGID_Y_EN: 0
; COMPUTE_PGM_RSRC2:TGID_Z_EN: 0
; COMPUTE_PGM_RSRC2:TIDIG_COMP_CNT: 0
	.section	.text._ZN9rocsolver6v33100L18getri_kernel_smallILi54E19rocblas_complex_numIfEPKPS3_EEvT1_iilPiilS8_bb,"axG",@progbits,_ZN9rocsolver6v33100L18getri_kernel_smallILi54E19rocblas_complex_numIfEPKPS3_EEvT1_iilPiilS8_bb,comdat
	.globl	_ZN9rocsolver6v33100L18getri_kernel_smallILi54E19rocblas_complex_numIfEPKPS3_EEvT1_iilPiilS8_bb ; -- Begin function _ZN9rocsolver6v33100L18getri_kernel_smallILi54E19rocblas_complex_numIfEPKPS3_EEvT1_iilPiilS8_bb
	.p2align	8
	.type	_ZN9rocsolver6v33100L18getri_kernel_smallILi54E19rocblas_complex_numIfEPKPS3_EEvT1_iilPiilS8_bb,@function
_ZN9rocsolver6v33100L18getri_kernel_smallILi54E19rocblas_complex_numIfEPKPS3_EEvT1_iilPiilS8_bb: ; @_ZN9rocsolver6v33100L18getri_kernel_smallILi54E19rocblas_complex_numIfEPKPS3_EEvT1_iilPiilS8_bb
; %bb.0:
	s_mov_b32 s2, exec_lo
	v_cmpx_gt_u32_e32 54, v0
	s_cbranch_execz .LBB117_230
; %bb.1:
	s_clause 0x1
	s_load_b32 s13, s[0:1], 0x38
	s_load_b64 s[2:3], s[0:1], 0x0
	s_mov_b32 s8, ttmp9
	s_load_b128 s[4:7], s[0:1], 0x28
	s_wait_kmcnt 0x0
	s_bitcmp1_b32 s13, 8
	s_cselect_b32 s12, -1, 0
	s_ashr_i32 s9, ttmp9, 31
	s_delay_alu instid0(SALU_CYCLE_1) | instskip(NEXT) | instid1(SALU_CYCLE_1)
	s_lshl_b64 s[10:11], s[8:9], 3
	s_add_nc_u64 s[2:3], s[2:3], s[10:11]
	s_load_b64 s[10:11], s[2:3], 0x0
	s_bfe_u32 s2, s13, 0x10008
	s_delay_alu instid0(SALU_CYCLE_1)
	s_cmp_eq_u32 s2, 0
                                        ; implicit-def: $sgpr2_sgpr3
	s_cbranch_scc1 .LBB117_3
; %bb.2:
	s_load_b96 s[16:18], s[0:1], 0x18
	s_mul_u64 s[2:3], s[4:5], s[8:9]
	s_delay_alu instid0(SALU_CYCLE_1)
	s_lshl_b64 s[2:3], s[2:3], 2
	s_wait_kmcnt 0x0
	s_ashr_i32 s5, s18, 31
	s_mov_b32 s4, s18
	s_add_nc_u64 s[2:3], s[16:17], s[2:3]
	s_lshl_b64 s[4:5], s[4:5], 2
	s_delay_alu instid0(SALU_CYCLE_1)
	s_add_nc_u64 s[2:3], s[2:3], s[4:5]
.LBB117_3:
	s_clause 0x1
	s_load_b64 s[4:5], s[0:1], 0x8
	s_load_b32 s13, s[0:1], 0x38
	v_lshlrev_b32_e32 v7, 3, v0
	s_wait_kmcnt 0x0
	s_ashr_i32 s1, s4, 31
	s_mov_b32 s0, s4
	v_add3_u32 v3, s5, s5, v0
	s_lshl_b64 s[0:1], s[0:1], 3
	s_delay_alu instid0(SALU_CYCLE_1)
	s_add_nc_u64 s[0:1], s[10:11], s[0:1]
	s_ashr_i32 s11, s5, 31
	v_add_co_u32 v32, s4, s0, v7
	s_wait_alu 0xf1ff
	v_add_co_ci_u32_e64 v33, null, s1, 0, s4
	s_mov_b32 s10, s5
	v_ashrrev_i32_e32 v4, 31, v3
	s_lshl_b64 s[10:11], s[10:11], 3
	flat_load_b64 v[1:2], v[32:33]
	v_add_co_u32 v34, vcc_lo, v32, s10
	s_delay_alu instid0(VALU_DEP_1) | instskip(SKIP_3) | instid1(VALU_DEP_2)
	v_add_co_ci_u32_e64 v35, null, s11, v33, vcc_lo
	v_lshlrev_b64_e32 v[4:5], 3, v[3:4]
	v_add_nc_u32_e32 v3, s5, v3
	s_bitcmp0_b32 s13, 0
	v_add_co_u32 v36, vcc_lo, s0, v4
	s_wait_alu 0xfffd
	s_delay_alu instid0(VALU_DEP_3) | instskip(SKIP_1) | instid1(VALU_DEP_1)
	v_add_co_ci_u32_e64 v37, null, s1, v5, vcc_lo
	v_ashrrev_i32_e32 v4, 31, v3
	v_lshlrev_b64_e32 v[4:5], 3, v[3:4]
	v_add_nc_u32_e32 v3, s5, v3
	s_delay_alu instid0(VALU_DEP_2) | instskip(SKIP_1) | instid1(VALU_DEP_3)
	v_add_co_u32 v38, vcc_lo, s0, v4
	s_wait_alu 0xfffd
	v_add_co_ci_u32_e64 v39, null, s1, v5, vcc_lo
	s_delay_alu instid0(VALU_DEP_3) | instskip(NEXT) | instid1(VALU_DEP_1)
	v_ashrrev_i32_e32 v4, 31, v3
	v_lshlrev_b64_e32 v[4:5], 3, v[3:4]
	v_add_nc_u32_e32 v3, s5, v3
	s_delay_alu instid0(VALU_DEP_2) | instskip(SKIP_1) | instid1(VALU_DEP_3)
	v_add_co_u32 v40, vcc_lo, s0, v4
	s_wait_alu 0xfffd
	v_add_co_ci_u32_e64 v41, null, s1, v5, vcc_lo
	s_delay_alu instid0(VALU_DEP_3) | instskip(NEXT) | instid1(VALU_DEP_1)
	;; [unrolled: 8-line block ×20, first 2 shown]
	v_ashrrev_i32_e32 v4, 31, v3
	v_lshlrev_b64_e32 v[4:5], 3, v[3:4]
	s_wait_loadcnt_dscnt 0x0
	scratch_store_b64 off, v[1:2], off
	flat_load_b64 v[1:2], v[34:35]
	v_add_nc_u32_e32 v3, s5, v3
	v_add_co_u32 v78, vcc_lo, s0, v4
	s_wait_alu 0xfffd
	v_add_co_ci_u32_e64 v79, null, s1, v5, vcc_lo
	s_delay_alu instid0(VALU_DEP_3) | instskip(NEXT) | instid1(VALU_DEP_1)
	v_ashrrev_i32_e32 v4, 31, v3
	v_lshlrev_b64_e32 v[4:5], 3, v[3:4]
	v_add_nc_u32_e32 v3, s5, v3
	s_delay_alu instid0(VALU_DEP_2) | instskip(SKIP_1) | instid1(VALU_DEP_3)
	v_add_co_u32 v80, vcc_lo, s0, v4
	s_wait_alu 0xfffd
	v_add_co_ci_u32_e64 v81, null, s1, v5, vcc_lo
	s_delay_alu instid0(VALU_DEP_3) | instskip(NEXT) | instid1(VALU_DEP_1)
	v_ashrrev_i32_e32 v4, 31, v3
	v_lshlrev_b64_e32 v[4:5], 3, v[3:4]
	v_add_nc_u32_e32 v3, s5, v3
	s_delay_alu instid0(VALU_DEP_2) | instskip(SKIP_1) | instid1(VALU_DEP_3)
	;; [unrolled: 8-line block ×20, first 2 shown]
	v_add_co_u32 v118, vcc_lo, s0, v4
	s_wait_alu 0xfffd
	v_add_co_ci_u32_e64 v119, null, s1, v5, vcc_lo
	s_delay_alu instid0(VALU_DEP_3) | instskip(NEXT) | instid1(VALU_DEP_1)
	v_ashrrev_i32_e32 v4, 31, v3
	v_lshlrev_b64_e32 v[4:5], 3, v[3:4]
	v_add_nc_u32_e32 v3, s5, v3
	s_delay_alu instid0(VALU_DEP_2)
	v_add_co_u32 v120, vcc_lo, s0, v4
	s_wait_loadcnt_dscnt 0x0
	scratch_store_b64 off, v[1:2], off offset:8
	flat_load_b64 v[1:2], v[36:37]
	s_wait_alu 0xfffd
	v_add_co_ci_u32_e64 v121, null, s1, v5, vcc_lo
	v_ashrrev_i32_e32 v4, 31, v3
	s_delay_alu instid0(VALU_DEP_1) | instskip(SKIP_1) | instid1(VALU_DEP_2)
	v_lshlrev_b64_e32 v[4:5], 3, v[3:4]
	v_add_nc_u32_e32 v3, s5, v3
	v_add_co_u32 v122, vcc_lo, s0, v4
	s_wait_alu 0xfffd
	s_delay_alu instid0(VALU_DEP_3) | instskip(NEXT) | instid1(VALU_DEP_3)
	v_add_co_ci_u32_e64 v123, null, s1, v5, vcc_lo
	v_ashrrev_i32_e32 v4, 31, v3
	s_delay_alu instid0(VALU_DEP_1) | instskip(SKIP_1) | instid1(VALU_DEP_2)
	v_lshlrev_b64_e32 v[4:5], 3, v[3:4]
	v_add_nc_u32_e32 v3, s5, v3
	v_add_co_u32 v124, vcc_lo, s0, v4
	s_wait_alu 0xfffd
	s_delay_alu instid0(VALU_DEP_3) | instskip(NEXT) | instid1(VALU_DEP_3)
	;; [unrolled: 8-line block ×8, first 2 shown]
	v_add_co_ci_u32_e64 v137, null, s1, v5, vcc_lo
	v_ashrrev_i32_e32 v4, 31, v3
	s_delay_alu instid0(VALU_DEP_1) | instskip(NEXT) | instid1(VALU_DEP_1)
	v_lshlrev_b64_e32 v[3:4], 3, v[3:4]
	v_add_co_u32 v138, vcc_lo, s0, v3
	s_wait_alu 0xfffd
	s_delay_alu instid0(VALU_DEP_2)
	v_add_co_ci_u32_e64 v139, null, s1, v4, vcc_lo
	s_mov_b32 s1, -1
	s_wait_loadcnt_dscnt 0x0
	scratch_store_b64 off, v[1:2], off offset:16
	flat_load_b64 v[1:2], v[38:39]
	s_wait_loadcnt_dscnt 0x0
	scratch_store_b64 off, v[1:2], off offset:24
	flat_load_b64 v[1:2], v[40:41]
	s_wait_loadcnt_dscnt 0x0
	scratch_store_b64 off, v[1:2], off offset:32
	flat_load_b64 v[1:2], v[42:43]
	s_wait_loadcnt_dscnt 0x0
	scratch_store_b64 off, v[1:2], off offset:40
	flat_load_b64 v[1:2], v[44:45]
	s_wait_loadcnt_dscnt 0x0
	scratch_store_b64 off, v[1:2], off offset:48
	flat_load_b64 v[1:2], v[46:47]
	s_wait_loadcnt_dscnt 0x0
	scratch_store_b64 off, v[1:2], off offset:56
	flat_load_b64 v[1:2], v[48:49]
	s_wait_loadcnt_dscnt 0x0
	scratch_store_b64 off, v[1:2], off offset:64
	flat_load_b64 v[1:2], v[50:51]
	s_wait_loadcnt_dscnt 0x0
	scratch_store_b64 off, v[1:2], off offset:72
	flat_load_b64 v[1:2], v[52:53]
	s_wait_loadcnt_dscnt 0x0
	scratch_store_b64 off, v[1:2], off offset:80
	flat_load_b64 v[1:2], v[54:55]
	s_wait_loadcnt_dscnt 0x0
	scratch_store_b64 off, v[1:2], off offset:88
	flat_load_b64 v[1:2], v[56:57]
	s_wait_loadcnt_dscnt 0x0
	scratch_store_b64 off, v[1:2], off offset:96
	flat_load_b64 v[1:2], v[58:59]
	s_wait_loadcnt_dscnt 0x0
	scratch_store_b64 off, v[1:2], off offset:104
	flat_load_b64 v[1:2], v[60:61]
	s_wait_loadcnt_dscnt 0x0
	scratch_store_b64 off, v[1:2], off offset:112
	flat_load_b64 v[1:2], v[62:63]
	s_wait_loadcnt_dscnt 0x0
	scratch_store_b64 off, v[1:2], off offset:120
	flat_load_b64 v[1:2], v[64:65]
	s_wait_loadcnt_dscnt 0x0
	scratch_store_b64 off, v[1:2], off offset:128
	flat_load_b64 v[1:2], v[66:67]
	s_wait_loadcnt_dscnt 0x0
	scratch_store_b64 off, v[1:2], off offset:136
	flat_load_b64 v[1:2], v[68:69]
	s_wait_loadcnt_dscnt 0x0
	scratch_store_b64 off, v[1:2], off offset:144
	flat_load_b64 v[1:2], v[70:71]
	s_wait_loadcnt_dscnt 0x0
	scratch_store_b64 off, v[1:2], off offset:152
	flat_load_b64 v[1:2], v[72:73]
	s_wait_loadcnt_dscnt 0x0
	scratch_store_b64 off, v[1:2], off offset:160
	flat_load_b64 v[1:2], v[74:75]
	s_wait_loadcnt_dscnt 0x0
	scratch_store_b64 off, v[1:2], off offset:168
	flat_load_b64 v[1:2], v[76:77]
	s_wait_loadcnt_dscnt 0x0
	scratch_store_b64 off, v[1:2], off offset:176
	flat_load_b64 v[1:2], v[78:79]
	s_wait_loadcnt_dscnt 0x0
	scratch_store_b64 off, v[1:2], off offset:184
	flat_load_b64 v[1:2], v[80:81]
	s_wait_loadcnt_dscnt 0x0
	scratch_store_b64 off, v[1:2], off offset:192
	flat_load_b64 v[1:2], v[82:83]
	s_wait_loadcnt_dscnt 0x0
	scratch_store_b64 off, v[1:2], off offset:200
	flat_load_b64 v[1:2], v[84:85]
	s_wait_loadcnt_dscnt 0x0
	scratch_store_b64 off, v[1:2], off offset:208
	flat_load_b64 v[1:2], v[86:87]
	s_wait_loadcnt_dscnt 0x0
	scratch_store_b64 off, v[1:2], off offset:216
	flat_load_b64 v[1:2], v[88:89]
	s_wait_loadcnt_dscnt 0x0
	scratch_store_b64 off, v[1:2], off offset:224
	flat_load_b64 v[1:2], v[90:91]
	s_wait_loadcnt_dscnt 0x0
	scratch_store_b64 off, v[1:2], off offset:232
	flat_load_b64 v[1:2], v[92:93]
	s_wait_loadcnt_dscnt 0x0
	scratch_store_b64 off, v[1:2], off offset:240
	flat_load_b64 v[1:2], v[94:95]
	s_wait_loadcnt_dscnt 0x0
	scratch_store_b64 off, v[1:2], off offset:248
	flat_load_b64 v[1:2], v[96:97]
	s_wait_loadcnt_dscnt 0x0
	scratch_store_b64 off, v[1:2], off offset:256
	flat_load_b64 v[1:2], v[98:99]
	s_wait_loadcnt_dscnt 0x0
	scratch_store_b64 off, v[1:2], off offset:264
	flat_load_b64 v[1:2], v[100:101]
	s_wait_loadcnt_dscnt 0x0
	scratch_store_b64 off, v[1:2], off offset:272
	flat_load_b64 v[1:2], v[102:103]
	s_wait_loadcnt_dscnt 0x0
	scratch_store_b64 off, v[1:2], off offset:280
	flat_load_b64 v[1:2], v[104:105]
	s_wait_loadcnt_dscnt 0x0
	scratch_store_b64 off, v[1:2], off offset:288
	flat_load_b64 v[1:2], v[106:107]
	s_wait_loadcnt_dscnt 0x0
	scratch_store_b64 off, v[1:2], off offset:296
	flat_load_b64 v[1:2], v[108:109]
	s_wait_loadcnt_dscnt 0x0
	scratch_store_b64 off, v[1:2], off offset:304
	flat_load_b64 v[1:2], v[110:111]
	s_wait_loadcnt_dscnt 0x0
	scratch_store_b64 off, v[1:2], off offset:312
	flat_load_b64 v[1:2], v[112:113]
	s_wait_loadcnt_dscnt 0x0
	scratch_store_b64 off, v[1:2], off offset:320
	flat_load_b64 v[1:2], v[114:115]
	s_wait_loadcnt_dscnt 0x0
	scratch_store_b64 off, v[1:2], off offset:328
	flat_load_b64 v[1:2], v[116:117]
	s_wait_loadcnt_dscnt 0x0
	scratch_store_b64 off, v[1:2], off offset:336
	flat_load_b64 v[1:2], v[118:119]
	s_wait_loadcnt_dscnt 0x0
	scratch_store_b64 off, v[1:2], off offset:344
	flat_load_b64 v[1:2], v[120:121]
	s_wait_loadcnt_dscnt 0x0
	scratch_store_b64 off, v[1:2], off offset:352
	flat_load_b64 v[1:2], v[122:123]
	s_wait_loadcnt_dscnt 0x0
	scratch_store_b64 off, v[1:2], off offset:360
	flat_load_b64 v[1:2], v[124:125]
	s_wait_loadcnt_dscnt 0x0
	scratch_store_b64 off, v[1:2], off offset:368
	flat_load_b64 v[1:2], v[126:127]
	s_wait_loadcnt_dscnt 0x0
	scratch_store_b64 off, v[1:2], off offset:376
	flat_load_b64 v[1:2], v[128:129]
	s_wait_loadcnt_dscnt 0x0
	scratch_store_b64 off, v[1:2], off offset:384
	flat_load_b64 v[1:2], v[130:131]
	s_wait_loadcnt_dscnt 0x0
	scratch_store_b64 off, v[1:2], off offset:392
	flat_load_b64 v[1:2], v[132:133]
	s_wait_loadcnt_dscnt 0x0
	scratch_store_b64 off, v[1:2], off offset:400
	flat_load_b64 v[1:2], v[134:135]
	s_wait_loadcnt_dscnt 0x0
	scratch_store_b64 off, v[1:2], off offset:408
	flat_load_b64 v[1:2], v[136:137]
	s_wait_loadcnt_dscnt 0x0
	scratch_store_b64 off, v[1:2], off offset:416
	flat_load_b64 v[1:2], v[138:139]
	s_wait_loadcnt_dscnt 0x0
	scratch_store_b64 off, v[1:2], off offset:424
	s_cbranch_scc1 .LBB117_228
; %bb.4:
	v_cmp_eq_u32_e64 s0, 0, v0
	s_and_saveexec_b32 s1, s0
; %bb.5:
	v_mov_b32_e32 v1, 0
	ds_store_b32 v1, v1 offset:864
; %bb.6:
	s_wait_alu 0xfffe
	s_or_b32 exec_lo, exec_lo, s1
	s_wait_storecnt_dscnt 0x0
	s_barrier_signal -1
	s_barrier_wait -1
	global_inv scope:SCOPE_SE
	scratch_load_b64 v[1:2], v7, off
	s_wait_loadcnt 0x0
	v_cmp_eq_f32_e32 vcc_lo, 0, v1
	v_cmp_eq_f32_e64 s1, 0, v2
	s_and_b32 s1, vcc_lo, s1
	s_wait_alu 0xfffe
	s_and_saveexec_b32 s4, s1
	s_cbranch_execz .LBB117_10
; %bb.7:
	v_mov_b32_e32 v1, 0
	s_mov_b32 s5, 0
	ds_load_b32 v2, v1 offset:864
	s_wait_dscnt 0x0
	v_readfirstlane_b32 s1, v2
	v_add_nc_u32_e32 v2, 1, v0
	s_cmp_eq_u32 s1, 0
	s_delay_alu instid0(VALU_DEP_1)
	v_cmp_gt_i32_e32 vcc_lo, s1, v2
	s_cselect_b32 s10, -1, 0
	s_wait_alu 0xfffe
	s_or_b32 s10, s10, vcc_lo
	s_wait_alu 0xfffe
	s_and_b32 exec_lo, exec_lo, s10
	s_cbranch_execz .LBB117_10
; %bb.8:
	v_mov_b32_e32 v3, s1
.LBB117_9:                              ; =>This Inner Loop Header: Depth=1
	ds_cmpstore_rtn_b32 v3, v1, v2, v3 offset:864
	s_wait_dscnt 0x0
	v_cmp_ne_u32_e32 vcc_lo, 0, v3
	v_cmp_le_i32_e64 s1, v3, v2
	s_and_b32 s1, vcc_lo, s1
	s_wait_alu 0xfffe
	s_and_b32 s1, exec_lo, s1
	s_wait_alu 0xfffe
	s_or_b32 s5, s1, s5
	s_wait_alu 0xfffe
	s_and_not1_b32 exec_lo, exec_lo, s5
	s_cbranch_execnz .LBB117_9
.LBB117_10:
	s_wait_alu 0xfffe
	s_or_b32 exec_lo, exec_lo, s4
	v_mov_b32_e32 v1, 0
	s_barrier_signal -1
	s_barrier_wait -1
	global_inv scope:SCOPE_SE
	ds_load_b32 v2, v1 offset:864
	s_and_saveexec_b32 s1, s0
	s_cbranch_execz .LBB117_12
; %bb.11:
	s_lshl_b64 s[4:5], s[8:9], 2
	s_wait_alu 0xfffe
	s_add_nc_u64 s[4:5], s[6:7], s[4:5]
	s_wait_dscnt 0x0
	global_store_b32 v1, v2, s[4:5]
.LBB117_12:
	s_wait_alu 0xfffe
	s_or_b32 exec_lo, exec_lo, s1
	s_wait_dscnt 0x0
	v_cmp_ne_u32_e32 vcc_lo, 0, v2
	s_mov_b32 s1, 0
	s_cbranch_vccnz .LBB117_228
; %bb.13:
	v_mov_b32_e32 v8, v7
                                        ; implicit-def: $vgpr3
                                        ; implicit-def: $vgpr5
	scratch_load_b64 v[1:2], v8, off
	s_wait_loadcnt 0x0
	v_cmp_ngt_f32_e64 s1, |v1|, |v2|
	s_wait_alu 0xfffe
	s_and_saveexec_b32 s4, s1
	s_wait_alu 0xfffe
	s_xor_b32 s1, exec_lo, s4
	s_cbranch_execz .LBB117_15
; %bb.14:
	v_div_scale_f32 v3, null, v2, v2, v1
	v_div_scale_f32 v6, vcc_lo, v1, v2, v1
	s_delay_alu instid0(VALU_DEP_2) | instskip(NEXT) | instid1(TRANS32_DEP_1)
	v_rcp_f32_e32 v4, v3
	v_fma_f32 v5, -v3, v4, 1.0
	s_delay_alu instid0(VALU_DEP_1) | instskip(NEXT) | instid1(VALU_DEP_1)
	v_fmac_f32_e32 v4, v5, v4
	v_mul_f32_e32 v5, v6, v4
	s_delay_alu instid0(VALU_DEP_1) | instskip(NEXT) | instid1(VALU_DEP_1)
	v_fma_f32 v9, -v3, v5, v6
	v_fmac_f32_e32 v5, v9, v4
	s_delay_alu instid0(VALU_DEP_1) | instskip(SKIP_1) | instid1(VALU_DEP_1)
	v_fma_f32 v3, -v3, v5, v6
	s_wait_alu 0xfffd
	v_div_fmas_f32 v3, v3, v4, v5
	s_delay_alu instid0(VALU_DEP_1) | instskip(NEXT) | instid1(VALU_DEP_1)
	v_div_fixup_f32 v3, v3, v2, v1
	v_fmac_f32_e32 v2, v1, v3
	s_delay_alu instid0(VALU_DEP_1) | instskip(NEXT) | instid1(VALU_DEP_1)
	v_div_scale_f32 v1, null, v2, v2, 1.0
	v_rcp_f32_e32 v4, v1
	s_delay_alu instid0(TRANS32_DEP_1) | instskip(NEXT) | instid1(VALU_DEP_1)
	v_fma_f32 v5, -v1, v4, 1.0
	v_fmac_f32_e32 v4, v5, v4
	v_div_scale_f32 v5, vcc_lo, 1.0, v2, 1.0
	s_delay_alu instid0(VALU_DEP_1) | instskip(NEXT) | instid1(VALU_DEP_1)
	v_mul_f32_e32 v6, v5, v4
	v_fma_f32 v9, -v1, v6, v5
	s_delay_alu instid0(VALU_DEP_1) | instskip(NEXT) | instid1(VALU_DEP_1)
	v_fmac_f32_e32 v6, v9, v4
	v_fma_f32 v1, -v1, v6, v5
	s_wait_alu 0xfffd
	s_delay_alu instid0(VALU_DEP_1) | instskip(NEXT) | instid1(VALU_DEP_1)
	v_div_fmas_f32 v1, v1, v4, v6
	v_div_fixup_f32 v1, v1, v2, 1.0
	s_delay_alu instid0(VALU_DEP_1) | instskip(SKIP_1) | instid1(VALU_DEP_2)
	v_mul_f32_e32 v3, v3, v1
	v_xor_b32_e32 v4, 0x80000000, v1
                                        ; implicit-def: $vgpr1_vgpr2
	v_xor_b32_e32 v5, 0x80000000, v3
.LBB117_15:
	s_wait_alu 0xfffe
	s_and_not1_saveexec_b32 s1, s1
	s_cbranch_execz .LBB117_17
; %bb.16:
	v_div_scale_f32 v3, null, v1, v1, v2
	v_div_scale_f32 v6, vcc_lo, v2, v1, v2
	s_delay_alu instid0(VALU_DEP_2) | instskip(NEXT) | instid1(TRANS32_DEP_1)
	v_rcp_f32_e32 v4, v3
	v_fma_f32 v5, -v3, v4, 1.0
	s_delay_alu instid0(VALU_DEP_1) | instskip(NEXT) | instid1(VALU_DEP_1)
	v_fmac_f32_e32 v4, v5, v4
	v_mul_f32_e32 v5, v6, v4
	s_delay_alu instid0(VALU_DEP_1) | instskip(NEXT) | instid1(VALU_DEP_1)
	v_fma_f32 v9, -v3, v5, v6
	v_fmac_f32_e32 v5, v9, v4
	s_delay_alu instid0(VALU_DEP_1) | instskip(SKIP_1) | instid1(VALU_DEP_1)
	v_fma_f32 v3, -v3, v5, v6
	s_wait_alu 0xfffd
	v_div_fmas_f32 v3, v3, v4, v5
	s_delay_alu instid0(VALU_DEP_1) | instskip(NEXT) | instid1(VALU_DEP_1)
	v_div_fixup_f32 v4, v3, v1, v2
	v_fmac_f32_e32 v1, v2, v4
	s_delay_alu instid0(VALU_DEP_1) | instskip(SKIP_1) | instid1(VALU_DEP_2)
	v_div_scale_f32 v2, null, v1, v1, 1.0
	v_div_scale_f32 v6, vcc_lo, 1.0, v1, 1.0
	v_rcp_f32_e32 v3, v2
	s_delay_alu instid0(TRANS32_DEP_1) | instskip(NEXT) | instid1(VALU_DEP_1)
	v_fma_f32 v5, -v2, v3, 1.0
	v_fmac_f32_e32 v3, v5, v3
	s_delay_alu instid0(VALU_DEP_1) | instskip(NEXT) | instid1(VALU_DEP_1)
	v_mul_f32_e32 v5, v6, v3
	v_fma_f32 v9, -v2, v5, v6
	s_delay_alu instid0(VALU_DEP_1) | instskip(NEXT) | instid1(VALU_DEP_1)
	v_fmac_f32_e32 v5, v9, v3
	v_fma_f32 v2, -v2, v5, v6
	s_wait_alu 0xfffd
	s_delay_alu instid0(VALU_DEP_1) | instskip(NEXT) | instid1(VALU_DEP_1)
	v_div_fmas_f32 v2, v2, v3, v5
	v_div_fixup_f32 v3, v2, v1, 1.0
	s_delay_alu instid0(VALU_DEP_1)
	v_xor_b32_e32 v5, 0x80000000, v3
	v_mul_f32_e64 v4, v4, -v3
.LBB117_17:
	s_wait_alu 0xfffe
	s_or_b32 exec_lo, exec_lo, s1
	scratch_store_b64 v8, v[3:4], off
	scratch_load_b64 v[2:3], off, off offset:8
	v_xor_b32_e32 v6, 0x80000000, v4
	v_add_nc_u32_e32 v1, 0x1b0, v7
	s_wait_loadcnt 0x0
	ds_store_2addr_b64 v7, v[5:6], v[2:3] offset1:54
	s_wait_storecnt_dscnt 0x0
	s_barrier_signal -1
	s_barrier_wait -1
	global_inv scope:SCOPE_SE
	s_and_saveexec_b32 s1, s0
	s_cbranch_execz .LBB117_19
; %bb.18:
	scratch_load_b64 v[2:3], v8, off
	ds_load_b64 v[4:5], v1
	v_mov_b32_e32 v6, 0
	ds_load_b64 v[9:10], v6 offset:8
	s_wait_loadcnt_dscnt 0x1
	v_mul_f32_e32 v6, v4, v3
	v_mul_f32_e32 v3, v5, v3
	s_delay_alu instid0(VALU_DEP_2) | instskip(NEXT) | instid1(VALU_DEP_2)
	v_fmac_f32_e32 v6, v5, v2
	v_fma_f32 v2, v4, v2, -v3
	s_delay_alu instid0(VALU_DEP_2) | instskip(NEXT) | instid1(VALU_DEP_2)
	v_add_f32_e32 v4, 0, v6
	v_add_f32_e32 v2, 0, v2
	s_wait_dscnt 0x0
	s_delay_alu instid0(VALU_DEP_2) | instskip(NEXT) | instid1(VALU_DEP_2)
	v_mul_f32_e32 v5, v4, v10
	v_mul_f32_e32 v3, v2, v10
	s_delay_alu instid0(VALU_DEP_2) | instskip(NEXT) | instid1(VALU_DEP_2)
	v_fma_f32 v2, v2, v9, -v5
	v_fmac_f32_e32 v3, v4, v9
	scratch_store_b64 off, v[2:3], off offset:8
.LBB117_19:
	s_wait_alu 0xfffe
	s_or_b32 exec_lo, exec_lo, s1
	s_wait_loadcnt 0x0
	s_wait_storecnt 0x0
	s_barrier_signal -1
	s_barrier_wait -1
	global_inv scope:SCOPE_SE
	scratch_load_b64 v[2:3], off, off offset:16
	s_mov_b32 s1, exec_lo
	s_wait_loadcnt 0x0
	ds_store_b64 v1, v[2:3]
	s_wait_dscnt 0x0
	s_barrier_signal -1
	s_barrier_wait -1
	global_inv scope:SCOPE_SE
	v_cmpx_gt_u32_e32 2, v0
	s_cbranch_execz .LBB117_23
; %bb.20:
	scratch_load_b64 v[2:3], v8, off
	ds_load_b64 v[4:5], v1
	s_wait_loadcnt_dscnt 0x0
	v_mul_f32_e32 v6, v5, v3
	v_mul_f32_e32 v9, v4, v3
	s_delay_alu instid0(VALU_DEP_2) | instskip(NEXT) | instid1(VALU_DEP_2)
	v_fma_f32 v3, v4, v2, -v6
	v_fmac_f32_e32 v9, v5, v2
	s_delay_alu instid0(VALU_DEP_1)
	v_dual_add_f32 v3, 0, v3 :: v_dual_add_f32 v2, 0, v9
	s_and_saveexec_b32 s4, s0
	s_cbranch_execz .LBB117_22
; %bb.21:
	scratch_load_b64 v[4:5], off, off offset:8
	v_mov_b32_e32 v6, 0
	ds_load_b64 v[9:10], v6 offset:440
	s_wait_loadcnt_dscnt 0x0
	v_mul_f32_e32 v6, v9, v5
	v_mul_f32_e32 v5, v10, v5
	s_delay_alu instid0(VALU_DEP_2) | instskip(NEXT) | instid1(VALU_DEP_2)
	v_fmac_f32_e32 v6, v10, v4
	v_fma_f32 v4, v9, v4, -v5
	s_delay_alu instid0(VALU_DEP_1)
	v_dual_add_f32 v2, v2, v6 :: v_dual_add_f32 v3, v3, v4
.LBB117_22:
	s_wait_alu 0xfffe
	s_or_b32 exec_lo, exec_lo, s4
	v_mov_b32_e32 v4, 0
	ds_load_b64 v[4:5], v4 offset:16
	s_wait_dscnt 0x0
	v_mul_f32_e32 v9, v2, v5
	v_mul_f32_e32 v6, v3, v5
	s_delay_alu instid0(VALU_DEP_2) | instskip(NEXT) | instid1(VALU_DEP_2)
	v_fma_f32 v5, v3, v4, -v9
	v_fmac_f32_e32 v6, v2, v4
	scratch_store_b64 off, v[5:6], off offset:16
.LBB117_23:
	s_wait_alu 0xfffe
	s_or_b32 exec_lo, exec_lo, s1
	s_wait_loadcnt 0x0
	s_wait_storecnt 0x0
	s_barrier_signal -1
	s_barrier_wait -1
	global_inv scope:SCOPE_SE
	scratch_load_b64 v[3:4], off, off offset:24
	v_add_nc_u32_e32 v2, -1, v0
	s_mov_b32 s0, exec_lo
	s_wait_loadcnt 0x0
	ds_store_b64 v1, v[3:4]
	s_wait_dscnt 0x0
	s_barrier_signal -1
	s_barrier_wait -1
	global_inv scope:SCOPE_SE
	v_cmpx_gt_u32_e32 3, v0
	s_cbranch_execz .LBB117_27
; %bb.24:
	v_dual_mov_b32 v3, 0 :: v_dual_add_nc_u32 v4, -1, v0
	v_dual_mov_b32 v6, v7 :: v_dual_add_nc_u32 v5, 0x1b0, v7
	v_mov_b32_e32 v9, 0
	s_mov_b32 s1, 0
.LBB117_25:                             ; =>This Inner Loop Header: Depth=1
	scratch_load_b64 v[10:11], v6, off
	ds_load_b64 v[12:13], v5
	v_add_nc_u32_e32 v4, 1, v4
	v_add_nc_u32_e32 v5, 8, v5
	s_delay_alu instid0(VALU_DEP_2)
	v_cmp_lt_u32_e32 vcc_lo, 1, v4
	s_wait_alu 0xfffe
	s_or_b32 s1, vcc_lo, s1
	s_wait_loadcnt_dscnt 0x0
	v_mul_f32_e32 v14, v13, v11
	v_mul_f32_e32 v11, v12, v11
	s_delay_alu instid0(VALU_DEP_2) | instskip(NEXT) | instid1(VALU_DEP_2)
	v_fma_f32 v12, v12, v10, -v14
	v_fmac_f32_e32 v11, v13, v10
	s_delay_alu instid0(VALU_DEP_2) | instskip(NEXT) | instid1(VALU_DEP_2)
	v_dual_add_f32 v9, v9, v12 :: v_dual_add_nc_u32 v6, 8, v6
	v_add_f32_e32 v3, v3, v11
	s_wait_alu 0xfffe
	s_and_not1_b32 exec_lo, exec_lo, s1
	s_cbranch_execnz .LBB117_25
; %bb.26:
	s_or_b32 exec_lo, exec_lo, s1
	v_mov_b32_e32 v4, 0
	ds_load_b64 v[4:5], v4 offset:24
	s_wait_dscnt 0x0
	v_mul_f32_e32 v10, v3, v5
	v_mul_f32_e32 v6, v9, v5
	s_delay_alu instid0(VALU_DEP_2) | instskip(NEXT) | instid1(VALU_DEP_2)
	v_fma_f32 v5, v9, v4, -v10
	v_fmac_f32_e32 v6, v3, v4
	scratch_store_b64 off, v[5:6], off offset:24
.LBB117_27:
	s_wait_alu 0xfffe
	s_or_b32 exec_lo, exec_lo, s0
	s_wait_loadcnt 0x0
	s_wait_storecnt 0x0
	s_barrier_signal -1
	s_barrier_wait -1
	global_inv scope:SCOPE_SE
	scratch_load_b64 v[3:4], off, off offset:32
	s_mov_b32 s0, exec_lo
	s_wait_loadcnt 0x0
	ds_store_b64 v1, v[3:4]
	s_wait_dscnt 0x0
	s_barrier_signal -1
	s_barrier_wait -1
	global_inv scope:SCOPE_SE
	v_cmpx_gt_u32_e32 4, v0
	s_cbranch_execz .LBB117_31
; %bb.28:
	v_dual_mov_b32 v3, 0 :: v_dual_add_nc_u32 v4, -1, v0
	v_dual_mov_b32 v6, v7 :: v_dual_add_nc_u32 v5, 0x1b0, v7
	v_mov_b32_e32 v9, 0
	s_mov_b32 s1, 0
.LBB117_29:                             ; =>This Inner Loop Header: Depth=1
	scratch_load_b64 v[10:11], v6, off
	ds_load_b64 v[12:13], v5
	v_add_nc_u32_e32 v4, 1, v4
	v_add_nc_u32_e32 v5, 8, v5
	s_delay_alu instid0(VALU_DEP_2)
	v_cmp_lt_u32_e32 vcc_lo, 2, v4
	s_wait_alu 0xfffe
	s_or_b32 s1, vcc_lo, s1
	s_wait_loadcnt_dscnt 0x0
	v_mul_f32_e32 v14, v13, v11
	v_mul_f32_e32 v11, v12, v11
	s_delay_alu instid0(VALU_DEP_2) | instskip(NEXT) | instid1(VALU_DEP_2)
	v_fma_f32 v12, v12, v10, -v14
	v_fmac_f32_e32 v11, v13, v10
	s_delay_alu instid0(VALU_DEP_2) | instskip(NEXT) | instid1(VALU_DEP_2)
	v_dual_add_f32 v9, v9, v12 :: v_dual_add_nc_u32 v6, 8, v6
	v_add_f32_e32 v3, v3, v11
	s_wait_alu 0xfffe
	s_and_not1_b32 exec_lo, exec_lo, s1
	s_cbranch_execnz .LBB117_29
; %bb.30:
	s_or_b32 exec_lo, exec_lo, s1
	v_mov_b32_e32 v4, 0
	ds_load_b64 v[4:5], v4 offset:32
	s_wait_dscnt 0x0
	v_mul_f32_e32 v10, v3, v5
	v_mul_f32_e32 v6, v9, v5
	s_delay_alu instid0(VALU_DEP_2) | instskip(NEXT) | instid1(VALU_DEP_2)
	v_fma_f32 v5, v9, v4, -v10
	v_fmac_f32_e32 v6, v3, v4
	scratch_store_b64 off, v[5:6], off offset:32
.LBB117_31:
	s_wait_alu 0xfffe
	s_or_b32 exec_lo, exec_lo, s0
	s_wait_loadcnt 0x0
	s_wait_storecnt 0x0
	s_barrier_signal -1
	s_barrier_wait -1
	global_inv scope:SCOPE_SE
	scratch_load_b64 v[3:4], off, off offset:40
	;; [unrolled: 55-line block ×19, first 2 shown]
	s_mov_b32 s0, exec_lo
	s_wait_loadcnt 0x0
	ds_store_b64 v1, v[3:4]
	s_wait_dscnt 0x0
	s_barrier_signal -1
	s_barrier_wait -1
	global_inv scope:SCOPE_SE
	v_cmpx_gt_u32_e32 22, v0
	s_cbranch_execz .LBB117_103
; %bb.100:
	v_dual_mov_b32 v3, 0 :: v_dual_add_nc_u32 v4, -1, v0
	v_dual_mov_b32 v6, v7 :: v_dual_add_nc_u32 v5, 0x1b0, v7
	v_mov_b32_e32 v9, 0
	s_mov_b32 s1, 0
.LBB117_101:                            ; =>This Inner Loop Header: Depth=1
	scratch_load_b64 v[10:11], v6, off
	ds_load_b64 v[12:13], v5
	v_add_nc_u32_e32 v4, 1, v4
	v_add_nc_u32_e32 v5, 8, v5
	s_delay_alu instid0(VALU_DEP_2)
	v_cmp_lt_u32_e32 vcc_lo, 20, v4
	s_wait_alu 0xfffe
	s_or_b32 s1, vcc_lo, s1
	s_wait_loadcnt_dscnt 0x0
	v_mul_f32_e32 v14, v13, v11
	v_mul_f32_e32 v11, v12, v11
	s_delay_alu instid0(VALU_DEP_2) | instskip(NEXT) | instid1(VALU_DEP_2)
	v_fma_f32 v12, v12, v10, -v14
	v_fmac_f32_e32 v11, v13, v10
	s_delay_alu instid0(VALU_DEP_2) | instskip(NEXT) | instid1(VALU_DEP_2)
	v_dual_add_f32 v9, v9, v12 :: v_dual_add_nc_u32 v6, 8, v6
	v_add_f32_e32 v3, v3, v11
	s_wait_alu 0xfffe
	s_and_not1_b32 exec_lo, exec_lo, s1
	s_cbranch_execnz .LBB117_101
; %bb.102:
	s_or_b32 exec_lo, exec_lo, s1
	v_mov_b32_e32 v4, 0
	ds_load_b64 v[4:5], v4 offset:176
	s_wait_dscnt 0x0
	v_mul_f32_e32 v10, v3, v5
	v_mul_f32_e32 v6, v9, v5
	s_delay_alu instid0(VALU_DEP_2) | instskip(NEXT) | instid1(VALU_DEP_2)
	v_fma_f32 v5, v9, v4, -v10
	v_fmac_f32_e32 v6, v3, v4
	scratch_store_b64 off, v[5:6], off offset:176
.LBB117_103:
	s_wait_alu 0xfffe
	s_or_b32 exec_lo, exec_lo, s0
	s_wait_loadcnt 0x0
	s_wait_storecnt 0x0
	s_barrier_signal -1
	s_barrier_wait -1
	global_inv scope:SCOPE_SE
	scratch_load_b64 v[3:4], off, off offset:184
	s_mov_b32 s0, exec_lo
	s_wait_loadcnt 0x0
	ds_store_b64 v1, v[3:4]
	s_wait_dscnt 0x0
	s_barrier_signal -1
	s_barrier_wait -1
	global_inv scope:SCOPE_SE
	v_cmpx_gt_u32_e32 23, v0
	s_cbranch_execz .LBB117_107
; %bb.104:
	v_dual_mov_b32 v3, 0 :: v_dual_add_nc_u32 v4, -1, v0
	v_dual_mov_b32 v6, v7 :: v_dual_add_nc_u32 v5, 0x1b0, v7
	v_mov_b32_e32 v9, 0
	s_mov_b32 s1, 0
.LBB117_105:                            ; =>This Inner Loop Header: Depth=1
	scratch_load_b64 v[10:11], v6, off
	ds_load_b64 v[12:13], v5
	v_add_nc_u32_e32 v4, 1, v4
	v_add_nc_u32_e32 v5, 8, v5
	s_delay_alu instid0(VALU_DEP_2)
	v_cmp_lt_u32_e32 vcc_lo, 21, v4
	s_wait_alu 0xfffe
	s_or_b32 s1, vcc_lo, s1
	s_wait_loadcnt_dscnt 0x0
	v_mul_f32_e32 v14, v13, v11
	v_mul_f32_e32 v11, v12, v11
	s_delay_alu instid0(VALU_DEP_2) | instskip(NEXT) | instid1(VALU_DEP_2)
	v_fma_f32 v12, v12, v10, -v14
	v_fmac_f32_e32 v11, v13, v10
	s_delay_alu instid0(VALU_DEP_2) | instskip(NEXT) | instid1(VALU_DEP_2)
	v_dual_add_f32 v9, v9, v12 :: v_dual_add_nc_u32 v6, 8, v6
	v_add_f32_e32 v3, v3, v11
	s_wait_alu 0xfffe
	s_and_not1_b32 exec_lo, exec_lo, s1
	s_cbranch_execnz .LBB117_105
; %bb.106:
	s_or_b32 exec_lo, exec_lo, s1
	v_mov_b32_e32 v4, 0
	ds_load_b64 v[4:5], v4 offset:184
	s_wait_dscnt 0x0
	v_mul_f32_e32 v10, v3, v5
	v_mul_f32_e32 v6, v9, v5
	s_delay_alu instid0(VALU_DEP_2) | instskip(NEXT) | instid1(VALU_DEP_2)
	v_fma_f32 v5, v9, v4, -v10
	v_fmac_f32_e32 v6, v3, v4
	scratch_store_b64 off, v[5:6], off offset:184
.LBB117_107:
	s_wait_alu 0xfffe
	s_or_b32 exec_lo, exec_lo, s0
	s_wait_loadcnt 0x0
	s_wait_storecnt 0x0
	s_barrier_signal -1
	s_barrier_wait -1
	global_inv scope:SCOPE_SE
	scratch_load_b64 v[3:4], off, off offset:192
	;; [unrolled: 55-line block ×30, first 2 shown]
	s_mov_b32 s0, exec_lo
	s_wait_loadcnt 0x0
	ds_store_b64 v1, v[3:4]
	s_wait_dscnt 0x0
	s_barrier_signal -1
	s_barrier_wait -1
	global_inv scope:SCOPE_SE
	v_cmpx_gt_u32_e32 52, v0
	s_cbranch_execz .LBB117_223
; %bb.220:
	v_dual_mov_b32 v3, 0 :: v_dual_add_nc_u32 v4, -1, v0
	v_dual_mov_b32 v6, v7 :: v_dual_add_nc_u32 v5, 0x1b0, v7
	v_mov_b32_e32 v7, 0
	s_mov_b32 s1, 0
.LBB117_221:                            ; =>This Inner Loop Header: Depth=1
	scratch_load_b64 v[9:10], v6, off
	ds_load_b64 v[11:12], v5
	v_add_nc_u32_e32 v6, 8, v6
	v_add_nc_u32_e32 v4, 1, v4
	;; [unrolled: 1-line block ×3, first 2 shown]
	s_delay_alu instid0(VALU_DEP_2)
	v_cmp_lt_u32_e32 vcc_lo, 50, v4
	s_wait_alu 0xfffe
	s_or_b32 s1, vcc_lo, s1
	s_wait_loadcnt_dscnt 0x0
	v_mul_f32_e32 v13, v12, v10
	v_mul_f32_e32 v10, v11, v10
	s_delay_alu instid0(VALU_DEP_2) | instskip(NEXT) | instid1(VALU_DEP_1)
	v_fma_f32 v11, v11, v9, -v13
	v_dual_fmac_f32 v10, v12, v9 :: v_dual_add_f32 v7, v7, v11
	s_delay_alu instid0(VALU_DEP_1)
	v_add_f32_e32 v3, v3, v10
	s_wait_alu 0xfffe
	s_and_not1_b32 exec_lo, exec_lo, s1
	s_cbranch_execnz .LBB117_221
; %bb.222:
	s_or_b32 exec_lo, exec_lo, s1
	v_mov_b32_e32 v4, 0
	ds_load_b64 v[4:5], v4 offset:416
	s_wait_dscnt 0x0
	v_mul_f32_e32 v9, v3, v5
	v_mul_f32_e32 v6, v7, v5
	s_delay_alu instid0(VALU_DEP_2) | instskip(NEXT) | instid1(VALU_DEP_2)
	v_fma_f32 v5, v7, v4, -v9
	v_fmac_f32_e32 v6, v3, v4
	scratch_store_b64 off, v[5:6], off offset:416
.LBB117_223:
	s_wait_alu 0xfffe
	s_or_b32 exec_lo, exec_lo, s0
	s_wait_loadcnt 0x0
	s_wait_storecnt 0x0
	s_barrier_signal -1
	s_barrier_wait -1
	global_inv scope:SCOPE_SE
	scratch_load_b64 v[3:4], off, off offset:424
	s_mov_b32 s0, exec_lo
	s_wait_loadcnt 0x0
	ds_store_b64 v1, v[3:4]
	s_wait_dscnt 0x0
	s_barrier_signal -1
	s_barrier_wait -1
	global_inv scope:SCOPE_SE
	v_cmpx_ne_u32_e32 53, v0
	s_cbranch_execz .LBB117_227
; %bb.224:
	v_dual_mov_b32 v3, 0 :: v_dual_mov_b32 v4, 0
	s_mov_b32 s1, 0
.LBB117_225:                            ; =>This Inner Loop Header: Depth=1
	scratch_load_b64 v[5:6], v8, off
	ds_load_b64 v[9:10], v1
	v_add_nc_u32_e32 v2, 1, v2
	v_add_nc_u32_e32 v1, 8, v1
	;; [unrolled: 1-line block ×3, first 2 shown]
	s_delay_alu instid0(VALU_DEP_3)
	v_cmp_lt_u32_e32 vcc_lo, 51, v2
	s_wait_alu 0xfffe
	s_or_b32 s1, vcc_lo, s1
	s_wait_loadcnt_dscnt 0x0
	v_mul_f32_e32 v7, v10, v6
	v_mul_f32_e32 v6, v9, v6
	s_delay_alu instid0(VALU_DEP_2) | instskip(NEXT) | instid1(VALU_DEP_2)
	v_fma_f32 v7, v9, v5, -v7
	v_fmac_f32_e32 v6, v10, v5
	s_delay_alu instid0(VALU_DEP_1)
	v_dual_add_f32 v4, v4, v7 :: v_dual_add_f32 v3, v3, v6
	s_wait_alu 0xfffe
	s_and_not1_b32 exec_lo, exec_lo, s1
	s_cbranch_execnz .LBB117_225
; %bb.226:
	s_or_b32 exec_lo, exec_lo, s1
	v_mov_b32_e32 v1, 0
	ds_load_b64 v[1:2], v1 offset:424
	s_wait_dscnt 0x0
	v_mul_f32_e32 v6, v3, v2
	v_mul_f32_e32 v5, v4, v2
	s_delay_alu instid0(VALU_DEP_2) | instskip(NEXT) | instid1(VALU_DEP_2)
	v_fma_f32 v4, v4, v1, -v6
	v_fmac_f32_e32 v5, v3, v1
	scratch_store_b64 off, v[4:5], off offset:424
.LBB117_227:
	s_wait_alu 0xfffe
	s_or_b32 exec_lo, exec_lo, s0
	s_mov_b32 s1, -1
	s_wait_loadcnt 0x0
	s_wait_storecnt 0x0
	s_barrier_signal -1
	s_barrier_wait -1
	global_inv scope:SCOPE_SE
.LBB117_228:
	s_wait_alu 0xfffe
	s_and_b32 vcc_lo, exec_lo, s1
	s_wait_alu 0xfffe
	s_cbranch_vccz .LBB117_230
; %bb.229:
	v_mov_b32_e32 v1, 0
	s_lshl_b64 s[0:1], s[8:9], 2
	s_wait_alu 0xfffe
	s_add_nc_u64 s[0:1], s[6:7], s[0:1]
	global_load_b32 v1, v1, s[0:1]
	s_wait_loadcnt 0x0
	v_cmp_ne_u32_e32 vcc_lo, 0, v1
	s_cbranch_vccz .LBB117_231
.LBB117_230:
	s_nop 0
	s_sendmsg sendmsg(MSG_DEALLOC_VGPRS)
	s_endpgm
.LBB117_231:
	v_lshl_add_u32 v27, v0, 3, 0x1b0
	s_mov_b32 s0, exec_lo
	v_cmpx_eq_u32_e32 53, v0
	s_cbranch_execz .LBB117_233
; %bb.232:
	scratch_load_b64 v[1:2], off, off offset:416
	v_mov_b32_e32 v3, 0
	s_delay_alu instid0(VALU_DEP_1)
	v_mov_b32_e32 v4, v3
	scratch_store_b64 off, v[3:4], off offset:416
	s_wait_loadcnt 0x0
	ds_store_b64 v27, v[1:2]
.LBB117_233:
	s_wait_alu 0xfffe
	s_or_b32 exec_lo, exec_lo, s0
	s_wait_storecnt_dscnt 0x0
	s_barrier_signal -1
	s_barrier_wait -1
	global_inv scope:SCOPE_SE
	s_clause 0x1
	scratch_load_b64 v[2:3], off, off offset:424
	scratch_load_b64 v[4:5], off, off offset:416
	v_mov_b32_e32 v1, 0
	s_mov_b32 s0, exec_lo
	ds_load_b64 v[6:7], v1 offset:856
	s_wait_loadcnt_dscnt 0x100
	v_mul_f32_e32 v8, v7, v3
	v_mul_f32_e32 v3, v6, v3
	s_delay_alu instid0(VALU_DEP_2) | instskip(NEXT) | instid1(VALU_DEP_2)
	v_fma_f32 v6, v6, v2, -v8
	v_fmac_f32_e32 v3, v7, v2
	s_delay_alu instid0(VALU_DEP_1) | instskip(SKIP_1) | instid1(VALU_DEP_1)
	v_dual_add_f32 v2, 0, v6 :: v_dual_add_f32 v3, 0, v3
	s_wait_loadcnt 0x0
	v_dual_sub_f32 v2, v4, v2 :: v_dual_sub_f32 v3, v5, v3
	scratch_store_b64 off, v[2:3], off offset:416
	v_cmpx_lt_u32_e32 51, v0
	s_cbranch_execz .LBB117_235
; %bb.234:
	scratch_load_b64 v[3:4], off, off offset:408
	v_mov_b32_e32 v2, v1
	scratch_store_b64 off, v[1:2], off offset:408
	s_wait_loadcnt 0x0
	ds_store_b64 v27, v[3:4]
.LBB117_235:
	s_wait_alu 0xfffe
	s_or_b32 exec_lo, exec_lo, s0
	s_wait_storecnt_dscnt 0x0
	s_barrier_signal -1
	s_barrier_wait -1
	global_inv scope:SCOPE_SE
	s_clause 0x1
	scratch_load_b128 v[2:5], off, off offset:416
	scratch_load_b64 v[10:11], off, off offset:408
	ds_load_b128 v[6:9], v1 offset:848
	s_mov_b32 s0, exec_lo
	s_wait_loadcnt_dscnt 0x100
	v_dual_mul_f32 v1, v7, v3 :: v_dual_mul_f32 v12, v8, v5
	v_mul_f32_e32 v3, v6, v3
	s_delay_alu instid0(VALU_DEP_2) | instskip(NEXT) | instid1(VALU_DEP_2)
	v_fma_f32 v1, v6, v2, -v1
	v_dual_fmac_f32 v12, v9, v4 :: v_dual_fmac_f32 v3, v7, v2
	s_delay_alu instid0(VALU_DEP_2) | instskip(NEXT) | instid1(VALU_DEP_2)
	v_add_f32_e32 v1, 0, v1
	v_add_f32_e32 v3, 0, v3
	v_mul_f32_e32 v5, v9, v5
	s_delay_alu instid0(VALU_DEP_1) | instskip(NEXT) | instid1(VALU_DEP_1)
	v_fma_f32 v2, v8, v4, -v5
	v_dual_add_f32 v1, v1, v2 :: v_dual_add_f32 v2, v3, v12
	s_wait_loadcnt 0x0
	s_delay_alu instid0(VALU_DEP_1)
	v_dual_sub_f32 v1, v10, v1 :: v_dual_sub_f32 v2, v11, v2
	scratch_store_b64 off, v[1:2], off offset:408
	v_cmpx_lt_u32_e32 50, v0
	s_cbranch_execz .LBB117_237
; %bb.236:
	scratch_load_b64 v[1:2], off, off offset:400
	v_mov_b32_e32 v3, 0
	s_delay_alu instid0(VALU_DEP_1)
	v_mov_b32_e32 v4, v3
	scratch_store_b64 off, v[3:4], off offset:400
	s_wait_loadcnt 0x0
	ds_store_b64 v27, v[1:2]
.LBB117_237:
	s_wait_alu 0xfffe
	s_or_b32 exec_lo, exec_lo, s0
	s_wait_storecnt_dscnt 0x0
	s_barrier_signal -1
	s_barrier_wait -1
	global_inv scope:SCOPE_SE
	s_clause 0x2
	scratch_load_b128 v[2:5], off, off offset:408
	scratch_load_b64 v[10:11], off, off offset:424
	scratch_load_b64 v[12:13], off, off offset:400
	v_mov_b32_e32 v1, 0
	ds_load_2addr_b64 v[6:9], v1 offset0:105 offset1:106
	ds_load_b64 v[14:15], v1 offset:856
	s_mov_b32 s0, exec_lo
	s_wait_loadcnt_dscnt 0x201
	v_dual_mul_f32 v16, v7, v3 :: v_dual_mul_f32 v17, v8, v5
	s_wait_loadcnt_dscnt 0x100
	v_mul_f32_e32 v18, v14, v11
	v_mul_f32_e32 v3, v6, v3
	v_mul_f32_e32 v5, v9, v5
	v_fma_f32 v6, v6, v2, -v16
	s_delay_alu instid0(VALU_DEP_4) | instskip(NEXT) | instid1(VALU_DEP_4)
	v_fmac_f32_e32 v18, v15, v10
	v_fmac_f32_e32 v3, v7, v2
	v_mul_f32_e32 v2, v15, v11
	s_delay_alu instid0(VALU_DEP_1) | instskip(SKIP_3) | instid1(VALU_DEP_1)
	v_fma_f32 v2, v14, v10, -v2
	v_fmac_f32_e32 v17, v9, v4
	v_fma_f32 v4, v8, v4, -v5
	v_add_f32_e32 v5, 0, v6
	v_add_f32_e32 v4, v5, v4
	s_delay_alu instid0(VALU_DEP_1) | instskip(SKIP_1) | instid1(VALU_DEP_1)
	v_dual_add_f32 v2, v4, v2 :: v_dual_add_f32 v3, 0, v3
	s_wait_loadcnt 0x0
	v_dual_sub_f32 v2, v12, v2 :: v_dual_add_f32 v3, v3, v17
	s_delay_alu instid0(VALU_DEP_1) | instskip(NEXT) | instid1(VALU_DEP_1)
	v_add_f32_e32 v3, v3, v18
	v_sub_f32_e32 v3, v13, v3
	scratch_store_b64 off, v[2:3], off offset:400
	v_cmpx_lt_u32_e32 49, v0
	s_cbranch_execz .LBB117_239
; %bb.238:
	scratch_load_b64 v[3:4], off, off offset:392
	v_mov_b32_e32 v2, v1
	scratch_store_b64 off, v[1:2], off offset:392
	s_wait_loadcnt 0x0
	ds_store_b64 v27, v[3:4]
.LBB117_239:
	s_wait_alu 0xfffe
	s_or_b32 exec_lo, exec_lo, s0
	s_wait_storecnt_dscnt 0x0
	s_barrier_signal -1
	s_barrier_wait -1
	global_inv scope:SCOPE_SE
	s_clause 0x2
	scratch_load_b128 v[2:5], off, off offset:400
	scratch_load_b128 v[6:9], off, off offset:416
	scratch_load_b64 v[18:19], off, off offset:392
	ds_load_b128 v[10:13], v1 offset:832
	ds_load_b128 v[14:17], v1 offset:848
	s_mov_b32 s0, exec_lo
	s_wait_loadcnt_dscnt 0x201
	v_dual_mul_f32 v1, v10, v3 :: v_dual_mul_f32 v20, v12, v5
	s_wait_loadcnt_dscnt 0x100
	v_dual_mul_f32 v3, v11, v3 :: v_dual_mul_f32 v22, v16, v9
	v_mul_f32_e32 v5, v13, v5
	s_delay_alu instid0(VALU_DEP_3) | instskip(NEXT) | instid1(VALU_DEP_3)
	v_dual_mul_f32 v21, v14, v7 :: v_dual_fmac_f32 v20, v13, v4
	v_fma_f32 v3, v10, v2, -v3
	s_delay_alu instid0(VALU_DEP_4) | instskip(SKIP_2) | instid1(VALU_DEP_4)
	v_dual_fmac_f32 v1, v11, v2 :: v_dual_fmac_f32 v22, v17, v8
	v_mul_f32_e32 v2, v15, v7
	v_fma_f32 v4, v12, v4, -v5
	v_add_f32_e32 v3, 0, v3
	v_fmac_f32_e32 v21, v15, v6
	s_delay_alu instid0(VALU_DEP_4) | instskip(NEXT) | instid1(VALU_DEP_3)
	v_fma_f32 v2, v14, v6, -v2
	v_add_f32_e32 v3, v3, v4
	s_delay_alu instid0(VALU_DEP_1) | instskip(NEXT) | instid1(VALU_DEP_1)
	v_dual_add_f32 v1, 0, v1 :: v_dual_add_f32 v2, v3, v2
	v_add_f32_e32 v1, v1, v20
	s_delay_alu instid0(VALU_DEP_1) | instskip(NEXT) | instid1(VALU_DEP_1)
	v_add_f32_e32 v1, v1, v21
	v_add_f32_e32 v3, v1, v22
	v_mul_f32_e32 v5, v17, v9
	s_delay_alu instid0(VALU_DEP_1) | instskip(NEXT) | instid1(VALU_DEP_1)
	v_fma_f32 v4, v16, v8, -v5
	v_add_f32_e32 v2, v2, v4
	s_wait_loadcnt 0x0
	s_delay_alu instid0(VALU_DEP_1)
	v_dual_sub_f32 v1, v18, v2 :: v_dual_sub_f32 v2, v19, v3
	scratch_store_b64 off, v[1:2], off offset:392
	v_cmpx_lt_u32_e32 48, v0
	s_cbranch_execz .LBB117_241
; %bb.240:
	scratch_load_b64 v[1:2], off, off offset:384
	v_mov_b32_e32 v3, 0
	s_delay_alu instid0(VALU_DEP_1)
	v_mov_b32_e32 v4, v3
	scratch_store_b64 off, v[3:4], off offset:384
	s_wait_loadcnt 0x0
	ds_store_b64 v27, v[1:2]
.LBB117_241:
	s_wait_alu 0xfffe
	s_or_b32 exec_lo, exec_lo, s0
	s_wait_storecnt_dscnt 0x0
	s_barrier_signal -1
	s_barrier_wait -1
	global_inv scope:SCOPE_SE
	s_clause 0x3
	scratch_load_b128 v[2:5], off, off offset:392
	scratch_load_b128 v[6:9], off, off offset:408
	scratch_load_b64 v[18:19], off, off offset:424
	scratch_load_b64 v[20:21], off, off offset:384
	v_mov_b32_e32 v1, 0
	ds_load_2addr_b64 v[10:13], v1 offset0:103 offset1:104
	ds_load_2addr_b64 v[14:17], v1 offset0:105 offset1:106
	ds_load_b64 v[22:23], v1 offset:856
	s_mov_b32 s0, exec_lo
	s_wait_loadcnt_dscnt 0x302
	v_mul_f32_e32 v24, v10, v3
	s_wait_loadcnt_dscnt 0x201
	v_dual_mul_f32 v3, v11, v3 :: v_dual_mul_f32 v28, v16, v9
	v_dual_mul_f32 v25, v12, v5 :: v_dual_mul_f32 v26, v14, v7
	s_wait_loadcnt_dscnt 0x100
	v_dual_mul_f32 v29, v22, v19 :: v_dual_fmac_f32 v24, v11, v2
	v_mul_f32_e32 v5, v13, v5
	v_fma_f32 v3, v10, v2, -v3
	v_dual_mul_f32 v2, v15, v7 :: v_dual_fmac_f32 v25, v13, v4
	v_fmac_f32_e32 v26, v15, v6
	s_delay_alu instid0(VALU_DEP_4) | instskip(SKIP_1) | instid1(VALU_DEP_4)
	v_fma_f32 v4, v12, v4, -v5
	v_fmac_f32_e32 v29, v23, v18
	v_fma_f32 v2, v14, v6, -v2
	v_add_f32_e32 v5, 0, v24
	v_dual_add_f32 v3, 0, v3 :: v_dual_fmac_f32 v28, v17, v8
	s_delay_alu instid0(VALU_DEP_1) | instskip(NEXT) | instid1(VALU_DEP_1)
	v_add_f32_e32 v3, v3, v4
	v_dual_add_f32 v2, v3, v2 :: v_dual_mul_f32 v7, v17, v9
	s_delay_alu instid0(VALU_DEP_4) | instskip(NEXT) | instid1(VALU_DEP_2)
	v_dual_add_f32 v4, v5, v25 :: v_dual_mul_f32 v5, v23, v19
	v_fma_f32 v6, v16, v8, -v7
	s_delay_alu instid0(VALU_DEP_1) | instskip(NEXT) | instid1(VALU_DEP_3)
	v_add_f32_e32 v2, v2, v6
	v_add_f32_e32 v3, v4, v26
	s_delay_alu instid0(VALU_DEP_4) | instskip(NEXT) | instid1(VALU_DEP_1)
	v_fma_f32 v4, v22, v18, -v5
	v_add_f32_e32 v2, v2, v4
	s_wait_loadcnt 0x0
	s_delay_alu instid0(VALU_DEP_1) | instskip(NEXT) | instid1(VALU_DEP_1)
	v_dual_add_f32 v3, v3, v28 :: v_dual_sub_f32 v2, v20, v2
	v_add_f32_e32 v3, v3, v29
	s_delay_alu instid0(VALU_DEP_1)
	v_sub_f32_e32 v3, v21, v3
	scratch_store_b64 off, v[2:3], off offset:384
	v_cmpx_lt_u32_e32 47, v0
	s_cbranch_execz .LBB117_243
; %bb.242:
	scratch_load_b64 v[3:4], off, off offset:376
	v_mov_b32_e32 v2, v1
	scratch_store_b64 off, v[1:2], off offset:376
	s_wait_loadcnt 0x0
	ds_store_b64 v27, v[3:4]
.LBB117_243:
	s_wait_alu 0xfffe
	s_or_b32 exec_lo, exec_lo, s0
	s_wait_storecnt_dscnt 0x0
	s_barrier_signal -1
	s_barrier_wait -1
	global_inv scope:SCOPE_SE
	s_clause 0x3
	scratch_load_b128 v[2:5], off, off offset:384
	scratch_load_b128 v[6:9], off, off offset:400
	scratch_load_b128 v[10:13], off, off offset:416
	scratch_load_b64 v[28:29], off, off offset:376
	ds_load_b128 v[14:17], v1 offset:816
	ds_load_b128 v[18:21], v1 offset:832
	;; [unrolled: 1-line block ×3, first 2 shown]
	s_mov_b32 s0, exec_lo
	s_wait_loadcnt_dscnt 0x302
	v_dual_mul_f32 v1, v14, v3 :: v_dual_mul_f32 v26, v16, v5
	v_mul_f32_e32 v3, v15, v3
	s_wait_loadcnt_dscnt 0x201
	v_dual_mul_f32 v5, v17, v5 :: v_dual_mul_f32 v30, v18, v7
	s_delay_alu instid0(VALU_DEP_3) | instskip(NEXT) | instid1(VALU_DEP_3)
	v_dual_mul_f32 v31, v20, v9 :: v_dual_fmac_f32 v26, v17, v4
	v_fma_f32 v3, v14, v2, -v3
	v_fmac_f32_e32 v1, v15, v2
	v_mul_f32_e32 v2, v19, v7
	v_fma_f32 v4, v16, v4, -v5
	s_delay_alu instid0(VALU_DEP_4)
	v_dual_fmac_f32 v30, v19, v6 :: v_dual_add_f32 v3, 0, v3
	s_wait_loadcnt_dscnt 0x100
	v_dual_mul_f32 v140, v22, v11 :: v_dual_mul_f32 v141, v24, v13
	v_fma_f32 v2, v18, v6, -v2
	v_fmac_f32_e32 v31, v21, v8
	v_add_f32_e32 v3, v3, v4
	s_delay_alu instid0(VALU_DEP_4) | instskip(SKIP_1) | instid1(VALU_DEP_3)
	v_dual_mul_f32 v5, v21, v9 :: v_dual_fmac_f32 v140, v23, v10
	v_dual_fmac_f32 v141, v25, v12 :: v_dual_mul_f32 v4, v23, v11
	v_add_f32_e32 v2, v3, v2
	s_delay_alu instid0(VALU_DEP_3) | instskip(SKIP_1) | instid1(VALU_DEP_4)
	v_fma_f32 v5, v20, v8, -v5
	v_mul_f32_e32 v3, v25, v13
	v_fma_f32 v4, v22, v10, -v4
	s_delay_alu instid0(VALU_DEP_3) | instskip(SKIP_1) | instid1(VALU_DEP_4)
	v_add_f32_e32 v2, v2, v5
	v_add_f32_e32 v1, 0, v1
	v_fma_f32 v3, v24, v12, -v3
	s_delay_alu instid0(VALU_DEP_2) | instskip(NEXT) | instid1(VALU_DEP_1)
	v_dual_add_f32 v2, v2, v4 :: v_dual_add_f32 v1, v1, v26
	v_dual_add_f32 v2, v2, v3 :: v_dual_add_f32 v1, v1, v30
	s_delay_alu instid0(VALU_DEP_1) | instskip(NEXT) | instid1(VALU_DEP_1)
	v_add_f32_e32 v1, v1, v31
	v_add_f32_e32 v1, v1, v140
	s_delay_alu instid0(VALU_DEP_1) | instskip(SKIP_1) | instid1(VALU_DEP_1)
	v_add_f32_e32 v3, v1, v141
	s_wait_loadcnt 0x0
	v_dual_sub_f32 v1, v28, v2 :: v_dual_sub_f32 v2, v29, v3
	scratch_store_b64 off, v[1:2], off offset:376
	v_cmpx_lt_u32_e32 46, v0
	s_cbranch_execz .LBB117_245
; %bb.244:
	scratch_load_b64 v[1:2], off, off offset:368
	v_mov_b32_e32 v3, 0
	s_delay_alu instid0(VALU_DEP_1)
	v_mov_b32_e32 v4, v3
	scratch_store_b64 off, v[3:4], off offset:368
	s_wait_loadcnt 0x0
	ds_store_b64 v27, v[1:2]
.LBB117_245:
	s_wait_alu 0xfffe
	s_or_b32 exec_lo, exec_lo, s0
	s_wait_storecnt_dscnt 0x0
	s_barrier_signal -1
	s_barrier_wait -1
	global_inv scope:SCOPE_SE
	s_clause 0x4
	scratch_load_b128 v[2:5], off, off offset:376
	scratch_load_b128 v[6:9], off, off offset:392
	;; [unrolled: 1-line block ×3, first 2 shown]
	scratch_load_b64 v[28:29], off, off offset:424
	scratch_load_b64 v[30:31], off, off offset:368
	v_mov_b32_e32 v1, 0
	ds_load_2addr_b64 v[14:17], v1 offset0:101 offset1:102
	ds_load_2addr_b64 v[18:21], v1 offset0:103 offset1:104
	ds_load_2addr_b64 v[22:25], v1 offset0:105 offset1:106
	ds_load_b64 v[140:141], v1 offset:856
	s_mov_b32 s0, exec_lo
	s_wait_loadcnt_dscnt 0x403
	v_mul_f32_e32 v26, v14, v3
	s_wait_loadcnt_dscnt 0x302
	v_dual_mul_f32 v144, v20, v9 :: v_dual_mul_f32 v3, v15, v3
	v_dual_mul_f32 v142, v16, v5 :: v_dual_mul_f32 v143, v18, v7
	s_wait_loadcnt_dscnt 0x100
	v_dual_mul_f32 v147, v140, v29 :: v_dual_fmac_f32 v26, v15, v2
	v_mul_f32_e32 v5, v17, v5
	v_fma_f32 v3, v14, v2, -v3
	v_mul_f32_e32 v2, v19, v7
	v_dual_fmac_f32 v142, v17, v4 :: v_dual_fmac_f32 v143, v19, v6
	s_delay_alu instid0(VALU_DEP_4) | instskip(NEXT) | instid1(VALU_DEP_4)
	v_fma_f32 v4, v16, v4, -v5
	v_add_f32_e32 v3, 0, v3
	v_dual_add_f32 v5, 0, v26 :: v_dual_fmac_f32 v144, v21, v8
	v_fma_f32 v2, v18, v6, -v2
	v_dual_mul_f32 v145, v22, v11 :: v_dual_mul_f32 v146, v24, v13
	s_delay_alu instid0(VALU_DEP_3) | instskip(SKIP_1) | instid1(VALU_DEP_3)
	v_dual_add_f32 v3, v3, v4 :: v_dual_add_f32 v4, v5, v142
	v_mul_f32_e32 v7, v21, v9
	v_dual_fmac_f32 v145, v23, v10 :: v_dual_fmac_f32 v146, v25, v12
	s_delay_alu instid0(VALU_DEP_3) | instskip(NEXT) | instid1(VALU_DEP_3)
	v_dual_add_f32 v2, v3, v2 :: v_dual_add_f32 v3, v4, v143
	v_fma_f32 v6, v20, v8, -v7
	v_dual_mul_f32 v5, v23, v11 :: v_dual_mul_f32 v4, v25, v13
	s_delay_alu instid0(VALU_DEP_2) | instskip(NEXT) | instid1(VALU_DEP_2)
	v_add_f32_e32 v2, v2, v6
	v_fma_f32 v5, v22, v10, -v5
	v_dual_mul_f32 v6, v141, v29 :: v_dual_add_f32 v3, v3, v144
	s_delay_alu instid0(VALU_DEP_4) | instskip(NEXT) | instid1(VALU_DEP_3)
	v_fma_f32 v4, v24, v12, -v4
	v_add_f32_e32 v2, v2, v5
	s_delay_alu instid0(VALU_DEP_3) | instskip(NEXT) | instid1(VALU_DEP_2)
	v_fma_f32 v5, v140, v28, -v6
	v_dual_add_f32 v3, v3, v145 :: v_dual_add_f32 v2, v2, v4
	v_fmac_f32_e32 v147, v141, v28
	s_delay_alu instid0(VALU_DEP_2) | instskip(SKIP_1) | instid1(VALU_DEP_1)
	v_dual_add_f32 v3, v3, v146 :: v_dual_add_f32 v2, v2, v5
	s_wait_loadcnt 0x0
	v_dual_add_f32 v3, v3, v147 :: v_dual_sub_f32 v2, v30, v2
	s_delay_alu instid0(VALU_DEP_1)
	v_sub_f32_e32 v3, v31, v3
	scratch_store_b64 off, v[2:3], off offset:368
	v_cmpx_lt_u32_e32 45, v0
	s_cbranch_execz .LBB117_247
; %bb.246:
	scratch_load_b64 v[3:4], off, off offset:360
	v_mov_b32_e32 v2, v1
	scratch_store_b64 off, v[1:2], off offset:360
	s_wait_loadcnt 0x0
	ds_store_b64 v27, v[3:4]
.LBB117_247:
	s_wait_alu 0xfffe
	s_or_b32 exec_lo, exec_lo, s0
	s_wait_storecnt_dscnt 0x0
	s_barrier_signal -1
	s_barrier_wait -1
	global_inv scope:SCOPE_SE
	s_clause 0x4
	scratch_load_b128 v[2:5], off, off offset:368
	scratch_load_b128 v[6:9], off, off offset:384
	;; [unrolled: 1-line block ×4, first 2 shown]
	scratch_load_b64 v[144:145], off, off offset:360
	ds_load_b128 v[18:21], v1 offset:800
	ds_load_b128 v[22:25], v1 offset:816
	;; [unrolled: 1-line block ×4, first 2 shown]
	s_mov_b32 s0, exec_lo
	s_wait_loadcnt_dscnt 0x403
	v_dual_mul_f32 v1, v18, v3 :: v_dual_mul_f32 v26, v20, v5
	v_mul_f32_e32 v3, v19, v3
	s_wait_loadcnt_dscnt 0x302
	v_dual_mul_f32 v5, v21, v5 :: v_dual_mul_f32 v146, v22, v7
	s_delay_alu instid0(VALU_DEP_3) | instskip(NEXT) | instid1(VALU_DEP_3)
	v_dual_mul_f32 v147, v24, v9 :: v_dual_fmac_f32 v26, v21, v4
	v_fma_f32 v3, v18, v2, -v3
	v_fmac_f32_e32 v1, v19, v2
	v_mul_f32_e32 v2, v23, v7
	v_fma_f32 v4, v20, v4, -v5
	s_wait_loadcnt_dscnt 0x201
	v_dual_mul_f32 v148, v28, v11 :: v_dual_mul_f32 v149, v30, v13
	v_dual_add_f32 v3, 0, v3 :: v_dual_fmac_f32 v146, v23, v6
	v_fma_f32 v2, v22, v6, -v2
	s_delay_alu instid0(VALU_DEP_3)
	v_fmac_f32_e32 v148, v29, v10
	s_wait_loadcnt_dscnt 0x100
	v_dual_mul_f32 v150, v140, v15 :: v_dual_mul_f32 v151, v142, v17
	v_dual_add_f32 v3, v3, v4 :: v_dual_mul_f32 v4, v29, v11
	v_add_f32_e32 v1, 0, v1
	v_fmac_f32_e32 v147, v25, v8
	s_delay_alu instid0(VALU_DEP_4) | instskip(NEXT) | instid1(VALU_DEP_4)
	v_fmac_f32_e32 v150, v141, v14
	v_add_f32_e32 v2, v3, v2
	v_fma_f32 v4, v28, v10, -v4
	v_mul_f32_e32 v5, v25, v9
	v_mul_f32_e32 v3, v31, v13
	v_fmac_f32_e32 v151, v143, v16
	s_delay_alu instid0(VALU_DEP_3) | instskip(SKIP_1) | instid1(VALU_DEP_4)
	v_fma_f32 v5, v24, v8, -v5
	v_add_f32_e32 v1, v1, v26
	v_fma_f32 v3, v30, v12, -v3
	s_delay_alu instid0(VALU_DEP_3) | instskip(NEXT) | instid1(VALU_DEP_1)
	v_dual_add_f32 v2, v2, v5 :: v_dual_mul_f32 v5, v141, v15
	v_dual_add_f32 v2, v2, v4 :: v_dual_add_f32 v1, v1, v146
	v_mul_f32_e32 v4, v143, v17
	s_delay_alu instid0(VALU_DEP_3) | instskip(NEXT) | instid1(VALU_DEP_3)
	v_fma_f32 v5, v140, v14, -v5
	v_add_f32_e32 v2, v2, v3
	s_delay_alu instid0(VALU_DEP_4) | instskip(NEXT) | instid1(VALU_DEP_4)
	v_add_f32_e32 v1, v1, v147
	v_fma_f32 v3, v142, v16, -v4
	s_delay_alu instid0(VALU_DEP_3) | instskip(NEXT) | instid1(VALU_DEP_1)
	v_dual_add_f32 v2, v2, v5 :: v_dual_fmac_f32 v149, v31, v12
	v_dual_add_f32 v1, v1, v148 :: v_dual_add_f32 v2, v2, v3
	s_delay_alu instid0(VALU_DEP_1) | instskip(NEXT) | instid1(VALU_DEP_1)
	v_add_f32_e32 v1, v1, v149
	v_add_f32_e32 v1, v1, v150
	s_delay_alu instid0(VALU_DEP_1) | instskip(SKIP_1) | instid1(VALU_DEP_1)
	v_add_f32_e32 v3, v1, v151
	s_wait_loadcnt 0x0
	v_dual_sub_f32 v1, v144, v2 :: v_dual_sub_f32 v2, v145, v3
	scratch_store_b64 off, v[1:2], off offset:360
	v_cmpx_lt_u32_e32 44, v0
	s_cbranch_execz .LBB117_249
; %bb.248:
	scratch_load_b64 v[1:2], off, off offset:352
	v_mov_b32_e32 v3, 0
	s_delay_alu instid0(VALU_DEP_1)
	v_mov_b32_e32 v4, v3
	scratch_store_b64 off, v[3:4], off offset:352
	s_wait_loadcnt 0x0
	ds_store_b64 v27, v[1:2]
.LBB117_249:
	s_wait_alu 0xfffe
	s_or_b32 exec_lo, exec_lo, s0
	s_wait_storecnt_dscnt 0x0
	s_barrier_signal -1
	s_barrier_wait -1
	global_inv scope:SCOPE_SE
	s_clause 0x5
	scratch_load_b128 v[2:5], off, off offset:360
	scratch_load_b128 v[6:9], off, off offset:376
	;; [unrolled: 1-line block ×4, first 2 shown]
	scratch_load_b64 v[144:145], off, off offset:424
	scratch_load_b64 v[146:147], off, off offset:352
	v_mov_b32_e32 v1, 0
	ds_load_2addr_b64 v[18:21], v1 offset0:99 offset1:100
	ds_load_2addr_b64 v[22:25], v1 offset0:101 offset1:102
	;; [unrolled: 1-line block ×4, first 2 shown]
	ds_load_b64 v[148:149], v1 offset:856
	s_mov_b32 s0, exec_lo
	s_wait_loadcnt_dscnt 0x504
	v_mul_f32_e32 v26, v18, v3
	s_wait_loadcnt_dscnt 0x403
	v_dual_mul_f32 v152, v24, v9 :: v_dual_mul_f32 v3, v19, v3
	v_dual_mul_f32 v150, v20, v5 :: v_dual_mul_f32 v151, v22, v7
	s_wait_loadcnt_dscnt 0x100
	v_dual_mul_f32 v157, v148, v145 :: v_dual_fmac_f32 v26, v19, v2
	v_mul_f32_e32 v5, v21, v5
	v_fma_f32 v3, v18, v2, -v3
	v_mul_f32_e32 v2, v23, v7
	v_fmac_f32_e32 v150, v21, v4
	v_fmac_f32_e32 v152, v25, v8
	v_fma_f32 v4, v20, v4, -v5
	v_add_f32_e32 v3, 0, v3
	v_add_f32_e32 v5, 0, v26
	v_fma_f32 v2, v22, v6, -v2
	v_fmac_f32_e32 v151, v23, v6
	v_dual_mul_f32 v153, v28, v11 :: v_dual_mul_f32 v154, v30, v13
	s_delay_alu instid0(VALU_DEP_4) | instskip(SKIP_1) | instid1(VALU_DEP_3)
	v_dual_add_f32 v3, v3, v4 :: v_dual_add_f32 v4, v5, v150
	v_mul_f32_e32 v7, v25, v9
	v_dual_mul_f32 v5, v29, v11 :: v_dual_fmac_f32 v154, v31, v12
	s_delay_alu instid0(VALU_DEP_3) | instskip(SKIP_1) | instid1(VALU_DEP_4)
	v_dual_add_f32 v2, v3, v2 :: v_dual_mul_f32 v155, v140, v15
	v_mul_f32_e32 v156, v142, v17
	v_fma_f32 v6, v24, v8, -v7
	s_delay_alu instid0(VALU_DEP_2) | instskip(NEXT) | instid1(VALU_DEP_2)
	v_dual_fmac_f32 v155, v141, v14 :: v_dual_fmac_f32 v156, v143, v16
	v_add_f32_e32 v2, v2, v6
	v_mul_f32_e32 v6, v141, v15
	v_dual_add_f32 v3, v4, v151 :: v_dual_mul_f32 v4, v31, v13
	v_fma_f32 v5, v28, v10, -v5
	s_delay_alu instid0(VALU_DEP_3) | instskip(NEXT) | instid1(VALU_DEP_3)
	v_fma_f32 v6, v140, v14, -v6
	v_add_f32_e32 v3, v3, v152
	s_delay_alu instid0(VALU_DEP_3) | instskip(SKIP_1) | instid1(VALU_DEP_1)
	v_dual_fmac_f32 v153, v29, v10 :: v_dual_add_f32 v2, v2, v5
	v_fma_f32 v4, v30, v12, -v4
	v_dual_add_f32 v3, v3, v153 :: v_dual_add_f32 v2, v2, v4
	v_mul_f32_e32 v5, v143, v17
	s_delay_alu instid0(VALU_DEP_2) | instskip(NEXT) | instid1(VALU_DEP_3)
	v_dual_mul_f32 v4, v149, v145 :: v_dual_add_f32 v3, v3, v154
	v_add_f32_e32 v2, v2, v6
	s_delay_alu instid0(VALU_DEP_3) | instskip(NEXT) | instid1(VALU_DEP_3)
	v_fma_f32 v5, v142, v16, -v5
	v_fma_f32 v4, v148, v144, -v4
	s_delay_alu instid0(VALU_DEP_2) | instskip(NEXT) | instid1(VALU_DEP_1)
	v_dual_add_f32 v3, v3, v155 :: v_dual_add_f32 v2, v2, v5
	v_add_f32_e32 v3, v3, v156
	s_delay_alu instid0(VALU_DEP_2) | instskip(SKIP_1) | instid1(VALU_DEP_1)
	v_add_f32_e32 v2, v2, v4
	s_wait_loadcnt 0x0
	v_dual_fmac_f32 v157, v149, v144 :: v_dual_sub_f32 v2, v146, v2
	s_delay_alu instid0(VALU_DEP_1) | instskip(NEXT) | instid1(VALU_DEP_1)
	v_add_f32_e32 v3, v3, v157
	v_sub_f32_e32 v3, v147, v3
	scratch_store_b64 off, v[2:3], off offset:352
	v_cmpx_lt_u32_e32 43, v0
	s_cbranch_execz .LBB117_251
; %bb.250:
	scratch_load_b64 v[3:4], off, off offset:344
	v_mov_b32_e32 v2, v1
	scratch_store_b64 off, v[1:2], off offset:344
	s_wait_loadcnt 0x0
	ds_store_b64 v27, v[3:4]
.LBB117_251:
	s_wait_alu 0xfffe
	s_or_b32 exec_lo, exec_lo, s0
	s_wait_storecnt_dscnt 0x0
	s_barrier_signal -1
	s_barrier_wait -1
	global_inv scope:SCOPE_SE
	s_clause 0x5
	scratch_load_b128 v[2:5], off, off offset:352
	scratch_load_b128 v[6:9], off, off offset:368
	scratch_load_b128 v[10:13], off, off offset:384
	scratch_load_b128 v[14:17], off, off offset:400
	scratch_load_b128 v[18:21], off, off offset:416
	scratch_load_b64 v[152:153], off, off offset:344
	ds_load_b128 v[22:25], v1 offset:784
	ds_load_b128 v[28:31], v1 offset:800
	;; [unrolled: 1-line block ×5, first 2 shown]
	s_mov_b32 s0, exec_lo
	s_wait_loadcnt_dscnt 0x504
	v_dual_mul_f32 v1, v22, v3 :: v_dual_mul_f32 v26, v24, v5
	v_mul_f32_e32 v3, v23, v3
	s_wait_loadcnt_dscnt 0x403
	v_dual_mul_f32 v154, v28, v7 :: v_dual_mul_f32 v155, v30, v9
	s_delay_alu instid0(VALU_DEP_3) | instskip(NEXT) | instid1(VALU_DEP_3)
	v_dual_fmac_f32 v1, v23, v2 :: v_dual_fmac_f32 v26, v25, v4
	v_fma_f32 v3, v22, v2, -v3
	v_mul_f32_e32 v2, v29, v7
	s_wait_loadcnt_dscnt 0x302
	v_dual_mul_f32 v156, v140, v11 :: v_dual_mul_f32 v157, v142, v13
	s_delay_alu instid0(VALU_DEP_3) | instskip(NEXT) | instid1(VALU_DEP_3)
	v_dual_fmac_f32 v154, v29, v6 :: v_dual_add_f32 v3, 0, v3
	v_fma_f32 v2, v28, v6, -v2
	v_mul_f32_e32 v5, v25, v5
	s_delay_alu instid0(VALU_DEP_4) | instskip(SKIP_2) | instid1(VALU_DEP_3)
	v_dual_fmac_f32 v156, v141, v10 :: v_dual_add_f32 v1, 0, v1
	s_wait_loadcnt_dscnt 0x100
	v_dual_mul_f32 v160, v148, v19 :: v_dual_mul_f32 v161, v150, v21
	v_fma_f32 v4, v24, v4, -v5
	v_dual_mul_f32 v5, v31, v9 :: v_dual_mul_f32 v158, v144, v15
	s_delay_alu instid0(VALU_DEP_3) | instskip(SKIP_1) | instid1(VALU_DEP_3)
	v_dual_mul_f32 v159, v146, v17 :: v_dual_fmac_f32 v160, v149, v18
	v_fmac_f32_e32 v155, v31, v8
	v_fma_f32 v5, v30, v8, -v5
	v_dual_add_f32 v3, v3, v4 :: v_dual_mul_f32 v4, v141, v11
	s_delay_alu instid0(VALU_DEP_4) | instskip(SKIP_1) | instid1(VALU_DEP_3)
	v_dual_fmac_f32 v158, v145, v14 :: v_dual_fmac_f32 v159, v147, v16
	v_fmac_f32_e32 v161, v151, v20
	v_add_f32_e32 v2, v3, v2
	s_delay_alu instid0(VALU_DEP_4) | instskip(SKIP_1) | instid1(VALU_DEP_3)
	v_fma_f32 v4, v140, v10, -v4
	v_mul_f32_e32 v3, v143, v13
	v_dual_add_f32 v2, v2, v5 :: v_dual_add_f32 v1, v1, v26
	s_delay_alu instid0(VALU_DEP_2) | instskip(NEXT) | instid1(VALU_DEP_2)
	v_fma_f32 v3, v142, v12, -v3
	v_dual_add_f32 v2, v2, v4 :: v_dual_add_f32 v1, v1, v154
	v_mul_f32_e32 v4, v147, v17
	s_delay_alu instid0(VALU_DEP_2) | instskip(SKIP_1) | instid1(VALU_DEP_3)
	v_dual_fmac_f32 v157, v143, v12 :: v_dual_add_f32 v2, v2, v3
	v_mul_f32_e32 v3, v149, v19
	v_fma_f32 v4, v146, v16, -v4
	v_mul_f32_e32 v5, v145, v15
	s_delay_alu instid0(VALU_DEP_3) | instskip(NEXT) | instid1(VALU_DEP_2)
	v_fma_f32 v3, v148, v18, -v3
	v_fma_f32 v5, v144, v14, -v5
	s_delay_alu instid0(VALU_DEP_1) | instskip(NEXT) | instid1(VALU_DEP_1)
	v_dual_add_f32 v1, v1, v155 :: v_dual_add_f32 v2, v2, v5
	v_dual_mul_f32 v5, v151, v21 :: v_dual_add_f32 v2, v2, v4
	s_delay_alu instid0(VALU_DEP_2) | instskip(NEXT) | instid1(VALU_DEP_2)
	v_add_f32_e32 v1, v1, v156
	v_fma_f32 v4, v150, v20, -v5
	s_delay_alu instid0(VALU_DEP_2) | instskip(NEXT) | instid1(VALU_DEP_1)
	v_dual_add_f32 v2, v2, v3 :: v_dual_add_f32 v1, v1, v157
	v_dual_add_f32 v2, v2, v4 :: v_dual_add_f32 v1, v1, v158
	s_delay_alu instid0(VALU_DEP_1) | instskip(NEXT) | instid1(VALU_DEP_1)
	v_add_f32_e32 v1, v1, v159
	v_add_f32_e32 v1, v1, v160
	s_delay_alu instid0(VALU_DEP_1) | instskip(SKIP_1) | instid1(VALU_DEP_1)
	v_add_f32_e32 v3, v1, v161
	s_wait_loadcnt 0x0
	v_dual_sub_f32 v1, v152, v2 :: v_dual_sub_f32 v2, v153, v3
	scratch_store_b64 off, v[1:2], off offset:344
	v_cmpx_lt_u32_e32 42, v0
	s_cbranch_execz .LBB117_253
; %bb.252:
	scratch_load_b64 v[1:2], off, off offset:336
	v_mov_b32_e32 v3, 0
	s_delay_alu instid0(VALU_DEP_1)
	v_mov_b32_e32 v4, v3
	scratch_store_b64 off, v[3:4], off offset:336
	s_wait_loadcnt 0x0
	ds_store_b64 v27, v[1:2]
.LBB117_253:
	s_wait_alu 0xfffe
	s_or_b32 exec_lo, exec_lo, s0
	s_wait_storecnt_dscnt 0x0
	s_barrier_signal -1
	s_barrier_wait -1
	global_inv scope:SCOPE_SE
	s_clause 0x6
	scratch_load_b128 v[2:5], off, off offset:344
	scratch_load_b128 v[6:9], off, off offset:360
	;; [unrolled: 1-line block ×5, first 2 shown]
	scratch_load_b64 v[152:153], off, off offset:424
	scratch_load_b64 v[154:155], off, off offset:336
	v_mov_b32_e32 v1, 0
	ds_load_2addr_b64 v[22:25], v1 offset0:97 offset1:98
	ds_load_2addr_b64 v[28:31], v1 offset0:99 offset1:100
	;; [unrolled: 1-line block ×5, first 2 shown]
	ds_load_b64 v[156:157], v1 offset:856
	s_mov_b32 s0, exec_lo
	s_wait_loadcnt_dscnt 0x605
	v_mul_f32_e32 v26, v22, v3
	v_dual_mul_f32 v158, v24, v5 :: v_dual_mul_f32 v3, v23, v3
	s_wait_loadcnt_dscnt 0x504
	v_dual_mul_f32 v159, v28, v7 :: v_dual_mul_f32 v160, v30, v9
	v_mul_f32_e32 v5, v25, v5
	s_wait_loadcnt_dscnt 0x100
	v_dual_mul_f32 v167, v156, v153 :: v_dual_fmac_f32 v26, v23, v2
	v_fma_f32 v3, v22, v2, -v3
	v_mul_f32_e32 v2, v29, v7
	v_fmac_f32_e32 v158, v25, v4
	v_fmac_f32_e32 v160, v31, v8
	v_fma_f32 v4, v24, v4, -v5
	v_add_f32_e32 v3, 0, v3
	v_add_f32_e32 v5, 0, v26
	v_mul_f32_e32 v7, v31, v9
	v_fma_f32 v2, v28, v6, -v2
	v_fmac_f32_e32 v159, v29, v6
	s_delay_alu instid0(VALU_DEP_4) | instskip(SKIP_3) | instid1(VALU_DEP_4)
	v_dual_add_f32 v3, v3, v4 :: v_dual_add_f32 v4, v5, v158
	v_mul_f32_e32 v5, v141, v11
	v_fma_f32 v6, v30, v8, -v7
	v_dual_mul_f32 v161, v140, v11 :: v_dual_mul_f32 v162, v142, v13
	v_dual_add_f32 v2, v3, v2 :: v_dual_add_f32 v3, v4, v159
	v_mul_f32_e32 v4, v143, v13
	v_fma_f32 v5, v140, v10, -v5
	s_delay_alu instid0(VALU_DEP_4) | instskip(NEXT) | instid1(VALU_DEP_4)
	v_fmac_f32_e32 v162, v143, v12
	v_add_f32_e32 v2, v2, v6
	v_fmac_f32_e32 v161, v141, v10
	v_dual_add_f32 v3, v3, v160 :: v_dual_mul_f32 v6, v145, v15
	v_fma_f32 v4, v142, v12, -v4
	s_delay_alu instid0(VALU_DEP_4) | instskip(SKIP_1) | instid1(VALU_DEP_4)
	v_dual_add_f32 v2, v2, v5 :: v_dual_mul_f32 v163, v144, v15
	v_mul_f32_e32 v164, v146, v17
	v_add_f32_e32 v3, v3, v161
	v_mul_f32_e32 v5, v147, v17
	v_fma_f32 v6, v144, v14, -v6
	v_dual_add_f32 v2, v2, v4 :: v_dual_fmac_f32 v163, v145, v14
	v_fmac_f32_e32 v164, v147, v16
	v_mul_f32_e32 v4, v149, v19
	v_fma_f32 v5, v146, v16, -v5
	s_delay_alu instid0(VALU_DEP_4) | instskip(SKIP_4) | instid1(VALU_DEP_4)
	v_add_f32_e32 v2, v2, v6
	v_add_f32_e32 v3, v3, v162
	v_dual_mul_f32 v165, v148, v19 :: v_dual_mul_f32 v166, v150, v21
	v_mul_f32_e32 v6, v151, v21
	v_fma_f32 v4, v148, v18, -v4
	v_dual_add_f32 v2, v2, v5 :: v_dual_add_f32 v3, v3, v163
	s_delay_alu instid0(VALU_DEP_4) | instskip(SKIP_2) | instid1(VALU_DEP_4)
	v_fmac_f32_e32 v165, v149, v18
	v_dual_mul_f32 v5, v157, v153 :: v_dual_fmac_f32 v166, v151, v20
	v_fma_f32 v6, v150, v20, -v6
	v_add_f32_e32 v2, v2, v4
	v_add_f32_e32 v3, v3, v164
	s_delay_alu instid0(VALU_DEP_4) | instskip(NEXT) | instid1(VALU_DEP_2)
	v_fma_f32 v4, v156, v152, -v5
	v_dual_add_f32 v2, v2, v6 :: v_dual_add_f32 v3, v3, v165
	s_delay_alu instid0(VALU_DEP_1) | instskip(SKIP_1) | instid1(VALU_DEP_1)
	v_dual_add_f32 v2, v2, v4 :: v_dual_add_f32 v3, v3, v166
	s_wait_loadcnt 0x0
	v_dual_fmac_f32 v167, v157, v152 :: v_dual_sub_f32 v2, v154, v2
	s_delay_alu instid0(VALU_DEP_1) | instskip(NEXT) | instid1(VALU_DEP_1)
	v_add_f32_e32 v3, v3, v167
	v_sub_f32_e32 v3, v155, v3
	scratch_store_b64 off, v[2:3], off offset:336
	v_cmpx_lt_u32_e32 41, v0
	s_cbranch_execz .LBB117_255
; %bb.254:
	scratch_load_b64 v[3:4], off, off offset:328
	v_mov_b32_e32 v2, v1
	scratch_store_b64 off, v[1:2], off offset:328
	s_wait_loadcnt 0x0
	ds_store_b64 v27, v[3:4]
.LBB117_255:
	s_wait_alu 0xfffe
	s_or_b32 exec_lo, exec_lo, s0
	s_wait_storecnt_dscnt 0x0
	s_barrier_signal -1
	s_barrier_wait -1
	global_inv scope:SCOPE_SE
	s_clause 0x6
	scratch_load_b128 v[2:5], off, off offset:336
	scratch_load_b128 v[6:9], off, off offset:352
	;; [unrolled: 1-line block ×6, first 2 shown]
	scratch_load_b64 v[160:161], off, off offset:328
	ds_load_b128 v[28:31], v1 offset:768
	ds_load_b128 v[140:143], v1 offset:784
	ds_load_b128 v[144:147], v1 offset:800
	ds_load_b128 v[148:151], v1 offset:816
	ds_load_b128 v[152:155], v1 offset:832
	ds_load_b128 v[156:159], v1 offset:848
	s_mov_b32 s0, exec_lo
	s_wait_loadcnt_dscnt 0x605
	v_dual_mul_f32 v1, v28, v3 :: v_dual_mul_f32 v26, v30, v5
	v_mul_f32_e32 v3, v29, v3
	s_wait_loadcnt_dscnt 0x504
	v_dual_mul_f32 v5, v31, v5 :: v_dual_mul_f32 v162, v140, v7
	s_delay_alu instid0(VALU_DEP_3) | instskip(NEXT) | instid1(VALU_DEP_3)
	v_dual_mul_f32 v163, v142, v9 :: v_dual_fmac_f32 v26, v31, v4
	v_fma_f32 v3, v28, v2, -v3
	v_fmac_f32_e32 v1, v29, v2
	v_mul_f32_e32 v2, v141, v7
	v_fma_f32 v4, v30, v4, -v5
	s_wait_loadcnt_dscnt 0x403
	v_dual_mul_f32 v164, v144, v11 :: v_dual_mul_f32 v165, v146, v13
	v_dual_add_f32 v3, 0, v3 :: v_dual_fmac_f32 v162, v141, v6
	s_wait_loadcnt_dscnt 0x302
	v_dual_mul_f32 v166, v148, v15 :: v_dual_mul_f32 v167, v150, v17
	s_delay_alu instid0(VALU_DEP_3) | instskip(SKIP_1) | instid1(VALU_DEP_3)
	v_dual_mul_f32 v5, v143, v9 :: v_dual_fmac_f32 v164, v145, v10
	v_fma_f32 v2, v140, v6, -v2
	v_dual_add_f32 v3, v3, v4 :: v_dual_fmac_f32 v166, v149, v14
	s_delay_alu instid0(VALU_DEP_3)
	v_fma_f32 v5, v142, v8, -v5
	v_mul_f32_e32 v4, v145, v11
	s_wait_loadcnt_dscnt 0x201
	v_dual_mul_f32 v168, v152, v19 :: v_dual_mul_f32 v169, v154, v21
	v_add_f32_e32 v2, v3, v2
	v_mul_f32_e32 v3, v147, v13
	v_fma_f32 v4, v144, v10, -v4
	s_delay_alu instid0(VALU_DEP_4)
	v_fmac_f32_e32 v168, v153, v18
	s_wait_loadcnt_dscnt 0x100
	v_dual_mul_f32 v170, v156, v23 :: v_dual_mul_f32 v171, v158, v25
	v_add_f32_e32 v2, v2, v5
	v_add_f32_e32 v1, 0, v1
	v_fma_f32 v3, v146, v12, -v3
	v_fmac_f32_e32 v167, v151, v16
	v_fmac_f32_e32 v169, v155, v20
	s_delay_alu instid0(VALU_DEP_4) | instskip(SKIP_2) | instid1(VALU_DEP_3)
	v_dual_add_f32 v2, v2, v4 :: v_dual_add_f32 v1, v1, v26
	v_mul_f32_e32 v4, v151, v17
	v_fmac_f32_e32 v163, v143, v8
	v_dual_fmac_f32 v171, v159, v24 :: v_dual_add_f32 v2, v2, v3
	s_delay_alu instid0(VALU_DEP_4) | instskip(NEXT) | instid1(VALU_DEP_4)
	v_add_f32_e32 v1, v1, v162
	v_fma_f32 v4, v150, v16, -v4
	v_mul_f32_e32 v5, v149, v15
	v_fmac_f32_e32 v170, v157, v22
	s_delay_alu instid0(VALU_DEP_4) | instskip(NEXT) | instid1(VALU_DEP_3)
	v_add_f32_e32 v1, v1, v163
	v_fma_f32 v5, v148, v14, -v5
	s_delay_alu instid0(VALU_DEP_1) | instskip(NEXT) | instid1(VALU_DEP_1)
	v_dual_fmac_f32 v165, v147, v12 :: v_dual_add_f32 v2, v2, v5
	v_dual_mul_f32 v5, v155, v21 :: v_dual_add_f32 v2, v2, v4
	s_delay_alu instid0(VALU_DEP_1) | instskip(SKIP_2) | instid1(VALU_DEP_2)
	v_fma_f32 v5, v154, v20, -v5
	v_mul_f32_e32 v3, v153, v19
	v_mul_f32_e32 v4, v157, v23
	v_fma_f32 v3, v152, v18, -v3
	v_add_f32_e32 v1, v1, v164
	s_delay_alu instid0(VALU_DEP_3) | instskip(NEXT) | instid1(VALU_DEP_3)
	v_fma_f32 v4, v156, v22, -v4
	v_dual_add_f32 v2, v2, v3 :: v_dual_mul_f32 v3, v159, v25
	s_delay_alu instid0(VALU_DEP_1) | instskip(NEXT) | instid1(VALU_DEP_4)
	v_add_f32_e32 v2, v2, v5
	v_add_f32_e32 v1, v1, v165
	s_delay_alu instid0(VALU_DEP_3) | instskip(NEXT) | instid1(VALU_DEP_2)
	v_fma_f32 v3, v158, v24, -v3
	v_dual_add_f32 v2, v2, v4 :: v_dual_add_f32 v1, v1, v166
	s_delay_alu instid0(VALU_DEP_1) | instskip(NEXT) | instid1(VALU_DEP_2)
	v_add_f32_e32 v2, v2, v3
	v_add_f32_e32 v1, v1, v167
	s_delay_alu instid0(VALU_DEP_1) | instskip(NEXT) | instid1(VALU_DEP_1)
	v_add_f32_e32 v1, v1, v168
	v_add_f32_e32 v1, v1, v169
	s_delay_alu instid0(VALU_DEP_1) | instskip(NEXT) | instid1(VALU_DEP_1)
	v_add_f32_e32 v1, v1, v170
	v_add_f32_e32 v3, v1, v171
	s_wait_loadcnt 0x0
	s_delay_alu instid0(VALU_DEP_1)
	v_dual_sub_f32 v1, v160, v2 :: v_dual_sub_f32 v2, v161, v3
	scratch_store_b64 off, v[1:2], off offset:328
	v_cmpx_lt_u32_e32 40, v0
	s_cbranch_execz .LBB117_257
; %bb.256:
	scratch_load_b64 v[1:2], off, off offset:320
	v_mov_b32_e32 v3, 0
	s_delay_alu instid0(VALU_DEP_1)
	v_mov_b32_e32 v4, v3
	scratch_store_b64 off, v[3:4], off offset:320
	s_wait_loadcnt 0x0
	ds_store_b64 v27, v[1:2]
.LBB117_257:
	s_wait_alu 0xfffe
	s_or_b32 exec_lo, exec_lo, s0
	s_wait_storecnt_dscnt 0x0
	s_barrier_signal -1
	s_barrier_wait -1
	global_inv scope:SCOPE_SE
	s_clause 0x7
	scratch_load_b128 v[2:5], off, off offset:328
	scratch_load_b128 v[6:9], off, off offset:344
	;; [unrolled: 1-line block ×6, first 2 shown]
	scratch_load_b64 v[160:161], off, off offset:424
	scratch_load_b64 v[162:163], off, off offset:320
	v_mov_b32_e32 v1, 0
	ds_load_2addr_b64 v[28:31], v1 offset0:95 offset1:96
	ds_load_2addr_b64 v[140:143], v1 offset0:97 offset1:98
	ds_load_2addr_b64 v[144:147], v1 offset0:99 offset1:100
	ds_load_2addr_b64 v[148:151], v1 offset0:101 offset1:102
	ds_load_2addr_b64 v[152:155], v1 offset0:103 offset1:104
	ds_load_2addr_b64 v[156:159], v1 offset0:105 offset1:106
	ds_load_b64 v[164:165], v1 offset:856
	s_mov_b32 s0, exec_lo
	s_wait_loadcnt_dscnt 0x706
	v_mul_f32_e32 v26, v28, v3
	v_dual_mul_f32 v3, v29, v3 :: v_dual_mul_f32 v166, v30, v5
	s_wait_loadcnt_dscnt 0x302
	v_dual_mul_f32 v167, v140, v7 :: v_dual_mul_f32 v174, v154, v21
	v_mul_f32_e32 v5, v31, v5
	s_delay_alu instid0(VALU_DEP_3)
	v_fma_f32 v3, v28, v2, -v3
	v_dual_mul_f32 v168, v142, v9 :: v_dual_mul_f32 v169, v144, v11
	s_wait_loadcnt_dscnt 0x100
	v_dual_mul_f32 v177, v164, v161 :: v_dual_fmac_f32 v26, v29, v2
	v_mul_f32_e32 v2, v141, v7
	v_dual_fmac_f32 v166, v31, v4 :: v_dual_add_f32 v3, 0, v3
	v_fma_f32 v4, v30, v4, -v5
	s_delay_alu instid0(VALU_DEP_4) | instskip(SKIP_2) | instid1(VALU_DEP_4)
	v_dual_add_f32 v5, 0, v26 :: v_dual_fmac_f32 v168, v143, v8
	v_mul_f32_e32 v7, v143, v9
	v_fma_f32 v2, v140, v6, -v2
	v_add_f32_e32 v3, v3, v4
	v_fmac_f32_e32 v167, v141, v6
	v_add_f32_e32 v4, v5, v166
	v_mul_f32_e32 v5, v145, v11
	v_fma_f32 v6, v142, v8, -v7
	v_add_f32_e32 v2, v3, v2
	v_dual_mul_f32 v170, v146, v13 :: v_dual_mul_f32 v171, v148, v15
	v_dual_add_f32 v3, v4, v167 :: v_dual_mul_f32 v4, v147, v13
	v_fma_f32 v5, v144, v10, -v5
	s_delay_alu instid0(VALU_DEP_4)
	v_add_f32_e32 v2, v2, v6
	v_fmac_f32_e32 v169, v145, v10
	v_mul_f32_e32 v6, v149, v15
	v_fmac_f32_e32 v170, v147, v12
	v_add_f32_e32 v3, v3, v168
	v_fma_f32 v4, v146, v12, -v4
	v_add_f32_e32 v2, v2, v5
	v_dual_mul_f32 v172, v150, v17 :: v_dual_mul_f32 v173, v152, v19
	s_delay_alu instid0(VALU_DEP_4)
	v_add_f32_e32 v3, v3, v169
	v_mul_f32_e32 v5, v151, v17
	v_fma_f32 v6, v148, v14, -v6
	v_dual_add_f32 v2, v2, v4 :: v_dual_fmac_f32 v171, v149, v14
	v_fmac_f32_e32 v172, v151, v16
	v_mul_f32_e32 v4, v153, v19
	v_fma_f32 v5, v150, v16, -v5
	s_delay_alu instid0(VALU_DEP_4) | instskip(SKIP_3) | instid1(VALU_DEP_3)
	v_add_f32_e32 v2, v2, v6
	v_add_f32_e32 v3, v3, v170
	v_dual_mul_f32 v6, v155, v21 :: v_dual_fmac_f32 v173, v153, v18
	v_fma_f32 v4, v152, v18, -v4
	v_dual_add_f32 v2, v2, v5 :: v_dual_add_f32 v3, v3, v171
	s_delay_alu instid0(VALU_DEP_3) | instskip(SKIP_1) | instid1(VALU_DEP_3)
	v_fma_f32 v6, v154, v20, -v6
	v_dual_mul_f32 v175, v156, v23 :: v_dual_mul_f32 v176, v158, v25
	v_add_f32_e32 v2, v2, v4
	s_delay_alu instid0(VALU_DEP_4) | instskip(SKIP_1) | instid1(VALU_DEP_4)
	v_add_f32_e32 v3, v3, v172
	v_dual_mul_f32 v5, v157, v23 :: v_dual_fmac_f32 v174, v155, v20
	v_dual_mul_f32 v4, v159, v25 :: v_dual_fmac_f32 v175, v157, v22
	s_delay_alu instid0(VALU_DEP_3) | instskip(NEXT) | instid1(VALU_DEP_3)
	v_dual_add_f32 v2, v2, v6 :: v_dual_add_f32 v3, v3, v173
	v_fma_f32 v5, v156, v22, -v5
	v_mul_f32_e32 v6, v165, v161
	v_fmac_f32_e32 v176, v159, v24
	v_fma_f32 v4, v158, v24, -v4
	s_delay_alu instid0(VALU_DEP_4) | instskip(NEXT) | instid1(VALU_DEP_4)
	v_dual_add_f32 v3, v3, v174 :: v_dual_add_f32 v2, v2, v5
	v_fma_f32 v5, v164, v160, -v6
	s_delay_alu instid0(VALU_DEP_2) | instskip(NEXT) | instid1(VALU_DEP_1)
	v_add_f32_e32 v3, v3, v175
	v_add_f32_e32 v3, v3, v176
	s_delay_alu instid0(VALU_DEP_4) | instskip(NEXT) | instid1(VALU_DEP_1)
	v_add_f32_e32 v2, v2, v4
	v_dual_fmac_f32 v177, v165, v160 :: v_dual_add_f32 v2, v2, v5
	s_wait_loadcnt 0x0
	s_delay_alu instid0(VALU_DEP_1) | instskip(NEXT) | instid1(VALU_DEP_1)
	v_dual_sub_f32 v2, v162, v2 :: v_dual_add_f32 v3, v3, v177
	v_sub_f32_e32 v3, v163, v3
	scratch_store_b64 off, v[2:3], off offset:320
	v_cmpx_lt_u32_e32 39, v0
	s_cbranch_execz .LBB117_259
; %bb.258:
	scratch_load_b64 v[3:4], off, off offset:312
	v_mov_b32_e32 v2, v1
	scratch_store_b64 off, v[1:2], off offset:312
	s_wait_loadcnt 0x0
	ds_store_b64 v27, v[3:4]
.LBB117_259:
	s_wait_alu 0xfffe
	s_or_b32 exec_lo, exec_lo, s0
	s_wait_storecnt_dscnt 0x0
	s_barrier_signal -1
	s_barrier_wait -1
	global_inv scope:SCOPE_SE
	s_clause 0x7
	scratch_load_b128 v[2:5], off, off offset:320
	scratch_load_b128 v[6:9], off, off offset:336
	;; [unrolled: 1-line block ×7, first 2 shown]
	scratch_load_b64 v[168:169], off, off offset:312
	ds_load_b128 v[140:143], v1 offset:752
	ds_load_b128 v[144:147], v1 offset:768
	ds_load_b128 v[148:151], v1 offset:784
	ds_load_b128 v[152:155], v1 offset:800
	ds_load_b128 v[156:159], v1 offset:816
	ds_load_b128 v[160:163], v1 offset:832
	ds_load_b128 v[164:167], v1 offset:848
	s_mov_b32 s0, exec_lo
	s_wait_loadcnt_dscnt 0x706
	v_dual_mul_f32 v1, v140, v3 :: v_dual_mul_f32 v26, v142, v5
	v_mul_f32_e32 v3, v141, v3
	s_wait_loadcnt_dscnt 0x605
	v_dual_mul_f32 v5, v143, v5 :: v_dual_mul_f32 v170, v144, v7
	v_mul_f32_e32 v171, v146, v9
	s_wait_loadcnt_dscnt 0x100
	v_mul_f32_e32 v180, v164, v29
	v_fma_f32 v3, v140, v2, -v3
	v_dual_mul_f32 v181, v166, v31 :: v_dual_fmac_f32 v26, v143, v4
	v_fmac_f32_e32 v1, v141, v2
	v_mul_f32_e32 v2, v145, v7
	v_fma_f32 v4, v142, v4, -v5
	v_dual_add_f32 v3, 0, v3 :: v_dual_fmac_f32 v170, v145, v6
	v_dual_mul_f32 v172, v148, v11 :: v_dual_mul_f32 v173, v150, v13
	v_dual_mul_f32 v174, v152, v15 :: v_dual_mul_f32 v175, v154, v17
	s_delay_alu instid0(VALU_DEP_2) | instskip(SKIP_1) | instid1(VALU_DEP_3)
	v_dual_mul_f32 v5, v147, v9 :: v_dual_fmac_f32 v172, v149, v10
	v_fma_f32 v2, v144, v6, -v2
	v_dual_add_f32 v3, v3, v4 :: v_dual_fmac_f32 v174, v153, v14
	s_delay_alu instid0(VALU_DEP_3) | instskip(SKIP_2) | instid1(VALU_DEP_4)
	v_fma_f32 v5, v146, v8, -v5
	v_mul_f32_e32 v4, v149, v11
	v_dual_mul_f32 v176, v156, v19 :: v_dual_mul_f32 v177, v158, v21
	v_add_f32_e32 v2, v3, v2
	v_mul_f32_e32 v3, v151, v13
	s_delay_alu instid0(VALU_DEP_4) | instskip(NEXT) | instid1(VALU_DEP_4)
	v_fma_f32 v4, v148, v10, -v4
	v_fmac_f32_e32 v176, v157, v18
	v_dual_mul_f32 v178, v160, v23 :: v_dual_mul_f32 v179, v162, v25
	v_add_f32_e32 v2, v2, v5
	v_add_f32_e32 v1, 0, v1
	v_fma_f32 v3, v150, v12, -v3
	v_fmac_f32_e32 v175, v155, v16
	v_fmac_f32_e32 v179, v163, v24
	s_delay_alu instid0(VALU_DEP_4) | instskip(SKIP_2) | instid1(VALU_DEP_3)
	v_dual_add_f32 v2, v2, v4 :: v_dual_add_f32 v1, v1, v26
	v_mul_f32_e32 v4, v155, v17
	v_fmac_f32_e32 v171, v147, v8
	v_dual_fmac_f32 v181, v167, v30 :: v_dual_add_f32 v2, v2, v3
	s_delay_alu instid0(VALU_DEP_4) | instskip(NEXT) | instid1(VALU_DEP_4)
	v_add_f32_e32 v1, v1, v170
	v_fma_f32 v4, v154, v16, -v4
	v_mul_f32_e32 v5, v153, v15
	v_fmac_f32_e32 v178, v161, v22
	v_fmac_f32_e32 v180, v165, v28
	v_add_f32_e32 v1, v1, v171
	s_delay_alu instid0(VALU_DEP_4) | instskip(NEXT) | instid1(VALU_DEP_1)
	v_fma_f32 v5, v152, v14, -v5
	v_dual_fmac_f32 v173, v151, v12 :: v_dual_add_f32 v2, v2, v5
	s_delay_alu instid0(VALU_DEP_1) | instskip(NEXT) | instid1(VALU_DEP_1)
	v_dual_mul_f32 v5, v159, v21 :: v_dual_add_f32 v2, v2, v4
	v_fma_f32 v5, v158, v20, -v5
	v_mul_f32_e32 v3, v157, v19
	v_mul_f32_e32 v4, v161, v23
	s_delay_alu instid0(VALU_DEP_2) | instskip(SKIP_1) | instid1(VALU_DEP_3)
	v_fma_f32 v3, v156, v18, -v3
	v_add_f32_e32 v1, v1, v172
	v_fma_f32 v4, v160, v22, -v4
	s_delay_alu instid0(VALU_DEP_3) | instskip(NEXT) | instid1(VALU_DEP_1)
	v_dual_add_f32 v2, v2, v3 :: v_dual_mul_f32 v3, v163, v25
	v_add_f32_e32 v2, v2, v5
	s_delay_alu instid0(VALU_DEP_4) | instskip(SKIP_1) | instid1(VALU_DEP_4)
	v_add_f32_e32 v1, v1, v173
	v_mul_f32_e32 v5, v165, v29
	v_fma_f32 v3, v162, v24, -v3
	s_delay_alu instid0(VALU_DEP_3) | instskip(SKIP_3) | instid1(VALU_DEP_4)
	v_dual_add_f32 v2, v2, v4 :: v_dual_add_f32 v1, v1, v174
	v_mul_f32_e32 v4, v167, v31
	v_fmac_f32_e32 v177, v159, v20
	v_fma_f32 v5, v164, v28, -v5
	v_add_f32_e32 v2, v2, v3
	v_add_f32_e32 v1, v1, v175
	v_fma_f32 v3, v166, v30, -v4
	s_delay_alu instid0(VALU_DEP_2) | instskip(NEXT) | instid1(VALU_DEP_1)
	v_dual_add_f32 v2, v2, v5 :: v_dual_add_f32 v1, v1, v176
	v_dual_add_f32 v2, v2, v3 :: v_dual_add_f32 v1, v1, v177
	s_delay_alu instid0(VALU_DEP_1) | instskip(NEXT) | instid1(VALU_DEP_1)
	v_add_f32_e32 v1, v1, v178
	v_add_f32_e32 v1, v1, v179
	s_delay_alu instid0(VALU_DEP_1) | instskip(NEXT) | instid1(VALU_DEP_1)
	v_add_f32_e32 v1, v1, v180
	v_add_f32_e32 v3, v1, v181
	s_wait_loadcnt 0x0
	s_delay_alu instid0(VALU_DEP_1)
	v_dual_sub_f32 v1, v168, v2 :: v_dual_sub_f32 v2, v169, v3
	scratch_store_b64 off, v[1:2], off offset:312
	v_cmpx_lt_u32_e32 38, v0
	s_cbranch_execz .LBB117_261
; %bb.260:
	scratch_load_b64 v[1:2], off, off offset:304
	v_mov_b32_e32 v3, 0
	s_delay_alu instid0(VALU_DEP_1)
	v_mov_b32_e32 v4, v3
	scratch_store_b64 off, v[3:4], off offset:304
	s_wait_loadcnt 0x0
	ds_store_b64 v27, v[1:2]
.LBB117_261:
	s_wait_alu 0xfffe
	s_or_b32 exec_lo, exec_lo, s0
	s_wait_storecnt_dscnt 0x0
	s_barrier_signal -1
	s_barrier_wait -1
	global_inv scope:SCOPE_SE
	s_clause 0x8
	scratch_load_b128 v[2:5], off, off offset:312
	scratch_load_b128 v[6:9], off, off offset:328
	;; [unrolled: 1-line block ×7, first 2 shown]
	scratch_load_b64 v[168:169], off, off offset:424
	scratch_load_b64 v[170:171], off, off offset:304
	v_mov_b32_e32 v1, 0
	ds_load_2addr_b64 v[140:143], v1 offset0:93 offset1:94
	ds_load_2addr_b64 v[144:147], v1 offset0:95 offset1:96
	;; [unrolled: 1-line block ×7, first 2 shown]
	ds_load_b64 v[172:173], v1 offset:856
	s_mov_b32 s0, exec_lo
	s_wait_loadcnt_dscnt 0x807
	v_mul_f32_e32 v26, v140, v3
	v_dual_mul_f32 v3, v141, v3 :: v_dual_mul_f32 v174, v142, v5
	s_wait_loadcnt_dscnt 0x706
	v_mul_f32_e32 v175, v144, v7
	v_mul_f32_e32 v5, v143, v5
	s_wait_loadcnt_dscnt 0x302
	v_mul_f32_e32 v184, v162, v25
	v_fma_f32 v3, v140, v2, -v3
	v_dual_mul_f32 v176, v146, v9 :: v_dual_mul_f32 v177, v148, v11
	s_wait_loadcnt_dscnt 0x100
	v_dual_mul_f32 v187, v172, v169 :: v_dual_fmac_f32 v26, v141, v2
	v_mul_f32_e32 v2, v145, v7
	v_dual_fmac_f32 v174, v143, v4 :: v_dual_add_f32 v3, 0, v3
	v_fma_f32 v4, v142, v4, -v5
	s_delay_alu instid0(VALU_DEP_4) | instskip(SKIP_2) | instid1(VALU_DEP_4)
	v_dual_add_f32 v5, 0, v26 :: v_dual_fmac_f32 v176, v147, v8
	v_mul_f32_e32 v7, v147, v9
	v_fma_f32 v2, v144, v6, -v2
	v_add_f32_e32 v3, v3, v4
	v_fmac_f32_e32 v175, v145, v6
	v_add_f32_e32 v4, v5, v174
	v_mul_f32_e32 v5, v149, v11
	v_fma_f32 v6, v146, v8, -v7
	v_add_f32_e32 v2, v3, v2
	v_dual_mul_f32 v178, v150, v13 :: v_dual_mul_f32 v179, v152, v15
	v_dual_add_f32 v3, v4, v175 :: v_dual_mul_f32 v4, v151, v13
	v_fma_f32 v5, v148, v10, -v5
	s_delay_alu instid0(VALU_DEP_4)
	v_add_f32_e32 v2, v2, v6
	v_fmac_f32_e32 v177, v149, v10
	v_mul_f32_e32 v6, v153, v15
	v_fmac_f32_e32 v178, v151, v12
	v_add_f32_e32 v3, v3, v176
	v_fma_f32 v4, v150, v12, -v4
	v_add_f32_e32 v2, v2, v5
	v_dual_mul_f32 v180, v154, v17 :: v_dual_mul_f32 v181, v156, v19
	s_delay_alu instid0(VALU_DEP_4)
	v_add_f32_e32 v3, v3, v177
	v_mul_f32_e32 v5, v155, v17
	v_fma_f32 v6, v152, v14, -v6
	v_dual_add_f32 v2, v2, v4 :: v_dual_fmac_f32 v179, v153, v14
	v_fmac_f32_e32 v180, v155, v16
	v_mul_f32_e32 v4, v157, v19
	v_fma_f32 v5, v154, v16, -v5
	s_delay_alu instid0(VALU_DEP_4) | instskip(SKIP_3) | instid1(VALU_DEP_3)
	v_add_f32_e32 v2, v2, v6
	v_add_f32_e32 v3, v3, v178
	v_dual_mul_f32 v6, v159, v21 :: v_dual_fmac_f32 v181, v157, v18
	v_fma_f32 v4, v156, v18, -v4
	v_dual_add_f32 v2, v2, v5 :: v_dual_add_f32 v3, v3, v179
	v_dual_mul_f32 v182, v158, v21 :: v_dual_mul_f32 v183, v160, v23
	s_delay_alu instid0(VALU_DEP_4) | instskip(NEXT) | instid1(VALU_DEP_3)
	v_fma_f32 v6, v158, v20, -v6
	v_add_f32_e32 v2, v2, v4
	s_delay_alu instid0(VALU_DEP_4) | instskip(NEXT) | instid1(VALU_DEP_4)
	v_add_f32_e32 v3, v3, v180
	v_dual_mul_f32 v5, v161, v23 :: v_dual_fmac_f32 v182, v159, v20
	v_dual_mul_f32 v4, v163, v25 :: v_dual_fmac_f32 v183, v161, v22
	s_delay_alu instid0(VALU_DEP_3) | instskip(NEXT) | instid1(VALU_DEP_3)
	v_dual_add_f32 v2, v2, v6 :: v_dual_add_f32 v3, v3, v181
	v_fma_f32 v5, v160, v22, -v5
	v_dual_mul_f32 v185, v164, v29 :: v_dual_mul_f32 v186, v166, v31
	s_delay_alu instid0(VALU_DEP_3) | instskip(SKIP_2) | instid1(VALU_DEP_4)
	v_dual_mul_f32 v6, v165, v29 :: v_dual_add_f32 v3, v3, v182
	v_fmac_f32_e32 v184, v163, v24
	v_fma_f32 v4, v162, v24, -v4
	v_dual_add_f32 v2, v2, v5 :: v_dual_fmac_f32 v185, v165, v28
	v_fmac_f32_e32 v186, v167, v30
	v_add_f32_e32 v3, v3, v183
	s_delay_alu instid0(VALU_DEP_3) | instskip(SKIP_1) | instid1(VALU_DEP_3)
	v_dual_mul_f32 v5, v167, v31 :: v_dual_add_f32 v2, v2, v4
	v_fma_f32 v6, v164, v28, -v6
	v_dual_mul_f32 v4, v173, v169 :: v_dual_add_f32 v3, v3, v184
	s_delay_alu instid0(VALU_DEP_3) | instskip(NEXT) | instid1(VALU_DEP_3)
	v_fma_f32 v5, v166, v30, -v5
	v_add_f32_e32 v2, v2, v6
	s_delay_alu instid0(VALU_DEP_3) | instskip(NEXT) | instid1(VALU_DEP_4)
	v_fma_f32 v4, v172, v168, -v4
	v_add_f32_e32 v3, v3, v185
	s_delay_alu instid0(VALU_DEP_3) | instskip(NEXT) | instid1(VALU_DEP_1)
	v_dual_fmac_f32 v187, v173, v168 :: v_dual_add_f32 v2, v2, v5
	v_dual_add_f32 v3, v3, v186 :: v_dual_add_f32 v2, v2, v4
	s_wait_loadcnt 0x0
	s_delay_alu instid0(VALU_DEP_1) | instskip(NEXT) | instid1(VALU_DEP_1)
	v_dual_add_f32 v3, v3, v187 :: v_dual_sub_f32 v2, v170, v2
	v_sub_f32_e32 v3, v171, v3
	scratch_store_b64 off, v[2:3], off offset:304
	v_cmpx_lt_u32_e32 37, v0
	s_cbranch_execz .LBB117_263
; %bb.262:
	scratch_load_b64 v[3:4], off, off offset:296
	v_mov_b32_e32 v2, v1
	scratch_store_b64 off, v[1:2], off offset:296
	s_wait_loadcnt 0x0
	ds_store_b64 v27, v[3:4]
.LBB117_263:
	s_wait_alu 0xfffe
	s_or_b32 exec_lo, exec_lo, s0
	s_wait_storecnt_dscnt 0x0
	s_barrier_signal -1
	s_barrier_wait -1
	global_inv scope:SCOPE_SE
	s_clause 0x8
	scratch_load_b128 v[2:5], off, off offset:304
	scratch_load_b128 v[6:9], off, off offset:320
	;; [unrolled: 1-line block ×8, first 2 shown]
	scratch_load_b64 v[176:177], off, off offset:296
	ds_load_b128 v[144:147], v1 offset:736
	ds_load_b128 v[148:151], v1 offset:752
	;; [unrolled: 1-line block ×8, first 2 shown]
	s_mov_b32 s0, exec_lo
	s_wait_loadcnt_dscnt 0x807
	v_dual_mul_f32 v1, v144, v3 :: v_dual_mul_f32 v26, v146, v5
	v_mul_f32_e32 v3, v145, v3
	s_wait_loadcnt_dscnt 0x706
	v_dual_mul_f32 v5, v147, v5 :: v_dual_mul_f32 v178, v148, v7
	v_mul_f32_e32 v179, v150, v9
	s_wait_loadcnt_dscnt 0x201
	v_mul_f32_e32 v188, v168, v29
	v_fma_f32 v3, v144, v2, -v3
	s_wait_loadcnt_dscnt 0x100
	v_dual_mul_f32 v191, v174, v143 :: v_dual_fmac_f32 v26, v147, v4
	v_fmac_f32_e32 v1, v145, v2
	v_mul_f32_e32 v2, v149, v7
	v_fma_f32 v4, v146, v4, -v5
	v_dual_add_f32 v3, 0, v3 :: v_dual_fmac_f32 v178, v149, v6
	v_dual_mul_f32 v180, v152, v11 :: v_dual_mul_f32 v181, v154, v13
	v_dual_mul_f32 v182, v156, v15 :: v_dual_mul_f32 v183, v158, v17
	s_delay_alu instid0(VALU_DEP_2) | instskip(SKIP_1) | instid1(VALU_DEP_3)
	v_dual_mul_f32 v5, v151, v9 :: v_dual_fmac_f32 v180, v153, v10
	v_fma_f32 v2, v148, v6, -v2
	v_dual_add_f32 v3, v3, v4 :: v_dual_fmac_f32 v182, v157, v14
	s_delay_alu instid0(VALU_DEP_3) | instskip(SKIP_1) | instid1(VALU_DEP_3)
	v_fma_f32 v5, v150, v8, -v5
	v_dual_mul_f32 v184, v160, v19 :: v_dual_mul_f32 v185, v162, v21
	v_add_f32_e32 v2, v3, v2
	v_dual_mul_f32 v4, v153, v11 :: v_dual_mul_f32 v3, v155, v13
	s_delay_alu instid0(VALU_DEP_3) | instskip(SKIP_1) | instid1(VALU_DEP_4)
	v_fmac_f32_e32 v184, v161, v18
	v_dual_mul_f32 v186, v164, v23 :: v_dual_mul_f32 v187, v166, v25
	v_add_f32_e32 v2, v2, v5
	v_add_f32_e32 v1, 0, v1
	v_fma_f32 v4, v152, v10, -v4
	v_fma_f32 v3, v154, v12, -v3
	v_fmac_f32_e32 v183, v159, v16
	v_fmac_f32_e32 v187, v167, v24
	s_delay_alu instid0(VALU_DEP_4) | instskip(SKIP_3) | instid1(VALU_DEP_4)
	v_dual_add_f32 v1, v1, v26 :: v_dual_add_f32 v2, v2, v4
	v_mul_f32_e32 v4, v159, v17
	v_fmac_f32_e32 v179, v151, v8
	v_dual_mul_f32 v189, v170, v31 :: v_dual_mul_f32 v190, v172, v141
	v_add_f32_e32 v1, v1, v178
	s_delay_alu instid0(VALU_DEP_4) | instskip(SKIP_1) | instid1(VALU_DEP_4)
	v_fma_f32 v4, v158, v16, -v4
	v_mul_f32_e32 v5, v157, v15
	v_dual_add_f32 v2, v2, v3 :: v_dual_fmac_f32 v189, v171, v30
	v_fmac_f32_e32 v190, v173, v140
	v_add_f32_e32 v1, v1, v179
	s_delay_alu instid0(VALU_DEP_4) | instskip(SKIP_2) | instid1(VALU_DEP_3)
	v_fma_f32 v5, v156, v14, -v5
	v_dual_fmac_f32 v181, v155, v12 :: v_dual_fmac_f32 v186, v165, v22
	v_dual_fmac_f32 v191, v175, v142 :: v_dual_fmac_f32 v188, v169, v28
	v_add_f32_e32 v2, v2, v5
	s_delay_alu instid0(VALU_DEP_1) | instskip(NEXT) | instid1(VALU_DEP_1)
	v_dual_mul_f32 v5, v163, v21 :: v_dual_add_f32 v2, v2, v4
	v_fma_f32 v5, v162, v20, -v5
	v_mul_f32_e32 v3, v161, v19
	v_mul_f32_e32 v4, v165, v23
	s_delay_alu instid0(VALU_DEP_2) | instskip(SKIP_1) | instid1(VALU_DEP_3)
	v_fma_f32 v3, v160, v18, -v3
	v_add_f32_e32 v1, v1, v180
	v_fma_f32 v4, v164, v22, -v4
	s_delay_alu instid0(VALU_DEP_3) | instskip(NEXT) | instid1(VALU_DEP_1)
	v_dual_add_f32 v2, v2, v3 :: v_dual_mul_f32 v3, v167, v25
	v_add_f32_e32 v2, v2, v5
	s_delay_alu instid0(VALU_DEP_4) | instskip(NEXT) | instid1(VALU_DEP_3)
	v_add_f32_e32 v1, v1, v181
	v_fma_f32 v3, v166, v24, -v3
	s_delay_alu instid0(VALU_DEP_2) | instskip(SKIP_1) | instid1(VALU_DEP_2)
	v_dual_add_f32 v2, v2, v4 :: v_dual_add_f32 v1, v1, v182
	v_mul_f32_e32 v4, v171, v31
	v_dual_fmac_f32 v185, v163, v20 :: v_dual_add_f32 v2, v2, v3
	v_mul_f32_e32 v3, v173, v141
	s_delay_alu instid0(VALU_DEP_3) | instskip(SKIP_1) | instid1(VALU_DEP_3)
	v_fma_f32 v4, v170, v30, -v4
	v_mul_f32_e32 v5, v169, v29
	v_fma_f32 v3, v172, v140, -v3
	s_delay_alu instid0(VALU_DEP_2) | instskip(NEXT) | instid1(VALU_DEP_1)
	v_fma_f32 v5, v168, v28, -v5
	v_dual_add_f32 v1, v1, v183 :: v_dual_add_f32 v2, v2, v5
	s_delay_alu instid0(VALU_DEP_1) | instskip(NEXT) | instid1(VALU_DEP_2)
	v_dual_mul_f32 v5, v175, v143 :: v_dual_add_f32 v2, v2, v4
	v_add_f32_e32 v1, v1, v184
	s_delay_alu instid0(VALU_DEP_2) | instskip(NEXT) | instid1(VALU_DEP_2)
	v_fma_f32 v4, v174, v142, -v5
	v_dual_add_f32 v2, v2, v3 :: v_dual_add_f32 v1, v1, v185
	s_delay_alu instid0(VALU_DEP_1) | instskip(NEXT) | instid1(VALU_DEP_1)
	v_dual_add_f32 v2, v2, v4 :: v_dual_add_f32 v1, v1, v186
	v_add_f32_e32 v1, v1, v187
	s_delay_alu instid0(VALU_DEP_1) | instskip(NEXT) | instid1(VALU_DEP_1)
	v_add_f32_e32 v1, v1, v188
	v_add_f32_e32 v1, v1, v189
	s_delay_alu instid0(VALU_DEP_1) | instskip(NEXT) | instid1(VALU_DEP_1)
	v_add_f32_e32 v1, v1, v190
	v_add_f32_e32 v3, v1, v191
	s_wait_loadcnt 0x0
	s_delay_alu instid0(VALU_DEP_1)
	v_dual_sub_f32 v1, v176, v2 :: v_dual_sub_f32 v2, v177, v3
	scratch_store_b64 off, v[1:2], off offset:296
	v_cmpx_lt_u32_e32 36, v0
	s_cbranch_execz .LBB117_265
; %bb.264:
	scratch_load_b64 v[1:2], off, off offset:288
	v_mov_b32_e32 v3, 0
	s_delay_alu instid0(VALU_DEP_1)
	v_mov_b32_e32 v4, v3
	scratch_store_b64 off, v[3:4], off offset:288
	s_wait_loadcnt 0x0
	ds_store_b64 v27, v[1:2]
.LBB117_265:
	s_wait_alu 0xfffe
	s_or_b32 exec_lo, exec_lo, s0
	s_wait_storecnt_dscnt 0x0
	s_barrier_signal -1
	s_barrier_wait -1
	global_inv scope:SCOPE_SE
	s_clause 0x9
	scratch_load_b128 v[2:5], off, off offset:296
	scratch_load_b128 v[6:9], off, off offset:312
	;; [unrolled: 1-line block ×8, first 2 shown]
	scratch_load_b64 v[176:177], off, off offset:424
	scratch_load_b64 v[178:179], off, off offset:288
	v_mov_b32_e32 v1, 0
	ds_load_2addr_b64 v[144:147], v1 offset0:91 offset1:92
	ds_load_2addr_b64 v[148:151], v1 offset0:93 offset1:94
	;; [unrolled: 1-line block ×8, first 2 shown]
	ds_load_b64 v[180:181], v1 offset:856
	s_mov_b32 s0, exec_lo
	s_wait_loadcnt_dscnt 0x908
	v_mul_f32_e32 v26, v144, v3
	v_dual_mul_f32 v3, v145, v3 :: v_dual_mul_f32 v182, v146, v5
	s_wait_loadcnt_dscnt 0x807
	v_mul_f32_e32 v183, v148, v7
	v_mul_f32_e32 v5, v147, v5
	s_wait_loadcnt_dscnt 0x403
	v_mul_f32_e32 v192, v166, v25
	v_fma_f32 v3, v144, v2, -v3
	v_dual_mul_f32 v184, v150, v9 :: v_dual_mul_f32 v185, v152, v11
	s_wait_loadcnt_dscnt 0x100
	v_dual_mul_f32 v197, v180, v177 :: v_dual_fmac_f32 v26, v145, v2
	v_mul_f32_e32 v2, v149, v7
	v_dual_fmac_f32 v182, v147, v4 :: v_dual_add_f32 v3, 0, v3
	v_fma_f32 v4, v146, v4, -v5
	s_delay_alu instid0(VALU_DEP_4) | instskip(SKIP_2) | instid1(VALU_DEP_4)
	v_dual_add_f32 v5, 0, v26 :: v_dual_fmac_f32 v184, v151, v8
	v_mul_f32_e32 v7, v151, v9
	v_fma_f32 v2, v148, v6, -v2
	v_add_f32_e32 v3, v3, v4
	v_fmac_f32_e32 v183, v149, v6
	v_add_f32_e32 v4, v5, v182
	v_mul_f32_e32 v5, v153, v11
	v_fma_f32 v6, v150, v8, -v7
	v_add_f32_e32 v2, v3, v2
	v_dual_mul_f32 v186, v154, v13 :: v_dual_mul_f32 v187, v156, v15
	v_dual_add_f32 v3, v4, v183 :: v_dual_mul_f32 v4, v155, v13
	v_fma_f32 v5, v152, v10, -v5
	s_delay_alu instid0(VALU_DEP_4)
	v_add_f32_e32 v2, v2, v6
	v_fmac_f32_e32 v185, v153, v10
	v_mul_f32_e32 v6, v157, v15
	v_fmac_f32_e32 v186, v155, v12
	v_add_f32_e32 v3, v3, v184
	v_fma_f32 v4, v154, v12, -v4
	v_add_f32_e32 v2, v2, v5
	v_dual_mul_f32 v188, v158, v17 :: v_dual_mul_f32 v189, v160, v19
	s_delay_alu instid0(VALU_DEP_4)
	v_add_f32_e32 v3, v3, v185
	v_mul_f32_e32 v5, v159, v17
	v_fma_f32 v6, v156, v14, -v6
	v_dual_add_f32 v2, v2, v4 :: v_dual_fmac_f32 v187, v157, v14
	v_fmac_f32_e32 v188, v159, v16
	v_mul_f32_e32 v4, v161, v19
	v_fma_f32 v5, v158, v16, -v5
	s_delay_alu instid0(VALU_DEP_4) | instskip(SKIP_3) | instid1(VALU_DEP_3)
	v_add_f32_e32 v2, v2, v6
	v_add_f32_e32 v3, v3, v186
	v_dual_mul_f32 v6, v163, v21 :: v_dual_fmac_f32 v189, v161, v18
	v_fma_f32 v4, v160, v18, -v4
	v_dual_add_f32 v2, v2, v5 :: v_dual_add_f32 v3, v3, v187
	v_dual_mul_f32 v190, v162, v21 :: v_dual_mul_f32 v191, v164, v23
	v_mul_f32_e32 v5, v165, v23
	v_fma_f32 v6, v162, v20, -v6
	s_delay_alu instid0(VALU_DEP_4) | instskip(SKIP_4) | instid1(VALU_DEP_4)
	v_add_f32_e32 v2, v2, v4
	v_add_f32_e32 v3, v3, v188
	v_fmac_f32_e32 v190, v163, v20
	v_dual_mul_f32 v4, v167, v25 :: v_dual_fmac_f32 v191, v165, v22
	v_fma_f32 v5, v164, v22, -v5
	v_dual_add_f32 v2, v2, v6 :: v_dual_add_f32 v3, v3, v189
	v_mul_f32_e32 v6, v169, v29
	s_delay_alu instid0(VALU_DEP_4) | instskip(SKIP_1) | instid1(VALU_DEP_4)
	v_fma_f32 v4, v166, v24, -v4
	v_dual_mul_f32 v193, v168, v29 :: v_dual_mul_f32 v194, v170, v31
	v_dual_add_f32 v3, v3, v190 :: v_dual_add_f32 v2, v2, v5
	s_delay_alu instid0(VALU_DEP_4) | instskip(SKIP_1) | instid1(VALU_DEP_4)
	v_fma_f32 v6, v168, v28, -v6
	v_fmac_f32_e32 v192, v167, v24
	v_dual_fmac_f32 v193, v169, v28 :: v_dual_fmac_f32 v194, v171, v30
	s_delay_alu instid0(VALU_DEP_4) | instskip(SKIP_3) | instid1(VALU_DEP_3)
	v_add_f32_e32 v3, v3, v191
	v_dual_mul_f32 v5, v171, v31 :: v_dual_add_f32 v2, v2, v4
	v_dual_mul_f32 v195, v172, v141 :: v_dual_mul_f32 v196, v174, v143
	v_mul_f32_e32 v4, v173, v141
	v_fma_f32 v5, v170, v30, -v5
	s_delay_alu instid0(VALU_DEP_4) | instskip(NEXT) | instid1(VALU_DEP_4)
	v_add_f32_e32 v2, v2, v6
	v_dual_mul_f32 v6, v175, v143 :: v_dual_fmac_f32 v195, v173, v140
	s_delay_alu instid0(VALU_DEP_4) | instskip(SKIP_1) | instid1(VALU_DEP_4)
	v_fma_f32 v4, v172, v140, -v4
	v_dual_fmac_f32 v196, v175, v142 :: v_dual_fmac_f32 v197, v181, v176
	v_add_f32_e32 v2, v2, v5
	v_mul_f32_e32 v5, v181, v177
	v_add_f32_e32 v3, v3, v192
	v_fma_f32 v6, v174, v142, -v6
	s_delay_alu instid0(VALU_DEP_2) | instskip(NEXT) | instid1(VALU_DEP_1)
	v_add_f32_e32 v3, v3, v193
	v_dual_add_f32 v3, v3, v194 :: v_dual_add_f32 v2, v2, v4
	v_fma_f32 v4, v180, v176, -v5
	s_delay_alu instid0(VALU_DEP_2) | instskip(NEXT) | instid1(VALU_DEP_1)
	v_dual_add_f32 v3, v3, v195 :: v_dual_add_f32 v2, v2, v6
	v_add_f32_e32 v3, v3, v196
	s_delay_alu instid0(VALU_DEP_1) | instskip(SKIP_1) | instid1(VALU_DEP_1)
	v_dual_add_f32 v2, v2, v4 :: v_dual_add_f32 v3, v3, v197
	s_wait_loadcnt 0x0
	v_dual_sub_f32 v2, v178, v2 :: v_dual_sub_f32 v3, v179, v3
	scratch_store_b64 off, v[2:3], off offset:288
	v_cmpx_lt_u32_e32 35, v0
	s_cbranch_execz .LBB117_267
; %bb.266:
	scratch_load_b64 v[3:4], off, off offset:280
	v_mov_b32_e32 v2, v1
	scratch_store_b64 off, v[1:2], off offset:280
	s_wait_loadcnt 0x0
	ds_store_b64 v27, v[3:4]
.LBB117_267:
	s_wait_alu 0xfffe
	s_or_b32 exec_lo, exec_lo, s0
	s_wait_storecnt_dscnt 0x0
	s_barrier_signal -1
	s_barrier_wait -1
	global_inv scope:SCOPE_SE
	s_clause 0x9
	scratch_load_b128 v[2:5], off, off offset:288
	scratch_load_b128 v[6:9], off, off offset:304
	;; [unrolled: 1-line block ×9, first 2 shown]
	scratch_load_b64 v[184:185], off, off offset:280
	ds_load_b128 v[148:151], v1 offset:720
	ds_load_b128 v[152:155], v1 offset:736
	;; [unrolled: 1-line block ×9, first 2 shown]
	s_mov_b32 s0, exec_lo
	s_wait_loadcnt_dscnt 0x908
	v_dual_mul_f32 v1, v148, v3 :: v_dual_mul_f32 v26, v150, v5
	v_mul_f32_e32 v5, v151, v5
	v_mul_f32_e32 v3, v149, v3
	s_wait_loadcnt_dscnt 0x807
	v_dual_mul_f32 v186, v152, v7 :: v_dual_mul_f32 v187, v154, v9
	s_wait_loadcnt_dscnt 0x201
	v_dual_fmac_f32 v1, v149, v2 :: v_dual_mul_f32 v198, v176, v141
	v_fma_f32 v3, v148, v2, -v3
	s_wait_loadcnt_dscnt 0x100
	v_dual_mul_f32 v201, v182, v147 :: v_dual_fmac_f32 v26, v151, v4
	v_mul_f32_e32 v2, v153, v7
	v_fma_f32 v4, v150, v4, -v5
	v_dual_add_f32 v3, 0, v3 :: v_dual_fmac_f32 v186, v153, v6
	v_dual_mul_f32 v188, v156, v11 :: v_dual_mul_f32 v189, v158, v13
	v_dual_mul_f32 v190, v160, v15 :: v_dual_mul_f32 v191, v162, v17
	s_delay_alu instid0(VALU_DEP_2) | instskip(SKIP_1) | instid1(VALU_DEP_3)
	v_dual_mul_f32 v5, v155, v9 :: v_dual_fmac_f32 v188, v157, v10
	v_fma_f32 v2, v152, v6, -v2
	v_dual_add_f32 v3, v3, v4 :: v_dual_fmac_f32 v190, v161, v14
	s_delay_alu instid0(VALU_DEP_3) | instskip(SKIP_1) | instid1(VALU_DEP_3)
	v_fma_f32 v5, v154, v8, -v5
	v_dual_mul_f32 v192, v164, v19 :: v_dual_mul_f32 v193, v166, v21
	v_add_f32_e32 v2, v3, v2
	v_dual_mul_f32 v4, v157, v11 :: v_dual_mul_f32 v3, v159, v13
	s_delay_alu instid0(VALU_DEP_3) | instskip(SKIP_1) | instid1(VALU_DEP_4)
	v_fmac_f32_e32 v192, v165, v18
	v_dual_mul_f32 v194, v168, v23 :: v_dual_mul_f32 v195, v170, v25
	v_add_f32_e32 v2, v2, v5
	v_add_f32_e32 v1, 0, v1
	v_fma_f32 v4, v156, v10, -v4
	v_fma_f32 v3, v158, v12, -v3
	v_dual_fmac_f32 v191, v163, v16 :: v_dual_mul_f32 v196, v172, v29
	v_mul_f32_e32 v197, v174, v31
	s_delay_alu instid0(VALU_DEP_4) | instskip(SKIP_3) | instid1(VALU_DEP_4)
	v_dual_add_f32 v1, v1, v26 :: v_dual_add_f32 v2, v2, v4
	v_mul_f32_e32 v4, v163, v17
	v_fmac_f32_e32 v187, v155, v8
	v_dual_mul_f32 v199, v178, v143 :: v_dual_mul_f32 v200, v180, v145
	v_add_f32_e32 v1, v1, v186
	s_delay_alu instid0(VALU_DEP_4) | instskip(SKIP_2) | instid1(VALU_DEP_4)
	v_fma_f32 v4, v162, v16, -v4
	v_mul_f32_e32 v5, v161, v15
	v_dual_add_f32 v2, v2, v3 :: v_dual_fmac_f32 v195, v171, v24
	v_add_f32_e32 v1, v1, v187
	v_dual_fmac_f32 v197, v175, v30 :: v_dual_fmac_f32 v198, v177, v140
	s_delay_alu instid0(VALU_DEP_4) | instskip(SKIP_2) | instid1(VALU_DEP_3)
	v_fma_f32 v5, v160, v14, -v5
	v_dual_fmac_f32 v189, v159, v12 :: v_dual_fmac_f32 v194, v169, v22
	v_dual_fmac_f32 v201, v183, v146 :: v_dual_fmac_f32 v196, v173, v28
	v_add_f32_e32 v2, v2, v5
	v_dual_mul_f32 v5, v167, v21 :: v_dual_fmac_f32 v200, v181, v144
	s_delay_alu instid0(VALU_DEP_2) | instskip(NEXT) | instid1(VALU_DEP_2)
	v_add_f32_e32 v2, v2, v4
	v_fma_f32 v5, v166, v20, -v5
	v_mul_f32_e32 v3, v165, v19
	v_mul_f32_e32 v4, v169, v23
	s_delay_alu instid0(VALU_DEP_2) | instskip(SKIP_1) | instid1(VALU_DEP_3)
	v_fma_f32 v3, v164, v18, -v3
	v_add_f32_e32 v1, v1, v188
	v_fma_f32 v4, v168, v22, -v4
	s_delay_alu instid0(VALU_DEP_3) | instskip(NEXT) | instid1(VALU_DEP_1)
	v_dual_add_f32 v2, v2, v3 :: v_dual_mul_f32 v3, v171, v25
	v_add_f32_e32 v2, v2, v5
	s_delay_alu instid0(VALU_DEP_4) | instskip(NEXT) | instid1(VALU_DEP_3)
	v_add_f32_e32 v1, v1, v189
	v_fma_f32 v3, v170, v24, -v3
	s_delay_alu instid0(VALU_DEP_2) | instskip(SKIP_1) | instid1(VALU_DEP_2)
	v_dual_add_f32 v2, v2, v4 :: v_dual_add_f32 v1, v1, v190
	v_mul_f32_e32 v4, v175, v31
	v_dual_fmac_f32 v193, v167, v20 :: v_dual_add_f32 v2, v2, v3
	v_mul_f32_e32 v3, v177, v141
	s_delay_alu instid0(VALU_DEP_3) | instskip(SKIP_1) | instid1(VALU_DEP_3)
	v_fma_f32 v4, v174, v30, -v4
	v_mul_f32_e32 v5, v173, v29
	v_fma_f32 v3, v176, v140, -v3
	s_delay_alu instid0(VALU_DEP_2) | instskip(NEXT) | instid1(VALU_DEP_1)
	v_fma_f32 v5, v172, v28, -v5
	v_dual_add_f32 v1, v1, v191 :: v_dual_add_f32 v2, v2, v5
	s_delay_alu instid0(VALU_DEP_1) | instskip(NEXT) | instid1(VALU_DEP_2)
	v_dual_mul_f32 v5, v179, v143 :: v_dual_add_f32 v2, v2, v4
	v_add_f32_e32 v1, v1, v192
	v_mul_f32_e32 v4, v181, v145
	s_delay_alu instid0(VALU_DEP_3) | instskip(NEXT) | instid1(VALU_DEP_4)
	v_fma_f32 v5, v178, v142, -v5
	v_dual_add_f32 v2, v2, v3 :: v_dual_fmac_f32 v199, v179, v142
	v_mul_f32_e32 v3, v183, v147
	s_delay_alu instid0(VALU_DEP_4) | instskip(NEXT) | instid1(VALU_DEP_3)
	v_fma_f32 v4, v180, v144, -v4
	v_add_f32_e32 v2, v2, v5
	v_add_f32_e32 v1, v1, v193
	s_delay_alu instid0(VALU_DEP_4) | instskip(NEXT) | instid1(VALU_DEP_2)
	v_fma_f32 v3, v182, v146, -v3
	v_dual_add_f32 v2, v2, v4 :: v_dual_add_f32 v1, v1, v194
	s_delay_alu instid0(VALU_DEP_1) | instskip(NEXT) | instid1(VALU_DEP_2)
	v_add_f32_e32 v2, v2, v3
	v_add_f32_e32 v1, v1, v195
	s_delay_alu instid0(VALU_DEP_1) | instskip(NEXT) | instid1(VALU_DEP_1)
	v_add_f32_e32 v1, v1, v196
	v_add_f32_e32 v1, v1, v197
	s_delay_alu instid0(VALU_DEP_1) | instskip(NEXT) | instid1(VALU_DEP_1)
	;; [unrolled: 3-line block ×3, first 2 shown]
	v_add_f32_e32 v1, v1, v200
	v_add_f32_e32 v3, v1, v201
	s_wait_loadcnt 0x0
	s_delay_alu instid0(VALU_DEP_1)
	v_dual_sub_f32 v1, v184, v2 :: v_dual_sub_f32 v2, v185, v3
	scratch_store_b64 off, v[1:2], off offset:280
	v_cmpx_lt_u32_e32 34, v0
	s_cbranch_execz .LBB117_269
; %bb.268:
	scratch_load_b64 v[1:2], off, off offset:272
	v_mov_b32_e32 v3, 0
	s_delay_alu instid0(VALU_DEP_1)
	v_mov_b32_e32 v4, v3
	scratch_store_b64 off, v[3:4], off offset:272
	s_wait_loadcnt 0x0
	ds_store_b64 v27, v[1:2]
.LBB117_269:
	s_wait_alu 0xfffe
	s_or_b32 exec_lo, exec_lo, s0
	s_wait_storecnt_dscnt 0x0
	s_barrier_signal -1
	s_barrier_wait -1
	global_inv scope:SCOPE_SE
	s_clause 0xa
	scratch_load_b128 v[2:5], off, off offset:280
	scratch_load_b128 v[6:9], off, off offset:296
	;; [unrolled: 1-line block ×9, first 2 shown]
	scratch_load_b64 v[184:185], off, off offset:424
	scratch_load_b64 v[186:187], off, off offset:272
	v_mov_b32_e32 v1, 0
	ds_load_2addr_b64 v[148:151], v1 offset0:89 offset1:90
	ds_load_2addr_b64 v[152:155], v1 offset0:91 offset1:92
	ds_load_2addr_b64 v[156:159], v1 offset0:93 offset1:94
	ds_load_2addr_b64 v[160:163], v1 offset0:95 offset1:96
	ds_load_2addr_b64 v[164:167], v1 offset0:97 offset1:98
	ds_load_2addr_b64 v[168:171], v1 offset0:99 offset1:100
	ds_load_2addr_b64 v[172:175], v1 offset0:101 offset1:102
	ds_load_2addr_b64 v[176:179], v1 offset0:103 offset1:104
	ds_load_2addr_b64 v[180:183], v1 offset0:105 offset1:106
	ds_load_b64 v[188:189], v1 offset:856
	s_mov_b32 s0, exec_lo
	s_wait_loadcnt_dscnt 0xa09
	v_mul_f32_e32 v26, v148, v3
	v_dual_mul_f32 v3, v149, v3 :: v_dual_mul_f32 v190, v150, v5
	s_wait_loadcnt_dscnt 0x908
	v_mul_f32_e32 v191, v152, v7
	v_mul_f32_e32 v5, v151, v5
	s_wait_loadcnt_dscnt 0x504
	v_mul_f32_e32 v200, v170, v25
	v_fma_f32 v3, v148, v2, -v3
	v_dual_mul_f32 v192, v154, v9 :: v_dual_mul_f32 v193, v156, v11
	s_wait_loadcnt_dscnt 0x100
	v_dual_mul_f32 v207, v188, v185 :: v_dual_fmac_f32 v26, v149, v2
	v_mul_f32_e32 v2, v153, v7
	v_dual_fmac_f32 v190, v151, v4 :: v_dual_add_f32 v3, 0, v3
	v_fma_f32 v4, v150, v4, -v5
	s_delay_alu instid0(VALU_DEP_4) | instskip(SKIP_2) | instid1(VALU_DEP_4)
	v_dual_add_f32 v5, 0, v26 :: v_dual_fmac_f32 v192, v155, v8
	v_mul_f32_e32 v7, v155, v9
	v_fma_f32 v2, v152, v6, -v2
	v_add_f32_e32 v3, v3, v4
	v_fmac_f32_e32 v191, v153, v6
	v_add_f32_e32 v4, v5, v190
	v_mul_f32_e32 v5, v157, v11
	v_fma_f32 v6, v154, v8, -v7
	v_add_f32_e32 v2, v3, v2
	v_dual_mul_f32 v194, v158, v13 :: v_dual_mul_f32 v195, v160, v15
	v_dual_add_f32 v3, v4, v191 :: v_dual_mul_f32 v4, v159, v13
	v_fma_f32 v5, v156, v10, -v5
	s_delay_alu instid0(VALU_DEP_4)
	v_add_f32_e32 v2, v2, v6
	v_fmac_f32_e32 v193, v157, v10
	v_mul_f32_e32 v6, v161, v15
	v_fmac_f32_e32 v194, v159, v12
	v_add_f32_e32 v3, v3, v192
	v_fma_f32 v4, v158, v12, -v4
	v_add_f32_e32 v2, v2, v5
	v_dual_mul_f32 v196, v162, v17 :: v_dual_mul_f32 v197, v164, v19
	s_delay_alu instid0(VALU_DEP_4)
	v_add_f32_e32 v3, v3, v193
	v_mul_f32_e32 v5, v163, v17
	v_fma_f32 v6, v160, v14, -v6
	v_dual_add_f32 v2, v2, v4 :: v_dual_fmac_f32 v195, v161, v14
	v_fmac_f32_e32 v196, v163, v16
	v_mul_f32_e32 v4, v165, v19
	v_fma_f32 v5, v162, v16, -v5
	s_delay_alu instid0(VALU_DEP_4) | instskip(SKIP_3) | instid1(VALU_DEP_3)
	v_add_f32_e32 v2, v2, v6
	v_add_f32_e32 v3, v3, v194
	v_dual_mul_f32 v6, v167, v21 :: v_dual_fmac_f32 v197, v165, v18
	v_fma_f32 v4, v164, v18, -v4
	v_dual_add_f32 v2, v2, v5 :: v_dual_add_f32 v3, v3, v195
	v_dual_mul_f32 v198, v166, v21 :: v_dual_mul_f32 v199, v168, v23
	v_mul_f32_e32 v5, v169, v23
	v_fma_f32 v6, v166, v20, -v6
	s_delay_alu instid0(VALU_DEP_4) | instskip(SKIP_4) | instid1(VALU_DEP_4)
	v_add_f32_e32 v2, v2, v4
	v_add_f32_e32 v3, v3, v196
	v_fmac_f32_e32 v198, v167, v20
	v_dual_mul_f32 v4, v171, v25 :: v_dual_fmac_f32 v199, v169, v22
	v_fma_f32 v5, v168, v22, -v5
	v_dual_add_f32 v2, v2, v6 :: v_dual_add_f32 v3, v3, v197
	v_mul_f32_e32 v6, v173, v29
	s_delay_alu instid0(VALU_DEP_4) | instskip(SKIP_1) | instid1(VALU_DEP_4)
	v_fma_f32 v4, v170, v24, -v4
	v_dual_mul_f32 v201, v172, v29 :: v_dual_mul_f32 v202, v174, v31
	v_dual_add_f32 v3, v3, v198 :: v_dual_add_f32 v2, v2, v5
	s_delay_alu instid0(VALU_DEP_4) | instskip(SKIP_1) | instid1(VALU_DEP_4)
	v_fma_f32 v6, v172, v28, -v6
	v_fmac_f32_e32 v200, v171, v24
	v_dual_fmac_f32 v201, v173, v28 :: v_dual_fmac_f32 v202, v175, v30
	s_delay_alu instid0(VALU_DEP_4) | instskip(SKIP_3) | instid1(VALU_DEP_3)
	v_add_f32_e32 v3, v3, v199
	v_dual_mul_f32 v5, v175, v31 :: v_dual_add_f32 v2, v2, v4
	v_dual_mul_f32 v203, v176, v141 :: v_dual_mul_f32 v204, v178, v143
	v_mul_f32_e32 v4, v177, v141
	v_fma_f32 v5, v174, v30, -v5
	s_delay_alu instid0(VALU_DEP_4) | instskip(NEXT) | instid1(VALU_DEP_4)
	v_add_f32_e32 v2, v2, v6
	v_dual_mul_f32 v6, v179, v143 :: v_dual_fmac_f32 v203, v177, v140
	s_delay_alu instid0(VALU_DEP_4) | instskip(SKIP_1) | instid1(VALU_DEP_4)
	v_fma_f32 v4, v176, v140, -v4
	v_dual_mul_f32 v205, v180, v145 :: v_dual_mul_f32 v206, v182, v147
	v_add_f32_e32 v2, v2, v5
	v_mul_f32_e32 v5, v181, v145
	v_add_f32_e32 v3, v3, v200
	s_delay_alu instid0(VALU_DEP_4) | instskip(SKIP_1) | instid1(VALU_DEP_4)
	v_dual_fmac_f32 v204, v179, v142 :: v_dual_fmac_f32 v205, v181, v144
	v_fma_f32 v6, v178, v142, -v6
	v_fma_f32 v5, v180, v144, -v5
	s_delay_alu instid0(VALU_DEP_4) | instskip(SKIP_1) | instid1(VALU_DEP_2)
	v_add_f32_e32 v3, v3, v201
	v_dual_fmac_f32 v206, v183, v146 :: v_dual_fmac_f32 v207, v189, v184
	v_dual_add_f32 v3, v3, v202 :: v_dual_add_f32 v2, v2, v4
	v_mul_f32_e32 v4, v183, v147
	s_delay_alu instid0(VALU_DEP_2) | instskip(NEXT) | instid1(VALU_DEP_2)
	v_dual_add_f32 v3, v3, v203 :: v_dual_add_f32 v2, v2, v6
	v_fma_f32 v4, v182, v146, -v4
	s_delay_alu instid0(VALU_DEP_2) | instskip(NEXT) | instid1(VALU_DEP_1)
	v_add_f32_e32 v3, v3, v204
	v_add_f32_e32 v3, v3, v205
	s_delay_alu instid0(VALU_DEP_1) | instskip(SKIP_1) | instid1(VALU_DEP_2)
	v_dual_mul_f32 v6, v189, v185 :: v_dual_add_f32 v3, v3, v206
	v_add_f32_e32 v2, v2, v5
	v_fma_f32 v5, v188, v184, -v6
	s_delay_alu instid0(VALU_DEP_2) | instskip(SKIP_1) | instid1(VALU_DEP_1)
	v_dual_add_f32 v3, v3, v207 :: v_dual_add_f32 v2, v2, v4
	s_wait_loadcnt 0x0
	v_dual_sub_f32 v3, v187, v3 :: v_dual_add_f32 v2, v2, v5
	s_delay_alu instid0(VALU_DEP_1)
	v_sub_f32_e32 v2, v186, v2
	scratch_store_b64 off, v[2:3], off offset:272
	v_cmpx_lt_u32_e32 33, v0
	s_cbranch_execz .LBB117_271
; %bb.270:
	scratch_load_b64 v[3:4], off, off offset:264
	v_mov_b32_e32 v2, v1
	scratch_store_b64 off, v[1:2], off offset:264
	s_wait_loadcnt 0x0
	ds_store_b64 v27, v[3:4]
.LBB117_271:
	s_wait_alu 0xfffe
	s_or_b32 exec_lo, exec_lo, s0
	s_wait_storecnt_dscnt 0x0
	s_barrier_signal -1
	s_barrier_wait -1
	global_inv scope:SCOPE_SE
	s_clause 0xa
	scratch_load_b128 v[2:5], off, off offset:272
	scratch_load_b128 v[6:9], off, off offset:288
	;; [unrolled: 1-line block ×10, first 2 shown]
	scratch_load_b64 v[192:193], off, off offset:264
	ds_load_b128 v[152:155], v1 offset:704
	ds_load_b128 v[156:159], v1 offset:720
	;; [unrolled: 1-line block ×10, first 2 shown]
	s_mov_b32 s0, exec_lo
	s_wait_loadcnt_dscnt 0xa09
	v_dual_mul_f32 v1, v152, v3 :: v_dual_mul_f32 v26, v154, v5
	s_wait_loadcnt_dscnt 0x908
	v_dual_mul_f32 v5, v155, v5 :: v_dual_mul_f32 v194, v156, v7
	v_mul_f32_e32 v195, v158, v9
	v_mul_f32_e32 v3, v153, v3
	v_dual_fmac_f32 v1, v153, v2 :: v_dual_fmac_f32 v26, v155, v4
	s_wait_loadcnt_dscnt 0x100
	v_dual_mul_f32 v208, v184, v145 :: v_dual_mul_f32 v211, v190, v151
	s_delay_alu instid0(VALU_DEP_3) | instskip(SKIP_3) | instid1(VALU_DEP_4)
	v_fma_f32 v3, v152, v2, -v3
	v_mul_f32_e32 v2, v157, v7
	v_fma_f32 v4, v154, v4, -v5
	v_dual_mul_f32 v196, v160, v11 :: v_dual_mul_f32 v197, v162, v13
	v_dual_add_f32 v3, 0, v3 :: v_dual_fmac_f32 v194, v157, v6
	v_dual_mul_f32 v198, v164, v15 :: v_dual_mul_f32 v199, v166, v17
	s_delay_alu instid0(VALU_DEP_3) | instskip(SKIP_1) | instid1(VALU_DEP_3)
	v_dual_mul_f32 v5, v159, v9 :: v_dual_fmac_f32 v196, v161, v10
	v_fma_f32 v2, v156, v6, -v2
	v_dual_add_f32 v3, v3, v4 :: v_dual_fmac_f32 v198, v165, v14
	s_delay_alu instid0(VALU_DEP_3) | instskip(SKIP_1) | instid1(VALU_DEP_3)
	v_fma_f32 v5, v158, v8, -v5
	v_dual_mul_f32 v200, v168, v19 :: v_dual_mul_f32 v201, v170, v21
	v_add_f32_e32 v2, v3, v2
	v_dual_mul_f32 v3, v163, v13 :: v_dual_mul_f32 v4, v161, v11
	s_delay_alu instid0(VALU_DEP_3) | instskip(SKIP_1) | instid1(VALU_DEP_4)
	v_fmac_f32_e32 v200, v169, v18
	v_dual_mul_f32 v202, v172, v23 :: v_dual_mul_f32 v203, v174, v25
	v_add_f32_e32 v2, v2, v5
	v_add_f32_e32 v1, 0, v1
	v_fma_f32 v4, v160, v10, -v4
	v_fma_f32 v3, v162, v12, -v3
	v_dual_fmac_f32 v199, v167, v16 :: v_dual_mul_f32 v204, v176, v29
	v_mul_f32_e32 v205, v178, v31
	s_delay_alu instid0(VALU_DEP_4) | instskip(SKIP_3) | instid1(VALU_DEP_4)
	v_dual_add_f32 v1, v1, v26 :: v_dual_add_f32 v2, v2, v4
	v_mul_f32_e32 v4, v167, v17
	v_dual_fmac_f32 v195, v159, v8 :: v_dual_mul_f32 v206, v180, v141
	v_mul_f32_e32 v207, v182, v143
	v_add_f32_e32 v1, v1, v194
	s_delay_alu instid0(VALU_DEP_4) | instskip(SKIP_2) | instid1(VALU_DEP_4)
	v_fma_f32 v4, v166, v16, -v4
	v_mul_f32_e32 v5, v165, v15
	v_dual_add_f32 v2, v2, v3 :: v_dual_fmac_f32 v203, v175, v24
	v_add_f32_e32 v1, v1, v195
	v_dual_mul_f32 v209, v186, v147 :: v_dual_mul_f32 v210, v188, v149
	s_delay_alu instid0(VALU_DEP_4) | instskip(SKIP_2) | instid1(VALU_DEP_3)
	v_fma_f32 v5, v164, v14, -v5
	v_dual_fmac_f32 v197, v163, v12 :: v_dual_fmac_f32 v202, v173, v22
	v_dual_fmac_f32 v205, v179, v30 :: v_dual_fmac_f32 v206, v181, v140
	v_add_f32_e32 v2, v2, v5
	v_mul_f32_e32 v5, v171, v21
	v_fmac_f32_e32 v209, v187, v146
	v_dual_fmac_f32 v211, v191, v150 :: v_dual_fmac_f32 v204, v177, v28
	s_delay_alu instid0(VALU_DEP_4) | instskip(NEXT) | instid1(VALU_DEP_4)
	v_add_f32_e32 v2, v2, v4
	v_fma_f32 v5, v170, v20, -v5
	v_mul_f32_e32 v3, v169, v19
	v_mul_f32_e32 v4, v173, v23
	v_fmac_f32_e32 v208, v185, v144
	v_fmac_f32_e32 v210, v189, v148
	s_delay_alu instid0(VALU_DEP_4) | instskip(SKIP_2) | instid1(VALU_DEP_3)
	v_fma_f32 v3, v168, v18, -v3
	v_add_f32_e32 v1, v1, v196
	v_fma_f32 v4, v172, v22, -v4
	v_dual_add_f32 v2, v2, v3 :: v_dual_mul_f32 v3, v175, v25
	s_delay_alu instid0(VALU_DEP_1) | instskip(NEXT) | instid1(VALU_DEP_4)
	v_add_f32_e32 v2, v2, v5
	v_add_f32_e32 v1, v1, v197
	s_delay_alu instid0(VALU_DEP_3) | instskip(NEXT) | instid1(VALU_DEP_2)
	v_fma_f32 v3, v174, v24, -v3
	v_dual_add_f32 v2, v2, v4 :: v_dual_add_f32 v1, v1, v198
	v_mul_f32_e32 v4, v179, v31
	s_delay_alu instid0(VALU_DEP_2) | instskip(SKIP_1) | instid1(VALU_DEP_3)
	v_dual_fmac_f32 v201, v171, v20 :: v_dual_add_f32 v2, v2, v3
	v_mul_f32_e32 v3, v181, v141
	v_fma_f32 v4, v178, v30, -v4
	v_mul_f32_e32 v5, v177, v29
	s_delay_alu instid0(VALU_DEP_3) | instskip(NEXT) | instid1(VALU_DEP_2)
	v_fma_f32 v3, v180, v140, -v3
	v_fma_f32 v5, v176, v28, -v5
	s_delay_alu instid0(VALU_DEP_1) | instskip(NEXT) | instid1(VALU_DEP_1)
	v_dual_add_f32 v1, v1, v199 :: v_dual_add_f32 v2, v2, v5
	v_dual_mul_f32 v5, v183, v143 :: v_dual_add_f32 v2, v2, v4
	s_delay_alu instid0(VALU_DEP_2) | instskip(SKIP_1) | instid1(VALU_DEP_3)
	v_add_f32_e32 v1, v1, v200
	v_mul_f32_e32 v4, v185, v145
	v_fma_f32 v5, v182, v142, -v5
	s_delay_alu instid0(VALU_DEP_4) | instskip(SKIP_1) | instid1(VALU_DEP_4)
	v_dual_add_f32 v2, v2, v3 :: v_dual_fmac_f32 v207, v183, v142
	v_mul_f32_e32 v3, v187, v147
	v_fma_f32 v4, v184, v144, -v4
	s_delay_alu instid0(VALU_DEP_3) | instskip(SKIP_1) | instid1(VALU_DEP_4)
	v_add_f32_e32 v2, v2, v5
	v_add_f32_e32 v1, v1, v201
	v_fma_f32 v3, v186, v146, -v3
	s_delay_alu instid0(VALU_DEP_2) | instskip(SKIP_1) | instid1(VALU_DEP_2)
	v_dual_add_f32 v2, v2, v4 :: v_dual_add_f32 v1, v1, v202
	v_dual_mul_f32 v4, v191, v151 :: v_dual_mul_f32 v5, v189, v149
	v_add_f32_e32 v2, v2, v3
	s_delay_alu instid0(VALU_DEP_2) | instskip(NEXT) | instid1(VALU_DEP_3)
	v_fma_f32 v3, v190, v150, -v4
	v_fma_f32 v5, v188, v148, -v5
	s_delay_alu instid0(VALU_DEP_1) | instskip(NEXT) | instid1(VALU_DEP_1)
	v_dual_add_f32 v1, v1, v203 :: v_dual_add_f32 v2, v2, v5
	v_dual_add_f32 v1, v1, v204 :: v_dual_add_f32 v2, v2, v3
	s_delay_alu instid0(VALU_DEP_1) | instskip(NEXT) | instid1(VALU_DEP_1)
	v_add_f32_e32 v1, v1, v205
	v_add_f32_e32 v1, v1, v206
	s_delay_alu instid0(VALU_DEP_1) | instskip(NEXT) | instid1(VALU_DEP_1)
	v_add_f32_e32 v1, v1, v207
	v_add_f32_e32 v1, v1, v208
	;; [unrolled: 3-line block ×3, first 2 shown]
	s_delay_alu instid0(VALU_DEP_1) | instskip(SKIP_1) | instid1(VALU_DEP_1)
	v_add_f32_e32 v3, v1, v211
	s_wait_loadcnt 0x0
	v_dual_sub_f32 v1, v192, v2 :: v_dual_sub_f32 v2, v193, v3
	scratch_store_b64 off, v[1:2], off offset:264
	v_cmpx_lt_u32_e32 32, v0
	s_cbranch_execz .LBB117_273
; %bb.272:
	scratch_load_b64 v[1:2], off, off offset:256
	v_mov_b32_e32 v3, 0
	s_delay_alu instid0(VALU_DEP_1)
	v_mov_b32_e32 v4, v3
	scratch_store_b64 off, v[3:4], off offset:256
	s_wait_loadcnt 0x0
	ds_store_b64 v27, v[1:2]
.LBB117_273:
	s_wait_alu 0xfffe
	s_or_b32 exec_lo, exec_lo, s0
	s_wait_storecnt_dscnt 0x0
	s_barrier_signal -1
	s_barrier_wait -1
	global_inv scope:SCOPE_SE
	s_clause 0xb
	scratch_load_b128 v[2:5], off, off offset:264
	scratch_load_b128 v[6:9], off, off offset:280
	;; [unrolled: 1-line block ×10, first 2 shown]
	scratch_load_b64 v[192:193], off, off offset:424
	scratch_load_b64 v[194:195], off, off offset:256
	v_mov_b32_e32 v1, 0
	ds_load_2addr_b64 v[152:155], v1 offset0:87 offset1:88
	ds_load_2addr_b64 v[156:159], v1 offset0:89 offset1:90
	;; [unrolled: 1-line block ×10, first 2 shown]
	ds_load_b64 v[196:197], v1 offset:856
	s_mov_b32 s0, exec_lo
	s_wait_loadcnt_dscnt 0xb0a
	v_mul_f32_e32 v26, v152, v3
	v_dual_mul_f32 v3, v153, v3 :: v_dual_mul_f32 v198, v154, v5
	s_wait_loadcnt_dscnt 0xa09
	v_mul_f32_e32 v199, v156, v7
	v_mul_f32_e32 v5, v155, v5
	s_wait_loadcnt_dscnt 0x605
	v_mul_f32_e32 v208, v174, v25
	v_fma_f32 v3, v152, v2, -v3
	v_dual_mul_f32 v200, v158, v9 :: v_dual_mul_f32 v201, v160, v11
	s_wait_loadcnt_dscnt 0x100
	v_dual_fmac_f32 v26, v153, v2 :: v_dual_mul_f32 v217, v196, v193
	v_mul_f32_e32 v2, v157, v7
	v_dual_fmac_f32 v198, v155, v4 :: v_dual_add_f32 v3, 0, v3
	v_fma_f32 v4, v154, v4, -v5
	s_delay_alu instid0(VALU_DEP_4) | instskip(SKIP_2) | instid1(VALU_DEP_4)
	v_dual_add_f32 v5, 0, v26 :: v_dual_fmac_f32 v200, v159, v8
	v_mul_f32_e32 v7, v159, v9
	v_fma_f32 v2, v156, v6, -v2
	v_add_f32_e32 v3, v3, v4
	v_fmac_f32_e32 v199, v157, v6
	v_add_f32_e32 v4, v5, v198
	v_mul_f32_e32 v5, v161, v11
	v_fma_f32 v6, v158, v8, -v7
	v_add_f32_e32 v2, v3, v2
	v_dual_mul_f32 v202, v162, v13 :: v_dual_mul_f32 v203, v164, v15
	v_dual_add_f32 v3, v4, v199 :: v_dual_mul_f32 v4, v163, v13
	v_fma_f32 v5, v160, v10, -v5
	s_delay_alu instid0(VALU_DEP_4)
	v_add_f32_e32 v2, v2, v6
	v_fmac_f32_e32 v201, v161, v10
	v_mul_f32_e32 v6, v165, v15
	v_fmac_f32_e32 v202, v163, v12
	v_add_f32_e32 v3, v3, v200
	v_fma_f32 v4, v162, v12, -v4
	v_add_f32_e32 v2, v2, v5
	v_dual_mul_f32 v204, v166, v17 :: v_dual_mul_f32 v205, v168, v19
	s_delay_alu instid0(VALU_DEP_4)
	v_add_f32_e32 v3, v3, v201
	v_mul_f32_e32 v5, v167, v17
	v_fma_f32 v6, v164, v14, -v6
	v_dual_add_f32 v2, v2, v4 :: v_dual_fmac_f32 v203, v165, v14
	v_fmac_f32_e32 v204, v167, v16
	v_mul_f32_e32 v4, v169, v19
	v_fma_f32 v5, v166, v16, -v5
	s_delay_alu instid0(VALU_DEP_4) | instskip(SKIP_3) | instid1(VALU_DEP_3)
	v_add_f32_e32 v2, v2, v6
	v_add_f32_e32 v3, v3, v202
	v_dual_mul_f32 v6, v171, v21 :: v_dual_fmac_f32 v205, v169, v18
	v_fma_f32 v4, v168, v18, -v4
	v_dual_add_f32 v2, v2, v5 :: v_dual_add_f32 v3, v3, v203
	v_dual_mul_f32 v206, v170, v21 :: v_dual_mul_f32 v207, v172, v23
	v_mul_f32_e32 v5, v173, v23
	v_fma_f32 v6, v170, v20, -v6
	s_delay_alu instid0(VALU_DEP_4) | instskip(SKIP_4) | instid1(VALU_DEP_4)
	v_add_f32_e32 v2, v2, v4
	v_add_f32_e32 v3, v3, v204
	v_fmac_f32_e32 v206, v171, v20
	v_dual_mul_f32 v4, v175, v25 :: v_dual_fmac_f32 v207, v173, v22
	v_fma_f32 v5, v172, v22, -v5
	v_dual_add_f32 v2, v2, v6 :: v_dual_add_f32 v3, v3, v205
	v_mul_f32_e32 v6, v177, v29
	s_delay_alu instid0(VALU_DEP_4) | instskip(SKIP_1) | instid1(VALU_DEP_4)
	v_fma_f32 v4, v174, v24, -v4
	v_dual_mul_f32 v209, v176, v29 :: v_dual_mul_f32 v210, v178, v31
	v_dual_add_f32 v3, v3, v206 :: v_dual_add_f32 v2, v2, v5
	s_delay_alu instid0(VALU_DEP_4) | instskip(SKIP_1) | instid1(VALU_DEP_4)
	v_fma_f32 v6, v176, v28, -v6
	v_fmac_f32_e32 v208, v175, v24
	v_dual_fmac_f32 v209, v177, v28 :: v_dual_fmac_f32 v210, v179, v30
	s_delay_alu instid0(VALU_DEP_4) | instskip(SKIP_3) | instid1(VALU_DEP_3)
	v_add_f32_e32 v3, v3, v207
	v_dual_mul_f32 v5, v179, v31 :: v_dual_add_f32 v2, v2, v4
	v_dual_mul_f32 v211, v180, v141 :: v_dual_mul_f32 v212, v182, v143
	v_mul_f32_e32 v4, v181, v141
	v_fma_f32 v5, v178, v30, -v5
	s_delay_alu instid0(VALU_DEP_4) | instskip(NEXT) | instid1(VALU_DEP_4)
	v_add_f32_e32 v2, v2, v6
	v_dual_mul_f32 v6, v183, v143 :: v_dual_fmac_f32 v211, v181, v140
	s_delay_alu instid0(VALU_DEP_4) | instskip(SKIP_1) | instid1(VALU_DEP_4)
	v_fma_f32 v4, v180, v140, -v4
	v_dual_mul_f32 v213, v184, v145 :: v_dual_mul_f32 v214, v186, v147
	v_add_f32_e32 v2, v2, v5
	v_mul_f32_e32 v5, v185, v145
	v_add_f32_e32 v3, v3, v208
	s_delay_alu instid0(VALU_DEP_4) | instskip(SKIP_2) | instid1(VALU_DEP_4)
	v_dual_fmac_f32 v212, v183, v142 :: v_dual_fmac_f32 v213, v185, v144
	v_fma_f32 v6, v182, v142, -v6
	v_dual_mul_f32 v215, v188, v149 :: v_dual_mul_f32 v216, v190, v151
	v_add_f32_e32 v3, v3, v209
	v_fma_f32 v5, v184, v144, -v5
	v_dual_fmac_f32 v214, v187, v146 :: v_dual_fmac_f32 v217, v197, v192
	s_delay_alu instid0(VALU_DEP_4) | instskip(NEXT) | instid1(VALU_DEP_4)
	v_fmac_f32_e32 v215, v189, v148
	v_dual_add_f32 v3, v3, v210 :: v_dual_add_f32 v2, v2, v4
	v_mul_f32_e32 v4, v187, v147
	v_fmac_f32_e32 v216, v191, v150
	s_delay_alu instid0(VALU_DEP_3) | instskip(NEXT) | instid1(VALU_DEP_3)
	v_dual_add_f32 v3, v3, v211 :: v_dual_add_f32 v2, v2, v6
	v_fma_f32 v4, v186, v146, -v4
	s_delay_alu instid0(VALU_DEP_2) | instskip(NEXT) | instid1(VALU_DEP_1)
	v_dual_mul_f32 v6, v189, v149 :: v_dual_add_f32 v3, v3, v212
	v_add_f32_e32 v3, v3, v213
	s_delay_alu instid0(VALU_DEP_4) | instskip(NEXT) | instid1(VALU_DEP_3)
	v_dual_add_f32 v2, v2, v5 :: v_dual_mul_f32 v5, v191, v151
	v_fma_f32 v6, v188, v148, -v6
	s_delay_alu instid0(VALU_DEP_2) | instskip(SKIP_1) | instid1(VALU_DEP_4)
	v_dual_add_f32 v3, v3, v214 :: v_dual_add_f32 v2, v2, v4
	v_mul_f32_e32 v4, v197, v193
	v_fma_f32 v5, v190, v150, -v5
	s_delay_alu instid0(VALU_DEP_3) | instskip(NEXT) | instid1(VALU_DEP_3)
	v_dual_add_f32 v3, v3, v215 :: v_dual_add_f32 v2, v2, v6
	v_fma_f32 v4, v196, v192, -v4
	s_delay_alu instid0(VALU_DEP_2) | instskip(NEXT) | instid1(VALU_DEP_1)
	v_add_f32_e32 v3, v3, v216
	v_add_f32_e32 v3, v3, v217
	s_wait_loadcnt 0x0
	s_delay_alu instid0(VALU_DEP_1) | instskip(NEXT) | instid1(VALU_DEP_1)
	v_dual_add_f32 v2, v2, v5 :: v_dual_sub_f32 v3, v195, v3
	v_add_f32_e32 v2, v2, v4
	s_delay_alu instid0(VALU_DEP_1)
	v_sub_f32_e32 v2, v194, v2
	scratch_store_b64 off, v[2:3], off offset:256
	v_cmpx_lt_u32_e32 31, v0
	s_cbranch_execz .LBB117_275
; %bb.274:
	scratch_load_b64 v[3:4], off, off offset:248
	v_mov_b32_e32 v2, v1
	scratch_store_b64 off, v[1:2], off offset:248
	s_wait_loadcnt 0x0
	ds_store_b64 v27, v[3:4]
.LBB117_275:
	s_wait_alu 0xfffe
	s_or_b32 exec_lo, exec_lo, s0
	s_wait_storecnt_dscnt 0x0
	s_barrier_signal -1
	s_barrier_wait -1
	global_inv scope:SCOPE_SE
	s_clause 0xb
	scratch_load_b128 v[2:5], off, off offset:256
	scratch_load_b128 v[6:9], off, off offset:272
	;; [unrolled: 1-line block ×11, first 2 shown]
	scratch_load_b64 v[200:201], off, off offset:248
	ds_load_b128 v[156:159], v1 offset:688
	ds_load_b128 v[160:163], v1 offset:704
	;; [unrolled: 1-line block ×11, first 2 shown]
	s_mov_b32 s0, exec_lo
	s_wait_loadcnt_dscnt 0xb0a
	v_dual_mul_f32 v1, v156, v3 :: v_dual_mul_f32 v26, v158, v5
	s_wait_loadcnt_dscnt 0xa09
	v_dual_mul_f32 v5, v159, v5 :: v_dual_mul_f32 v202, v160, v7
	v_mul_f32_e32 v203, v162, v9
	v_mul_f32_e32 v3, v157, v3
	v_dual_fmac_f32 v1, v157, v2 :: v_dual_fmac_f32 v26, v159, v4
	s_wait_loadcnt_dscnt 0x908
	v_dual_mul_f32 v204, v164, v11 :: v_dual_mul_f32 v205, v166, v13
	s_wait_loadcnt_dscnt 0x201
	v_mul_f32_e32 v218, v192, v149
	v_fma_f32 v3, v156, v2, -v3
	s_wait_loadcnt_dscnt 0x100
	v_mul_f32_e32 v221, v198, v155
	v_mul_f32_e32 v2, v161, v7
	v_fma_f32 v4, v158, v4, -v5
	v_dual_mul_f32 v206, v168, v15 :: v_dual_mul_f32 v207, v170, v17
	v_dual_add_f32 v3, 0, v3 :: v_dual_fmac_f32 v202, v161, v6
	v_dual_mul_f32 v5, v163, v9 :: v_dual_fmac_f32 v204, v165, v10
	v_fma_f32 v2, v160, v6, -v2
	s_delay_alu instid0(VALU_DEP_3) | instskip(NEXT) | instid1(VALU_DEP_3)
	v_dual_add_f32 v3, v3, v4 :: v_dual_fmac_f32 v206, v169, v14
	v_fma_f32 v5, v162, v8, -v5
	v_dual_mul_f32 v208, v172, v19 :: v_dual_mul_f32 v209, v174, v21
	s_delay_alu instid0(VALU_DEP_3) | instskip(SKIP_2) | instid1(VALU_DEP_3)
	v_add_f32_e32 v2, v3, v2
	v_dual_mul_f32 v3, v167, v13 :: v_dual_mul_f32 v210, v176, v23
	v_dual_mul_f32 v211, v178, v25 :: v_dual_mul_f32 v4, v165, v11
	v_add_f32_e32 v2, v2, v5
	v_dual_add_f32 v1, 0, v1 :: v_dual_fmac_f32 v208, v173, v18
	s_delay_alu instid0(VALU_DEP_4) | instskip(NEXT) | instid1(VALU_DEP_4)
	v_fma_f32 v3, v166, v12, -v3
	v_fma_f32 v4, v164, v10, -v4
	v_fmac_f32_e32 v207, v171, v16
	s_delay_alu instid0(VALU_DEP_4) | instskip(SKIP_1) | instid1(VALU_DEP_4)
	v_dual_add_f32 v1, v1, v26 :: v_dual_mul_f32 v212, v180, v29
	v_mul_f32_e32 v213, v182, v31
	v_add_f32_e32 v2, v2, v4
	s_delay_alu instid0(VALU_DEP_3) | instskip(SKIP_2) | instid1(VALU_DEP_3)
	v_dual_mul_f32 v4, v171, v17 :: v_dual_add_f32 v1, v1, v202
	v_dual_fmac_f32 v203, v163, v8 :: v_dual_mul_f32 v216, v188, v145
	v_mul_f32_e32 v217, v190, v147
	v_fma_f32 v4, v170, v16, -v4
	v_mul_f32_e32 v5, v169, v15
	v_add_f32_e32 v2, v2, v3
	v_dual_add_f32 v1, v1, v203 :: v_dual_mul_f32 v214, v184, v141
	v_mul_f32_e32 v215, v186, v143
	s_delay_alu instid0(VALU_DEP_4) | instskip(SKIP_3) | instid1(VALU_DEP_4)
	v_fma_f32 v5, v168, v14, -v5
	v_dual_fmac_f32 v205, v167, v12 :: v_dual_fmac_f32 v210, v177, v22
	v_fmac_f32_e32 v211, v179, v24
	v_dual_fmac_f32 v213, v183, v30 :: v_dual_fmac_f32 v214, v185, v140
	v_add_f32_e32 v2, v2, v5
	v_mul_f32_e32 v5, v175, v21
	v_dual_mul_f32 v219, v194, v151 :: v_dual_mul_f32 v220, v196, v153
	s_delay_alu instid0(VALU_DEP_3) | instskip(NEXT) | instid1(VALU_DEP_3)
	v_dual_fmac_f32 v217, v191, v146 :: v_dual_add_f32 v2, v2, v4
	v_fma_f32 v5, v174, v20, -v5
	v_mul_f32_e32 v3, v173, v19
	v_mul_f32_e32 v4, v177, v23
	v_dual_fmac_f32 v220, v197, v152 :: v_dual_fmac_f32 v219, v195, v150
	v_fmac_f32_e32 v212, v181, v28
	s_delay_alu instid0(VALU_DEP_4) | instskip(SKIP_3) | instid1(VALU_DEP_4)
	v_fma_f32 v3, v172, v18, -v3
	v_add_f32_e32 v1, v1, v204
	v_fma_f32 v4, v176, v22, -v4
	v_dual_fmac_f32 v221, v199, v154 :: v_dual_fmac_f32 v216, v189, v144
	v_dual_add_f32 v2, v2, v3 :: v_dual_mul_f32 v3, v179, v25
	v_fmac_f32_e32 v218, v193, v148
	s_delay_alu instid0(VALU_DEP_2) | instskip(SKIP_1) | instid1(VALU_DEP_4)
	v_add_f32_e32 v2, v2, v5
	v_add_f32_e32 v1, v1, v205
	v_fma_f32 v3, v178, v24, -v3
	s_delay_alu instid0(VALU_DEP_2) | instskip(SKIP_1) | instid1(VALU_DEP_2)
	v_dual_add_f32 v2, v2, v4 :: v_dual_add_f32 v1, v1, v206
	v_mul_f32_e32 v4, v183, v31
	v_dual_fmac_f32 v209, v175, v20 :: v_dual_add_f32 v2, v2, v3
	v_mul_f32_e32 v3, v185, v141
	s_delay_alu instid0(VALU_DEP_3) | instskip(SKIP_1) | instid1(VALU_DEP_3)
	v_fma_f32 v4, v182, v30, -v4
	v_mul_f32_e32 v5, v181, v29
	v_fma_f32 v3, v184, v140, -v3
	s_delay_alu instid0(VALU_DEP_2) | instskip(NEXT) | instid1(VALU_DEP_1)
	v_fma_f32 v5, v180, v28, -v5
	v_dual_add_f32 v1, v1, v207 :: v_dual_add_f32 v2, v2, v5
	s_delay_alu instid0(VALU_DEP_1) | instskip(NEXT) | instid1(VALU_DEP_2)
	v_dual_mul_f32 v5, v187, v143 :: v_dual_add_f32 v2, v2, v4
	v_add_f32_e32 v1, v1, v208
	v_mul_f32_e32 v4, v189, v145
	s_delay_alu instid0(VALU_DEP_3) | instskip(NEXT) | instid1(VALU_DEP_4)
	v_fma_f32 v5, v186, v142, -v5
	v_dual_add_f32 v2, v2, v3 :: v_dual_fmac_f32 v215, v187, v142
	v_mul_f32_e32 v3, v191, v147
	s_delay_alu instid0(VALU_DEP_4) | instskip(NEXT) | instid1(VALU_DEP_3)
	v_fma_f32 v4, v188, v144, -v4
	v_add_f32_e32 v2, v2, v5
	v_add_f32_e32 v1, v1, v209
	s_delay_alu instid0(VALU_DEP_4) | instskip(NEXT) | instid1(VALU_DEP_3)
	v_fma_f32 v3, v190, v146, -v3
	v_dual_add_f32 v2, v2, v4 :: v_dual_mul_f32 v5, v193, v149
	s_delay_alu instid0(VALU_DEP_3) | instskip(NEXT) | instid1(VALU_DEP_2)
	v_dual_add_f32 v1, v1, v210 :: v_dual_mul_f32 v4, v195, v151
	v_add_f32_e32 v2, v2, v3
	s_delay_alu instid0(VALU_DEP_3) | instskip(NEXT) | instid1(VALU_DEP_3)
	v_fma_f32 v5, v192, v148, -v5
	v_add_f32_e32 v1, v1, v211
	v_mul_f32_e32 v3, v197, v153
	v_fma_f32 v4, v194, v150, -v4
	s_delay_alu instid0(VALU_DEP_4) | instskip(NEXT) | instid1(VALU_DEP_3)
	v_dual_add_f32 v2, v2, v5 :: v_dual_mul_f32 v5, v199, v155
	v_fma_f32 v3, v196, v152, -v3
	s_delay_alu instid0(VALU_DEP_2) | instskip(SKIP_1) | instid1(VALU_DEP_4)
	v_add_f32_e32 v2, v2, v4
	v_add_f32_e32 v1, v1, v212
	v_fma_f32 v4, v198, v154, -v5
	s_delay_alu instid0(VALU_DEP_2) | instskip(NEXT) | instid1(VALU_DEP_1)
	v_dual_add_f32 v2, v2, v3 :: v_dual_add_f32 v1, v1, v213
	v_dual_add_f32 v2, v2, v4 :: v_dual_add_f32 v1, v1, v214
	s_delay_alu instid0(VALU_DEP_1) | instskip(NEXT) | instid1(VALU_DEP_1)
	v_add_f32_e32 v1, v1, v215
	v_add_f32_e32 v1, v1, v216
	s_delay_alu instid0(VALU_DEP_1) | instskip(NEXT) | instid1(VALU_DEP_1)
	v_add_f32_e32 v1, v1, v217
	v_add_f32_e32 v1, v1, v218
	;; [unrolled: 3-line block ×3, first 2 shown]
	s_delay_alu instid0(VALU_DEP_1) | instskip(SKIP_1) | instid1(VALU_DEP_1)
	v_add_f32_e32 v3, v1, v221
	s_wait_loadcnt 0x0
	v_dual_sub_f32 v1, v200, v2 :: v_dual_sub_f32 v2, v201, v3
	scratch_store_b64 off, v[1:2], off offset:248
	v_cmpx_lt_u32_e32 30, v0
	s_cbranch_execz .LBB117_277
; %bb.276:
	scratch_load_b64 v[1:2], off, off offset:240
	v_mov_b32_e32 v3, 0
	s_delay_alu instid0(VALU_DEP_1)
	v_mov_b32_e32 v4, v3
	scratch_store_b64 off, v[3:4], off offset:240
	s_wait_loadcnt 0x0
	ds_store_b64 v27, v[1:2]
.LBB117_277:
	s_wait_alu 0xfffe
	s_or_b32 exec_lo, exec_lo, s0
	s_wait_storecnt_dscnt 0x0
	s_barrier_signal -1
	s_barrier_wait -1
	global_inv scope:SCOPE_SE
	s_clause 0xc
	scratch_load_b128 v[2:5], off, off offset:248
	scratch_load_b128 v[6:9], off, off offset:264
	;; [unrolled: 1-line block ×11, first 2 shown]
	scratch_load_b64 v[200:201], off, off offset:424
	scratch_load_b64 v[202:203], off, off offset:240
	v_mov_b32_e32 v1, 0
	ds_load_2addr_b64 v[156:159], v1 offset0:85 offset1:86
	ds_load_2addr_b64 v[160:163], v1 offset0:87 offset1:88
	;; [unrolled: 1-line block ×11, first 2 shown]
	ds_load_b64 v[204:205], v1 offset:856
	s_mov_b32 s0, exec_lo
	s_wait_loadcnt_dscnt 0xc0b
	v_mul_f32_e32 v26, v156, v3
	v_dual_mul_f32 v3, v157, v3 :: v_dual_mul_f32 v206, v158, v5
	s_wait_loadcnt_dscnt 0xb0a
	v_mul_f32_e32 v207, v160, v7
	v_mul_f32_e32 v5, v159, v5
	s_wait_loadcnt_dscnt 0x706
	v_mul_f32_e32 v216, v178, v25
	v_fma_f32 v3, v156, v2, -v3
	v_dual_mul_f32 v208, v162, v9 :: v_dual_mul_f32 v209, v164, v11
	v_fmac_f32_e32 v26, v157, v2
	s_wait_loadcnt_dscnt 0x100
	v_dual_mul_f32 v2, v161, v7 :: v_dual_mul_f32 v227, v204, v201
	v_dual_fmac_f32 v206, v159, v4 :: v_dual_add_f32 v3, 0, v3
	v_fma_f32 v4, v158, v4, -v5
	v_dual_add_f32 v5, 0, v26 :: v_dual_fmac_f32 v208, v163, v8
	v_mul_f32_e32 v7, v163, v9
	v_fma_f32 v2, v160, v6, -v2
	s_delay_alu instid0(VALU_DEP_4)
	v_add_f32_e32 v3, v3, v4
	v_fmac_f32_e32 v207, v161, v6
	v_add_f32_e32 v4, v5, v206
	v_mul_f32_e32 v5, v165, v11
	v_fma_f32 v6, v162, v8, -v7
	v_add_f32_e32 v2, v3, v2
	v_dual_mul_f32 v210, v166, v13 :: v_dual_mul_f32 v211, v168, v15
	v_dual_add_f32 v3, v4, v207 :: v_dual_mul_f32 v4, v167, v13
	v_fma_f32 v5, v164, v10, -v5
	s_delay_alu instid0(VALU_DEP_4)
	v_add_f32_e32 v2, v2, v6
	v_fmac_f32_e32 v209, v165, v10
	v_mul_f32_e32 v6, v169, v15
	v_fmac_f32_e32 v210, v167, v12
	v_add_f32_e32 v3, v3, v208
	v_fma_f32 v4, v166, v12, -v4
	v_add_f32_e32 v2, v2, v5
	v_dual_mul_f32 v212, v170, v17 :: v_dual_mul_f32 v213, v172, v19
	s_delay_alu instid0(VALU_DEP_4)
	v_add_f32_e32 v3, v3, v209
	v_mul_f32_e32 v5, v171, v17
	v_fma_f32 v6, v168, v14, -v6
	v_dual_add_f32 v2, v2, v4 :: v_dual_fmac_f32 v211, v169, v14
	v_fmac_f32_e32 v212, v171, v16
	v_mul_f32_e32 v4, v173, v19
	v_fma_f32 v5, v170, v16, -v5
	s_delay_alu instid0(VALU_DEP_4) | instskip(SKIP_3) | instid1(VALU_DEP_3)
	v_add_f32_e32 v2, v2, v6
	v_add_f32_e32 v3, v3, v210
	v_dual_mul_f32 v6, v175, v21 :: v_dual_fmac_f32 v213, v173, v18
	v_fma_f32 v4, v172, v18, -v4
	v_dual_add_f32 v2, v2, v5 :: v_dual_add_f32 v3, v3, v211
	v_dual_mul_f32 v214, v174, v21 :: v_dual_mul_f32 v215, v176, v23
	v_mul_f32_e32 v5, v177, v23
	v_fma_f32 v6, v174, v20, -v6
	s_delay_alu instid0(VALU_DEP_4) | instskip(SKIP_4) | instid1(VALU_DEP_4)
	v_add_f32_e32 v2, v2, v4
	v_add_f32_e32 v3, v3, v212
	v_fmac_f32_e32 v214, v175, v20
	v_dual_mul_f32 v4, v179, v25 :: v_dual_fmac_f32 v215, v177, v22
	v_fma_f32 v5, v176, v22, -v5
	v_dual_add_f32 v2, v2, v6 :: v_dual_add_f32 v3, v3, v213
	v_mul_f32_e32 v6, v181, v29
	s_delay_alu instid0(VALU_DEP_4) | instskip(SKIP_1) | instid1(VALU_DEP_4)
	v_fma_f32 v4, v178, v24, -v4
	v_dual_mul_f32 v217, v180, v29 :: v_dual_mul_f32 v218, v182, v31
	v_dual_add_f32 v3, v3, v214 :: v_dual_add_f32 v2, v2, v5
	s_delay_alu instid0(VALU_DEP_4) | instskip(SKIP_1) | instid1(VALU_DEP_4)
	v_fma_f32 v6, v180, v28, -v6
	v_fmac_f32_e32 v216, v179, v24
	v_dual_fmac_f32 v217, v181, v28 :: v_dual_fmac_f32 v218, v183, v30
	s_delay_alu instid0(VALU_DEP_4) | instskip(SKIP_3) | instid1(VALU_DEP_3)
	v_add_f32_e32 v3, v3, v215
	v_dual_mul_f32 v5, v183, v31 :: v_dual_add_f32 v2, v2, v4
	v_dual_mul_f32 v219, v184, v141 :: v_dual_mul_f32 v220, v186, v143
	v_mul_f32_e32 v4, v185, v141
	v_fma_f32 v5, v182, v30, -v5
	s_delay_alu instid0(VALU_DEP_4) | instskip(NEXT) | instid1(VALU_DEP_4)
	v_add_f32_e32 v2, v2, v6
	v_dual_mul_f32 v6, v187, v143 :: v_dual_fmac_f32 v219, v185, v140
	s_delay_alu instid0(VALU_DEP_4) | instskip(SKIP_1) | instid1(VALU_DEP_4)
	v_fma_f32 v4, v184, v140, -v4
	v_dual_mul_f32 v221, v188, v145 :: v_dual_mul_f32 v222, v190, v147
	v_add_f32_e32 v2, v2, v5
	v_mul_f32_e32 v5, v189, v145
	v_add_f32_e32 v3, v3, v216
	s_delay_alu instid0(VALU_DEP_4) | instskip(SKIP_2) | instid1(VALU_DEP_4)
	v_dual_fmac_f32 v220, v187, v142 :: v_dual_fmac_f32 v221, v189, v144
	v_fma_f32 v6, v186, v142, -v6
	v_dual_mul_f32 v223, v192, v149 :: v_dual_mul_f32 v224, v194, v151
	v_add_f32_e32 v3, v3, v217
	v_dual_mul_f32 v225, v196, v153 :: v_dual_mul_f32 v226, v198, v155
	v_fma_f32 v5, v188, v144, -v5
	v_fmac_f32_e32 v222, v191, v146
	s_delay_alu instid0(VALU_DEP_4) | instskip(SKIP_2) | instid1(VALU_DEP_3)
	v_dual_add_f32 v3, v3, v218 :: v_dual_add_f32 v2, v2, v4
	v_dual_mul_f32 v4, v191, v147 :: v_dual_fmac_f32 v223, v193, v148
	v_fmac_f32_e32 v225, v197, v152
	v_dual_add_f32 v3, v3, v219 :: v_dual_add_f32 v2, v2, v6
	v_mul_f32_e32 v6, v193, v149
	s_delay_alu instid0(VALU_DEP_4) | instskip(SKIP_1) | instid1(VALU_DEP_4)
	v_fma_f32 v4, v190, v146, -v4
	v_fmac_f32_e32 v224, v195, v150
	v_add_f32_e32 v3, v3, v220
	v_dual_fmac_f32 v226, v199, v154 :: v_dual_fmac_f32 v227, v205, v200
	s_delay_alu instid0(VALU_DEP_2) | instskip(SKIP_2) | instid1(VALU_DEP_2)
	v_add_f32_e32 v3, v3, v221
	v_dual_add_f32 v2, v2, v5 :: v_dual_mul_f32 v5, v195, v151
	v_fma_f32 v6, v192, v148, -v6
	v_dual_add_f32 v3, v3, v222 :: v_dual_add_f32 v2, v2, v4
	v_mul_f32_e32 v4, v197, v153
	s_delay_alu instid0(VALU_DEP_4) | instskip(NEXT) | instid1(VALU_DEP_3)
	v_fma_f32 v5, v194, v150, -v5
	v_dual_add_f32 v3, v3, v223 :: v_dual_add_f32 v2, v2, v6
	v_mul_f32_e32 v6, v199, v155
	s_delay_alu instid0(VALU_DEP_4) | instskip(NEXT) | instid1(VALU_DEP_3)
	v_fma_f32 v4, v196, v152, -v4
	v_add_f32_e32 v2, v2, v5
	v_mul_f32_e32 v5, v205, v201
	v_add_f32_e32 v3, v3, v224
	v_fma_f32 v6, v198, v154, -v6
	s_delay_alu instid0(VALU_DEP_2) | instskip(NEXT) | instid1(VALU_DEP_1)
	v_add_f32_e32 v3, v3, v225
	v_dual_add_f32 v3, v3, v226 :: v_dual_add_f32 v2, v2, v4
	v_fma_f32 v4, v204, v200, -v5
	s_delay_alu instid0(VALU_DEP_2) | instskip(SKIP_1) | instid1(VALU_DEP_1)
	v_dual_add_f32 v3, v3, v227 :: v_dual_add_f32 v2, v2, v6
	s_wait_loadcnt 0x0
	v_dual_sub_f32 v3, v203, v3 :: v_dual_add_f32 v2, v2, v4
	s_delay_alu instid0(VALU_DEP_1)
	v_sub_f32_e32 v2, v202, v2
	scratch_store_b64 off, v[2:3], off offset:240
	v_cmpx_lt_u32_e32 29, v0
	s_cbranch_execz .LBB117_279
; %bb.278:
	scratch_load_b64 v[3:4], off, off offset:232
	v_mov_b32_e32 v2, v1
	scratch_store_b64 off, v[1:2], off offset:232
	s_wait_loadcnt 0x0
	ds_store_b64 v27, v[3:4]
.LBB117_279:
	s_wait_alu 0xfffe
	s_or_b32 exec_lo, exec_lo, s0
	s_wait_storecnt_dscnt 0x0
	s_barrier_signal -1
	s_barrier_wait -1
	global_inv scope:SCOPE_SE
	s_clause 0xc
	scratch_load_b128 v[2:5], off, off offset:240
	scratch_load_b128 v[6:9], off, off offset:256
	;; [unrolled: 1-line block ×12, first 2 shown]
	scratch_load_b64 v[208:209], off, off offset:232
	ds_load_b128 v[160:163], v1 offset:672
	ds_load_b128 v[164:167], v1 offset:688
	;; [unrolled: 1-line block ×12, first 2 shown]
	s_mov_b32 s0, exec_lo
	s_wait_loadcnt_dscnt 0xc0b
	v_dual_mul_f32 v1, v160, v3 :: v_dual_mul_f32 v26, v162, v5
	s_wait_loadcnt_dscnt 0xb0a
	v_dual_mul_f32 v5, v163, v5 :: v_dual_mul_f32 v210, v164, v7
	v_mul_f32_e32 v211, v166, v9
	s_delay_alu instid0(VALU_DEP_3)
	v_fmac_f32_e32 v1, v161, v2
	v_dual_mul_f32 v3, v161, v3 :: v_dual_fmac_f32 v26, v163, v4
	s_wait_loadcnt_dscnt 0xa09
	v_dual_mul_f32 v212, v168, v11 :: v_dual_mul_f32 v213, v170, v13
	s_wait_loadcnt_dscnt 0x201
	v_mul_f32_e32 v228, v200, v153
	v_fma_f32 v3, v160, v2, -v3
	s_wait_loadcnt_dscnt 0x100
	v_mul_f32_e32 v231, v206, v159
	v_mul_f32_e32 v2, v165, v7
	v_fma_f32 v4, v162, v4, -v5
	v_dual_mul_f32 v214, v172, v15 :: v_dual_mul_f32 v215, v174, v17
	v_dual_add_f32 v3, 0, v3 :: v_dual_fmac_f32 v210, v165, v6
	v_dual_mul_f32 v5, v167, v9 :: v_dual_fmac_f32 v212, v169, v10
	v_fma_f32 v2, v164, v6, -v2
	s_delay_alu instid0(VALU_DEP_3) | instskip(NEXT) | instid1(VALU_DEP_3)
	v_dual_add_f32 v3, v3, v4 :: v_dual_fmac_f32 v214, v173, v14
	v_fma_f32 v5, v166, v8, -v5
	v_dual_mul_f32 v216, v176, v19 :: v_dual_mul_f32 v217, v178, v21
	s_delay_alu instid0(VALU_DEP_3) | instskip(SKIP_2) | instid1(VALU_DEP_3)
	v_add_f32_e32 v2, v3, v2
	v_dual_mul_f32 v3, v171, v13 :: v_dual_mul_f32 v218, v180, v23
	v_dual_mul_f32 v219, v182, v25 :: v_dual_mul_f32 v4, v169, v11
	v_add_f32_e32 v2, v2, v5
	v_dual_add_f32 v1, 0, v1 :: v_dual_fmac_f32 v216, v177, v18
	s_delay_alu instid0(VALU_DEP_4) | instskip(NEXT) | instid1(VALU_DEP_4)
	v_fma_f32 v3, v170, v12, -v3
	v_fma_f32 v4, v168, v10, -v4
	v_fmac_f32_e32 v215, v175, v16
	s_delay_alu instid0(VALU_DEP_4) | instskip(SKIP_1) | instid1(VALU_DEP_4)
	v_dual_add_f32 v1, v1, v26 :: v_dual_mul_f32 v220, v184, v29
	v_mul_f32_e32 v221, v186, v31
	v_add_f32_e32 v2, v2, v4
	s_delay_alu instid0(VALU_DEP_3) | instskip(SKIP_2) | instid1(VALU_DEP_3)
	v_dual_mul_f32 v4, v175, v17 :: v_dual_add_f32 v1, v1, v210
	v_dual_fmac_f32 v211, v167, v8 :: v_dual_mul_f32 v224, v192, v145
	v_mul_f32_e32 v225, v194, v147
	v_fma_f32 v4, v174, v16, -v4
	v_mul_f32_e32 v5, v173, v15
	v_add_f32_e32 v2, v2, v3
	v_dual_add_f32 v1, v1, v211 :: v_dual_mul_f32 v222, v188, v141
	v_mul_f32_e32 v223, v190, v143
	s_delay_alu instid0(VALU_DEP_4) | instskip(SKIP_3) | instid1(VALU_DEP_4)
	v_fma_f32 v5, v172, v14, -v5
	v_fmac_f32_e32 v213, v171, v12
	v_dual_fmac_f32 v219, v183, v24 :: v_dual_fmac_f32 v218, v181, v22
	v_dual_mul_f32 v226, v196, v149 :: v_dual_mul_f32 v227, v198, v151
	v_add_f32_e32 v2, v2, v5
	v_mul_f32_e32 v5, v179, v21
	v_dual_mul_f32 v229, v202, v155 :: v_dual_mul_f32 v230, v204, v157
	v_dual_fmac_f32 v221, v187, v30 :: v_dual_fmac_f32 v222, v189, v140
	s_delay_alu instid0(VALU_DEP_3) | instskip(SKIP_3) | instid1(VALU_DEP_3)
	v_fma_f32 v5, v178, v20, -v5
	v_dual_mul_f32 v3, v177, v19 :: v_dual_add_f32 v2, v2, v4
	v_dual_mul_f32 v4, v181, v23 :: v_dual_fmac_f32 v227, v199, v150
	v_dual_fmac_f32 v225, v195, v146 :: v_dual_fmac_f32 v228, v201, v152
	v_fma_f32 v3, v176, v18, -v3
	v_add_f32_e32 v1, v1, v212
	s_delay_alu instid0(VALU_DEP_4) | instskip(SKIP_1) | instid1(VALU_DEP_4)
	v_fma_f32 v4, v180, v22, -v4
	v_dual_fmac_f32 v220, v185, v28 :: v_dual_fmac_f32 v231, v207, v158
	v_dual_add_f32 v2, v2, v3 :: v_dual_mul_f32 v3, v183, v25
	v_fmac_f32_e32 v224, v193, v144
	v_fmac_f32_e32 v226, v197, v148
	v_fmac_f32_e32 v230, v205, v156
	s_delay_alu instid0(VALU_DEP_4) | instskip(SKIP_2) | instid1(VALU_DEP_2)
	v_add_f32_e32 v2, v2, v5
	v_add_f32_e32 v1, v1, v213
	v_fma_f32 v3, v182, v24, -v3
	v_dual_add_f32 v2, v2, v4 :: v_dual_add_f32 v1, v1, v214
	v_mul_f32_e32 v4, v187, v31
	s_delay_alu instid0(VALU_DEP_2) | instskip(SKIP_1) | instid1(VALU_DEP_3)
	v_dual_fmac_f32 v217, v179, v20 :: v_dual_add_f32 v2, v2, v3
	v_mul_f32_e32 v3, v189, v141
	v_fma_f32 v4, v186, v30, -v4
	v_mul_f32_e32 v5, v185, v29
	s_delay_alu instid0(VALU_DEP_3) | instskip(NEXT) | instid1(VALU_DEP_2)
	v_fma_f32 v3, v188, v140, -v3
	v_fma_f32 v5, v184, v28, -v5
	s_delay_alu instid0(VALU_DEP_1) | instskip(NEXT) | instid1(VALU_DEP_1)
	v_dual_add_f32 v1, v1, v215 :: v_dual_add_f32 v2, v2, v5
	v_dual_mul_f32 v5, v191, v143 :: v_dual_add_f32 v2, v2, v4
	s_delay_alu instid0(VALU_DEP_2) | instskip(SKIP_1) | instid1(VALU_DEP_3)
	v_add_f32_e32 v1, v1, v216
	v_mul_f32_e32 v4, v193, v145
	v_fma_f32 v5, v190, v142, -v5
	s_delay_alu instid0(VALU_DEP_4) | instskip(SKIP_1) | instid1(VALU_DEP_4)
	v_dual_add_f32 v2, v2, v3 :: v_dual_fmac_f32 v223, v191, v142
	v_mul_f32_e32 v3, v195, v147
	v_fma_f32 v4, v192, v144, -v4
	s_delay_alu instid0(VALU_DEP_3) | instskip(SKIP_1) | instid1(VALU_DEP_4)
	v_add_f32_e32 v2, v2, v5
	v_add_f32_e32 v1, v1, v217
	v_fma_f32 v3, v194, v146, -v3
	s_delay_alu instid0(VALU_DEP_3) | instskip(NEXT) | instid1(VALU_DEP_3)
	v_dual_add_f32 v2, v2, v4 :: v_dual_mul_f32 v5, v197, v149
	v_dual_add_f32 v1, v1, v218 :: v_dual_mul_f32 v4, v199, v151
	s_delay_alu instid0(VALU_DEP_2) | instskip(NEXT) | instid1(VALU_DEP_3)
	v_add_f32_e32 v2, v2, v3
	v_fma_f32 v5, v196, v148, -v5
	s_delay_alu instid0(VALU_DEP_3) | instskip(SKIP_2) | instid1(VALU_DEP_4)
	v_add_f32_e32 v1, v1, v219
	v_mul_f32_e32 v3, v201, v153
	v_fma_f32 v4, v198, v150, -v4
	v_dual_add_f32 v2, v2, v5 :: v_dual_mul_f32 v5, v203, v155
	s_delay_alu instid0(VALU_DEP_3) | instskip(NEXT) | instid1(VALU_DEP_2)
	v_fma_f32 v3, v200, v152, -v3
	v_add_f32_e32 v2, v2, v4
	v_add_f32_e32 v1, v1, v220
	v_mul_f32_e32 v4, v205, v157
	v_fma_f32 v5, v202, v154, -v5
	s_delay_alu instid0(VALU_DEP_4) | instskip(SKIP_1) | instid1(VALU_DEP_4)
	v_dual_add_f32 v2, v2, v3 :: v_dual_fmac_f32 v229, v203, v154
	v_mul_f32_e32 v3, v207, v159
	v_fma_f32 v4, v204, v156, -v4
	s_delay_alu instid0(VALU_DEP_3) | instskip(SKIP_1) | instid1(VALU_DEP_4)
	v_add_f32_e32 v2, v2, v5
	v_add_f32_e32 v1, v1, v221
	v_fma_f32 v3, v206, v158, -v3
	s_delay_alu instid0(VALU_DEP_2) | instskip(NEXT) | instid1(VALU_DEP_1)
	v_dual_add_f32 v2, v2, v4 :: v_dual_add_f32 v1, v1, v222
	v_add_f32_e32 v2, v2, v3
	s_delay_alu instid0(VALU_DEP_2) | instskip(NEXT) | instid1(VALU_DEP_1)
	v_add_f32_e32 v1, v1, v223
	v_add_f32_e32 v1, v1, v224
	s_delay_alu instid0(VALU_DEP_1) | instskip(NEXT) | instid1(VALU_DEP_1)
	v_add_f32_e32 v1, v1, v225
	v_add_f32_e32 v1, v1, v226
	s_delay_alu instid0(VALU_DEP_1) | instskip(NEXT) | instid1(VALU_DEP_1)
	;; [unrolled: 3-line block ×3, first 2 shown]
	v_add_f32_e32 v1, v1, v229
	v_add_f32_e32 v1, v1, v230
	s_delay_alu instid0(VALU_DEP_1) | instskip(SKIP_1) | instid1(VALU_DEP_1)
	v_add_f32_e32 v3, v1, v231
	s_wait_loadcnt 0x0
	v_dual_sub_f32 v1, v208, v2 :: v_dual_sub_f32 v2, v209, v3
	scratch_store_b64 off, v[1:2], off offset:232
	v_cmpx_lt_u32_e32 28, v0
	s_cbranch_execz .LBB117_281
; %bb.280:
	scratch_load_b64 v[1:2], off, off offset:224
	v_mov_b32_e32 v3, 0
	s_delay_alu instid0(VALU_DEP_1)
	v_mov_b32_e32 v4, v3
	scratch_store_b64 off, v[3:4], off offset:224
	s_wait_loadcnt 0x0
	ds_store_b64 v27, v[1:2]
.LBB117_281:
	s_wait_alu 0xfffe
	s_or_b32 exec_lo, exec_lo, s0
	s_wait_storecnt_dscnt 0x0
	s_barrier_signal -1
	s_barrier_wait -1
	global_inv scope:SCOPE_SE
	s_clause 0xd
	scratch_load_b128 v[2:5], off, off offset:232
	scratch_load_b128 v[6:9], off, off offset:248
	;; [unrolled: 1-line block ×12, first 2 shown]
	scratch_load_b64 v[208:209], off, off offset:424
	scratch_load_b64 v[210:211], off, off offset:224
	v_mov_b32_e32 v1, 0
	ds_load_2addr_b64 v[160:163], v1 offset0:83 offset1:84
	ds_load_2addr_b64 v[164:167], v1 offset0:85 offset1:86
	;; [unrolled: 1-line block ×12, first 2 shown]
	ds_load_b64 v[212:213], v1 offset:856
	s_mov_b32 s0, exec_lo
	s_wait_loadcnt_dscnt 0xd0c
	v_mul_f32_e32 v26, v160, v3
	v_dual_mul_f32 v3, v161, v3 :: v_dual_mul_f32 v214, v162, v5
	s_wait_loadcnt_dscnt 0xc0b
	v_mul_f32_e32 v215, v164, v7
	v_mul_f32_e32 v5, v163, v5
	s_wait_loadcnt_dscnt 0x807
	v_mul_f32_e32 v224, v182, v25
	v_fma_f32 v3, v160, v2, -v3
	v_dual_mul_f32 v216, v166, v9 :: v_dual_mul_f32 v217, v168, v11
	v_fmac_f32_e32 v26, v161, v2
	v_mul_f32_e32 v2, v165, v7
	s_delay_alu instid0(VALU_DEP_4)
	v_dual_fmac_f32 v214, v163, v4 :: v_dual_add_f32 v3, 0, v3
	s_wait_loadcnt_dscnt 0x100
	v_mul_f32_e32 v237, v212, v209
	v_fma_f32 v4, v162, v4, -v5
	v_dual_add_f32 v5, 0, v26 :: v_dual_fmac_f32 v216, v167, v8
	v_mul_f32_e32 v7, v167, v9
	v_fma_f32 v2, v164, v6, -v2
	s_delay_alu instid0(VALU_DEP_4)
	v_add_f32_e32 v3, v3, v4
	v_fmac_f32_e32 v215, v165, v6
	v_add_f32_e32 v4, v5, v214
	v_mul_f32_e32 v5, v169, v11
	v_fma_f32 v6, v166, v8, -v7
	v_add_f32_e32 v2, v3, v2
	v_dual_mul_f32 v218, v170, v13 :: v_dual_mul_f32 v219, v172, v15
	v_dual_add_f32 v3, v4, v215 :: v_dual_mul_f32 v4, v171, v13
	v_fma_f32 v5, v168, v10, -v5
	s_delay_alu instid0(VALU_DEP_4)
	v_add_f32_e32 v2, v2, v6
	v_fmac_f32_e32 v217, v169, v10
	v_mul_f32_e32 v6, v173, v15
	v_fmac_f32_e32 v218, v171, v12
	v_add_f32_e32 v3, v3, v216
	v_fma_f32 v4, v170, v12, -v4
	v_add_f32_e32 v2, v2, v5
	v_dual_mul_f32 v220, v174, v17 :: v_dual_mul_f32 v221, v176, v19
	s_delay_alu instid0(VALU_DEP_4)
	v_add_f32_e32 v3, v3, v217
	v_mul_f32_e32 v5, v175, v17
	v_fma_f32 v6, v172, v14, -v6
	v_dual_add_f32 v2, v2, v4 :: v_dual_fmac_f32 v219, v173, v14
	v_fmac_f32_e32 v220, v175, v16
	v_mul_f32_e32 v4, v177, v19
	v_fma_f32 v5, v174, v16, -v5
	s_delay_alu instid0(VALU_DEP_4) | instskip(SKIP_3) | instid1(VALU_DEP_3)
	v_add_f32_e32 v2, v2, v6
	v_add_f32_e32 v3, v3, v218
	v_dual_mul_f32 v6, v179, v21 :: v_dual_fmac_f32 v221, v177, v18
	v_fma_f32 v4, v176, v18, -v4
	v_dual_add_f32 v2, v2, v5 :: v_dual_add_f32 v3, v3, v219
	v_dual_mul_f32 v222, v178, v21 :: v_dual_mul_f32 v223, v180, v23
	v_mul_f32_e32 v5, v181, v23
	v_fma_f32 v6, v178, v20, -v6
	s_delay_alu instid0(VALU_DEP_4) | instskip(SKIP_4) | instid1(VALU_DEP_4)
	v_add_f32_e32 v2, v2, v4
	v_add_f32_e32 v3, v3, v220
	v_fmac_f32_e32 v222, v179, v20
	v_dual_mul_f32 v4, v183, v25 :: v_dual_fmac_f32 v223, v181, v22
	v_fma_f32 v5, v180, v22, -v5
	v_dual_add_f32 v2, v2, v6 :: v_dual_add_f32 v3, v3, v221
	v_mul_f32_e32 v6, v185, v29
	s_delay_alu instid0(VALU_DEP_4) | instskip(SKIP_1) | instid1(VALU_DEP_4)
	v_fma_f32 v4, v182, v24, -v4
	v_dual_mul_f32 v225, v184, v29 :: v_dual_mul_f32 v226, v186, v31
	v_dual_add_f32 v3, v3, v222 :: v_dual_add_f32 v2, v2, v5
	s_delay_alu instid0(VALU_DEP_4) | instskip(SKIP_1) | instid1(VALU_DEP_4)
	v_fma_f32 v6, v184, v28, -v6
	v_fmac_f32_e32 v224, v183, v24
	v_dual_fmac_f32 v225, v185, v28 :: v_dual_fmac_f32 v226, v187, v30
	s_delay_alu instid0(VALU_DEP_4) | instskip(SKIP_3) | instid1(VALU_DEP_3)
	v_add_f32_e32 v3, v3, v223
	v_dual_mul_f32 v5, v187, v31 :: v_dual_add_f32 v2, v2, v4
	v_dual_mul_f32 v227, v188, v141 :: v_dual_mul_f32 v228, v190, v143
	v_mul_f32_e32 v4, v189, v141
	v_fma_f32 v5, v186, v30, -v5
	s_delay_alu instid0(VALU_DEP_4) | instskip(NEXT) | instid1(VALU_DEP_4)
	v_add_f32_e32 v2, v2, v6
	v_dual_mul_f32 v6, v191, v143 :: v_dual_fmac_f32 v227, v189, v140
	s_delay_alu instid0(VALU_DEP_4) | instskip(SKIP_1) | instid1(VALU_DEP_4)
	v_fma_f32 v4, v188, v140, -v4
	v_dual_mul_f32 v229, v192, v145 :: v_dual_mul_f32 v230, v194, v147
	v_add_f32_e32 v2, v2, v5
	v_mul_f32_e32 v5, v193, v145
	v_add_f32_e32 v3, v3, v224
	s_delay_alu instid0(VALU_DEP_4) | instskip(SKIP_2) | instid1(VALU_DEP_4)
	v_dual_fmac_f32 v228, v191, v142 :: v_dual_fmac_f32 v229, v193, v144
	v_fma_f32 v6, v190, v142, -v6
	v_dual_mul_f32 v231, v196, v149 :: v_dual_mul_f32 v232, v198, v151
	v_add_f32_e32 v3, v3, v225
	v_dual_mul_f32 v233, v200, v153 :: v_dual_mul_f32 v234, v202, v155
	v_fma_f32 v5, v192, v144, -v5
	v_fmac_f32_e32 v230, v195, v146
	s_delay_alu instid0(VALU_DEP_4) | instskip(SKIP_2) | instid1(VALU_DEP_3)
	v_dual_add_f32 v3, v3, v226 :: v_dual_add_f32 v2, v2, v4
	v_dual_mul_f32 v4, v195, v147 :: v_dual_fmac_f32 v231, v197, v148
	v_fmac_f32_e32 v233, v201, v152
	v_dual_add_f32 v3, v3, v227 :: v_dual_add_f32 v2, v2, v6
	v_mul_f32_e32 v6, v197, v149
	s_delay_alu instid0(VALU_DEP_4) | instskip(SKIP_1) | instid1(VALU_DEP_4)
	v_fma_f32 v4, v194, v146, -v4
	v_fmac_f32_e32 v232, v199, v150
	v_add_f32_e32 v3, v3, v228
	v_dual_mul_f32 v235, v204, v157 :: v_dual_mul_f32 v236, v206, v159
	v_dual_fmac_f32 v234, v203, v154 :: v_dual_fmac_f32 v237, v213, v208
	s_delay_alu instid0(VALU_DEP_3) | instskip(SKIP_3) | instid1(VALU_DEP_3)
	v_add_f32_e32 v3, v3, v229
	v_dual_add_f32 v2, v2, v5 :: v_dual_mul_f32 v5, v199, v151
	v_fma_f32 v6, v196, v148, -v6
	v_fmac_f32_e32 v235, v205, v156
	v_dual_add_f32 v3, v3, v230 :: v_dual_add_f32 v2, v2, v4
	v_mul_f32_e32 v4, v201, v153
	v_fma_f32 v5, v198, v150, -v5
	v_fmac_f32_e32 v236, v207, v158
	s_delay_alu instid0(VALU_DEP_4) | instskip(SKIP_2) | instid1(VALU_DEP_3)
	v_dual_add_f32 v3, v3, v231 :: v_dual_add_f32 v2, v2, v6
	v_mul_f32_e32 v6, v203, v155
	v_fma_f32 v4, v200, v152, -v4
	v_add_f32_e32 v2, v2, v5
	v_mul_f32_e32 v5, v205, v157
	v_add_f32_e32 v3, v3, v232
	v_fma_f32 v6, v202, v154, -v6
	s_delay_alu instid0(VALU_DEP_3) | instskip(NEXT) | instid1(VALU_DEP_3)
	v_fma_f32 v5, v204, v156, -v5
	v_add_f32_e32 v3, v3, v233
	s_delay_alu instid0(VALU_DEP_1) | instskip(SKIP_1) | instid1(VALU_DEP_2)
	v_dual_add_f32 v3, v3, v234 :: v_dual_add_f32 v2, v2, v4
	v_mul_f32_e32 v4, v207, v159
	v_dual_add_f32 v3, v3, v235 :: v_dual_add_f32 v2, v2, v6
	v_mul_f32_e32 v6, v213, v209
	s_delay_alu instid0(VALU_DEP_3) | instskip(NEXT) | instid1(VALU_DEP_3)
	v_fma_f32 v4, v206, v158, -v4
	v_add_f32_e32 v3, v3, v236
	s_delay_alu instid0(VALU_DEP_1) | instskip(SKIP_3) | instid1(VALU_DEP_2)
	v_add_f32_e32 v3, v3, v237
	v_add_f32_e32 v2, v2, v5
	v_fma_f32 v5, v212, v208, -v6
	s_wait_loadcnt 0x0
	v_dual_sub_f32 v3, v211, v3 :: v_dual_add_f32 v2, v2, v4
	s_delay_alu instid0(VALU_DEP_1) | instskip(NEXT) | instid1(VALU_DEP_1)
	v_add_f32_e32 v2, v2, v5
	v_sub_f32_e32 v2, v210, v2
	scratch_store_b64 off, v[2:3], off offset:224
	v_cmpx_lt_u32_e32 27, v0
	s_cbranch_execz .LBB117_283
; %bb.282:
	scratch_load_b64 v[3:4], off, off offset:216
	v_mov_b32_e32 v2, v1
	scratch_store_b64 off, v[1:2], off offset:216
	s_wait_loadcnt 0x0
	ds_store_b64 v27, v[3:4]
.LBB117_283:
	s_wait_alu 0xfffe
	s_or_b32 exec_lo, exec_lo, s0
	s_wait_storecnt_dscnt 0x0
	s_barrier_signal -1
	s_barrier_wait -1
	global_inv scope:SCOPE_SE
	s_clause 0xd
	scratch_load_b128 v[2:5], off, off offset:224
	scratch_load_b128 v[6:9], off, off offset:240
	;; [unrolled: 1-line block ×13, first 2 shown]
	scratch_load_b64 v[216:217], off, off offset:216
	ds_load_b128 v[164:167], v1 offset:656
	ds_load_b128 v[168:171], v1 offset:672
	;; [unrolled: 1-line block ×13, first 2 shown]
	s_mov_b32 s0, exec_lo
	s_wait_loadcnt_dscnt 0xd0c
	v_dual_mul_f32 v1, v164, v3 :: v_dual_mul_f32 v26, v166, v5
	s_wait_loadcnt_dscnt 0xc0b
	v_dual_mul_f32 v5, v167, v5 :: v_dual_mul_f32 v218, v168, v7
	v_mul_f32_e32 v219, v170, v9
	s_wait_loadcnt_dscnt 0xb0a
	v_dual_fmac_f32 v1, v165, v2 :: v_dual_mul_f32 v220, v172, v11
	v_mul_f32_e32 v221, v174, v13
	v_dual_mul_f32 v3, v165, v3 :: v_dual_fmac_f32 v26, v167, v4
	s_wait_loadcnt_dscnt 0xa09
	v_dual_mul_f32 v222, v176, v15 :: v_dual_mul_f32 v223, v178, v17
	s_wait_loadcnt_dscnt 0x201
	v_mul_f32_e32 v238, v208, v157
	v_fma_f32 v3, v164, v2, -v3
	s_wait_loadcnt_dscnt 0x100
	v_mul_f32_e32 v241, v214, v163
	v_mul_f32_e32 v2, v169, v7
	v_fma_f32 v4, v166, v4, -v5
	v_dual_mul_f32 v5, v171, v9 :: v_dual_fmac_f32 v220, v173, v10
	v_dual_add_f32 v3, 0, v3 :: v_dual_fmac_f32 v218, v169, v6
	s_delay_alu instid0(VALU_DEP_4) | instskip(NEXT) | instid1(VALU_DEP_3)
	v_fma_f32 v2, v168, v6, -v2
	v_fma_f32 v5, v170, v8, -v5
	s_delay_alu instid0(VALU_DEP_3) | instskip(SKIP_2) | instid1(VALU_DEP_3)
	v_dual_fmac_f32 v222, v177, v14 :: v_dual_add_f32 v3, v3, v4
	v_dual_mul_f32 v224, v180, v19 :: v_dual_mul_f32 v225, v182, v21
	v_dual_mul_f32 v226, v184, v23 :: v_dual_mul_f32 v227, v186, v25
	v_add_f32_e32 v2, v3, v2
	s_delay_alu instid0(VALU_DEP_3) | instskip(SKIP_1) | instid1(VALU_DEP_3)
	v_dual_mul_f32 v3, v175, v13 :: v_dual_fmac_f32 v224, v181, v18
	v_dual_mul_f32 v4, v173, v11 :: v_dual_fmac_f32 v223, v179, v16
	v_add_f32_e32 v2, v2, v5
	v_add_f32_e32 v1, 0, v1
	s_delay_alu instid0(VALU_DEP_4) | instskip(NEXT) | instid1(VALU_DEP_4)
	v_fma_f32 v3, v174, v12, -v3
	v_fma_f32 v4, v172, v10, -v4
	v_dual_mul_f32 v228, v188, v29 :: v_dual_mul_f32 v229, v190, v31
	s_delay_alu instid0(VALU_DEP_4) | instskip(SKIP_1) | instid1(VALU_DEP_4)
	v_dual_add_f32 v1, v1, v26 :: v_dual_mul_f32 v232, v196, v145
	v_mul_f32_e32 v233, v198, v147
	v_add_f32_e32 v2, v2, v4
	s_delay_alu instid0(VALU_DEP_3) | instskip(SKIP_2) | instid1(VALU_DEP_3)
	v_dual_mul_f32 v4, v179, v17 :: v_dual_add_f32 v1, v1, v218
	v_dual_fmac_f32 v219, v171, v8 :: v_dual_mul_f32 v230, v192, v141
	v_mul_f32_e32 v231, v194, v143
	v_fma_f32 v4, v178, v16, -v4
	v_mul_f32_e32 v5, v177, v15
	v_add_f32_e32 v2, v2, v3
	v_add_f32_e32 v1, v1, v219
	v_dual_fmac_f32 v227, v187, v24 :: v_dual_mul_f32 v234, v200, v149
	v_mul_f32_e32 v235, v202, v151
	v_fma_f32 v5, v176, v14, -v5
	v_dual_fmac_f32 v221, v175, v12 :: v_dual_fmac_f32 v226, v185, v22
	v_dual_mul_f32 v236, v204, v153 :: v_dual_mul_f32 v237, v206, v155
	s_delay_alu instid0(VALU_DEP_3) | instskip(SKIP_2) | instid1(VALU_DEP_3)
	v_add_f32_e32 v2, v2, v5
	v_mul_f32_e32 v5, v183, v21
	v_dual_fmac_f32 v229, v191, v30 :: v_dual_fmac_f32 v230, v193, v140
	v_dual_fmac_f32 v235, v203, v150 :: v_dual_add_f32 v2, v2, v4
	s_delay_alu instid0(VALU_DEP_3) | instskip(SKIP_4) | instid1(VALU_DEP_4)
	v_fma_f32 v5, v182, v20, -v5
	v_mul_f32_e32 v3, v181, v19
	v_mul_f32_e32 v4, v185, v23
	v_dual_mul_f32 v239, v210, v159 :: v_dual_mul_f32 v240, v212, v161
	v_fmac_f32_e32 v228, v189, v28
	v_fma_f32 v3, v180, v18, -v3
	v_add_f32_e32 v1, v1, v220
	v_fma_f32 v4, v184, v22, -v4
	v_dual_fmac_f32 v233, v199, v146 :: v_dual_fmac_f32 v236, v205, v152
	s_delay_alu instid0(VALU_DEP_4) | instskip(SKIP_2) | instid1(VALU_DEP_3)
	v_dual_add_f32 v2, v2, v3 :: v_dual_mul_f32 v3, v187, v25
	v_fmac_f32_e32 v239, v211, v158
	v_dual_fmac_f32 v241, v215, v162 :: v_dual_fmac_f32 v232, v197, v144
	v_add_f32_e32 v2, v2, v5
	v_add_f32_e32 v1, v1, v221
	v_fma_f32 v3, v186, v24, -v3
	v_fmac_f32_e32 v234, v201, v148
	v_fmac_f32_e32 v238, v209, v156
	s_delay_alu instid0(VALU_DEP_4) | instskip(SKIP_3) | instid1(VALU_DEP_4)
	v_dual_add_f32 v2, v2, v4 :: v_dual_add_f32 v1, v1, v222
	v_mul_f32_e32 v4, v191, v31
	v_fmac_f32_e32 v225, v183, v20
	v_fmac_f32_e32 v240, v213, v160
	v_dual_add_f32 v2, v2, v3 :: v_dual_mul_f32 v3, v193, v141
	s_delay_alu instid0(VALU_DEP_4) | instskip(SKIP_1) | instid1(VALU_DEP_3)
	v_fma_f32 v4, v190, v30, -v4
	v_mul_f32_e32 v5, v189, v29
	v_fma_f32 v3, v192, v140, -v3
	s_delay_alu instid0(VALU_DEP_2) | instskip(NEXT) | instid1(VALU_DEP_1)
	v_fma_f32 v5, v188, v28, -v5
	v_dual_add_f32 v1, v1, v223 :: v_dual_add_f32 v2, v2, v5
	s_delay_alu instid0(VALU_DEP_1) | instskip(NEXT) | instid1(VALU_DEP_2)
	v_dual_mul_f32 v5, v195, v143 :: v_dual_add_f32 v2, v2, v4
	v_add_f32_e32 v1, v1, v224
	v_mul_f32_e32 v4, v197, v145
	s_delay_alu instid0(VALU_DEP_3) | instskip(NEXT) | instid1(VALU_DEP_4)
	v_fma_f32 v5, v194, v142, -v5
	v_dual_add_f32 v2, v2, v3 :: v_dual_fmac_f32 v231, v195, v142
	v_mul_f32_e32 v3, v199, v147
	s_delay_alu instid0(VALU_DEP_4) | instskip(NEXT) | instid1(VALU_DEP_3)
	v_fma_f32 v4, v196, v144, -v4
	v_add_f32_e32 v2, v2, v5
	v_add_f32_e32 v1, v1, v225
	s_delay_alu instid0(VALU_DEP_4) | instskip(NEXT) | instid1(VALU_DEP_3)
	v_fma_f32 v3, v198, v146, -v3
	v_dual_add_f32 v2, v2, v4 :: v_dual_mul_f32 v5, v201, v149
	s_delay_alu instid0(VALU_DEP_3) | instskip(NEXT) | instid1(VALU_DEP_2)
	v_dual_add_f32 v1, v1, v226 :: v_dual_mul_f32 v4, v203, v151
	v_add_f32_e32 v2, v2, v3
	s_delay_alu instid0(VALU_DEP_3) | instskip(NEXT) | instid1(VALU_DEP_3)
	v_fma_f32 v5, v200, v148, -v5
	v_add_f32_e32 v1, v1, v227
	v_mul_f32_e32 v3, v205, v153
	v_fma_f32 v4, v202, v150, -v4
	s_delay_alu instid0(VALU_DEP_4) | instskip(NEXT) | instid1(VALU_DEP_3)
	v_dual_add_f32 v2, v2, v5 :: v_dual_mul_f32 v5, v207, v155
	v_fma_f32 v3, v204, v152, -v3
	s_delay_alu instid0(VALU_DEP_2) | instskip(SKIP_3) | instid1(VALU_DEP_4)
	v_add_f32_e32 v2, v2, v4
	v_add_f32_e32 v1, v1, v228
	v_mul_f32_e32 v4, v209, v157
	v_fma_f32 v5, v206, v154, -v5
	v_dual_add_f32 v2, v2, v3 :: v_dual_fmac_f32 v237, v207, v154
	v_mul_f32_e32 v3, v211, v159
	s_delay_alu instid0(VALU_DEP_4) | instskip(NEXT) | instid1(VALU_DEP_3)
	v_fma_f32 v4, v208, v156, -v4
	v_add_f32_e32 v2, v2, v5
	v_add_f32_e32 v1, v1, v229
	s_delay_alu instid0(VALU_DEP_4) | instskip(NEXT) | instid1(VALU_DEP_2)
	v_fma_f32 v3, v210, v158, -v3
	v_dual_add_f32 v2, v2, v4 :: v_dual_add_f32 v1, v1, v230
	v_dual_mul_f32 v4, v215, v163 :: v_dual_mul_f32 v5, v213, v161
	s_delay_alu instid0(VALU_DEP_2) | instskip(NEXT) | instid1(VALU_DEP_2)
	v_add_f32_e32 v2, v2, v3
	v_fma_f32 v3, v214, v162, -v4
	s_delay_alu instid0(VALU_DEP_3) | instskip(NEXT) | instid1(VALU_DEP_1)
	v_fma_f32 v5, v212, v160, -v5
	v_dual_add_f32 v1, v1, v231 :: v_dual_add_f32 v2, v2, v5
	s_delay_alu instid0(VALU_DEP_1) | instskip(NEXT) | instid1(VALU_DEP_1)
	v_dual_add_f32 v1, v1, v232 :: v_dual_add_f32 v2, v2, v3
	v_add_f32_e32 v1, v1, v233
	s_delay_alu instid0(VALU_DEP_1) | instskip(NEXT) | instid1(VALU_DEP_1)
	v_add_f32_e32 v1, v1, v234
	v_add_f32_e32 v1, v1, v235
	s_delay_alu instid0(VALU_DEP_1) | instskip(NEXT) | instid1(VALU_DEP_1)
	v_add_f32_e32 v1, v1, v236
	;; [unrolled: 3-line block ×4, first 2 shown]
	v_add_f32_e32 v3, v1, v241
	s_wait_loadcnt 0x0
	s_delay_alu instid0(VALU_DEP_1)
	v_dual_sub_f32 v1, v216, v2 :: v_dual_sub_f32 v2, v217, v3
	scratch_store_b64 off, v[1:2], off offset:216
	v_cmpx_lt_u32_e32 26, v0
	s_cbranch_execz .LBB117_285
; %bb.284:
	scratch_load_b64 v[1:2], off, off offset:208
	v_mov_b32_e32 v3, 0
	s_delay_alu instid0(VALU_DEP_1)
	v_mov_b32_e32 v4, v3
	scratch_store_b64 off, v[3:4], off offset:208
	s_wait_loadcnt 0x0
	ds_store_b64 v27, v[1:2]
.LBB117_285:
	s_wait_alu 0xfffe
	s_or_b32 exec_lo, exec_lo, s0
	s_wait_storecnt_dscnt 0x0
	s_barrier_signal -1
	s_barrier_wait -1
	global_inv scope:SCOPE_SE
	s_clause 0xe
	scratch_load_b128 v[2:5], off, off offset:216
	scratch_load_b128 v[6:9], off, off offset:232
	;; [unrolled: 1-line block ×13, first 2 shown]
	scratch_load_b64 v[216:217], off, off offset:424
	scratch_load_b64 v[218:219], off, off offset:208
	v_mov_b32_e32 v1, 0
	ds_load_2addr_b64 v[164:167], v1 offset0:81 offset1:82
	ds_load_2addr_b64 v[168:171], v1 offset0:83 offset1:84
	;; [unrolled: 1-line block ×13, first 2 shown]
	ds_load_b64 v[220:221], v1 offset:856
	s_mov_b32 s0, exec_lo
	s_wait_loadcnt_dscnt 0xe0d
	v_mul_f32_e32 v26, v164, v3
	v_dual_mul_f32 v3, v165, v3 :: v_dual_mul_f32 v222, v166, v5
	s_wait_loadcnt_dscnt 0xd0c
	v_mul_f32_e32 v223, v168, v7
	v_mul_f32_e32 v5, v167, v5
	s_wait_loadcnt_dscnt 0x908
	v_mul_f32_e32 v232, v186, v25
	v_fma_f32 v3, v164, v2, -v3
	v_dual_mul_f32 v224, v170, v9 :: v_dual_mul_f32 v225, v172, v11
	v_fmac_f32_e32 v26, v165, v2
	v_mul_f32_e32 v2, v169, v7
	s_delay_alu instid0(VALU_DEP_4)
	v_dual_fmac_f32 v222, v167, v4 :: v_dual_add_f32 v3, 0, v3
	s_wait_loadcnt_dscnt 0x100
	v_mul_f32_e32 v247, v220, v217
	v_fma_f32 v4, v166, v4, -v5
	v_dual_add_f32 v5, 0, v26 :: v_dual_fmac_f32 v224, v171, v8
	v_mul_f32_e32 v7, v171, v9
	v_fma_f32 v2, v168, v6, -v2
	s_delay_alu instid0(VALU_DEP_4)
	v_add_f32_e32 v3, v3, v4
	v_fmac_f32_e32 v223, v169, v6
	v_add_f32_e32 v4, v5, v222
	v_mul_f32_e32 v5, v173, v11
	v_fma_f32 v6, v170, v8, -v7
	v_add_f32_e32 v2, v3, v2
	v_dual_mul_f32 v226, v174, v13 :: v_dual_mul_f32 v227, v176, v15
	v_dual_add_f32 v3, v4, v223 :: v_dual_mul_f32 v4, v175, v13
	v_fma_f32 v5, v172, v10, -v5
	s_delay_alu instid0(VALU_DEP_4)
	v_add_f32_e32 v2, v2, v6
	v_fmac_f32_e32 v225, v173, v10
	v_mul_f32_e32 v6, v177, v15
	v_fmac_f32_e32 v226, v175, v12
	v_add_f32_e32 v3, v3, v224
	v_fma_f32 v4, v174, v12, -v4
	v_add_f32_e32 v2, v2, v5
	v_dual_mul_f32 v228, v178, v17 :: v_dual_mul_f32 v229, v180, v19
	s_delay_alu instid0(VALU_DEP_4)
	v_add_f32_e32 v3, v3, v225
	v_mul_f32_e32 v5, v179, v17
	v_fma_f32 v6, v176, v14, -v6
	v_dual_add_f32 v2, v2, v4 :: v_dual_fmac_f32 v227, v177, v14
	v_fmac_f32_e32 v228, v179, v16
	v_mul_f32_e32 v4, v181, v19
	v_fma_f32 v5, v178, v16, -v5
	s_delay_alu instid0(VALU_DEP_4) | instskip(SKIP_3) | instid1(VALU_DEP_3)
	v_add_f32_e32 v2, v2, v6
	v_add_f32_e32 v3, v3, v226
	v_dual_mul_f32 v6, v183, v21 :: v_dual_fmac_f32 v229, v181, v18
	v_fma_f32 v4, v180, v18, -v4
	v_dual_add_f32 v2, v2, v5 :: v_dual_add_f32 v3, v3, v227
	v_dual_mul_f32 v230, v182, v21 :: v_dual_mul_f32 v231, v184, v23
	v_mul_f32_e32 v5, v185, v23
	v_fma_f32 v6, v182, v20, -v6
	s_delay_alu instid0(VALU_DEP_4) | instskip(SKIP_4) | instid1(VALU_DEP_4)
	v_add_f32_e32 v2, v2, v4
	v_add_f32_e32 v3, v3, v228
	v_fmac_f32_e32 v230, v183, v20
	v_dual_mul_f32 v4, v187, v25 :: v_dual_fmac_f32 v231, v185, v22
	v_fma_f32 v5, v184, v22, -v5
	v_dual_add_f32 v2, v2, v6 :: v_dual_add_f32 v3, v3, v229
	v_mul_f32_e32 v6, v189, v29
	s_delay_alu instid0(VALU_DEP_4) | instskip(SKIP_1) | instid1(VALU_DEP_4)
	v_fma_f32 v4, v186, v24, -v4
	v_dual_mul_f32 v233, v188, v29 :: v_dual_mul_f32 v234, v190, v31
	v_dual_add_f32 v3, v3, v230 :: v_dual_add_f32 v2, v2, v5
	s_delay_alu instid0(VALU_DEP_4) | instskip(SKIP_1) | instid1(VALU_DEP_4)
	v_fma_f32 v6, v188, v28, -v6
	v_fmac_f32_e32 v232, v187, v24
	v_dual_fmac_f32 v233, v189, v28 :: v_dual_fmac_f32 v234, v191, v30
	s_delay_alu instid0(VALU_DEP_4) | instskip(SKIP_3) | instid1(VALU_DEP_3)
	v_add_f32_e32 v3, v3, v231
	v_dual_mul_f32 v5, v191, v31 :: v_dual_add_f32 v2, v2, v4
	v_dual_mul_f32 v235, v192, v141 :: v_dual_mul_f32 v236, v194, v143
	v_mul_f32_e32 v4, v193, v141
	v_fma_f32 v5, v190, v30, -v5
	s_delay_alu instid0(VALU_DEP_4) | instskip(NEXT) | instid1(VALU_DEP_4)
	v_add_f32_e32 v2, v2, v6
	v_dual_mul_f32 v6, v195, v143 :: v_dual_fmac_f32 v235, v193, v140
	s_delay_alu instid0(VALU_DEP_4) | instskip(SKIP_1) | instid1(VALU_DEP_4)
	v_fma_f32 v4, v192, v140, -v4
	v_dual_mul_f32 v237, v196, v145 :: v_dual_mul_f32 v238, v198, v147
	v_add_f32_e32 v2, v2, v5
	v_mul_f32_e32 v5, v197, v145
	v_add_f32_e32 v3, v3, v232
	s_delay_alu instid0(VALU_DEP_4) | instskip(SKIP_2) | instid1(VALU_DEP_4)
	v_dual_fmac_f32 v236, v195, v142 :: v_dual_fmac_f32 v237, v197, v144
	v_fma_f32 v6, v194, v142, -v6
	v_dual_mul_f32 v239, v200, v149 :: v_dual_mul_f32 v240, v202, v151
	v_add_f32_e32 v3, v3, v233
	v_dual_mul_f32 v241, v204, v153 :: v_dual_mul_f32 v242, v206, v155
	v_fma_f32 v5, v196, v144, -v5
	v_fmac_f32_e32 v238, v199, v146
	s_delay_alu instid0(VALU_DEP_4) | instskip(SKIP_2) | instid1(VALU_DEP_3)
	v_dual_add_f32 v3, v3, v234 :: v_dual_add_f32 v2, v2, v4
	v_dual_mul_f32 v4, v199, v147 :: v_dual_fmac_f32 v239, v201, v148
	v_fmac_f32_e32 v241, v205, v152
	v_dual_add_f32 v3, v3, v235 :: v_dual_add_f32 v2, v2, v6
	v_mul_f32_e32 v6, v201, v149
	s_delay_alu instid0(VALU_DEP_4) | instskip(SKIP_1) | instid1(VALU_DEP_4)
	v_fma_f32 v4, v198, v146, -v4
	v_dual_mul_f32 v245, v212, v161 :: v_dual_mul_f32 v246, v214, v163
	v_add_f32_e32 v3, v3, v236
	v_dual_fmac_f32 v240, v203, v150 :: v_dual_mul_f32 v243, v208, v157
	v_mul_f32_e32 v244, v210, v159
	s_delay_alu instid0(VALU_DEP_4) | instskip(NEXT) | instid1(VALU_DEP_4)
	v_dual_fmac_f32 v242, v207, v154 :: v_dual_fmac_f32 v245, v213, v160
	v_add_f32_e32 v3, v3, v237
	v_dual_add_f32 v2, v2, v5 :: v_dual_mul_f32 v5, v203, v151
	v_fma_f32 v6, v200, v148, -v6
	v_fmac_f32_e32 v243, v209, v156
	s_delay_alu instid0(VALU_DEP_3) | instskip(SKIP_3) | instid1(VALU_DEP_4)
	v_dual_add_f32 v3, v3, v238 :: v_dual_add_f32 v2, v2, v4
	v_mul_f32_e32 v4, v205, v153
	v_fma_f32 v5, v202, v150, -v5
	v_fmac_f32_e32 v244, v211, v158
	v_dual_add_f32 v3, v3, v239 :: v_dual_add_f32 v2, v2, v6
	v_mul_f32_e32 v6, v207, v155
	v_fma_f32 v4, v204, v152, -v4
	v_dual_fmac_f32 v247, v221, v216 :: v_dual_fmac_f32 v246, v215, v162
	s_delay_alu instid0(VALU_DEP_4) | instskip(SKIP_3) | instid1(VALU_DEP_3)
	v_add_f32_e32 v2, v2, v5
	v_mul_f32_e32 v5, v209, v157
	v_add_f32_e32 v3, v3, v240
	v_fma_f32 v6, v206, v154, -v6
	v_fma_f32 v5, v208, v156, -v5
	s_delay_alu instid0(VALU_DEP_3) | instskip(NEXT) | instid1(VALU_DEP_1)
	v_add_f32_e32 v3, v3, v241
	v_dual_add_f32 v3, v3, v242 :: v_dual_add_f32 v2, v2, v4
	v_mul_f32_e32 v4, v211, v159
	s_delay_alu instid0(VALU_DEP_2) | instskip(SKIP_1) | instid1(VALU_DEP_3)
	v_dual_add_f32 v3, v3, v243 :: v_dual_add_f32 v2, v2, v6
	v_mul_f32_e32 v6, v213, v161
	v_fma_f32 v4, v210, v158, -v4
	s_delay_alu instid0(VALU_DEP_3) | instskip(SKIP_1) | instid1(VALU_DEP_4)
	v_dual_add_f32 v3, v3, v244 :: v_dual_add_f32 v2, v2, v5
	v_mul_f32_e32 v5, v215, v163
	v_fma_f32 v6, v212, v160, -v6
	s_delay_alu instid0(VALU_DEP_3) | instskip(SKIP_1) | instid1(VALU_DEP_4)
	v_dual_add_f32 v3, v3, v245 :: v_dual_add_f32 v2, v2, v4
	v_mul_f32_e32 v4, v221, v217
	v_fma_f32 v5, v214, v162, -v5
	s_delay_alu instid0(VALU_DEP_3) | instskip(NEXT) | instid1(VALU_DEP_4)
	v_add_f32_e32 v3, v3, v246
	v_add_f32_e32 v2, v2, v6
	s_delay_alu instid0(VALU_DEP_4) | instskip(NEXT) | instid1(VALU_DEP_2)
	v_fma_f32 v4, v220, v216, -v4
	v_dual_add_f32 v3, v3, v247 :: v_dual_add_f32 v2, v2, v5
	s_wait_loadcnt 0x0
	s_delay_alu instid0(VALU_DEP_1) | instskip(NEXT) | instid1(VALU_DEP_1)
	v_dual_sub_f32 v3, v219, v3 :: v_dual_add_f32 v2, v2, v4
	v_sub_f32_e32 v2, v218, v2
	scratch_store_b64 off, v[2:3], off offset:208
	v_cmpx_lt_u32_e32 25, v0
	s_cbranch_execz .LBB117_287
; %bb.286:
	scratch_load_b64 v[3:4], off, off offset:200
	v_mov_b32_e32 v2, v1
	scratch_store_b64 off, v[1:2], off offset:200
	s_wait_loadcnt 0x0
	ds_store_b64 v27, v[3:4]
.LBB117_287:
	s_wait_alu 0xfffe
	s_or_b32 exec_lo, exec_lo, s0
	s_wait_storecnt_dscnt 0x0
	s_barrier_signal -1
	s_barrier_wait -1
	global_inv scope:SCOPE_SE
	s_clause 0xe
	scratch_load_b128 v[2:5], off, off offset:208
	scratch_load_b128 v[6:9], off, off offset:224
	;; [unrolled: 1-line block ×14, first 2 shown]
	scratch_load_b64 v[224:225], off, off offset:200
	ds_load_b128 v[168:171], v1 offset:640
	ds_load_b128 v[172:175], v1 offset:656
	;; [unrolled: 1-line block ×14, first 2 shown]
	s_mov_b32 s0, exec_lo
	s_wait_loadcnt_dscnt 0xe0d
	v_dual_mul_f32 v1, v168, v3 :: v_dual_mul_f32 v26, v170, v5
	s_wait_loadcnt_dscnt 0xd0c
	v_dual_mul_f32 v5, v171, v5 :: v_dual_mul_f32 v226, v172, v7
	v_mul_f32_e32 v227, v174, v9
	s_wait_loadcnt_dscnt 0xc0b
	v_dual_fmac_f32 v1, v169, v2 :: v_dual_mul_f32 v228, v176, v11
	v_mul_f32_e32 v229, v178, v13
	v_dual_mul_f32 v3, v169, v3 :: v_dual_fmac_f32 v26, v171, v4
	s_wait_loadcnt_dscnt 0xb0a
	v_dual_mul_f32 v230, v180, v15 :: v_dual_mul_f32 v231, v182, v17
	s_wait_loadcnt_dscnt 0x201
	v_mul_f32_e32 v248, v216, v161
	v_fma_f32 v3, v168, v2, -v3
	s_wait_loadcnt_dscnt 0x100
	v_mul_f32_e32 v251, v222, v167
	v_mul_f32_e32 v2, v173, v7
	v_fma_f32 v4, v170, v4, -v5
	v_dual_mul_f32 v5, v175, v9 :: v_dual_fmac_f32 v228, v177, v10
	v_dual_add_f32 v3, 0, v3 :: v_dual_fmac_f32 v226, v173, v6
	s_delay_alu instid0(VALU_DEP_4) | instskip(NEXT) | instid1(VALU_DEP_3)
	v_fma_f32 v2, v172, v6, -v2
	v_fma_f32 v5, v174, v8, -v5
	s_delay_alu instid0(VALU_DEP_3) | instskip(SKIP_2) | instid1(VALU_DEP_3)
	v_dual_fmac_f32 v230, v181, v14 :: v_dual_add_f32 v3, v3, v4
	v_dual_mul_f32 v232, v184, v19 :: v_dual_mul_f32 v233, v186, v21
	v_dual_mul_f32 v234, v188, v23 :: v_dual_mul_f32 v235, v190, v25
	v_add_f32_e32 v2, v3, v2
	s_delay_alu instid0(VALU_DEP_3) | instskip(SKIP_1) | instid1(VALU_DEP_3)
	v_dual_mul_f32 v3, v179, v13 :: v_dual_fmac_f32 v232, v185, v18
	v_dual_fmac_f32 v231, v183, v16 :: v_dual_mul_f32 v4, v177, v11
	v_add_f32_e32 v2, v2, v5
	v_add_f32_e32 v1, 0, v1
	s_delay_alu instid0(VALU_DEP_4) | instskip(SKIP_2) | instid1(VALU_DEP_4)
	v_fma_f32 v3, v178, v12, -v3
	v_dual_mul_f32 v236, v192, v29 :: v_dual_mul_f32 v237, v194, v31
	v_fma_f32 v4, v176, v10, -v4
	v_dual_add_f32 v1, v1, v26 :: v_dual_mul_f32 v240, v200, v145
	v_dual_mul_f32 v241, v202, v147 :: v_dual_mul_f32 v238, v196, v141
	v_mul_f32_e32 v239, v198, v143
	s_delay_alu instid0(VALU_DEP_3) | instskip(SKIP_2) | instid1(VALU_DEP_3)
	v_dual_add_f32 v2, v2, v4 :: v_dual_add_f32 v1, v1, v226
	v_mul_f32_e32 v4, v183, v17
	v_fmac_f32_e32 v227, v175, v8
	v_dual_fmac_f32 v235, v191, v24 :: v_dual_add_f32 v2, v2, v3
	v_dual_mul_f32 v242, v204, v149 :: v_dual_mul_f32 v243, v206, v151
	s_delay_alu instid0(VALU_DEP_4) | instskip(SKIP_3) | instid1(VALU_DEP_3)
	v_fma_f32 v4, v182, v16, -v4
	v_mul_f32_e32 v5, v181, v15
	v_dual_add_f32 v1, v1, v227 :: v_dual_mul_f32 v246, v212, v157
	v_dual_mul_f32 v247, v214, v159 :: v_dual_fmac_f32 v234, v189, v22
	v_fma_f32 v5, v180, v14, -v5
	v_dual_fmac_f32 v229, v179, v12 :: v_dual_mul_f32 v244, v208, v153
	v_mul_f32_e32 v245, v210, v155
	s_delay_alu instid0(VALU_DEP_3) | instskip(SKIP_3) | instid1(VALU_DEP_3)
	v_dual_fmac_f32 v243, v207, v150 :: v_dual_add_f32 v2, v2, v5
	v_mul_f32_e32 v5, v187, v21
	v_dual_fmac_f32 v237, v195, v30 :: v_dual_fmac_f32 v238, v197, v140
	v_dual_fmac_f32 v241, v203, v146 :: v_dual_fmac_f32 v244, v209, v152
	v_fma_f32 v5, v186, v20, -v5
	v_dual_mul_f32 v3, v185, v19 :: v_dual_add_f32 v2, v2, v4
	v_mul_f32_e32 v4, v189, v23
	v_dual_fmac_f32 v236, v193, v28 :: v_dual_mul_f32 v249, v218, v163
	v_mul_f32_e32 v250, v220, v165
	s_delay_alu instid0(VALU_DEP_4) | instskip(SKIP_2) | instid1(VALU_DEP_4)
	v_fma_f32 v3, v184, v18, -v3
	v_add_f32_e32 v1, v1, v228
	v_fma_f32 v4, v188, v22, -v4
	v_dual_fmac_f32 v247, v215, v158 :: v_dual_fmac_f32 v250, v221, v164
	s_delay_alu instid0(VALU_DEP_4) | instskip(SKIP_2) | instid1(VALU_DEP_3)
	v_dual_add_f32 v2, v2, v3 :: v_dual_mul_f32 v3, v191, v25
	v_fmac_f32_e32 v249, v219, v162
	v_dual_fmac_f32 v251, v223, v166 :: v_dual_fmac_f32 v240, v201, v144
	v_add_f32_e32 v2, v2, v5
	v_add_f32_e32 v1, v1, v229
	v_fma_f32 v3, v190, v24, -v3
	v_fmac_f32_e32 v242, v205, v148
	v_fmac_f32_e32 v246, v213, v156
	s_delay_alu instid0(VALU_DEP_4) | instskip(SKIP_3) | instid1(VALU_DEP_4)
	v_dual_add_f32 v2, v2, v4 :: v_dual_add_f32 v1, v1, v230
	v_mul_f32_e32 v4, v195, v31
	v_fmac_f32_e32 v233, v187, v20
	v_fmac_f32_e32 v248, v217, v160
	v_dual_add_f32 v2, v2, v3 :: v_dual_mul_f32 v3, v197, v141
	s_delay_alu instid0(VALU_DEP_4) | instskip(SKIP_1) | instid1(VALU_DEP_3)
	v_fma_f32 v4, v194, v30, -v4
	v_mul_f32_e32 v5, v193, v29
	v_fma_f32 v3, v196, v140, -v3
	s_delay_alu instid0(VALU_DEP_2) | instskip(NEXT) | instid1(VALU_DEP_1)
	v_fma_f32 v5, v192, v28, -v5
	v_dual_add_f32 v1, v1, v231 :: v_dual_add_f32 v2, v2, v5
	s_delay_alu instid0(VALU_DEP_1) | instskip(NEXT) | instid1(VALU_DEP_2)
	v_dual_mul_f32 v5, v199, v143 :: v_dual_add_f32 v2, v2, v4
	v_add_f32_e32 v1, v1, v232
	v_mul_f32_e32 v4, v201, v145
	s_delay_alu instid0(VALU_DEP_3) | instskip(NEXT) | instid1(VALU_DEP_4)
	v_fma_f32 v5, v198, v142, -v5
	v_dual_add_f32 v2, v2, v3 :: v_dual_fmac_f32 v239, v199, v142
	v_mul_f32_e32 v3, v203, v147
	s_delay_alu instid0(VALU_DEP_4) | instskip(NEXT) | instid1(VALU_DEP_3)
	v_fma_f32 v4, v200, v144, -v4
	v_add_f32_e32 v2, v2, v5
	v_add_f32_e32 v1, v1, v233
	s_delay_alu instid0(VALU_DEP_4) | instskip(NEXT) | instid1(VALU_DEP_3)
	v_fma_f32 v3, v202, v146, -v3
	v_dual_add_f32 v2, v2, v4 :: v_dual_mul_f32 v5, v205, v149
	s_delay_alu instid0(VALU_DEP_3) | instskip(NEXT) | instid1(VALU_DEP_2)
	v_dual_add_f32 v1, v1, v234 :: v_dual_mul_f32 v4, v207, v151
	v_add_f32_e32 v2, v2, v3
	s_delay_alu instid0(VALU_DEP_3) | instskip(NEXT) | instid1(VALU_DEP_3)
	v_fma_f32 v5, v204, v148, -v5
	v_add_f32_e32 v1, v1, v235
	v_mul_f32_e32 v3, v209, v153
	v_fma_f32 v4, v206, v150, -v4
	s_delay_alu instid0(VALU_DEP_4) | instskip(NEXT) | instid1(VALU_DEP_3)
	v_dual_add_f32 v2, v2, v5 :: v_dual_mul_f32 v5, v211, v155
	v_fma_f32 v3, v208, v152, -v3
	s_delay_alu instid0(VALU_DEP_2) | instskip(SKIP_3) | instid1(VALU_DEP_4)
	v_add_f32_e32 v2, v2, v4
	v_add_f32_e32 v1, v1, v236
	v_mul_f32_e32 v4, v213, v157
	v_fma_f32 v5, v210, v154, -v5
	v_dual_add_f32 v2, v2, v3 :: v_dual_fmac_f32 v245, v211, v154
	v_mul_f32_e32 v3, v215, v159
	s_delay_alu instid0(VALU_DEP_4) | instskip(NEXT) | instid1(VALU_DEP_3)
	v_fma_f32 v4, v212, v156, -v4
	v_add_f32_e32 v2, v2, v5
	v_add_f32_e32 v1, v1, v237
	s_delay_alu instid0(VALU_DEP_4) | instskip(NEXT) | instid1(VALU_DEP_3)
	v_fma_f32 v3, v214, v158, -v3
	v_dual_add_f32 v2, v2, v4 :: v_dual_mul_f32 v5, v217, v161
	s_delay_alu instid0(VALU_DEP_3) | instskip(NEXT) | instid1(VALU_DEP_2)
	v_dual_add_f32 v1, v1, v238 :: v_dual_mul_f32 v4, v219, v163
	v_add_f32_e32 v2, v2, v3
	s_delay_alu instid0(VALU_DEP_3) | instskip(NEXT) | instid1(VALU_DEP_3)
	v_fma_f32 v5, v216, v160, -v5
	v_add_f32_e32 v1, v1, v239
	v_mul_f32_e32 v3, v221, v165
	v_fma_f32 v4, v218, v162, -v4
	s_delay_alu instid0(VALU_DEP_4) | instskip(NEXT) | instid1(VALU_DEP_3)
	v_dual_add_f32 v2, v2, v5 :: v_dual_mul_f32 v5, v223, v167
	v_fma_f32 v3, v220, v164, -v3
	s_delay_alu instid0(VALU_DEP_2) | instskip(SKIP_1) | instid1(VALU_DEP_4)
	v_add_f32_e32 v2, v2, v4
	v_add_f32_e32 v1, v1, v240
	v_fma_f32 v4, v222, v166, -v5
	s_delay_alu instid0(VALU_DEP_2) | instskip(NEXT) | instid1(VALU_DEP_1)
	v_dual_add_f32 v2, v2, v3 :: v_dual_add_f32 v1, v1, v241
	v_dual_add_f32 v2, v2, v4 :: v_dual_add_f32 v1, v1, v242
	s_delay_alu instid0(VALU_DEP_1) | instskip(NEXT) | instid1(VALU_DEP_1)
	v_add_f32_e32 v1, v1, v243
	v_add_f32_e32 v1, v1, v244
	s_delay_alu instid0(VALU_DEP_1) | instskip(NEXT) | instid1(VALU_DEP_1)
	v_add_f32_e32 v1, v1, v245
	v_add_f32_e32 v1, v1, v246
	;; [unrolled: 3-line block ×4, first 2 shown]
	s_delay_alu instid0(VALU_DEP_1) | instskip(SKIP_1) | instid1(VALU_DEP_1)
	v_add_f32_e32 v3, v1, v251
	s_wait_loadcnt 0x0
	v_dual_sub_f32 v1, v224, v2 :: v_dual_sub_f32 v2, v225, v3
	scratch_store_b64 off, v[1:2], off offset:200
	v_cmpx_lt_u32_e32 24, v0
	s_cbranch_execz .LBB117_289
; %bb.288:
	scratch_load_b64 v[1:2], off, off offset:192
	v_mov_b32_e32 v3, 0
	s_delay_alu instid0(VALU_DEP_1)
	v_mov_b32_e32 v4, v3
	scratch_store_b64 off, v[3:4], off offset:192
	s_wait_loadcnt 0x0
	ds_store_b64 v27, v[1:2]
.LBB117_289:
	s_wait_alu 0xfffe
	s_or_b32 exec_lo, exec_lo, s0
	s_wait_storecnt_dscnt 0x0
	s_barrier_signal -1
	s_barrier_wait -1
	global_inv scope:SCOPE_SE
	s_clause 0x4
	scratch_load_b128 v[2:5], off, off offset:200
	scratch_load_b128 v[6:9], off, off offset:216
	;; [unrolled: 1-line block ×5, first 2 shown]
	v_mov_b32_e32 v1, 0
	ds_load_2addr_b64 v[22:25], v1 offset0:79 offset1:80
	ds_load_2addr_b64 v[28:31], v1 offset0:81 offset1:82
	;; [unrolled: 1-line block ×3, first 2 shown]
	scratch_load_b64 v[144:145], off, off offset:192
	s_mov_b32 s0, exec_lo
	s_wait_loadcnt_dscnt 0x502
	v_mul_f32_e32 v26, v23, v3
	v_dual_mul_f32 v146, v22, v3 :: v_dual_mul_f32 v147, v24, v5
	v_mul_f32_e32 v3, v25, v5
	s_wait_loadcnt_dscnt 0x300
	v_mul_f32_e32 v148, v142, v13
	v_fma_f32 v22, v22, v2, -v26
	v_dual_fmac_f32 v146, v23, v2 :: v_dual_fmac_f32 v147, v25, v4
	v_fma_f32 v23, v24, v4, -v3
	ds_load_2addr_b64 v[2:5], v1 offset0:85 offset1:86
	v_mul_f32_e32 v24, v28, v7
	v_mul_f32_e32 v7, v29, v7
	v_dual_mul_f32 v25, v30, v9 :: v_dual_mul_f32 v26, v140, v11
	s_delay_alu instid0(VALU_DEP_3) | instskip(SKIP_2) | instid1(VALU_DEP_4)
	v_dual_mul_f32 v9, v31, v9 :: v_dual_fmac_f32 v24, v29, v6
	v_dual_mul_f32 v11, v141, v11 :: v_dual_fmac_f32 v148, v143, v12
	v_mul_f32_e32 v13, v143, v13
	v_dual_fmac_f32 v25, v31, v8 :: v_dual_fmac_f32 v26, v141, v10
	s_delay_alu instid0(VALU_DEP_4) | instskip(NEXT) | instid1(VALU_DEP_4)
	v_fma_f32 v29, v30, v8, -v9
	v_fma_f32 v30, v140, v10, -v11
	s_delay_alu instid0(VALU_DEP_4)
	v_fma_f32 v31, v142, v12, -v13
	ds_load_2addr_b64 v[10:13], v1 offset0:87 offset1:88
	v_fma_f32 v28, v28, v6, -v7
	scratch_load_b128 v[6:9], off, off offset:280
	s_wait_loadcnt_dscnt 0x301
	v_mul_f32_e32 v140, v2, v15
	v_mul_f32_e32 v15, v3, v15
	;; [unrolled: 1-line block ×3, first 2 shown]
	s_delay_alu instid0(VALU_DEP_3) | instskip(NEXT) | instid1(VALU_DEP_3)
	v_dual_mul_f32 v17, v5, v17 :: v_dual_fmac_f32 v140, v3, v14
	v_fma_f32 v14, v2, v14, -v15
	s_delay_alu instid0(VALU_DEP_3) | instskip(NEXT) | instid1(VALU_DEP_3)
	v_fmac_f32_e32 v141, v5, v16
	v_fma_f32 v15, v4, v16, -v17
	ds_load_2addr_b64 v[2:5], v1 offset0:89 offset1:90
	s_wait_loadcnt_dscnt 0x201
	v_mul_f32_e32 v16, v10, v19
	v_mul_f32_e32 v17, v11, v19
	;; [unrolled: 1-line block ×3, first 2 shown]
	s_delay_alu instid0(VALU_DEP_3) | instskip(NEXT) | instid1(VALU_DEP_3)
	v_dual_mul_f32 v21, v13, v21 :: v_dual_fmac_f32 v16, v11, v18
	v_fma_f32 v17, v10, v18, -v17
	s_delay_alu instid0(VALU_DEP_3) | instskip(NEXT) | instid1(VALU_DEP_3)
	v_fmac_f32_e32 v19, v13, v20
	v_fma_f32 v18, v12, v20, -v21
	scratch_load_b128 v[10:13], off, off offset:296
	s_wait_loadcnt_dscnt 0x100
	v_mul_f32_e32 v20, v2, v7
	v_mul_f32_e32 v7, v3, v7
	;; [unrolled: 1-line block ×3, first 2 shown]
	s_delay_alu instid0(VALU_DEP_3) | instskip(NEXT) | instid1(VALU_DEP_3)
	v_dual_mul_f32 v9, v5, v9 :: v_dual_fmac_f32 v20, v3, v6
	v_fma_f32 v142, v2, v6, -v7
	s_delay_alu instid0(VALU_DEP_3) | instskip(NEXT) | instid1(VALU_DEP_3)
	v_fmac_f32_e32 v21, v5, v8
	v_fma_f32 v143, v4, v8, -v9
	ds_load_2addr_b64 v[2:5], v1 offset0:91 offset1:92
	ds_load_2addr_b64 v[6:9], v1 offset0:93 offset1:94
	s_wait_loadcnt_dscnt 0x1
	v_mul_f32_e32 v149, v2, v11
	v_dual_mul_f32 v11, v3, v11 :: v_dual_mul_f32 v150, v4, v13
	s_delay_alu instid0(VALU_DEP_2) | instskip(NEXT) | instid1(VALU_DEP_2)
	v_fmac_f32_e32 v149, v3, v10
	v_fma_f32 v151, v2, v10, -v11
	v_mul_f32_e32 v2, v5, v13
	s_delay_alu instid0(VALU_DEP_4) | instskip(NEXT) | instid1(VALU_DEP_2)
	v_fmac_f32_e32 v150, v5, v12
	v_fma_f32 v152, v4, v12, -v2
	s_clause 0x1
	scratch_load_b128 v[2:5], off, off offset:312
	scratch_load_b128 v[10:13], off, off offset:328
	s_wait_loadcnt_dscnt 0x100
	v_mul_f32_e32 v153, v6, v3
	v_mul_f32_e32 v3, v7, v3
	;; [unrolled: 1-line block ×3, first 2 shown]
	s_delay_alu instid0(VALU_DEP_3) | instskip(NEXT) | instid1(VALU_DEP_3)
	v_fmac_f32_e32 v153, v7, v2
	v_fma_f32 v154, v6, v2, -v3
	v_mul_f32_e32 v2, v9, v5
	s_delay_alu instid0(VALU_DEP_4) | instskip(NEXT) | instid1(VALU_DEP_2)
	v_fmac_f32_e32 v155, v9, v4
	v_fma_f32 v156, v8, v4, -v2
	ds_load_2addr_b64 v[2:5], v1 offset0:95 offset1:96
	ds_load_2addr_b64 v[6:9], v1 offset0:97 offset1:98
	s_wait_loadcnt_dscnt 0x1
	v_mul_f32_e32 v157, v2, v11
	v_mul_f32_e32 v159, v4, v13
	s_delay_alu instid0(VALU_DEP_2) | instskip(SKIP_1) | instid1(VALU_DEP_3)
	v_fmac_f32_e32 v157, v3, v10
	v_mul_f32_e32 v3, v3, v11
	v_fmac_f32_e32 v159, v5, v12
	s_delay_alu instid0(VALU_DEP_2) | instskip(SKIP_1) | instid1(VALU_DEP_1)
	v_fma_f32 v158, v2, v10, -v3
	v_mul_f32_e32 v2, v5, v13
	v_fma_f32 v160, v4, v12, -v2
	s_clause 0x1
	scratch_load_b128 v[2:5], off, off offset:344
	scratch_load_b128 v[10:13], off, off offset:360
	s_wait_loadcnt_dscnt 0x100
	v_mul_f32_e32 v161, v6, v3
	v_mul_f32_e32 v3, v7, v3
	s_delay_alu instid0(VALU_DEP_2) | instskip(NEXT) | instid1(VALU_DEP_2)
	v_fmac_f32_e32 v161, v7, v2
	v_fma_f32 v162, v6, v2, -v3
	v_dual_mul_f32 v2, v9, v5 :: v_dual_add_f32 v3, 0, v146
	s_delay_alu instid0(VALU_DEP_1) | instskip(NEXT) | instid1(VALU_DEP_2)
	v_fma_f32 v164, v8, v4, -v2
	v_dual_add_f32 v2, 0, v22 :: v_dual_add_f32 v3, v3, v147
	s_delay_alu instid0(VALU_DEP_1) | instskip(NEXT) | instid1(VALU_DEP_1)
	v_add_f32_e32 v2, v2, v23
	v_add_f32_e32 v2, v2, v28
	s_delay_alu instid0(VALU_DEP_1) | instskip(SKIP_2) | instid1(VALU_DEP_1)
	v_add_f32_e32 v2, v2, v29
	scratch_load_b64 v[28:29], off, off offset:424
	v_add_f32_e32 v2, v2, v30
	v_add_f32_e32 v7, v2, v31
	s_delay_alu instid0(VALU_DEP_1) | instskip(NEXT) | instid1(VALU_DEP_1)
	v_add_f32_e32 v7, v7, v14
	v_add_f32_e32 v14, v7, v15
	s_delay_alu instid0(VALU_DEP_1) | instskip(NEXT) | instid1(VALU_DEP_1)
	v_dual_add_f32 v3, v3, v24 :: v_dual_add_f32 v14, v14, v17
	v_dual_add_f32 v3, v3, v25 :: v_dual_add_f32 v14, v14, v18
	s_delay_alu instid0(VALU_DEP_1) | instskip(NEXT) | instid1(VALU_DEP_2)
	v_add_f32_e32 v6, v3, v26
	v_add_f32_e32 v14, v14, v142
	s_delay_alu instid0(VALU_DEP_2) | instskip(NEXT) | instid1(VALU_DEP_1)
	v_add_f32_e32 v6, v6, v148
	v_add_f32_e32 v6, v6, v140
	s_delay_alu instid0(VALU_DEP_1) | instskip(NEXT) | instid1(VALU_DEP_1)
	v_add_f32_e32 v15, v6, v141
	v_add_f32_e32 v15, v15, v16
	s_delay_alu instid0(VALU_DEP_1) | instskip(NEXT) | instid1(VALU_DEP_1)
	v_add_f32_e32 v15, v15, v19
	v_dual_mul_f32 v163, v8, v5 :: v_dual_add_f32 v18, v15, v20
	s_delay_alu instid0(VALU_DEP_1)
	v_dual_add_f32 v18, v18, v21 :: v_dual_fmac_f32 v163, v9, v4
	ds_load_2addr_b64 v[2:5], v1 offset0:99 offset1:100
	ds_load_2addr_b64 v[6:9], v1 offset0:101 offset1:102
	v_add_f32_e32 v19, v14, v143
	v_add_f32_e32 v18, v18, v149
	scratch_load_b128 v[14:17], off, off offset:408
	v_add_f32_e32 v18, v18, v150
	s_delay_alu instid0(VALU_DEP_1) | instskip(NEXT) | instid1(VALU_DEP_1)
	v_add_f32_e32 v18, v18, v153
	v_add_f32_e32 v22, v18, v155
	s_wait_loadcnt_dscnt 0x201
	v_mul_f32_e32 v26, v2, v11
	v_mul_f32_e32 v140, v4, v13
	s_delay_alu instid0(VALU_DEP_3) | instskip(SKIP_3) | instid1(VALU_DEP_1)
	v_add_f32_e32 v31, v22, v157
	ds_load_2addr_b64 v[22:25], v1 offset0:105 offset1:106
	v_fmac_f32_e32 v26, v3, v10
	v_dual_fmac_f32 v140, v5, v12 :: v_dual_add_f32 v143, v31, v159
	v_add_f32_e32 v143, v143, v161
	s_delay_alu instid0(VALU_DEP_1) | instskip(NEXT) | instid1(VALU_DEP_1)
	v_add_f32_e32 v143, v143, v163
	v_add_f32_e32 v26, v143, v26
	s_delay_alu instid0(VALU_DEP_1) | instskip(NEXT) | instid1(VALU_DEP_1)
	v_dual_add_f32 v19, v19, v151 :: v_dual_add_f32 v26, v26, v140
	v_add_f32_e32 v19, v19, v152
	s_delay_alu instid0(VALU_DEP_1) | instskip(NEXT) | instid1(VALU_DEP_1)
	v_add_f32_e32 v19, v19, v154
	v_add_f32_e32 v19, v19, v156
	s_delay_alu instid0(VALU_DEP_1) | instskip(SKIP_3) | instid1(VALU_DEP_2)
	v_add_f32_e32 v30, v19, v158
	ds_load_2addr_b64 v[18:21], v1 offset0:103 offset1:104
	v_dual_mul_f32 v13, v5, v13 :: v_dual_add_f32 v142, v30, v160
	v_mul_f32_e32 v11, v3, v11
	v_fma_f32 v146, v4, v12, -v13
	ds_load_b64 v[30:31], v1 offset:856
	v_add_f32_e32 v142, v142, v162
	v_fma_f32 v141, v2, v10, -v11
	s_clause 0x1
	scratch_load_b128 v[2:5], off, off offset:376
	scratch_load_b128 v[10:13], off, off offset:392
	v_add_f32_e32 v142, v142, v164
	s_wait_loadcnt_dscnt 0x300
	v_mul_f32_e32 v140, v30, v29
	s_delay_alu instid0(VALU_DEP_1) | instskip(SKIP_1) | instid1(VALU_DEP_1)
	v_dual_add_f32 v141, v142, v141 :: v_dual_fmac_f32 v140, v31, v28
	s_wait_loadcnt 0x2
	v_dual_add_f32 v141, v141, v146 :: v_dual_mul_f32 v146, v24, v17
	s_delay_alu instid0(VALU_DEP_1)
	v_dual_mul_f32 v149, v22, v15 :: v_dual_fmac_f32 v146, v25, v16
	s_wait_loadcnt 0x1
	v_mul_f32_e32 v148, v8, v5
	s_wait_loadcnt 0x0
	v_mul_f32_e32 v142, v18, v11
	v_mul_f32_e32 v147, v6, v3
	s_delay_alu instid0(VALU_DEP_3) | instskip(NEXT) | instid1(VALU_DEP_3)
	v_dual_mul_f32 v3, v7, v3 :: v_dual_fmac_f32 v148, v9, v4
	v_fmac_f32_e32 v142, v19, v10
	s_delay_alu instid0(VALU_DEP_3) | instskip(NEXT) | instid1(VALU_DEP_3)
	v_fmac_f32_e32 v147, v7, v2
	v_fma_f32 v3, v6, v2, -v3
	v_mul_f32_e32 v6, v21, v13
	s_delay_alu instid0(VALU_DEP_2) | instskip(SKIP_1) | instid1(VALU_DEP_3)
	v_add_f32_e32 v3, v141, v3
	v_mul_f32_e32 v5, v9, v5
	v_fma_f32 v6, v20, v12, -v6
	s_delay_alu instid0(VALU_DEP_2) | instskip(SKIP_1) | instid1(VALU_DEP_2)
	v_fma_f32 v2, v8, v4, -v5
	v_mul_f32_e32 v4, v19, v11
	v_dual_add_f32 v5, v26, v147 :: v_dual_add_f32 v2, v3, v2
	s_delay_alu instid0(VALU_DEP_2) | instskip(NEXT) | instid1(VALU_DEP_2)
	v_fma_f32 v4, v18, v10, -v4
	v_add_f32_e32 v3, v5, v148
	s_delay_alu instid0(VALU_DEP_2) | instskip(SKIP_1) | instid1(VALU_DEP_2)
	v_dual_mul_f32 v5, v23, v15 :: v_dual_add_f32 v2, v2, v4
	v_mul_f32_e32 v4, v25, v17
	v_fma_f32 v5, v22, v14, -v5
	s_delay_alu instid0(VALU_DEP_4) | instskip(NEXT) | instid1(VALU_DEP_4)
	v_add_f32_e32 v3, v3, v142
	v_add_f32_e32 v2, v2, v6
	s_delay_alu instid0(VALU_DEP_4) | instskip(SKIP_1) | instid1(VALU_DEP_3)
	v_fma_f32 v4, v24, v16, -v4
	v_mul_f32_e32 v6, v31, v29
	v_dual_fmac_f32 v149, v23, v14 :: v_dual_add_f32 v2, v2, v5
	v_mul_f32_e32 v143, v20, v13
	s_delay_alu instid0(VALU_DEP_3) | instskip(NEXT) | instid1(VALU_DEP_3)
	v_fma_f32 v5, v30, v28, -v6
	v_add_f32_e32 v2, v2, v4
	s_delay_alu instid0(VALU_DEP_1) | instskip(NEXT) | instid1(VALU_DEP_1)
	v_dual_fmac_f32 v143, v21, v12 :: v_dual_add_f32 v2, v2, v5
	v_dual_add_f32 v3, v3, v143 :: v_dual_sub_f32 v2, v144, v2
	s_delay_alu instid0(VALU_DEP_1) | instskip(NEXT) | instid1(VALU_DEP_1)
	v_add_f32_e32 v3, v3, v149
	v_add_f32_e32 v3, v3, v146
	s_delay_alu instid0(VALU_DEP_1) | instskip(NEXT) | instid1(VALU_DEP_1)
	v_add_f32_e32 v3, v3, v140
	v_sub_f32_e32 v3, v145, v3
	scratch_store_b64 off, v[2:3], off offset:192
	v_cmpx_lt_u32_e32 23, v0
	s_cbranch_execz .LBB117_291
; %bb.290:
	scratch_load_b64 v[3:4], off, off offset:184
	v_mov_b32_e32 v2, v1
	scratch_store_b64 off, v[1:2], off offset:184
	s_wait_loadcnt 0x0
	ds_store_b64 v27, v[3:4]
.LBB117_291:
	s_wait_alu 0xfffe
	s_or_b32 exec_lo, exec_lo, s0
	s_wait_storecnt_dscnt 0x0
	s_barrier_signal -1
	s_barrier_wait -1
	global_inv scope:SCOPE_SE
	s_clause 0x4
	scratch_load_b128 v[2:5], off, off offset:192
	scratch_load_b128 v[6:9], off, off offset:208
	;; [unrolled: 1-line block ×5, first 2 shown]
	ds_load_b128 v[22:25], v1 offset:624
	ds_load_b128 v[28:31], v1 offset:640
	ds_load_b128 v[140:143], v1 offset:656
	scratch_load_b64 v[144:145], off, off offset:184
	s_mov_b32 s0, exec_lo
	s_wait_loadcnt_dscnt 0x502
	v_dual_mul_f32 v26, v23, v3 :: v_dual_mul_f32 v147, v24, v5
	v_dual_mul_f32 v146, v22, v3 :: v_dual_mul_f32 v3, v25, v5
	s_wait_loadcnt_dscnt 0x300
	v_mul_f32_e32 v148, v142, v13
	s_delay_alu instid0(VALU_DEP_3) | instskip(NEXT) | instid1(VALU_DEP_3)
	v_fma_f32 v22, v22, v2, -v26
	v_dual_fmac_f32 v147, v25, v4 :: v_dual_fmac_f32 v146, v23, v2
	v_fma_f32 v23, v24, v4, -v3
	ds_load_b128 v[2:5], v1 offset:672
	v_dual_mul_f32 v24, v28, v7 :: v_dual_mul_f32 v25, v30, v9
	v_mul_f32_e32 v7, v29, v7
	v_dual_mul_f32 v9, v31, v9 :: v_dual_mul_f32 v26, v140, v11
	v_dual_mul_f32 v11, v141, v11 :: v_dual_fmac_f32 v148, v143, v12
	s_delay_alu instid0(VALU_DEP_4) | instskip(SKIP_1) | instid1(VALU_DEP_4)
	v_dual_mul_f32 v13, v143, v13 :: v_dual_fmac_f32 v24, v29, v6
	v_fmac_f32_e32 v25, v31, v8
	v_fma_f32 v29, v30, v8, -v9
	v_fmac_f32_e32 v26, v141, v10
	v_fma_f32 v30, v140, v10, -v11
	v_fma_f32 v31, v142, v12, -v13
	ds_load_b128 v[10:13], v1 offset:688
	v_fma_f32 v28, v28, v6, -v7
	scratch_load_b128 v[6:9], off, off offset:272
	s_wait_loadcnt_dscnt 0x301
	v_dual_mul_f32 v140, v2, v15 :: v_dual_mul_f32 v141, v4, v17
	v_mul_f32_e32 v15, v3, v15
	s_delay_alu instid0(VALU_DEP_2) | instskip(NEXT) | instid1(VALU_DEP_3)
	v_dual_mul_f32 v17, v5, v17 :: v_dual_fmac_f32 v140, v3, v14
	v_fmac_f32_e32 v141, v5, v16
	s_delay_alu instid0(VALU_DEP_3) | instskip(NEXT) | instid1(VALU_DEP_3)
	v_fma_f32 v14, v2, v14, -v15
	v_fma_f32 v15, v4, v16, -v17
	ds_load_b128 v[2:5], v1 offset:704
	s_wait_loadcnt_dscnt 0x201
	v_mul_f32_e32 v16, v10, v19
	v_mul_f32_e32 v17, v11, v19
	;; [unrolled: 1-line block ×3, first 2 shown]
	s_delay_alu instid0(VALU_DEP_3) | instskip(NEXT) | instid1(VALU_DEP_3)
	v_dual_mul_f32 v21, v13, v21 :: v_dual_fmac_f32 v16, v11, v18
	v_fma_f32 v17, v10, v18, -v17
	s_delay_alu instid0(VALU_DEP_3) | instskip(NEXT) | instid1(VALU_DEP_3)
	v_fmac_f32_e32 v19, v13, v20
	v_fma_f32 v18, v12, v20, -v21
	scratch_load_b128 v[10:13], off, off offset:288
	s_wait_loadcnt_dscnt 0x100
	v_mul_f32_e32 v20, v2, v7
	v_mul_f32_e32 v7, v3, v7
	;; [unrolled: 1-line block ×3, first 2 shown]
	s_delay_alu instid0(VALU_DEP_3) | instskip(NEXT) | instid1(VALU_DEP_3)
	v_dual_mul_f32 v9, v5, v9 :: v_dual_fmac_f32 v20, v3, v6
	v_fma_f32 v142, v2, v6, -v7
	s_delay_alu instid0(VALU_DEP_3) | instskip(NEXT) | instid1(VALU_DEP_3)
	v_fmac_f32_e32 v21, v5, v8
	v_fma_f32 v143, v4, v8, -v9
	ds_load_b128 v[2:5], v1 offset:720
	ds_load_b128 v[6:9], v1 offset:736
	s_wait_loadcnt_dscnt 0x1
	v_mul_f32_e32 v149, v2, v11
	v_dual_mul_f32 v11, v3, v11 :: v_dual_mul_f32 v150, v4, v13
	s_delay_alu instid0(VALU_DEP_2) | instskip(NEXT) | instid1(VALU_DEP_2)
	v_fmac_f32_e32 v149, v3, v10
	v_fma_f32 v151, v2, v10, -v11
	v_mul_f32_e32 v2, v5, v13
	s_delay_alu instid0(VALU_DEP_4) | instskip(NEXT) | instid1(VALU_DEP_2)
	v_fmac_f32_e32 v150, v5, v12
	v_fma_f32 v152, v4, v12, -v2
	s_clause 0x1
	scratch_load_b128 v[2:5], off, off offset:304
	scratch_load_b128 v[10:13], off, off offset:320
	s_wait_loadcnt_dscnt 0x100
	v_mul_f32_e32 v153, v6, v3
	v_mul_f32_e32 v3, v7, v3
	;; [unrolled: 1-line block ×3, first 2 shown]
	s_delay_alu instid0(VALU_DEP_3) | instskip(NEXT) | instid1(VALU_DEP_3)
	v_fmac_f32_e32 v153, v7, v2
	v_fma_f32 v154, v6, v2, -v3
	v_mul_f32_e32 v2, v9, v5
	s_delay_alu instid0(VALU_DEP_4) | instskip(NEXT) | instid1(VALU_DEP_2)
	v_fmac_f32_e32 v155, v9, v4
	v_fma_f32 v156, v8, v4, -v2
	ds_load_b128 v[2:5], v1 offset:752
	ds_load_b128 v[6:9], v1 offset:768
	s_wait_loadcnt_dscnt 0x1
	v_mul_f32_e32 v157, v2, v11
	v_mul_f32_e32 v159, v4, v13
	s_delay_alu instid0(VALU_DEP_2) | instskip(SKIP_1) | instid1(VALU_DEP_3)
	v_fmac_f32_e32 v157, v3, v10
	v_mul_f32_e32 v3, v3, v11
	v_fmac_f32_e32 v159, v5, v12
	s_delay_alu instid0(VALU_DEP_2) | instskip(SKIP_1) | instid1(VALU_DEP_1)
	v_fma_f32 v158, v2, v10, -v3
	v_mul_f32_e32 v2, v5, v13
	v_fma_f32 v160, v4, v12, -v2
	s_clause 0x1
	scratch_load_b128 v[2:5], off, off offset:336
	scratch_load_b128 v[10:13], off, off offset:352
	s_wait_loadcnt_dscnt 0x100
	v_mul_f32_e32 v161, v6, v3
	v_mul_f32_e32 v3, v7, v3
	;; [unrolled: 1-line block ×3, first 2 shown]
	s_delay_alu instid0(VALU_DEP_3) | instskip(NEXT) | instid1(VALU_DEP_3)
	v_fmac_f32_e32 v161, v7, v2
	v_fma_f32 v162, v6, v2, -v3
	v_dual_mul_f32 v2, v9, v5 :: v_dual_add_f32 v3, 0, v146
	s_delay_alu instid0(VALU_DEP_1) | instskip(NEXT) | instid1(VALU_DEP_2)
	v_fma_f32 v164, v8, v4, -v2
	v_dual_add_f32 v2, 0, v22 :: v_dual_add_f32 v3, v3, v147
	s_delay_alu instid0(VALU_DEP_1) | instskip(NEXT) | instid1(VALU_DEP_1)
	v_add_f32_e32 v2, v2, v23
	v_add_f32_e32 v2, v2, v28
	s_delay_alu instid0(VALU_DEP_1) | instskip(NEXT) | instid1(VALU_DEP_1)
	v_dual_add_f32 v3, v3, v24 :: v_dual_add_f32 v2, v2, v29
	v_dual_add_f32 v3, v3, v25 :: v_dual_add_f32 v2, v2, v30
	s_delay_alu instid0(VALU_DEP_1) | instskip(NEXT) | instid1(VALU_DEP_1)
	v_dual_add_f32 v3, v3, v26 :: v_dual_add_f32 v2, v2, v31
	v_dual_add_f32 v6, v3, v148 :: v_dual_add_f32 v7, v2, v14
	s_delay_alu instid0(VALU_DEP_1) | instskip(NEXT) | instid1(VALU_DEP_1)
	v_dual_add_f32 v14, v6, v140 :: v_dual_add_f32 v15, v7, v15
	v_add_f32_e32 v14, v14, v141
	s_delay_alu instid0(VALU_DEP_1) | instskip(NEXT) | instid1(VALU_DEP_1)
	v_dual_add_f32 v15, v15, v17 :: v_dual_add_f32 v14, v14, v16
	v_add_f32_e32 v18, v15, v18
	s_delay_alu instid0(VALU_DEP_1) | instskip(NEXT) | instid1(VALU_DEP_1)
	v_add_f32_e32 v18, v18, v142
	v_dual_add_f32 v18, v18, v143 :: v_dual_fmac_f32 v163, v9, v4
	scratch_load_b128 v[6:9], off, off offset:368
	ds_load_b128 v[2:5], v1 offset:784
	v_add_f32_e32 v18, v18, v151
	s_delay_alu instid0(VALU_DEP_1) | instskip(NEXT) | instid1(VALU_DEP_1)
	v_add_f32_e32 v23, v18, v152
	v_add_f32_e32 v23, v23, v154
	s_delay_alu instid0(VALU_DEP_1)
	v_add_f32_e32 v23, v23, v156
	v_add_f32_e32 v19, v14, v19
	ds_load_b128 v[14:17], v1 offset:800
	s_wait_loadcnt_dscnt 0x101
	v_mul_f32_e32 v26, v2, v11
	v_dual_mul_f32 v11, v3, v11 :: v_dual_mul_f32 v28, v4, v13
	s_delay_alu instid0(VALU_DEP_2) | instskip(NEXT) | instid1(VALU_DEP_2)
	v_dual_mul_f32 v13, v5, v13 :: v_dual_fmac_f32 v26, v3, v10
	v_fma_f32 v29, v2, v10, -v11
	s_delay_alu instid0(VALU_DEP_3) | instskip(NEXT) | instid1(VALU_DEP_3)
	v_fmac_f32_e32 v28, v5, v12
	v_fma_f32 v30, v4, v12, -v13
	s_clause 0x1
	scratch_load_b128 v[10:13], off, off offset:400
	scratch_load_b128 v[2:5], off, off offset:384
	s_wait_loadcnt_dscnt 0x200
	v_dual_mul_f32 v31, v14, v7 :: v_dual_mul_f32 v140, v16, v9
	v_mul_f32_e32 v7, v15, v7
	s_delay_alu instid0(VALU_DEP_2) | instskip(SKIP_1) | instid1(VALU_DEP_4)
	v_fmac_f32_e32 v31, v15, v6
	v_add_f32_e32 v19, v19, v20
	v_fmac_f32_e32 v140, v17, v8
	s_delay_alu instid0(VALU_DEP_4) | instskip(NEXT) | instid1(VALU_DEP_3)
	v_fma_f32 v141, v14, v6, -v7
	v_add_f32_e32 v19, v19, v21
	s_delay_alu instid0(VALU_DEP_1) | instskip(SKIP_2) | instid1(VALU_DEP_1)
	v_add_f32_e32 v22, v19, v149
	scratch_load_b128 v[18:21], off, off offset:416
	v_dual_mul_f32 v9, v17, v9 :: v_dual_add_f32 v22, v22, v150
	v_fma_f32 v142, v16, v8, -v9
	ds_load_b128 v[6:9], v1 offset:816
	v_add_f32_e32 v22, v22, v153
	s_delay_alu instid0(VALU_DEP_1) | instskip(NEXT) | instid1(VALU_DEP_1)
	v_add_f32_e32 v14, v22, v155
	v_dual_add_f32 v22, v23, v158 :: v_dual_add_f32 v23, v14, v157
	ds_load_b128 v[14:17], v1 offset:832
	v_dual_add_f32 v143, v22, v160 :: v_dual_add_f32 v146, v23, v159
	ds_load_b128 v[22:25], v1 offset:848
	s_wait_loadcnt_dscnt 0x201
	v_mul_f32_e32 v147, v16, v13
	s_delay_alu instid0(VALU_DEP_1)
	v_fmac_f32_e32 v147, v17, v12
	v_add_f32_e32 v1, v143, v162
	v_add_f32_e32 v143, v146, v161
	s_wait_loadcnt 0x1
	v_mul_f32_e32 v146, v6, v3
	v_mul_f32_e32 v3, v7, v3
	v_add_f32_e32 v1, v1, v164
	v_add_f32_e32 v143, v143, v163
	s_delay_alu instid0(VALU_DEP_4) | instskip(NEXT) | instid1(VALU_DEP_4)
	v_fmac_f32_e32 v146, v7, v2
	v_fma_f32 v3, v6, v2, -v3
	s_delay_alu instid0(VALU_DEP_4) | instskip(NEXT) | instid1(VALU_DEP_4)
	v_dual_mul_f32 v6, v15, v11 :: v_dual_add_f32 v1, v1, v29
	v_dual_add_f32 v26, v143, v26 :: v_dual_mul_f32 v29, v8, v5
	v_mul_f32_e32 v5, v9, v5
	v_mul_f32_e32 v143, v14, v11
	s_delay_alu instid0(VALU_DEP_3) | instskip(NEXT) | instid1(VALU_DEP_4)
	v_dual_add_f32 v1, v1, v30 :: v_dual_add_f32 v26, v26, v28
	v_fmac_f32_e32 v29, v9, v4
	s_delay_alu instid0(VALU_DEP_4) | instskip(NEXT) | instid1(VALU_DEP_4)
	v_fma_f32 v4, v8, v4, -v5
	v_fmac_f32_e32 v143, v15, v10
	s_delay_alu instid0(VALU_DEP_4) | instskip(SKIP_1) | instid1(VALU_DEP_2)
	v_dual_add_f32 v1, v1, v141 :: v_dual_add_f32 v26, v26, v31
	v_fma_f32 v5, v14, v10, -v6
	v_dual_add_f32 v1, v1, v142 :: v_dual_add_f32 v2, v26, v140
	s_delay_alu instid0(VALU_DEP_1) | instskip(SKIP_1) | instid1(VALU_DEP_2)
	v_dual_add_f32 v1, v1, v3 :: v_dual_add_f32 v2, v2, v146
	v_mul_f32_e32 v3, v17, v13
	v_dual_add_f32 v1, v1, v4 :: v_dual_add_f32 v2, v2, v29
	s_delay_alu instid0(VALU_DEP_2) | instskip(NEXT) | instid1(VALU_DEP_2)
	v_fma_f32 v3, v16, v12, -v3
	v_dual_add_f32 v1, v1, v5 :: v_dual_add_f32 v2, v2, v143
	s_delay_alu instid0(VALU_DEP_1) | instskip(NEXT) | instid1(VALU_DEP_2)
	v_add_f32_e32 v1, v1, v3
	v_add_f32_e32 v2, v2, v147
	s_wait_loadcnt_dscnt 0x0
	v_mul_f32_e32 v28, v22, v19
	v_mul_f32_e32 v4, v23, v19
	;; [unrolled: 1-line block ×3, first 2 shown]
	s_delay_alu instid0(VALU_DEP_3) | instskip(NEXT) | instid1(VALU_DEP_3)
	v_dual_mul_f32 v5, v25, v21 :: v_dual_fmac_f32 v28, v23, v18
	v_fma_f32 v4, v22, v18, -v4
	s_delay_alu instid0(VALU_DEP_3) | instskip(NEXT) | instid1(VALU_DEP_3)
	v_fmac_f32_e32 v30, v25, v20
	v_fma_f32 v3, v24, v20, -v5
	s_delay_alu instid0(VALU_DEP_4) | instskip(NEXT) | instid1(VALU_DEP_1)
	v_add_f32_e32 v2, v2, v28
	v_dual_add_f32 v1, v1, v4 :: v_dual_add_f32 v2, v2, v30
	s_delay_alu instid0(VALU_DEP_1) | instskip(NEXT) | instid1(VALU_DEP_1)
	v_add_f32_e32 v1, v1, v3
	v_dual_sub_f32 v2, v145, v2 :: v_dual_sub_f32 v1, v144, v1
	scratch_store_b64 off, v[1:2], off offset:184
	v_cmpx_lt_u32_e32 22, v0
	s_cbranch_execz .LBB117_293
; %bb.292:
	scratch_load_b64 v[1:2], off, off offset:176
	v_mov_b32_e32 v3, 0
	s_delay_alu instid0(VALU_DEP_1)
	v_mov_b32_e32 v4, v3
	scratch_store_b64 off, v[3:4], off offset:176
	s_wait_loadcnt 0x0
	ds_store_b64 v27, v[1:2]
.LBB117_293:
	s_wait_alu 0xfffe
	s_or_b32 exec_lo, exec_lo, s0
	s_wait_storecnt_dscnt 0x0
	s_barrier_signal -1
	s_barrier_wait -1
	global_inv scope:SCOPE_SE
	s_clause 0x4
	scratch_load_b128 v[5:8], off, off offset:184
	scratch_load_b128 v[1:4], off, off offset:200
	;; [unrolled: 1-line block ×5, first 2 shown]
	v_mov_b32_e32 v21, 0
	ds_load_2addr_b64 v[22:25], v21 offset0:77 offset1:78
	ds_load_2addr_b64 v[28:31], v21 offset0:79 offset1:80
	ds_load_2addr_b64 v[140:143], v21 offset0:81 offset1:82
	scratch_load_b64 v[144:145], off, off offset:176
	s_mov_b32 s0, exec_lo
	s_wait_loadcnt_dscnt 0x502
	v_dual_mul_f32 v146, v22, v6 :: v_dual_mul_f32 v147, v24, v8
	v_mul_f32_e32 v26, v23, v6
	v_mul_f32_e32 v6, v25, v8
	s_wait_loadcnt_dscnt 0x300
	v_mul_f32_e32 v148, v142, v12
	v_dual_fmac_f32 v146, v23, v5 :: v_dual_fmac_f32 v147, v25, v7
	v_mul_f32_e32 v25, v30, v4
	v_fma_f32 v22, v22, v5, -v26
	v_mul_f32_e32 v26, v140, v10
	v_mul_f32_e32 v4, v31, v4
	s_delay_alu instid0(VALU_DEP_4)
	v_dual_mul_f32 v10, v141, v10 :: v_dual_fmac_f32 v25, v31, v3
	v_fma_f32 v23, v24, v7, -v6
	ds_load_2addr_b64 v[5:8], v21 offset0:83 offset1:84
	v_mul_f32_e32 v24, v28, v2
	v_mul_f32_e32 v12, v143, v12
	;; [unrolled: 1-line block ×3, first 2 shown]
	v_fmac_f32_e32 v26, v141, v9
	v_fmac_f32_e32 v148, v143, v11
	;; [unrolled: 1-line block ×3, first 2 shown]
	v_fma_f32 v29, v30, v3, -v4
	v_fma_f32 v30, v140, v9, -v10
	;; [unrolled: 1-line block ×3, first 2 shown]
	ds_load_2addr_b64 v[9:12], v21 offset0:85 offset1:86
	s_wait_loadcnt_dscnt 0x201
	v_dual_mul_f32 v141, v7, v16 :: v_dual_mul_f32 v140, v5, v14
	v_mul_f32_e32 v14, v6, v14
	v_mul_f32_e32 v16, v8, v16
	s_delay_alu instid0(VALU_DEP_3)
	v_fmac_f32_e32 v141, v8, v15
	v_fma_f32 v28, v28, v1, -v2
	scratch_load_b128 v[1:4], off, off offset:264
	v_fmac_f32_e32 v140, v6, v13
	v_fma_f32 v13, v5, v13, -v14
	v_fma_f32 v14, v7, v15, -v16
	s_wait_loadcnt_dscnt 0x200
	v_mul_f32_e32 v15, v9, v18
	v_mul_f32_e32 v16, v10, v18
	;; [unrolled: 1-line block ×4, first 2 shown]
	ds_load_2addr_b64 v[5:8], v21 offset0:87 offset1:88
	v_fmac_f32_e32 v15, v10, v17
	v_fma_f32 v16, v9, v17, -v16
	v_fmac_f32_e32 v18, v12, v19
	v_fma_f32 v17, v11, v19, -v20
	scratch_load_b128 v[9:12], off, off offset:280
	s_wait_loadcnt_dscnt 0x100
	v_mul_f32_e32 v19, v5, v2
	v_mul_f32_e32 v2, v6, v2
	;; [unrolled: 1-line block ×3, first 2 shown]
	s_delay_alu instid0(VALU_DEP_3) | instskip(NEXT) | instid1(VALU_DEP_3)
	v_dual_mul_f32 v4, v8, v4 :: v_dual_fmac_f32 v19, v6, v1
	v_fma_f32 v142, v5, v1, -v2
	s_delay_alu instid0(VALU_DEP_3) | instskip(NEXT) | instid1(VALU_DEP_3)
	v_fmac_f32_e32 v20, v8, v3
	v_fma_f32 v143, v7, v3, -v4
	ds_load_2addr_b64 v[1:4], v21 offset0:89 offset1:90
	ds_load_2addr_b64 v[5:8], v21 offset0:91 offset1:92
	s_wait_loadcnt_dscnt 0x1
	v_mul_f32_e32 v149, v1, v10
	v_mul_f32_e32 v10, v2, v10
	s_delay_alu instid0(VALU_DEP_2) | instskip(NEXT) | instid1(VALU_DEP_2)
	v_dual_mul_f32 v150, v3, v12 :: v_dual_fmac_f32 v149, v2, v9
	v_fma_f32 v151, v1, v9, -v10
	v_mul_f32_e32 v1, v4, v12
	s_delay_alu instid0(VALU_DEP_3) | instskip(NEXT) | instid1(VALU_DEP_2)
	v_fmac_f32_e32 v150, v4, v11
	v_fma_f32 v152, v3, v11, -v1
	s_clause 0x1
	scratch_load_b128 v[1:4], off, off offset:296
	scratch_load_b128 v[9:12], off, off offset:312
	s_wait_loadcnt_dscnt 0x100
	v_mul_f32_e32 v153, v5, v2
	v_dual_mul_f32 v2, v6, v2 :: v_dual_mul_f32 v155, v7, v4
	s_delay_alu instid0(VALU_DEP_2) | instskip(NEXT) | instid1(VALU_DEP_2)
	v_fmac_f32_e32 v153, v6, v1
	v_fma_f32 v154, v5, v1, -v2
	v_mul_f32_e32 v1, v8, v4
	s_delay_alu instid0(VALU_DEP_4) | instskip(NEXT) | instid1(VALU_DEP_2)
	v_fmac_f32_e32 v155, v8, v3
	v_fma_f32 v156, v7, v3, -v1
	ds_load_2addr_b64 v[1:4], v21 offset0:93 offset1:94
	ds_load_2addr_b64 v[5:8], v21 offset0:95 offset1:96
	s_wait_loadcnt_dscnt 0x1
	v_mul_f32_e32 v157, v1, v10
	v_mul_f32_e32 v159, v3, v12
	s_delay_alu instid0(VALU_DEP_2) | instskip(NEXT) | instid1(VALU_DEP_2)
	v_fmac_f32_e32 v157, v2, v9
	v_dual_mul_f32 v2, v2, v10 :: v_dual_fmac_f32 v159, v4, v11
	s_delay_alu instid0(VALU_DEP_1) | instskip(SKIP_1) | instid1(VALU_DEP_1)
	v_fma_f32 v158, v1, v9, -v2
	v_mul_f32_e32 v1, v4, v12
	v_fma_f32 v160, v3, v11, -v1
	s_clause 0x1
	scratch_load_b128 v[1:4], off, off offset:328
	scratch_load_b128 v[9:12], off, off offset:344
	s_wait_loadcnt_dscnt 0x100
	v_mul_f32_e32 v161, v5, v2
	v_dual_mul_f32 v2, v6, v2 :: v_dual_mul_f32 v163, v7, v4
	s_delay_alu instid0(VALU_DEP_2) | instskip(NEXT) | instid1(VALU_DEP_2)
	v_fmac_f32_e32 v161, v6, v1
	v_fma_f32 v162, v5, v1, -v2
	v_mul_f32_e32 v1, v8, v4
	s_delay_alu instid0(VALU_DEP_4) | instskip(NEXT) | instid1(VALU_DEP_2)
	v_fmac_f32_e32 v163, v8, v3
	v_fma_f32 v164, v7, v3, -v1
	v_add_f32_e32 v1, 0, v22
	s_delay_alu instid0(VALU_DEP_1) | instskip(NEXT) | instid1(VALU_DEP_1)
	v_add_f32_e32 v1, v1, v23
	v_dual_add_f32 v1, v1, v28 :: v_dual_add_f32 v2, 0, v146
	s_delay_alu instid0(VALU_DEP_1) | instskip(SKIP_2) | instid1(VALU_DEP_1)
	v_dual_add_f32 v1, v1, v29 :: v_dual_add_f32 v2, v2, v147
	scratch_load_b64 v[28:29], off, off offset:424
	v_dual_add_f32 v1, v1, v30 :: v_dual_add_f32 v2, v2, v24
	v_dual_add_f32 v1, v1, v31 :: v_dual_add_f32 v2, v2, v25
	s_delay_alu instid0(VALU_DEP_1) | instskip(NEXT) | instid1(VALU_DEP_2)
	v_add_f32_e32 v6, v1, v13
	v_add_f32_e32 v2, v2, v26
	s_delay_alu instid0(VALU_DEP_1) | instskip(SKIP_2) | instid1(VALU_DEP_1)
	v_add_f32_e32 v5, v2, v148
	scratch_load_b128 v[1:4], off, off offset:360
	v_add_f32_e32 v13, v5, v140
	v_dual_add_f32 v13, v13, v141 :: v_dual_add_f32 v14, v6, v14
	ds_load_2addr_b64 v[5:8], v21 offset0:97 offset1:98
	v_dual_add_f32 v13, v13, v15 :: v_dual_add_f32 v14, v14, v16
	s_delay_alu instid0(VALU_DEP_1) | instskip(SKIP_3) | instid1(VALU_DEP_1)
	v_dual_add_f32 v18, v13, v18 :: v_dual_add_f32 v17, v14, v17
	ds_load_2addr_b64 v[13:16], v21 offset0:99 offset1:100
	v_add_f32_e32 v17, v17, v142
	s_wait_loadcnt_dscnt 0x201
	v_dual_add_f32 v17, v17, v143 :: v_dual_mul_f32 v140, v7, v12
	s_delay_alu instid0(VALU_DEP_1) | instskip(SKIP_1) | instid1(VALU_DEP_2)
	v_dual_mul_f32 v12, v8, v12 :: v_dual_add_f32 v17, v17, v151
	v_add_f32_e32 v18, v18, v19
	v_fma_f32 v142, v7, v11, -v12
	s_delay_alu instid0(VALU_DEP_3) | instskip(NEXT) | instid1(VALU_DEP_1)
	v_dual_add_f32 v23, v17, v152 :: v_dual_fmac_f32 v140, v8, v11
	v_add_f32_e32 v23, v23, v154
	v_mul_f32_e32 v26, v5, v10
	s_delay_alu instid0(VALU_DEP_2) | instskip(NEXT) | instid1(VALU_DEP_2)
	v_dual_mul_f32 v10, v6, v10 :: v_dual_add_f32 v23, v23, v156
	v_fmac_f32_e32 v26, v6, v9
	s_delay_alu instid0(VALU_DEP_2)
	v_fma_f32 v141, v5, v9, -v10
	s_clause 0x1
	scratch_load_b128 v[5:8], off, off offset:376
	scratch_load_b128 v[9:12], off, off offset:392
	v_dual_add_f32 v18, v18, v20 :: v_dual_add_f32 v23, v23, v158
	s_wait_loadcnt_dscnt 0x200
	v_dual_mul_f32 v143, v13, v2 :: v_dual_mul_f32 v146, v15, v4
	s_delay_alu instid0(VALU_DEP_1) | instskip(NEXT) | instid1(VALU_DEP_2)
	v_dual_mul_f32 v4, v16, v4 :: v_dual_fmac_f32 v143, v14, v1
	v_fmac_f32_e32 v146, v16, v3
	s_delay_alu instid0(VALU_DEP_2) | instskip(SKIP_2) | instid1(VALU_DEP_2)
	v_fma_f32 v148, v15, v3, -v4
	v_mul_f32_e32 v2, v14, v2
	v_add_f32_e32 v14, v23, v160
	v_fma_f32 v147, v13, v1, -v2
	ds_load_2addr_b64 v[1:4], v21 offset0:101 offset1:102
	v_add_f32_e32 v22, v18, v149
	scratch_load_b128 v[17:20], off, off offset:408
	v_add_f32_e32 v30, v14, v162
	s_delay_alu instid0(VALU_DEP_1) | instskip(NEXT) | instid1(VALU_DEP_1)
	v_add_f32_e32 v149, v30, v164
	v_add_f32_e32 v141, v149, v141
	s_delay_alu instid0(VALU_DEP_1) | instskip(NEXT) | instid1(VALU_DEP_1)
	v_add_f32_e32 v141, v141, v142
	v_dual_add_f32 v22, v22, v150 :: v_dual_add_f32 v141, v141, v147
	s_delay_alu instid0(VALU_DEP_1) | instskip(NEXT) | instid1(VALU_DEP_1)
	v_dual_add_f32 v22, v22, v153 :: v_dual_add_f32 v141, v141, v148
	v_add_f32_e32 v22, v22, v155
	s_delay_alu instid0(VALU_DEP_1) | instskip(NEXT) | instid1(VALU_DEP_1)
	v_add_f32_e32 v13, v22, v157
	v_add_f32_e32 v22, v13, v159
	ds_load_2addr_b64 v[13:16], v21 offset0:103 offset1:104
	s_wait_loadcnt_dscnt 0x201
	v_mul_f32_e32 v149, v1, v6
	v_mul_f32_e32 v6, v2, v6
	s_delay_alu instid0(VALU_DEP_2)
	v_fmac_f32_e32 v149, v2, v5
	v_add_f32_e32 v31, v22, v161
	ds_load_2addr_b64 v[22:25], v21 offset0:105 offset1:106
	v_fma_f32 v1, v1, v5, -v6
	v_add_f32_e32 v150, v31, v163
	ds_load_b64 v[30:31], v21 offset:856
	v_dual_add_f32 v1, v141, v1 :: v_dual_add_f32 v26, v150, v26
	s_wait_loadcnt_dscnt 0x102
	v_mul_f32_e32 v5, v16, v12
	s_delay_alu instid0(VALU_DEP_2) | instskip(SKIP_2) | instid1(VALU_DEP_4)
	v_add_f32_e32 v26, v26, v140
	v_mul_f32_e32 v140, v3, v8
	v_mul_f32_e32 v8, v4, v8
	v_fma_f32 v5, v15, v11, -v5
	s_delay_alu instid0(VALU_DEP_2) | instskip(SKIP_1) | instid1(VALU_DEP_2)
	v_fma_f32 v2, v3, v7, -v8
	v_mul_f32_e32 v3, v14, v10
	v_dual_add_f32 v1, v1, v2 :: v_dual_add_f32 v26, v26, v143
	s_delay_alu instid0(VALU_DEP_2) | instskip(SKIP_1) | instid1(VALU_DEP_2)
	v_fma_f32 v3, v13, v9, -v3
	v_mul_f32_e32 v143, v15, v12
	v_add_f32_e32 v1, v1, v3
	s_delay_alu instid0(VALU_DEP_2) | instskip(NEXT) | instid1(VALU_DEP_2)
	v_fmac_f32_e32 v143, v16, v11
	v_add_f32_e32 v1, v1, v5
	s_wait_dscnt 0x0
	v_mul_f32_e32 v5, v31, v29
	s_wait_loadcnt 0x0
	v_dual_mul_f32 v3, v25, v20 :: v_dual_add_f32 v26, v26, v146
	v_mul_f32_e32 v147, v22, v18
	v_mul_f32_e32 v142, v13, v10
	;; [unrolled: 1-line block ×3, first 2 shown]
	v_fmac_f32_e32 v140, v4, v7
	v_fma_f32 v3, v24, v19, -v3
	v_add_f32_e32 v4, v26, v149
	v_fmac_f32_e32 v147, v23, v17
	v_fmac_f32_e32 v142, v14, v9
	;; [unrolled: 1-line block ×3, first 2 shown]
	s_delay_alu instid0(VALU_DEP_4) | instskip(SKIP_1) | instid1(VALU_DEP_2)
	v_add_f32_e32 v2, v4, v140
	v_mul_f32_e32 v4, v23, v18
	v_add_f32_e32 v2, v2, v142
	s_delay_alu instid0(VALU_DEP_2) | instskip(SKIP_1) | instid1(VALU_DEP_2)
	v_fma_f32 v4, v22, v17, -v4
	v_mul_f32_e32 v146, v30, v29
	v_dual_add_f32 v2, v2, v143 :: v_dual_add_f32 v1, v1, v4
	s_delay_alu instid0(VALU_DEP_2) | instskip(SKIP_1) | instid1(VALU_DEP_3)
	v_fmac_f32_e32 v146, v31, v28
	v_fma_f32 v4, v30, v28, -v5
	v_add_f32_e32 v2, v2, v147
	s_delay_alu instid0(VALU_DEP_1) | instskip(NEXT) | instid1(VALU_DEP_1)
	v_dual_add_f32 v1, v1, v3 :: v_dual_add_f32 v2, v2, v148
	v_dual_add_f32 v1, v1, v4 :: v_dual_add_f32 v2, v2, v146
	s_delay_alu instid0(VALU_DEP_1)
	v_dual_sub_f32 v1, v144, v1 :: v_dual_sub_f32 v2, v145, v2
	scratch_store_b64 off, v[1:2], off offset:176
	v_cmpx_lt_u32_e32 21, v0
	s_cbranch_execz .LBB117_295
; %bb.294:
	scratch_load_b64 v[1:2], off, off offset:168
	v_mov_b32_e32 v22, v21
	scratch_store_b64 off, v[21:22], off offset:168
	s_wait_loadcnt 0x0
	ds_store_b64 v27, v[1:2]
.LBB117_295:
	s_wait_alu 0xfffe
	s_or_b32 exec_lo, exec_lo, s0
	s_wait_storecnt_dscnt 0x0
	s_barrier_signal -1
	s_barrier_wait -1
	global_inv scope:SCOPE_SE
	s_clause 0x4
	scratch_load_b128 v[5:8], off, off offset:176
	scratch_load_b128 v[1:4], off, off offset:192
	;; [unrolled: 1-line block ×5, first 2 shown]
	ds_load_b128 v[22:25], v21 offset:608
	ds_load_b128 v[28:31], v21 offset:624
	;; [unrolled: 1-line block ×3, first 2 shown]
	scratch_load_b64 v[144:145], off, off offset:168
	s_mov_b32 s0, exec_lo
	s_wait_loadcnt_dscnt 0x502
	v_dual_mul_f32 v26, v23, v6 :: v_dual_mul_f32 v147, v24, v8
	v_mul_f32_e32 v146, v22, v6
	v_mul_f32_e32 v6, v25, v8
	s_wait_loadcnt_dscnt 0x300
	v_mul_f32_e32 v148, v142, v12
	v_fma_f32 v22, v22, v5, -v26
	v_dual_fmac_f32 v147, v25, v7 :: v_dual_fmac_f32 v146, v23, v5
	v_mul_f32_e32 v25, v30, v4
	v_mul_f32_e32 v4, v31, v4
	;; [unrolled: 1-line block ×5, first 2 shown]
	v_fmac_f32_e32 v25, v31, v3
	v_fma_f32 v23, v24, v7, -v6
	ds_load_b128 v[5:8], v21 offset:656
	v_mul_f32_e32 v24, v28, v2
	v_mul_f32_e32 v2, v29, v2
	v_fmac_f32_e32 v26, v141, v9
	v_fmac_f32_e32 v148, v143, v11
	v_fma_f32 v31, v142, v11, -v12
	v_fmac_f32_e32 v24, v29, v1
	v_fma_f32 v29, v30, v3, -v4
	v_fma_f32 v30, v140, v9, -v10
	ds_load_b128 v[9:12], v21 offset:672
	s_wait_loadcnt_dscnt 0x201
	v_dual_mul_f32 v141, v7, v16 :: v_dual_mul_f32 v140, v5, v14
	v_mul_f32_e32 v14, v6, v14
	v_mul_f32_e32 v16, v8, v16
	s_delay_alu instid0(VALU_DEP_3)
	v_fmac_f32_e32 v141, v8, v15
	v_fma_f32 v28, v28, v1, -v2
	scratch_load_b128 v[1:4], off, off offset:256
	v_fmac_f32_e32 v140, v6, v13
	v_fma_f32 v13, v5, v13, -v14
	v_fma_f32 v14, v7, v15, -v16
	s_wait_loadcnt_dscnt 0x200
	v_mul_f32_e32 v15, v9, v18
	v_mul_f32_e32 v16, v10, v18
	;; [unrolled: 1-line block ×4, first 2 shown]
	ds_load_b128 v[5:8], v21 offset:688
	v_fmac_f32_e32 v15, v10, v17
	v_fma_f32 v16, v9, v17, -v16
	v_fmac_f32_e32 v18, v12, v19
	v_fma_f32 v17, v11, v19, -v20
	scratch_load_b128 v[9:12], off, off offset:272
	s_wait_loadcnt_dscnt 0x100
	v_mul_f32_e32 v19, v5, v2
	v_mul_f32_e32 v2, v6, v2
	;; [unrolled: 1-line block ×3, first 2 shown]
	s_delay_alu instid0(VALU_DEP_3) | instskip(NEXT) | instid1(VALU_DEP_3)
	v_dual_mul_f32 v4, v8, v4 :: v_dual_fmac_f32 v19, v6, v1
	v_fma_f32 v142, v5, v1, -v2
	s_delay_alu instid0(VALU_DEP_3) | instskip(NEXT) | instid1(VALU_DEP_3)
	v_fmac_f32_e32 v20, v8, v3
	v_fma_f32 v143, v7, v3, -v4
	ds_load_b128 v[1:4], v21 offset:704
	ds_load_b128 v[5:8], v21 offset:720
	s_wait_loadcnt_dscnt 0x1
	v_mul_f32_e32 v149, v1, v10
	v_mul_f32_e32 v10, v2, v10
	s_delay_alu instid0(VALU_DEP_2) | instskip(NEXT) | instid1(VALU_DEP_2)
	v_dual_mul_f32 v150, v3, v12 :: v_dual_fmac_f32 v149, v2, v9
	v_fma_f32 v151, v1, v9, -v10
	v_mul_f32_e32 v1, v4, v12
	s_delay_alu instid0(VALU_DEP_3) | instskip(NEXT) | instid1(VALU_DEP_2)
	v_fmac_f32_e32 v150, v4, v11
	v_fma_f32 v152, v3, v11, -v1
	s_clause 0x1
	scratch_load_b128 v[1:4], off, off offset:288
	scratch_load_b128 v[9:12], off, off offset:304
	s_wait_loadcnt_dscnt 0x100
	v_mul_f32_e32 v153, v5, v2
	v_dual_mul_f32 v2, v6, v2 :: v_dual_mul_f32 v155, v7, v4
	s_delay_alu instid0(VALU_DEP_2) | instskip(NEXT) | instid1(VALU_DEP_2)
	v_fmac_f32_e32 v153, v6, v1
	v_fma_f32 v154, v5, v1, -v2
	v_mul_f32_e32 v1, v8, v4
	s_delay_alu instid0(VALU_DEP_4) | instskip(NEXT) | instid1(VALU_DEP_2)
	v_fmac_f32_e32 v155, v8, v3
	v_fma_f32 v156, v7, v3, -v1
	ds_load_b128 v[1:4], v21 offset:736
	ds_load_b128 v[5:8], v21 offset:752
	s_wait_loadcnt_dscnt 0x1
	v_mul_f32_e32 v157, v1, v10
	v_mul_f32_e32 v159, v3, v12
	s_delay_alu instid0(VALU_DEP_2) | instskip(NEXT) | instid1(VALU_DEP_2)
	v_fmac_f32_e32 v157, v2, v9
	v_dual_mul_f32 v2, v2, v10 :: v_dual_fmac_f32 v159, v4, v11
	s_delay_alu instid0(VALU_DEP_1) | instskip(SKIP_1) | instid1(VALU_DEP_1)
	v_fma_f32 v158, v1, v9, -v2
	v_mul_f32_e32 v1, v4, v12
	v_fma_f32 v160, v3, v11, -v1
	s_clause 0x1
	scratch_load_b128 v[1:4], off, off offset:320
	scratch_load_b128 v[9:12], off, off offset:336
	s_wait_loadcnt_dscnt 0x100
	v_mul_f32_e32 v161, v5, v2
	v_dual_mul_f32 v2, v6, v2 :: v_dual_mul_f32 v163, v7, v4
	s_delay_alu instid0(VALU_DEP_2) | instskip(NEXT) | instid1(VALU_DEP_2)
	v_fmac_f32_e32 v161, v6, v1
	v_fma_f32 v162, v5, v1, -v2
	v_mul_f32_e32 v1, v8, v4
	s_delay_alu instid0(VALU_DEP_4) | instskip(NEXT) | instid1(VALU_DEP_2)
	v_fmac_f32_e32 v163, v8, v3
	v_fma_f32 v164, v7, v3, -v1
	ds_load_b128 v[1:4], v21 offset:768
	ds_load_b128 v[5:8], v21 offset:784
	s_wait_loadcnt_dscnt 0x1
	v_mul_f32_e32 v165, v1, v10
	v_mul_f32_e32 v167, v3, v12
	s_delay_alu instid0(VALU_DEP_2) | instskip(NEXT) | instid1(VALU_DEP_2)
	v_fmac_f32_e32 v165, v2, v9
	v_dual_mul_f32 v2, v2, v10 :: v_dual_fmac_f32 v167, v4, v11
	s_delay_alu instid0(VALU_DEP_1) | instskip(SKIP_1) | instid1(VALU_DEP_1)
	v_fma_f32 v166, v1, v9, -v2
	v_mul_f32_e32 v1, v4, v12
	v_fma_f32 v168, v3, v11, -v1
	s_clause 0x1
	scratch_load_b128 v[1:4], off, off offset:352
	scratch_load_b128 v[9:12], off, off offset:368
	s_wait_loadcnt_dscnt 0x100
	v_mul_f32_e32 v169, v5, v2
	v_dual_mul_f32 v2, v6, v2 :: v_dual_mul_f32 v171, v7, v4
	s_delay_alu instid0(VALU_DEP_1) | instskip(NEXT) | instid1(VALU_DEP_2)
	v_fma_f32 v170, v5, v1, -v2
	v_dual_fmac_f32 v171, v8, v3 :: v_dual_add_f32 v2, 0, v146
	s_delay_alu instid0(VALU_DEP_1) | instskip(NEXT) | instid1(VALU_DEP_1)
	v_add_f32_e32 v2, v2, v147
	v_add_f32_e32 v2, v2, v24
	s_delay_alu instid0(VALU_DEP_1) | instskip(NEXT) | instid1(VALU_DEP_1)
	v_add_f32_e32 v2, v2, v25
	v_add_f32_e32 v2, v2, v26
	;; [unrolled: 3-line block ×5, first 2 shown]
	v_fmac_f32_e32 v169, v6, v1
	v_mul_f32_e32 v1, v8, v4
	s_delay_alu instid0(VALU_DEP_1) | instskip(SKIP_1) | instid1(VALU_DEP_1)
	v_fma_f32 v172, v7, v3, -v1
	v_add_f32_e32 v1, 0, v22
	v_add_f32_e32 v1, v1, v23
	s_delay_alu instid0(VALU_DEP_1) | instskip(NEXT) | instid1(VALU_DEP_1)
	v_add_f32_e32 v1, v1, v28
	v_add_f32_e32 v1, v1, v29
	s_delay_alu instid0(VALU_DEP_1) | instskip(NEXT) | instid1(VALU_DEP_1)
	;; [unrolled: 3-line block ×3, first 2 shown]
	v_add_f32_e32 v1, v1, v13
	v_add_f32_e32 v1, v1, v14
	;; [unrolled: 1-line block ×3, first 2 shown]
	s_delay_alu instid0(VALU_DEP_1) | instskip(NEXT) | instid1(VALU_DEP_1)
	v_dual_add_f32 v1, v1, v16 :: v_dual_add_f32 v14, v14, v149
	v_add_f32_e32 v6, v1, v17
	ds_load_b128 v[1:4], v21 offset:800
	v_add_f32_e32 v14, v14, v150
	v_add_f32_e32 v6, v6, v142
	s_delay_alu instid0(VALU_DEP_2) | instskip(NEXT) | instid1(VALU_DEP_2)
	v_add_f32_e32 v17, v14, v153
	v_add_f32_e32 v13, v6, v143
	ds_load_b128 v[5:8], v21 offset:816
	s_wait_loadcnt_dscnt 0x1
	v_dual_mul_f32 v26, v3, v12 :: v_dual_mul_f32 v25, v1, v10
	v_mul_f32_e32 v10, v2, v10
	v_mul_f32_e32 v12, v4, v12
	s_delay_alu instid0(VALU_DEP_3) | instskip(NEXT) | instid1(VALU_DEP_3)
	v_dual_fmac_f32 v26, v4, v11 :: v_dual_fmac_f32 v25, v2, v9
	v_fma_f32 v28, v1, v9, -v10
	s_delay_alu instid0(VALU_DEP_3)
	v_fma_f32 v29, v3, v11, -v12
	s_clause 0x1
	scratch_load_b128 v[1:4], off, off offset:384
	scratch_load_b128 v[9:12], off, off offset:400
	s_wait_loadcnt_dscnt 0x100
	v_mul_f32_e32 v140, v5, v2
	v_add_f32_e32 v13, v13, v151
	v_dual_mul_f32 v141, v7, v4 :: v_dual_mul_f32 v2, v6, v2
	v_mul_f32_e32 v4, v8, v4
	s_delay_alu instid0(VALU_DEP_3) | instskip(NEXT) | instid1(VALU_DEP_3)
	v_dual_fmac_f32 v140, v6, v1 :: v_dual_add_f32 v13, v13, v152
	v_fma_f32 v2, v5, v1, -v2
	s_delay_alu instid0(VALU_DEP_2) | instskip(NEXT) | instid1(VALU_DEP_1)
	v_add_f32_e32 v13, v13, v154
	v_add_f32_e32 v18, v13, v156
	scratch_load_b128 v[13:16], off, off offset:416
	v_add_f32_e32 v18, v18, v158
	s_delay_alu instid0(VALU_DEP_1) | instskip(NEXT) | instid1(VALU_DEP_1)
	v_add_f32_e32 v18, v18, v160
	v_dual_add_f32 v22, v18, v162 :: v_dual_add_f32 v17, v17, v155
	s_delay_alu instid0(VALU_DEP_1) | instskip(NEXT) | instid1(VALU_DEP_1)
	v_dual_add_f32 v30, v22, v164 :: v_dual_add_f32 v17, v17, v157
	v_dual_add_f32 v30, v30, v166 :: v_dual_add_f32 v17, v17, v159
	s_delay_alu instid0(VALU_DEP_1) | instskip(SKIP_4) | instid1(VALU_DEP_1)
	v_dual_add_f32 v30, v30, v168 :: v_dual_add_f32 v23, v17, v161
	ds_load_b128 v[17:20], v21 offset:832
	v_dual_add_f32 v30, v30, v170 :: v_dual_add_f32 v31, v23, v163
	ds_load_b128 v[21:24], v21 offset:848
	v_add_f32_e32 v30, v30, v172
	v_add_f32_e32 v28, v30, v28
	s_wait_loadcnt_dscnt 0x101
	s_delay_alu instid0(VALU_DEP_1) | instskip(SKIP_4) | instid1(VALU_DEP_4)
	v_dual_add_f32 v1, v28, v29 :: v_dual_mul_f32 v142, v17, v10
	v_add_f32_e32 v31, v31, v165
	v_fmac_f32_e32 v141, v8, v3
	v_fma_f32 v3, v7, v3, -v4
	v_mul_f32_e32 v4, v20, v12
	v_dual_fmac_f32 v142, v18, v9 :: v_dual_add_f32 v31, v31, v167
	v_dual_mul_f32 v143, v19, v12 :: v_dual_mul_f32 v6, v18, v10
	s_delay_alu instid0(VALU_DEP_3) | instskip(SKIP_1) | instid1(VALU_DEP_4)
	v_fma_f32 v4, v19, v11, -v4
	v_add_f32_e32 v1, v1, v2
	v_add_f32_e32 v31, v31, v169
	s_delay_alu instid0(VALU_DEP_1) | instskip(NEXT) | instid1(VALU_DEP_1)
	v_add_f32_e32 v31, v31, v171
	v_add_f32_e32 v25, v31, v25
	s_delay_alu instid0(VALU_DEP_1) | instskip(NEXT) | instid1(VALU_DEP_1)
	v_add_f32_e32 v5, v25, v26
	v_add_f32_e32 v2, v5, v140
	v_fma_f32 v5, v17, v9, -v6
	s_delay_alu instid0(VALU_DEP_2) | instskip(NEXT) | instid1(VALU_DEP_1)
	v_dual_add_f32 v2, v2, v141 :: v_dual_add_f32 v1, v1, v3
	v_add_f32_e32 v2, v2, v142
	s_wait_loadcnt_dscnt 0x0
	v_mul_f32_e32 v30, v23, v16
	v_dual_mul_f32 v146, v21, v14 :: v_dual_fmac_f32 v143, v20, v11
	s_delay_alu instid0(VALU_DEP_2) | instskip(NEXT) | instid1(VALU_DEP_2)
	v_dual_mul_f32 v3, v22, v14 :: v_dual_fmac_f32 v30, v24, v15
	v_fmac_f32_e32 v146, v22, v13
	s_delay_alu instid0(VALU_DEP_3) | instskip(SKIP_1) | instid1(VALU_DEP_4)
	v_dual_add_f32 v1, v1, v5 :: v_dual_add_f32 v2, v2, v143
	v_mul_f32_e32 v5, v24, v16
	v_fma_f32 v3, v21, v13, -v3
	s_delay_alu instid0(VALU_DEP_3) | instskip(NEXT) | instid1(VALU_DEP_3)
	v_dual_add_f32 v2, v2, v146 :: v_dual_add_f32 v1, v1, v4
	v_fma_f32 v4, v23, v15, -v5
	s_delay_alu instid0(VALU_DEP_2) | instskip(NEXT) | instid1(VALU_DEP_1)
	v_dual_add_f32 v2, v2, v30 :: v_dual_add_f32 v1, v1, v3
	v_sub_f32_e32 v2, v145, v2
	s_delay_alu instid0(VALU_DEP_2) | instskip(NEXT) | instid1(VALU_DEP_1)
	v_add_f32_e32 v1, v1, v4
	v_sub_f32_e32 v1, v144, v1
	scratch_store_b64 off, v[1:2], off offset:168
	v_cmpx_lt_u32_e32 20, v0
	s_cbranch_execz .LBB117_297
; %bb.296:
	scratch_load_b64 v[1:2], off, off offset:160
	v_mov_b32_e32 v3, 0
	s_delay_alu instid0(VALU_DEP_1)
	v_mov_b32_e32 v4, v3
	scratch_store_b64 off, v[3:4], off offset:160
	s_wait_loadcnt 0x0
	ds_store_b64 v27, v[1:2]
.LBB117_297:
	s_wait_alu 0xfffe
	s_or_b32 exec_lo, exec_lo, s0
	s_wait_storecnt_dscnt 0x0
	s_barrier_signal -1
	s_barrier_wait -1
	global_inv scope:SCOPE_SE
	s_clause 0x4
	scratch_load_b128 v[5:8], off, off offset:168
	scratch_load_b128 v[1:4], off, off offset:184
	;; [unrolled: 1-line block ×5, first 2 shown]
	v_mov_b32_e32 v21, 0
	ds_load_2addr_b64 v[22:25], v21 offset0:75 offset1:76
	ds_load_2addr_b64 v[28:31], v21 offset0:77 offset1:78
	;; [unrolled: 1-line block ×3, first 2 shown]
	scratch_load_b64 v[144:145], off, off offset:160
	s_mov_b32 s0, exec_lo
	s_wait_loadcnt_dscnt 0x502
	v_dual_mul_f32 v146, v22, v6 :: v_dual_mul_f32 v147, v24, v8
	v_mul_f32_e32 v26, v23, v6
	v_mul_f32_e32 v6, v25, v8
	s_wait_loadcnt_dscnt 0x300
	v_mul_f32_e32 v148, v142, v12
	v_dual_fmac_f32 v146, v23, v5 :: v_dual_fmac_f32 v147, v25, v7
	v_mul_f32_e32 v25, v30, v4
	v_fma_f32 v22, v22, v5, -v26
	v_mul_f32_e32 v26, v140, v10
	v_mul_f32_e32 v4, v31, v4
	s_delay_alu instid0(VALU_DEP_4)
	v_dual_mul_f32 v10, v141, v10 :: v_dual_fmac_f32 v25, v31, v3
	v_fma_f32 v23, v24, v7, -v6
	ds_load_2addr_b64 v[5:8], v21 offset0:81 offset1:82
	v_mul_f32_e32 v24, v28, v2
	v_mul_f32_e32 v12, v143, v12
	;; [unrolled: 1-line block ×3, first 2 shown]
	v_fmac_f32_e32 v26, v141, v9
	v_fmac_f32_e32 v148, v143, v11
	;; [unrolled: 1-line block ×3, first 2 shown]
	v_fma_f32 v29, v30, v3, -v4
	v_fma_f32 v30, v140, v9, -v10
	;; [unrolled: 1-line block ×3, first 2 shown]
	ds_load_2addr_b64 v[9:12], v21 offset0:83 offset1:84
	s_wait_loadcnt_dscnt 0x201
	v_dual_mul_f32 v141, v7, v16 :: v_dual_mul_f32 v140, v5, v14
	v_mul_f32_e32 v14, v6, v14
	v_mul_f32_e32 v16, v8, v16
	s_delay_alu instid0(VALU_DEP_3)
	v_fmac_f32_e32 v141, v8, v15
	v_fma_f32 v28, v28, v1, -v2
	scratch_load_b128 v[1:4], off, off offset:248
	v_fmac_f32_e32 v140, v6, v13
	v_fma_f32 v13, v5, v13, -v14
	v_fma_f32 v14, v7, v15, -v16
	s_wait_loadcnt_dscnt 0x200
	v_mul_f32_e32 v15, v9, v18
	v_mul_f32_e32 v16, v10, v18
	;; [unrolled: 1-line block ×4, first 2 shown]
	ds_load_2addr_b64 v[5:8], v21 offset0:85 offset1:86
	v_fmac_f32_e32 v15, v10, v17
	v_fma_f32 v16, v9, v17, -v16
	v_fmac_f32_e32 v18, v12, v19
	v_fma_f32 v17, v11, v19, -v20
	scratch_load_b128 v[9:12], off, off offset:264
	s_wait_loadcnt_dscnt 0x100
	v_mul_f32_e32 v19, v5, v2
	v_mul_f32_e32 v2, v6, v2
	;; [unrolled: 1-line block ×3, first 2 shown]
	s_delay_alu instid0(VALU_DEP_3) | instskip(NEXT) | instid1(VALU_DEP_3)
	v_dual_mul_f32 v4, v8, v4 :: v_dual_fmac_f32 v19, v6, v1
	v_fma_f32 v142, v5, v1, -v2
	s_delay_alu instid0(VALU_DEP_3) | instskip(NEXT) | instid1(VALU_DEP_3)
	v_fmac_f32_e32 v20, v8, v3
	v_fma_f32 v143, v7, v3, -v4
	ds_load_2addr_b64 v[1:4], v21 offset0:87 offset1:88
	ds_load_2addr_b64 v[5:8], v21 offset0:89 offset1:90
	s_wait_loadcnt_dscnt 0x1
	v_mul_f32_e32 v149, v1, v10
	v_mul_f32_e32 v10, v2, v10
	s_delay_alu instid0(VALU_DEP_2) | instskip(NEXT) | instid1(VALU_DEP_2)
	v_dual_mul_f32 v150, v3, v12 :: v_dual_fmac_f32 v149, v2, v9
	v_fma_f32 v151, v1, v9, -v10
	v_mul_f32_e32 v1, v4, v12
	s_delay_alu instid0(VALU_DEP_3) | instskip(NEXT) | instid1(VALU_DEP_2)
	v_fmac_f32_e32 v150, v4, v11
	v_fma_f32 v152, v3, v11, -v1
	s_clause 0x1
	scratch_load_b128 v[1:4], off, off offset:280
	scratch_load_b128 v[9:12], off, off offset:296
	s_wait_loadcnt_dscnt 0x100
	v_mul_f32_e32 v153, v5, v2
	v_dual_mul_f32 v2, v6, v2 :: v_dual_mul_f32 v155, v7, v4
	s_delay_alu instid0(VALU_DEP_2) | instskip(NEXT) | instid1(VALU_DEP_2)
	v_fmac_f32_e32 v153, v6, v1
	v_fma_f32 v154, v5, v1, -v2
	v_mul_f32_e32 v1, v8, v4
	s_delay_alu instid0(VALU_DEP_4) | instskip(NEXT) | instid1(VALU_DEP_2)
	v_fmac_f32_e32 v155, v8, v3
	v_fma_f32 v156, v7, v3, -v1
	ds_load_2addr_b64 v[1:4], v21 offset0:91 offset1:92
	ds_load_2addr_b64 v[5:8], v21 offset0:93 offset1:94
	s_wait_loadcnt_dscnt 0x1
	v_mul_f32_e32 v157, v1, v10
	v_mul_f32_e32 v159, v3, v12
	s_delay_alu instid0(VALU_DEP_2) | instskip(NEXT) | instid1(VALU_DEP_2)
	v_fmac_f32_e32 v157, v2, v9
	v_dual_mul_f32 v2, v2, v10 :: v_dual_fmac_f32 v159, v4, v11
	s_delay_alu instid0(VALU_DEP_1) | instskip(SKIP_1) | instid1(VALU_DEP_1)
	v_fma_f32 v158, v1, v9, -v2
	v_mul_f32_e32 v1, v4, v12
	v_fma_f32 v160, v3, v11, -v1
	s_clause 0x1
	scratch_load_b128 v[1:4], off, off offset:312
	scratch_load_b128 v[9:12], off, off offset:328
	s_wait_loadcnt_dscnt 0x100
	v_mul_f32_e32 v161, v5, v2
	v_dual_mul_f32 v2, v6, v2 :: v_dual_mul_f32 v163, v7, v4
	s_delay_alu instid0(VALU_DEP_2) | instskip(NEXT) | instid1(VALU_DEP_2)
	v_fmac_f32_e32 v161, v6, v1
	v_fma_f32 v162, v5, v1, -v2
	v_mul_f32_e32 v1, v8, v4
	s_delay_alu instid0(VALU_DEP_4) | instskip(NEXT) | instid1(VALU_DEP_2)
	v_fmac_f32_e32 v163, v8, v3
	v_fma_f32 v164, v7, v3, -v1
	ds_load_2addr_b64 v[1:4], v21 offset0:95 offset1:96
	ds_load_2addr_b64 v[5:8], v21 offset0:97 offset1:98
	s_wait_loadcnt_dscnt 0x1
	v_mul_f32_e32 v165, v1, v10
	v_mul_f32_e32 v167, v3, v12
	s_delay_alu instid0(VALU_DEP_2) | instskip(NEXT) | instid1(VALU_DEP_2)
	v_fmac_f32_e32 v165, v2, v9
	v_dual_mul_f32 v2, v2, v10 :: v_dual_fmac_f32 v167, v4, v11
	s_delay_alu instid0(VALU_DEP_1) | instskip(SKIP_1) | instid1(VALU_DEP_1)
	v_fma_f32 v166, v1, v9, -v2
	v_mul_f32_e32 v1, v4, v12
	v_fma_f32 v168, v3, v11, -v1
	s_clause 0x1
	scratch_load_b128 v[1:4], off, off offset:344
	scratch_load_b128 v[9:12], off, off offset:360
	s_wait_loadcnt_dscnt 0x100
	v_mul_f32_e32 v169, v5, v2
	v_dual_mul_f32 v2, v6, v2 :: v_dual_mul_f32 v171, v7, v4
	s_delay_alu instid0(VALU_DEP_1) | instskip(SKIP_1) | instid1(VALU_DEP_1)
	v_fma_f32 v170, v5, v1, -v2
	v_add_f32_e32 v2, 0, v146
	v_add_f32_e32 v2, v2, v147
	s_delay_alu instid0(VALU_DEP_1) | instskip(NEXT) | instid1(VALU_DEP_1)
	v_dual_fmac_f32 v171, v8, v3 :: v_dual_add_f32 v2, v2, v24
	v_add_f32_e32 v2, v2, v25
	s_delay_alu instid0(VALU_DEP_1) | instskip(NEXT) | instid1(VALU_DEP_1)
	v_add_f32_e32 v2, v2, v26
	v_add_f32_e32 v2, v2, v148
	s_delay_alu instid0(VALU_DEP_1) | instskip(NEXT) | instid1(VALU_DEP_1)
	v_add_f32_e32 v2, v2, v140
	;; [unrolled: 3-line block ×3, first 2 shown]
	v_add_f32_e32 v5, v5, v18
	s_delay_alu instid0(VALU_DEP_1) | instskip(SKIP_2) | instid1(VALU_DEP_1)
	v_add_f32_e32 v5, v5, v19
	v_fmac_f32_e32 v169, v6, v1
	v_mul_f32_e32 v1, v8, v4
	v_fma_f32 v172, v7, v3, -v1
	v_add_f32_e32 v1, 0, v22
	s_delay_alu instid0(VALU_DEP_1) | instskip(NEXT) | instid1(VALU_DEP_1)
	v_add_f32_e32 v1, v1, v23
	v_add_f32_e32 v1, v1, v28
	s_delay_alu instid0(VALU_DEP_1) | instskip(SKIP_2) | instid1(VALU_DEP_1)
	v_add_f32_e32 v1, v1, v29
	scratch_load_b64 v[28:29], off, off offset:424
	v_add_f32_e32 v1, v1, v30
	v_add_f32_e32 v1, v1, v31
	s_delay_alu instid0(VALU_DEP_1) | instskip(NEXT) | instid1(VALU_DEP_1)
	v_add_f32_e32 v1, v1, v13
	v_add_f32_e32 v1, v1, v14
	;; [unrolled: 1-line block ×3, first 2 shown]
	s_delay_alu instid0(VALU_DEP_1) | instskip(NEXT) | instid1(VALU_DEP_1)
	v_dual_add_f32 v1, v1, v16 :: v_dual_add_f32 v14, v14, v149
	v_add_f32_e32 v6, v1, v17
	ds_load_2addr_b64 v[1:4], v21 offset0:99 offset1:100
	v_add_f32_e32 v14, v14, v150
	v_add_f32_e32 v6, v6, v142
	s_delay_alu instid0(VALU_DEP_1)
	v_add_f32_e32 v13, v6, v143
	ds_load_2addr_b64 v[5:8], v21 offset0:101 offset1:102
	s_wait_loadcnt_dscnt 0x101
	v_mul_f32_e32 v26, v1, v10
	v_dual_add_f32 v13, v13, v151 :: v_dual_mul_f32 v10, v2, v10
	v_mul_f32_e32 v140, v3, v12
	v_mul_f32_e32 v12, v4, v12
	s_delay_alu instid0(VALU_DEP_3) | instskip(NEXT) | instid1(VALU_DEP_4)
	v_dual_fmac_f32 v26, v2, v9 :: v_dual_add_f32 v13, v13, v152
	v_fma_f32 v141, v1, v9, -v10
	s_delay_alu instid0(VALU_DEP_4) | instskip(NEXT) | instid1(VALU_DEP_4)
	v_fmac_f32_e32 v140, v4, v11
	v_fma_f32 v142, v3, v11, -v12
	s_clause 0x1
	scratch_load_b128 v[1:4], off, off offset:376
	scratch_load_b128 v[9:12], off, off offset:392
	v_add_f32_e32 v13, v13, v154
	s_delay_alu instid0(VALU_DEP_1) | instskip(SKIP_2) | instid1(VALU_DEP_1)
	v_dual_add_f32 v17, v14, v153 :: v_dual_add_f32 v18, v13, v156
	scratch_load_b128 v[13:16], off, off offset:408
	v_add_f32_e32 v18, v18, v158
	v_dual_add_f32 v18, v18, v160 :: v_dual_add_f32 v17, v17, v155
	s_delay_alu instid0(VALU_DEP_1) | instskip(NEXT) | instid1(VALU_DEP_1)
	v_dual_add_f32 v18, v18, v162 :: v_dual_add_f32 v17, v17, v157
	v_dual_add_f32 v18, v18, v164 :: v_dual_add_f32 v17, v17, v159
	s_delay_alu instid0(VALU_DEP_1) | instskip(NEXT) | instid1(VALU_DEP_1)
	v_dual_add_f32 v30, v18, v166 :: v_dual_add_f32 v17, v17, v161
	v_dual_add_f32 v143, v30, v168 :: v_dual_add_f32 v22, v17, v163
	ds_load_2addr_b64 v[17:20], v21 offset0:103 offset1:104
	v_add_f32_e32 v31, v22, v165
	ds_load_2addr_b64 v[22:25], v21 offset0:105 offset1:106
	s_wait_loadcnt_dscnt 0x202
	v_mul_f32_e32 v148, v7, v4
	v_add_f32_e32 v146, v31, v167
	v_add_f32_e32 v143, v143, v170
	ds_load_b64 v[30:31], v21 offset:856
	v_fmac_f32_e32 v148, v8, v3
	v_dual_add_f32 v146, v146, v169 :: v_dual_mul_f32 v147, v5, v2
	v_dual_add_f32 v143, v143, v172 :: v_dual_mul_f32 v2, v6, v2
	v_mul_f32_e32 v4, v8, v4
	s_delay_alu instid0(VALU_DEP_3) | instskip(NEXT) | instid1(VALU_DEP_4)
	v_add_f32_e32 v146, v146, v171
	v_fmac_f32_e32 v147, v6, v1
	s_delay_alu instid0(VALU_DEP_4)
	v_add_f32_e32 v141, v143, v141
	v_fma_f32 v2, v5, v1, -v2
	s_wait_loadcnt_dscnt 0x102
	v_dual_mul_f32 v5, v20, v12 :: v_dual_add_f32 v26, v146, v26
	v_dual_mul_f32 v143, v17, v10 :: v_dual_mul_f32 v146, v19, v12
	v_add_f32_e32 v141, v141, v142
	v_fma_f32 v1, v7, v3, -v4
	s_delay_alu instid0(VALU_DEP_4) | instskip(NEXT) | instid1(VALU_DEP_4)
	v_add_f32_e32 v26, v26, v140
	v_fmac_f32_e32 v143, v18, v9
	v_fma_f32 v5, v19, v11, -v5
	v_add_f32_e32 v2, v141, v2
	s_wait_loadcnt_dscnt 0x1
	v_dual_mul_f32 v149, v22, v14 :: v_dual_mul_f32 v142, v24, v16
	v_add_f32_e32 v4, v26, v147
	v_mul_f32_e32 v3, v18, v10
	v_dual_add_f32 v1, v2, v1 :: v_dual_fmac_f32 v146, v20, v11
	s_delay_alu instid0(VALU_DEP_3) | instskip(NEXT) | instid1(VALU_DEP_3)
	v_dual_fmac_f32 v149, v23, v13 :: v_dual_add_f32 v2, v4, v148
	v_fma_f32 v3, v17, v9, -v3
	v_mul_f32_e32 v4, v23, v14
	s_wait_dscnt 0x0
	s_delay_alu instid0(VALU_DEP_2) | instskip(SKIP_1) | instid1(VALU_DEP_3)
	v_dual_mul_f32 v140, v30, v29 :: v_dual_add_f32 v1, v1, v3
	v_dual_add_f32 v2, v2, v143 :: v_dual_mul_f32 v3, v25, v16
	v_fma_f32 v4, v22, v13, -v4
	s_delay_alu instid0(VALU_DEP_2) | instskip(SKIP_1) | instid1(VALU_DEP_4)
	v_dual_add_f32 v1, v1, v5 :: v_dual_add_f32 v2, v2, v146
	v_mul_f32_e32 v5, v31, v29
	v_fma_f32 v3, v24, v15, -v3
	s_delay_alu instid0(VALU_DEP_3) | instskip(SKIP_1) | instid1(VALU_DEP_4)
	v_dual_add_f32 v1, v1, v4 :: v_dual_add_f32 v2, v2, v149
	v_fmac_f32_e32 v140, v31, v28
	v_fma_f32 v4, v30, v28, -v5
	s_delay_alu instid0(VALU_DEP_3) | instskip(NEXT) | instid1(VALU_DEP_1)
	v_add_f32_e32 v1, v1, v3
	v_add_f32_e32 v1, v1, v4
	s_delay_alu instid0(VALU_DEP_1) | instskip(NEXT) | instid1(VALU_DEP_1)
	v_dual_fmac_f32 v142, v25, v15 :: v_dual_sub_f32 v1, v144, v1
	v_add_f32_e32 v2, v2, v142
	s_delay_alu instid0(VALU_DEP_1) | instskip(NEXT) | instid1(VALU_DEP_1)
	v_add_f32_e32 v2, v2, v140
	v_sub_f32_e32 v2, v145, v2
	scratch_store_b64 off, v[1:2], off offset:160
	v_cmpx_lt_u32_e32 19, v0
	s_cbranch_execz .LBB117_299
; %bb.298:
	scratch_load_b64 v[1:2], off, off offset:152
	v_mov_b32_e32 v22, v21
	scratch_store_b64 off, v[21:22], off offset:152
	s_wait_loadcnt 0x0
	ds_store_b64 v27, v[1:2]
.LBB117_299:
	s_wait_alu 0xfffe
	s_or_b32 exec_lo, exec_lo, s0
	s_wait_storecnt_dscnt 0x0
	s_barrier_signal -1
	s_barrier_wait -1
	global_inv scope:SCOPE_SE
	s_clause 0x4
	scratch_load_b128 v[5:8], off, off offset:160
	scratch_load_b128 v[1:4], off, off offset:176
	;; [unrolled: 1-line block ×5, first 2 shown]
	ds_load_b128 v[22:25], v21 offset:592
	ds_load_b128 v[28:31], v21 offset:608
	;; [unrolled: 1-line block ×3, first 2 shown]
	scratch_load_b64 v[144:145], off, off offset:152
	s_mov_b32 s0, exec_lo
	s_wait_loadcnt_dscnt 0x502
	v_dual_mul_f32 v26, v23, v6 :: v_dual_mul_f32 v147, v24, v8
	v_mul_f32_e32 v146, v22, v6
	v_mul_f32_e32 v6, v25, v8
	s_wait_loadcnt_dscnt 0x300
	v_mul_f32_e32 v148, v142, v12
	v_fma_f32 v22, v22, v5, -v26
	v_dual_fmac_f32 v147, v25, v7 :: v_dual_fmac_f32 v146, v23, v5
	v_mul_f32_e32 v25, v30, v4
	v_mul_f32_e32 v4, v31, v4
	;; [unrolled: 1-line block ×5, first 2 shown]
	v_fmac_f32_e32 v25, v31, v3
	v_fma_f32 v23, v24, v7, -v6
	ds_load_b128 v[5:8], v21 offset:640
	v_mul_f32_e32 v24, v28, v2
	v_mul_f32_e32 v2, v29, v2
	v_fmac_f32_e32 v26, v141, v9
	v_fmac_f32_e32 v148, v143, v11
	v_fma_f32 v31, v142, v11, -v12
	v_fmac_f32_e32 v24, v29, v1
	v_fma_f32 v29, v30, v3, -v4
	v_fma_f32 v30, v140, v9, -v10
	ds_load_b128 v[9:12], v21 offset:656
	s_wait_loadcnt_dscnt 0x201
	v_dual_mul_f32 v141, v7, v16 :: v_dual_mul_f32 v140, v5, v14
	v_mul_f32_e32 v14, v6, v14
	v_mul_f32_e32 v16, v8, v16
	s_delay_alu instid0(VALU_DEP_3)
	v_fmac_f32_e32 v141, v8, v15
	v_fma_f32 v28, v28, v1, -v2
	scratch_load_b128 v[1:4], off, off offset:240
	v_fmac_f32_e32 v140, v6, v13
	v_fma_f32 v13, v5, v13, -v14
	v_fma_f32 v14, v7, v15, -v16
	s_wait_loadcnt_dscnt 0x200
	v_mul_f32_e32 v15, v9, v18
	v_mul_f32_e32 v16, v10, v18
	;; [unrolled: 1-line block ×4, first 2 shown]
	ds_load_b128 v[5:8], v21 offset:672
	v_fmac_f32_e32 v15, v10, v17
	v_fma_f32 v16, v9, v17, -v16
	v_fmac_f32_e32 v18, v12, v19
	v_fma_f32 v17, v11, v19, -v20
	scratch_load_b128 v[9:12], off, off offset:256
	s_wait_loadcnt_dscnt 0x100
	v_mul_f32_e32 v19, v5, v2
	v_mul_f32_e32 v2, v6, v2
	;; [unrolled: 1-line block ×3, first 2 shown]
	s_delay_alu instid0(VALU_DEP_3) | instskip(NEXT) | instid1(VALU_DEP_3)
	v_dual_mul_f32 v4, v8, v4 :: v_dual_fmac_f32 v19, v6, v1
	v_fma_f32 v142, v5, v1, -v2
	s_delay_alu instid0(VALU_DEP_3) | instskip(NEXT) | instid1(VALU_DEP_3)
	v_fmac_f32_e32 v20, v8, v3
	v_fma_f32 v143, v7, v3, -v4
	ds_load_b128 v[1:4], v21 offset:688
	ds_load_b128 v[5:8], v21 offset:704
	s_wait_loadcnt_dscnt 0x1
	v_mul_f32_e32 v149, v1, v10
	v_mul_f32_e32 v10, v2, v10
	s_delay_alu instid0(VALU_DEP_2) | instskip(NEXT) | instid1(VALU_DEP_2)
	v_dual_mul_f32 v150, v3, v12 :: v_dual_fmac_f32 v149, v2, v9
	v_fma_f32 v151, v1, v9, -v10
	v_mul_f32_e32 v1, v4, v12
	s_delay_alu instid0(VALU_DEP_3) | instskip(NEXT) | instid1(VALU_DEP_2)
	v_fmac_f32_e32 v150, v4, v11
	v_fma_f32 v152, v3, v11, -v1
	s_clause 0x1
	scratch_load_b128 v[1:4], off, off offset:272
	scratch_load_b128 v[9:12], off, off offset:288
	s_wait_loadcnt_dscnt 0x100
	v_mul_f32_e32 v153, v5, v2
	v_dual_mul_f32 v2, v6, v2 :: v_dual_mul_f32 v155, v7, v4
	s_delay_alu instid0(VALU_DEP_2) | instskip(NEXT) | instid1(VALU_DEP_2)
	v_fmac_f32_e32 v153, v6, v1
	v_fma_f32 v154, v5, v1, -v2
	v_mul_f32_e32 v1, v8, v4
	s_delay_alu instid0(VALU_DEP_4) | instskip(NEXT) | instid1(VALU_DEP_2)
	v_fmac_f32_e32 v155, v8, v3
	v_fma_f32 v156, v7, v3, -v1
	ds_load_b128 v[1:4], v21 offset:720
	ds_load_b128 v[5:8], v21 offset:736
	s_wait_loadcnt_dscnt 0x1
	v_mul_f32_e32 v157, v1, v10
	v_mul_f32_e32 v159, v3, v12
	s_delay_alu instid0(VALU_DEP_2) | instskip(NEXT) | instid1(VALU_DEP_2)
	v_fmac_f32_e32 v157, v2, v9
	v_dual_mul_f32 v2, v2, v10 :: v_dual_fmac_f32 v159, v4, v11
	s_delay_alu instid0(VALU_DEP_1) | instskip(SKIP_1) | instid1(VALU_DEP_1)
	v_fma_f32 v158, v1, v9, -v2
	v_mul_f32_e32 v1, v4, v12
	v_fma_f32 v160, v3, v11, -v1
	s_clause 0x1
	scratch_load_b128 v[1:4], off, off offset:304
	scratch_load_b128 v[9:12], off, off offset:320
	s_wait_loadcnt_dscnt 0x100
	v_mul_f32_e32 v161, v5, v2
	v_dual_mul_f32 v2, v6, v2 :: v_dual_mul_f32 v163, v7, v4
	s_delay_alu instid0(VALU_DEP_2) | instskip(NEXT) | instid1(VALU_DEP_2)
	v_fmac_f32_e32 v161, v6, v1
	v_fma_f32 v162, v5, v1, -v2
	v_mul_f32_e32 v1, v8, v4
	s_delay_alu instid0(VALU_DEP_4) | instskip(NEXT) | instid1(VALU_DEP_2)
	v_fmac_f32_e32 v163, v8, v3
	v_fma_f32 v164, v7, v3, -v1
	ds_load_b128 v[1:4], v21 offset:752
	ds_load_b128 v[5:8], v21 offset:768
	s_wait_loadcnt_dscnt 0x1
	v_mul_f32_e32 v165, v1, v10
	v_mul_f32_e32 v167, v3, v12
	s_delay_alu instid0(VALU_DEP_2) | instskip(NEXT) | instid1(VALU_DEP_2)
	v_fmac_f32_e32 v165, v2, v9
	v_dual_mul_f32 v2, v2, v10 :: v_dual_fmac_f32 v167, v4, v11
	s_delay_alu instid0(VALU_DEP_1) | instskip(SKIP_1) | instid1(VALU_DEP_1)
	v_fma_f32 v166, v1, v9, -v2
	v_mul_f32_e32 v1, v4, v12
	v_fma_f32 v168, v3, v11, -v1
	s_clause 0x1
	scratch_load_b128 v[1:4], off, off offset:336
	scratch_load_b128 v[9:12], off, off offset:352
	s_wait_loadcnt_dscnt 0x100
	v_mul_f32_e32 v169, v5, v2
	v_dual_mul_f32 v2, v6, v2 :: v_dual_mul_f32 v171, v7, v4
	s_delay_alu instid0(VALU_DEP_1) | instskip(NEXT) | instid1(VALU_DEP_2)
	v_fma_f32 v170, v5, v1, -v2
	v_dual_fmac_f32 v171, v8, v3 :: v_dual_add_f32 v2, 0, v146
	s_delay_alu instid0(VALU_DEP_1) | instskip(SKIP_1) | instid1(VALU_DEP_2)
	v_add_f32_e32 v2, v2, v147
	v_fmac_f32_e32 v169, v6, v1
	v_add_f32_e32 v2, v2, v24
	s_delay_alu instid0(VALU_DEP_1) | instskip(NEXT) | instid1(VALU_DEP_1)
	v_dual_mul_f32 v1, v8, v4 :: v_dual_add_f32 v2, v2, v25
	v_fma_f32 v172, v7, v3, -v1
	s_delay_alu instid0(VALU_DEP_2) | instskip(NEXT) | instid1(VALU_DEP_1)
	v_add_f32_e32 v2, v2, v26
	v_dual_add_f32 v1, 0, v22 :: v_dual_add_f32 v2, v2, v148
	s_delay_alu instid0(VALU_DEP_1) | instskip(NEXT) | instid1(VALU_DEP_1)
	v_dual_add_f32 v1, v1, v23 :: v_dual_add_f32 v2, v2, v140
	v_dual_add_f32 v1, v1, v28 :: v_dual_add_f32 v2, v2, v141
	s_delay_alu instid0(VALU_DEP_1) | instskip(NEXT) | instid1(VALU_DEP_1)
	v_dual_add_f32 v1, v1, v29 :: v_dual_add_f32 v2, v2, v15
	v_add_f32_e32 v1, v1, v30
	s_delay_alu instid0(VALU_DEP_2) | instskip(NEXT) | instid1(VALU_DEP_2)
	v_add_f32_e32 v5, v2, v18
	v_add_f32_e32 v1, v1, v31
	s_delay_alu instid0(VALU_DEP_1) | instskip(NEXT) | instid1(VALU_DEP_3)
	v_add_f32_e32 v1, v1, v13
	v_add_f32_e32 v13, v5, v19
	s_delay_alu instid0(VALU_DEP_2) | instskip(NEXT) | instid1(VALU_DEP_1)
	v_add_f32_e32 v1, v1, v14
	v_add_f32_e32 v1, v1, v16
	s_delay_alu instid0(VALU_DEP_1) | instskip(NEXT) | instid1(VALU_DEP_1)
	v_add_f32_e32 v1, v1, v17
	v_add_f32_e32 v6, v1, v142
	ds_load_b128 v[1:4], v21 offset:784
	v_dual_add_f32 v13, v13, v20 :: v_dual_add_f32 v14, v6, v143
	scratch_load_b128 v[5:8], off, off offset:368
	v_dual_add_f32 v13, v13, v149 :: v_dual_add_f32 v14, v14, v151
	s_delay_alu instid0(VALU_DEP_1) | instskip(SKIP_4) | instid1(VALU_DEP_2)
	v_dual_add_f32 v18, v13, v150 :: v_dual_add_f32 v17, v14, v152
	ds_load_b128 v[13:16], v21 offset:800
	v_add_f32_e32 v18, v18, v153
	s_wait_loadcnt_dscnt 0x101
	v_mul_f32_e32 v26, v3, v12
	v_dual_add_f32 v18, v18, v155 :: v_dual_add_f32 v17, v17, v154
	v_mul_f32_e32 v12, v4, v12
	s_delay_alu instid0(VALU_DEP_3) | instskip(NEXT) | instid1(VALU_DEP_3)
	v_fmac_f32_e32 v26, v4, v11
	v_dual_add_f32 v22, v18, v157 :: v_dual_mul_f32 v25, v1, v10
	v_mul_f32_e32 v10, v2, v10
	s_delay_alu instid0(VALU_DEP_4) | instskip(NEXT) | instid1(VALU_DEP_3)
	v_fma_f32 v29, v3, v11, -v12
	v_add_f32_e32 v22, v22, v159
	s_delay_alu instid0(VALU_DEP_4) | instskip(NEXT) | instid1(VALU_DEP_4)
	v_fmac_f32_e32 v25, v2, v9
	v_fma_f32 v28, v1, v9, -v10
	scratch_load_b128 v[1:4], off, off offset:384
	v_add_f32_e32 v17, v17, v156
	scratch_load_b128 v[9:12], off, off offset:400
	v_add_f32_e32 v22, v22, v161
	s_wait_loadcnt_dscnt 0x200
	v_mul_f32_e32 v30, v13, v6
	v_mul_f32_e32 v6, v14, v6
	v_add_f32_e32 v17, v17, v158
	v_mul_f32_e32 v31, v15, v8
	v_mul_f32_e32 v8, v16, v8
	v_fmac_f32_e32 v30, v14, v5
	v_fma_f32 v140, v13, v5, -v6
	v_add_f32_e32 v23, v17, v160
	scratch_load_b128 v[17:20], off, off offset:416
	v_fma_f32 v141, v15, v7, -v8
	v_add_f32_e32 v23, v23, v162
	s_delay_alu instid0(VALU_DEP_1) | instskip(NEXT) | instid1(VALU_DEP_1)
	v_add_f32_e32 v23, v23, v164
	v_dual_add_f32 v13, v22, v163 :: v_dual_add_f32 v22, v23, v166
	s_delay_alu instid0(VALU_DEP_1) | instskip(NEXT) | instid1(VALU_DEP_1)
	v_dual_add_f32 v23, v13, v165 :: v_dual_add_f32 v142, v22, v168
	v_dual_add_f32 v142, v142, v170 :: v_dual_fmac_f32 v31, v16, v7
	ds_load_b128 v[5:8], v21 offset:816
	ds_load_b128 v[13:16], v21 offset:832
	v_dual_add_f32 v142, v142, v172 :: v_dual_add_f32 v143, v23, v167
	ds_load_b128 v[21:24], v21 offset:848
	v_dual_add_f32 v28, v142, v28 :: v_dual_add_f32 v143, v143, v169
	s_delay_alu instid0(VALU_DEP_1) | instskip(SKIP_1) | instid1(VALU_DEP_1)
	v_dual_add_f32 v28, v28, v29 :: v_dual_add_f32 v143, v143, v171
	s_wait_loadcnt_dscnt 0x202
	v_dual_add_f32 v25, v143, v25 :: v_dual_mul_f32 v146, v5, v2
	v_mul_f32_e32 v2, v6, v2
	s_wait_loadcnt_dscnt 0x101
	v_dual_mul_f32 v142, v7, v4 :: v_dual_mul_f32 v143, v13, v10
	s_delay_alu instid0(VALU_DEP_3) | instskip(SKIP_2) | instid1(VALU_DEP_3)
	v_dual_add_f32 v25, v25, v26 :: v_dual_mul_f32 v4, v8, v4
	v_add_f32_e32 v28, v28, v140
	v_dual_mul_f32 v147, v15, v12 :: v_dual_fmac_f32 v146, v6, v1
	v_add_f32_e32 v25, v25, v30
	v_fma_f32 v2, v5, v1, -v2
	v_fmac_f32_e32 v142, v8, v3
	v_fma_f32 v3, v7, v3, -v4
	s_delay_alu instid0(VALU_DEP_4) | instskip(SKIP_3) | instid1(VALU_DEP_4)
	v_dual_mul_f32 v4, v16, v12 :: v_dual_add_f32 v5, v25, v31
	v_add_f32_e32 v1, v28, v141
	v_fmac_f32_e32 v143, v14, v9
	v_mul_f32_e32 v6, v14, v10
	v_fma_f32 v4, v15, v11, -v4
	s_delay_alu instid0(VALU_DEP_4) | instskip(SKIP_1) | instid1(VALU_DEP_4)
	v_add_f32_e32 v1, v1, v2
	v_add_f32_e32 v2, v5, v146
	v_fma_f32 v5, v13, v9, -v6
	s_delay_alu instid0(VALU_DEP_2) | instskip(NEXT) | instid1(VALU_DEP_1)
	v_dual_add_f32 v1, v1, v3 :: v_dual_add_f32 v2, v2, v142
	v_dual_add_f32 v1, v1, v5 :: v_dual_add_f32 v2, v2, v143
	s_wait_loadcnt_dscnt 0x0
	v_dual_mul_f32 v29, v23, v20 :: v_dual_mul_f32 v26, v21, v18
	v_mul_f32_e32 v3, v22, v18
	v_fmac_f32_e32 v147, v16, v11
	s_delay_alu instid0(VALU_DEP_3) | instskip(NEXT) | instid1(VALU_DEP_2)
	v_dual_fmac_f32 v29, v24, v19 :: v_dual_fmac_f32 v26, v22, v17
	v_dual_mul_f32 v5, v24, v20 :: v_dual_add_f32 v2, v2, v147
	s_delay_alu instid0(VALU_DEP_4) | instskip(SKIP_1) | instid1(VALU_DEP_3)
	v_fma_f32 v3, v21, v17, -v3
	v_add_f32_e32 v1, v1, v4
	v_fma_f32 v4, v23, v19, -v5
	s_delay_alu instid0(VALU_DEP_2) | instskip(NEXT) | instid1(VALU_DEP_1)
	v_dual_add_f32 v2, v2, v26 :: v_dual_add_f32 v1, v1, v3
	v_dual_add_f32 v2, v2, v29 :: v_dual_add_f32 v1, v1, v4
	s_delay_alu instid0(VALU_DEP_1)
	v_dual_sub_f32 v2, v145, v2 :: v_dual_sub_f32 v1, v144, v1
	scratch_store_b64 off, v[1:2], off offset:152
	v_cmpx_lt_u32_e32 18, v0
	s_cbranch_execz .LBB117_301
; %bb.300:
	scratch_load_b64 v[1:2], off, off offset:144
	v_mov_b32_e32 v3, 0
	s_delay_alu instid0(VALU_DEP_1)
	v_mov_b32_e32 v4, v3
	scratch_store_b64 off, v[3:4], off offset:144
	s_wait_loadcnt 0x0
	ds_store_b64 v27, v[1:2]
.LBB117_301:
	s_wait_alu 0xfffe
	s_or_b32 exec_lo, exec_lo, s0
	s_wait_storecnt_dscnt 0x0
	s_barrier_signal -1
	s_barrier_wait -1
	global_inv scope:SCOPE_SE
	s_clause 0x4
	scratch_load_b128 v[5:8], off, off offset:152
	scratch_load_b128 v[1:4], off, off offset:168
	scratch_load_b128 v[9:12], off, off offset:184
	scratch_load_b128 v[13:16], off, off offset:200
	scratch_load_b128 v[17:20], off, off offset:216
	v_mov_b32_e32 v21, 0
	ds_load_2addr_b64 v[22:25], v21 offset0:73 offset1:74
	ds_load_2addr_b64 v[28:31], v21 offset0:75 offset1:76
	;; [unrolled: 1-line block ×3, first 2 shown]
	scratch_load_b64 v[144:145], off, off offset:144
	s_mov_b32 s0, exec_lo
	s_wait_loadcnt_dscnt 0x502
	v_dual_mul_f32 v146, v22, v6 :: v_dual_mul_f32 v147, v24, v8
	v_mul_f32_e32 v26, v23, v6
	v_mul_f32_e32 v6, v25, v8
	s_wait_loadcnt_dscnt 0x300
	v_mul_f32_e32 v148, v142, v12
	v_dual_fmac_f32 v146, v23, v5 :: v_dual_fmac_f32 v147, v25, v7
	v_mul_f32_e32 v25, v30, v4
	v_fma_f32 v22, v22, v5, -v26
	v_mul_f32_e32 v26, v140, v10
	v_mul_f32_e32 v4, v31, v4
	s_delay_alu instid0(VALU_DEP_4)
	v_dual_mul_f32 v10, v141, v10 :: v_dual_fmac_f32 v25, v31, v3
	v_fma_f32 v23, v24, v7, -v6
	ds_load_2addr_b64 v[5:8], v21 offset0:79 offset1:80
	v_mul_f32_e32 v24, v28, v2
	v_mul_f32_e32 v12, v143, v12
	;; [unrolled: 1-line block ×3, first 2 shown]
	v_fmac_f32_e32 v26, v141, v9
	v_fmac_f32_e32 v148, v143, v11
	;; [unrolled: 1-line block ×3, first 2 shown]
	v_fma_f32 v29, v30, v3, -v4
	v_fma_f32 v30, v140, v9, -v10
	;; [unrolled: 1-line block ×3, first 2 shown]
	ds_load_2addr_b64 v[9:12], v21 offset0:81 offset1:82
	s_wait_loadcnt_dscnt 0x201
	v_dual_mul_f32 v141, v7, v16 :: v_dual_mul_f32 v140, v5, v14
	v_mul_f32_e32 v14, v6, v14
	v_mul_f32_e32 v16, v8, v16
	s_delay_alu instid0(VALU_DEP_3)
	v_fmac_f32_e32 v141, v8, v15
	v_fma_f32 v28, v28, v1, -v2
	scratch_load_b128 v[1:4], off, off offset:232
	v_fmac_f32_e32 v140, v6, v13
	v_fma_f32 v13, v5, v13, -v14
	v_fma_f32 v14, v7, v15, -v16
	s_wait_loadcnt_dscnt 0x200
	v_mul_f32_e32 v15, v9, v18
	v_mul_f32_e32 v16, v10, v18
	;; [unrolled: 1-line block ×4, first 2 shown]
	ds_load_2addr_b64 v[5:8], v21 offset0:83 offset1:84
	v_fmac_f32_e32 v15, v10, v17
	v_fma_f32 v16, v9, v17, -v16
	v_fmac_f32_e32 v18, v12, v19
	v_fma_f32 v17, v11, v19, -v20
	scratch_load_b128 v[9:12], off, off offset:248
	s_wait_loadcnt_dscnt 0x100
	v_mul_f32_e32 v19, v5, v2
	v_mul_f32_e32 v2, v6, v2
	;; [unrolled: 1-line block ×3, first 2 shown]
	s_delay_alu instid0(VALU_DEP_3) | instskip(NEXT) | instid1(VALU_DEP_3)
	v_dual_mul_f32 v4, v8, v4 :: v_dual_fmac_f32 v19, v6, v1
	v_fma_f32 v142, v5, v1, -v2
	s_delay_alu instid0(VALU_DEP_3) | instskip(NEXT) | instid1(VALU_DEP_3)
	v_fmac_f32_e32 v20, v8, v3
	v_fma_f32 v143, v7, v3, -v4
	ds_load_2addr_b64 v[1:4], v21 offset0:85 offset1:86
	ds_load_2addr_b64 v[5:8], v21 offset0:87 offset1:88
	s_wait_loadcnt_dscnt 0x1
	v_mul_f32_e32 v149, v1, v10
	v_mul_f32_e32 v10, v2, v10
	s_delay_alu instid0(VALU_DEP_2) | instskip(NEXT) | instid1(VALU_DEP_2)
	v_dual_mul_f32 v150, v3, v12 :: v_dual_fmac_f32 v149, v2, v9
	v_fma_f32 v151, v1, v9, -v10
	v_mul_f32_e32 v1, v4, v12
	s_delay_alu instid0(VALU_DEP_3) | instskip(NEXT) | instid1(VALU_DEP_2)
	v_fmac_f32_e32 v150, v4, v11
	v_fma_f32 v152, v3, v11, -v1
	s_clause 0x1
	scratch_load_b128 v[1:4], off, off offset:264
	scratch_load_b128 v[9:12], off, off offset:280
	s_wait_loadcnt_dscnt 0x100
	v_mul_f32_e32 v153, v5, v2
	v_dual_mul_f32 v2, v6, v2 :: v_dual_mul_f32 v155, v7, v4
	s_delay_alu instid0(VALU_DEP_2) | instskip(NEXT) | instid1(VALU_DEP_2)
	v_fmac_f32_e32 v153, v6, v1
	v_fma_f32 v154, v5, v1, -v2
	v_mul_f32_e32 v1, v8, v4
	s_delay_alu instid0(VALU_DEP_4) | instskip(NEXT) | instid1(VALU_DEP_2)
	v_fmac_f32_e32 v155, v8, v3
	v_fma_f32 v156, v7, v3, -v1
	ds_load_2addr_b64 v[1:4], v21 offset0:89 offset1:90
	ds_load_2addr_b64 v[5:8], v21 offset0:91 offset1:92
	s_wait_loadcnt_dscnt 0x1
	v_mul_f32_e32 v157, v1, v10
	v_mul_f32_e32 v159, v3, v12
	s_delay_alu instid0(VALU_DEP_2) | instskip(NEXT) | instid1(VALU_DEP_2)
	v_fmac_f32_e32 v157, v2, v9
	v_dual_mul_f32 v2, v2, v10 :: v_dual_fmac_f32 v159, v4, v11
	s_delay_alu instid0(VALU_DEP_1) | instskip(SKIP_1) | instid1(VALU_DEP_1)
	v_fma_f32 v158, v1, v9, -v2
	v_mul_f32_e32 v1, v4, v12
	v_fma_f32 v160, v3, v11, -v1
	s_clause 0x1
	scratch_load_b128 v[1:4], off, off offset:296
	scratch_load_b128 v[9:12], off, off offset:312
	s_wait_loadcnt_dscnt 0x100
	v_mul_f32_e32 v161, v5, v2
	v_dual_mul_f32 v2, v6, v2 :: v_dual_mul_f32 v163, v7, v4
	s_delay_alu instid0(VALU_DEP_2) | instskip(NEXT) | instid1(VALU_DEP_2)
	v_fmac_f32_e32 v161, v6, v1
	v_fma_f32 v162, v5, v1, -v2
	v_mul_f32_e32 v1, v8, v4
	s_delay_alu instid0(VALU_DEP_4) | instskip(NEXT) | instid1(VALU_DEP_2)
	v_fmac_f32_e32 v163, v8, v3
	v_fma_f32 v164, v7, v3, -v1
	ds_load_2addr_b64 v[1:4], v21 offset0:93 offset1:94
	ds_load_2addr_b64 v[5:8], v21 offset0:95 offset1:96
	s_wait_loadcnt_dscnt 0x1
	v_mul_f32_e32 v165, v1, v10
	v_mul_f32_e32 v167, v3, v12
	s_delay_alu instid0(VALU_DEP_2) | instskip(NEXT) | instid1(VALU_DEP_2)
	v_fmac_f32_e32 v165, v2, v9
	v_dual_mul_f32 v2, v2, v10 :: v_dual_fmac_f32 v167, v4, v11
	s_delay_alu instid0(VALU_DEP_1) | instskip(SKIP_1) | instid1(VALU_DEP_1)
	v_fma_f32 v166, v1, v9, -v2
	v_mul_f32_e32 v1, v4, v12
	v_fma_f32 v168, v3, v11, -v1
	s_clause 0x1
	scratch_load_b128 v[1:4], off, off offset:328
	scratch_load_b128 v[9:12], off, off offset:344
	s_wait_loadcnt_dscnt 0x100
	v_mul_f32_e32 v169, v5, v2
	v_dual_mul_f32 v2, v6, v2 :: v_dual_mul_f32 v171, v7, v4
	s_delay_alu instid0(VALU_DEP_1) | instskip(SKIP_1) | instid1(VALU_DEP_1)
	v_fma_f32 v170, v5, v1, -v2
	v_add_f32_e32 v2, 0, v146
	v_add_f32_e32 v2, v2, v147
	s_delay_alu instid0(VALU_DEP_4) | instskip(SKIP_1) | instid1(VALU_DEP_3)
	v_fmac_f32_e32 v171, v8, v3
	v_fmac_f32_e32 v169, v6, v1
	v_add_f32_e32 v2, v2, v24
	s_delay_alu instid0(VALU_DEP_1) | instskip(NEXT) | instid1(VALU_DEP_1)
	v_dual_mul_f32 v1, v8, v4 :: v_dual_add_f32 v2, v2, v25
	v_fma_f32 v172, v7, v3, -v1
	s_delay_alu instid0(VALU_DEP_2) | instskip(NEXT) | instid1(VALU_DEP_1)
	v_add_f32_e32 v2, v2, v26
	v_dual_add_f32 v1, 0, v22 :: v_dual_add_f32 v2, v2, v148
	s_delay_alu instid0(VALU_DEP_1) | instskip(NEXT) | instid1(VALU_DEP_1)
	v_dual_add_f32 v1, v1, v23 :: v_dual_add_f32 v2, v2, v140
	v_dual_add_f32 v1, v1, v28 :: v_dual_add_f32 v2, v2, v141
	s_delay_alu instid0(VALU_DEP_1) | instskip(SKIP_2) | instid1(VALU_DEP_1)
	v_add_f32_e32 v1, v1, v29
	scratch_load_b64 v[28:29], off, off offset:424
	v_dual_add_f32 v2, v2, v15 :: v_dual_add_f32 v1, v1, v30
	v_add_f32_e32 v5, v2, v18
	s_delay_alu instid0(VALU_DEP_2) | instskip(NEXT) | instid1(VALU_DEP_1)
	v_add_f32_e32 v1, v1, v31
	v_add_f32_e32 v1, v1, v13
	s_delay_alu instid0(VALU_DEP_3) | instskip(NEXT) | instid1(VALU_DEP_1)
	v_add_f32_e32 v13, v5, v19
	v_add_f32_e32 v13, v13, v20
	s_delay_alu instid0(VALU_DEP_1) | instskip(NEXT) | instid1(VALU_DEP_1)
	v_add_f32_e32 v13, v13, v149
	v_add_f32_e32 v18, v13, v150
	s_delay_alu instid0(VALU_DEP_1) | instskip(NEXT) | instid1(VALU_DEP_1)
	v_dual_add_f32 v1, v1, v14 :: v_dual_add_f32 v18, v18, v153
	v_dual_add_f32 v1, v1, v16 :: v_dual_add_f32 v18, v18, v155
	s_delay_alu instid0(VALU_DEP_1) | instskip(NEXT) | instid1(VALU_DEP_2)
	v_add_f32_e32 v1, v1, v17
	v_add_f32_e32 v22, v18, v157
	s_delay_alu instid0(VALU_DEP_2)
	v_add_f32_e32 v6, v1, v142
	scratch_load_b128 v[1:4], off, off offset:360
	v_add_f32_e32 v22, v22, v159
	v_add_f32_e32 v14, v6, v143
	ds_load_2addr_b64 v[5:8], v21 offset0:97 offset1:98
	v_add_f32_e32 v22, v22, v161
	v_add_f32_e32 v14, v14, v151
	s_delay_alu instid0(VALU_DEP_2) | instskip(NEXT) | instid1(VALU_DEP_2)
	v_add_f32_e32 v22, v22, v163
	v_add_f32_e32 v17, v14, v152
	ds_load_2addr_b64 v[13:16], v21 offset0:99 offset1:100
	s_wait_loadcnt_dscnt 0x201
	v_mul_f32_e32 v26, v5, v10
	v_mul_f32_e32 v10, v6, v10
	;; [unrolled: 1-line block ×3, first 2 shown]
	v_dual_mul_f32 v12, v8, v12 :: v_dual_add_f32 v17, v17, v154
	s_delay_alu instid0(VALU_DEP_4) | instskip(NEXT) | instid1(VALU_DEP_4)
	v_fmac_f32_e32 v26, v6, v9
	v_fma_f32 v141, v5, v9, -v10
	s_delay_alu instid0(VALU_DEP_4) | instskip(NEXT) | instid1(VALU_DEP_4)
	v_fmac_f32_e32 v140, v8, v11
	v_fma_f32 v142, v7, v11, -v12
	scratch_load_b128 v[5:8], off, off offset:376
	v_add_f32_e32 v17, v17, v156
	scratch_load_b128 v[9:12], off, off offset:392
	v_add_f32_e32 v17, v17, v158
	s_delay_alu instid0(VALU_DEP_1)
	v_add_f32_e32 v23, v17, v160
	scratch_load_b128 v[17:20], off, off offset:408
	s_wait_loadcnt_dscnt 0x300
	v_dual_mul_f32 v143, v13, v2 :: v_dual_mul_f32 v146, v15, v4
	v_mul_f32_e32 v2, v14, v2
	v_dual_add_f32 v23, v23, v162 :: v_dual_mul_f32 v4, v16, v4
	s_delay_alu instid0(VALU_DEP_3) | instskip(NEXT) | instid1(VALU_DEP_3)
	v_dual_fmac_f32 v143, v14, v1 :: v_dual_fmac_f32 v146, v16, v3
	v_fma_f32 v147, v13, v1, -v2
	s_delay_alu instid0(VALU_DEP_3) | instskip(NEXT) | instid1(VALU_DEP_4)
	v_add_f32_e32 v23, v23, v164
	v_fma_f32 v148, v15, v3, -v4
	ds_load_2addr_b64 v[1:4], v21 offset0:101 offset1:102
	v_add_f32_e32 v23, v23, v166
	s_delay_alu instid0(VALU_DEP_1) | instskip(NEXT) | instid1(VALU_DEP_1)
	v_dual_add_f32 v13, v22, v165 :: v_dual_add_f32 v14, v23, v168
	v_add_f32_e32 v30, v14, v170
	s_delay_alu instid0(VALU_DEP_2)
	v_add_f32_e32 v22, v13, v167
	ds_load_2addr_b64 v[13:16], v21 offset0:103 offset1:104
	v_add_f32_e32 v149, v30, v172
	v_add_f32_e32 v31, v22, v169
	ds_load_2addr_b64 v[22:25], v21 offset0:105 offset1:106
	v_dual_add_f32 v141, v149, v141 :: v_dual_add_f32 v150, v31, v171
	s_wait_loadcnt_dscnt 0x202
	v_mul_f32_e32 v149, v1, v6
	ds_load_b64 v[30:31], v21 offset:856
	v_mul_f32_e32 v6, v2, v6
	v_add_f32_e32 v141, v141, v142
	v_add_f32_e32 v26, v150, v26
	v_fmac_f32_e32 v149, v2, v5
	s_delay_alu instid0(VALU_DEP_2)
	v_dual_add_f32 v141, v141, v147 :: v_dual_add_f32 v26, v26, v140
	v_mul_f32_e32 v140, v3, v8
	v_mul_f32_e32 v8, v4, v8
	s_wait_loadcnt_dscnt 0x102
	v_mul_f32_e32 v142, v13, v10
	v_dual_add_f32 v141, v141, v148 :: v_dual_add_f32 v26, v26, v143
	v_mul_f32_e32 v143, v15, v12
	v_fma_f32 v1, v1, v5, -v6
	s_wait_loadcnt_dscnt 0x1
	v_dual_mul_f32 v147, v22, v18 :: v_dual_mul_f32 v148, v24, v20
	v_add_f32_e32 v26, v26, v146
	v_fma_f32 v2, v3, v7, -v8
	v_mul_f32_e32 v3, v14, v10
	v_add_f32_e32 v1, v141, v1
	s_wait_dscnt 0x0
	v_dual_mul_f32 v146, v30, v29 :: v_dual_mul_f32 v5, v16, v12
	v_fmac_f32_e32 v140, v4, v7
	v_dual_add_f32 v4, v26, v149 :: v_dual_fmac_f32 v143, v16, v11
	v_fma_f32 v3, v13, v9, -v3
	v_dual_add_f32 v1, v1, v2 :: v_dual_fmac_f32 v142, v14, v9
	s_delay_alu instid0(VALU_DEP_3) | instskip(SKIP_2) | instid1(VALU_DEP_3)
	v_dual_add_f32 v2, v4, v140 :: v_dual_fmac_f32 v147, v23, v17
	v_mul_f32_e32 v4, v23, v18
	v_fma_f32 v5, v15, v11, -v5
	v_dual_add_f32 v1, v1, v3 :: v_dual_add_f32 v2, v2, v142
	v_mul_f32_e32 v3, v25, v20
	s_delay_alu instid0(VALU_DEP_4) | instskip(NEXT) | instid1(VALU_DEP_3)
	v_fma_f32 v4, v22, v17, -v4
	v_dual_add_f32 v1, v1, v5 :: v_dual_add_f32 v2, v2, v143
	v_mul_f32_e32 v5, v31, v29
	s_delay_alu instid0(VALU_DEP_4) | instskip(NEXT) | instid1(VALU_DEP_3)
	v_fma_f32 v3, v24, v19, -v3
	v_dual_add_f32 v1, v1, v4 :: v_dual_add_f32 v2, v2, v147
	v_fmac_f32_e32 v146, v31, v28
	s_delay_alu instid0(VALU_DEP_4) | instskip(NEXT) | instid1(VALU_DEP_3)
	v_fma_f32 v4, v30, v28, -v5
	v_add_f32_e32 v1, v1, v3
	s_delay_alu instid0(VALU_DEP_1) | instskip(NEXT) | instid1(VALU_DEP_1)
	v_add_f32_e32 v1, v1, v4
	v_dual_fmac_f32 v148, v25, v19 :: v_dual_sub_f32 v1, v144, v1
	s_delay_alu instid0(VALU_DEP_1) | instskip(NEXT) | instid1(VALU_DEP_1)
	v_add_f32_e32 v2, v2, v148
	v_add_f32_e32 v2, v2, v146
	s_delay_alu instid0(VALU_DEP_1)
	v_sub_f32_e32 v2, v145, v2
	scratch_store_b64 off, v[1:2], off offset:144
	v_cmpx_lt_u32_e32 17, v0
	s_cbranch_execz .LBB117_303
; %bb.302:
	scratch_load_b64 v[1:2], off, off offset:136
	v_mov_b32_e32 v22, v21
	scratch_store_b64 off, v[21:22], off offset:136
	s_wait_loadcnt 0x0
	ds_store_b64 v27, v[1:2]
.LBB117_303:
	s_wait_alu 0xfffe
	s_or_b32 exec_lo, exec_lo, s0
	s_wait_storecnt_dscnt 0x0
	s_barrier_signal -1
	s_barrier_wait -1
	global_inv scope:SCOPE_SE
	s_clause 0x4
	scratch_load_b128 v[5:8], off, off offset:144
	scratch_load_b128 v[1:4], off, off offset:160
	;; [unrolled: 1-line block ×5, first 2 shown]
	ds_load_b128 v[22:25], v21 offset:576
	ds_load_b128 v[28:31], v21 offset:592
	;; [unrolled: 1-line block ×3, first 2 shown]
	scratch_load_b64 v[144:145], off, off offset:136
	s_mov_b32 s0, exec_lo
	s_wait_loadcnt_dscnt 0x502
	v_dual_mul_f32 v26, v23, v6 :: v_dual_mul_f32 v147, v24, v8
	v_mul_f32_e32 v146, v22, v6
	v_mul_f32_e32 v6, v25, v8
	s_wait_loadcnt_dscnt 0x300
	v_mul_f32_e32 v148, v142, v12
	v_fma_f32 v22, v22, v5, -v26
	v_dual_fmac_f32 v147, v25, v7 :: v_dual_fmac_f32 v146, v23, v5
	v_mul_f32_e32 v25, v30, v4
	v_mul_f32_e32 v4, v31, v4
	;; [unrolled: 1-line block ×5, first 2 shown]
	v_fmac_f32_e32 v25, v31, v3
	v_fma_f32 v23, v24, v7, -v6
	ds_load_b128 v[5:8], v21 offset:624
	v_mul_f32_e32 v24, v28, v2
	v_mul_f32_e32 v2, v29, v2
	v_fmac_f32_e32 v26, v141, v9
	v_fmac_f32_e32 v148, v143, v11
	v_fma_f32 v31, v142, v11, -v12
	v_fmac_f32_e32 v24, v29, v1
	v_fma_f32 v29, v30, v3, -v4
	v_fma_f32 v30, v140, v9, -v10
	ds_load_b128 v[9:12], v21 offset:640
	s_wait_loadcnt_dscnt 0x201
	v_dual_mul_f32 v141, v7, v16 :: v_dual_mul_f32 v140, v5, v14
	v_mul_f32_e32 v14, v6, v14
	v_mul_f32_e32 v16, v8, v16
	s_delay_alu instid0(VALU_DEP_3)
	v_fmac_f32_e32 v141, v8, v15
	v_fma_f32 v28, v28, v1, -v2
	scratch_load_b128 v[1:4], off, off offset:224
	v_fmac_f32_e32 v140, v6, v13
	v_fma_f32 v13, v5, v13, -v14
	v_fma_f32 v14, v7, v15, -v16
	s_wait_loadcnt_dscnt 0x200
	v_mul_f32_e32 v15, v9, v18
	v_mul_f32_e32 v16, v10, v18
	v_mul_f32_e32 v18, v11, v20
	v_mul_f32_e32 v20, v12, v20
	ds_load_b128 v[5:8], v21 offset:656
	v_fmac_f32_e32 v15, v10, v17
	v_fma_f32 v16, v9, v17, -v16
	v_fmac_f32_e32 v18, v12, v19
	v_fma_f32 v17, v11, v19, -v20
	scratch_load_b128 v[9:12], off, off offset:240
	s_wait_loadcnt_dscnt 0x100
	v_mul_f32_e32 v19, v5, v2
	v_mul_f32_e32 v2, v6, v2
	;; [unrolled: 1-line block ×3, first 2 shown]
	s_delay_alu instid0(VALU_DEP_3) | instskip(NEXT) | instid1(VALU_DEP_3)
	v_dual_mul_f32 v4, v8, v4 :: v_dual_fmac_f32 v19, v6, v1
	v_fma_f32 v142, v5, v1, -v2
	s_delay_alu instid0(VALU_DEP_3) | instskip(NEXT) | instid1(VALU_DEP_3)
	v_fmac_f32_e32 v20, v8, v3
	v_fma_f32 v143, v7, v3, -v4
	ds_load_b128 v[1:4], v21 offset:672
	ds_load_b128 v[5:8], v21 offset:688
	s_wait_loadcnt_dscnt 0x1
	v_mul_f32_e32 v149, v1, v10
	v_mul_f32_e32 v10, v2, v10
	s_delay_alu instid0(VALU_DEP_2) | instskip(NEXT) | instid1(VALU_DEP_2)
	v_dual_mul_f32 v150, v3, v12 :: v_dual_fmac_f32 v149, v2, v9
	v_fma_f32 v151, v1, v9, -v10
	v_mul_f32_e32 v1, v4, v12
	s_delay_alu instid0(VALU_DEP_3) | instskip(NEXT) | instid1(VALU_DEP_2)
	v_fmac_f32_e32 v150, v4, v11
	v_fma_f32 v152, v3, v11, -v1
	s_clause 0x1
	scratch_load_b128 v[1:4], off, off offset:256
	scratch_load_b128 v[9:12], off, off offset:272
	s_wait_loadcnt_dscnt 0x100
	v_mul_f32_e32 v153, v5, v2
	v_dual_mul_f32 v2, v6, v2 :: v_dual_mul_f32 v155, v7, v4
	s_delay_alu instid0(VALU_DEP_2) | instskip(NEXT) | instid1(VALU_DEP_2)
	v_fmac_f32_e32 v153, v6, v1
	v_fma_f32 v154, v5, v1, -v2
	v_mul_f32_e32 v1, v8, v4
	s_delay_alu instid0(VALU_DEP_4) | instskip(NEXT) | instid1(VALU_DEP_2)
	v_fmac_f32_e32 v155, v8, v3
	v_fma_f32 v156, v7, v3, -v1
	ds_load_b128 v[1:4], v21 offset:704
	ds_load_b128 v[5:8], v21 offset:720
	s_wait_loadcnt_dscnt 0x1
	v_mul_f32_e32 v157, v1, v10
	v_mul_f32_e32 v159, v3, v12
	s_delay_alu instid0(VALU_DEP_2) | instskip(NEXT) | instid1(VALU_DEP_2)
	v_fmac_f32_e32 v157, v2, v9
	v_dual_mul_f32 v2, v2, v10 :: v_dual_fmac_f32 v159, v4, v11
	s_delay_alu instid0(VALU_DEP_1) | instskip(SKIP_1) | instid1(VALU_DEP_1)
	v_fma_f32 v158, v1, v9, -v2
	v_mul_f32_e32 v1, v4, v12
	v_fma_f32 v160, v3, v11, -v1
	s_clause 0x1
	scratch_load_b128 v[1:4], off, off offset:288
	scratch_load_b128 v[9:12], off, off offset:304
	s_wait_loadcnt_dscnt 0x100
	v_mul_f32_e32 v161, v5, v2
	v_dual_mul_f32 v2, v6, v2 :: v_dual_mul_f32 v163, v7, v4
	s_delay_alu instid0(VALU_DEP_2) | instskip(NEXT) | instid1(VALU_DEP_2)
	v_fmac_f32_e32 v161, v6, v1
	v_fma_f32 v162, v5, v1, -v2
	v_mul_f32_e32 v1, v8, v4
	s_delay_alu instid0(VALU_DEP_4) | instskip(NEXT) | instid1(VALU_DEP_2)
	v_fmac_f32_e32 v163, v8, v3
	v_fma_f32 v164, v7, v3, -v1
	ds_load_b128 v[1:4], v21 offset:736
	ds_load_b128 v[5:8], v21 offset:752
	s_wait_loadcnt_dscnt 0x1
	v_mul_f32_e32 v165, v1, v10
	v_mul_f32_e32 v167, v3, v12
	s_delay_alu instid0(VALU_DEP_2) | instskip(NEXT) | instid1(VALU_DEP_2)
	v_fmac_f32_e32 v165, v2, v9
	v_dual_mul_f32 v2, v2, v10 :: v_dual_fmac_f32 v167, v4, v11
	s_delay_alu instid0(VALU_DEP_1) | instskip(SKIP_1) | instid1(VALU_DEP_1)
	v_fma_f32 v166, v1, v9, -v2
	v_mul_f32_e32 v1, v4, v12
	;; [unrolled: 25-line block ×3, first 2 shown]
	v_fma_f32 v176, v3, v11, -v1
	s_clause 0x1
	scratch_load_b128 v[1:4], off, off offset:352
	scratch_load_b128 v[9:12], off, off offset:368
	s_wait_loadcnt_dscnt 0x100
	v_mul_f32_e32 v177, v5, v2
	v_mul_f32_e32 v2, v6, v2
	s_delay_alu instid0(VALU_DEP_1) | instskip(SKIP_1) | instid1(VALU_DEP_1)
	v_fma_f32 v178, v5, v1, -v2
	v_add_f32_e32 v2, 0, v146
	v_add_f32_e32 v2, v2, v147
	s_delay_alu instid0(VALU_DEP_1) | instskip(NEXT) | instid1(VALU_DEP_1)
	v_add_f32_e32 v2, v2, v24
	v_add_f32_e32 v2, v2, v25
	s_delay_alu instid0(VALU_DEP_1) | instskip(NEXT) | instid1(VALU_DEP_1)
	;; [unrolled: 3-line block ×3, first 2 shown]
	v_add_f32_e32 v2, v2, v140
	v_dual_add_f32 v2, v2, v141 :: v_dual_mul_f32 v179, v7, v4
	s_delay_alu instid0(VALU_DEP_1) | instskip(NEXT) | instid1(VALU_DEP_1)
	v_add_f32_e32 v2, v2, v15
	v_dual_fmac_f32 v179, v8, v3 :: v_dual_add_f32 v2, v2, v18
	s_delay_alu instid0(VALU_DEP_1) | instskip(NEXT) | instid1(VALU_DEP_1)
	v_add_f32_e32 v2, v2, v19
	v_add_f32_e32 v2, v2, v20
	s_delay_alu instid0(VALU_DEP_1) | instskip(NEXT) | instid1(VALU_DEP_1)
	v_add_f32_e32 v5, v2, v149
	v_add_f32_e32 v5, v5, v150
	s_delay_alu instid0(VALU_DEP_1) | instskip(SKIP_2) | instid1(VALU_DEP_1)
	v_add_f32_e32 v5, v5, v153
	v_fmac_f32_e32 v177, v6, v1
	v_mul_f32_e32 v1, v8, v4
	v_fma_f32 v180, v7, v3, -v1
	v_add_f32_e32 v1, 0, v22
	s_delay_alu instid0(VALU_DEP_1) | instskip(NEXT) | instid1(VALU_DEP_1)
	v_add_f32_e32 v1, v1, v23
	v_add_f32_e32 v1, v1, v28
	s_delay_alu instid0(VALU_DEP_1) | instskip(NEXT) | instid1(VALU_DEP_1)
	v_add_f32_e32 v1, v1, v29
	;; [unrolled: 3-line block ×6, first 2 shown]
	v_add_f32_e32 v1, v1, v151
	s_delay_alu instid0(VALU_DEP_1) | instskip(SKIP_2) | instid1(VALU_DEP_1)
	v_add_f32_e32 v6, v1, v152
	ds_load_b128 v[1:4], v21 offset:800
	v_add_f32_e32 v6, v6, v154
	v_add_f32_e32 v13, v6, v156
	s_delay_alu instid0(VALU_DEP_1) | instskip(NEXT) | instid1(VALU_DEP_1)
	v_add_f32_e32 v13, v13, v158
	v_add_f32_e32 v13, v13, v160
	s_delay_alu instid0(VALU_DEP_1) | instskip(NEXT) | instid1(VALU_DEP_1)
	;; [unrolled: 3-line block ×5, first 2 shown]
	v_add_f32_e32 v30, v30, v174
	v_add_f32_e32 v30, v30, v176
	;; [unrolled: 1-line block ×3, first 2 shown]
	ds_load_b128 v[5:8], v21 offset:816
	s_wait_loadcnt_dscnt 0x1
	v_dual_mul_f32 v25, v1, v10 :: v_dual_mul_f32 v26, v3, v12
	v_mul_f32_e32 v10, v2, v10
	v_add_f32_e32 v14, v14, v157
	v_mul_f32_e32 v12, v4, v12
	v_add_f32_e32 v30, v30, v178
	v_fmac_f32_e32 v26, v4, v11
	v_fma_f32 v28, v1, v9, -v10
	v_add_f32_e32 v14, v14, v159
	v_fma_f32 v29, v3, v11, -v12
	v_add_f32_e32 v30, v30, v180
	s_delay_alu instid0(VALU_DEP_3) | instskip(SKIP_2) | instid1(VALU_DEP_1)
	v_add_f32_e32 v17, v14, v161
	scratch_load_b128 v[13:16], off, off offset:416
	v_dual_add_f32 v28, v30, v28 :: v_dual_add_f32 v17, v17, v163
	v_add_f32_e32 v17, v17, v165
	s_delay_alu instid0(VALU_DEP_1) | instskip(NEXT) | instid1(VALU_DEP_1)
	v_add_f32_e32 v17, v17, v167
	v_add_f32_e32 v23, v17, v169
	ds_load_b128 v[17:20], v21 offset:832
	v_fmac_f32_e32 v25, v2, v9
	s_clause 0x1
	scratch_load_b128 v[1:4], off, off offset:384
	scratch_load_b128 v[9:12], off, off offset:400
	s_wait_loadcnt_dscnt 0x101
	v_mul_f32_e32 v140, v5, v2
	v_mul_f32_e32 v2, v6, v2
	s_wait_loadcnt_dscnt 0x0
	v_mul_f32_e32 v142, v17, v10
	s_delay_alu instid0(VALU_DEP_3)
	v_fmac_f32_e32 v140, v6, v1
	v_dual_mul_f32 v6, v18, v10 :: v_dual_add_f32 v31, v23, v171
	ds_load_b128 v[21:24], v21 offset:848
	v_fmac_f32_e32 v142, v18, v9
	v_fma_f32 v2, v5, v1, -v2
	s_wait_dscnt 0x0
	v_dual_add_f32 v31, v31, v173 :: v_dual_mul_f32 v146, v21, v14
	v_mul_f32_e32 v141, v7, v4
	v_mul_f32_e32 v4, v8, v4
	;; [unrolled: 1-line block ×3, first 2 shown]
	s_delay_alu instid0(VALU_DEP_3) | instskip(NEXT) | instid1(VALU_DEP_3)
	v_dual_fmac_f32 v146, v22, v13 :: v_dual_fmac_f32 v141, v8, v3
	v_fma_f32 v3, v7, v3, -v4
	v_dual_mul_f32 v4, v20, v12 :: v_dual_add_f32 v31, v31, v175
	s_delay_alu instid0(VALU_DEP_4) | instskip(SKIP_1) | instid1(VALU_DEP_3)
	v_fmac_f32_e32 v30, v24, v15
	v_add_f32_e32 v1, v28, v29
	v_fma_f32 v4, v19, v11, -v4
	s_delay_alu instid0(VALU_DEP_4) | instskip(NEXT) | instid1(VALU_DEP_3)
	v_add_f32_e32 v31, v31, v177
	v_add_f32_e32 v1, v1, v2
	s_delay_alu instid0(VALU_DEP_2) | instskip(NEXT) | instid1(VALU_DEP_2)
	v_add_f32_e32 v31, v31, v179
	v_add_f32_e32 v1, v1, v3
	v_mul_f32_e32 v3, v22, v14
	s_delay_alu instid0(VALU_DEP_3) | instskip(NEXT) | instid1(VALU_DEP_2)
	v_add_f32_e32 v25, v31, v25
	v_fma_f32 v3, v21, v13, -v3
	s_delay_alu instid0(VALU_DEP_2) | instskip(NEXT) | instid1(VALU_DEP_1)
	v_add_f32_e32 v5, v25, v26
	v_add_f32_e32 v2, v5, v140
	v_mul_f32_e32 v143, v19, v12
	v_fma_f32 v5, v17, v9, -v6
	s_delay_alu instid0(VALU_DEP_2) | instskip(NEXT) | instid1(VALU_DEP_2)
	v_dual_add_f32 v2, v2, v141 :: v_dual_fmac_f32 v143, v20, v11
	v_add_f32_e32 v1, v1, v5
	s_delay_alu instid0(VALU_DEP_2) | instskip(NEXT) | instid1(VALU_DEP_2)
	v_dual_mul_f32 v5, v24, v16 :: v_dual_add_f32 v2, v2, v142
	v_add_f32_e32 v1, v1, v4
	s_delay_alu instid0(VALU_DEP_2) | instskip(NEXT) | instid1(VALU_DEP_3)
	v_fma_f32 v4, v23, v15, -v5
	v_add_f32_e32 v2, v2, v143
	s_delay_alu instid0(VALU_DEP_1) | instskip(NEXT) | instid1(VALU_DEP_1)
	v_dual_add_f32 v1, v1, v3 :: v_dual_add_f32 v2, v2, v146
	v_dual_add_f32 v1, v1, v4 :: v_dual_add_f32 v2, v2, v30
	s_delay_alu instid0(VALU_DEP_1)
	v_dual_sub_f32 v1, v144, v1 :: v_dual_sub_f32 v2, v145, v2
	scratch_store_b64 off, v[1:2], off offset:136
	v_cmpx_lt_u32_e32 16, v0
	s_cbranch_execz .LBB117_305
; %bb.304:
	scratch_load_b64 v[1:2], off, off offset:128
	v_mov_b32_e32 v3, 0
	s_delay_alu instid0(VALU_DEP_1)
	v_mov_b32_e32 v4, v3
	scratch_store_b64 off, v[3:4], off offset:128
	s_wait_loadcnt 0x0
	ds_store_b64 v27, v[1:2]
.LBB117_305:
	s_wait_alu 0xfffe
	s_or_b32 exec_lo, exec_lo, s0
	s_wait_storecnt_dscnt 0x0
	s_barrier_signal -1
	s_barrier_wait -1
	global_inv scope:SCOPE_SE
	s_clause 0x4
	scratch_load_b128 v[5:8], off, off offset:136
	scratch_load_b128 v[1:4], off, off offset:152
	;; [unrolled: 1-line block ×5, first 2 shown]
	v_mov_b32_e32 v21, 0
	ds_load_2addr_b64 v[22:25], v21 offset0:71 offset1:72
	ds_load_2addr_b64 v[28:31], v21 offset0:73 offset1:74
	;; [unrolled: 1-line block ×3, first 2 shown]
	scratch_load_b64 v[144:145], off, off offset:128
	s_mov_b32 s0, exec_lo
	s_wait_loadcnt_dscnt 0x502
	v_dual_mul_f32 v146, v22, v6 :: v_dual_mul_f32 v147, v24, v8
	v_mul_f32_e32 v26, v23, v6
	v_mul_f32_e32 v6, v25, v8
	s_wait_loadcnt_dscnt 0x300
	v_mul_f32_e32 v148, v142, v12
	v_dual_fmac_f32 v146, v23, v5 :: v_dual_fmac_f32 v147, v25, v7
	v_mul_f32_e32 v25, v30, v4
	v_fma_f32 v22, v22, v5, -v26
	v_mul_f32_e32 v26, v140, v10
	v_mul_f32_e32 v4, v31, v4
	s_delay_alu instid0(VALU_DEP_4)
	v_dual_mul_f32 v10, v141, v10 :: v_dual_fmac_f32 v25, v31, v3
	v_fma_f32 v23, v24, v7, -v6
	ds_load_2addr_b64 v[5:8], v21 offset0:77 offset1:78
	v_mul_f32_e32 v24, v28, v2
	v_mul_f32_e32 v12, v143, v12
	;; [unrolled: 1-line block ×3, first 2 shown]
	v_fmac_f32_e32 v26, v141, v9
	v_fmac_f32_e32 v148, v143, v11
	;; [unrolled: 1-line block ×3, first 2 shown]
	v_fma_f32 v29, v30, v3, -v4
	v_fma_f32 v30, v140, v9, -v10
	;; [unrolled: 1-line block ×3, first 2 shown]
	ds_load_2addr_b64 v[9:12], v21 offset0:79 offset1:80
	s_wait_loadcnt_dscnt 0x201
	v_dual_mul_f32 v141, v7, v16 :: v_dual_mul_f32 v140, v5, v14
	v_mul_f32_e32 v14, v6, v14
	v_mul_f32_e32 v16, v8, v16
	s_delay_alu instid0(VALU_DEP_3)
	v_fmac_f32_e32 v141, v8, v15
	v_fma_f32 v28, v28, v1, -v2
	scratch_load_b128 v[1:4], off, off offset:216
	v_fmac_f32_e32 v140, v6, v13
	v_fma_f32 v13, v5, v13, -v14
	v_fma_f32 v14, v7, v15, -v16
	s_wait_loadcnt_dscnt 0x200
	v_mul_f32_e32 v15, v9, v18
	v_mul_f32_e32 v16, v10, v18
	;; [unrolled: 1-line block ×4, first 2 shown]
	ds_load_2addr_b64 v[5:8], v21 offset0:81 offset1:82
	v_fmac_f32_e32 v15, v10, v17
	v_fma_f32 v16, v9, v17, -v16
	v_fmac_f32_e32 v18, v12, v19
	v_fma_f32 v17, v11, v19, -v20
	scratch_load_b128 v[9:12], off, off offset:232
	s_wait_loadcnt_dscnt 0x100
	v_mul_f32_e32 v19, v5, v2
	v_mul_f32_e32 v2, v6, v2
	;; [unrolled: 1-line block ×3, first 2 shown]
	s_delay_alu instid0(VALU_DEP_3) | instskip(NEXT) | instid1(VALU_DEP_3)
	v_dual_mul_f32 v4, v8, v4 :: v_dual_fmac_f32 v19, v6, v1
	v_fma_f32 v142, v5, v1, -v2
	s_delay_alu instid0(VALU_DEP_3) | instskip(NEXT) | instid1(VALU_DEP_3)
	v_fmac_f32_e32 v20, v8, v3
	v_fma_f32 v143, v7, v3, -v4
	ds_load_2addr_b64 v[1:4], v21 offset0:83 offset1:84
	ds_load_2addr_b64 v[5:8], v21 offset0:85 offset1:86
	s_wait_loadcnt_dscnt 0x1
	v_mul_f32_e32 v149, v1, v10
	v_mul_f32_e32 v10, v2, v10
	s_delay_alu instid0(VALU_DEP_2) | instskip(NEXT) | instid1(VALU_DEP_2)
	v_dual_mul_f32 v150, v3, v12 :: v_dual_fmac_f32 v149, v2, v9
	v_fma_f32 v151, v1, v9, -v10
	v_mul_f32_e32 v1, v4, v12
	s_delay_alu instid0(VALU_DEP_3) | instskip(NEXT) | instid1(VALU_DEP_2)
	v_fmac_f32_e32 v150, v4, v11
	v_fma_f32 v152, v3, v11, -v1
	s_clause 0x1
	scratch_load_b128 v[1:4], off, off offset:248
	scratch_load_b128 v[9:12], off, off offset:264
	s_wait_loadcnt_dscnt 0x100
	v_mul_f32_e32 v153, v5, v2
	v_dual_mul_f32 v2, v6, v2 :: v_dual_mul_f32 v155, v7, v4
	s_delay_alu instid0(VALU_DEP_2) | instskip(NEXT) | instid1(VALU_DEP_2)
	v_fmac_f32_e32 v153, v6, v1
	v_fma_f32 v154, v5, v1, -v2
	v_mul_f32_e32 v1, v8, v4
	s_delay_alu instid0(VALU_DEP_4) | instskip(NEXT) | instid1(VALU_DEP_2)
	v_fmac_f32_e32 v155, v8, v3
	v_fma_f32 v156, v7, v3, -v1
	ds_load_2addr_b64 v[1:4], v21 offset0:87 offset1:88
	ds_load_2addr_b64 v[5:8], v21 offset0:89 offset1:90
	s_wait_loadcnt_dscnt 0x1
	v_mul_f32_e32 v157, v1, v10
	v_mul_f32_e32 v159, v3, v12
	s_delay_alu instid0(VALU_DEP_2) | instskip(NEXT) | instid1(VALU_DEP_2)
	v_fmac_f32_e32 v157, v2, v9
	v_dual_mul_f32 v2, v2, v10 :: v_dual_fmac_f32 v159, v4, v11
	s_delay_alu instid0(VALU_DEP_1) | instskip(SKIP_1) | instid1(VALU_DEP_1)
	v_fma_f32 v158, v1, v9, -v2
	v_mul_f32_e32 v1, v4, v12
	v_fma_f32 v160, v3, v11, -v1
	s_clause 0x1
	scratch_load_b128 v[1:4], off, off offset:280
	scratch_load_b128 v[9:12], off, off offset:296
	s_wait_loadcnt_dscnt 0x100
	v_mul_f32_e32 v161, v5, v2
	v_dual_mul_f32 v2, v6, v2 :: v_dual_mul_f32 v163, v7, v4
	s_delay_alu instid0(VALU_DEP_2) | instskip(NEXT) | instid1(VALU_DEP_2)
	v_fmac_f32_e32 v161, v6, v1
	v_fma_f32 v162, v5, v1, -v2
	v_mul_f32_e32 v1, v8, v4
	s_delay_alu instid0(VALU_DEP_4) | instskip(NEXT) | instid1(VALU_DEP_2)
	v_fmac_f32_e32 v163, v8, v3
	v_fma_f32 v164, v7, v3, -v1
	ds_load_2addr_b64 v[1:4], v21 offset0:91 offset1:92
	ds_load_2addr_b64 v[5:8], v21 offset0:93 offset1:94
	s_wait_loadcnt_dscnt 0x1
	v_mul_f32_e32 v165, v1, v10
	v_mul_f32_e32 v167, v3, v12
	s_delay_alu instid0(VALU_DEP_2) | instskip(NEXT) | instid1(VALU_DEP_2)
	v_fmac_f32_e32 v165, v2, v9
	v_dual_mul_f32 v2, v2, v10 :: v_dual_fmac_f32 v167, v4, v11
	s_delay_alu instid0(VALU_DEP_1) | instskip(SKIP_1) | instid1(VALU_DEP_1)
	v_fma_f32 v166, v1, v9, -v2
	v_mul_f32_e32 v1, v4, v12
	;; [unrolled: 25-line block ×3, first 2 shown]
	v_fma_f32 v176, v3, v11, -v1
	s_clause 0x1
	scratch_load_b128 v[1:4], off, off offset:344
	scratch_load_b128 v[9:12], off, off offset:360
	s_wait_loadcnt_dscnt 0x100
	v_mul_f32_e32 v177, v5, v2
	v_mul_f32_e32 v2, v6, v2
	s_delay_alu instid0(VALU_DEP_1) | instskip(SKIP_1) | instid1(VALU_DEP_1)
	v_fma_f32 v178, v5, v1, -v2
	v_add_f32_e32 v2, 0, v146
	v_add_f32_e32 v2, v2, v147
	s_delay_alu instid0(VALU_DEP_1) | instskip(NEXT) | instid1(VALU_DEP_1)
	v_add_f32_e32 v2, v2, v24
	v_add_f32_e32 v2, v2, v25
	s_delay_alu instid0(VALU_DEP_1) | instskip(NEXT) | instid1(VALU_DEP_1)
	v_add_f32_e32 v2, v2, v26
	v_add_f32_e32 v2, v2, v148
	v_fmac_f32_e32 v177, v6, v1
	s_delay_alu instid0(VALU_DEP_2) | instskip(NEXT) | instid1(VALU_DEP_1)
	v_add_f32_e32 v2, v2, v140
	v_dual_add_f32 v2, v2, v141 :: v_dual_mul_f32 v179, v7, v4
	s_delay_alu instid0(VALU_DEP_1) | instskip(NEXT) | instid1(VALU_DEP_1)
	v_add_f32_e32 v2, v2, v15
	v_dual_fmac_f32 v179, v8, v3 :: v_dual_add_f32 v2, v2, v18
	s_delay_alu instid0(VALU_DEP_1) | instskip(NEXT) | instid1(VALU_DEP_1)
	v_dual_mul_f32 v1, v8, v4 :: v_dual_add_f32 v2, v2, v19
	v_fma_f32 v180, v7, v3, -v1
	s_delay_alu instid0(VALU_DEP_2) | instskip(NEXT) | instid1(VALU_DEP_1)
	v_dual_add_f32 v1, 0, v22 :: v_dual_add_f32 v2, v2, v20
	v_add_f32_e32 v1, v1, v23
	s_delay_alu instid0(VALU_DEP_2) | instskip(NEXT) | instid1(VALU_DEP_2)
	v_add_f32_e32 v5, v2, v149
	v_add_f32_e32 v1, v1, v28
	s_delay_alu instid0(VALU_DEP_2) | instskip(NEXT) | instid1(VALU_DEP_2)
	v_add_f32_e32 v5, v5, v150
	v_add_f32_e32 v1, v1, v29
	scratch_load_b64 v[28:29], off, off offset:424
	v_add_f32_e32 v5, v5, v153
	v_add_f32_e32 v1, v1, v30
	s_delay_alu instid0(VALU_DEP_1) | instskip(NEXT) | instid1(VALU_DEP_1)
	v_add_f32_e32 v1, v1, v31
	v_add_f32_e32 v1, v1, v13
	s_delay_alu instid0(VALU_DEP_1) | instskip(SKIP_1) | instid1(VALU_DEP_1)
	v_add_f32_e32 v1, v1, v14
	v_add_f32_e32 v14, v5, v155
	v_dual_add_f32 v1, v1, v16 :: v_dual_add_f32 v14, v14, v157
	s_delay_alu instid0(VALU_DEP_1) | instskip(NEXT) | instid1(VALU_DEP_1)
	v_dual_add_f32 v1, v1, v17 :: v_dual_add_f32 v14, v14, v159
	v_add_f32_e32 v1, v1, v142
	s_delay_alu instid0(VALU_DEP_2) | instskip(NEXT) | instid1(VALU_DEP_2)
	v_add_f32_e32 v17, v14, v161
	v_add_f32_e32 v1, v1, v143
	s_delay_alu instid0(VALU_DEP_2) | instskip(NEXT) | instid1(VALU_DEP_2)
	v_add_f32_e32 v17, v17, v163
	;; [unrolled: 3-line block ×3, first 2 shown]
	v_add_f32_e32 v6, v1, v152
	ds_load_2addr_b64 v[1:4], v21 offset0:99 offset1:100
	v_dual_add_f32 v17, v17, v167 :: v_dual_add_f32 v6, v6, v154
	s_delay_alu instid0(VALU_DEP_1) | instskip(NEXT) | instid1(VALU_DEP_2)
	v_add_f32_e32 v17, v17, v169
	v_add_f32_e32 v13, v6, v156
	ds_load_2addr_b64 v[5:8], v21 offset0:101 offset1:102
	v_add_f32_e32 v22, v17, v171
	s_delay_alu instid0(VALU_DEP_1)
	v_add_f32_e32 v31, v22, v173
	v_add_f32_e32 v13, v13, v158
	ds_load_2addr_b64 v[22:25], v21 offset0:105 offset1:106
	s_wait_loadcnt_dscnt 0x102
	v_mul_f32_e32 v26, v1, v10
	v_mul_f32_e32 v10, v2, v10
	;; [unrolled: 1-line block ×4, first 2 shown]
	v_add_f32_e32 v146, v31, v175
	v_fmac_f32_e32 v26, v2, v9
	v_fma_f32 v141, v1, v9, -v10
	v_fmac_f32_e32 v140, v4, v11
	v_fma_f32 v142, v3, v11, -v12
	s_clause 0x1
	scratch_load_b128 v[1:4], off, off offset:376
	scratch_load_b128 v[9:12], off, off offset:392
	v_dual_add_f32 v13, v13, v160 :: v_dual_add_f32 v146, v146, v177
	s_delay_alu instid0(VALU_DEP_1) | instskip(NEXT) | instid1(VALU_DEP_1)
	v_dual_add_f32 v13, v13, v162 :: v_dual_add_f32 v146, v146, v179
	v_add_f32_e32 v18, v13, v164
	scratch_load_b128 v[13:16], off, off offset:408
	v_add_f32_e32 v26, v146, v26
	v_add_f32_e32 v18, v18, v166
	s_delay_alu instid0(VALU_DEP_2) | instskip(NEXT) | instid1(VALU_DEP_2)
	v_add_f32_e32 v26, v26, v140
	v_add_f32_e32 v18, v18, v168
	s_delay_alu instid0(VALU_DEP_1) | instskip(NEXT) | instid1(VALU_DEP_1)
	v_add_f32_e32 v18, v18, v170
	v_add_f32_e32 v18, v18, v172
	s_delay_alu instid0(VALU_DEP_1)
	v_add_f32_e32 v30, v18, v174
	ds_load_2addr_b64 v[17:20], v21 offset0:103 offset1:104
	s_wait_loadcnt_dscnt 0x202
	v_mul_f32_e32 v148, v7, v4
	v_add_f32_e32 v143, v30, v176
	ds_load_b64 v[30:31], v21 offset:856
	v_mul_f32_e32 v147, v5, v2
	v_mul_f32_e32 v2, v6, v2
	v_dual_fmac_f32 v148, v8, v3 :: v_dual_add_f32 v143, v143, v178
	v_mul_f32_e32 v4, v8, v4
	s_wait_loadcnt_dscnt 0x101
	v_mul_f32_e32 v146, v19, v12
	v_fma_f32 v2, v5, v1, -v2
	v_add_f32_e32 v143, v143, v180
	s_wait_loadcnt 0x0
	s_delay_alu instid0(VALU_DEP_3)
	v_dual_mul_f32 v149, v22, v14 :: v_dual_fmac_f32 v146, v20, v11
	s_wait_dscnt 0x0
	v_mul_f32_e32 v140, v30, v29
	v_fmac_f32_e32 v147, v6, v1
	v_add_f32_e32 v141, v143, v141
	v_fma_f32 v1, v7, v3, -v4
	s_delay_alu instid0(VALU_DEP_4) | instskip(NEXT) | instid1(VALU_DEP_3)
	v_fmac_f32_e32 v140, v31, v28
	v_dual_add_f32 v4, v26, v147 :: v_dual_add_f32 v141, v141, v142
	v_dual_mul_f32 v143, v17, v10 :: v_dual_mul_f32 v142, v24, v16
	v_mul_f32_e32 v3, v18, v10
	s_delay_alu instid0(VALU_DEP_3) | instskip(NEXT) | instid1(VALU_DEP_3)
	v_add_f32_e32 v2, v141, v2
	v_dual_fmac_f32 v142, v25, v15 :: v_dual_fmac_f32 v149, v23, v13
	s_delay_alu instid0(VALU_DEP_3) | instskip(NEXT) | instid1(VALU_DEP_3)
	v_fma_f32 v3, v17, v9, -v3
	v_dual_add_f32 v1, v2, v1 :: v_dual_add_f32 v2, v4, v148
	v_dual_fmac_f32 v143, v18, v9 :: v_dual_mul_f32 v4, v23, v14
	s_delay_alu instid0(VALU_DEP_1) | instskip(NEXT) | instid1(VALU_DEP_2)
	v_dual_add_f32 v2, v2, v143 :: v_dual_mul_f32 v5, v20, v12
	v_fma_f32 v4, v22, v13, -v4
	s_delay_alu instid0(VALU_DEP_2) | instskip(NEXT) | instid1(VALU_DEP_3)
	v_add_f32_e32 v2, v2, v146
	v_fma_f32 v5, v19, v11, -v5
	s_delay_alu instid0(VALU_DEP_2) | instskip(NEXT) | instid1(VALU_DEP_1)
	v_add_f32_e32 v2, v2, v149
	v_add_f32_e32 v2, v2, v142
	s_delay_alu instid0(VALU_DEP_1) | instskip(NEXT) | instid1(VALU_DEP_1)
	v_add_f32_e32 v2, v2, v140
	v_sub_f32_e32 v2, v145, v2
	v_add_f32_e32 v1, v1, v3
	v_mul_f32_e32 v3, v25, v16
	s_delay_alu instid0(VALU_DEP_2) | instskip(SKIP_1) | instid1(VALU_DEP_3)
	v_add_f32_e32 v1, v1, v5
	v_mul_f32_e32 v5, v31, v29
	v_fma_f32 v3, v24, v15, -v3
	s_delay_alu instid0(VALU_DEP_3) | instskip(NEXT) | instid1(VALU_DEP_3)
	v_add_f32_e32 v1, v1, v4
	v_fma_f32 v4, v30, v28, -v5
	s_delay_alu instid0(VALU_DEP_2) | instskip(NEXT) | instid1(VALU_DEP_1)
	v_add_f32_e32 v1, v1, v3
	v_add_f32_e32 v1, v1, v4
	s_delay_alu instid0(VALU_DEP_1)
	v_sub_f32_e32 v1, v144, v1
	scratch_store_b64 off, v[1:2], off offset:128
	v_cmpx_lt_u32_e32 15, v0
	s_cbranch_execz .LBB117_307
; %bb.306:
	scratch_load_b64 v[1:2], off, off offset:120
	v_mov_b32_e32 v22, v21
	scratch_store_b64 off, v[21:22], off offset:120
	s_wait_loadcnt 0x0
	ds_store_b64 v27, v[1:2]
.LBB117_307:
	s_wait_alu 0xfffe
	s_or_b32 exec_lo, exec_lo, s0
	s_wait_storecnt_dscnt 0x0
	s_barrier_signal -1
	s_barrier_wait -1
	global_inv scope:SCOPE_SE
	s_clause 0x4
	scratch_load_b128 v[5:8], off, off offset:128
	scratch_load_b128 v[1:4], off, off offset:144
	;; [unrolled: 1-line block ×5, first 2 shown]
	ds_load_b128 v[22:25], v21 offset:560
	ds_load_b128 v[28:31], v21 offset:576
	;; [unrolled: 1-line block ×3, first 2 shown]
	scratch_load_b64 v[144:145], off, off offset:120
	s_mov_b32 s0, exec_lo
	s_wait_loadcnt_dscnt 0x502
	v_dual_mul_f32 v26, v23, v6 :: v_dual_mul_f32 v147, v24, v8
	v_mul_f32_e32 v146, v22, v6
	v_mul_f32_e32 v6, v25, v8
	s_wait_loadcnt_dscnt 0x300
	v_mul_f32_e32 v148, v142, v12
	v_fma_f32 v22, v22, v5, -v26
	v_dual_fmac_f32 v147, v25, v7 :: v_dual_fmac_f32 v146, v23, v5
	v_mul_f32_e32 v25, v30, v4
	v_mul_f32_e32 v4, v31, v4
	;; [unrolled: 1-line block ×5, first 2 shown]
	v_fmac_f32_e32 v25, v31, v3
	v_fma_f32 v23, v24, v7, -v6
	ds_load_b128 v[5:8], v21 offset:608
	v_mul_f32_e32 v24, v28, v2
	v_mul_f32_e32 v2, v29, v2
	v_fmac_f32_e32 v26, v141, v9
	v_fmac_f32_e32 v148, v143, v11
	v_fma_f32 v31, v142, v11, -v12
	v_fmac_f32_e32 v24, v29, v1
	v_fma_f32 v29, v30, v3, -v4
	v_fma_f32 v30, v140, v9, -v10
	ds_load_b128 v[9:12], v21 offset:624
	s_wait_loadcnt_dscnt 0x201
	v_dual_mul_f32 v141, v7, v16 :: v_dual_mul_f32 v140, v5, v14
	v_mul_f32_e32 v14, v6, v14
	v_mul_f32_e32 v16, v8, v16
	s_delay_alu instid0(VALU_DEP_3)
	v_fmac_f32_e32 v141, v8, v15
	v_fma_f32 v28, v28, v1, -v2
	scratch_load_b128 v[1:4], off, off offset:208
	v_fmac_f32_e32 v140, v6, v13
	v_fma_f32 v13, v5, v13, -v14
	v_fma_f32 v14, v7, v15, -v16
	s_wait_loadcnt_dscnt 0x200
	v_mul_f32_e32 v15, v9, v18
	v_mul_f32_e32 v16, v10, v18
	;; [unrolled: 1-line block ×4, first 2 shown]
	ds_load_b128 v[5:8], v21 offset:640
	v_fmac_f32_e32 v15, v10, v17
	v_fma_f32 v16, v9, v17, -v16
	v_fmac_f32_e32 v18, v12, v19
	v_fma_f32 v17, v11, v19, -v20
	scratch_load_b128 v[9:12], off, off offset:224
	s_wait_loadcnt_dscnt 0x100
	v_mul_f32_e32 v19, v5, v2
	v_mul_f32_e32 v2, v6, v2
	;; [unrolled: 1-line block ×3, first 2 shown]
	s_delay_alu instid0(VALU_DEP_3) | instskip(NEXT) | instid1(VALU_DEP_3)
	v_dual_mul_f32 v4, v8, v4 :: v_dual_fmac_f32 v19, v6, v1
	v_fma_f32 v142, v5, v1, -v2
	s_delay_alu instid0(VALU_DEP_3) | instskip(NEXT) | instid1(VALU_DEP_3)
	v_fmac_f32_e32 v20, v8, v3
	v_fma_f32 v143, v7, v3, -v4
	ds_load_b128 v[1:4], v21 offset:656
	ds_load_b128 v[5:8], v21 offset:672
	s_wait_loadcnt_dscnt 0x1
	v_mul_f32_e32 v149, v1, v10
	v_mul_f32_e32 v10, v2, v10
	s_delay_alu instid0(VALU_DEP_2) | instskip(NEXT) | instid1(VALU_DEP_2)
	v_dual_mul_f32 v150, v3, v12 :: v_dual_fmac_f32 v149, v2, v9
	v_fma_f32 v151, v1, v9, -v10
	v_mul_f32_e32 v1, v4, v12
	s_delay_alu instid0(VALU_DEP_3) | instskip(NEXT) | instid1(VALU_DEP_2)
	v_fmac_f32_e32 v150, v4, v11
	v_fma_f32 v152, v3, v11, -v1
	s_clause 0x1
	scratch_load_b128 v[1:4], off, off offset:240
	scratch_load_b128 v[9:12], off, off offset:256
	s_wait_loadcnt_dscnt 0x100
	v_mul_f32_e32 v153, v5, v2
	v_dual_mul_f32 v2, v6, v2 :: v_dual_mul_f32 v155, v7, v4
	s_delay_alu instid0(VALU_DEP_2) | instskip(NEXT) | instid1(VALU_DEP_2)
	v_fmac_f32_e32 v153, v6, v1
	v_fma_f32 v154, v5, v1, -v2
	v_mul_f32_e32 v1, v8, v4
	s_delay_alu instid0(VALU_DEP_4) | instskip(NEXT) | instid1(VALU_DEP_2)
	v_fmac_f32_e32 v155, v8, v3
	v_fma_f32 v156, v7, v3, -v1
	ds_load_b128 v[1:4], v21 offset:688
	ds_load_b128 v[5:8], v21 offset:704
	s_wait_loadcnt_dscnt 0x1
	v_mul_f32_e32 v157, v1, v10
	v_mul_f32_e32 v159, v3, v12
	s_delay_alu instid0(VALU_DEP_2) | instskip(NEXT) | instid1(VALU_DEP_2)
	v_fmac_f32_e32 v157, v2, v9
	v_dual_mul_f32 v2, v2, v10 :: v_dual_fmac_f32 v159, v4, v11
	s_delay_alu instid0(VALU_DEP_1) | instskip(SKIP_1) | instid1(VALU_DEP_1)
	v_fma_f32 v158, v1, v9, -v2
	v_mul_f32_e32 v1, v4, v12
	v_fma_f32 v160, v3, v11, -v1
	s_clause 0x1
	scratch_load_b128 v[1:4], off, off offset:272
	scratch_load_b128 v[9:12], off, off offset:288
	s_wait_loadcnt_dscnt 0x100
	v_mul_f32_e32 v161, v5, v2
	v_dual_mul_f32 v2, v6, v2 :: v_dual_mul_f32 v163, v7, v4
	s_delay_alu instid0(VALU_DEP_2) | instskip(NEXT) | instid1(VALU_DEP_2)
	v_fmac_f32_e32 v161, v6, v1
	v_fma_f32 v162, v5, v1, -v2
	v_mul_f32_e32 v1, v8, v4
	s_delay_alu instid0(VALU_DEP_4) | instskip(NEXT) | instid1(VALU_DEP_2)
	v_fmac_f32_e32 v163, v8, v3
	v_fma_f32 v164, v7, v3, -v1
	ds_load_b128 v[1:4], v21 offset:720
	ds_load_b128 v[5:8], v21 offset:736
	s_wait_loadcnt_dscnt 0x1
	v_mul_f32_e32 v165, v1, v10
	v_mul_f32_e32 v167, v3, v12
	s_delay_alu instid0(VALU_DEP_2) | instskip(NEXT) | instid1(VALU_DEP_2)
	v_fmac_f32_e32 v165, v2, v9
	v_dual_mul_f32 v2, v2, v10 :: v_dual_fmac_f32 v167, v4, v11
	s_delay_alu instid0(VALU_DEP_1) | instskip(SKIP_1) | instid1(VALU_DEP_1)
	v_fma_f32 v166, v1, v9, -v2
	v_mul_f32_e32 v1, v4, v12
	;; [unrolled: 25-line block ×3, first 2 shown]
	v_fma_f32 v176, v3, v11, -v1
	s_clause 0x1
	scratch_load_b128 v[1:4], off, off offset:336
	scratch_load_b128 v[9:12], off, off offset:352
	s_wait_loadcnt_dscnt 0x100
	v_mul_f32_e32 v177, v5, v2
	v_mul_f32_e32 v2, v6, v2
	s_delay_alu instid0(VALU_DEP_1) | instskip(SKIP_1) | instid1(VALU_DEP_1)
	v_fma_f32 v178, v5, v1, -v2
	v_add_f32_e32 v2, 0, v146
	v_add_f32_e32 v2, v2, v147
	s_delay_alu instid0(VALU_DEP_1) | instskip(NEXT) | instid1(VALU_DEP_1)
	v_add_f32_e32 v2, v2, v24
	v_add_f32_e32 v2, v2, v25
	s_delay_alu instid0(VALU_DEP_1) | instskip(NEXT) | instid1(VALU_DEP_1)
	v_add_f32_e32 v2, v2, v26
	v_add_f32_e32 v2, v2, v148
	v_fmac_f32_e32 v177, v6, v1
	s_delay_alu instid0(VALU_DEP_2) | instskip(NEXT) | instid1(VALU_DEP_1)
	v_add_f32_e32 v2, v2, v140
	v_dual_add_f32 v2, v2, v141 :: v_dual_mul_f32 v179, v7, v4
	s_delay_alu instid0(VALU_DEP_1) | instskip(NEXT) | instid1(VALU_DEP_1)
	v_add_f32_e32 v2, v2, v15
	v_dual_fmac_f32 v179, v8, v3 :: v_dual_add_f32 v2, v2, v18
	s_delay_alu instid0(VALU_DEP_1) | instskip(NEXT) | instid1(VALU_DEP_1)
	v_dual_mul_f32 v1, v8, v4 :: v_dual_add_f32 v2, v2, v19
	v_fma_f32 v180, v7, v3, -v1
	s_delay_alu instid0(VALU_DEP_2) | instskip(NEXT) | instid1(VALU_DEP_1)
	v_dual_add_f32 v1, 0, v22 :: v_dual_add_f32 v2, v2, v20
	v_dual_add_f32 v1, v1, v23 :: v_dual_add_f32 v2, v2, v149
	s_delay_alu instid0(VALU_DEP_1) | instskip(NEXT) | instid1(VALU_DEP_2)
	v_add_f32_e32 v1, v1, v28
	v_add_f32_e32 v5, v2, v150
	s_delay_alu instid0(VALU_DEP_2) | instskip(NEXT) | instid1(VALU_DEP_1)
	v_add_f32_e32 v1, v1, v29
	v_add_f32_e32 v1, v1, v30
	s_delay_alu instid0(VALU_DEP_1) | instskip(NEXT) | instid1(VALU_DEP_1)
	v_add_f32_e32 v1, v1, v31
	v_add_f32_e32 v1, v1, v13
	;; [unrolled: 1-line block ×3, first 2 shown]
	s_delay_alu instid0(VALU_DEP_2) | instskip(NEXT) | instid1(VALU_DEP_2)
	v_add_f32_e32 v1, v1, v14
	v_add_f32_e32 v13, v13, v155
	s_delay_alu instid0(VALU_DEP_2) | instskip(NEXT) | instid1(VALU_DEP_2)
	v_add_f32_e32 v1, v1, v16
	v_add_f32_e32 v13, v13, v157
	;; [unrolled: 3-line block ×3, first 2 shown]
	s_delay_alu instid0(VALU_DEP_1) | instskip(NEXT) | instid1(VALU_DEP_1)
	v_dual_add_f32 v18, v18, v161 :: v_dual_add_f32 v1, v1, v142
	v_add_f32_e32 v18, v18, v163
	s_delay_alu instid0(VALU_DEP_1) | instskip(NEXT) | instid1(VALU_DEP_1)
	v_dual_add_f32 v1, v1, v143 :: v_dual_add_f32 v22, v18, v165
	v_add_f32_e32 v1, v1, v151
	;; [unrolled: 3-line block ×3, first 2 shown]
	s_delay_alu instid0(VALU_DEP_2) | instskip(SKIP_4) | instid1(VALU_DEP_1)
	v_add_f32_e32 v6, v1, v154
	ds_load_b128 v[1:4], v21 offset:784
	v_add_f32_e32 v14, v6, v156
	scratch_load_b128 v[5:8], off, off offset:368
	v_add_f32_e32 v14, v14, v158
	v_add_f32_e32 v17, v14, v160
	ds_load_b128 v[13:16], v21 offset:800
	s_wait_loadcnt_dscnt 0x101
	v_mul_f32_e32 v25, v1, v10
	v_mul_f32_e32 v10, v2, v10
	;; [unrolled: 1-line block ×3, first 2 shown]
	s_delay_alu instid0(VALU_DEP_3) | instskip(NEXT) | instid1(VALU_DEP_3)
	v_dual_mul_f32 v12, v4, v12 :: v_dual_fmac_f32 v25, v2, v9
	v_fma_f32 v28, v1, v9, -v10
	s_delay_alu instid0(VALU_DEP_3) | instskip(NEXT) | instid1(VALU_DEP_3)
	v_fmac_f32_e32 v26, v4, v11
	v_fma_f32 v29, v3, v11, -v12
	s_clause 0x1
	scratch_load_b128 v[1:4], off, off offset:384
	scratch_load_b128 v[9:12], off, off offset:400
	s_wait_loadcnt_dscnt 0x200
	v_mul_f32_e32 v30, v13, v6
	v_add_f32_e32 v17, v17, v162
	v_mul_f32_e32 v6, v14, v6
	s_delay_alu instid0(VALU_DEP_2) | instskip(NEXT) | instid1(VALU_DEP_2)
	v_dual_fmac_f32 v30, v14, v5 :: v_dual_add_f32 v17, v17, v164
	v_fma_f32 v140, v13, v5, -v6
	s_delay_alu instid0(VALU_DEP_2) | instskip(NEXT) | instid1(VALU_DEP_1)
	v_add_f32_e32 v17, v17, v166
	v_add_f32_e32 v23, v17, v168
	scratch_load_b128 v[17:20], off, off offset:416
	v_mul_f32_e32 v31, v15, v8
	v_mul_f32_e32 v8, v16, v8
	s_delay_alu instid0(VALU_DEP_2) | instskip(NEXT) | instid1(VALU_DEP_2)
	v_fmac_f32_e32 v31, v16, v7
	v_fma_f32 v141, v15, v7, -v8
	ds_load_b128 v[5:8], v21 offset:816
	v_add_f32_e32 v23, v23, v170
	v_add_f32_e32 v13, v22, v171
	s_delay_alu instid0(VALU_DEP_2) | instskip(NEXT) | instid1(VALU_DEP_1)
	v_add_f32_e32 v23, v23, v172
	v_add_f32_e32 v22, v23, v174
	s_delay_alu instid0(VALU_DEP_1) | instskip(NEXT) | instid1(VALU_DEP_1)
	v_add_f32_e32 v142, v22, v176
	v_add_f32_e32 v142, v142, v178
	s_delay_alu instid0(VALU_DEP_1) | instskip(NEXT) | instid1(VALU_DEP_1)
	v_add_f32_e32 v142, v142, v180
	v_add_f32_e32 v28, v142, v28
	s_delay_alu instid0(VALU_DEP_1)
	v_add_f32_e32 v28, v28, v29
	v_add_f32_e32 v23, v13, v173
	ds_load_b128 v[13:16], v21 offset:832
	s_wait_loadcnt_dscnt 0x201
	v_mul_f32_e32 v146, v5, v2
	v_mul_f32_e32 v142, v7, v4
	v_dual_add_f32 v28, v28, v140 :: v_dual_add_f32 v143, v23, v175
	v_mul_f32_e32 v2, v6, v2
	s_delay_alu instid0(VALU_DEP_4) | instskip(NEXT) | instid1(VALU_DEP_4)
	v_fmac_f32_e32 v146, v6, v1
	v_fmac_f32_e32 v142, v8, v3
	ds_load_b128 v[21:24], v21 offset:848
	v_mul_f32_e32 v4, v8, v4
	v_fma_f32 v2, v5, v1, -v2
	v_add_f32_e32 v1, v28, v141
	s_delay_alu instid0(VALU_DEP_3) | instskip(NEXT) | instid1(VALU_DEP_2)
	v_fma_f32 v3, v7, v3, -v4
	v_add_f32_e32 v1, v1, v2
	s_wait_loadcnt_dscnt 0x101
	v_dual_mul_f32 v6, v14, v10 :: v_dual_add_f32 v143, v143, v177
	s_delay_alu instid0(VALU_DEP_2) | instskip(NEXT) | instid1(VALU_DEP_2)
	v_dual_mul_f32 v4, v16, v12 :: v_dual_add_f32 v1, v1, v3
	v_add_f32_e32 v143, v143, v179
	s_delay_alu instid0(VALU_DEP_2) | instskip(NEXT) | instid1(VALU_DEP_2)
	v_fma_f32 v4, v15, v11, -v4
	v_add_f32_e32 v25, v143, v25
	s_delay_alu instid0(VALU_DEP_1) | instskip(NEXT) | instid1(VALU_DEP_1)
	v_add_f32_e32 v25, v25, v26
	v_add_f32_e32 v25, v25, v30
	s_delay_alu instid0(VALU_DEP_1) | instskip(NEXT) | instid1(VALU_DEP_1)
	v_add_f32_e32 v5, v25, v31
	v_dual_add_f32 v2, v5, v146 :: v_dual_mul_f32 v147, v15, v12
	v_fma_f32 v5, v13, v9, -v6
	s_delay_alu instid0(VALU_DEP_2) | instskip(NEXT) | instid1(VALU_DEP_2)
	v_dual_add_f32 v2, v2, v142 :: v_dual_fmac_f32 v147, v16, v11
	v_add_f32_e32 v1, v1, v5
	s_delay_alu instid0(VALU_DEP_1) | instskip(SKIP_4) | instid1(VALU_DEP_3)
	v_add_f32_e32 v1, v1, v4
	s_wait_loadcnt_dscnt 0x0
	v_mul_f32_e32 v26, v21, v18
	v_mul_f32_e32 v143, v13, v10
	;; [unrolled: 1-line block ×3, first 2 shown]
	v_dual_mul_f32 v5, v24, v20 :: v_dual_fmac_f32 v26, v22, v17
	s_delay_alu instid0(VALU_DEP_3) | instskip(NEXT) | instid1(VALU_DEP_3)
	v_fmac_f32_e32 v143, v14, v9
	v_fma_f32 v3, v21, v17, -v3
	s_delay_alu instid0(VALU_DEP_3) | instskip(NEXT) | instid1(VALU_DEP_3)
	v_fma_f32 v4, v23, v19, -v5
	v_add_f32_e32 v2, v2, v143
	s_delay_alu instid0(VALU_DEP_3) | instskip(NEXT) | instid1(VALU_DEP_2)
	v_add_f32_e32 v1, v1, v3
	v_dual_add_f32 v2, v2, v147 :: v_dual_mul_f32 v29, v23, v20
	s_delay_alu instid0(VALU_DEP_1) | instskip(NEXT) | instid1(VALU_DEP_2)
	v_dual_add_f32 v1, v1, v4 :: v_dual_add_f32 v2, v2, v26
	v_fmac_f32_e32 v29, v24, v19
	s_delay_alu instid0(VALU_DEP_2) | instskip(NEXT) | instid1(VALU_DEP_2)
	v_sub_f32_e32 v1, v144, v1
	v_add_f32_e32 v2, v2, v29
	s_delay_alu instid0(VALU_DEP_1)
	v_sub_f32_e32 v2, v145, v2
	scratch_store_b64 off, v[1:2], off offset:120
	v_cmpx_lt_u32_e32 14, v0
	s_cbranch_execz .LBB117_309
; %bb.308:
	scratch_load_b64 v[1:2], off, off offset:112
	v_mov_b32_e32 v3, 0
	s_delay_alu instid0(VALU_DEP_1)
	v_mov_b32_e32 v4, v3
	scratch_store_b64 off, v[3:4], off offset:112
	s_wait_loadcnt 0x0
	ds_store_b64 v27, v[1:2]
.LBB117_309:
	s_wait_alu 0xfffe
	s_or_b32 exec_lo, exec_lo, s0
	s_wait_storecnt_dscnt 0x0
	s_barrier_signal -1
	s_barrier_wait -1
	global_inv scope:SCOPE_SE
	s_clause 0x4
	scratch_load_b128 v[5:8], off, off offset:120
	scratch_load_b128 v[1:4], off, off offset:136
	;; [unrolled: 1-line block ×5, first 2 shown]
	v_mov_b32_e32 v21, 0
	ds_load_2addr_b64 v[22:25], v21 offset0:69 offset1:70
	ds_load_2addr_b64 v[28:31], v21 offset0:71 offset1:72
	;; [unrolled: 1-line block ×3, first 2 shown]
	scratch_load_b64 v[144:145], off, off offset:112
	s_mov_b32 s0, exec_lo
	s_wait_loadcnt_dscnt 0x502
	v_dual_mul_f32 v146, v22, v6 :: v_dual_mul_f32 v147, v24, v8
	v_mul_f32_e32 v26, v23, v6
	v_mul_f32_e32 v6, v25, v8
	s_wait_loadcnt_dscnt 0x300
	v_mul_f32_e32 v148, v142, v12
	v_dual_fmac_f32 v146, v23, v5 :: v_dual_fmac_f32 v147, v25, v7
	v_mul_f32_e32 v25, v30, v4
	v_fma_f32 v22, v22, v5, -v26
	v_mul_f32_e32 v26, v140, v10
	v_mul_f32_e32 v4, v31, v4
	s_delay_alu instid0(VALU_DEP_4)
	v_dual_mul_f32 v10, v141, v10 :: v_dual_fmac_f32 v25, v31, v3
	v_fma_f32 v23, v24, v7, -v6
	ds_load_2addr_b64 v[5:8], v21 offset0:75 offset1:76
	v_mul_f32_e32 v24, v28, v2
	v_mul_f32_e32 v12, v143, v12
	v_mul_f32_e32 v2, v29, v2
	v_fmac_f32_e32 v26, v141, v9
	v_fmac_f32_e32 v148, v143, v11
	;; [unrolled: 1-line block ×3, first 2 shown]
	v_fma_f32 v29, v30, v3, -v4
	v_fma_f32 v30, v140, v9, -v10
	;; [unrolled: 1-line block ×3, first 2 shown]
	ds_load_2addr_b64 v[9:12], v21 offset0:77 offset1:78
	s_wait_loadcnt_dscnt 0x201
	v_dual_mul_f32 v141, v7, v16 :: v_dual_mul_f32 v140, v5, v14
	v_mul_f32_e32 v14, v6, v14
	v_mul_f32_e32 v16, v8, v16
	s_delay_alu instid0(VALU_DEP_3)
	v_fmac_f32_e32 v141, v8, v15
	v_fma_f32 v28, v28, v1, -v2
	scratch_load_b128 v[1:4], off, off offset:200
	v_fmac_f32_e32 v140, v6, v13
	v_fma_f32 v13, v5, v13, -v14
	v_fma_f32 v14, v7, v15, -v16
	s_wait_loadcnt_dscnt 0x200
	v_mul_f32_e32 v15, v9, v18
	v_mul_f32_e32 v16, v10, v18
	;; [unrolled: 1-line block ×4, first 2 shown]
	ds_load_2addr_b64 v[5:8], v21 offset0:79 offset1:80
	v_fmac_f32_e32 v15, v10, v17
	v_fma_f32 v16, v9, v17, -v16
	v_fmac_f32_e32 v18, v12, v19
	v_fma_f32 v17, v11, v19, -v20
	scratch_load_b128 v[9:12], off, off offset:216
	s_wait_loadcnt_dscnt 0x100
	v_mul_f32_e32 v19, v5, v2
	v_mul_f32_e32 v2, v6, v2
	v_mul_f32_e32 v20, v7, v4
	s_delay_alu instid0(VALU_DEP_3) | instskip(NEXT) | instid1(VALU_DEP_3)
	v_dual_mul_f32 v4, v8, v4 :: v_dual_fmac_f32 v19, v6, v1
	v_fma_f32 v142, v5, v1, -v2
	s_delay_alu instid0(VALU_DEP_3) | instskip(NEXT) | instid1(VALU_DEP_3)
	v_fmac_f32_e32 v20, v8, v3
	v_fma_f32 v143, v7, v3, -v4
	ds_load_2addr_b64 v[1:4], v21 offset0:81 offset1:82
	ds_load_2addr_b64 v[5:8], v21 offset0:83 offset1:84
	s_wait_loadcnt_dscnt 0x1
	v_mul_f32_e32 v149, v1, v10
	v_mul_f32_e32 v10, v2, v10
	s_delay_alu instid0(VALU_DEP_2) | instskip(NEXT) | instid1(VALU_DEP_2)
	v_dual_mul_f32 v150, v3, v12 :: v_dual_fmac_f32 v149, v2, v9
	v_fma_f32 v151, v1, v9, -v10
	v_mul_f32_e32 v1, v4, v12
	s_delay_alu instid0(VALU_DEP_3) | instskip(NEXT) | instid1(VALU_DEP_2)
	v_fmac_f32_e32 v150, v4, v11
	v_fma_f32 v152, v3, v11, -v1
	s_clause 0x1
	scratch_load_b128 v[1:4], off, off offset:232
	scratch_load_b128 v[9:12], off, off offset:248
	s_wait_loadcnt_dscnt 0x100
	v_mul_f32_e32 v153, v5, v2
	v_dual_mul_f32 v2, v6, v2 :: v_dual_mul_f32 v155, v7, v4
	s_delay_alu instid0(VALU_DEP_2) | instskip(NEXT) | instid1(VALU_DEP_2)
	v_fmac_f32_e32 v153, v6, v1
	v_fma_f32 v154, v5, v1, -v2
	v_mul_f32_e32 v1, v8, v4
	s_delay_alu instid0(VALU_DEP_4) | instskip(NEXT) | instid1(VALU_DEP_2)
	v_fmac_f32_e32 v155, v8, v3
	v_fma_f32 v156, v7, v3, -v1
	ds_load_2addr_b64 v[1:4], v21 offset0:85 offset1:86
	ds_load_2addr_b64 v[5:8], v21 offset0:87 offset1:88
	s_wait_loadcnt_dscnt 0x1
	v_mul_f32_e32 v157, v1, v10
	v_mul_f32_e32 v159, v3, v12
	s_delay_alu instid0(VALU_DEP_2) | instskip(NEXT) | instid1(VALU_DEP_2)
	v_fmac_f32_e32 v157, v2, v9
	v_dual_mul_f32 v2, v2, v10 :: v_dual_fmac_f32 v159, v4, v11
	s_delay_alu instid0(VALU_DEP_1) | instskip(SKIP_1) | instid1(VALU_DEP_1)
	v_fma_f32 v158, v1, v9, -v2
	v_mul_f32_e32 v1, v4, v12
	v_fma_f32 v160, v3, v11, -v1
	s_clause 0x1
	scratch_load_b128 v[1:4], off, off offset:264
	scratch_load_b128 v[9:12], off, off offset:280
	s_wait_loadcnt_dscnt 0x100
	v_mul_f32_e32 v161, v5, v2
	v_dual_mul_f32 v2, v6, v2 :: v_dual_mul_f32 v163, v7, v4
	s_delay_alu instid0(VALU_DEP_2) | instskip(NEXT) | instid1(VALU_DEP_2)
	v_fmac_f32_e32 v161, v6, v1
	v_fma_f32 v162, v5, v1, -v2
	v_mul_f32_e32 v1, v8, v4
	s_delay_alu instid0(VALU_DEP_4) | instskip(NEXT) | instid1(VALU_DEP_2)
	v_fmac_f32_e32 v163, v8, v3
	v_fma_f32 v164, v7, v3, -v1
	ds_load_2addr_b64 v[1:4], v21 offset0:89 offset1:90
	ds_load_2addr_b64 v[5:8], v21 offset0:91 offset1:92
	s_wait_loadcnt_dscnt 0x1
	v_mul_f32_e32 v165, v1, v10
	v_mul_f32_e32 v167, v3, v12
	s_delay_alu instid0(VALU_DEP_2) | instskip(NEXT) | instid1(VALU_DEP_2)
	v_fmac_f32_e32 v165, v2, v9
	v_dual_mul_f32 v2, v2, v10 :: v_dual_fmac_f32 v167, v4, v11
	s_delay_alu instid0(VALU_DEP_1) | instskip(SKIP_1) | instid1(VALU_DEP_1)
	v_fma_f32 v166, v1, v9, -v2
	v_mul_f32_e32 v1, v4, v12
	;; [unrolled: 25-line block ×3, first 2 shown]
	v_fma_f32 v176, v3, v11, -v1
	s_clause 0x1
	scratch_load_b128 v[1:4], off, off offset:328
	scratch_load_b128 v[9:12], off, off offset:344
	s_wait_loadcnt_dscnt 0x100
	v_mul_f32_e32 v177, v5, v2
	v_mul_f32_e32 v2, v6, v2
	s_delay_alu instid0(VALU_DEP_1) | instskip(SKIP_1) | instid1(VALU_DEP_1)
	v_fma_f32 v178, v5, v1, -v2
	v_add_f32_e32 v2, 0, v146
	v_add_f32_e32 v2, v2, v147
	s_delay_alu instid0(VALU_DEP_1) | instskip(NEXT) | instid1(VALU_DEP_1)
	v_add_f32_e32 v2, v2, v24
	v_add_f32_e32 v2, v2, v25
	s_delay_alu instid0(VALU_DEP_1) | instskip(NEXT) | instid1(VALU_DEP_1)
	v_add_f32_e32 v2, v2, v26
	v_add_f32_e32 v2, v2, v148
	v_fmac_f32_e32 v177, v6, v1
	s_delay_alu instid0(VALU_DEP_2) | instskip(NEXT) | instid1(VALU_DEP_1)
	v_add_f32_e32 v2, v2, v140
	v_dual_add_f32 v2, v2, v141 :: v_dual_mul_f32 v179, v7, v4
	s_delay_alu instid0(VALU_DEP_1) | instskip(NEXT) | instid1(VALU_DEP_1)
	v_add_f32_e32 v2, v2, v15
	v_dual_fmac_f32 v179, v8, v3 :: v_dual_add_f32 v2, v2, v18
	s_delay_alu instid0(VALU_DEP_1) | instskip(NEXT) | instid1(VALU_DEP_1)
	v_dual_mul_f32 v1, v8, v4 :: v_dual_add_f32 v2, v2, v19
	v_fma_f32 v180, v7, v3, -v1
	s_delay_alu instid0(VALU_DEP_2) | instskip(NEXT) | instid1(VALU_DEP_1)
	v_dual_add_f32 v1, 0, v22 :: v_dual_add_f32 v2, v2, v20
	v_dual_add_f32 v1, v1, v23 :: v_dual_add_f32 v2, v2, v149
	s_delay_alu instid0(VALU_DEP_1) | instskip(NEXT) | instid1(VALU_DEP_2)
	v_add_f32_e32 v1, v1, v28
	v_add_f32_e32 v5, v2, v150
	s_delay_alu instid0(VALU_DEP_2) | instskip(SKIP_2) | instid1(VALU_DEP_1)
	v_add_f32_e32 v1, v1, v29
	scratch_load_b64 v[28:29], off, off offset:424
	v_add_f32_e32 v1, v1, v30
	v_add_f32_e32 v1, v1, v31
	s_delay_alu instid0(VALU_DEP_1) | instskip(SKIP_1) | instid1(VALU_DEP_2)
	v_add_f32_e32 v1, v1, v13
	v_add_f32_e32 v13, v5, v153
	v_add_f32_e32 v1, v1, v14
	s_delay_alu instid0(VALU_DEP_2) | instskip(NEXT) | instid1(VALU_DEP_2)
	v_add_f32_e32 v13, v13, v155
	v_add_f32_e32 v1, v1, v16
	s_delay_alu instid0(VALU_DEP_2) | instskip(NEXT) | instid1(VALU_DEP_2)
	v_add_f32_e32 v13, v13, v157
	v_add_f32_e32 v1, v1, v17
	s_delay_alu instid0(VALU_DEP_2) | instskip(NEXT) | instid1(VALU_DEP_1)
	v_add_f32_e32 v18, v13, v159
	v_dual_add_f32 v1, v1, v142 :: v_dual_add_f32 v18, v18, v161
	s_delay_alu instid0(VALU_DEP_1) | instskip(NEXT) | instid1(VALU_DEP_1)
	v_add_f32_e32 v18, v18, v163
	v_dual_add_f32 v1, v1, v143 :: v_dual_add_f32 v22, v18, v165
	s_delay_alu instid0(VALU_DEP_1) | instskip(NEXT) | instid1(VALU_DEP_2)
	v_add_f32_e32 v22, v22, v167
	v_add_f32_e32 v1, v1, v151
	s_delay_alu instid0(VALU_DEP_1) | instskip(NEXT) | instid1(VALU_DEP_1)
	v_add_f32_e32 v1, v1, v152
	v_add_f32_e32 v6, v1, v154
	scratch_load_b128 v[1:4], off, off offset:360
	v_add_f32_e32 v22, v22, v169
	v_add_f32_e32 v14, v6, v156
	ds_load_2addr_b64 v[5:8], v21 offset0:97 offset1:98
	v_add_f32_e32 v22, v22, v171
	v_add_f32_e32 v14, v14, v158
	s_delay_alu instid0(VALU_DEP_1)
	v_add_f32_e32 v17, v14, v160
	ds_load_2addr_b64 v[13:16], v21 offset0:99 offset1:100
	s_wait_loadcnt_dscnt 0x201
	v_mul_f32_e32 v26, v5, v10
	v_mul_f32_e32 v10, v6, v10
	;; [unrolled: 1-line block ×4, first 2 shown]
	s_delay_alu instid0(VALU_DEP_4) | instskip(NEXT) | instid1(VALU_DEP_4)
	v_fmac_f32_e32 v26, v6, v9
	v_fma_f32 v141, v5, v9, -v10
	s_delay_alu instid0(VALU_DEP_4) | instskip(NEXT) | instid1(VALU_DEP_4)
	v_fmac_f32_e32 v140, v8, v11
	v_fma_f32 v142, v7, v11, -v12
	s_clause 0x1
	scratch_load_b128 v[5:8], off, off offset:376
	scratch_load_b128 v[9:12], off, off offset:392
	s_wait_loadcnt_dscnt 0x200
	v_dual_mul_f32 v146, v15, v4 :: v_dual_mul_f32 v143, v13, v2
	v_mul_f32_e32 v2, v14, v2
	v_mul_f32_e32 v4, v16, v4
	s_delay_alu instid0(VALU_DEP_3) | instskip(NEXT) | instid1(VALU_DEP_3)
	v_dual_fmac_f32 v146, v16, v3 :: v_dual_add_f32 v17, v17, v162
	v_fma_f32 v147, v13, v1, -v2
	v_add_f32_e32 v13, v22, v173
	v_fmac_f32_e32 v143, v14, v1
	v_fma_f32 v148, v15, v3, -v4
	v_add_f32_e32 v17, v17, v164
	ds_load_2addr_b64 v[1:4], v21 offset0:101 offset1:102
	v_add_f32_e32 v22, v13, v175
	v_add_f32_e32 v17, v17, v166
	s_delay_alu instid0(VALU_DEP_2) | instskip(NEXT) | instid1(VALU_DEP_2)
	v_add_f32_e32 v31, v22, v177
	v_add_f32_e32 v23, v17, v168
	scratch_load_b128 v[17:20], off, off offset:408
	v_add_f32_e32 v150, v31, v179
	s_delay_alu instid0(VALU_DEP_1) | instskip(NEXT) | instid1(VALU_DEP_1)
	v_add_f32_e32 v26, v150, v26
	v_dual_add_f32 v23, v23, v170 :: v_dual_add_f32 v26, v26, v140
	s_delay_alu instid0(VALU_DEP_1) | instskip(NEXT) | instid1(VALU_DEP_1)
	v_dual_add_f32 v23, v23, v172 :: v_dual_add_f32 v26, v26, v143
	v_add_f32_e32 v23, v23, v174
	s_delay_alu instid0(VALU_DEP_2) | instskip(NEXT) | instid1(VALU_DEP_2)
	v_add_f32_e32 v26, v26, v146
	v_add_f32_e32 v14, v23, v176
	ds_load_2addr_b64 v[22:25], v21 offset0:105 offset1:106
	v_add_f32_e32 v30, v14, v178
	ds_load_2addr_b64 v[13:16], v21 offset0:103 offset1:104
	s_wait_loadcnt_dscnt 0x202
	v_mul_f32_e32 v140, v3, v8
	v_mul_f32_e32 v8, v4, v8
	v_add_f32_e32 v149, v30, v180
	ds_load_b64 v[30:31], v21 offset:856
	v_dual_fmac_f32 v140, v4, v7 :: v_dual_add_f32 v141, v149, v141
	v_mul_f32_e32 v149, v1, v6
	v_mul_f32_e32 v6, v2, v6
	s_delay_alu instid0(VALU_DEP_1)
	v_fma_f32 v1, v1, v5, -v6
	s_wait_loadcnt_dscnt 0x100
	v_dual_mul_f32 v143, v15, v12 :: v_dual_mul_f32 v146, v30, v29
	v_fmac_f32_e32 v149, v2, v5
	v_add_f32_e32 v141, v141, v142
	v_mul_f32_e32 v142, v13, v10
	v_fma_f32 v2, v3, v7, -v8
	v_dual_fmac_f32 v143, v16, v11 :: v_dual_fmac_f32 v146, v31, v28
	s_delay_alu instid0(VALU_DEP_4) | instskip(NEXT) | instid1(VALU_DEP_1)
	v_dual_add_f32 v4, v26, v149 :: v_dual_add_f32 v141, v141, v147
	v_dual_fmac_f32 v142, v14, v9 :: v_dual_add_f32 v141, v141, v148
	s_delay_alu instid0(VALU_DEP_1) | instskip(NEXT) | instid1(VALU_DEP_1)
	v_add_f32_e32 v1, v141, v1
	v_dual_add_f32 v1, v1, v2 :: v_dual_add_f32 v2, v4, v140
	s_delay_alu instid0(VALU_DEP_1) | instskip(NEXT) | instid1(VALU_DEP_1)
	v_dual_add_f32 v2, v2, v142 :: v_dual_mul_f32 v5, v16, v12
	v_add_f32_e32 v2, v2, v143
	s_delay_alu instid0(VALU_DEP_2) | instskip(SKIP_4) | instid1(VALU_DEP_3)
	v_fma_f32 v5, v15, v11, -v5
	s_wait_loadcnt 0x0
	v_dual_mul_f32 v147, v22, v18 :: v_dual_mul_f32 v148, v24, v20
	v_mul_f32_e32 v3, v14, v10
	v_mul_f32_e32 v4, v23, v18
	v_dual_fmac_f32 v147, v23, v17 :: v_dual_fmac_f32 v148, v25, v19
	s_delay_alu instid0(VALU_DEP_3) | instskip(NEXT) | instid1(VALU_DEP_3)
	v_fma_f32 v3, v13, v9, -v3
	v_fma_f32 v4, v22, v17, -v4
	s_delay_alu instid0(VALU_DEP_3) | instskip(NEXT) | instid1(VALU_DEP_1)
	v_add_f32_e32 v2, v2, v147
	v_dual_add_f32 v1, v1, v3 :: v_dual_add_f32 v2, v2, v148
	v_mul_f32_e32 v3, v25, v20
	s_delay_alu instid0(VALU_DEP_2) | instskip(NEXT) | instid1(VALU_DEP_3)
	v_add_f32_e32 v1, v1, v5
	v_dual_mul_f32 v5, v31, v29 :: v_dual_add_f32 v2, v2, v146
	s_delay_alu instid0(VALU_DEP_3) | instskip(NEXT) | instid1(VALU_DEP_3)
	v_fma_f32 v3, v24, v19, -v3
	v_add_f32_e32 v1, v1, v4
	s_delay_alu instid0(VALU_DEP_3) | instskip(NEXT) | instid1(VALU_DEP_4)
	v_fma_f32 v4, v30, v28, -v5
	v_sub_f32_e32 v2, v145, v2
	s_delay_alu instid0(VALU_DEP_3) | instskip(NEXT) | instid1(VALU_DEP_1)
	v_add_f32_e32 v1, v1, v3
	v_add_f32_e32 v1, v1, v4
	s_delay_alu instid0(VALU_DEP_1)
	v_sub_f32_e32 v1, v144, v1
	scratch_store_b64 off, v[1:2], off offset:112
	v_cmpx_lt_u32_e32 13, v0
	s_cbranch_execz .LBB117_311
; %bb.310:
	scratch_load_b64 v[1:2], off, off offset:104
	v_mov_b32_e32 v22, v21
	scratch_store_b64 off, v[21:22], off offset:104
	s_wait_loadcnt 0x0
	ds_store_b64 v27, v[1:2]
.LBB117_311:
	s_wait_alu 0xfffe
	s_or_b32 exec_lo, exec_lo, s0
	s_wait_storecnt_dscnt 0x0
	s_barrier_signal -1
	s_barrier_wait -1
	global_inv scope:SCOPE_SE
	s_clause 0x4
	scratch_load_b128 v[5:8], off, off offset:112
	scratch_load_b128 v[1:4], off, off offset:128
	scratch_load_b128 v[9:12], off, off offset:144
	scratch_load_b128 v[13:16], off, off offset:160
	scratch_load_b128 v[17:20], off, off offset:176
	ds_load_b128 v[22:25], v21 offset:544
	ds_load_b128 v[28:31], v21 offset:560
	;; [unrolled: 1-line block ×3, first 2 shown]
	scratch_load_b64 v[144:145], off, off offset:104
	s_mov_b32 s0, exec_lo
	s_wait_loadcnt_dscnt 0x502
	v_dual_mul_f32 v26, v23, v6 :: v_dual_mul_f32 v147, v24, v8
	v_mul_f32_e32 v146, v22, v6
	v_mul_f32_e32 v6, v25, v8
	s_wait_loadcnt_dscnt 0x300
	v_mul_f32_e32 v148, v142, v12
	v_fma_f32 v22, v22, v5, -v26
	v_dual_fmac_f32 v147, v25, v7 :: v_dual_fmac_f32 v146, v23, v5
	v_mul_f32_e32 v25, v30, v4
	v_mul_f32_e32 v4, v31, v4
	;; [unrolled: 1-line block ×5, first 2 shown]
	v_fmac_f32_e32 v25, v31, v3
	v_fma_f32 v23, v24, v7, -v6
	ds_load_b128 v[5:8], v21 offset:592
	v_mul_f32_e32 v24, v28, v2
	v_mul_f32_e32 v2, v29, v2
	v_fmac_f32_e32 v26, v141, v9
	v_fmac_f32_e32 v148, v143, v11
	v_fma_f32 v31, v142, v11, -v12
	v_fmac_f32_e32 v24, v29, v1
	v_fma_f32 v29, v30, v3, -v4
	v_fma_f32 v30, v140, v9, -v10
	ds_load_b128 v[9:12], v21 offset:608
	s_wait_loadcnt_dscnt 0x201
	v_dual_mul_f32 v141, v7, v16 :: v_dual_mul_f32 v140, v5, v14
	v_mul_f32_e32 v14, v6, v14
	v_mul_f32_e32 v16, v8, v16
	s_delay_alu instid0(VALU_DEP_3)
	v_fmac_f32_e32 v141, v8, v15
	v_fma_f32 v28, v28, v1, -v2
	scratch_load_b128 v[1:4], off, off offset:192
	v_fmac_f32_e32 v140, v6, v13
	v_fma_f32 v13, v5, v13, -v14
	v_fma_f32 v14, v7, v15, -v16
	s_wait_loadcnt_dscnt 0x200
	v_mul_f32_e32 v15, v9, v18
	v_mul_f32_e32 v16, v10, v18
	;; [unrolled: 1-line block ×4, first 2 shown]
	ds_load_b128 v[5:8], v21 offset:624
	v_fmac_f32_e32 v15, v10, v17
	v_fma_f32 v16, v9, v17, -v16
	v_fmac_f32_e32 v18, v12, v19
	v_fma_f32 v17, v11, v19, -v20
	scratch_load_b128 v[9:12], off, off offset:208
	s_wait_loadcnt_dscnt 0x100
	v_mul_f32_e32 v19, v5, v2
	v_mul_f32_e32 v2, v6, v2
	;; [unrolled: 1-line block ×3, first 2 shown]
	s_delay_alu instid0(VALU_DEP_3) | instskip(NEXT) | instid1(VALU_DEP_3)
	v_dual_mul_f32 v4, v8, v4 :: v_dual_fmac_f32 v19, v6, v1
	v_fma_f32 v142, v5, v1, -v2
	s_delay_alu instid0(VALU_DEP_3) | instskip(NEXT) | instid1(VALU_DEP_3)
	v_fmac_f32_e32 v20, v8, v3
	v_fma_f32 v143, v7, v3, -v4
	ds_load_b128 v[1:4], v21 offset:640
	ds_load_b128 v[5:8], v21 offset:656
	s_wait_loadcnt_dscnt 0x1
	v_mul_f32_e32 v149, v1, v10
	v_mul_f32_e32 v10, v2, v10
	s_delay_alu instid0(VALU_DEP_2) | instskip(NEXT) | instid1(VALU_DEP_2)
	v_dual_mul_f32 v150, v3, v12 :: v_dual_fmac_f32 v149, v2, v9
	v_fma_f32 v151, v1, v9, -v10
	v_mul_f32_e32 v1, v4, v12
	s_delay_alu instid0(VALU_DEP_3) | instskip(NEXT) | instid1(VALU_DEP_2)
	v_fmac_f32_e32 v150, v4, v11
	v_fma_f32 v152, v3, v11, -v1
	s_clause 0x1
	scratch_load_b128 v[1:4], off, off offset:224
	scratch_load_b128 v[9:12], off, off offset:240
	s_wait_loadcnt_dscnt 0x100
	v_mul_f32_e32 v153, v5, v2
	v_dual_mul_f32 v2, v6, v2 :: v_dual_mul_f32 v155, v7, v4
	s_delay_alu instid0(VALU_DEP_2) | instskip(NEXT) | instid1(VALU_DEP_2)
	v_fmac_f32_e32 v153, v6, v1
	v_fma_f32 v154, v5, v1, -v2
	v_mul_f32_e32 v1, v8, v4
	s_delay_alu instid0(VALU_DEP_4) | instskip(NEXT) | instid1(VALU_DEP_2)
	v_fmac_f32_e32 v155, v8, v3
	v_fma_f32 v156, v7, v3, -v1
	ds_load_b128 v[1:4], v21 offset:672
	ds_load_b128 v[5:8], v21 offset:688
	s_wait_loadcnt_dscnt 0x1
	v_mul_f32_e32 v157, v1, v10
	v_mul_f32_e32 v159, v3, v12
	s_delay_alu instid0(VALU_DEP_2) | instskip(NEXT) | instid1(VALU_DEP_2)
	v_fmac_f32_e32 v157, v2, v9
	v_dual_mul_f32 v2, v2, v10 :: v_dual_fmac_f32 v159, v4, v11
	s_delay_alu instid0(VALU_DEP_1) | instskip(SKIP_1) | instid1(VALU_DEP_1)
	v_fma_f32 v158, v1, v9, -v2
	v_mul_f32_e32 v1, v4, v12
	v_fma_f32 v160, v3, v11, -v1
	s_clause 0x1
	scratch_load_b128 v[1:4], off, off offset:256
	scratch_load_b128 v[9:12], off, off offset:272
	s_wait_loadcnt_dscnt 0x100
	v_mul_f32_e32 v161, v5, v2
	v_dual_mul_f32 v2, v6, v2 :: v_dual_mul_f32 v163, v7, v4
	s_delay_alu instid0(VALU_DEP_2) | instskip(NEXT) | instid1(VALU_DEP_2)
	v_fmac_f32_e32 v161, v6, v1
	v_fma_f32 v162, v5, v1, -v2
	v_mul_f32_e32 v1, v8, v4
	s_delay_alu instid0(VALU_DEP_4) | instskip(NEXT) | instid1(VALU_DEP_2)
	v_fmac_f32_e32 v163, v8, v3
	v_fma_f32 v164, v7, v3, -v1
	ds_load_b128 v[1:4], v21 offset:704
	ds_load_b128 v[5:8], v21 offset:720
	s_wait_loadcnt_dscnt 0x1
	v_mul_f32_e32 v165, v1, v10
	v_mul_f32_e32 v167, v3, v12
	s_delay_alu instid0(VALU_DEP_2) | instskip(NEXT) | instid1(VALU_DEP_2)
	v_fmac_f32_e32 v165, v2, v9
	v_dual_mul_f32 v2, v2, v10 :: v_dual_fmac_f32 v167, v4, v11
	s_delay_alu instid0(VALU_DEP_1) | instskip(SKIP_1) | instid1(VALU_DEP_1)
	v_fma_f32 v166, v1, v9, -v2
	v_mul_f32_e32 v1, v4, v12
	;; [unrolled: 25-line block ×4, first 2 shown]
	v_fma_f32 v184, v3, v11, -v1
	s_clause 0x1
	scratch_load_b128 v[1:4], off, off offset:352
	scratch_load_b128 v[9:12], off, off offset:368
	s_wait_loadcnt_dscnt 0x100
	v_mul_f32_e32 v185, v5, v2
	v_mul_f32_e32 v2, v6, v2
	s_delay_alu instid0(VALU_DEP_1) | instskip(SKIP_1) | instid1(VALU_DEP_1)
	v_fma_f32 v186, v5, v1, -v2
	v_add_f32_e32 v2, 0, v146
	v_add_f32_e32 v2, v2, v147
	s_delay_alu instid0(VALU_DEP_1) | instskip(NEXT) | instid1(VALU_DEP_1)
	v_add_f32_e32 v2, v2, v24
	v_add_f32_e32 v2, v2, v25
	s_delay_alu instid0(VALU_DEP_1) | instskip(NEXT) | instid1(VALU_DEP_1)
	;; [unrolled: 3-line block ×5, first 2 shown]
	v_add_f32_e32 v2, v2, v19
	v_add_f32_e32 v2, v2, v20
	s_delay_alu instid0(VALU_DEP_1) | instskip(SKIP_1) | instid1(VALU_DEP_2)
	v_dual_add_f32 v2, v2, v149 :: v_dual_mul_f32 v187, v7, v4
	v_fmac_f32_e32 v185, v6, v1
	v_dual_add_f32 v2, v2, v150 :: v_dual_fmac_f32 v187, v8, v3
	s_delay_alu instid0(VALU_DEP_1) | instskip(NEXT) | instid1(VALU_DEP_1)
	v_dual_add_f32 v2, v2, v153 :: v_dual_mul_f32 v1, v8, v4
	v_add_f32_e32 v2, v2, v155
	s_delay_alu instid0(VALU_DEP_2) | instskip(SKIP_1) | instid1(VALU_DEP_1)
	v_fma_f32 v188, v7, v3, -v1
	v_add_f32_e32 v1, 0, v22
	v_add_f32_e32 v1, v1, v23
	s_delay_alu instid0(VALU_DEP_1) | instskip(NEXT) | instid1(VALU_DEP_1)
	v_add_f32_e32 v1, v1, v28
	v_add_f32_e32 v1, v1, v29
	s_delay_alu instid0(VALU_DEP_1) | instskip(NEXT) | instid1(VALU_DEP_1)
	;; [unrolled: 3-line block ×10, first 2 shown]
	v_add_f32_e32 v13, v13, v166
	v_add_f32_e32 v13, v13, v168
	s_delay_alu instid0(VALU_DEP_1) | instskip(SKIP_3) | instid1(VALU_DEP_1)
	v_add_f32_e32 v13, v13, v170
	v_add_f32_e32 v5, v2, v157
	ds_load_b128 v[1:4], v21 offset:800
	v_add_f32_e32 v18, v13, v172
	v_dual_add_f32 v5, v5, v159 :: v_dual_add_f32 v18, v18, v174
	s_delay_alu instid0(VALU_DEP_1) | instskip(NEXT) | instid1(VALU_DEP_1)
	v_dual_add_f32 v5, v5, v161 :: v_dual_add_f32 v18, v18, v176
	v_add_f32_e32 v14, v5, v163
	ds_load_b128 v[5:8], v21 offset:816
	v_add_f32_e32 v22, v18, v178
	v_add_f32_e32 v14, v14, v165
	s_wait_loadcnt_dscnt 0x1
	v_mul_f32_e32 v26, v3, v12
	v_mul_f32_e32 v12, v4, v12
	v_add_f32_e32 v30, v22, v180
	v_add_f32_e32 v14, v14, v167
	s_delay_alu instid0(VALU_DEP_4) | instskip(NEXT) | instid1(VALU_DEP_4)
	v_fmac_f32_e32 v26, v4, v11
	v_fma_f32 v29, v3, v11, -v12
	s_delay_alu instid0(VALU_DEP_4) | instskip(NEXT) | instid1(VALU_DEP_4)
	v_add_f32_e32 v30, v30, v182
	v_add_f32_e32 v17, v14, v169
	scratch_load_b128 v[13:16], off, off offset:416
	v_dual_add_f32 v30, v30, v184 :: v_dual_add_f32 v17, v17, v171
	s_delay_alu instid0(VALU_DEP_1) | instskip(NEXT) | instid1(VALU_DEP_1)
	v_dual_add_f32 v30, v30, v186 :: v_dual_add_f32 v17, v17, v173
	v_dual_add_f32 v30, v30, v188 :: v_dual_add_f32 v17, v17, v175
	s_delay_alu instid0(VALU_DEP_1) | instskip(SKIP_3) | instid1(VALU_DEP_2)
	v_add_f32_e32 v23, v17, v177
	ds_load_b128 v[17:20], v21 offset:832
	v_mul_f32_e32 v25, v1, v10
	v_mul_f32_e32 v10, v2, v10
	v_fmac_f32_e32 v25, v2, v9
	s_delay_alu instid0(VALU_DEP_2)
	v_fma_f32 v28, v1, v9, -v10
	s_clause 0x1
	scratch_load_b128 v[1:4], off, off offset:384
	scratch_load_b128 v[9:12], off, off offset:400
	v_add_f32_e32 v28, v30, v28
	s_wait_loadcnt_dscnt 0x101
	v_mul_f32_e32 v140, v5, v2
	s_wait_loadcnt_dscnt 0x0
	v_mul_f32_e32 v142, v17, v10
	v_dual_mul_f32 v2, v6, v2 :: v_dual_mul_f32 v141, v7, v4
	v_mul_f32_e32 v4, v8, v4
	v_dual_fmac_f32 v140, v6, v1 :: v_dual_add_f32 v31, v23, v179
	ds_load_b128 v[21:24], v21 offset:848
	v_fma_f32 v2, v5, v1, -v2
	v_dual_add_f32 v1, v28, v29 :: v_dual_mul_f32 v6, v18, v10
	v_fmac_f32_e32 v141, v8, v3
	v_fma_f32 v3, v7, v3, -v4
	v_mul_f32_e32 v143, v19, v12
	s_delay_alu instid0(VALU_DEP_4) | instskip(NEXT) | instid1(VALU_DEP_2)
	v_dual_add_f32 v1, v1, v2 :: v_dual_mul_f32 v4, v20, v12
	v_dual_fmac_f32 v142, v18, v9 :: v_dual_fmac_f32 v143, v20, v11
	s_delay_alu instid0(VALU_DEP_2) | instskip(NEXT) | instid1(VALU_DEP_3)
	v_add_f32_e32 v1, v1, v3
	v_fma_f32 v4, v19, v11, -v4
	s_wait_dscnt 0x0
	v_mul_f32_e32 v30, v23, v16
	v_mul_f32_e32 v146, v21, v14
	s_delay_alu instid0(VALU_DEP_2) | instskip(SKIP_1) | instid1(VALU_DEP_3)
	v_dual_mul_f32 v3, v22, v14 :: v_dual_fmac_f32 v30, v24, v15
	v_add_f32_e32 v31, v31, v181
	v_fmac_f32_e32 v146, v22, v13
	s_delay_alu instid0(VALU_DEP_3) | instskip(NEXT) | instid1(VALU_DEP_3)
	v_fma_f32 v3, v21, v13, -v3
	v_add_f32_e32 v31, v31, v183
	s_delay_alu instid0(VALU_DEP_1) | instskip(NEXT) | instid1(VALU_DEP_1)
	v_add_f32_e32 v31, v31, v185
	v_add_f32_e32 v31, v31, v187
	s_delay_alu instid0(VALU_DEP_1) | instskip(NEXT) | instid1(VALU_DEP_1)
	v_add_f32_e32 v25, v31, v25
	v_add_f32_e32 v5, v25, v26
	s_delay_alu instid0(VALU_DEP_1) | instskip(SKIP_1) | instid1(VALU_DEP_2)
	v_add_f32_e32 v2, v5, v140
	v_fma_f32 v5, v17, v9, -v6
	v_add_f32_e32 v2, v2, v141
	s_delay_alu instid0(VALU_DEP_2) | instskip(NEXT) | instid1(VALU_DEP_2)
	v_add_f32_e32 v1, v1, v5
	v_dual_mul_f32 v5, v24, v16 :: v_dual_add_f32 v2, v2, v142
	s_delay_alu instid0(VALU_DEP_2) | instskip(NEXT) | instid1(VALU_DEP_2)
	v_add_f32_e32 v1, v1, v4
	v_fma_f32 v4, v23, v15, -v5
	s_delay_alu instid0(VALU_DEP_3) | instskip(NEXT) | instid1(VALU_DEP_1)
	v_add_f32_e32 v2, v2, v143
	v_dual_add_f32 v1, v1, v3 :: v_dual_add_f32 v2, v2, v146
	s_delay_alu instid0(VALU_DEP_1) | instskip(NEXT) | instid1(VALU_DEP_1)
	v_dual_add_f32 v1, v1, v4 :: v_dual_add_f32 v2, v2, v30
	v_dual_sub_f32 v1, v144, v1 :: v_dual_sub_f32 v2, v145, v2
	scratch_store_b64 off, v[1:2], off offset:104
	v_cmpx_lt_u32_e32 12, v0
	s_cbranch_execz .LBB117_313
; %bb.312:
	scratch_load_b64 v[1:2], off, off offset:96
	v_mov_b32_e32 v3, 0
	s_delay_alu instid0(VALU_DEP_1)
	v_mov_b32_e32 v4, v3
	scratch_store_b64 off, v[3:4], off offset:96
	s_wait_loadcnt 0x0
	ds_store_b64 v27, v[1:2]
.LBB117_313:
	s_wait_alu 0xfffe
	s_or_b32 exec_lo, exec_lo, s0
	s_wait_storecnt_dscnt 0x0
	s_barrier_signal -1
	s_barrier_wait -1
	global_inv scope:SCOPE_SE
	s_clause 0x4
	scratch_load_b128 v[5:8], off, off offset:104
	scratch_load_b128 v[1:4], off, off offset:120
	;; [unrolled: 1-line block ×5, first 2 shown]
	v_mov_b32_e32 v21, 0
	ds_load_2addr_b64 v[22:25], v21 offset0:67 offset1:68
	ds_load_2addr_b64 v[28:31], v21 offset0:69 offset1:70
	;; [unrolled: 1-line block ×3, first 2 shown]
	scratch_load_b64 v[144:145], off, off offset:96
	s_mov_b32 s0, exec_lo
	s_wait_loadcnt_dscnt 0x502
	v_dual_mul_f32 v146, v22, v6 :: v_dual_mul_f32 v147, v24, v8
	v_mul_f32_e32 v26, v23, v6
	v_mul_f32_e32 v6, v25, v8
	s_wait_loadcnt_dscnt 0x300
	v_mul_f32_e32 v148, v142, v12
	v_dual_fmac_f32 v146, v23, v5 :: v_dual_fmac_f32 v147, v25, v7
	v_mul_f32_e32 v25, v30, v4
	v_fma_f32 v22, v22, v5, -v26
	v_mul_f32_e32 v26, v140, v10
	v_mul_f32_e32 v4, v31, v4
	s_delay_alu instid0(VALU_DEP_4)
	v_dual_mul_f32 v10, v141, v10 :: v_dual_fmac_f32 v25, v31, v3
	v_fma_f32 v23, v24, v7, -v6
	ds_load_2addr_b64 v[5:8], v21 offset0:73 offset1:74
	v_mul_f32_e32 v24, v28, v2
	v_mul_f32_e32 v12, v143, v12
	v_mul_f32_e32 v2, v29, v2
	v_fmac_f32_e32 v26, v141, v9
	v_fmac_f32_e32 v148, v143, v11
	;; [unrolled: 1-line block ×3, first 2 shown]
	v_fma_f32 v29, v30, v3, -v4
	v_fma_f32 v30, v140, v9, -v10
	;; [unrolled: 1-line block ×3, first 2 shown]
	ds_load_2addr_b64 v[9:12], v21 offset0:75 offset1:76
	s_wait_loadcnt_dscnt 0x201
	v_dual_mul_f32 v141, v7, v16 :: v_dual_mul_f32 v140, v5, v14
	v_mul_f32_e32 v14, v6, v14
	v_mul_f32_e32 v16, v8, v16
	s_delay_alu instid0(VALU_DEP_3)
	v_fmac_f32_e32 v141, v8, v15
	v_fma_f32 v28, v28, v1, -v2
	scratch_load_b128 v[1:4], off, off offset:184
	v_fmac_f32_e32 v140, v6, v13
	v_fma_f32 v13, v5, v13, -v14
	v_fma_f32 v14, v7, v15, -v16
	s_wait_loadcnt_dscnt 0x200
	v_mul_f32_e32 v15, v9, v18
	v_mul_f32_e32 v16, v10, v18
	;; [unrolled: 1-line block ×4, first 2 shown]
	ds_load_2addr_b64 v[5:8], v21 offset0:77 offset1:78
	v_fmac_f32_e32 v15, v10, v17
	v_fma_f32 v16, v9, v17, -v16
	v_fmac_f32_e32 v18, v12, v19
	v_fma_f32 v17, v11, v19, -v20
	scratch_load_b128 v[9:12], off, off offset:200
	s_wait_loadcnt_dscnt 0x100
	v_mul_f32_e32 v19, v5, v2
	v_mul_f32_e32 v2, v6, v2
	;; [unrolled: 1-line block ×3, first 2 shown]
	s_delay_alu instid0(VALU_DEP_3) | instskip(NEXT) | instid1(VALU_DEP_3)
	v_dual_mul_f32 v4, v8, v4 :: v_dual_fmac_f32 v19, v6, v1
	v_fma_f32 v142, v5, v1, -v2
	s_delay_alu instid0(VALU_DEP_3) | instskip(NEXT) | instid1(VALU_DEP_3)
	v_fmac_f32_e32 v20, v8, v3
	v_fma_f32 v143, v7, v3, -v4
	ds_load_2addr_b64 v[1:4], v21 offset0:79 offset1:80
	ds_load_2addr_b64 v[5:8], v21 offset0:81 offset1:82
	s_wait_loadcnt_dscnt 0x1
	v_mul_f32_e32 v149, v1, v10
	v_mul_f32_e32 v10, v2, v10
	s_delay_alu instid0(VALU_DEP_2) | instskip(NEXT) | instid1(VALU_DEP_2)
	v_dual_mul_f32 v150, v3, v12 :: v_dual_fmac_f32 v149, v2, v9
	v_fma_f32 v151, v1, v9, -v10
	v_mul_f32_e32 v1, v4, v12
	s_delay_alu instid0(VALU_DEP_3) | instskip(NEXT) | instid1(VALU_DEP_2)
	v_fmac_f32_e32 v150, v4, v11
	v_fma_f32 v152, v3, v11, -v1
	s_clause 0x1
	scratch_load_b128 v[1:4], off, off offset:216
	scratch_load_b128 v[9:12], off, off offset:232
	s_wait_loadcnt_dscnt 0x100
	v_mul_f32_e32 v153, v5, v2
	v_dual_mul_f32 v2, v6, v2 :: v_dual_mul_f32 v155, v7, v4
	s_delay_alu instid0(VALU_DEP_2) | instskip(NEXT) | instid1(VALU_DEP_2)
	v_fmac_f32_e32 v153, v6, v1
	v_fma_f32 v154, v5, v1, -v2
	v_mul_f32_e32 v1, v8, v4
	s_delay_alu instid0(VALU_DEP_4) | instskip(NEXT) | instid1(VALU_DEP_2)
	v_fmac_f32_e32 v155, v8, v3
	v_fma_f32 v156, v7, v3, -v1
	ds_load_2addr_b64 v[1:4], v21 offset0:83 offset1:84
	ds_load_2addr_b64 v[5:8], v21 offset0:85 offset1:86
	s_wait_loadcnt_dscnt 0x1
	v_mul_f32_e32 v157, v1, v10
	v_mul_f32_e32 v159, v3, v12
	s_delay_alu instid0(VALU_DEP_2) | instskip(NEXT) | instid1(VALU_DEP_2)
	v_fmac_f32_e32 v157, v2, v9
	v_dual_mul_f32 v2, v2, v10 :: v_dual_fmac_f32 v159, v4, v11
	s_delay_alu instid0(VALU_DEP_1) | instskip(SKIP_1) | instid1(VALU_DEP_1)
	v_fma_f32 v158, v1, v9, -v2
	v_mul_f32_e32 v1, v4, v12
	v_fma_f32 v160, v3, v11, -v1
	s_clause 0x1
	scratch_load_b128 v[1:4], off, off offset:248
	scratch_load_b128 v[9:12], off, off offset:264
	s_wait_loadcnt_dscnt 0x100
	v_mul_f32_e32 v161, v5, v2
	v_dual_mul_f32 v2, v6, v2 :: v_dual_mul_f32 v163, v7, v4
	s_delay_alu instid0(VALU_DEP_2) | instskip(NEXT) | instid1(VALU_DEP_2)
	v_fmac_f32_e32 v161, v6, v1
	v_fma_f32 v162, v5, v1, -v2
	v_mul_f32_e32 v1, v8, v4
	s_delay_alu instid0(VALU_DEP_4) | instskip(NEXT) | instid1(VALU_DEP_2)
	v_fmac_f32_e32 v163, v8, v3
	v_fma_f32 v164, v7, v3, -v1
	ds_load_2addr_b64 v[1:4], v21 offset0:87 offset1:88
	ds_load_2addr_b64 v[5:8], v21 offset0:89 offset1:90
	s_wait_loadcnt_dscnt 0x1
	v_mul_f32_e32 v165, v1, v10
	v_mul_f32_e32 v167, v3, v12
	s_delay_alu instid0(VALU_DEP_2) | instskip(NEXT) | instid1(VALU_DEP_2)
	v_fmac_f32_e32 v165, v2, v9
	v_dual_mul_f32 v2, v2, v10 :: v_dual_fmac_f32 v167, v4, v11
	s_delay_alu instid0(VALU_DEP_1) | instskip(SKIP_1) | instid1(VALU_DEP_1)
	v_fma_f32 v166, v1, v9, -v2
	v_mul_f32_e32 v1, v4, v12
	;; [unrolled: 25-line block ×4, first 2 shown]
	v_fma_f32 v184, v3, v11, -v1
	s_clause 0x1
	scratch_load_b128 v[1:4], off, off offset:344
	scratch_load_b128 v[9:12], off, off offset:360
	s_wait_loadcnt_dscnt 0x100
	v_mul_f32_e32 v185, v5, v2
	v_mul_f32_e32 v2, v6, v2
	s_delay_alu instid0(VALU_DEP_1) | instskip(SKIP_1) | instid1(VALU_DEP_1)
	v_fma_f32 v186, v5, v1, -v2
	v_add_f32_e32 v2, 0, v146
	v_add_f32_e32 v2, v2, v147
	s_delay_alu instid0(VALU_DEP_1) | instskip(NEXT) | instid1(VALU_DEP_1)
	v_add_f32_e32 v2, v2, v24
	v_add_f32_e32 v2, v2, v25
	s_delay_alu instid0(VALU_DEP_1) | instskip(NEXT) | instid1(VALU_DEP_1)
	;; [unrolled: 3-line block ×5, first 2 shown]
	v_add_f32_e32 v2, v2, v19
	v_add_f32_e32 v2, v2, v20
	s_delay_alu instid0(VALU_DEP_1) | instskip(SKIP_1) | instid1(VALU_DEP_2)
	v_dual_add_f32 v2, v2, v149 :: v_dual_mul_f32 v187, v7, v4
	v_fmac_f32_e32 v185, v6, v1
	v_dual_add_f32 v2, v2, v150 :: v_dual_fmac_f32 v187, v8, v3
	s_delay_alu instid0(VALU_DEP_1) | instskip(NEXT) | instid1(VALU_DEP_1)
	v_dual_add_f32 v2, v2, v153 :: v_dual_mul_f32 v1, v8, v4
	v_add_f32_e32 v2, v2, v155
	s_delay_alu instid0(VALU_DEP_2) | instskip(SKIP_1) | instid1(VALU_DEP_1)
	v_fma_f32 v188, v7, v3, -v1
	v_add_f32_e32 v1, 0, v22
	v_add_f32_e32 v1, v1, v23
	s_delay_alu instid0(VALU_DEP_1) | instskip(NEXT) | instid1(VALU_DEP_1)
	v_add_f32_e32 v1, v1, v28
	v_add_f32_e32 v1, v1, v29
	scratch_load_b64 v[28:29], off, off offset:424
	v_add_f32_e32 v1, v1, v30
	s_delay_alu instid0(VALU_DEP_1) | instskip(NEXT) | instid1(VALU_DEP_1)
	v_add_f32_e32 v1, v1, v31
	v_add_f32_e32 v1, v1, v13
	s_delay_alu instid0(VALU_DEP_1) | instskip(NEXT) | instid1(VALU_DEP_1)
	v_add_f32_e32 v1, v1, v14
	v_add_f32_e32 v1, v1, v16
	s_delay_alu instid0(VALU_DEP_1) | instskip(NEXT) | instid1(VALU_DEP_1)
	v_add_f32_e32 v1, v1, v17
	v_add_f32_e32 v1, v1, v142
	s_delay_alu instid0(VALU_DEP_1) | instskip(NEXT) | instid1(VALU_DEP_1)
	v_add_f32_e32 v1, v1, v143
	v_add_f32_e32 v1, v1, v151
	s_delay_alu instid0(VALU_DEP_1) | instskip(NEXT) | instid1(VALU_DEP_1)
	v_add_f32_e32 v1, v1, v152
	v_add_f32_e32 v1, v1, v154
	s_delay_alu instid0(VALU_DEP_1) | instskip(NEXT) | instid1(VALU_DEP_1)
	v_add_f32_e32 v1, v1, v156
	v_add_f32_e32 v1, v1, v158
	s_delay_alu instid0(VALU_DEP_1) | instskip(NEXT) | instid1(VALU_DEP_1)
	v_add_f32_e32 v6, v1, v160
	v_add_f32_e32 v6, v6, v162
	s_delay_alu instid0(VALU_DEP_1) | instskip(NEXT) | instid1(VALU_DEP_1)
	v_add_f32_e32 v13, v6, v164
	v_add_f32_e32 v13, v13, v166
	s_delay_alu instid0(VALU_DEP_1) | instskip(NEXT) | instid1(VALU_DEP_1)
	v_add_f32_e32 v13, v13, v168
	v_add_f32_e32 v13, v13, v170
	v_add_f32_e32 v5, v2, v157
	ds_load_2addr_b64 v[1:4], v21 offset0:99 offset1:100
	v_add_f32_e32 v18, v13, v172
	s_delay_alu instid0(VALU_DEP_1) | instskip(NEXT) | instid1(VALU_DEP_1)
	v_dual_add_f32 v5, v5, v159 :: v_dual_add_f32 v18, v18, v174
	v_dual_add_f32 v5, v5, v161 :: v_dual_add_f32 v18, v18, v176
	s_delay_alu instid0(VALU_DEP_1)
	v_add_f32_e32 v14, v5, v163
	ds_load_2addr_b64 v[5:8], v21 offset0:101 offset1:102
	v_add_f32_e32 v18, v18, v178
	v_add_f32_e32 v14, v14, v165
	s_wait_loadcnt_dscnt 0x101
	v_mul_f32_e32 v26, v1, v10
	v_mul_f32_e32 v10, v2, v10
	v_mul_f32_e32 v140, v3, v12
	v_mul_f32_e32 v12, v4, v12
	v_add_f32_e32 v14, v14, v167
	v_fmac_f32_e32 v26, v2, v9
	v_fma_f32 v141, v1, v9, -v10
	v_fmac_f32_e32 v140, v4, v11
	v_fma_f32 v142, v3, v11, -v12
	s_clause 0x1
	scratch_load_b128 v[1:4], off, off offset:376
	scratch_load_b128 v[9:12], off, off offset:392
	v_add_f32_e32 v18, v18, v180
	s_delay_alu instid0(VALU_DEP_1)
	v_add_f32_e32 v30, v18, v182
	s_wait_loadcnt_dscnt 0x100
	v_dual_mul_f32 v148, v7, v4 :: v_dual_add_f32 v17, v14, v169
	scratch_load_b128 v[13:16], off, off offset:408
	v_mul_f32_e32 v147, v5, v2
	v_dual_add_f32 v143, v30, v184 :: v_dual_fmac_f32 v148, v8, v3
	v_dual_add_f32 v17, v17, v171 :: v_dual_mul_f32 v2, v6, v2
	s_delay_alu instid0(VALU_DEP_3) | instskip(NEXT) | instid1(VALU_DEP_3)
	v_fmac_f32_e32 v147, v6, v1
	v_dual_add_f32 v143, v143, v186 :: v_dual_mul_f32 v4, v8, v4
	s_delay_alu instid0(VALU_DEP_3) | instskip(NEXT) | instid1(VALU_DEP_4)
	v_add_f32_e32 v17, v17, v173
	v_fma_f32 v2, v5, v1, -v2
	s_delay_alu instid0(VALU_DEP_3) | instskip(NEXT) | instid1(VALU_DEP_4)
	v_add_f32_e32 v143, v143, v188
	v_fma_f32 v1, v7, v3, -v4
	s_delay_alu instid0(VALU_DEP_4) | instskip(NEXT) | instid1(VALU_DEP_3)
	v_add_f32_e32 v17, v17, v175
	v_add_f32_e32 v141, v143, v141
	s_delay_alu instid0(VALU_DEP_2) | instskip(NEXT) | instid1(VALU_DEP_2)
	v_add_f32_e32 v17, v17, v177
	v_add_f32_e32 v141, v141, v142
	s_delay_alu instid0(VALU_DEP_2)
	v_add_f32_e32 v22, v17, v179
	ds_load_2addr_b64 v[17:20], v21 offset0:103 offset1:104
	v_dual_add_f32 v2, v141, v2 :: v_dual_add_f32 v31, v22, v181
	ds_load_2addr_b64 v[22:25], v21 offset0:105 offset1:106
	v_dual_add_f32 v1, v2, v1 :: v_dual_add_f32 v146, v31, v183
	ds_load_b64 v[30:31], v21 offset:856
	v_add_f32_e32 v146, v146, v185
	s_delay_alu instid0(VALU_DEP_1) | instskip(SKIP_2) | instid1(VALU_DEP_2)
	v_add_f32_e32 v146, v146, v187
	s_wait_loadcnt_dscnt 0x102
	v_mul_f32_e32 v3, v18, v10
	v_dual_mul_f32 v5, v20, v12 :: v_dual_add_f32 v26, v146, v26
	v_mul_f32_e32 v146, v19, v12
	s_delay_alu instid0(VALU_DEP_3) | instskip(NEXT) | instid1(VALU_DEP_3)
	v_fma_f32 v3, v17, v9, -v3
	v_fma_f32 v5, v19, v11, -v5
	s_delay_alu instid0(VALU_DEP_4) | instskip(NEXT) | instid1(VALU_DEP_4)
	v_add_f32_e32 v26, v26, v140
	v_fmac_f32_e32 v146, v20, v11
	s_wait_dscnt 0x0
	v_dual_add_f32 v1, v1, v3 :: v_dual_mul_f32 v140, v30, v29
	s_delay_alu instid0(VALU_DEP_3) | instskip(NEXT) | instid1(VALU_DEP_2)
	v_dual_mul_f32 v143, v17, v10 :: v_dual_add_f32 v4, v26, v147
	v_add_f32_e32 v1, v1, v5
	v_mul_f32_e32 v5, v31, v29
	s_delay_alu instid0(VALU_DEP_3) | instskip(NEXT) | instid1(VALU_DEP_4)
	v_dual_fmac_f32 v140, v31, v28 :: v_dual_fmac_f32 v143, v18, v9
	v_add_f32_e32 v2, v4, v148
	s_delay_alu instid0(VALU_DEP_1) | instskip(NEXT) | instid1(VALU_DEP_1)
	v_add_f32_e32 v2, v2, v143
	v_add_f32_e32 v2, v2, v146
	s_wait_loadcnt 0x0
	v_mul_f32_e32 v149, v22, v14
	v_mul_f32_e32 v4, v23, v14
	v_mul_f32_e32 v142, v24, v16
	v_mul_f32_e32 v3, v25, v16
	s_delay_alu instid0(VALU_DEP_4) | instskip(NEXT) | instid1(VALU_DEP_4)
	v_fmac_f32_e32 v149, v23, v13
	v_fma_f32 v4, v22, v13, -v4
	s_delay_alu instid0(VALU_DEP_4) | instskip(NEXT) | instid1(VALU_DEP_4)
	v_fmac_f32_e32 v142, v25, v15
	v_fma_f32 v3, v24, v15, -v3
	s_delay_alu instid0(VALU_DEP_3) | instskip(SKIP_1) | instid1(VALU_DEP_2)
	v_dual_add_f32 v2, v2, v149 :: v_dual_add_f32 v1, v1, v4
	v_fma_f32 v4, v30, v28, -v5
	v_dual_add_f32 v2, v2, v142 :: v_dual_add_f32 v1, v1, v3
	s_delay_alu instid0(VALU_DEP_1) | instskip(NEXT) | instid1(VALU_DEP_2)
	v_add_f32_e32 v2, v2, v140
	v_add_f32_e32 v1, v1, v4
	s_delay_alu instid0(VALU_DEP_1)
	v_dual_sub_f32 v2, v145, v2 :: v_dual_sub_f32 v1, v144, v1
	scratch_store_b64 off, v[1:2], off offset:96
	v_cmpx_lt_u32_e32 11, v0
	s_cbranch_execz .LBB117_315
; %bb.314:
	scratch_load_b64 v[1:2], off, off offset:88
	v_mov_b32_e32 v22, v21
	scratch_store_b64 off, v[21:22], off offset:88
	s_wait_loadcnt 0x0
	ds_store_b64 v27, v[1:2]
.LBB117_315:
	s_wait_alu 0xfffe
	s_or_b32 exec_lo, exec_lo, s0
	s_wait_storecnt_dscnt 0x0
	s_barrier_signal -1
	s_barrier_wait -1
	global_inv scope:SCOPE_SE
	s_clause 0x4
	scratch_load_b128 v[5:8], off, off offset:96
	scratch_load_b128 v[1:4], off, off offset:112
	;; [unrolled: 1-line block ×5, first 2 shown]
	ds_load_b128 v[22:25], v21 offset:528
	ds_load_b128 v[28:31], v21 offset:544
	;; [unrolled: 1-line block ×3, first 2 shown]
	scratch_load_b64 v[144:145], off, off offset:88
	s_mov_b32 s0, exec_lo
	s_wait_loadcnt_dscnt 0x502
	v_dual_mul_f32 v26, v23, v6 :: v_dual_mul_f32 v147, v24, v8
	v_mul_f32_e32 v146, v22, v6
	v_mul_f32_e32 v6, v25, v8
	s_wait_loadcnt_dscnt 0x300
	v_mul_f32_e32 v148, v142, v12
	v_fma_f32 v22, v22, v5, -v26
	v_dual_fmac_f32 v147, v25, v7 :: v_dual_fmac_f32 v146, v23, v5
	v_mul_f32_e32 v25, v30, v4
	v_mul_f32_e32 v4, v31, v4
	v_mul_f32_e32 v26, v140, v10
	v_mul_f32_e32 v10, v141, v10
	v_mul_f32_e32 v12, v143, v12
	v_fmac_f32_e32 v25, v31, v3
	v_fma_f32 v23, v24, v7, -v6
	ds_load_b128 v[5:8], v21 offset:576
	v_mul_f32_e32 v24, v28, v2
	v_mul_f32_e32 v2, v29, v2
	v_fmac_f32_e32 v26, v141, v9
	v_fmac_f32_e32 v148, v143, v11
	v_fma_f32 v31, v142, v11, -v12
	v_fmac_f32_e32 v24, v29, v1
	v_fma_f32 v29, v30, v3, -v4
	v_fma_f32 v30, v140, v9, -v10
	ds_load_b128 v[9:12], v21 offset:592
	s_wait_loadcnt_dscnt 0x201
	v_dual_mul_f32 v141, v7, v16 :: v_dual_mul_f32 v140, v5, v14
	v_mul_f32_e32 v14, v6, v14
	v_mul_f32_e32 v16, v8, v16
	s_delay_alu instid0(VALU_DEP_3)
	v_fmac_f32_e32 v141, v8, v15
	v_fma_f32 v28, v28, v1, -v2
	scratch_load_b128 v[1:4], off, off offset:176
	v_fmac_f32_e32 v140, v6, v13
	v_fma_f32 v13, v5, v13, -v14
	v_fma_f32 v14, v7, v15, -v16
	s_wait_loadcnt_dscnt 0x200
	v_mul_f32_e32 v15, v9, v18
	v_mul_f32_e32 v16, v10, v18
	;; [unrolled: 1-line block ×4, first 2 shown]
	ds_load_b128 v[5:8], v21 offset:608
	v_fmac_f32_e32 v15, v10, v17
	v_fma_f32 v16, v9, v17, -v16
	v_fmac_f32_e32 v18, v12, v19
	v_fma_f32 v17, v11, v19, -v20
	scratch_load_b128 v[9:12], off, off offset:192
	s_wait_loadcnt_dscnt 0x100
	v_mul_f32_e32 v19, v5, v2
	v_mul_f32_e32 v2, v6, v2
	;; [unrolled: 1-line block ×3, first 2 shown]
	s_delay_alu instid0(VALU_DEP_3) | instskip(NEXT) | instid1(VALU_DEP_3)
	v_dual_mul_f32 v4, v8, v4 :: v_dual_fmac_f32 v19, v6, v1
	v_fma_f32 v142, v5, v1, -v2
	s_delay_alu instid0(VALU_DEP_3) | instskip(NEXT) | instid1(VALU_DEP_3)
	v_fmac_f32_e32 v20, v8, v3
	v_fma_f32 v143, v7, v3, -v4
	ds_load_b128 v[1:4], v21 offset:624
	ds_load_b128 v[5:8], v21 offset:640
	s_wait_loadcnt_dscnt 0x1
	v_mul_f32_e32 v149, v1, v10
	v_mul_f32_e32 v10, v2, v10
	s_delay_alu instid0(VALU_DEP_2) | instskip(NEXT) | instid1(VALU_DEP_2)
	v_dual_mul_f32 v150, v3, v12 :: v_dual_fmac_f32 v149, v2, v9
	v_fma_f32 v151, v1, v9, -v10
	v_mul_f32_e32 v1, v4, v12
	s_delay_alu instid0(VALU_DEP_3) | instskip(NEXT) | instid1(VALU_DEP_2)
	v_fmac_f32_e32 v150, v4, v11
	v_fma_f32 v152, v3, v11, -v1
	s_clause 0x1
	scratch_load_b128 v[1:4], off, off offset:208
	scratch_load_b128 v[9:12], off, off offset:224
	s_wait_loadcnt_dscnt 0x100
	v_mul_f32_e32 v153, v5, v2
	v_dual_mul_f32 v2, v6, v2 :: v_dual_mul_f32 v155, v7, v4
	s_delay_alu instid0(VALU_DEP_2) | instskip(NEXT) | instid1(VALU_DEP_2)
	v_fmac_f32_e32 v153, v6, v1
	v_fma_f32 v154, v5, v1, -v2
	v_mul_f32_e32 v1, v8, v4
	s_delay_alu instid0(VALU_DEP_4) | instskip(NEXT) | instid1(VALU_DEP_2)
	v_fmac_f32_e32 v155, v8, v3
	v_fma_f32 v156, v7, v3, -v1
	ds_load_b128 v[1:4], v21 offset:656
	ds_load_b128 v[5:8], v21 offset:672
	s_wait_loadcnt_dscnt 0x1
	v_mul_f32_e32 v157, v1, v10
	v_mul_f32_e32 v159, v3, v12
	s_delay_alu instid0(VALU_DEP_2) | instskip(NEXT) | instid1(VALU_DEP_2)
	v_fmac_f32_e32 v157, v2, v9
	v_dual_mul_f32 v2, v2, v10 :: v_dual_fmac_f32 v159, v4, v11
	s_delay_alu instid0(VALU_DEP_1) | instskip(SKIP_1) | instid1(VALU_DEP_1)
	v_fma_f32 v158, v1, v9, -v2
	v_mul_f32_e32 v1, v4, v12
	v_fma_f32 v160, v3, v11, -v1
	s_clause 0x1
	scratch_load_b128 v[1:4], off, off offset:240
	scratch_load_b128 v[9:12], off, off offset:256
	s_wait_loadcnt_dscnt 0x100
	v_mul_f32_e32 v161, v5, v2
	v_dual_mul_f32 v2, v6, v2 :: v_dual_mul_f32 v163, v7, v4
	s_delay_alu instid0(VALU_DEP_2) | instskip(NEXT) | instid1(VALU_DEP_2)
	v_fmac_f32_e32 v161, v6, v1
	v_fma_f32 v162, v5, v1, -v2
	v_mul_f32_e32 v1, v8, v4
	s_delay_alu instid0(VALU_DEP_4) | instskip(NEXT) | instid1(VALU_DEP_2)
	v_fmac_f32_e32 v163, v8, v3
	v_fma_f32 v164, v7, v3, -v1
	ds_load_b128 v[1:4], v21 offset:688
	ds_load_b128 v[5:8], v21 offset:704
	s_wait_loadcnt_dscnt 0x1
	v_mul_f32_e32 v165, v1, v10
	v_mul_f32_e32 v167, v3, v12
	s_delay_alu instid0(VALU_DEP_2) | instskip(NEXT) | instid1(VALU_DEP_2)
	v_fmac_f32_e32 v165, v2, v9
	v_dual_mul_f32 v2, v2, v10 :: v_dual_fmac_f32 v167, v4, v11
	s_delay_alu instid0(VALU_DEP_1) | instskip(SKIP_1) | instid1(VALU_DEP_1)
	v_fma_f32 v166, v1, v9, -v2
	v_mul_f32_e32 v1, v4, v12
	;; [unrolled: 25-line block ×4, first 2 shown]
	v_fma_f32 v184, v3, v11, -v1
	s_clause 0x1
	scratch_load_b128 v[1:4], off, off offset:336
	scratch_load_b128 v[9:12], off, off offset:352
	s_wait_loadcnt_dscnt 0x100
	v_mul_f32_e32 v185, v5, v2
	v_mul_f32_e32 v2, v6, v2
	s_delay_alu instid0(VALU_DEP_1) | instskip(SKIP_1) | instid1(VALU_DEP_1)
	v_fma_f32 v186, v5, v1, -v2
	v_add_f32_e32 v2, 0, v146
	v_add_f32_e32 v2, v2, v147
	s_delay_alu instid0(VALU_DEP_1) | instskip(NEXT) | instid1(VALU_DEP_1)
	v_add_f32_e32 v2, v2, v24
	v_add_f32_e32 v2, v2, v25
	s_delay_alu instid0(VALU_DEP_1) | instskip(NEXT) | instid1(VALU_DEP_1)
	;; [unrolled: 3-line block ×5, first 2 shown]
	v_add_f32_e32 v2, v2, v19
	v_add_f32_e32 v2, v2, v20
	s_delay_alu instid0(VALU_DEP_1) | instskip(SKIP_1) | instid1(VALU_DEP_2)
	v_dual_add_f32 v2, v2, v149 :: v_dual_mul_f32 v187, v7, v4
	v_fmac_f32_e32 v185, v6, v1
	v_dual_add_f32 v2, v2, v150 :: v_dual_fmac_f32 v187, v8, v3
	s_delay_alu instid0(VALU_DEP_1) | instskip(NEXT) | instid1(VALU_DEP_1)
	v_dual_add_f32 v2, v2, v153 :: v_dual_mul_f32 v1, v8, v4
	v_add_f32_e32 v2, v2, v155
	s_delay_alu instid0(VALU_DEP_2) | instskip(NEXT) | instid1(VALU_DEP_2)
	v_fma_f32 v188, v7, v3, -v1
	v_dual_add_f32 v1, 0, v22 :: v_dual_add_f32 v2, v2, v157
	s_delay_alu instid0(VALU_DEP_1) | instskip(NEXT) | instid1(VALU_DEP_2)
	v_add_f32_e32 v1, v1, v23
	v_add_f32_e32 v5, v2, v159
	s_delay_alu instid0(VALU_DEP_2) | instskip(NEXT) | instid1(VALU_DEP_1)
	v_add_f32_e32 v1, v1, v28
	v_add_f32_e32 v1, v1, v29
	s_delay_alu instid0(VALU_DEP_1) | instskip(NEXT) | instid1(VALU_DEP_1)
	v_add_f32_e32 v1, v1, v30
	v_add_f32_e32 v1, v1, v31
	s_delay_alu instid0(VALU_DEP_1) | instskip(SKIP_1) | instid1(VALU_DEP_1)
	v_add_f32_e32 v1, v1, v13
	v_add_f32_e32 v13, v5, v161
	;; [unrolled: 1-line block ×3, first 2 shown]
	s_delay_alu instid0(VALU_DEP_1) | instskip(NEXT) | instid1(VALU_DEP_1)
	v_add_f32_e32 v13, v13, v165
	v_add_f32_e32 v18, v13, v167
	s_delay_alu instid0(VALU_DEP_1) | instskip(NEXT) | instid1(VALU_DEP_1)
	v_dual_add_f32 v18, v18, v169 :: v_dual_add_f32 v1, v1, v14
	v_dual_add_f32 v18, v18, v171 :: v_dual_add_f32 v1, v1, v16
	s_delay_alu instid0(VALU_DEP_1) | instskip(NEXT) | instid1(VALU_DEP_1)
	v_add_f32_e32 v1, v1, v17
	v_add_f32_e32 v1, v1, v142
	s_delay_alu instid0(VALU_DEP_1) | instskip(NEXT) | instid1(VALU_DEP_1)
	v_add_f32_e32 v1, v1, v143
	v_add_f32_e32 v1, v1, v151
	;; [unrolled: 3-line block ×5, first 2 shown]
	ds_load_b128 v[1:4], v21 offset:784
	v_add_f32_e32 v22, v18, v173
	v_add_f32_e32 v14, v6, v164
	scratch_load_b128 v[5:8], off, off offset:368
	v_add_f32_e32 v22, v22, v175
	v_add_f32_e32 v14, v14, v166
	s_delay_alu instid0(VALU_DEP_2) | instskip(NEXT) | instid1(VALU_DEP_2)
	v_add_f32_e32 v22, v22, v177
	v_add_f32_e32 v17, v14, v168
	ds_load_b128 v[13:16], v21 offset:800
	s_wait_loadcnt_dscnt 0x101
	v_mul_f32_e32 v25, v1, v10
	v_mul_f32_e32 v10, v2, v10
	;; [unrolled: 1-line block ×3, first 2 shown]
	s_delay_alu instid0(VALU_DEP_3) | instskip(NEXT) | instid1(VALU_DEP_3)
	v_dual_mul_f32 v12, v4, v12 :: v_dual_fmac_f32 v25, v2, v9
	v_fma_f32 v28, v1, v9, -v10
	s_delay_alu instid0(VALU_DEP_3) | instskip(NEXT) | instid1(VALU_DEP_3)
	v_fmac_f32_e32 v26, v4, v11
	v_fma_f32 v29, v3, v11, -v12
	s_clause 0x1
	scratch_load_b128 v[1:4], off, off offset:384
	scratch_load_b128 v[9:12], off, off offset:400
	s_wait_loadcnt_dscnt 0x200
	v_mul_f32_e32 v30, v13, v6
	v_dual_mul_f32 v6, v14, v6 :: v_dual_mul_f32 v31, v15, v8
	v_mul_f32_e32 v8, v16, v8
	s_delay_alu instid0(VALU_DEP_3) | instskip(NEXT) | instid1(VALU_DEP_3)
	v_fmac_f32_e32 v30, v14, v5
	v_fma_f32 v140, v13, v5, -v6
	s_delay_alu instid0(VALU_DEP_4) | instskip(NEXT) | instid1(VALU_DEP_4)
	v_fmac_f32_e32 v31, v16, v7
	v_fma_f32 v141, v15, v7, -v8
	ds_load_b128 v[5:8], v21 offset:816
	v_add_f32_e32 v17, v17, v170
	v_add_f32_e32 v13, v22, v179
	s_delay_alu instid0(VALU_DEP_2) | instskip(NEXT) | instid1(VALU_DEP_1)
	v_add_f32_e32 v17, v17, v172
	v_add_f32_e32 v17, v17, v174
	s_delay_alu instid0(VALU_DEP_1) | instskip(SKIP_2) | instid1(VALU_DEP_1)
	v_add_f32_e32 v23, v17, v176
	scratch_load_b128 v[17:20], off, off offset:416
	v_add_f32_e32 v23, v23, v178
	v_add_f32_e32 v23, v23, v180
	s_delay_alu instid0(VALU_DEP_1)
	v_dual_add_f32 v22, v23, v182 :: v_dual_add_f32 v23, v13, v181
	ds_load_b128 v[13:16], v21 offset:832
	s_wait_loadcnt_dscnt 0x201
	v_mul_f32_e32 v146, v5, v2
	v_mul_f32_e32 v2, v6, v2
	v_dual_add_f32 v142, v22, v184 :: v_dual_add_f32 v143, v23, v183
	ds_load_b128 v[21:24], v21 offset:848
	v_fmac_f32_e32 v146, v6, v1
	v_fma_f32 v2, v5, v1, -v2
	v_add_f32_e32 v142, v142, v186
	s_delay_alu instid0(VALU_DEP_1) | instskip(NEXT) | instid1(VALU_DEP_1)
	v_add_f32_e32 v142, v142, v188
	v_add_f32_e32 v28, v142, v28
	v_mul_f32_e32 v142, v7, v4
	s_wait_loadcnt_dscnt 0x101
	v_mul_f32_e32 v147, v15, v12
	v_mul_f32_e32 v4, v8, v4
	;; [unrolled: 1-line block ×3, first 2 shown]
	v_add_f32_e32 v28, v28, v29
	v_fmac_f32_e32 v142, v8, v3
	v_fmac_f32_e32 v147, v16, v11
	v_add_f32_e32 v143, v143, v185
	v_fma_f32 v3, v7, v3, -v4
	v_add_f32_e32 v28, v28, v140
	v_mul_f32_e32 v4, v16, v12
	s_delay_alu instid0(VALU_DEP_2) | instskip(NEXT) | instid1(VALU_DEP_2)
	v_add_f32_e32 v1, v28, v141
	v_fma_f32 v4, v15, v11, -v4
	s_delay_alu instid0(VALU_DEP_2) | instskip(NEXT) | instid1(VALU_DEP_1)
	v_add_f32_e32 v1, v1, v2
	v_add_f32_e32 v1, v1, v3
	s_wait_loadcnt_dscnt 0x0
	v_mul_f32_e32 v29, v23, v20
	v_mul_f32_e32 v3, v22, v18
	s_delay_alu instid0(VALU_DEP_2) | instskip(SKIP_1) | instid1(VALU_DEP_3)
	v_fmac_f32_e32 v29, v24, v19
	v_add_f32_e32 v143, v143, v187
	v_fma_f32 v3, v21, v17, -v3
	s_delay_alu instid0(VALU_DEP_2) | instskip(SKIP_1) | instid1(VALU_DEP_2)
	v_add_f32_e32 v25, v143, v25
	v_mul_f32_e32 v143, v13, v10
	v_add_f32_e32 v25, v25, v26
	s_delay_alu instid0(VALU_DEP_2) | instskip(NEXT) | instid1(VALU_DEP_1)
	v_dual_mul_f32 v26, v21, v18 :: v_dual_fmac_f32 v143, v14, v9
	v_dual_add_f32 v25, v25, v30 :: v_dual_fmac_f32 v26, v22, v17
	s_delay_alu instid0(VALU_DEP_1) | instskip(NEXT) | instid1(VALU_DEP_1)
	v_add_f32_e32 v5, v25, v31
	v_add_f32_e32 v2, v5, v146
	v_fma_f32 v5, v13, v9, -v6
	s_delay_alu instid0(VALU_DEP_1) | instskip(NEXT) | instid1(VALU_DEP_1)
	v_dual_add_f32 v2, v2, v142 :: v_dual_add_f32 v1, v1, v5
	v_dual_mul_f32 v5, v24, v20 :: v_dual_add_f32 v2, v2, v143
	s_delay_alu instid0(VALU_DEP_2) | instskip(NEXT) | instid1(VALU_DEP_2)
	v_add_f32_e32 v1, v1, v4
	v_fma_f32 v4, v23, v19, -v5
	s_delay_alu instid0(VALU_DEP_3) | instskip(NEXT) | instid1(VALU_DEP_1)
	v_add_f32_e32 v2, v2, v147
	v_dual_add_f32 v1, v1, v3 :: v_dual_add_f32 v2, v2, v26
	s_delay_alu instid0(VALU_DEP_1) | instskip(NEXT) | instid1(VALU_DEP_1)
	v_dual_add_f32 v1, v1, v4 :: v_dual_add_f32 v2, v2, v29
	v_dual_sub_f32 v1, v144, v1 :: v_dual_sub_f32 v2, v145, v2
	scratch_store_b64 off, v[1:2], off offset:88
	v_cmpx_lt_u32_e32 10, v0
	s_cbranch_execz .LBB117_317
; %bb.316:
	scratch_load_b64 v[1:2], off, off offset:80
	v_mov_b32_e32 v3, 0
	s_delay_alu instid0(VALU_DEP_1)
	v_mov_b32_e32 v4, v3
	scratch_store_b64 off, v[3:4], off offset:80
	s_wait_loadcnt 0x0
	ds_store_b64 v27, v[1:2]
.LBB117_317:
	s_wait_alu 0xfffe
	s_or_b32 exec_lo, exec_lo, s0
	s_wait_storecnt_dscnt 0x0
	s_barrier_signal -1
	s_barrier_wait -1
	global_inv scope:SCOPE_SE
	s_clause 0x4
	scratch_load_b128 v[5:8], off, off offset:88
	scratch_load_b128 v[1:4], off, off offset:104
	;; [unrolled: 1-line block ×5, first 2 shown]
	v_mov_b32_e32 v21, 0
	ds_load_2addr_b64 v[22:25], v21 offset0:65 offset1:66
	ds_load_2addr_b64 v[28:31], v21 offset0:67 offset1:68
	;; [unrolled: 1-line block ×3, first 2 shown]
	scratch_load_b64 v[144:145], off, off offset:80
	s_mov_b32 s0, exec_lo
	s_wait_loadcnt_dscnt 0x502
	v_dual_mul_f32 v146, v22, v6 :: v_dual_mul_f32 v147, v24, v8
	v_mul_f32_e32 v26, v23, v6
	v_mul_f32_e32 v6, v25, v8
	s_wait_loadcnt_dscnt 0x300
	v_mul_f32_e32 v148, v142, v12
	v_dual_fmac_f32 v146, v23, v5 :: v_dual_fmac_f32 v147, v25, v7
	v_mul_f32_e32 v25, v30, v4
	v_fma_f32 v22, v22, v5, -v26
	v_mul_f32_e32 v26, v140, v10
	v_mul_f32_e32 v4, v31, v4
	s_delay_alu instid0(VALU_DEP_4)
	v_dual_mul_f32 v10, v141, v10 :: v_dual_fmac_f32 v25, v31, v3
	v_fma_f32 v23, v24, v7, -v6
	ds_load_2addr_b64 v[5:8], v21 offset0:71 offset1:72
	v_mul_f32_e32 v24, v28, v2
	v_mul_f32_e32 v12, v143, v12
	;; [unrolled: 1-line block ×3, first 2 shown]
	v_fmac_f32_e32 v26, v141, v9
	v_fmac_f32_e32 v148, v143, v11
	;; [unrolled: 1-line block ×3, first 2 shown]
	v_fma_f32 v29, v30, v3, -v4
	v_fma_f32 v30, v140, v9, -v10
	;; [unrolled: 1-line block ×3, first 2 shown]
	ds_load_2addr_b64 v[9:12], v21 offset0:73 offset1:74
	s_wait_loadcnt_dscnt 0x201
	v_dual_mul_f32 v141, v7, v16 :: v_dual_mul_f32 v140, v5, v14
	v_mul_f32_e32 v14, v6, v14
	v_mul_f32_e32 v16, v8, v16
	s_delay_alu instid0(VALU_DEP_3)
	v_fmac_f32_e32 v141, v8, v15
	v_fma_f32 v28, v28, v1, -v2
	scratch_load_b128 v[1:4], off, off offset:168
	v_fmac_f32_e32 v140, v6, v13
	v_fma_f32 v13, v5, v13, -v14
	v_fma_f32 v14, v7, v15, -v16
	s_wait_loadcnt_dscnt 0x200
	v_mul_f32_e32 v15, v9, v18
	v_mul_f32_e32 v16, v10, v18
	;; [unrolled: 1-line block ×4, first 2 shown]
	ds_load_2addr_b64 v[5:8], v21 offset0:75 offset1:76
	v_fmac_f32_e32 v15, v10, v17
	v_fma_f32 v16, v9, v17, -v16
	v_fmac_f32_e32 v18, v12, v19
	v_fma_f32 v17, v11, v19, -v20
	scratch_load_b128 v[9:12], off, off offset:184
	s_wait_loadcnt_dscnt 0x100
	v_mul_f32_e32 v19, v5, v2
	v_mul_f32_e32 v2, v6, v2
	;; [unrolled: 1-line block ×3, first 2 shown]
	s_delay_alu instid0(VALU_DEP_3) | instskip(NEXT) | instid1(VALU_DEP_3)
	v_dual_mul_f32 v4, v8, v4 :: v_dual_fmac_f32 v19, v6, v1
	v_fma_f32 v142, v5, v1, -v2
	s_delay_alu instid0(VALU_DEP_3) | instskip(NEXT) | instid1(VALU_DEP_3)
	v_fmac_f32_e32 v20, v8, v3
	v_fma_f32 v143, v7, v3, -v4
	ds_load_2addr_b64 v[1:4], v21 offset0:77 offset1:78
	ds_load_2addr_b64 v[5:8], v21 offset0:79 offset1:80
	s_wait_loadcnt_dscnt 0x1
	v_mul_f32_e32 v149, v1, v10
	v_mul_f32_e32 v10, v2, v10
	s_delay_alu instid0(VALU_DEP_2) | instskip(NEXT) | instid1(VALU_DEP_2)
	v_dual_mul_f32 v150, v3, v12 :: v_dual_fmac_f32 v149, v2, v9
	v_fma_f32 v151, v1, v9, -v10
	v_mul_f32_e32 v1, v4, v12
	s_delay_alu instid0(VALU_DEP_3) | instskip(NEXT) | instid1(VALU_DEP_2)
	v_fmac_f32_e32 v150, v4, v11
	v_fma_f32 v152, v3, v11, -v1
	s_clause 0x1
	scratch_load_b128 v[1:4], off, off offset:200
	scratch_load_b128 v[9:12], off, off offset:216
	s_wait_loadcnt_dscnt 0x100
	v_mul_f32_e32 v153, v5, v2
	v_dual_mul_f32 v2, v6, v2 :: v_dual_mul_f32 v155, v7, v4
	s_delay_alu instid0(VALU_DEP_2) | instskip(NEXT) | instid1(VALU_DEP_2)
	v_fmac_f32_e32 v153, v6, v1
	v_fma_f32 v154, v5, v1, -v2
	v_mul_f32_e32 v1, v8, v4
	s_delay_alu instid0(VALU_DEP_4) | instskip(NEXT) | instid1(VALU_DEP_2)
	v_fmac_f32_e32 v155, v8, v3
	v_fma_f32 v156, v7, v3, -v1
	ds_load_2addr_b64 v[1:4], v21 offset0:81 offset1:82
	ds_load_2addr_b64 v[5:8], v21 offset0:83 offset1:84
	s_wait_loadcnt_dscnt 0x1
	v_mul_f32_e32 v157, v1, v10
	v_mul_f32_e32 v159, v3, v12
	s_delay_alu instid0(VALU_DEP_2) | instskip(NEXT) | instid1(VALU_DEP_2)
	v_fmac_f32_e32 v157, v2, v9
	v_dual_mul_f32 v2, v2, v10 :: v_dual_fmac_f32 v159, v4, v11
	s_delay_alu instid0(VALU_DEP_1) | instskip(SKIP_1) | instid1(VALU_DEP_1)
	v_fma_f32 v158, v1, v9, -v2
	v_mul_f32_e32 v1, v4, v12
	v_fma_f32 v160, v3, v11, -v1
	s_clause 0x1
	scratch_load_b128 v[1:4], off, off offset:232
	scratch_load_b128 v[9:12], off, off offset:248
	s_wait_loadcnt_dscnt 0x100
	v_mul_f32_e32 v161, v5, v2
	v_dual_mul_f32 v2, v6, v2 :: v_dual_mul_f32 v163, v7, v4
	s_delay_alu instid0(VALU_DEP_2) | instskip(NEXT) | instid1(VALU_DEP_2)
	v_fmac_f32_e32 v161, v6, v1
	v_fma_f32 v162, v5, v1, -v2
	v_mul_f32_e32 v1, v8, v4
	s_delay_alu instid0(VALU_DEP_4) | instskip(NEXT) | instid1(VALU_DEP_2)
	v_fmac_f32_e32 v163, v8, v3
	v_fma_f32 v164, v7, v3, -v1
	ds_load_2addr_b64 v[1:4], v21 offset0:85 offset1:86
	ds_load_2addr_b64 v[5:8], v21 offset0:87 offset1:88
	s_wait_loadcnt_dscnt 0x1
	v_mul_f32_e32 v165, v1, v10
	v_mul_f32_e32 v167, v3, v12
	s_delay_alu instid0(VALU_DEP_2) | instskip(NEXT) | instid1(VALU_DEP_2)
	v_fmac_f32_e32 v165, v2, v9
	v_dual_mul_f32 v2, v2, v10 :: v_dual_fmac_f32 v167, v4, v11
	s_delay_alu instid0(VALU_DEP_1) | instskip(SKIP_1) | instid1(VALU_DEP_1)
	v_fma_f32 v166, v1, v9, -v2
	v_mul_f32_e32 v1, v4, v12
	;; [unrolled: 25-line block ×4, first 2 shown]
	v_fma_f32 v184, v3, v11, -v1
	s_clause 0x1
	scratch_load_b128 v[1:4], off, off offset:328
	scratch_load_b128 v[9:12], off, off offset:344
	s_wait_loadcnt_dscnt 0x100
	v_mul_f32_e32 v185, v5, v2
	v_mul_f32_e32 v2, v6, v2
	s_delay_alu instid0(VALU_DEP_1) | instskip(SKIP_1) | instid1(VALU_DEP_1)
	v_fma_f32 v186, v5, v1, -v2
	v_add_f32_e32 v2, 0, v146
	v_add_f32_e32 v2, v2, v147
	s_delay_alu instid0(VALU_DEP_1) | instskip(NEXT) | instid1(VALU_DEP_1)
	v_add_f32_e32 v2, v2, v24
	v_add_f32_e32 v2, v2, v25
	s_delay_alu instid0(VALU_DEP_1) | instskip(NEXT) | instid1(VALU_DEP_1)
	;; [unrolled: 3-line block ×5, first 2 shown]
	v_add_f32_e32 v2, v2, v19
	v_add_f32_e32 v2, v2, v20
	s_delay_alu instid0(VALU_DEP_1) | instskip(SKIP_1) | instid1(VALU_DEP_2)
	v_dual_add_f32 v2, v2, v149 :: v_dual_mul_f32 v187, v7, v4
	v_fmac_f32_e32 v185, v6, v1
	v_dual_add_f32 v2, v2, v150 :: v_dual_fmac_f32 v187, v8, v3
	s_delay_alu instid0(VALU_DEP_1) | instskip(NEXT) | instid1(VALU_DEP_1)
	v_dual_add_f32 v2, v2, v153 :: v_dual_mul_f32 v1, v8, v4
	v_add_f32_e32 v2, v2, v155
	s_delay_alu instid0(VALU_DEP_2) | instskip(NEXT) | instid1(VALU_DEP_2)
	v_fma_f32 v188, v7, v3, -v1
	v_dual_add_f32 v1, 0, v22 :: v_dual_add_f32 v2, v2, v157
	s_delay_alu instid0(VALU_DEP_1) | instskip(NEXT) | instid1(VALU_DEP_2)
	v_add_f32_e32 v1, v1, v23
	v_add_f32_e32 v5, v2, v159
	s_delay_alu instid0(VALU_DEP_2) | instskip(NEXT) | instid1(VALU_DEP_1)
	v_add_f32_e32 v1, v1, v28
	v_add_f32_e32 v1, v1, v29
	scratch_load_b64 v[28:29], off, off offset:424
	v_add_f32_e32 v1, v1, v30
	s_delay_alu instid0(VALU_DEP_1) | instskip(NEXT) | instid1(VALU_DEP_1)
	v_add_f32_e32 v1, v1, v31
	v_add_f32_e32 v1, v1, v13
	;; [unrolled: 1-line block ×3, first 2 shown]
	s_delay_alu instid0(VALU_DEP_2) | instskip(NEXT) | instid1(VALU_DEP_2)
	v_add_f32_e32 v1, v1, v14
	v_add_f32_e32 v13, v13, v163
	s_delay_alu instid0(VALU_DEP_1) | instskip(NEXT) | instid1(VALU_DEP_1)
	v_add_f32_e32 v13, v13, v165
	v_add_f32_e32 v18, v13, v167
	s_delay_alu instid0(VALU_DEP_4) | instskip(NEXT) | instid1(VALU_DEP_1)
	v_add_f32_e32 v1, v1, v16
	v_add_f32_e32 v1, v1, v17
	s_delay_alu instid0(VALU_DEP_1) | instskip(NEXT) | instid1(VALU_DEP_1)
	v_add_f32_e32 v1, v1, v142
	v_add_f32_e32 v1, v1, v143
	s_delay_alu instid0(VALU_DEP_1) | instskip(NEXT) | instid1(VALU_DEP_1)
	;; [unrolled: 3-line block ×4, first 2 shown]
	v_add_f32_e32 v1, v1, v158
	v_add_f32_e32 v1, v1, v160
	s_delay_alu instid0(VALU_DEP_1)
	v_add_f32_e32 v6, v1, v162
	scratch_load_b128 v[1:4], off, off offset:360
	v_add_f32_e32 v18, v18, v169
	v_add_f32_e32 v14, v6, v164
	ds_load_2addr_b64 v[5:8], v21 offset0:97 offset1:98
	v_add_f32_e32 v18, v18, v171
	v_add_f32_e32 v14, v14, v166
	s_delay_alu instid0(VALU_DEP_2) | instskip(NEXT) | instid1(VALU_DEP_2)
	v_add_f32_e32 v22, v18, v173
	v_add_f32_e32 v17, v14, v168
	ds_load_2addr_b64 v[13:16], v21 offset0:99 offset1:100
	v_add_f32_e32 v22, v22, v175
	s_wait_loadcnt_dscnt 0x201
	v_mul_f32_e32 v26, v5, v10
	v_mul_f32_e32 v10, v6, v10
	;; [unrolled: 1-line block ×4, first 2 shown]
	v_add_f32_e32 v22, v22, v177
	v_fmac_f32_e32 v26, v6, v9
	v_fma_f32 v141, v5, v9, -v10
	v_fmac_f32_e32 v140, v8, v11
	v_fma_f32 v142, v7, v11, -v12
	scratch_load_b128 v[5:8], off, off offset:376
	v_add_f32_e32 v22, v22, v179
	scratch_load_b128 v[9:12], off, off offset:392
	s_wait_loadcnt_dscnt 0x200
	v_mul_f32_e32 v143, v13, v2
	v_mul_f32_e32 v2, v14, v2
	;; [unrolled: 1-line block ×3, first 2 shown]
	s_delay_alu instid0(VALU_DEP_3) | instskip(NEXT) | instid1(VALU_DEP_3)
	v_dual_mul_f32 v4, v16, v4 :: v_dual_fmac_f32 v143, v14, v1
	v_fma_f32 v147, v13, v1, -v2
	s_delay_alu instid0(VALU_DEP_3) | instskip(NEXT) | instid1(VALU_DEP_3)
	v_dual_add_f32 v13, v22, v181 :: v_dual_fmac_f32 v146, v16, v3
	v_fma_f32 v148, v15, v3, -v4
	ds_load_2addr_b64 v[1:4], v21 offset0:101 offset1:102
	v_add_f32_e32 v22, v13, v183
	s_delay_alu instid0(VALU_DEP_1) | instskip(NEXT) | instid1(VALU_DEP_1)
	v_add_f32_e32 v31, v22, v185
	v_add_f32_e32 v150, v31, v187
	s_delay_alu instid0(VALU_DEP_1) | instskip(NEXT) | instid1(VALU_DEP_1)
	v_add_f32_e32 v26, v150, v26
	v_dual_add_f32 v17, v17, v170 :: v_dual_add_f32 v26, v26, v140
	s_delay_alu instid0(VALU_DEP_1) | instskip(NEXT) | instid1(VALU_DEP_1)
	v_dual_add_f32 v17, v17, v172 :: v_dual_add_f32 v26, v26, v143
	v_add_f32_e32 v17, v17, v174
	s_delay_alu instid0(VALU_DEP_1) | instskip(SKIP_2) | instid1(VALU_DEP_1)
	v_dual_add_f32 v26, v26, v146 :: v_dual_add_f32 v23, v17, v176
	scratch_load_b128 v[17:20], off, off offset:408
	v_add_f32_e32 v23, v23, v178
	v_add_f32_e32 v23, v23, v180
	s_delay_alu instid0(VALU_DEP_1) | instskip(NEXT) | instid1(VALU_DEP_1)
	v_add_f32_e32 v23, v23, v182
	v_add_f32_e32 v14, v23, v184
	ds_load_2addr_b64 v[22:25], v21 offset0:105 offset1:106
	v_add_f32_e32 v30, v14, v186
	ds_load_2addr_b64 v[13:16], v21 offset0:103 offset1:104
	s_wait_loadcnt_dscnt 0x202
	v_mul_f32_e32 v140, v3, v8
	v_mul_f32_e32 v8, v4, v8
	v_add_f32_e32 v149, v30, v188
	ds_load_b64 v[30:31], v21 offset:856
	v_dual_fmac_f32 v140, v4, v7 :: v_dual_add_f32 v141, v149, v141
	s_delay_alu instid0(VALU_DEP_1) | instskip(SKIP_4) | instid1(VALU_DEP_3)
	v_add_f32_e32 v141, v141, v142
	s_wait_loadcnt_dscnt 0x101
	v_mul_f32_e32 v142, v13, v10
	v_mul_f32_e32 v149, v1, v6
	;; [unrolled: 1-line block ×3, first 2 shown]
	v_fmac_f32_e32 v142, v14, v9
	s_delay_alu instid0(VALU_DEP_3)
	v_fmac_f32_e32 v149, v2, v5
	s_wait_dscnt 0x0
	v_mul_f32_e32 v146, v30, v29
	v_fma_f32 v1, v1, v5, -v6
	v_fma_f32 v2, v3, v7, -v8
	v_mul_f32_e32 v3, v14, v10
	v_dual_add_f32 v4, v26, v149 :: v_dual_add_f32 v141, v141, v147
	v_fmac_f32_e32 v146, v31, v28
	s_delay_alu instid0(VALU_DEP_3) | instskip(SKIP_2) | instid1(VALU_DEP_1)
	v_fma_f32 v3, v13, v9, -v3
	s_wait_loadcnt 0x0
	v_mul_f32_e32 v147, v22, v18
	v_fmac_f32_e32 v147, v23, v17
	v_mul_f32_e32 v143, v15, v12
	s_delay_alu instid0(VALU_DEP_1) | instskip(SKIP_2) | instid1(VALU_DEP_1)
	v_fmac_f32_e32 v143, v16, v11
	v_add_f32_e32 v141, v141, v148
	v_mul_f32_e32 v148, v24, v20
	v_fmac_f32_e32 v148, v25, v19
	s_delay_alu instid0(VALU_DEP_3) | instskip(NEXT) | instid1(VALU_DEP_1)
	v_add_f32_e32 v1, v141, v1
	v_dual_add_f32 v1, v1, v2 :: v_dual_add_f32 v2, v4, v140
	s_delay_alu instid0(VALU_DEP_1) | instskip(NEXT) | instid1(VALU_DEP_2)
	v_dual_mul_f32 v4, v23, v18 :: v_dual_add_f32 v1, v1, v3
	v_dual_add_f32 v2, v2, v142 :: v_dual_mul_f32 v3, v25, v20
	s_delay_alu instid0(VALU_DEP_2) | instskip(NEXT) | instid1(VALU_DEP_2)
	v_fma_f32 v4, v22, v17, -v4
	v_add_f32_e32 v2, v2, v143
	s_delay_alu instid0(VALU_DEP_3) | instskip(NEXT) | instid1(VALU_DEP_2)
	v_fma_f32 v3, v24, v19, -v3
	v_add_f32_e32 v2, v2, v147
	s_delay_alu instid0(VALU_DEP_1) | instskip(NEXT) | instid1(VALU_DEP_1)
	v_add_f32_e32 v2, v2, v148
	v_dual_mul_f32 v5, v16, v12 :: v_dual_add_f32 v2, v2, v146
	s_delay_alu instid0(VALU_DEP_1) | instskip(NEXT) | instid1(VALU_DEP_2)
	v_fma_f32 v5, v15, v11, -v5
	v_sub_f32_e32 v2, v145, v2
	s_delay_alu instid0(VALU_DEP_2) | instskip(SKIP_1) | instid1(VALU_DEP_2)
	v_add_f32_e32 v1, v1, v5
	v_mul_f32_e32 v5, v31, v29
	v_add_f32_e32 v1, v1, v4
	s_delay_alu instid0(VALU_DEP_2) | instskip(NEXT) | instid1(VALU_DEP_2)
	v_fma_f32 v4, v30, v28, -v5
	v_add_f32_e32 v1, v1, v3
	s_delay_alu instid0(VALU_DEP_1) | instskip(NEXT) | instid1(VALU_DEP_1)
	v_add_f32_e32 v1, v1, v4
	v_sub_f32_e32 v1, v144, v1
	scratch_store_b64 off, v[1:2], off offset:80
	v_cmpx_lt_u32_e32 9, v0
	s_cbranch_execz .LBB117_319
; %bb.318:
	scratch_load_b64 v[1:2], off, off offset:72
	v_mov_b32_e32 v22, v21
	scratch_store_b64 off, v[21:22], off offset:72
	s_wait_loadcnt 0x0
	ds_store_b64 v27, v[1:2]
.LBB117_319:
	s_wait_alu 0xfffe
	s_or_b32 exec_lo, exec_lo, s0
	s_wait_storecnt_dscnt 0x0
	s_barrier_signal -1
	s_barrier_wait -1
	global_inv scope:SCOPE_SE
	s_clause 0x4
	scratch_load_b128 v[5:8], off, off offset:80
	scratch_load_b128 v[1:4], off, off offset:96
	;; [unrolled: 1-line block ×5, first 2 shown]
	ds_load_b128 v[22:25], v21 offset:512
	ds_load_b128 v[28:31], v21 offset:528
	;; [unrolled: 1-line block ×3, first 2 shown]
	scratch_load_b64 v[144:145], off, off offset:72
	s_mov_b32 s0, exec_lo
	s_wait_loadcnt_dscnt 0x502
	v_dual_mul_f32 v26, v23, v6 :: v_dual_mul_f32 v147, v24, v8
	v_mul_f32_e32 v146, v22, v6
	v_mul_f32_e32 v6, v25, v8
	s_wait_loadcnt_dscnt 0x300
	v_mul_f32_e32 v148, v142, v12
	v_fma_f32 v22, v22, v5, -v26
	v_dual_fmac_f32 v147, v25, v7 :: v_dual_fmac_f32 v146, v23, v5
	v_mul_f32_e32 v25, v30, v4
	v_mul_f32_e32 v4, v31, v4
	;; [unrolled: 1-line block ×5, first 2 shown]
	v_fmac_f32_e32 v25, v31, v3
	v_fma_f32 v23, v24, v7, -v6
	ds_load_b128 v[5:8], v21 offset:560
	v_mul_f32_e32 v24, v28, v2
	v_mul_f32_e32 v2, v29, v2
	v_fmac_f32_e32 v26, v141, v9
	v_fmac_f32_e32 v148, v143, v11
	v_fma_f32 v31, v142, v11, -v12
	v_fmac_f32_e32 v24, v29, v1
	v_fma_f32 v29, v30, v3, -v4
	v_fma_f32 v30, v140, v9, -v10
	ds_load_b128 v[9:12], v21 offset:576
	s_wait_loadcnt_dscnt 0x201
	v_dual_mul_f32 v141, v7, v16 :: v_dual_mul_f32 v140, v5, v14
	v_mul_f32_e32 v14, v6, v14
	v_mul_f32_e32 v16, v8, v16
	s_delay_alu instid0(VALU_DEP_3)
	v_fmac_f32_e32 v141, v8, v15
	v_fma_f32 v28, v28, v1, -v2
	scratch_load_b128 v[1:4], off, off offset:160
	v_fmac_f32_e32 v140, v6, v13
	v_fma_f32 v13, v5, v13, -v14
	v_fma_f32 v14, v7, v15, -v16
	s_wait_loadcnt_dscnt 0x200
	v_mul_f32_e32 v15, v9, v18
	v_mul_f32_e32 v16, v10, v18
	v_mul_f32_e32 v18, v11, v20
	v_mul_f32_e32 v20, v12, v20
	ds_load_b128 v[5:8], v21 offset:592
	v_fmac_f32_e32 v15, v10, v17
	v_fma_f32 v16, v9, v17, -v16
	v_fmac_f32_e32 v18, v12, v19
	v_fma_f32 v17, v11, v19, -v20
	scratch_load_b128 v[9:12], off, off offset:176
	s_wait_loadcnt_dscnt 0x100
	v_mul_f32_e32 v19, v5, v2
	v_mul_f32_e32 v2, v6, v2
	;; [unrolled: 1-line block ×3, first 2 shown]
	s_delay_alu instid0(VALU_DEP_3) | instskip(NEXT) | instid1(VALU_DEP_3)
	v_dual_mul_f32 v4, v8, v4 :: v_dual_fmac_f32 v19, v6, v1
	v_fma_f32 v142, v5, v1, -v2
	s_delay_alu instid0(VALU_DEP_3) | instskip(NEXT) | instid1(VALU_DEP_3)
	v_fmac_f32_e32 v20, v8, v3
	v_fma_f32 v143, v7, v3, -v4
	ds_load_b128 v[1:4], v21 offset:608
	ds_load_b128 v[5:8], v21 offset:624
	s_wait_loadcnt_dscnt 0x1
	v_mul_f32_e32 v149, v1, v10
	v_mul_f32_e32 v10, v2, v10
	s_delay_alu instid0(VALU_DEP_2) | instskip(NEXT) | instid1(VALU_DEP_2)
	v_dual_mul_f32 v150, v3, v12 :: v_dual_fmac_f32 v149, v2, v9
	v_fma_f32 v151, v1, v9, -v10
	v_mul_f32_e32 v1, v4, v12
	s_delay_alu instid0(VALU_DEP_3) | instskip(NEXT) | instid1(VALU_DEP_2)
	v_fmac_f32_e32 v150, v4, v11
	v_fma_f32 v152, v3, v11, -v1
	s_clause 0x1
	scratch_load_b128 v[1:4], off, off offset:192
	scratch_load_b128 v[9:12], off, off offset:208
	s_wait_loadcnt_dscnt 0x100
	v_mul_f32_e32 v153, v5, v2
	v_dual_mul_f32 v2, v6, v2 :: v_dual_mul_f32 v155, v7, v4
	s_delay_alu instid0(VALU_DEP_2) | instskip(NEXT) | instid1(VALU_DEP_2)
	v_fmac_f32_e32 v153, v6, v1
	v_fma_f32 v154, v5, v1, -v2
	v_mul_f32_e32 v1, v8, v4
	s_delay_alu instid0(VALU_DEP_4) | instskip(NEXT) | instid1(VALU_DEP_2)
	v_fmac_f32_e32 v155, v8, v3
	v_fma_f32 v156, v7, v3, -v1
	ds_load_b128 v[1:4], v21 offset:640
	ds_load_b128 v[5:8], v21 offset:656
	s_wait_loadcnt_dscnt 0x1
	v_mul_f32_e32 v157, v1, v10
	v_mul_f32_e32 v159, v3, v12
	s_delay_alu instid0(VALU_DEP_2) | instskip(NEXT) | instid1(VALU_DEP_2)
	v_fmac_f32_e32 v157, v2, v9
	v_dual_mul_f32 v2, v2, v10 :: v_dual_fmac_f32 v159, v4, v11
	s_delay_alu instid0(VALU_DEP_1) | instskip(SKIP_1) | instid1(VALU_DEP_1)
	v_fma_f32 v158, v1, v9, -v2
	v_mul_f32_e32 v1, v4, v12
	v_fma_f32 v160, v3, v11, -v1
	s_clause 0x1
	scratch_load_b128 v[1:4], off, off offset:224
	scratch_load_b128 v[9:12], off, off offset:240
	s_wait_loadcnt_dscnt 0x100
	v_mul_f32_e32 v161, v5, v2
	v_dual_mul_f32 v2, v6, v2 :: v_dual_mul_f32 v163, v7, v4
	s_delay_alu instid0(VALU_DEP_2) | instskip(NEXT) | instid1(VALU_DEP_2)
	v_fmac_f32_e32 v161, v6, v1
	v_fma_f32 v162, v5, v1, -v2
	v_mul_f32_e32 v1, v8, v4
	s_delay_alu instid0(VALU_DEP_4) | instskip(NEXT) | instid1(VALU_DEP_2)
	v_fmac_f32_e32 v163, v8, v3
	v_fma_f32 v164, v7, v3, -v1
	ds_load_b128 v[1:4], v21 offset:672
	ds_load_b128 v[5:8], v21 offset:688
	s_wait_loadcnt_dscnt 0x1
	v_mul_f32_e32 v165, v1, v10
	v_mul_f32_e32 v167, v3, v12
	s_delay_alu instid0(VALU_DEP_2) | instskip(NEXT) | instid1(VALU_DEP_2)
	v_fmac_f32_e32 v165, v2, v9
	v_dual_mul_f32 v2, v2, v10 :: v_dual_fmac_f32 v167, v4, v11
	s_delay_alu instid0(VALU_DEP_1) | instskip(SKIP_1) | instid1(VALU_DEP_1)
	v_fma_f32 v166, v1, v9, -v2
	v_mul_f32_e32 v1, v4, v12
	;; [unrolled: 25-line block ×5, first 2 shown]
	v_fma_f32 v192, v3, v11, -v1
	s_clause 0x1
	scratch_load_b128 v[1:4], off, off offset:352
	scratch_load_b128 v[9:12], off, off offset:368
	s_wait_loadcnt_dscnt 0x100
	v_mul_f32_e32 v193, v5, v2
	v_mul_f32_e32 v2, v6, v2
	s_delay_alu instid0(VALU_DEP_1) | instskip(SKIP_1) | instid1(VALU_DEP_1)
	v_fma_f32 v194, v5, v1, -v2
	v_add_f32_e32 v2, 0, v146
	v_add_f32_e32 v2, v2, v147
	s_delay_alu instid0(VALU_DEP_1) | instskip(NEXT) | instid1(VALU_DEP_1)
	v_add_f32_e32 v2, v2, v24
	v_add_f32_e32 v2, v2, v25
	s_delay_alu instid0(VALU_DEP_1) | instskip(NEXT) | instid1(VALU_DEP_1)
	;; [unrolled: 3-line block ×8, first 2 shown]
	v_add_f32_e32 v2, v2, v157
	v_add_f32_e32 v2, v2, v159
	s_delay_alu instid0(VALU_DEP_1) | instskip(SKIP_2) | instid1(VALU_DEP_3)
	v_add_f32_e32 v2, v2, v161
	v_fmac_f32_e32 v193, v6, v1
	v_mul_f32_e32 v1, v8, v4
	v_dual_mul_f32 v195, v7, v4 :: v_dual_add_f32 v2, v2, v163
	s_delay_alu instid0(VALU_DEP_2) | instskip(SKIP_1) | instid1(VALU_DEP_3)
	v_fma_f32 v196, v7, v3, -v1
	v_add_f32_e32 v1, 0, v22
	v_add_f32_e32 v5, v2, v165
	s_delay_alu instid0(VALU_DEP_2) | instskip(NEXT) | instid1(VALU_DEP_2)
	v_add_f32_e32 v1, v1, v23
	v_add_f32_e32 v5, v5, v167
	s_delay_alu instid0(VALU_DEP_2) | instskip(NEXT) | instid1(VALU_DEP_2)
	v_add_f32_e32 v1, v1, v28
	v_add_f32_e32 v5, v5, v169
	s_delay_alu instid0(VALU_DEP_2) | instskip(NEXT) | instid1(VALU_DEP_1)
	v_add_f32_e32 v1, v1, v29
	v_add_f32_e32 v1, v1, v30
	s_delay_alu instid0(VALU_DEP_1) | instskip(NEXT) | instid1(VALU_DEP_1)
	v_add_f32_e32 v1, v1, v31
	v_add_f32_e32 v1, v1, v13
	s_delay_alu instid0(VALU_DEP_1) | instskip(SKIP_1) | instid1(VALU_DEP_2)
	v_add_f32_e32 v1, v1, v14
	v_add_f32_e32 v14, v5, v171
	;; [unrolled: 1-line block ×3, first 2 shown]
	s_delay_alu instid0(VALU_DEP_1) | instskip(NEXT) | instid1(VALU_DEP_1)
	v_add_f32_e32 v1, v1, v17
	v_add_f32_e32 v1, v1, v142
	s_delay_alu instid0(VALU_DEP_1) | instskip(NEXT) | instid1(VALU_DEP_1)
	v_add_f32_e32 v1, v1, v143
	v_add_f32_e32 v1, v1, v151
	;; [unrolled: 3-line block ×6, first 2 shown]
	s_delay_alu instid0(VALU_DEP_1) | instskip(SKIP_3) | instid1(VALU_DEP_2)
	v_dual_add_f32 v6, v1, v168 :: v_dual_fmac_f32 v195, v8, v3
	ds_load_b128 v[1:4], v21 offset:800
	v_add_f32_e32 v14, v14, v173
	v_add_f32_e32 v6, v6, v170
	;; [unrolled: 1-line block ×3, first 2 shown]
	s_delay_alu instid0(VALU_DEP_2) | instskip(SKIP_4) | instid1(VALU_DEP_2)
	v_add_f32_e32 v13, v6, v172
	ds_load_b128 v[5:8], v21 offset:816
	s_wait_loadcnt_dscnt 0x1
	v_dual_mul_f32 v25, v1, v10 :: v_dual_mul_f32 v26, v3, v12
	v_mul_f32_e32 v10, v2, v10
	v_dual_mul_f32 v12, v4, v12 :: v_dual_fmac_f32 v25, v2, v9
	s_delay_alu instid0(VALU_DEP_3) | instskip(NEXT) | instid1(VALU_DEP_3)
	v_fmac_f32_e32 v26, v4, v11
	v_fma_f32 v28, v1, v9, -v10
	s_delay_alu instid0(VALU_DEP_3)
	v_fma_f32 v29, v3, v11, -v12
	s_clause 0x1
	scratch_load_b128 v[1:4], off, off offset:384
	scratch_load_b128 v[9:12], off, off offset:400
	s_wait_loadcnt_dscnt 0x100
	v_mul_f32_e32 v140, v5, v2
	v_add_f32_e32 v13, v13, v174
	v_dual_mul_f32 v2, v6, v2 :: v_dual_mul_f32 v141, v7, v4
	v_mul_f32_e32 v4, v8, v4
	s_delay_alu instid0(VALU_DEP_3) | instskip(SKIP_1) | instid1(VALU_DEP_4)
	v_dual_fmac_f32 v140, v6, v1 :: v_dual_add_f32 v13, v13, v176
	v_add_f32_e32 v17, v14, v177
	v_fma_f32 v2, v5, v1, -v2
	v_fmac_f32_e32 v141, v8, v3
	v_fma_f32 v3, v7, v3, -v4
	v_add_f32_e32 v13, v13, v178
	v_add_f32_e32 v17, v17, v179
	s_delay_alu instid0(VALU_DEP_2) | instskip(SKIP_2) | instid1(VALU_DEP_1)
	v_add_f32_e32 v18, v13, v180
	scratch_load_b128 v[13:16], off, off offset:416
	v_dual_add_f32 v17, v17, v181 :: v_dual_add_f32 v18, v18, v182
	v_dual_add_f32 v17, v17, v183 :: v_dual_add_f32 v18, v18, v184
	s_delay_alu instid0(VALU_DEP_1) | instskip(SKIP_4) | instid1(VALU_DEP_1)
	v_dual_add_f32 v23, v17, v185 :: v_dual_add_f32 v22, v18, v186
	ds_load_b128 v[17:20], v21 offset:832
	v_dual_add_f32 v31, v23, v187 :: v_dual_add_f32 v30, v22, v188
	ds_load_b128 v[21:24], v21 offset:848
	v_dual_add_f32 v31, v31, v189 :: v_dual_add_f32 v30, v30, v190
	v_dual_add_f32 v31, v31, v191 :: v_dual_add_f32 v30, v30, v192
	s_delay_alu instid0(VALU_DEP_1) | instskip(SKIP_1) | instid1(VALU_DEP_1)
	v_dual_add_f32 v31, v31, v193 :: v_dual_add_f32 v30, v30, v194
	s_wait_loadcnt_dscnt 0x101
	v_dual_mul_f32 v142, v17, v10 :: v_dual_add_f32 v31, v31, v195
	v_dual_mul_f32 v6, v18, v10 :: v_dual_mul_f32 v143, v19, v12
	s_delay_alu instid0(VALU_DEP_3) | instskip(SKIP_1) | instid1(VALU_DEP_3)
	v_add_f32_e32 v30, v30, v196
	v_mul_f32_e32 v4, v20, v12
	v_dual_fmac_f32 v142, v18, v9 :: v_dual_fmac_f32 v143, v20, v11
	s_delay_alu instid0(VALU_DEP_3) | instskip(NEXT) | instid1(VALU_DEP_3)
	v_add_f32_e32 v28, v30, v28
	v_fma_f32 v4, v19, v11, -v4
	s_delay_alu instid0(VALU_DEP_2) | instskip(NEXT) | instid1(VALU_DEP_1)
	v_add_f32_e32 v1, v28, v29
	v_add_f32_e32 v1, v1, v2
	s_delay_alu instid0(VALU_DEP_1) | instskip(SKIP_3) | instid1(VALU_DEP_2)
	v_add_f32_e32 v1, v1, v3
	s_wait_loadcnt_dscnt 0x0
	v_dual_mul_f32 v146, v21, v14 :: v_dual_add_f32 v25, v31, v25
	v_dual_mul_f32 v3, v22, v14 :: v_dual_mul_f32 v30, v23, v16
	v_dual_fmac_f32 v146, v22, v13 :: v_dual_add_f32 v5, v25, v26
	s_delay_alu instid0(VALU_DEP_2) | instskip(NEXT) | instid1(VALU_DEP_3)
	v_fma_f32 v3, v21, v13, -v3
	v_fmac_f32_e32 v30, v24, v15
	s_delay_alu instid0(VALU_DEP_3) | instskip(SKIP_1) | instid1(VALU_DEP_2)
	v_add_f32_e32 v2, v5, v140
	v_fma_f32 v5, v17, v9, -v6
	v_add_f32_e32 v2, v2, v141
	s_delay_alu instid0(VALU_DEP_2) | instskip(NEXT) | instid1(VALU_DEP_2)
	v_add_f32_e32 v1, v1, v5
	v_dual_mul_f32 v5, v24, v16 :: v_dual_add_f32 v2, v2, v142
	s_delay_alu instid0(VALU_DEP_2) | instskip(NEXT) | instid1(VALU_DEP_2)
	v_add_f32_e32 v1, v1, v4
	v_fma_f32 v4, v23, v15, -v5
	s_delay_alu instid0(VALU_DEP_3) | instskip(NEXT) | instid1(VALU_DEP_1)
	v_add_f32_e32 v2, v2, v143
	v_dual_add_f32 v1, v1, v3 :: v_dual_add_f32 v2, v2, v146
	s_delay_alu instid0(VALU_DEP_1) | instskip(NEXT) | instid1(VALU_DEP_1)
	v_dual_add_f32 v1, v1, v4 :: v_dual_add_f32 v2, v2, v30
	v_dual_sub_f32 v1, v144, v1 :: v_dual_sub_f32 v2, v145, v2
	scratch_store_b64 off, v[1:2], off offset:72
	v_cmpx_lt_u32_e32 8, v0
	s_cbranch_execz .LBB117_321
; %bb.320:
	scratch_load_b64 v[1:2], off, off offset:64
	v_mov_b32_e32 v3, 0
	s_delay_alu instid0(VALU_DEP_1)
	v_mov_b32_e32 v4, v3
	scratch_store_b64 off, v[3:4], off offset:64
	s_wait_loadcnt 0x0
	ds_store_b64 v27, v[1:2]
.LBB117_321:
	s_wait_alu 0xfffe
	s_or_b32 exec_lo, exec_lo, s0
	s_wait_storecnt_dscnt 0x0
	s_barrier_signal -1
	s_barrier_wait -1
	global_inv scope:SCOPE_SE
	s_clause 0x4
	scratch_load_b128 v[5:8], off, off offset:72
	scratch_load_b128 v[1:4], off, off offset:88
	scratch_load_b128 v[9:12], off, off offset:104
	scratch_load_b128 v[13:16], off, off offset:120
	scratch_load_b128 v[17:20], off, off offset:136
	v_mov_b32_e32 v21, 0
	ds_load_2addr_b64 v[22:25], v21 offset0:63 offset1:64
	ds_load_2addr_b64 v[28:31], v21 offset0:65 offset1:66
	;; [unrolled: 1-line block ×3, first 2 shown]
	scratch_load_b64 v[144:145], off, off offset:64
	s_mov_b32 s0, exec_lo
	s_wait_loadcnt_dscnt 0x502
	v_dual_mul_f32 v146, v22, v6 :: v_dual_mul_f32 v147, v24, v8
	v_mul_f32_e32 v26, v23, v6
	v_mul_f32_e32 v6, v25, v8
	s_wait_loadcnt_dscnt 0x300
	v_mul_f32_e32 v148, v142, v12
	v_dual_fmac_f32 v146, v23, v5 :: v_dual_fmac_f32 v147, v25, v7
	v_mul_f32_e32 v25, v30, v4
	v_fma_f32 v22, v22, v5, -v26
	v_mul_f32_e32 v26, v140, v10
	v_mul_f32_e32 v4, v31, v4
	s_delay_alu instid0(VALU_DEP_4)
	v_dual_mul_f32 v10, v141, v10 :: v_dual_fmac_f32 v25, v31, v3
	v_fma_f32 v23, v24, v7, -v6
	ds_load_2addr_b64 v[5:8], v21 offset0:69 offset1:70
	v_mul_f32_e32 v24, v28, v2
	v_mul_f32_e32 v12, v143, v12
	;; [unrolled: 1-line block ×3, first 2 shown]
	v_fmac_f32_e32 v26, v141, v9
	v_fmac_f32_e32 v148, v143, v11
	;; [unrolled: 1-line block ×3, first 2 shown]
	v_fma_f32 v29, v30, v3, -v4
	v_fma_f32 v30, v140, v9, -v10
	;; [unrolled: 1-line block ×3, first 2 shown]
	ds_load_2addr_b64 v[9:12], v21 offset0:71 offset1:72
	s_wait_loadcnt_dscnt 0x201
	v_dual_mul_f32 v141, v7, v16 :: v_dual_mul_f32 v140, v5, v14
	v_mul_f32_e32 v14, v6, v14
	v_mul_f32_e32 v16, v8, v16
	s_delay_alu instid0(VALU_DEP_3)
	v_fmac_f32_e32 v141, v8, v15
	v_fma_f32 v28, v28, v1, -v2
	scratch_load_b128 v[1:4], off, off offset:152
	v_fmac_f32_e32 v140, v6, v13
	v_fma_f32 v13, v5, v13, -v14
	v_fma_f32 v14, v7, v15, -v16
	s_wait_loadcnt_dscnt 0x200
	v_mul_f32_e32 v15, v9, v18
	v_mul_f32_e32 v16, v10, v18
	;; [unrolled: 1-line block ×4, first 2 shown]
	ds_load_2addr_b64 v[5:8], v21 offset0:73 offset1:74
	v_fmac_f32_e32 v15, v10, v17
	v_fma_f32 v16, v9, v17, -v16
	v_fmac_f32_e32 v18, v12, v19
	v_fma_f32 v17, v11, v19, -v20
	scratch_load_b128 v[9:12], off, off offset:168
	s_wait_loadcnt_dscnt 0x100
	v_mul_f32_e32 v19, v5, v2
	v_mul_f32_e32 v2, v6, v2
	;; [unrolled: 1-line block ×3, first 2 shown]
	s_delay_alu instid0(VALU_DEP_3) | instskip(NEXT) | instid1(VALU_DEP_3)
	v_dual_mul_f32 v4, v8, v4 :: v_dual_fmac_f32 v19, v6, v1
	v_fma_f32 v142, v5, v1, -v2
	s_delay_alu instid0(VALU_DEP_3) | instskip(NEXT) | instid1(VALU_DEP_3)
	v_fmac_f32_e32 v20, v8, v3
	v_fma_f32 v143, v7, v3, -v4
	ds_load_2addr_b64 v[1:4], v21 offset0:75 offset1:76
	ds_load_2addr_b64 v[5:8], v21 offset0:77 offset1:78
	s_wait_loadcnt_dscnt 0x1
	v_mul_f32_e32 v149, v1, v10
	v_mul_f32_e32 v10, v2, v10
	s_delay_alu instid0(VALU_DEP_2) | instskip(NEXT) | instid1(VALU_DEP_2)
	v_dual_mul_f32 v150, v3, v12 :: v_dual_fmac_f32 v149, v2, v9
	v_fma_f32 v151, v1, v9, -v10
	v_mul_f32_e32 v1, v4, v12
	s_delay_alu instid0(VALU_DEP_3) | instskip(NEXT) | instid1(VALU_DEP_2)
	v_fmac_f32_e32 v150, v4, v11
	v_fma_f32 v152, v3, v11, -v1
	s_clause 0x1
	scratch_load_b128 v[1:4], off, off offset:184
	scratch_load_b128 v[9:12], off, off offset:200
	s_wait_loadcnt_dscnt 0x100
	v_mul_f32_e32 v153, v5, v2
	v_dual_mul_f32 v2, v6, v2 :: v_dual_mul_f32 v155, v7, v4
	s_delay_alu instid0(VALU_DEP_2) | instskip(NEXT) | instid1(VALU_DEP_2)
	v_fmac_f32_e32 v153, v6, v1
	v_fma_f32 v154, v5, v1, -v2
	v_mul_f32_e32 v1, v8, v4
	s_delay_alu instid0(VALU_DEP_4) | instskip(NEXT) | instid1(VALU_DEP_2)
	v_fmac_f32_e32 v155, v8, v3
	v_fma_f32 v156, v7, v3, -v1
	ds_load_2addr_b64 v[1:4], v21 offset0:79 offset1:80
	ds_load_2addr_b64 v[5:8], v21 offset0:81 offset1:82
	s_wait_loadcnt_dscnt 0x1
	v_mul_f32_e32 v157, v1, v10
	v_mul_f32_e32 v159, v3, v12
	s_delay_alu instid0(VALU_DEP_2) | instskip(NEXT) | instid1(VALU_DEP_2)
	v_fmac_f32_e32 v157, v2, v9
	v_dual_mul_f32 v2, v2, v10 :: v_dual_fmac_f32 v159, v4, v11
	s_delay_alu instid0(VALU_DEP_1) | instskip(SKIP_1) | instid1(VALU_DEP_1)
	v_fma_f32 v158, v1, v9, -v2
	v_mul_f32_e32 v1, v4, v12
	v_fma_f32 v160, v3, v11, -v1
	s_clause 0x1
	scratch_load_b128 v[1:4], off, off offset:216
	scratch_load_b128 v[9:12], off, off offset:232
	s_wait_loadcnt_dscnt 0x100
	v_mul_f32_e32 v161, v5, v2
	v_dual_mul_f32 v2, v6, v2 :: v_dual_mul_f32 v163, v7, v4
	s_delay_alu instid0(VALU_DEP_2) | instskip(NEXT) | instid1(VALU_DEP_2)
	v_fmac_f32_e32 v161, v6, v1
	v_fma_f32 v162, v5, v1, -v2
	v_mul_f32_e32 v1, v8, v4
	s_delay_alu instid0(VALU_DEP_4) | instskip(NEXT) | instid1(VALU_DEP_2)
	v_fmac_f32_e32 v163, v8, v3
	v_fma_f32 v164, v7, v3, -v1
	ds_load_2addr_b64 v[1:4], v21 offset0:83 offset1:84
	ds_load_2addr_b64 v[5:8], v21 offset0:85 offset1:86
	s_wait_loadcnt_dscnt 0x1
	v_mul_f32_e32 v165, v1, v10
	v_mul_f32_e32 v167, v3, v12
	s_delay_alu instid0(VALU_DEP_2) | instskip(NEXT) | instid1(VALU_DEP_2)
	v_fmac_f32_e32 v165, v2, v9
	v_dual_mul_f32 v2, v2, v10 :: v_dual_fmac_f32 v167, v4, v11
	s_delay_alu instid0(VALU_DEP_1) | instskip(SKIP_1) | instid1(VALU_DEP_1)
	v_fma_f32 v166, v1, v9, -v2
	v_mul_f32_e32 v1, v4, v12
	;; [unrolled: 25-line block ×5, first 2 shown]
	v_fma_f32 v192, v3, v11, -v1
	s_clause 0x1
	scratch_load_b128 v[1:4], off, off offset:344
	scratch_load_b128 v[9:12], off, off offset:360
	s_wait_loadcnt_dscnt 0x100
	v_mul_f32_e32 v193, v5, v2
	v_mul_f32_e32 v2, v6, v2
	s_delay_alu instid0(VALU_DEP_1) | instskip(SKIP_1) | instid1(VALU_DEP_1)
	v_fma_f32 v194, v5, v1, -v2
	v_add_f32_e32 v2, 0, v146
	v_add_f32_e32 v2, v2, v147
	s_delay_alu instid0(VALU_DEP_1) | instskip(NEXT) | instid1(VALU_DEP_1)
	v_add_f32_e32 v2, v2, v24
	v_add_f32_e32 v2, v2, v25
	s_delay_alu instid0(VALU_DEP_1) | instskip(NEXT) | instid1(VALU_DEP_1)
	;; [unrolled: 3-line block ×8, first 2 shown]
	v_add_f32_e32 v2, v2, v157
	v_add_f32_e32 v2, v2, v159
	s_delay_alu instid0(VALU_DEP_1) | instskip(SKIP_2) | instid1(VALU_DEP_3)
	v_add_f32_e32 v2, v2, v161
	v_fmac_f32_e32 v193, v6, v1
	v_mul_f32_e32 v1, v8, v4
	v_dual_mul_f32 v195, v7, v4 :: v_dual_add_f32 v2, v2, v163
	s_delay_alu instid0(VALU_DEP_2) | instskip(SKIP_1) | instid1(VALU_DEP_3)
	v_fma_f32 v196, v7, v3, -v1
	v_add_f32_e32 v1, 0, v22
	v_add_f32_e32 v5, v2, v165
	s_delay_alu instid0(VALU_DEP_2) | instskip(NEXT) | instid1(VALU_DEP_2)
	v_add_f32_e32 v1, v1, v23
	v_add_f32_e32 v5, v5, v167
	s_delay_alu instid0(VALU_DEP_2) | instskip(NEXT) | instid1(VALU_DEP_1)
	v_add_f32_e32 v1, v1, v28
	v_add_f32_e32 v1, v1, v29
	scratch_load_b64 v[28:29], off, off offset:424
	v_add_f32_e32 v1, v1, v30
	s_delay_alu instid0(VALU_DEP_1) | instskip(NEXT) | instid1(VALU_DEP_1)
	v_add_f32_e32 v1, v1, v31
	v_add_f32_e32 v1, v1, v13
	s_delay_alu instid0(VALU_DEP_1) | instskip(NEXT) | instid1(VALU_DEP_1)
	v_add_f32_e32 v1, v1, v14
	;; [unrolled: 3-line block ×8, first 2 shown]
	v_add_f32_e32 v1, v1, v166
	s_delay_alu instid0(VALU_DEP_1) | instskip(SKIP_2) | instid1(VALU_DEP_1)
	v_dual_add_f32 v6, v1, v168 :: v_dual_fmac_f32 v195, v8, v3
	ds_load_2addr_b64 v[1:4], v21 offset0:99 offset1:100
	v_dual_add_f32 v5, v5, v169 :: v_dual_add_f32 v6, v6, v170
	v_dual_add_f32 v14, v5, v171 :: v_dual_add_f32 v13, v6, v172
	ds_load_2addr_b64 v[5:8], v21 offset0:101 offset1:102
	v_add_f32_e32 v14, v14, v173
	s_delay_alu instid0(VALU_DEP_1)
	v_add_f32_e32 v14, v14, v175
	s_wait_loadcnt_dscnt 0x101
	v_mul_f32_e32 v26, v1, v10
	v_mul_f32_e32 v10, v2, v10
	;; [unrolled: 1-line block ×3, first 2 shown]
	v_dual_mul_f32 v12, v4, v12 :: v_dual_add_f32 v17, v14, v177
	s_delay_alu instid0(VALU_DEP_4) | instskip(NEXT) | instid1(VALU_DEP_4)
	v_fmac_f32_e32 v26, v2, v9
	v_fma_f32 v141, v1, v9, -v10
	s_delay_alu instid0(VALU_DEP_4) | instskip(NEXT) | instid1(VALU_DEP_4)
	v_fmac_f32_e32 v140, v4, v11
	v_fma_f32 v142, v3, v11, -v12
	s_clause 0x1
	scratch_load_b128 v[1:4], off, off offset:376
	scratch_load_b128 v[9:12], off, off offset:392
	v_add_f32_e32 v13, v13, v174
	v_add_f32_e32 v17, v17, v179
	s_delay_alu instid0(VALU_DEP_2) | instskip(NEXT) | instid1(VALU_DEP_2)
	v_add_f32_e32 v13, v13, v176
	v_add_f32_e32 v17, v17, v181
	s_delay_alu instid0(VALU_DEP_2) | instskip(NEXT) | instid1(VALU_DEP_2)
	v_add_f32_e32 v13, v13, v178
	v_add_f32_e32 v17, v17, v183
	s_delay_alu instid0(VALU_DEP_2) | instskip(SKIP_2) | instid1(VALU_DEP_1)
	v_add_f32_e32 v18, v13, v180
	scratch_load_b128 v[13:16], off, off offset:408
	v_dual_add_f32 v17, v17, v185 :: v_dual_add_f32 v18, v18, v182
	v_add_f32_e32 v22, v17, v187
	s_delay_alu instid0(VALU_DEP_2) | instskip(NEXT) | instid1(VALU_DEP_2)
	v_add_f32_e32 v18, v18, v184
	v_add_f32_e32 v31, v22, v189
	ds_load_2addr_b64 v[22:25], v21 offset0:105 offset1:106
	v_add_f32_e32 v18, v18, v186
	v_add_f32_e32 v146, v31, v191
	s_delay_alu instid0(VALU_DEP_2) | instskip(NEXT) | instid1(VALU_DEP_2)
	v_add_f32_e32 v18, v18, v188
	v_add_f32_e32 v146, v146, v193
	s_delay_alu instid0(VALU_DEP_2)
	v_add_f32_e32 v30, v18, v190
	ds_load_2addr_b64 v[17:20], v21 offset0:103 offset1:104
	v_add_f32_e32 v146, v146, v195
	v_add_f32_e32 v143, v30, v192
	ds_load_b64 v[30:31], v21 offset:856
	v_add_f32_e32 v26, v146, v26
	s_delay_alu instid0(VALU_DEP_1) | instskip(NEXT) | instid1(VALU_DEP_1)
	v_dual_add_f32 v143, v143, v194 :: v_dual_add_f32 v26, v26, v140
	v_add_f32_e32 v143, v143, v196
	s_delay_alu instid0(VALU_DEP_1) | instskip(SKIP_1) | instid1(VALU_DEP_1)
	v_add_f32_e32 v141, v143, v141
	s_wait_loadcnt_dscnt 0x300
	v_dual_add_f32 v141, v141, v142 :: v_dual_mul_f32 v140, v30, v29
	s_wait_loadcnt 0x2
	s_delay_alu instid0(VALU_DEP_1)
	v_dual_fmac_f32 v140, v31, v28 :: v_dual_mul_f32 v147, v5, v2
	v_mul_f32_e32 v2, v6, v2
	v_mul_f32_e32 v148, v7, v4
	s_wait_loadcnt 0x1
	v_dual_mul_f32 v4, v8, v4 :: v_dual_mul_f32 v143, v17, v10
	v_fmac_f32_e32 v147, v6, v1
	v_fma_f32 v2, v5, v1, -v2
	v_fmac_f32_e32 v148, v8, v3
	s_delay_alu instid0(VALU_DEP_4)
	v_fma_f32 v1, v7, v3, -v4
	v_mul_f32_e32 v3, v18, v10
	v_add_f32_e32 v4, v26, v147
	v_add_f32_e32 v2, v141, v2
	v_mul_f32_e32 v146, v19, v12
	v_mul_f32_e32 v5, v20, v12
	v_fmac_f32_e32 v143, v18, v9
	v_fma_f32 v3, v17, v9, -v3
	v_dual_add_f32 v1, v2, v1 :: v_dual_add_f32 v2, v4, v148
	s_wait_loadcnt 0x0
	v_mul_f32_e32 v149, v22, v14
	v_mul_f32_e32 v4, v23, v14
	v_fmac_f32_e32 v146, v20, v11
	v_fma_f32 v5, v19, v11, -v5
	v_add_f32_e32 v1, v1, v3
	v_add_f32_e32 v2, v2, v143
	v_mul_f32_e32 v142, v24, v16
	v_mul_f32_e32 v3, v25, v16
	v_fmac_f32_e32 v149, v23, v13
	v_fma_f32 v4, v22, v13, -v4
	v_dual_add_f32 v1, v1, v5 :: v_dual_add_f32 v2, v2, v146
	v_dual_mul_f32 v5, v31, v29 :: v_dual_fmac_f32 v142, v25, v15
	v_fma_f32 v3, v24, v15, -v3
	s_delay_alu instid0(VALU_DEP_3) | instskip(NEXT) | instid1(VALU_DEP_3)
	v_dual_add_f32 v1, v1, v4 :: v_dual_add_f32 v2, v2, v149
	v_fma_f32 v4, v30, v28, -v5
	s_delay_alu instid0(VALU_DEP_2) | instskip(NEXT) | instid1(VALU_DEP_1)
	v_dual_add_f32 v1, v1, v3 :: v_dual_add_f32 v2, v2, v142
	v_add_f32_e32 v1, v1, v4
	s_delay_alu instid0(VALU_DEP_1) | instskip(NEXT) | instid1(VALU_DEP_1)
	v_dual_add_f32 v2, v2, v140 :: v_dual_sub_f32 v1, v144, v1
	v_sub_f32_e32 v2, v145, v2
	scratch_store_b64 off, v[1:2], off offset:64
	v_cmpx_lt_u32_e32 7, v0
	s_cbranch_execz .LBB117_323
; %bb.322:
	scratch_load_b64 v[1:2], off, off offset:56
	v_mov_b32_e32 v22, v21
	scratch_store_b64 off, v[21:22], off offset:56
	s_wait_loadcnt 0x0
	ds_store_b64 v27, v[1:2]
.LBB117_323:
	s_wait_alu 0xfffe
	s_or_b32 exec_lo, exec_lo, s0
	s_wait_storecnt_dscnt 0x0
	s_barrier_signal -1
	s_barrier_wait -1
	global_inv scope:SCOPE_SE
	s_clause 0x4
	scratch_load_b128 v[5:8], off, off offset:64
	scratch_load_b128 v[1:4], off, off offset:80
	;; [unrolled: 1-line block ×5, first 2 shown]
	ds_load_b128 v[22:25], v21 offset:496
	ds_load_b128 v[28:31], v21 offset:512
	;; [unrolled: 1-line block ×3, first 2 shown]
	scratch_load_b64 v[144:145], off, off offset:56
	s_mov_b32 s0, exec_lo
	s_wait_loadcnt_dscnt 0x502
	v_dual_mul_f32 v26, v23, v6 :: v_dual_mul_f32 v147, v24, v8
	v_mul_f32_e32 v146, v22, v6
	v_mul_f32_e32 v6, v25, v8
	s_wait_loadcnt_dscnt 0x300
	v_mul_f32_e32 v148, v142, v12
	v_fma_f32 v22, v22, v5, -v26
	v_dual_fmac_f32 v147, v25, v7 :: v_dual_fmac_f32 v146, v23, v5
	v_mul_f32_e32 v25, v30, v4
	v_mul_f32_e32 v4, v31, v4
	;; [unrolled: 1-line block ×5, first 2 shown]
	v_fmac_f32_e32 v25, v31, v3
	v_fma_f32 v23, v24, v7, -v6
	ds_load_b128 v[5:8], v21 offset:544
	v_mul_f32_e32 v24, v28, v2
	v_mul_f32_e32 v2, v29, v2
	v_fmac_f32_e32 v26, v141, v9
	v_fmac_f32_e32 v148, v143, v11
	v_fma_f32 v31, v142, v11, -v12
	v_fmac_f32_e32 v24, v29, v1
	v_fma_f32 v29, v30, v3, -v4
	v_fma_f32 v30, v140, v9, -v10
	ds_load_b128 v[9:12], v21 offset:560
	s_wait_loadcnt_dscnt 0x201
	v_dual_mul_f32 v141, v7, v16 :: v_dual_mul_f32 v140, v5, v14
	v_mul_f32_e32 v14, v6, v14
	v_mul_f32_e32 v16, v8, v16
	s_delay_alu instid0(VALU_DEP_3)
	v_fmac_f32_e32 v141, v8, v15
	v_fma_f32 v28, v28, v1, -v2
	scratch_load_b128 v[1:4], off, off offset:144
	v_fmac_f32_e32 v140, v6, v13
	v_fma_f32 v13, v5, v13, -v14
	v_fma_f32 v14, v7, v15, -v16
	s_wait_loadcnt_dscnt 0x200
	v_mul_f32_e32 v15, v9, v18
	v_mul_f32_e32 v16, v10, v18
	;; [unrolled: 1-line block ×4, first 2 shown]
	ds_load_b128 v[5:8], v21 offset:576
	v_fmac_f32_e32 v15, v10, v17
	v_fma_f32 v16, v9, v17, -v16
	v_fmac_f32_e32 v18, v12, v19
	v_fma_f32 v17, v11, v19, -v20
	scratch_load_b128 v[9:12], off, off offset:160
	s_wait_loadcnt_dscnt 0x100
	v_mul_f32_e32 v19, v5, v2
	v_mul_f32_e32 v2, v6, v2
	;; [unrolled: 1-line block ×3, first 2 shown]
	s_delay_alu instid0(VALU_DEP_3) | instskip(NEXT) | instid1(VALU_DEP_3)
	v_dual_mul_f32 v4, v8, v4 :: v_dual_fmac_f32 v19, v6, v1
	v_fma_f32 v142, v5, v1, -v2
	s_delay_alu instid0(VALU_DEP_3) | instskip(NEXT) | instid1(VALU_DEP_3)
	v_fmac_f32_e32 v20, v8, v3
	v_fma_f32 v143, v7, v3, -v4
	ds_load_b128 v[1:4], v21 offset:592
	ds_load_b128 v[5:8], v21 offset:608
	s_wait_loadcnt_dscnt 0x1
	v_mul_f32_e32 v149, v1, v10
	v_mul_f32_e32 v10, v2, v10
	s_delay_alu instid0(VALU_DEP_2) | instskip(NEXT) | instid1(VALU_DEP_2)
	v_dual_mul_f32 v150, v3, v12 :: v_dual_fmac_f32 v149, v2, v9
	v_fma_f32 v151, v1, v9, -v10
	v_mul_f32_e32 v1, v4, v12
	s_delay_alu instid0(VALU_DEP_3) | instskip(NEXT) | instid1(VALU_DEP_2)
	v_fmac_f32_e32 v150, v4, v11
	v_fma_f32 v152, v3, v11, -v1
	s_clause 0x1
	scratch_load_b128 v[1:4], off, off offset:176
	scratch_load_b128 v[9:12], off, off offset:192
	s_wait_loadcnt_dscnt 0x100
	v_mul_f32_e32 v153, v5, v2
	v_dual_mul_f32 v2, v6, v2 :: v_dual_mul_f32 v155, v7, v4
	s_delay_alu instid0(VALU_DEP_2) | instskip(NEXT) | instid1(VALU_DEP_2)
	v_fmac_f32_e32 v153, v6, v1
	v_fma_f32 v154, v5, v1, -v2
	v_mul_f32_e32 v1, v8, v4
	s_delay_alu instid0(VALU_DEP_4) | instskip(NEXT) | instid1(VALU_DEP_2)
	v_fmac_f32_e32 v155, v8, v3
	v_fma_f32 v156, v7, v3, -v1
	ds_load_b128 v[1:4], v21 offset:624
	ds_load_b128 v[5:8], v21 offset:640
	s_wait_loadcnt_dscnt 0x1
	v_mul_f32_e32 v157, v1, v10
	v_mul_f32_e32 v159, v3, v12
	s_delay_alu instid0(VALU_DEP_2) | instskip(NEXT) | instid1(VALU_DEP_2)
	v_fmac_f32_e32 v157, v2, v9
	v_dual_mul_f32 v2, v2, v10 :: v_dual_fmac_f32 v159, v4, v11
	s_delay_alu instid0(VALU_DEP_1) | instskip(SKIP_1) | instid1(VALU_DEP_1)
	v_fma_f32 v158, v1, v9, -v2
	v_mul_f32_e32 v1, v4, v12
	v_fma_f32 v160, v3, v11, -v1
	s_clause 0x1
	scratch_load_b128 v[1:4], off, off offset:208
	scratch_load_b128 v[9:12], off, off offset:224
	s_wait_loadcnt_dscnt 0x100
	v_mul_f32_e32 v161, v5, v2
	v_dual_mul_f32 v2, v6, v2 :: v_dual_mul_f32 v163, v7, v4
	s_delay_alu instid0(VALU_DEP_2) | instskip(NEXT) | instid1(VALU_DEP_2)
	v_fmac_f32_e32 v161, v6, v1
	v_fma_f32 v162, v5, v1, -v2
	v_mul_f32_e32 v1, v8, v4
	s_delay_alu instid0(VALU_DEP_4) | instskip(NEXT) | instid1(VALU_DEP_2)
	v_fmac_f32_e32 v163, v8, v3
	v_fma_f32 v164, v7, v3, -v1
	ds_load_b128 v[1:4], v21 offset:656
	ds_load_b128 v[5:8], v21 offset:672
	s_wait_loadcnt_dscnt 0x1
	v_mul_f32_e32 v165, v1, v10
	v_mul_f32_e32 v167, v3, v12
	s_delay_alu instid0(VALU_DEP_2) | instskip(NEXT) | instid1(VALU_DEP_2)
	v_fmac_f32_e32 v165, v2, v9
	v_dual_mul_f32 v2, v2, v10 :: v_dual_fmac_f32 v167, v4, v11
	s_delay_alu instid0(VALU_DEP_1) | instskip(SKIP_1) | instid1(VALU_DEP_1)
	v_fma_f32 v166, v1, v9, -v2
	v_mul_f32_e32 v1, v4, v12
	;; [unrolled: 25-line block ×5, first 2 shown]
	v_fma_f32 v192, v3, v11, -v1
	s_clause 0x1
	scratch_load_b128 v[1:4], off, off offset:336
	scratch_load_b128 v[9:12], off, off offset:352
	s_wait_loadcnt_dscnt 0x100
	v_mul_f32_e32 v193, v5, v2
	v_mul_f32_e32 v2, v6, v2
	s_delay_alu instid0(VALU_DEP_1) | instskip(SKIP_1) | instid1(VALU_DEP_1)
	v_fma_f32 v194, v5, v1, -v2
	v_add_f32_e32 v2, 0, v146
	v_add_f32_e32 v2, v2, v147
	s_delay_alu instid0(VALU_DEP_1) | instskip(NEXT) | instid1(VALU_DEP_1)
	v_add_f32_e32 v2, v2, v24
	v_add_f32_e32 v2, v2, v25
	s_delay_alu instid0(VALU_DEP_1) | instskip(NEXT) | instid1(VALU_DEP_1)
	;; [unrolled: 3-line block ×8, first 2 shown]
	v_add_f32_e32 v2, v2, v157
	v_add_f32_e32 v2, v2, v159
	s_delay_alu instid0(VALU_DEP_1) | instskip(SKIP_2) | instid1(VALU_DEP_3)
	v_add_f32_e32 v2, v2, v161
	v_fmac_f32_e32 v193, v6, v1
	v_mul_f32_e32 v1, v8, v4
	v_dual_mul_f32 v195, v7, v4 :: v_dual_add_f32 v2, v2, v163
	s_delay_alu instid0(VALU_DEP_2) | instskip(SKIP_1) | instid1(VALU_DEP_3)
	v_fma_f32 v196, v7, v3, -v1
	v_add_f32_e32 v1, 0, v22
	v_dual_fmac_f32 v195, v8, v3 :: v_dual_add_f32 v2, v2, v165
	s_delay_alu instid0(VALU_DEP_2) | instskip(NEXT) | instid1(VALU_DEP_2)
	v_add_f32_e32 v1, v1, v23
	v_add_f32_e32 v5, v2, v167
	s_delay_alu instid0(VALU_DEP_2) | instskip(NEXT) | instid1(VALU_DEP_1)
	v_add_f32_e32 v1, v1, v28
	v_add_f32_e32 v1, v1, v29
	s_delay_alu instid0(VALU_DEP_1) | instskip(NEXT) | instid1(VALU_DEP_1)
	v_add_f32_e32 v1, v1, v30
	v_add_f32_e32 v1, v1, v31
	s_delay_alu instid0(VALU_DEP_1) | instskip(SKIP_1) | instid1(VALU_DEP_2)
	v_add_f32_e32 v1, v1, v13
	v_add_f32_e32 v13, v5, v169
	;; [unrolled: 1-line block ×3, first 2 shown]
	s_delay_alu instid0(VALU_DEP_2) | instskip(NEXT) | instid1(VALU_DEP_2)
	v_add_f32_e32 v13, v13, v171
	v_add_f32_e32 v1, v1, v16
	s_delay_alu instid0(VALU_DEP_1) | instskip(NEXT) | instid1(VALU_DEP_1)
	v_add_f32_e32 v1, v1, v17
	v_add_f32_e32 v1, v1, v142
	s_delay_alu instid0(VALU_DEP_1) | instskip(NEXT) | instid1(VALU_DEP_1)
	;; [unrolled: 3-line block ×7, first 2 shown]
	v_add_f32_e32 v1, v1, v168
	v_add_f32_e32 v6, v1, v170
	ds_load_b128 v[1:4], v21 offset:784
	v_dual_add_f32 v13, v13, v173 :: v_dual_add_f32 v14, v6, v172
	scratch_load_b128 v[5:8], off, off offset:368
	v_add_f32_e32 v18, v13, v175
	v_add_f32_e32 v14, v14, v174
	s_delay_alu instid0(VALU_DEP_2) | instskip(NEXT) | instid1(VALU_DEP_2)
	v_add_f32_e32 v18, v18, v177
	v_add_f32_e32 v17, v14, v176
	ds_load_b128 v[13:16], v21 offset:800
	v_dual_add_f32 v18, v18, v179 :: v_dual_add_f32 v17, v17, v178
	s_wait_loadcnt_dscnt 0x101
	v_mul_f32_e32 v25, v1, v10
	v_mul_f32_e32 v10, v2, v10
	;; [unrolled: 1-line block ×4, first 2 shown]
	v_add_f32_e32 v17, v17, v180
	v_fmac_f32_e32 v25, v2, v9
	v_fma_f32 v28, v1, v9, -v10
	v_fmac_f32_e32 v26, v4, v11
	v_fma_f32 v29, v3, v11, -v12
	s_clause 0x1
	scratch_load_b128 v[1:4], off, off offset:384
	scratch_load_b128 v[9:12], off, off offset:400
	v_dual_add_f32 v17, v17, v182 :: v_dual_add_f32 v22, v18, v181
	s_delay_alu instid0(VALU_DEP_1) | instskip(SKIP_2) | instid1(VALU_DEP_1)
	v_add_f32_e32 v23, v17, v184
	scratch_load_b128 v[17:20], off, off offset:416
	v_dual_add_f32 v22, v22, v183 :: v_dual_add_f32 v23, v23, v186
	v_dual_add_f32 v22, v22, v185 :: v_dual_add_f32 v23, v23, v188
	s_wait_loadcnt_dscnt 0x300
	v_mul_f32_e32 v30, v13, v6
	v_dual_mul_f32 v6, v14, v6 :: v_dual_mul_f32 v31, v15, v8
	v_mul_f32_e32 v8, v16, v8
	s_delay_alu instid0(VALU_DEP_3) | instskip(NEXT) | instid1(VALU_DEP_3)
	v_fmac_f32_e32 v30, v14, v5
	v_fma_f32 v140, v13, v5, -v6
	v_dual_add_f32 v13, v22, v187 :: v_dual_add_f32 v22, v23, v190
	v_fmac_f32_e32 v31, v16, v7
	v_fma_f32 v141, v15, v7, -v8
	ds_load_b128 v[5:8], v21 offset:816
	v_dual_add_f32 v23, v13, v189 :: v_dual_add_f32 v142, v22, v192
	ds_load_b128 v[13:16], v21 offset:832
	v_dual_add_f32 v143, v23, v191 :: v_dual_add_f32 v142, v142, v194
	;; [unrolled: 2-line block ×3, first 2 shown]
	s_delay_alu instid0(VALU_DEP_1) | instskip(SKIP_1) | instid1(VALU_DEP_1)
	v_dual_add_f32 v143, v143, v195 :: v_dual_add_f32 v28, v142, v28
	s_wait_loadcnt_dscnt 0x202
	v_dual_mul_f32 v146, v5, v2 :: v_dual_add_f32 v25, v143, v25
	s_delay_alu instid0(VALU_DEP_2) | instskip(SKIP_2) | instid1(VALU_DEP_4)
	v_add_f32_e32 v28, v28, v29
	v_mul_f32_e32 v2, v6, v2
	v_mul_f32_e32 v142, v7, v4
	v_dual_mul_f32 v4, v8, v4 :: v_dual_add_f32 v25, v25, v26
	s_delay_alu instid0(VALU_DEP_4) | instskip(NEXT) | instid1(VALU_DEP_4)
	v_add_f32_e32 v28, v28, v140
	v_fma_f32 v2, v5, v1, -v2
	s_wait_loadcnt_dscnt 0x101
	v_dual_fmac_f32 v146, v6, v1 :: v_dual_mul_f32 v143, v13, v10
	v_add_f32_e32 v25, v25, v30
	v_dual_add_f32 v1, v28, v141 :: v_dual_mul_f32 v6, v14, v10
	v_fmac_f32_e32 v142, v8, v3
	v_fma_f32 v3, v7, v3, -v4
	s_delay_alu instid0(VALU_DEP_4) | instskip(NEXT) | instid1(VALU_DEP_4)
	v_add_f32_e32 v5, v25, v31
	v_add_f32_e32 v1, v1, v2
	v_mul_f32_e32 v147, v15, v12
	v_dual_mul_f32 v4, v16, v12 :: v_dual_fmac_f32 v143, v14, v9
	s_delay_alu instid0(VALU_DEP_4)
	v_add_f32_e32 v2, v5, v146
	v_fma_f32 v5, v13, v9, -v6
	v_add_f32_e32 v1, v1, v3
	s_wait_loadcnt_dscnt 0x0
	v_mul_f32_e32 v26, v21, v18
	v_mul_f32_e32 v3, v22, v18
	v_dual_add_f32 v2, v2, v142 :: v_dual_fmac_f32 v147, v16, v11
	v_fma_f32 v4, v15, v11, -v4
	v_add_f32_e32 v1, v1, v5
	s_delay_alu instid0(VALU_DEP_3) | instskip(SKIP_2) | instid1(VALU_DEP_3)
	v_dual_mul_f32 v29, v23, v20 :: v_dual_add_f32 v2, v2, v143
	v_dual_mul_f32 v5, v24, v20 :: v_dual_fmac_f32 v26, v22, v17
	v_fma_f32 v3, v21, v17, -v3
	v_dual_add_f32 v1, v1, v4 :: v_dual_add_f32 v2, v2, v147
	s_delay_alu instid0(VALU_DEP_4) | instskip(NEXT) | instid1(VALU_DEP_4)
	v_fmac_f32_e32 v29, v24, v19
	v_fma_f32 v4, v23, v19, -v5
	s_delay_alu instid0(VALU_DEP_3) | instskip(NEXT) | instid1(VALU_DEP_1)
	v_dual_add_f32 v1, v1, v3 :: v_dual_add_f32 v2, v2, v26
	v_dual_add_f32 v1, v1, v4 :: v_dual_add_f32 v2, v2, v29
	s_delay_alu instid0(VALU_DEP_1)
	v_dual_sub_f32 v1, v144, v1 :: v_dual_sub_f32 v2, v145, v2
	scratch_store_b64 off, v[1:2], off offset:56
	v_cmpx_lt_u32_e32 6, v0
	s_cbranch_execz .LBB117_325
; %bb.324:
	scratch_load_b64 v[1:2], off, off offset:48
	v_mov_b32_e32 v3, 0
	s_delay_alu instid0(VALU_DEP_1)
	v_mov_b32_e32 v4, v3
	scratch_store_b64 off, v[3:4], off offset:48
	s_wait_loadcnt 0x0
	ds_store_b64 v27, v[1:2]
.LBB117_325:
	s_wait_alu 0xfffe
	s_or_b32 exec_lo, exec_lo, s0
	s_wait_storecnt_dscnt 0x0
	s_barrier_signal -1
	s_barrier_wait -1
	global_inv scope:SCOPE_SE
	s_clause 0x4
	scratch_load_b128 v[5:8], off, off offset:56
	scratch_load_b128 v[1:4], off, off offset:72
	scratch_load_b128 v[9:12], off, off offset:88
	scratch_load_b128 v[13:16], off, off offset:104
	scratch_load_b128 v[17:20], off, off offset:120
	v_mov_b32_e32 v21, 0
	ds_load_2addr_b64 v[22:25], v21 offset0:61 offset1:62
	ds_load_2addr_b64 v[28:31], v21 offset0:63 offset1:64
	;; [unrolled: 1-line block ×3, first 2 shown]
	scratch_load_b64 v[144:145], off, off offset:48
	s_mov_b32 s0, exec_lo
	s_wait_loadcnt_dscnt 0x502
	v_dual_mul_f32 v146, v22, v6 :: v_dual_mul_f32 v147, v24, v8
	v_mul_f32_e32 v26, v23, v6
	v_mul_f32_e32 v6, v25, v8
	s_wait_loadcnt_dscnt 0x300
	v_mul_f32_e32 v148, v142, v12
	v_dual_fmac_f32 v146, v23, v5 :: v_dual_fmac_f32 v147, v25, v7
	v_mul_f32_e32 v25, v30, v4
	v_fma_f32 v22, v22, v5, -v26
	v_mul_f32_e32 v26, v140, v10
	v_mul_f32_e32 v4, v31, v4
	s_delay_alu instid0(VALU_DEP_4)
	v_dual_mul_f32 v10, v141, v10 :: v_dual_fmac_f32 v25, v31, v3
	v_fma_f32 v23, v24, v7, -v6
	ds_load_2addr_b64 v[5:8], v21 offset0:67 offset1:68
	v_mul_f32_e32 v24, v28, v2
	v_mul_f32_e32 v12, v143, v12
	;; [unrolled: 1-line block ×3, first 2 shown]
	v_fmac_f32_e32 v26, v141, v9
	v_fmac_f32_e32 v148, v143, v11
	;; [unrolled: 1-line block ×3, first 2 shown]
	v_fma_f32 v29, v30, v3, -v4
	v_fma_f32 v30, v140, v9, -v10
	;; [unrolled: 1-line block ×3, first 2 shown]
	ds_load_2addr_b64 v[9:12], v21 offset0:69 offset1:70
	s_wait_loadcnt_dscnt 0x201
	v_dual_mul_f32 v141, v7, v16 :: v_dual_mul_f32 v140, v5, v14
	v_mul_f32_e32 v14, v6, v14
	v_mul_f32_e32 v16, v8, v16
	s_delay_alu instid0(VALU_DEP_3)
	v_fmac_f32_e32 v141, v8, v15
	v_fma_f32 v28, v28, v1, -v2
	scratch_load_b128 v[1:4], off, off offset:136
	v_fmac_f32_e32 v140, v6, v13
	v_fma_f32 v13, v5, v13, -v14
	v_fma_f32 v14, v7, v15, -v16
	s_wait_loadcnt_dscnt 0x200
	v_mul_f32_e32 v15, v9, v18
	v_mul_f32_e32 v16, v10, v18
	;; [unrolled: 1-line block ×4, first 2 shown]
	ds_load_2addr_b64 v[5:8], v21 offset0:71 offset1:72
	v_fmac_f32_e32 v15, v10, v17
	v_fma_f32 v16, v9, v17, -v16
	v_fmac_f32_e32 v18, v12, v19
	v_fma_f32 v17, v11, v19, -v20
	scratch_load_b128 v[9:12], off, off offset:152
	s_wait_loadcnt_dscnt 0x100
	v_mul_f32_e32 v19, v5, v2
	v_mul_f32_e32 v2, v6, v2
	;; [unrolled: 1-line block ×3, first 2 shown]
	s_delay_alu instid0(VALU_DEP_3) | instskip(NEXT) | instid1(VALU_DEP_3)
	v_dual_mul_f32 v4, v8, v4 :: v_dual_fmac_f32 v19, v6, v1
	v_fma_f32 v142, v5, v1, -v2
	s_delay_alu instid0(VALU_DEP_3) | instskip(NEXT) | instid1(VALU_DEP_3)
	v_fmac_f32_e32 v20, v8, v3
	v_fma_f32 v143, v7, v3, -v4
	ds_load_2addr_b64 v[1:4], v21 offset0:73 offset1:74
	ds_load_2addr_b64 v[5:8], v21 offset0:75 offset1:76
	s_wait_loadcnt_dscnt 0x1
	v_mul_f32_e32 v149, v1, v10
	v_mul_f32_e32 v10, v2, v10
	s_delay_alu instid0(VALU_DEP_2) | instskip(NEXT) | instid1(VALU_DEP_2)
	v_dual_mul_f32 v150, v3, v12 :: v_dual_fmac_f32 v149, v2, v9
	v_fma_f32 v151, v1, v9, -v10
	v_mul_f32_e32 v1, v4, v12
	s_delay_alu instid0(VALU_DEP_3) | instskip(NEXT) | instid1(VALU_DEP_2)
	v_fmac_f32_e32 v150, v4, v11
	v_fma_f32 v152, v3, v11, -v1
	s_clause 0x1
	scratch_load_b128 v[1:4], off, off offset:168
	scratch_load_b128 v[9:12], off, off offset:184
	s_wait_loadcnt_dscnt 0x100
	v_mul_f32_e32 v153, v5, v2
	v_dual_mul_f32 v2, v6, v2 :: v_dual_mul_f32 v155, v7, v4
	s_delay_alu instid0(VALU_DEP_2) | instskip(NEXT) | instid1(VALU_DEP_2)
	v_fmac_f32_e32 v153, v6, v1
	v_fma_f32 v154, v5, v1, -v2
	v_mul_f32_e32 v1, v8, v4
	s_delay_alu instid0(VALU_DEP_4) | instskip(NEXT) | instid1(VALU_DEP_2)
	v_fmac_f32_e32 v155, v8, v3
	v_fma_f32 v156, v7, v3, -v1
	ds_load_2addr_b64 v[1:4], v21 offset0:77 offset1:78
	ds_load_2addr_b64 v[5:8], v21 offset0:79 offset1:80
	s_wait_loadcnt_dscnt 0x1
	v_mul_f32_e32 v157, v1, v10
	v_mul_f32_e32 v159, v3, v12
	s_delay_alu instid0(VALU_DEP_2) | instskip(NEXT) | instid1(VALU_DEP_2)
	v_fmac_f32_e32 v157, v2, v9
	v_dual_mul_f32 v2, v2, v10 :: v_dual_fmac_f32 v159, v4, v11
	s_delay_alu instid0(VALU_DEP_1) | instskip(SKIP_1) | instid1(VALU_DEP_1)
	v_fma_f32 v158, v1, v9, -v2
	v_mul_f32_e32 v1, v4, v12
	v_fma_f32 v160, v3, v11, -v1
	s_clause 0x1
	scratch_load_b128 v[1:4], off, off offset:200
	scratch_load_b128 v[9:12], off, off offset:216
	s_wait_loadcnt_dscnt 0x100
	v_mul_f32_e32 v161, v5, v2
	v_dual_mul_f32 v2, v6, v2 :: v_dual_mul_f32 v163, v7, v4
	s_delay_alu instid0(VALU_DEP_2) | instskip(NEXT) | instid1(VALU_DEP_2)
	v_fmac_f32_e32 v161, v6, v1
	v_fma_f32 v162, v5, v1, -v2
	v_mul_f32_e32 v1, v8, v4
	s_delay_alu instid0(VALU_DEP_4) | instskip(NEXT) | instid1(VALU_DEP_2)
	v_fmac_f32_e32 v163, v8, v3
	v_fma_f32 v164, v7, v3, -v1
	ds_load_2addr_b64 v[1:4], v21 offset0:81 offset1:82
	ds_load_2addr_b64 v[5:8], v21 offset0:83 offset1:84
	s_wait_loadcnt_dscnt 0x1
	v_mul_f32_e32 v165, v1, v10
	v_mul_f32_e32 v167, v3, v12
	s_delay_alu instid0(VALU_DEP_2) | instskip(NEXT) | instid1(VALU_DEP_2)
	v_fmac_f32_e32 v165, v2, v9
	v_dual_mul_f32 v2, v2, v10 :: v_dual_fmac_f32 v167, v4, v11
	s_delay_alu instid0(VALU_DEP_1) | instskip(SKIP_1) | instid1(VALU_DEP_1)
	v_fma_f32 v166, v1, v9, -v2
	v_mul_f32_e32 v1, v4, v12
	v_fma_f32 v168, v3, v11, -v1
	s_clause 0x1
	scratch_load_b128 v[1:4], off, off offset:232
	scratch_load_b128 v[9:12], off, off offset:248
	s_wait_loadcnt_dscnt 0x100
	v_mul_f32_e32 v169, v5, v2
	v_dual_mul_f32 v2, v6, v2 :: v_dual_mul_f32 v171, v7, v4
	s_delay_alu instid0(VALU_DEP_1) | instskip(NEXT) | instid1(VALU_DEP_3)
	v_fma_f32 v170, v5, v1, -v2
	v_fmac_f32_e32 v169, v6, v1
	v_mul_f32_e32 v1, v8, v4
	s_delay_alu instid0(VALU_DEP_4) | instskip(NEXT) | instid1(VALU_DEP_2)
	v_fmac_f32_e32 v171, v8, v3
	v_fma_f32 v172, v7, v3, -v1
	ds_load_2addr_b64 v[1:4], v21 offset0:85 offset1:86
	ds_load_2addr_b64 v[5:8], v21 offset0:87 offset1:88
	s_wait_loadcnt_dscnt 0x1
	v_mul_f32_e32 v173, v1, v10
	v_mul_f32_e32 v175, v3, v12
	s_delay_alu instid0(VALU_DEP_1) | instskip(NEXT) | instid1(VALU_DEP_3)
	v_fmac_f32_e32 v175, v4, v11
	v_fmac_f32_e32 v173, v2, v9
	v_mul_f32_e32 v2, v2, v10
	s_delay_alu instid0(VALU_DEP_1) | instskip(SKIP_1) | instid1(VALU_DEP_1)
	v_fma_f32 v174, v1, v9, -v2
	v_mul_f32_e32 v1, v4, v12
	v_fma_f32 v176, v3, v11, -v1
	s_clause 0x1
	scratch_load_b128 v[1:4], off, off offset:264
	scratch_load_b128 v[9:12], off, off offset:280
	s_wait_loadcnt_dscnt 0x100
	v_mul_f32_e32 v177, v5, v2
	v_dual_mul_f32 v2, v6, v2 :: v_dual_mul_f32 v179, v7, v4
	s_delay_alu instid0(VALU_DEP_2) | instskip(NEXT) | instid1(VALU_DEP_2)
	v_fmac_f32_e32 v177, v6, v1
	v_fma_f32 v178, v5, v1, -v2
	v_mul_f32_e32 v1, v8, v4
	s_delay_alu instid0(VALU_DEP_4) | instskip(NEXT) | instid1(VALU_DEP_2)
	v_fmac_f32_e32 v179, v8, v3
	v_fma_f32 v180, v7, v3, -v1
	ds_load_2addr_b64 v[1:4], v21 offset0:89 offset1:90
	ds_load_2addr_b64 v[5:8], v21 offset0:91 offset1:92
	s_wait_loadcnt_dscnt 0x1
	v_mul_f32_e32 v181, v1, v10
	v_mul_f32_e32 v183, v3, v12
	s_delay_alu instid0(VALU_DEP_2) | instskip(NEXT) | instid1(VALU_DEP_2)
	v_fmac_f32_e32 v181, v2, v9
	v_dual_mul_f32 v2, v2, v10 :: v_dual_fmac_f32 v183, v4, v11
	s_delay_alu instid0(VALU_DEP_1) | instskip(SKIP_1) | instid1(VALU_DEP_1)
	v_fma_f32 v182, v1, v9, -v2
	v_mul_f32_e32 v1, v4, v12
	v_fma_f32 v184, v3, v11, -v1
	s_clause 0x1
	scratch_load_b128 v[1:4], off, off offset:296
	scratch_load_b128 v[9:12], off, off offset:312
	s_wait_loadcnt_dscnt 0x100
	v_mul_f32_e32 v185, v5, v2
	v_dual_mul_f32 v2, v6, v2 :: v_dual_mul_f32 v187, v7, v4
	s_delay_alu instid0(VALU_DEP_2) | instskip(NEXT) | instid1(VALU_DEP_2)
	v_fmac_f32_e32 v185, v6, v1
	v_fma_f32 v186, v5, v1, -v2
	v_mul_f32_e32 v1, v8, v4
	s_delay_alu instid0(VALU_DEP_4) | instskip(NEXT) | instid1(VALU_DEP_2)
	v_fmac_f32_e32 v187, v8, v3
	v_fma_f32 v188, v7, v3, -v1
	ds_load_2addr_b64 v[1:4], v21 offset0:93 offset1:94
	ds_load_2addr_b64 v[5:8], v21 offset0:95 offset1:96
	s_wait_loadcnt_dscnt 0x1
	v_mul_f32_e32 v189, v1, v10
	v_mul_f32_e32 v191, v3, v12
	s_delay_alu instid0(VALU_DEP_2) | instskip(NEXT) | instid1(VALU_DEP_2)
	v_fmac_f32_e32 v189, v2, v9
	v_dual_mul_f32 v2, v2, v10 :: v_dual_fmac_f32 v191, v4, v11
	s_delay_alu instid0(VALU_DEP_1) | instskip(SKIP_1) | instid1(VALU_DEP_1)
	v_fma_f32 v190, v1, v9, -v2
	v_mul_f32_e32 v1, v4, v12
	v_fma_f32 v192, v3, v11, -v1
	s_clause 0x1
	scratch_load_b128 v[1:4], off, off offset:328
	scratch_load_b128 v[9:12], off, off offset:344
	s_wait_loadcnt_dscnt 0x100
	v_mul_f32_e32 v193, v5, v2
	v_mul_f32_e32 v2, v6, v2
	s_delay_alu instid0(VALU_DEP_1) | instskip(SKIP_1) | instid1(VALU_DEP_1)
	v_fma_f32 v194, v5, v1, -v2
	v_add_f32_e32 v2, 0, v146
	v_add_f32_e32 v2, v2, v147
	s_delay_alu instid0(VALU_DEP_1) | instskip(NEXT) | instid1(VALU_DEP_1)
	v_add_f32_e32 v2, v2, v24
	v_add_f32_e32 v2, v2, v25
	s_delay_alu instid0(VALU_DEP_1) | instskip(NEXT) | instid1(VALU_DEP_1)
	;; [unrolled: 3-line block ×8, first 2 shown]
	v_add_f32_e32 v2, v2, v157
	v_add_f32_e32 v2, v2, v159
	s_delay_alu instid0(VALU_DEP_1) | instskip(SKIP_2) | instid1(VALU_DEP_3)
	v_add_f32_e32 v2, v2, v161
	v_fmac_f32_e32 v193, v6, v1
	v_mul_f32_e32 v1, v8, v4
	v_dual_mul_f32 v195, v7, v4 :: v_dual_add_f32 v2, v2, v163
	s_delay_alu instid0(VALU_DEP_2) | instskip(SKIP_1) | instid1(VALU_DEP_3)
	v_fma_f32 v196, v7, v3, -v1
	v_add_f32_e32 v1, 0, v22
	v_dual_fmac_f32 v195, v8, v3 :: v_dual_add_f32 v2, v2, v165
	s_delay_alu instid0(VALU_DEP_2) | instskip(NEXT) | instid1(VALU_DEP_2)
	v_add_f32_e32 v1, v1, v23
	v_add_f32_e32 v5, v2, v167
	s_delay_alu instid0(VALU_DEP_2) | instskip(NEXT) | instid1(VALU_DEP_1)
	v_add_f32_e32 v1, v1, v28
	v_add_f32_e32 v1, v1, v29
	scratch_load_b64 v[28:29], off, off offset:424
	v_add_f32_e32 v1, v1, v30
	s_delay_alu instid0(VALU_DEP_1) | instskip(NEXT) | instid1(VALU_DEP_1)
	v_add_f32_e32 v1, v1, v31
	v_add_f32_e32 v1, v1, v13
	s_delay_alu instid0(VALU_DEP_1) | instskip(NEXT) | instid1(VALU_DEP_1)
	v_add_f32_e32 v1, v1, v14
	;; [unrolled: 3-line block ×9, first 2 shown]
	v_add_f32_e32 v6, v1, v170
	scratch_load_b128 v[1:4], off, off offset:360
	v_dual_add_f32 v13, v5, v169 :: v_dual_add_f32 v14, v6, v172
	ds_load_2addr_b64 v[5:8], v21 offset0:97 offset1:98
	v_dual_add_f32 v13, v13, v171 :: v_dual_add_f32 v14, v14, v174
	s_delay_alu instid0(VALU_DEP_1) | instskip(NEXT) | instid1(VALU_DEP_1)
	v_add_f32_e32 v13, v13, v173
	v_dual_add_f32 v17, v14, v176 :: v_dual_add_f32 v18, v13, v175
	ds_load_2addr_b64 v[13:16], v21 offset0:99 offset1:100
	s_wait_loadcnt_dscnt 0x201
	v_mul_f32_e32 v26, v5, v10
	v_add_f32_e32 v18, v18, v177
	v_mul_f32_e32 v140, v7, v12
	v_mul_f32_e32 v10, v6, v10
	;; [unrolled: 1-line block ×3, first 2 shown]
	v_fmac_f32_e32 v26, v6, v9
	v_add_f32_e32 v18, v18, v179
	v_fmac_f32_e32 v140, v8, v11
	v_fma_f32 v141, v5, v9, -v10
	v_fma_f32 v142, v7, v11, -v12
	scratch_load_b128 v[5:8], off, off offset:376
	v_add_f32_e32 v22, v18, v181
	scratch_load_b128 v[9:12], off, off offset:392
	v_add_f32_e32 v22, v22, v183
	s_delay_alu instid0(VALU_DEP_1) | instskip(SKIP_1) | instid1(VALU_DEP_1)
	v_add_f32_e32 v22, v22, v185
	s_wait_loadcnt_dscnt 0x200
	v_dual_add_f32 v22, v22, v187 :: v_dual_mul_f32 v143, v13, v2
	v_mul_f32_e32 v2, v14, v2
	v_mul_f32_e32 v146, v15, v4
	s_delay_alu instid0(VALU_DEP_3) | instskip(NEXT) | instid1(VALU_DEP_3)
	v_dual_mul_f32 v4, v16, v4 :: v_dual_fmac_f32 v143, v14, v1
	v_fma_f32 v147, v13, v1, -v2
	s_delay_alu instid0(VALU_DEP_3) | instskip(NEXT) | instid1(VALU_DEP_3)
	v_dual_add_f32 v13, v22, v189 :: v_dual_fmac_f32 v146, v16, v3
	v_fma_f32 v148, v15, v3, -v4
	ds_load_2addr_b64 v[1:4], v21 offset0:101 offset1:102
	v_add_f32_e32 v22, v13, v191
	s_delay_alu instid0(VALU_DEP_1) | instskip(NEXT) | instid1(VALU_DEP_1)
	v_add_f32_e32 v31, v22, v193
	v_add_f32_e32 v150, v31, v195
	s_delay_alu instid0(VALU_DEP_1) | instskip(NEXT) | instid1(VALU_DEP_1)
	v_add_f32_e32 v26, v150, v26
	;; [unrolled: 3-line block ×3, first 2 shown]
	v_add_f32_e32 v26, v26, v146
	v_add_f32_e32 v17, v17, v178
	s_delay_alu instid0(VALU_DEP_1) | instskip(NEXT) | instid1(VALU_DEP_1)
	v_add_f32_e32 v17, v17, v180
	v_add_f32_e32 v17, v17, v182
	s_delay_alu instid0(VALU_DEP_1) | instskip(SKIP_2) | instid1(VALU_DEP_1)
	v_add_f32_e32 v23, v17, v184
	scratch_load_b128 v[17:20], off, off offset:408
	v_add_f32_e32 v23, v23, v186
	v_add_f32_e32 v23, v23, v188
	s_delay_alu instid0(VALU_DEP_1) | instskip(NEXT) | instid1(VALU_DEP_1)
	v_add_f32_e32 v23, v23, v190
	v_add_f32_e32 v14, v23, v192
	ds_load_2addr_b64 v[22:25], v21 offset0:105 offset1:106
	v_add_f32_e32 v30, v14, v194
	ds_load_2addr_b64 v[13:16], v21 offset0:103 offset1:104
	s_wait_loadcnt_dscnt 0x202
	v_mul_f32_e32 v140, v3, v8
	v_mul_f32_e32 v8, v4, v8
	v_add_f32_e32 v149, v30, v196
	ds_load_b64 v[30:31], v21 offset:856
	s_wait_loadcnt_dscnt 0x101
	v_dual_fmac_f32 v140, v4, v7 :: v_dual_mul_f32 v143, v15, v12
	s_wait_dscnt 0x0
	s_delay_alu instid0(VALU_DEP_1) | instskip(NEXT) | instid1(VALU_DEP_1)
	v_dual_mul_f32 v146, v30, v29 :: v_dual_fmac_f32 v143, v16, v11
	v_dual_fmac_f32 v146, v31, v28 :: v_dual_add_f32 v141, v149, v141
	v_mul_f32_e32 v149, v1, v6
	v_mul_f32_e32 v6, v2, v6
	s_delay_alu instid0(VALU_DEP_3) | instskip(NEXT) | instid1(VALU_DEP_3)
	v_add_f32_e32 v141, v141, v142
	v_fmac_f32_e32 v149, v2, v5
	s_delay_alu instid0(VALU_DEP_3)
	v_fma_f32 v1, v1, v5, -v6
	v_mul_f32_e32 v142, v13, v10
	v_fma_f32 v2, v3, v7, -v8
	v_add_f32_e32 v141, v141, v147
	v_mul_f32_e32 v3, v14, v10
	v_dual_add_f32 v4, v26, v149 :: v_dual_mul_f32 v5, v16, v12
	s_delay_alu instid0(VALU_DEP_3) | instskip(NEXT) | instid1(VALU_DEP_3)
	v_dual_fmac_f32 v142, v14, v9 :: v_dual_add_f32 v141, v141, v148
	v_fma_f32 v3, v13, v9, -v3
	s_delay_alu instid0(VALU_DEP_3) | instskip(NEXT) | instid1(VALU_DEP_3)
	v_fma_f32 v5, v15, v11, -v5
	v_add_f32_e32 v1, v141, v1
	s_delay_alu instid0(VALU_DEP_1) | instskip(NEXT) | instid1(VALU_DEP_1)
	v_dual_add_f32 v1, v1, v2 :: v_dual_add_f32 v2, v4, v140
	v_dual_add_f32 v1, v1, v3 :: v_dual_add_f32 v2, v2, v142
	s_delay_alu instid0(VALU_DEP_1)
	v_dual_add_f32 v1, v1, v5 :: v_dual_add_f32 v2, v2, v143
	v_mul_f32_e32 v5, v31, v29
	s_wait_loadcnt 0x0
	v_mul_f32_e32 v147, v22, v18
	v_mul_f32_e32 v4, v23, v18
	;; [unrolled: 1-line block ×4, first 2 shown]
	s_delay_alu instid0(VALU_DEP_4) | instskip(NEXT) | instid1(VALU_DEP_4)
	v_fmac_f32_e32 v147, v23, v17
	v_fma_f32 v4, v22, v17, -v4
	s_delay_alu instid0(VALU_DEP_4) | instskip(NEXT) | instid1(VALU_DEP_4)
	v_fmac_f32_e32 v148, v25, v19
	v_fma_f32 v3, v24, v19, -v3
	s_delay_alu instid0(VALU_DEP_3) | instskip(SKIP_1) | instid1(VALU_DEP_2)
	v_dual_add_f32 v2, v2, v147 :: v_dual_add_f32 v1, v1, v4
	v_fma_f32 v4, v30, v28, -v5
	v_dual_add_f32 v2, v2, v148 :: v_dual_add_f32 v1, v1, v3
	s_delay_alu instid0(VALU_DEP_1) | instskip(NEXT) | instid1(VALU_DEP_1)
	v_dual_add_f32 v2, v2, v146 :: v_dual_add_f32 v1, v1, v4
	v_dual_sub_f32 v2, v145, v2 :: v_dual_sub_f32 v1, v144, v1
	scratch_store_b64 off, v[1:2], off offset:48
	v_cmpx_lt_u32_e32 5, v0
	s_cbranch_execz .LBB117_327
; %bb.326:
	scratch_load_b64 v[1:2], off, off offset:40
	v_mov_b32_e32 v22, v21
	scratch_store_b64 off, v[21:22], off offset:40
	s_wait_loadcnt 0x0
	ds_store_b64 v27, v[1:2]
.LBB117_327:
	s_wait_alu 0xfffe
	s_or_b32 exec_lo, exec_lo, s0
	s_wait_storecnt_dscnt 0x0
	s_barrier_signal -1
	s_barrier_wait -1
	global_inv scope:SCOPE_SE
	s_clause 0x4
	scratch_load_b128 v[5:8], off, off offset:48
	scratch_load_b128 v[1:4], off, off offset:64
	;; [unrolled: 1-line block ×5, first 2 shown]
	ds_load_b128 v[22:25], v21 offset:480
	ds_load_b128 v[28:31], v21 offset:496
	;; [unrolled: 1-line block ×3, first 2 shown]
	scratch_load_b64 v[144:145], off, off offset:40
	s_mov_b32 s0, exec_lo
	s_wait_loadcnt_dscnt 0x502
	v_dual_mul_f32 v26, v23, v6 :: v_dual_mul_f32 v147, v24, v8
	v_mul_f32_e32 v146, v22, v6
	v_mul_f32_e32 v6, v25, v8
	s_wait_loadcnt_dscnt 0x300
	v_mul_f32_e32 v148, v142, v12
	v_fma_f32 v22, v22, v5, -v26
	v_dual_fmac_f32 v147, v25, v7 :: v_dual_fmac_f32 v146, v23, v5
	v_mul_f32_e32 v25, v30, v4
	v_mul_f32_e32 v4, v31, v4
	;; [unrolled: 1-line block ×5, first 2 shown]
	v_fmac_f32_e32 v25, v31, v3
	v_fma_f32 v23, v24, v7, -v6
	ds_load_b128 v[5:8], v21 offset:528
	v_mul_f32_e32 v24, v28, v2
	v_mul_f32_e32 v2, v29, v2
	v_fmac_f32_e32 v26, v141, v9
	v_fmac_f32_e32 v148, v143, v11
	v_fma_f32 v31, v142, v11, -v12
	v_fmac_f32_e32 v24, v29, v1
	v_fma_f32 v29, v30, v3, -v4
	v_fma_f32 v30, v140, v9, -v10
	ds_load_b128 v[9:12], v21 offset:544
	s_wait_loadcnt_dscnt 0x201
	v_dual_mul_f32 v141, v7, v16 :: v_dual_mul_f32 v140, v5, v14
	v_mul_f32_e32 v14, v6, v14
	v_mul_f32_e32 v16, v8, v16
	s_delay_alu instid0(VALU_DEP_3)
	v_fmac_f32_e32 v141, v8, v15
	v_fma_f32 v28, v28, v1, -v2
	scratch_load_b128 v[1:4], off, off offset:128
	v_fmac_f32_e32 v140, v6, v13
	v_fma_f32 v13, v5, v13, -v14
	v_fma_f32 v14, v7, v15, -v16
	s_wait_loadcnt_dscnt 0x200
	v_mul_f32_e32 v15, v9, v18
	v_mul_f32_e32 v16, v10, v18
	;; [unrolled: 1-line block ×4, first 2 shown]
	ds_load_b128 v[5:8], v21 offset:560
	v_fmac_f32_e32 v15, v10, v17
	v_fma_f32 v16, v9, v17, -v16
	v_fmac_f32_e32 v18, v12, v19
	v_fma_f32 v17, v11, v19, -v20
	scratch_load_b128 v[9:12], off, off offset:144
	s_wait_loadcnt_dscnt 0x100
	v_mul_f32_e32 v19, v5, v2
	v_mul_f32_e32 v2, v6, v2
	;; [unrolled: 1-line block ×3, first 2 shown]
	s_delay_alu instid0(VALU_DEP_3) | instskip(NEXT) | instid1(VALU_DEP_3)
	v_dual_mul_f32 v4, v8, v4 :: v_dual_fmac_f32 v19, v6, v1
	v_fma_f32 v142, v5, v1, -v2
	s_delay_alu instid0(VALU_DEP_3) | instskip(NEXT) | instid1(VALU_DEP_3)
	v_fmac_f32_e32 v20, v8, v3
	v_fma_f32 v143, v7, v3, -v4
	ds_load_b128 v[1:4], v21 offset:576
	ds_load_b128 v[5:8], v21 offset:592
	s_wait_loadcnt_dscnt 0x1
	v_mul_f32_e32 v149, v1, v10
	v_mul_f32_e32 v10, v2, v10
	s_delay_alu instid0(VALU_DEP_2) | instskip(NEXT) | instid1(VALU_DEP_2)
	v_dual_mul_f32 v150, v3, v12 :: v_dual_fmac_f32 v149, v2, v9
	v_fma_f32 v151, v1, v9, -v10
	v_mul_f32_e32 v1, v4, v12
	s_delay_alu instid0(VALU_DEP_3) | instskip(NEXT) | instid1(VALU_DEP_2)
	v_fmac_f32_e32 v150, v4, v11
	v_fma_f32 v152, v3, v11, -v1
	s_clause 0x1
	scratch_load_b128 v[1:4], off, off offset:160
	scratch_load_b128 v[9:12], off, off offset:176
	s_wait_loadcnt_dscnt 0x100
	v_mul_f32_e32 v153, v5, v2
	v_dual_mul_f32 v2, v6, v2 :: v_dual_mul_f32 v155, v7, v4
	s_delay_alu instid0(VALU_DEP_2) | instskip(NEXT) | instid1(VALU_DEP_2)
	v_fmac_f32_e32 v153, v6, v1
	v_fma_f32 v154, v5, v1, -v2
	v_mul_f32_e32 v1, v8, v4
	s_delay_alu instid0(VALU_DEP_4) | instskip(NEXT) | instid1(VALU_DEP_2)
	v_fmac_f32_e32 v155, v8, v3
	v_fma_f32 v156, v7, v3, -v1
	ds_load_b128 v[1:4], v21 offset:608
	ds_load_b128 v[5:8], v21 offset:624
	s_wait_loadcnt_dscnt 0x1
	v_mul_f32_e32 v157, v1, v10
	v_mul_f32_e32 v159, v3, v12
	s_delay_alu instid0(VALU_DEP_2) | instskip(NEXT) | instid1(VALU_DEP_2)
	v_fmac_f32_e32 v157, v2, v9
	v_dual_mul_f32 v2, v2, v10 :: v_dual_fmac_f32 v159, v4, v11
	s_delay_alu instid0(VALU_DEP_1) | instskip(SKIP_1) | instid1(VALU_DEP_1)
	v_fma_f32 v158, v1, v9, -v2
	v_mul_f32_e32 v1, v4, v12
	v_fma_f32 v160, v3, v11, -v1
	s_clause 0x1
	scratch_load_b128 v[1:4], off, off offset:192
	scratch_load_b128 v[9:12], off, off offset:208
	s_wait_loadcnt_dscnt 0x100
	v_mul_f32_e32 v161, v5, v2
	v_dual_mul_f32 v2, v6, v2 :: v_dual_mul_f32 v163, v7, v4
	s_delay_alu instid0(VALU_DEP_2) | instskip(NEXT) | instid1(VALU_DEP_2)
	v_fmac_f32_e32 v161, v6, v1
	v_fma_f32 v162, v5, v1, -v2
	v_mul_f32_e32 v1, v8, v4
	s_delay_alu instid0(VALU_DEP_4) | instskip(NEXT) | instid1(VALU_DEP_2)
	v_fmac_f32_e32 v163, v8, v3
	v_fma_f32 v164, v7, v3, -v1
	ds_load_b128 v[1:4], v21 offset:640
	ds_load_b128 v[5:8], v21 offset:656
	s_wait_loadcnt_dscnt 0x1
	v_mul_f32_e32 v165, v1, v10
	v_mul_f32_e32 v167, v3, v12
	s_delay_alu instid0(VALU_DEP_2) | instskip(NEXT) | instid1(VALU_DEP_2)
	v_fmac_f32_e32 v165, v2, v9
	v_dual_mul_f32 v2, v2, v10 :: v_dual_fmac_f32 v167, v4, v11
	s_delay_alu instid0(VALU_DEP_1) | instskip(SKIP_1) | instid1(VALU_DEP_1)
	v_fma_f32 v166, v1, v9, -v2
	v_mul_f32_e32 v1, v4, v12
	;; [unrolled: 25-line block ×3, first 2 shown]
	v_fma_f32 v176, v3, v11, -v1
	s_clause 0x1
	scratch_load_b128 v[1:4], off, off offset:256
	scratch_load_b128 v[9:12], off, off offset:272
	s_wait_loadcnt_dscnt 0x100
	v_mul_f32_e32 v177, v5, v2
	v_dual_mul_f32 v2, v6, v2 :: v_dual_mul_f32 v179, v7, v4
	s_delay_alu instid0(VALU_DEP_1) | instskip(NEXT) | instid1(VALU_DEP_2)
	v_fma_f32 v178, v5, v1, -v2
	v_fmac_f32_e32 v179, v8, v3
	s_delay_alu instid0(VALU_DEP_4) | instskip(SKIP_1) | instid1(VALU_DEP_1)
	v_fmac_f32_e32 v177, v6, v1
	v_mul_f32_e32 v1, v8, v4
	v_fma_f32 v180, v7, v3, -v1
	ds_load_b128 v[1:4], v21 offset:704
	ds_load_b128 v[5:8], v21 offset:720
	s_wait_loadcnt_dscnt 0x1
	v_mul_f32_e32 v181, v1, v10
	v_mul_f32_e32 v183, v3, v12
	s_delay_alu instid0(VALU_DEP_2) | instskip(NEXT) | instid1(VALU_DEP_2)
	v_fmac_f32_e32 v181, v2, v9
	v_dual_mul_f32 v2, v2, v10 :: v_dual_fmac_f32 v183, v4, v11
	s_delay_alu instid0(VALU_DEP_1) | instskip(SKIP_1) | instid1(VALU_DEP_1)
	v_fma_f32 v182, v1, v9, -v2
	v_mul_f32_e32 v1, v4, v12
	v_fma_f32 v184, v3, v11, -v1
	s_clause 0x1
	scratch_load_b128 v[1:4], off, off offset:288
	scratch_load_b128 v[9:12], off, off offset:304
	s_wait_loadcnt_dscnt 0x100
	v_mul_f32_e32 v185, v5, v2
	v_dual_mul_f32 v2, v6, v2 :: v_dual_mul_f32 v187, v7, v4
	s_delay_alu instid0(VALU_DEP_2) | instskip(NEXT) | instid1(VALU_DEP_2)
	v_fmac_f32_e32 v185, v6, v1
	v_fma_f32 v186, v5, v1, -v2
	v_mul_f32_e32 v1, v8, v4
	s_delay_alu instid0(VALU_DEP_4) | instskip(NEXT) | instid1(VALU_DEP_2)
	v_fmac_f32_e32 v187, v8, v3
	v_fma_f32 v188, v7, v3, -v1
	ds_load_b128 v[1:4], v21 offset:736
	ds_load_b128 v[5:8], v21 offset:752
	s_wait_loadcnt_dscnt 0x1
	v_mul_f32_e32 v189, v1, v10
	v_mul_f32_e32 v191, v3, v12
	s_delay_alu instid0(VALU_DEP_2) | instskip(NEXT) | instid1(VALU_DEP_2)
	v_fmac_f32_e32 v189, v2, v9
	v_dual_mul_f32 v2, v2, v10 :: v_dual_fmac_f32 v191, v4, v11
	s_delay_alu instid0(VALU_DEP_1) | instskip(SKIP_1) | instid1(VALU_DEP_1)
	v_fma_f32 v190, v1, v9, -v2
	v_mul_f32_e32 v1, v4, v12
	v_fma_f32 v192, v3, v11, -v1
	s_clause 0x1
	scratch_load_b128 v[1:4], off, off offset:320
	scratch_load_b128 v[9:12], off, off offset:336
	s_wait_loadcnt_dscnt 0x100
	v_mul_f32_e32 v193, v5, v2
	v_dual_mul_f32 v2, v6, v2 :: v_dual_mul_f32 v195, v7, v4
	s_delay_alu instid0(VALU_DEP_2) | instskip(NEXT) | instid1(VALU_DEP_2)
	v_fmac_f32_e32 v193, v6, v1
	v_fma_f32 v194, v5, v1, -v2
	v_mul_f32_e32 v1, v8, v4
	s_delay_alu instid0(VALU_DEP_4) | instskip(NEXT) | instid1(VALU_DEP_2)
	v_fmac_f32_e32 v195, v8, v3
	v_fma_f32 v196, v7, v3, -v1
	ds_load_b128 v[1:4], v21 offset:768
	ds_load_b128 v[5:8], v21 offset:784
	s_wait_loadcnt_dscnt 0x1
	v_mul_f32_e32 v197, v1, v10
	v_mul_f32_e32 v199, v3, v12
	s_delay_alu instid0(VALU_DEP_2) | instskip(NEXT) | instid1(VALU_DEP_2)
	v_fmac_f32_e32 v197, v2, v9
	v_dual_mul_f32 v2, v2, v10 :: v_dual_fmac_f32 v199, v4, v11
	s_delay_alu instid0(VALU_DEP_1) | instskip(SKIP_1) | instid1(VALU_DEP_1)
	v_fma_f32 v198, v1, v9, -v2
	v_mul_f32_e32 v1, v4, v12
	v_fma_f32 v200, v3, v11, -v1
	s_clause 0x1
	scratch_load_b128 v[1:4], off, off offset:352
	scratch_load_b128 v[9:12], off, off offset:368
	s_wait_loadcnt_dscnt 0x100
	v_mul_f32_e32 v201, v5, v2
	v_mul_f32_e32 v2, v6, v2
	s_delay_alu instid0(VALU_DEP_2) | instskip(NEXT) | instid1(VALU_DEP_2)
	v_fmac_f32_e32 v201, v6, v1
	v_fma_f32 v202, v5, v1, -v2
	v_add_f32_e32 v2, 0, v146
	s_delay_alu instid0(VALU_DEP_1) | instskip(NEXT) | instid1(VALU_DEP_1)
	v_add_f32_e32 v2, v2, v147
	v_add_f32_e32 v2, v2, v24
	s_delay_alu instid0(VALU_DEP_1) | instskip(NEXT) | instid1(VALU_DEP_1)
	v_add_f32_e32 v2, v2, v25
	;; [unrolled: 3-line block ×3, first 2 shown]
	v_add_f32_e32 v2, v2, v140
	s_delay_alu instid0(VALU_DEP_1) | instskip(NEXT) | instid1(VALU_DEP_1)
	v_dual_mul_f32 v1, v8, v4 :: v_dual_add_f32 v2, v2, v141
	v_fma_f32 v204, v7, v3, -v1
	s_delay_alu instid0(VALU_DEP_2) | instskip(NEXT) | instid1(VALU_DEP_1)
	v_dual_add_f32 v1, 0, v22 :: v_dual_add_f32 v2, v2, v15
	v_dual_add_f32 v1, v1, v23 :: v_dual_add_f32 v2, v2, v18
	s_delay_alu instid0(VALU_DEP_1) | instskip(NEXT) | instid1(VALU_DEP_1)
	v_dual_add_f32 v1, v1, v28 :: v_dual_add_f32 v2, v2, v19
	v_dual_add_f32 v1, v1, v29 :: v_dual_add_f32 v2, v2, v20
	s_delay_alu instid0(VALU_DEP_1) | instskip(NEXT) | instid1(VALU_DEP_1)
	;; [unrolled: 3-line block ×3, first 2 shown]
	v_add_f32_e32 v1, v1, v13
	v_dual_add_f32 v2, v2, v153 :: v_dual_add_f32 v1, v1, v14
	s_delay_alu instid0(VALU_DEP_1) | instskip(NEXT) | instid1(VALU_DEP_1)
	v_dual_add_f32 v2, v2, v155 :: v_dual_add_f32 v1, v1, v16
	v_add_f32_e32 v2, v2, v157
	s_delay_alu instid0(VALU_DEP_1) | instskip(NEXT) | instid1(VALU_DEP_1)
	v_dual_add_f32 v1, v1, v17 :: v_dual_add_f32 v2, v2, v159
	v_dual_add_f32 v1, v1, v142 :: v_dual_add_f32 v2, v2, v161
	s_delay_alu instid0(VALU_DEP_1) | instskip(NEXT) | instid1(VALU_DEP_2)
	v_add_f32_e32 v1, v1, v143
	v_add_f32_e32 v2, v2, v163
	s_delay_alu instid0(VALU_DEP_1) | instskip(NEXT) | instid1(VALU_DEP_1)
	v_dual_add_f32 v1, v1, v151 :: v_dual_add_f32 v2, v2, v165
	v_dual_add_f32 v1, v1, v152 :: v_dual_add_f32 v2, v2, v167
	s_delay_alu instid0(VALU_DEP_1) | instskip(NEXT) | instid1(VALU_DEP_1)
	v_dual_add_f32 v1, v1, v154 :: v_dual_add_f32 v2, v2, v169
	v_dual_add_f32 v1, v1, v156 :: v_dual_add_f32 v2, v2, v171
	s_delay_alu instid0(VALU_DEP_1) | instskip(NEXT) | instid1(VALU_DEP_1)
	v_add_f32_e32 v1, v1, v158
	v_add_f32_e32 v1, v1, v160
	s_delay_alu instid0(VALU_DEP_1) | instskip(NEXT) | instid1(VALU_DEP_1)
	v_add_f32_e32 v1, v1, v162
	v_add_f32_e32 v1, v1, v164
	;; [unrolled: 3-line block ×5, first 2 shown]
	v_mul_f32_e32 v203, v7, v4
	v_add_f32_e32 v5, v2, v173
	s_delay_alu instid0(VALU_DEP_2) | instskip(SKIP_3) | instid1(VALU_DEP_2)
	v_dual_add_f32 v6, v6, v178 :: v_dual_fmac_f32 v203, v8, v3
	ds_load_b128 v[1:4], v21 offset:800
	v_add_f32_e32 v5, v5, v175
	v_add_f32_e32 v13, v6, v180
	;; [unrolled: 1-line block ×3, first 2 shown]
	s_delay_alu instid0(VALU_DEP_2) | instskip(NEXT) | instid1(VALU_DEP_2)
	v_add_f32_e32 v13, v13, v182
	v_add_f32_e32 v14, v5, v179
	ds_load_b128 v[5:8], v21 offset:816
	v_add_f32_e32 v13, v13, v184
	s_delay_alu instid0(VALU_DEP_1)
	v_add_f32_e32 v13, v13, v186
	s_wait_loadcnt_dscnt 0x1
	v_dual_mul_f32 v25, v1, v10 :: v_dual_mul_f32 v26, v3, v12
	v_mul_f32_e32 v10, v2, v10
	v_mul_f32_e32 v12, v4, v12
	v_add_f32_e32 v14, v14, v181
	s_delay_alu instid0(VALU_DEP_4) | instskip(NEXT) | instid1(VALU_DEP_4)
	v_dual_fmac_f32 v25, v2, v9 :: v_dual_fmac_f32 v26, v4, v11
	v_fma_f32 v28, v1, v9, -v10
	s_delay_alu instid0(VALU_DEP_4) | instskip(SKIP_4) | instid1(VALU_DEP_1)
	v_fma_f32 v29, v3, v11, -v12
	s_clause 0x1
	scratch_load_b128 v[1:4], off, off offset:384
	scratch_load_b128 v[9:12], off, off offset:400
	v_add_f32_e32 v14, v14, v183
	v_dual_add_f32 v18, v13, v188 :: v_dual_add_f32 v17, v14, v185
	scratch_load_b128 v[13:16], off, off offset:416
	v_dual_add_f32 v18, v18, v190 :: v_dual_add_f32 v17, v17, v187
	s_delay_alu instid0(VALU_DEP_1) | instskip(NEXT) | instid1(VALU_DEP_1)
	v_dual_add_f32 v18, v18, v192 :: v_dual_add_f32 v17, v17, v189
	v_dual_add_f32 v22, v18, v194 :: v_dual_add_f32 v17, v17, v191
	s_delay_alu instid0(VALU_DEP_1) | instskip(SKIP_4) | instid1(VALU_DEP_1)
	v_dual_add_f32 v30, v22, v196 :: v_dual_add_f32 v23, v17, v193
	ds_load_b128 v[17:20], v21 offset:832
	v_dual_add_f32 v30, v30, v198 :: v_dual_add_f32 v31, v23, v195
	ds_load_b128 v[21:24], v21 offset:848
	v_add_f32_e32 v30, v30, v200
	v_add_f32_e32 v30, v30, v202
	s_delay_alu instid0(VALU_DEP_1) | instskip(NEXT) | instid1(VALU_DEP_1)
	v_add_f32_e32 v30, v30, v204
	v_add_f32_e32 v28, v30, v28
	s_wait_loadcnt_dscnt 0x202
	v_dual_mul_f32 v140, v5, v2 :: v_dual_add_f32 v31, v31, v197
	s_wait_loadcnt_dscnt 0x101
	v_mul_f32_e32 v142, v17, v10
	v_dual_mul_f32 v2, v6, v2 :: v_dual_mul_f32 v141, v7, v4
	s_delay_alu instid0(VALU_DEP_3) | instskip(SKIP_1) | instid1(VALU_DEP_3)
	v_dual_mul_f32 v4, v8, v4 :: v_dual_add_f32 v31, v31, v199
	v_fmac_f32_e32 v140, v6, v1
	v_fma_f32 v2, v5, v1, -v2
	v_dual_add_f32 v1, v28, v29 :: v_dual_mul_f32 v6, v18, v10
	s_delay_alu instid0(VALU_DEP_4) | instskip(SKIP_2) | instid1(VALU_DEP_4)
	v_add_f32_e32 v31, v31, v201
	v_fmac_f32_e32 v141, v8, v3
	v_fma_f32 v3, v7, v3, -v4
	v_add_f32_e32 v1, v1, v2
	v_mul_f32_e32 v143, v19, v12
	v_dual_add_f32 v31, v31, v203 :: v_dual_mul_f32 v4, v20, v12
	s_delay_alu instid0(VALU_DEP_3) | instskip(SKIP_1) | instid1(VALU_DEP_2)
	v_dual_fmac_f32 v142, v18, v9 :: v_dual_add_f32 v1, v1, v3
	s_wait_loadcnt_dscnt 0x0
	v_dual_mul_f32 v146, v21, v14 :: v_dual_add_f32 v25, v31, v25
	v_mul_f32_e32 v3, v22, v14
	v_fmac_f32_e32 v143, v20, v11
	v_fma_f32 v4, v19, v11, -v4
	s_delay_alu instid0(VALU_DEP_4) | instskip(SKIP_2) | instid1(VALU_DEP_3)
	v_dual_mul_f32 v30, v23, v16 :: v_dual_add_f32 v5, v25, v26
	v_fmac_f32_e32 v146, v22, v13
	v_fma_f32 v3, v21, v13, -v3
	v_fmac_f32_e32 v30, v24, v15
	s_delay_alu instid0(VALU_DEP_4) | instskip(SKIP_1) | instid1(VALU_DEP_2)
	v_add_f32_e32 v2, v5, v140
	v_fma_f32 v5, v17, v9, -v6
	v_add_f32_e32 v2, v2, v141
	s_delay_alu instid0(VALU_DEP_2) | instskip(NEXT) | instid1(VALU_DEP_2)
	v_add_f32_e32 v1, v1, v5
	v_dual_mul_f32 v5, v24, v16 :: v_dual_add_f32 v2, v2, v142
	s_delay_alu instid0(VALU_DEP_2) | instskip(NEXT) | instid1(VALU_DEP_2)
	v_add_f32_e32 v1, v1, v4
	v_fma_f32 v4, v23, v15, -v5
	s_delay_alu instid0(VALU_DEP_3) | instskip(NEXT) | instid1(VALU_DEP_1)
	v_add_f32_e32 v2, v2, v143
	v_dual_add_f32 v1, v1, v3 :: v_dual_add_f32 v2, v2, v146
	s_delay_alu instid0(VALU_DEP_1) | instskip(NEXT) | instid1(VALU_DEP_1)
	v_dual_add_f32 v1, v1, v4 :: v_dual_add_f32 v2, v2, v30
	v_dual_sub_f32 v1, v144, v1 :: v_dual_sub_f32 v2, v145, v2
	scratch_store_b64 off, v[1:2], off offset:40
	v_cmpx_lt_u32_e32 4, v0
	s_cbranch_execz .LBB117_329
; %bb.328:
	scratch_load_b64 v[1:2], off, off offset:32
	v_mov_b32_e32 v3, 0
	s_delay_alu instid0(VALU_DEP_1)
	v_mov_b32_e32 v4, v3
	scratch_store_b64 off, v[3:4], off offset:32
	s_wait_loadcnt 0x0
	ds_store_b64 v27, v[1:2]
.LBB117_329:
	s_wait_alu 0xfffe
	s_or_b32 exec_lo, exec_lo, s0
	s_wait_storecnt_dscnt 0x0
	s_barrier_signal -1
	s_barrier_wait -1
	global_inv scope:SCOPE_SE
	s_clause 0x4
	scratch_load_b128 v[5:8], off, off offset:40
	scratch_load_b128 v[1:4], off, off offset:56
	;; [unrolled: 1-line block ×5, first 2 shown]
	v_mov_b32_e32 v25, 0
	ds_load_2addr_b64 v[21:24], v25 offset0:59 offset1:60
	ds_load_2addr_b64 v[28:31], v25 offset0:61 offset1:62
	;; [unrolled: 1-line block ×3, first 2 shown]
	scratch_load_b64 v[144:145], off, off offset:32
	s_mov_b32 s0, exec_lo
	s_wait_loadcnt_dscnt 0x502
	v_mul_f32_e32 v26, v22, v6
	v_dual_mul_f32 v146, v21, v6 :: v_dual_mul_f32 v147, v23, v8
	v_mul_f32_e32 v6, v24, v8
	s_wait_loadcnt_dscnt 0x300
	v_mul_f32_e32 v148, v142, v12
	v_fma_f32 v21, v21, v5, -v26
	v_dual_fmac_f32 v146, v22, v5 :: v_dual_fmac_f32 v147, v24, v7
	v_fma_f32 v22, v23, v7, -v6
	ds_load_2addr_b64 v[5:8], v25 offset0:65 offset1:66
	v_dual_mul_f32 v23, v28, v2 :: v_dual_mul_f32 v24, v30, v4
	v_mul_f32_e32 v4, v31, v4
	v_mul_f32_e32 v26, v140, v10
	;; [unrolled: 1-line block ×5, first 2 shown]
	v_dual_fmac_f32 v23, v29, v1 :: v_dual_fmac_f32 v24, v31, v3
	v_fma_f32 v29, v30, v3, -v4
	v_fmac_f32_e32 v26, v141, v9
	v_fma_f32 v30, v140, v9, -v10
	v_fmac_f32_e32 v148, v143, v11
	v_fma_f32 v31, v142, v11, -v12
	ds_load_2addr_b64 v[9:12], v25 offset0:67 offset1:68
	s_wait_loadcnt_dscnt 0x201
	v_mul_f32_e32 v141, v7, v16
	v_fma_f32 v28, v28, v1, -v2
	scratch_load_b128 v[1:4], off, off offset:120
	v_mul_f32_e32 v140, v5, v14
	v_mul_f32_e32 v14, v6, v14
	;; [unrolled: 1-line block ×3, first 2 shown]
	s_delay_alu instid0(VALU_DEP_3) | instskip(NEXT) | instid1(VALU_DEP_3)
	v_dual_fmac_f32 v141, v8, v15 :: v_dual_fmac_f32 v140, v6, v13
	v_fma_f32 v13, v5, v13, -v14
	s_delay_alu instid0(VALU_DEP_3)
	v_fma_f32 v14, v7, v15, -v16
	ds_load_2addr_b64 v[5:8], v25 offset0:69 offset1:70
	s_wait_loadcnt_dscnt 0x201
	v_mul_f32_e32 v15, v9, v18
	v_mul_f32_e32 v16, v10, v18
	;; [unrolled: 1-line block ×3, first 2 shown]
	s_delay_alu instid0(VALU_DEP_3) | instskip(NEXT) | instid1(VALU_DEP_3)
	v_dual_mul_f32 v20, v12, v20 :: v_dual_fmac_f32 v15, v10, v17
	v_fma_f32 v16, v9, v17, -v16
	s_delay_alu instid0(VALU_DEP_3) | instskip(NEXT) | instid1(VALU_DEP_3)
	v_fmac_f32_e32 v18, v12, v19
	v_fma_f32 v17, v11, v19, -v20
	scratch_load_b128 v[9:12], off, off offset:136
	s_wait_loadcnt_dscnt 0x100
	v_mul_f32_e32 v19, v5, v2
	v_mul_f32_e32 v2, v6, v2
	;; [unrolled: 1-line block ×3, first 2 shown]
	s_delay_alu instid0(VALU_DEP_3) | instskip(NEXT) | instid1(VALU_DEP_3)
	v_dual_mul_f32 v4, v8, v4 :: v_dual_fmac_f32 v19, v6, v1
	v_fma_f32 v142, v5, v1, -v2
	s_delay_alu instid0(VALU_DEP_3) | instskip(NEXT) | instid1(VALU_DEP_3)
	v_fmac_f32_e32 v20, v8, v3
	v_fma_f32 v143, v7, v3, -v4
	ds_load_2addr_b64 v[1:4], v25 offset0:71 offset1:72
	ds_load_2addr_b64 v[5:8], v25 offset0:73 offset1:74
	s_wait_loadcnt_dscnt 0x1
	v_mul_f32_e32 v149, v1, v10
	v_mul_f32_e32 v10, v2, v10
	s_delay_alu instid0(VALU_DEP_2) | instskip(NEXT) | instid1(VALU_DEP_2)
	v_dual_mul_f32 v150, v3, v12 :: v_dual_fmac_f32 v149, v2, v9
	v_fma_f32 v151, v1, v9, -v10
	v_mul_f32_e32 v1, v4, v12
	s_delay_alu instid0(VALU_DEP_3) | instskip(NEXT) | instid1(VALU_DEP_2)
	v_fmac_f32_e32 v150, v4, v11
	v_fma_f32 v152, v3, v11, -v1
	s_clause 0x1
	scratch_load_b128 v[1:4], off, off offset:152
	scratch_load_b128 v[9:12], off, off offset:168
	s_wait_loadcnt_dscnt 0x100
	v_mul_f32_e32 v153, v5, v2
	v_dual_mul_f32 v2, v6, v2 :: v_dual_mul_f32 v155, v7, v4
	s_delay_alu instid0(VALU_DEP_2) | instskip(NEXT) | instid1(VALU_DEP_2)
	v_fmac_f32_e32 v153, v6, v1
	v_fma_f32 v154, v5, v1, -v2
	v_mul_f32_e32 v1, v8, v4
	s_delay_alu instid0(VALU_DEP_4) | instskip(NEXT) | instid1(VALU_DEP_2)
	v_fmac_f32_e32 v155, v8, v3
	v_fma_f32 v156, v7, v3, -v1
	ds_load_2addr_b64 v[1:4], v25 offset0:75 offset1:76
	ds_load_2addr_b64 v[5:8], v25 offset0:77 offset1:78
	s_wait_loadcnt_dscnt 0x1
	v_mul_f32_e32 v157, v1, v10
	v_mul_f32_e32 v159, v3, v12
	s_delay_alu instid0(VALU_DEP_2) | instskip(NEXT) | instid1(VALU_DEP_2)
	v_fmac_f32_e32 v157, v2, v9
	v_dual_mul_f32 v2, v2, v10 :: v_dual_fmac_f32 v159, v4, v11
	s_delay_alu instid0(VALU_DEP_1) | instskip(SKIP_1) | instid1(VALU_DEP_1)
	v_fma_f32 v158, v1, v9, -v2
	v_mul_f32_e32 v1, v4, v12
	v_fma_f32 v160, v3, v11, -v1
	s_clause 0x1
	scratch_load_b128 v[1:4], off, off offset:184
	scratch_load_b128 v[9:12], off, off offset:200
	s_wait_loadcnt_dscnt 0x100
	v_mul_f32_e32 v161, v5, v2
	v_dual_mul_f32 v2, v6, v2 :: v_dual_mul_f32 v163, v7, v4
	s_delay_alu instid0(VALU_DEP_2) | instskip(NEXT) | instid1(VALU_DEP_2)
	v_fmac_f32_e32 v161, v6, v1
	v_fma_f32 v162, v5, v1, -v2
	v_mul_f32_e32 v1, v8, v4
	s_delay_alu instid0(VALU_DEP_4) | instskip(NEXT) | instid1(VALU_DEP_2)
	v_fmac_f32_e32 v163, v8, v3
	v_fma_f32 v164, v7, v3, -v1
	ds_load_2addr_b64 v[1:4], v25 offset0:79 offset1:80
	ds_load_2addr_b64 v[5:8], v25 offset0:81 offset1:82
	s_wait_loadcnt_dscnt 0x1
	v_mul_f32_e32 v165, v1, v10
	v_mul_f32_e32 v167, v3, v12
	s_delay_alu instid0(VALU_DEP_2) | instskip(NEXT) | instid1(VALU_DEP_2)
	v_fmac_f32_e32 v165, v2, v9
	v_dual_mul_f32 v2, v2, v10 :: v_dual_fmac_f32 v167, v4, v11
	s_delay_alu instid0(VALU_DEP_1) | instskip(SKIP_1) | instid1(VALU_DEP_1)
	v_fma_f32 v166, v1, v9, -v2
	v_mul_f32_e32 v1, v4, v12
	v_fma_f32 v168, v3, v11, -v1
	s_clause 0x1
	scratch_load_b128 v[1:4], off, off offset:216
	scratch_load_b128 v[9:12], off, off offset:232
	s_wait_loadcnt_dscnt 0x100
	v_mul_f32_e32 v169, v5, v2
	v_dual_mul_f32 v2, v6, v2 :: v_dual_mul_f32 v171, v7, v4
	s_delay_alu instid0(VALU_DEP_2) | instskip(NEXT) | instid1(VALU_DEP_2)
	v_fmac_f32_e32 v169, v6, v1
	v_fma_f32 v170, v5, v1, -v2
	v_mul_f32_e32 v1, v8, v4
	s_delay_alu instid0(VALU_DEP_4) | instskip(NEXT) | instid1(VALU_DEP_2)
	v_fmac_f32_e32 v171, v8, v3
	v_fma_f32 v172, v7, v3, -v1
	ds_load_2addr_b64 v[1:4], v25 offset0:83 offset1:84
	ds_load_2addr_b64 v[5:8], v25 offset0:85 offset1:86
	s_wait_loadcnt_dscnt 0x1
	v_mul_f32_e32 v173, v1, v10
	v_mul_f32_e32 v175, v3, v12
	s_delay_alu instid0(VALU_DEP_2) | instskip(NEXT) | instid1(VALU_DEP_2)
	v_fmac_f32_e32 v173, v2, v9
	v_dual_mul_f32 v2, v2, v10 :: v_dual_fmac_f32 v175, v4, v11
	s_delay_alu instid0(VALU_DEP_1) | instskip(SKIP_1) | instid1(VALU_DEP_1)
	v_fma_f32 v174, v1, v9, -v2
	v_mul_f32_e32 v1, v4, v12
	v_fma_f32 v176, v3, v11, -v1
	s_clause 0x1
	scratch_load_b128 v[1:4], off, off offset:248
	scratch_load_b128 v[9:12], off, off offset:264
	s_wait_loadcnt_dscnt 0x100
	v_mul_f32_e32 v177, v5, v2
	v_dual_mul_f32 v2, v6, v2 :: v_dual_mul_f32 v179, v7, v4
	s_delay_alu instid0(VALU_DEP_2) | instskip(NEXT) | instid1(VALU_DEP_2)
	v_fmac_f32_e32 v177, v6, v1
	v_fma_f32 v178, v5, v1, -v2
	v_mul_f32_e32 v1, v8, v4
	s_delay_alu instid0(VALU_DEP_4) | instskip(NEXT) | instid1(VALU_DEP_2)
	v_fmac_f32_e32 v179, v8, v3
	v_fma_f32 v180, v7, v3, -v1
	ds_load_2addr_b64 v[1:4], v25 offset0:87 offset1:88
	ds_load_2addr_b64 v[5:8], v25 offset0:89 offset1:90
	s_wait_loadcnt_dscnt 0x1
	v_mul_f32_e32 v181, v1, v10
	v_mul_f32_e32 v183, v3, v12
	s_delay_alu instid0(VALU_DEP_2) | instskip(NEXT) | instid1(VALU_DEP_2)
	v_fmac_f32_e32 v181, v2, v9
	v_dual_mul_f32 v2, v2, v10 :: v_dual_fmac_f32 v183, v4, v11
	s_delay_alu instid0(VALU_DEP_1) | instskip(SKIP_1) | instid1(VALU_DEP_1)
	v_fma_f32 v182, v1, v9, -v2
	v_mul_f32_e32 v1, v4, v12
	v_fma_f32 v184, v3, v11, -v1
	s_clause 0x1
	scratch_load_b128 v[1:4], off, off offset:280
	scratch_load_b128 v[9:12], off, off offset:296
	s_wait_loadcnt_dscnt 0x100
	v_mul_f32_e32 v185, v5, v2
	v_dual_mul_f32 v2, v6, v2 :: v_dual_mul_f32 v187, v7, v4
	s_delay_alu instid0(VALU_DEP_2) | instskip(NEXT) | instid1(VALU_DEP_2)
	v_fmac_f32_e32 v185, v6, v1
	v_fma_f32 v186, v5, v1, -v2
	v_mul_f32_e32 v1, v8, v4
	s_delay_alu instid0(VALU_DEP_4) | instskip(NEXT) | instid1(VALU_DEP_2)
	v_fmac_f32_e32 v187, v8, v3
	v_fma_f32 v188, v7, v3, -v1
	ds_load_2addr_b64 v[1:4], v25 offset0:91 offset1:92
	ds_load_2addr_b64 v[5:8], v25 offset0:93 offset1:94
	s_wait_loadcnt_dscnt 0x1
	v_mul_f32_e32 v189, v1, v10
	v_mul_f32_e32 v191, v3, v12
	s_delay_alu instid0(VALU_DEP_2) | instskip(NEXT) | instid1(VALU_DEP_2)
	v_fmac_f32_e32 v189, v2, v9
	v_dual_mul_f32 v2, v2, v10 :: v_dual_fmac_f32 v191, v4, v11
	s_delay_alu instid0(VALU_DEP_1) | instskip(SKIP_1) | instid1(VALU_DEP_1)
	v_fma_f32 v190, v1, v9, -v2
	v_mul_f32_e32 v1, v4, v12
	v_fma_f32 v192, v3, v11, -v1
	s_clause 0x1
	scratch_load_b128 v[1:4], off, off offset:312
	scratch_load_b128 v[9:12], off, off offset:328
	s_wait_loadcnt_dscnt 0x100
	v_mul_f32_e32 v193, v5, v2
	v_dual_mul_f32 v2, v6, v2 :: v_dual_mul_f32 v195, v7, v4
	s_delay_alu instid0(VALU_DEP_2) | instskip(NEXT) | instid1(VALU_DEP_2)
	v_fmac_f32_e32 v193, v6, v1
	v_fma_f32 v194, v5, v1, -v2
	v_mul_f32_e32 v1, v8, v4
	s_delay_alu instid0(VALU_DEP_4) | instskip(NEXT) | instid1(VALU_DEP_2)
	v_fmac_f32_e32 v195, v8, v3
	v_fma_f32 v196, v7, v3, -v1
	ds_load_2addr_b64 v[1:4], v25 offset0:95 offset1:96
	ds_load_2addr_b64 v[5:8], v25 offset0:97 offset1:98
	s_wait_loadcnt_dscnt 0x1
	v_mul_f32_e32 v197, v1, v10
	v_mul_f32_e32 v199, v3, v12
	s_delay_alu instid0(VALU_DEP_1) | instskip(NEXT) | instid1(VALU_DEP_3)
	v_fmac_f32_e32 v199, v4, v11
	v_fmac_f32_e32 v197, v2, v9
	v_mul_f32_e32 v2, v2, v10
	s_delay_alu instid0(VALU_DEP_1) | instskip(SKIP_1) | instid1(VALU_DEP_1)
	v_fma_f32 v198, v1, v9, -v2
	v_mul_f32_e32 v1, v4, v12
	v_fma_f32 v200, v3, v11, -v1
	s_clause 0x1
	scratch_load_b128 v[1:4], off, off offset:344
	scratch_load_b128 v[9:12], off, off offset:360
	s_wait_loadcnt_dscnt 0x100
	v_mul_f32_e32 v201, v5, v2
	v_mul_f32_e32 v2, v6, v2
	s_delay_alu instid0(VALU_DEP_2) | instskip(NEXT) | instid1(VALU_DEP_2)
	v_fmac_f32_e32 v201, v6, v1
	v_fma_f32 v202, v5, v1, -v2
	v_dual_add_f32 v2, 0, v146 :: v_dual_mul_f32 v1, v8, v4
	s_delay_alu instid0(VALU_DEP_1) | instskip(NEXT) | instid1(VALU_DEP_2)
	v_add_f32_e32 v2, v2, v147
	v_fma_f32 v204, v7, v3, -v1
	s_delay_alu instid0(VALU_DEP_2) | instskip(NEXT) | instid1(VALU_DEP_1)
	v_add_f32_e32 v2, v2, v23
	v_add_f32_e32 v2, v2, v24
	s_delay_alu instid0(VALU_DEP_1) | instskip(NEXT) | instid1(VALU_DEP_1)
	v_add_f32_e32 v2, v2, v26
	v_add_f32_e32 v2, v2, v148
	s_delay_alu instid0(VALU_DEP_1) | instskip(NEXT) | instid1(VALU_DEP_1)
	v_dual_add_f32 v2, v2, v140 :: v_dual_add_f32 v1, 0, v21
	v_dual_add_f32 v2, v2, v141 :: v_dual_add_f32 v1, v1, v22
	s_delay_alu instid0(VALU_DEP_1) | instskip(NEXT) | instid1(VALU_DEP_1)
	v_dual_add_f32 v2, v2, v15 :: v_dual_add_f32 v1, v1, v28
	v_dual_add_f32 v2, v2, v18 :: v_dual_add_f32 v1, v1, v29
	scratch_load_b64 v[28:29], off, off offset:424
	v_dual_add_f32 v2, v2, v19 :: v_dual_add_f32 v1, v1, v30
	s_delay_alu instid0(VALU_DEP_1) | instskip(NEXT) | instid1(VALU_DEP_1)
	v_dual_add_f32 v2, v2, v20 :: v_dual_add_f32 v1, v1, v31
	v_add_f32_e32 v2, v2, v149
	s_delay_alu instid0(VALU_DEP_1) | instskip(NEXT) | instid1(VALU_DEP_1)
	v_dual_add_f32 v1, v1, v13 :: v_dual_add_f32 v2, v2, v150
	v_dual_add_f32 v1, v1, v14 :: v_dual_add_f32 v2, v2, v153
	s_delay_alu instid0(VALU_DEP_1) | instskip(NEXT) | instid1(VALU_DEP_1)
	v_dual_add_f32 v1, v1, v16 :: v_dual_add_f32 v2, v2, v155
	v_add_f32_e32 v1, v1, v17
	s_delay_alu instid0(VALU_DEP_1) | instskip(NEXT) | instid1(VALU_DEP_1)
	v_dual_add_f32 v2, v2, v157 :: v_dual_add_f32 v1, v1, v142
	v_add_f32_e32 v2, v2, v159
	;; [unrolled: 3-line block ×3, first 2 shown]
	s_delay_alu instid0(VALU_DEP_1) | instskip(NEXT) | instid1(VALU_DEP_1)
	v_dual_add_f32 v2, v2, v163 :: v_dual_add_f32 v1, v1, v152
	v_dual_add_f32 v2, v2, v165 :: v_dual_add_f32 v1, v1, v154
	s_delay_alu instid0(VALU_DEP_1) | instskip(NEXT) | instid1(VALU_DEP_1)
	v_dual_add_f32 v2, v2, v167 :: v_dual_add_f32 v1, v1, v156
	v_add_f32_e32 v1, v1, v158
	s_delay_alu instid0(VALU_DEP_1) | instskip(NEXT) | instid1(VALU_DEP_1)
	v_add_f32_e32 v1, v1, v160
	v_add_f32_e32 v1, v1, v162
	s_delay_alu instid0(VALU_DEP_1) | instskip(NEXT) | instid1(VALU_DEP_1)
	v_add_f32_e32 v1, v1, v164
	;; [unrolled: 3-line block ×4, first 2 shown]
	v_add_f32_e32 v1, v1, v174
	s_delay_alu instid0(VALU_DEP_1) | instskip(SKIP_1) | instid1(VALU_DEP_2)
	v_add_f32_e32 v6, v1, v176
	v_dual_add_f32 v2, v2, v169 :: v_dual_mul_f32 v203, v7, v4
	v_add_f32_e32 v6, v6, v178
	s_delay_alu instid0(VALU_DEP_2) | instskip(NEXT) | instid1(VALU_DEP_3)
	v_add_f32_e32 v2, v2, v171
	v_fmac_f32_e32 v203, v8, v3
	s_delay_alu instid0(VALU_DEP_3) | instskip(NEXT) | instid1(VALU_DEP_3)
	v_add_f32_e32 v13, v6, v180
	v_add_f32_e32 v5, v2, v173
	ds_load_2addr_b64 v[1:4], v25 offset0:99 offset1:100
	v_add_f32_e32 v13, v13, v182
	v_add_f32_e32 v5, v5, v175
	s_delay_alu instid0(VALU_DEP_2) | instskip(NEXT) | instid1(VALU_DEP_2)
	v_add_f32_e32 v13, v13, v184
	v_add_f32_e32 v5, v5, v177
	s_delay_alu instid0(VALU_DEP_2) | instskip(NEXT) | instid1(VALU_DEP_2)
	v_add_f32_e32 v13, v13, v186
	v_add_f32_e32 v14, v5, v179
	ds_load_2addr_b64 v[5:8], v25 offset0:101 offset1:102
	v_add_f32_e32 v18, v13, v188
	s_wait_loadcnt_dscnt 0x101
	v_mul_f32_e32 v26, v1, v10
	v_mul_f32_e32 v10, v2, v10
	;; [unrolled: 1-line block ×4, first 2 shown]
	v_add_f32_e32 v14, v14, v181
	v_fmac_f32_e32 v26, v2, v9
	v_fma_f32 v141, v1, v9, -v10
	v_fmac_f32_e32 v140, v4, v11
	v_fma_f32 v142, v3, v11, -v12
	s_clause 0x1
	scratch_load_b128 v[1:4], off, off offset:376
	scratch_load_b128 v[9:12], off, off offset:392
	v_add_f32_e32 v14, v14, v183
	v_add_f32_e32 v18, v18, v190
	s_delay_alu instid0(VALU_DEP_2) | instskip(SKIP_2) | instid1(VALU_DEP_1)
	v_add_f32_e32 v17, v14, v185
	scratch_load_b128 v[13:16], off, off offset:408
	v_dual_add_f32 v18, v18, v192 :: v_dual_add_f32 v17, v17, v187
	v_dual_add_f32 v18, v18, v194 :: v_dual_add_f32 v17, v17, v189
	s_delay_alu instid0(VALU_DEP_1) | instskip(NEXT) | instid1(VALU_DEP_1)
	v_dual_add_f32 v18, v18, v196 :: v_dual_add_f32 v17, v17, v191
	v_dual_add_f32 v30, v18, v198 :: v_dual_add_f32 v17, v17, v193
	s_delay_alu instid0(VALU_DEP_1) | instskip(NEXT) | instid1(VALU_DEP_2)
	v_add_f32_e32 v143, v30, v200
	v_add_f32_e32 v21, v17, v195
	ds_load_2addr_b64 v[17:20], v25 offset0:103 offset1:104
	v_add_f32_e32 v143, v143, v202
	v_add_f32_e32 v31, v21, v197
	ds_load_2addr_b64 v[21:24], v25 offset0:105 offset1:106
	v_add_f32_e32 v143, v143, v204
	v_add_f32_e32 v146, v31, v199
	ds_load_b64 v[30:31], v25 offset:856
	v_add_f32_e32 v141, v143, v141
	s_wait_loadcnt_dscnt 0x203
	s_delay_alu instid0(VALU_DEP_1) | instskip(SKIP_4) | instid1(VALU_DEP_3)
	v_dual_add_f32 v141, v141, v142 :: v_dual_mul_f32 v148, v7, v4
	v_dual_add_f32 v146, v146, v201 :: v_dual_mul_f32 v147, v5, v2
	v_mul_f32_e32 v2, v6, v2
	s_wait_loadcnt_dscnt 0x102
	v_dual_mul_f32 v4, v8, v4 :: v_dual_mul_f32 v143, v17, v10
	v_add_f32_e32 v146, v146, v203
	v_fmac_f32_e32 v147, v6, v1
	v_fma_f32 v2, v5, v1, -v2
	v_fmac_f32_e32 v148, v8, v3
	v_fma_f32 v1, v7, v3, -v4
	v_add_f32_e32 v26, v146, v26
	v_mul_f32_e32 v3, v18, v10
	v_add_f32_e32 v2, v141, v2
	v_mul_f32_e32 v146, v19, v12
	v_mul_f32_e32 v5, v20, v12
	v_add_f32_e32 v26, v26, v140
	v_fmac_f32_e32 v143, v18, v9
	v_fma_f32 v3, v17, v9, -v3
	v_add_f32_e32 v1, v2, v1
	s_wait_loadcnt_dscnt 0x1
	v_dual_mul_f32 v149, v21, v14 :: v_dual_add_f32 v4, v26, v147
	v_fmac_f32_e32 v146, v20, v11
	v_fma_f32 v5, v19, v11, -v5
	v_dual_add_f32 v1, v1, v3 :: v_dual_mul_f32 v142, v23, v16
	s_delay_alu instid0(VALU_DEP_4) | instskip(SKIP_2) | instid1(VALU_DEP_3)
	v_add_f32_e32 v2, v4, v148
	v_dual_mul_f32 v4, v22, v14 :: v_dual_mul_f32 v3, v24, v16
	v_fmac_f32_e32 v149, v22, v13
	v_dual_add_f32 v1, v1, v5 :: v_dual_add_f32 v2, v2, v143
	s_delay_alu instid0(VALU_DEP_3)
	v_fma_f32 v4, v21, v13, -v4
	s_wait_dscnt 0x0
	v_mul_f32_e32 v140, v30, v29
	v_dual_mul_f32 v5, v31, v29 :: v_dual_fmac_f32 v142, v24, v15
	v_add_f32_e32 v2, v2, v146
	v_fma_f32 v3, v23, v15, -v3
	v_add_f32_e32 v1, v1, v4
	v_fmac_f32_e32 v140, v31, v28
	v_fma_f32 v4, v30, v28, -v5
	s_delay_alu instid0(VALU_DEP_3) | instskip(NEXT) | instid1(VALU_DEP_1)
	v_dual_add_f32 v2, v2, v149 :: v_dual_add_f32 v1, v1, v3
	v_dual_add_f32 v2, v2, v142 :: v_dual_add_f32 v1, v1, v4
	s_delay_alu instid0(VALU_DEP_1) | instskip(NEXT) | instid1(VALU_DEP_1)
	v_dual_add_f32 v2, v2, v140 :: v_dual_sub_f32 v1, v144, v1
	v_sub_f32_e32 v2, v145, v2
	scratch_store_b64 off, v[1:2], off offset:32
	v_cmpx_lt_u32_e32 3, v0
	s_cbranch_execz .LBB117_331
; %bb.330:
	scratch_load_b64 v[1:2], off, off offset:24
	v_mov_b32_e32 v26, v25
	scratch_store_b64 off, v[25:26], off offset:24
	s_wait_loadcnt 0x0
	ds_store_b64 v27, v[1:2]
.LBB117_331:
	s_wait_alu 0xfffe
	s_or_b32 exec_lo, exec_lo, s0
	s_wait_storecnt_dscnt 0x0
	s_barrier_signal -1
	s_barrier_wait -1
	global_inv scope:SCOPE_SE
	s_clause 0x4
	scratch_load_b128 v[5:8], off, off offset:32
	scratch_load_b128 v[1:4], off, off offset:48
	;; [unrolled: 1-line block ×5, first 2 shown]
	ds_load_b128 v[21:24], v25 offset:464
	ds_load_b128 v[28:31], v25 offset:480
	;; [unrolled: 1-line block ×3, first 2 shown]
	scratch_load_b64 v[144:145], off, off offset:24
	s_mov_b32 s0, exec_lo
	s_wait_loadcnt_dscnt 0x502
	v_mul_f32_e32 v26, v21, v6
	s_wait_loadcnt_dscnt 0x300
	v_dual_mul_f32 v146, v23, v8 :: v_dual_mul_f32 v147, v140, v10
	v_mul_f32_e32 v8, v24, v8
	v_mul_f32_e32 v6, v22, v6
	v_fmac_f32_e32 v26, v22, v5
	v_mul_f32_e32 v10, v141, v10
	v_fmac_f32_e32 v147, v141, v9
	v_fma_f32 v22, v23, v7, -v8
	v_mul_f32_e32 v23, v28, v2
	v_fmac_f32_e32 v146, v24, v7
	v_mul_f32_e32 v24, v30, v4
	v_mul_f32_e32 v4, v31, v4
	s_delay_alu instid0(VALU_DEP_4)
	v_dual_mul_f32 v148, v142, v12 :: v_dual_fmac_f32 v23, v29, v1
	v_fma_f32 v21, v21, v5, -v6
	ds_load_b128 v[5:8], v25 offset:512
	v_mul_f32_e32 v12, v143, v12
	v_mul_f32_e32 v2, v29, v2
	v_fmac_f32_e32 v24, v31, v3
	v_fma_f32 v29, v30, v3, -v4
	v_fma_f32 v30, v140, v9, -v10
	v_fmac_f32_e32 v148, v143, v11
	v_fma_f32 v31, v142, v11, -v12
	ds_load_b128 v[9:12], v25 offset:528
	s_wait_loadcnt_dscnt 0x201
	v_dual_mul_f32 v141, v7, v16 :: v_dual_mul_f32 v140, v5, v14
	v_mul_f32_e32 v14, v6, v14
	v_mul_f32_e32 v16, v8, v16
	s_delay_alu instid0(VALU_DEP_3)
	v_fmac_f32_e32 v141, v8, v15
	v_fma_f32 v28, v28, v1, -v2
	scratch_load_b128 v[1:4], off, off offset:112
	v_fmac_f32_e32 v140, v6, v13
	v_fma_f32 v13, v5, v13, -v14
	v_fma_f32 v14, v7, v15, -v16
	s_wait_loadcnt_dscnt 0x200
	v_mul_f32_e32 v15, v9, v18
	v_mul_f32_e32 v16, v10, v18
	;; [unrolled: 1-line block ×4, first 2 shown]
	ds_load_b128 v[5:8], v25 offset:544
	v_fmac_f32_e32 v15, v10, v17
	v_fma_f32 v16, v9, v17, -v16
	v_fmac_f32_e32 v18, v12, v19
	v_fma_f32 v17, v11, v19, -v20
	scratch_load_b128 v[9:12], off, off offset:128
	s_wait_loadcnt_dscnt 0x100
	v_mul_f32_e32 v19, v5, v2
	v_mul_f32_e32 v2, v6, v2
	;; [unrolled: 1-line block ×3, first 2 shown]
	s_delay_alu instid0(VALU_DEP_3) | instskip(NEXT) | instid1(VALU_DEP_3)
	v_dual_mul_f32 v4, v8, v4 :: v_dual_fmac_f32 v19, v6, v1
	v_fma_f32 v142, v5, v1, -v2
	s_delay_alu instid0(VALU_DEP_3) | instskip(NEXT) | instid1(VALU_DEP_3)
	v_fmac_f32_e32 v20, v8, v3
	v_fma_f32 v143, v7, v3, -v4
	ds_load_b128 v[1:4], v25 offset:560
	ds_load_b128 v[5:8], v25 offset:576
	s_wait_loadcnt_dscnt 0x1
	v_mul_f32_e32 v149, v1, v10
	v_mul_f32_e32 v10, v2, v10
	s_delay_alu instid0(VALU_DEP_2) | instskip(NEXT) | instid1(VALU_DEP_2)
	v_dual_mul_f32 v150, v3, v12 :: v_dual_fmac_f32 v149, v2, v9
	v_fma_f32 v151, v1, v9, -v10
	v_mul_f32_e32 v1, v4, v12
	s_delay_alu instid0(VALU_DEP_3) | instskip(NEXT) | instid1(VALU_DEP_2)
	v_fmac_f32_e32 v150, v4, v11
	v_fma_f32 v152, v3, v11, -v1
	s_clause 0x1
	scratch_load_b128 v[1:4], off, off offset:144
	scratch_load_b128 v[9:12], off, off offset:160
	s_wait_loadcnt_dscnt 0x100
	v_mul_f32_e32 v153, v5, v2
	v_dual_mul_f32 v2, v6, v2 :: v_dual_mul_f32 v155, v7, v4
	s_delay_alu instid0(VALU_DEP_2) | instskip(NEXT) | instid1(VALU_DEP_2)
	v_fmac_f32_e32 v153, v6, v1
	v_fma_f32 v154, v5, v1, -v2
	v_mul_f32_e32 v1, v8, v4
	s_delay_alu instid0(VALU_DEP_4) | instskip(NEXT) | instid1(VALU_DEP_2)
	v_fmac_f32_e32 v155, v8, v3
	v_fma_f32 v156, v7, v3, -v1
	ds_load_b128 v[1:4], v25 offset:592
	ds_load_b128 v[5:8], v25 offset:608
	s_wait_loadcnt_dscnt 0x1
	v_mul_f32_e32 v157, v1, v10
	v_mul_f32_e32 v159, v3, v12
	s_delay_alu instid0(VALU_DEP_2) | instskip(NEXT) | instid1(VALU_DEP_2)
	v_fmac_f32_e32 v157, v2, v9
	v_dual_mul_f32 v2, v2, v10 :: v_dual_fmac_f32 v159, v4, v11
	s_delay_alu instid0(VALU_DEP_1) | instskip(SKIP_1) | instid1(VALU_DEP_1)
	v_fma_f32 v158, v1, v9, -v2
	v_mul_f32_e32 v1, v4, v12
	v_fma_f32 v160, v3, v11, -v1
	s_clause 0x1
	scratch_load_b128 v[1:4], off, off offset:176
	scratch_load_b128 v[9:12], off, off offset:192
	s_wait_loadcnt_dscnt 0x100
	v_mul_f32_e32 v161, v5, v2
	v_dual_mul_f32 v2, v6, v2 :: v_dual_mul_f32 v163, v7, v4
	s_delay_alu instid0(VALU_DEP_2) | instskip(NEXT) | instid1(VALU_DEP_2)
	v_fmac_f32_e32 v161, v6, v1
	v_fma_f32 v162, v5, v1, -v2
	v_mul_f32_e32 v1, v8, v4
	s_delay_alu instid0(VALU_DEP_4) | instskip(NEXT) | instid1(VALU_DEP_2)
	v_fmac_f32_e32 v163, v8, v3
	v_fma_f32 v164, v7, v3, -v1
	ds_load_b128 v[1:4], v25 offset:624
	ds_load_b128 v[5:8], v25 offset:640
	s_wait_loadcnt_dscnt 0x1
	v_mul_f32_e32 v165, v1, v10
	v_mul_f32_e32 v167, v3, v12
	s_delay_alu instid0(VALU_DEP_2) | instskip(NEXT) | instid1(VALU_DEP_2)
	v_fmac_f32_e32 v165, v2, v9
	v_dual_mul_f32 v2, v2, v10 :: v_dual_fmac_f32 v167, v4, v11
	s_delay_alu instid0(VALU_DEP_1) | instskip(SKIP_1) | instid1(VALU_DEP_1)
	v_fma_f32 v166, v1, v9, -v2
	v_mul_f32_e32 v1, v4, v12
	;; [unrolled: 25-line block ×6, first 2 shown]
	v_fma_f32 v200, v3, v11, -v1
	s_clause 0x1
	scratch_load_b128 v[1:4], off, off offset:336
	scratch_load_b128 v[9:12], off, off offset:352
	s_wait_loadcnt_dscnt 0x100
	v_mul_f32_e32 v201, v5, v2
	v_mul_f32_e32 v2, v6, v2
	s_delay_alu instid0(VALU_DEP_2) | instskip(NEXT) | instid1(VALU_DEP_2)
	v_fmac_f32_e32 v201, v6, v1
	v_fma_f32 v202, v5, v1, -v2
	v_dual_add_f32 v2, 0, v26 :: v_dual_mul_f32 v1, v8, v4
	s_delay_alu instid0(VALU_DEP_1) | instskip(NEXT) | instid1(VALU_DEP_2)
	v_add_f32_e32 v2, v2, v146
	v_fma_f32 v204, v7, v3, -v1
	s_delay_alu instid0(VALU_DEP_2) | instskip(NEXT) | instid1(VALU_DEP_1)
	v_dual_add_f32 v1, 0, v21 :: v_dual_add_f32 v2, v2, v23
	v_dual_add_f32 v1, v1, v22 :: v_dual_add_f32 v2, v2, v24
	s_delay_alu instid0(VALU_DEP_1) | instskip(NEXT) | instid1(VALU_DEP_1)
	v_add_f32_e32 v2, v2, v147
	v_add_f32_e32 v2, v2, v148
	s_delay_alu instid0(VALU_DEP_1) | instskip(NEXT) | instid1(VALU_DEP_1)
	v_add_f32_e32 v2, v2, v140
	v_add_f32_e32 v2, v2, v141
	;; [unrolled: 3-line block ×4, first 2 shown]
	s_delay_alu instid0(VALU_DEP_1) | instskip(NEXT) | instid1(VALU_DEP_1)
	v_dual_add_f32 v1, v1, v28 :: v_dual_add_f32 v2, v2, v149
	v_dual_add_f32 v1, v1, v29 :: v_dual_add_f32 v2, v2, v150
	s_delay_alu instid0(VALU_DEP_1) | instskip(NEXT) | instid1(VALU_DEP_1)
	v_dual_add_f32 v1, v1, v30 :: v_dual_add_f32 v2, v2, v153
	v_add_f32_e32 v1, v1, v31
	s_delay_alu instid0(VALU_DEP_1) | instskip(NEXT) | instid1(VALU_DEP_1)
	v_dual_add_f32 v2, v2, v155 :: v_dual_add_f32 v1, v1, v13
	v_dual_add_f32 v2, v2, v157 :: v_dual_add_f32 v1, v1, v14
	s_delay_alu instid0(VALU_DEP_1) | instskip(NEXT) | instid1(VALU_DEP_1)
	v_add_f32_e32 v2, v2, v159
	v_add_f32_e32 v2, v2, v161
	s_delay_alu instid0(VALU_DEP_1) | instskip(NEXT) | instid1(VALU_DEP_1)
	v_add_f32_e32 v2, v2, v163
	v_add_f32_e32 v2, v2, v165
	s_delay_alu instid0(VALU_DEP_1) | instskip(NEXT) | instid1(VALU_DEP_1)
	v_add_f32_e32 v2, v2, v167
	v_dual_add_f32 v2, v2, v169 :: v_dual_add_f32 v1, v1, v16
	s_delay_alu instid0(VALU_DEP_1) | instskip(NEXT) | instid1(VALU_DEP_1)
	v_dual_add_f32 v2, v2, v171 :: v_dual_add_f32 v1, v1, v17
	v_add_f32_e32 v1, v1, v142
	s_delay_alu instid0(VALU_DEP_1) | instskip(NEXT) | instid1(VALU_DEP_1)
	v_add_f32_e32 v1, v1, v143
	v_add_f32_e32 v1, v1, v151
	s_delay_alu instid0(VALU_DEP_1) | instskip(NEXT) | instid1(VALU_DEP_1)
	v_add_f32_e32 v1, v1, v152
	;; [unrolled: 3-line block ×8, first 2 shown]
	v_add_f32_e32 v6, v1, v178
	v_add_f32_e32 v2, v2, v173
	s_delay_alu instid0(VALU_DEP_2) | instskip(NEXT) | instid1(VALU_DEP_1)
	v_add_f32_e32 v14, v6, v180
	v_dual_mul_f32 v203, v7, v4 :: v_dual_add_f32 v14, v14, v182
	s_delay_alu instid0(VALU_DEP_1) | instskip(NEXT) | instid1(VALU_DEP_2)
	v_fmac_f32_e32 v203, v8, v3
	v_add_f32_e32 v17, v14, v184
	s_delay_alu instid0(VALU_DEP_1) | instskip(NEXT) | instid1(VALU_DEP_1)
	v_add_f32_e32 v17, v17, v186
	v_add_f32_e32 v17, v17, v188
	s_delay_alu instid0(VALU_DEP_1) | instskip(NEXT) | instid1(VALU_DEP_1)
	v_add_f32_e32 v17, v17, v190
	v_dual_add_f32 v22, v17, v192 :: v_dual_add_f32 v5, v2, v175
	ds_load_b128 v[1:4], v25 offset:784
	v_dual_add_f32 v22, v22, v194 :: v_dual_add_f32 v13, v5, v177
	scratch_load_b128 v[5:8], off, off offset:368
	v_dual_add_f32 v22, v22, v196 :: v_dual_add_f32 v13, v13, v179
	s_delay_alu instid0(VALU_DEP_1) | instskip(NEXT) | instid1(VALU_DEP_1)
	v_add_f32_e32 v13, v13, v181
	v_add_f32_e32 v18, v13, v183
	ds_load_b128 v[13:16], v25 offset:800
	s_wait_loadcnt_dscnt 0x101
	v_mul_f32_e32 v28, v3, v12
	v_mul_f32_e32 v26, v1, v10
	;; [unrolled: 1-line block ×3, first 2 shown]
	v_add_f32_e32 v18, v18, v185
	v_mul_f32_e32 v12, v4, v12
	v_fmac_f32_e32 v28, v4, v11
	v_fmac_f32_e32 v26, v2, v9
	v_fma_f32 v29, v1, v9, -v10
	v_add_f32_e32 v18, v18, v187
	v_fma_f32 v30, v3, v11, -v12
	s_clause 0x1
	scratch_load_b128 v[1:4], off, off offset:384
	scratch_load_b128 v[9:12], off, off offset:400
	v_add_f32_e32 v21, v18, v189
	scratch_load_b128 v[17:20], off, off offset:416
	v_add_f32_e32 v21, v21, v191
	s_delay_alu instid0(VALU_DEP_1)
	v_add_f32_e32 v21, v21, v193
	s_wait_loadcnt_dscnt 0x300
	v_mul_f32_e32 v31, v13, v6
	v_mul_f32_e32 v6, v14, v6
	;; [unrolled: 1-line block ×4, first 2 shown]
	s_delay_alu instid0(VALU_DEP_3) | instskip(SKIP_1) | instid1(VALU_DEP_4)
	v_fma_f32 v141, v13, v5, -v6
	v_add_f32_e32 v13, v21, v195
	v_dual_add_f32 v21, v22, v198 :: v_dual_fmac_f32 v140, v16, v7
	s_delay_alu instid0(VALU_DEP_4) | instskip(NEXT) | instid1(VALU_DEP_3)
	v_fma_f32 v142, v15, v7, -v8
	v_add_f32_e32 v22, v13, v197
	s_delay_alu instid0(VALU_DEP_1)
	v_dual_add_f32 v143, v21, v200 :: v_dual_add_f32 v146, v22, v199
	ds_load_b128 v[21:24], v25 offset:848
	v_fmac_f32_e32 v31, v14, v5
	ds_load_b128 v[5:8], v25 offset:816
	ds_load_b128 v[13:16], v25 offset:832
	v_add_f32_e32 v25, v143, v202
	v_add_f32_e32 v143, v146, v201
	s_delay_alu instid0(VALU_DEP_2) | instskip(NEXT) | instid1(VALU_DEP_2)
	v_add_f32_e32 v25, v25, v204
	v_add_f32_e32 v143, v143, v203
	s_delay_alu instid0(VALU_DEP_1) | instskip(NEXT) | instid1(VALU_DEP_1)
	v_dual_add_f32 v25, v25, v29 :: v_dual_add_f32 v26, v143, v26
	v_dual_add_f32 v25, v25, v30 :: v_dual_add_f32 v26, v26, v28
	s_wait_loadcnt_dscnt 0x2
	v_mul_f32_e32 v28, v21, v18
	s_wait_dscnt 0x1
	v_mul_f32_e32 v146, v5, v2
	v_dual_mul_f32 v2, v6, v2 :: v_dual_add_f32 v25, v25, v141
	v_dual_add_f32 v26, v26, v31 :: v_dual_mul_f32 v29, v7, v4
	v_mul_f32_e32 v4, v8, v4
	s_delay_alu instid0(VALU_DEP_3) | instskip(NEXT) | instid1(VALU_DEP_4)
	v_fma_f32 v2, v5, v1, -v2
	v_dual_fmac_f32 v146, v6, v1 :: v_dual_add_f32 v1, v25, v142
	s_delay_alu instid0(VALU_DEP_4)
	v_add_f32_e32 v5, v26, v140
	s_wait_dscnt 0x0
	v_mul_f32_e32 v143, v13, v10
	v_dual_mul_f32 v6, v14, v10 :: v_dual_fmac_f32 v29, v8, v3
	v_fma_f32 v3, v7, v3, -v4
	v_add_f32_e32 v1, v1, v2
	v_dual_add_f32 v2, v5, v146 :: v_dual_mul_f32 v147, v15, v12
	v_dual_mul_f32 v4, v16, v12 :: v_dual_fmac_f32 v143, v14, v9
	v_fma_f32 v5, v13, v9, -v6
	s_delay_alu instid0(VALU_DEP_3) | instskip(SKIP_3) | instid1(VALU_DEP_4)
	v_dual_add_f32 v1, v1, v3 :: v_dual_add_f32 v2, v2, v29
	v_mul_f32_e32 v3, v22, v18
	v_fmac_f32_e32 v147, v16, v11
	v_fma_f32 v4, v15, v11, -v4
	v_dual_add_f32 v1, v1, v5 :: v_dual_add_f32 v2, v2, v143
	v_mul_f32_e32 v30, v23, v20
	v_dual_mul_f32 v5, v24, v20 :: v_dual_fmac_f32 v28, v22, v17
	v_fma_f32 v3, v21, v17, -v3
	s_delay_alu instid0(VALU_DEP_4) | instskip(NEXT) | instid1(VALU_DEP_4)
	v_dual_add_f32 v1, v1, v4 :: v_dual_add_f32 v2, v2, v147
	v_fmac_f32_e32 v30, v24, v19
	s_delay_alu instid0(VALU_DEP_4) | instskip(NEXT) | instid1(VALU_DEP_3)
	v_fma_f32 v4, v23, v19, -v5
	v_dual_add_f32 v1, v1, v3 :: v_dual_add_f32 v2, v2, v28
	s_delay_alu instid0(VALU_DEP_1) | instskip(NEXT) | instid1(VALU_DEP_1)
	v_dual_add_f32 v1, v1, v4 :: v_dual_add_f32 v2, v2, v30
	v_dual_sub_f32 v1, v144, v1 :: v_dual_sub_f32 v2, v145, v2
	scratch_store_b64 off, v[1:2], off offset:24
	v_cmpx_lt_u32_e32 2, v0
	s_cbranch_execz .LBB117_333
; %bb.332:
	scratch_load_b64 v[1:2], off, off offset:16
	v_mov_b32_e32 v3, 0
	s_delay_alu instid0(VALU_DEP_1)
	v_mov_b32_e32 v4, v3
	scratch_store_b64 off, v[3:4], off offset:16
	s_wait_loadcnt 0x0
	ds_store_b64 v27, v[1:2]
.LBB117_333:
	s_wait_alu 0xfffe
	s_or_b32 exec_lo, exec_lo, s0
	s_wait_storecnt_dscnt 0x0
	s_barrier_signal -1
	s_barrier_wait -1
	global_inv scope:SCOPE_SE
	s_clause 0x4
	scratch_load_b128 v[5:8], off, off offset:24
	scratch_load_b128 v[1:4], off, off offset:40
	;; [unrolled: 1-line block ×5, first 2 shown]
	v_mov_b32_e32 v25, 0
	ds_load_2addr_b64 v[21:24], v25 offset0:57 offset1:58
	ds_load_2addr_b64 v[28:31], v25 offset0:59 offset1:60
	;; [unrolled: 1-line block ×3, first 2 shown]
	scratch_load_b64 v[144:145], off, off offset:16
	s_mov_b32 s0, exec_lo
	s_wait_loadcnt_dscnt 0x502
	v_mul_f32_e32 v26, v21, v6
	s_wait_loadcnt_dscnt 0x300
	v_dual_mul_f32 v146, v23, v8 :: v_dual_mul_f32 v147, v140, v10
	v_mul_f32_e32 v8, v24, v8
	v_mul_f32_e32 v6, v22, v6
	v_fmac_f32_e32 v26, v22, v5
	v_mul_f32_e32 v10, v141, v10
	v_fmac_f32_e32 v147, v141, v9
	v_fma_f32 v22, v23, v7, -v8
	v_mul_f32_e32 v23, v28, v2
	v_fmac_f32_e32 v146, v24, v7
	v_mul_f32_e32 v148, v142, v12
	v_mul_f32_e32 v12, v143, v12
	;; [unrolled: 1-line block ×3, first 2 shown]
	v_fmac_f32_e32 v23, v29, v1
	v_fma_f32 v21, v21, v5, -v6
	ds_load_2addr_b64 v[5:8], v25 offset0:63 offset1:64
	v_mul_f32_e32 v24, v30, v4
	v_mul_f32_e32 v4, v31, v4
	v_fmac_f32_e32 v148, v143, v11
	s_delay_alu instid0(VALU_DEP_3) | instskip(NEXT) | instid1(VALU_DEP_3)
	v_fmac_f32_e32 v24, v31, v3
	v_fma_f32 v29, v30, v3, -v4
	v_fma_f32 v30, v140, v9, -v10
	;; [unrolled: 1-line block ×3, first 2 shown]
	ds_load_2addr_b64 v[9:12], v25 offset0:65 offset1:66
	s_wait_loadcnt_dscnt 0x201
	v_mul_f32_e32 v140, v5, v14
	v_dual_mul_f32 v14, v6, v14 :: v_dual_mul_f32 v141, v7, v16
	v_mul_f32_e32 v16, v8, v16
	s_delay_alu instid0(VALU_DEP_3) | instskip(NEXT) | instid1(VALU_DEP_3)
	v_fmac_f32_e32 v140, v6, v13
	v_fma_f32 v13, v5, v13, -v14
	s_delay_alu instid0(VALU_DEP_4) | instskip(NEXT) | instid1(VALU_DEP_4)
	v_fmac_f32_e32 v141, v8, v15
	v_fma_f32 v14, v7, v15, -v16
	ds_load_2addr_b64 v[5:8], v25 offset0:67 offset1:68
	s_wait_loadcnt_dscnt 0x101
	v_mul_f32_e32 v15, v9, v18
	v_mul_f32_e32 v16, v10, v18
	;; [unrolled: 1-line block ×3, first 2 shown]
	s_delay_alu instid0(VALU_DEP_3)
	v_dual_mul_f32 v20, v12, v20 :: v_dual_fmac_f32 v15, v10, v17
	v_fma_f32 v28, v28, v1, -v2
	scratch_load_b128 v[1:4], off, off offset:104
	v_fma_f32 v16, v9, v17, -v16
	v_fmac_f32_e32 v18, v12, v19
	v_fma_f32 v17, v11, v19, -v20
	scratch_load_b128 v[9:12], off, off offset:120
	s_wait_loadcnt_dscnt 0x100
	v_mul_f32_e32 v19, v5, v2
	v_mul_f32_e32 v2, v6, v2
	;; [unrolled: 1-line block ×3, first 2 shown]
	s_delay_alu instid0(VALU_DEP_3) | instskip(NEXT) | instid1(VALU_DEP_3)
	v_dual_mul_f32 v4, v8, v4 :: v_dual_fmac_f32 v19, v6, v1
	v_fma_f32 v142, v5, v1, -v2
	s_delay_alu instid0(VALU_DEP_3) | instskip(NEXT) | instid1(VALU_DEP_3)
	v_fmac_f32_e32 v20, v8, v3
	v_fma_f32 v143, v7, v3, -v4
	ds_load_2addr_b64 v[1:4], v25 offset0:69 offset1:70
	ds_load_2addr_b64 v[5:8], v25 offset0:71 offset1:72
	s_wait_loadcnt_dscnt 0x1
	v_mul_f32_e32 v149, v1, v10
	v_mul_f32_e32 v10, v2, v10
	s_delay_alu instid0(VALU_DEP_2) | instskip(NEXT) | instid1(VALU_DEP_2)
	v_dual_mul_f32 v150, v3, v12 :: v_dual_fmac_f32 v149, v2, v9
	v_fma_f32 v151, v1, v9, -v10
	v_mul_f32_e32 v1, v4, v12
	s_delay_alu instid0(VALU_DEP_3) | instskip(NEXT) | instid1(VALU_DEP_2)
	v_fmac_f32_e32 v150, v4, v11
	v_fma_f32 v152, v3, v11, -v1
	s_clause 0x1
	scratch_load_b128 v[1:4], off, off offset:136
	scratch_load_b128 v[9:12], off, off offset:152
	s_wait_loadcnt_dscnt 0x100
	v_mul_f32_e32 v153, v5, v2
	v_dual_mul_f32 v2, v6, v2 :: v_dual_mul_f32 v155, v7, v4
	s_delay_alu instid0(VALU_DEP_2) | instskip(NEXT) | instid1(VALU_DEP_2)
	v_fmac_f32_e32 v153, v6, v1
	v_fma_f32 v154, v5, v1, -v2
	v_mul_f32_e32 v1, v8, v4
	s_delay_alu instid0(VALU_DEP_4) | instskip(NEXT) | instid1(VALU_DEP_2)
	v_fmac_f32_e32 v155, v8, v3
	v_fma_f32 v156, v7, v3, -v1
	ds_load_2addr_b64 v[1:4], v25 offset0:73 offset1:74
	ds_load_2addr_b64 v[5:8], v25 offset0:75 offset1:76
	s_wait_loadcnt_dscnt 0x1
	v_mul_f32_e32 v157, v1, v10
	v_mul_f32_e32 v159, v3, v12
	s_delay_alu instid0(VALU_DEP_2) | instskip(NEXT) | instid1(VALU_DEP_2)
	v_fmac_f32_e32 v157, v2, v9
	v_dual_mul_f32 v2, v2, v10 :: v_dual_fmac_f32 v159, v4, v11
	s_delay_alu instid0(VALU_DEP_1) | instskip(SKIP_1) | instid1(VALU_DEP_1)
	v_fma_f32 v158, v1, v9, -v2
	v_mul_f32_e32 v1, v4, v12
	v_fma_f32 v160, v3, v11, -v1
	s_clause 0x1
	scratch_load_b128 v[1:4], off, off offset:168
	scratch_load_b128 v[9:12], off, off offset:184
	s_wait_loadcnt_dscnt 0x100
	v_mul_f32_e32 v161, v5, v2
	v_dual_mul_f32 v2, v6, v2 :: v_dual_mul_f32 v163, v7, v4
	s_delay_alu instid0(VALU_DEP_2) | instskip(NEXT) | instid1(VALU_DEP_2)
	v_fmac_f32_e32 v161, v6, v1
	v_fma_f32 v162, v5, v1, -v2
	v_mul_f32_e32 v1, v8, v4
	s_delay_alu instid0(VALU_DEP_4) | instskip(NEXT) | instid1(VALU_DEP_2)
	v_fmac_f32_e32 v163, v8, v3
	v_fma_f32 v164, v7, v3, -v1
	ds_load_2addr_b64 v[1:4], v25 offset0:77 offset1:78
	ds_load_2addr_b64 v[5:8], v25 offset0:79 offset1:80
	s_wait_loadcnt_dscnt 0x1
	v_mul_f32_e32 v165, v1, v10
	v_mul_f32_e32 v167, v3, v12
	s_delay_alu instid0(VALU_DEP_2) | instskip(NEXT) | instid1(VALU_DEP_2)
	v_fmac_f32_e32 v165, v2, v9
	v_dual_mul_f32 v2, v2, v10 :: v_dual_fmac_f32 v167, v4, v11
	s_delay_alu instid0(VALU_DEP_1) | instskip(SKIP_1) | instid1(VALU_DEP_1)
	v_fma_f32 v166, v1, v9, -v2
	v_mul_f32_e32 v1, v4, v12
	;; [unrolled: 25-line block ×6, first 2 shown]
	v_fma_f32 v200, v3, v11, -v1
	s_clause 0x1
	scratch_load_b128 v[1:4], off, off offset:328
	scratch_load_b128 v[9:12], off, off offset:344
	s_wait_loadcnt_dscnt 0x100
	v_mul_f32_e32 v201, v5, v2
	v_mul_f32_e32 v2, v6, v2
	s_delay_alu instid0(VALU_DEP_2) | instskip(NEXT) | instid1(VALU_DEP_2)
	v_fmac_f32_e32 v201, v6, v1
	v_fma_f32 v202, v5, v1, -v2
	v_dual_add_f32 v2, 0, v26 :: v_dual_mul_f32 v1, v8, v4
	s_delay_alu instid0(VALU_DEP_1) | instskip(NEXT) | instid1(VALU_DEP_2)
	v_add_f32_e32 v2, v2, v146
	v_fma_f32 v204, v7, v3, -v1
	s_delay_alu instid0(VALU_DEP_2) | instskip(NEXT) | instid1(VALU_DEP_1)
	v_dual_add_f32 v1, 0, v21 :: v_dual_add_f32 v2, v2, v23
	v_dual_add_f32 v1, v1, v22 :: v_dual_add_f32 v2, v2, v24
	s_delay_alu instid0(VALU_DEP_1) | instskip(NEXT) | instid1(VALU_DEP_1)
	v_add_f32_e32 v2, v2, v147
	v_add_f32_e32 v2, v2, v148
	s_delay_alu instid0(VALU_DEP_1) | instskip(NEXT) | instid1(VALU_DEP_1)
	v_add_f32_e32 v2, v2, v140
	v_add_f32_e32 v2, v2, v141
	s_delay_alu instid0(VALU_DEP_1) | instskip(NEXT) | instid1(VALU_DEP_1)
	v_add_f32_e32 v2, v2, v15
	v_add_f32_e32 v2, v2, v18
	s_delay_alu instid0(VALU_DEP_1) | instskip(NEXT) | instid1(VALU_DEP_1)
	v_add_f32_e32 v2, v2, v19
	v_add_f32_e32 v2, v2, v20
	s_delay_alu instid0(VALU_DEP_1) | instskip(NEXT) | instid1(VALU_DEP_1)
	v_dual_add_f32 v1, v1, v28 :: v_dual_add_f32 v2, v2, v149
	v_add_f32_e32 v1, v1, v29
	scratch_load_b64 v[28:29], off, off offset:424
	v_add_f32_e32 v2, v2, v150
	s_delay_alu instid0(VALU_DEP_1) | instskip(NEXT) | instid1(VALU_DEP_1)
	v_dual_add_f32 v1, v1, v30 :: v_dual_add_f32 v2, v2, v153
	v_add_f32_e32 v1, v1, v31
	s_delay_alu instid0(VALU_DEP_1) | instskip(NEXT) | instid1(VALU_DEP_1)
	v_dual_add_f32 v2, v2, v155 :: v_dual_add_f32 v1, v1, v13
	v_dual_add_f32 v2, v2, v157 :: v_dual_add_f32 v1, v1, v14
	s_delay_alu instid0(VALU_DEP_1) | instskip(NEXT) | instid1(VALU_DEP_1)
	v_dual_add_f32 v2, v2, v159 :: v_dual_add_f32 v1, v1, v16
	v_add_f32_e32 v2, v2, v161
	s_delay_alu instid0(VALU_DEP_1) | instskip(NEXT) | instid1(VALU_DEP_1)
	v_dual_add_f32 v1, v1, v17 :: v_dual_add_f32 v2, v2, v163
	v_dual_add_f32 v1, v1, v142 :: v_dual_add_f32 v2, v2, v165
	s_delay_alu instid0(VALU_DEP_1) | instskip(NEXT) | instid1(VALU_DEP_2)
	v_add_f32_e32 v1, v1, v143
	v_add_f32_e32 v2, v2, v167
	s_delay_alu instid0(VALU_DEP_2) | instskip(NEXT) | instid1(VALU_DEP_1)
	v_add_f32_e32 v1, v1, v151
	v_add_f32_e32 v1, v1, v152
	s_delay_alu instid0(VALU_DEP_1) | instskip(NEXT) | instid1(VALU_DEP_1)
	v_add_f32_e32 v1, v1, v154
	v_add_f32_e32 v1, v1, v156
	s_delay_alu instid0(VALU_DEP_1) | instskip(NEXT) | instid1(VALU_DEP_1)
	;; [unrolled: 3-line block ×6, first 2 shown]
	v_add_f32_e32 v1, v1, v174
	v_add_f32_e32 v1, v1, v176
	s_delay_alu instid0(VALU_DEP_1) | instskip(SKIP_1) | instid1(VALU_DEP_2)
	v_add_f32_e32 v6, v1, v178
	v_add_f32_e32 v2, v2, v169
	;; [unrolled: 1-line block ×3, first 2 shown]
	s_delay_alu instid0(VALU_DEP_2) | instskip(NEXT) | instid1(VALU_DEP_2)
	v_dual_add_f32 v2, v2, v171 :: v_dual_mul_f32 v203, v7, v4
	v_add_f32_e32 v14, v14, v182
	s_delay_alu instid0(VALU_DEP_2) | instskip(NEXT) | instid1(VALU_DEP_2)
	v_dual_add_f32 v2, v2, v173 :: v_dual_fmac_f32 v203, v8, v3
	v_add_f32_e32 v17, v14, v184
	s_delay_alu instid0(VALU_DEP_2)
	v_add_f32_e32 v5, v2, v175
	scratch_load_b128 v[1:4], off, off offset:360
	v_add_f32_e32 v17, v17, v186
	v_add_f32_e32 v13, v5, v177
	ds_load_2addr_b64 v[5:8], v25 offset0:97 offset1:98
	v_add_f32_e32 v17, v17, v188
	v_add_f32_e32 v13, v13, v179
	s_delay_alu instid0(VALU_DEP_2) | instskip(NEXT) | instid1(VALU_DEP_2)
	v_add_f32_e32 v17, v17, v190
	v_add_f32_e32 v13, v13, v181
	s_delay_alu instid0(VALU_DEP_2) | instskip(NEXT) | instid1(VALU_DEP_2)
	v_add_f32_e32 v22, v17, v192
	v_add_f32_e32 v18, v13, v183
	ds_load_2addr_b64 v[13:16], v25 offset0:99 offset1:100
	v_add_f32_e32 v22, v22, v194
	s_wait_loadcnt_dscnt 0x201
	v_mul_f32_e32 v26, v5, v10
	v_mul_f32_e32 v10, v6, v10
	v_mul_f32_e32 v140, v7, v12
	v_mul_f32_e32 v12, v8, v12
	v_add_f32_e32 v18, v18, v185
	v_fmac_f32_e32 v26, v6, v9
	v_fma_f32 v141, v5, v9, -v10
	v_fmac_f32_e32 v140, v8, v11
	v_fma_f32 v142, v7, v11, -v12
	s_clause 0x1
	scratch_load_b128 v[5:8], off, off offset:376
	scratch_load_b128 v[9:12], off, off offset:392
	v_add_f32_e32 v18, v18, v187
	v_add_f32_e32 v22, v22, v196
	s_delay_alu instid0(VALU_DEP_2) | instskip(SKIP_2) | instid1(VALU_DEP_1)
	v_add_f32_e32 v21, v18, v189
	scratch_load_b128 v[17:20], off, off offset:408
	v_dual_add_f32 v22, v22, v198 :: v_dual_add_f32 v21, v21, v191
	v_add_f32_e32 v21, v21, v193
	s_delay_alu instid0(VALU_DEP_1) | instskip(SKIP_4) | instid1(VALU_DEP_3)
	v_add_f32_e32 v21, v21, v195
	s_wait_loadcnt_dscnt 0x300
	v_mul_f32_e32 v143, v13, v2
	v_mul_f32_e32 v2, v14, v2
	;; [unrolled: 1-line block ×3, first 2 shown]
	v_dual_mul_f32 v4, v16, v4 :: v_dual_fmac_f32 v143, v14, v1
	s_delay_alu instid0(VALU_DEP_3) | instskip(SKIP_1) | instid1(VALU_DEP_4)
	v_fma_f32 v147, v13, v1, -v2
	v_dual_add_f32 v13, v21, v197 :: v_dual_add_f32 v14, v22, v200
	v_fmac_f32_e32 v146, v16, v3
	s_delay_alu instid0(VALU_DEP_4)
	v_fma_f32 v148, v15, v3, -v4
	ds_load_2addr_b64 v[1:4], v25 offset0:101 offset1:102
	v_dual_add_f32 v21, v13, v199 :: v_dual_add_f32 v30, v14, v202
	ds_load_2addr_b64 v[13:16], v25 offset0:103 offset1:104
	v_add_f32_e32 v31, v21, v201
	v_add_f32_e32 v149, v30, v204
	ds_load_2addr_b64 v[21:24], v25 offset0:105 offset1:106
	v_dual_add_f32 v150, v31, v203 :: v_dual_add_f32 v141, v149, v141
	ds_load_b64 v[30:31], v25 offset:856
	v_add_f32_e32 v26, v150, v26
	s_delay_alu instid0(VALU_DEP_1) | instskip(NEXT) | instid1(VALU_DEP_1)
	v_dual_add_f32 v141, v141, v142 :: v_dual_add_f32 v26, v26, v140
	v_add_f32_e32 v141, v141, v147
	s_wait_loadcnt_dscnt 0x203
	v_mul_f32_e32 v149, v1, v6
	v_mul_f32_e32 v6, v2, v6
	;; [unrolled: 1-line block ×3, first 2 shown]
	v_add_f32_e32 v26, v26, v143
	v_mul_f32_e32 v8, v4, v8
	v_add_f32_e32 v141, v141, v148
	v_fma_f32 v1, v1, v5, -v6
	v_fmac_f32_e32 v149, v2, v5
	v_add_f32_e32 v26, v26, v146
	s_wait_loadcnt_dscnt 0x102
	v_mul_f32_e32 v142, v13, v10
	v_fmac_f32_e32 v140, v4, v7
	v_fma_f32 v2, v3, v7, -v8
	v_mul_f32_e32 v3, v14, v10
	v_add_f32_e32 v1, v141, v1
	v_dual_add_f32 v4, v26, v149 :: v_dual_mul_f32 v143, v15, v12
	v_dual_mul_f32 v5, v16, v12 :: v_dual_fmac_f32 v142, v14, v9
	s_delay_alu instid0(VALU_DEP_4) | instskip(NEXT) | instid1(VALU_DEP_3)
	v_fma_f32 v3, v13, v9, -v3
	v_dual_add_f32 v1, v1, v2 :: v_dual_add_f32 v2, v4, v140
	s_wait_loadcnt_dscnt 0x1
	v_mul_f32_e32 v147, v21, v18
	v_dual_mul_f32 v4, v22, v18 :: v_dual_fmac_f32 v143, v16, v11
	v_fma_f32 v5, v15, v11, -v5
	v_dual_add_f32 v1, v1, v3 :: v_dual_add_f32 v2, v2, v142
	v_mul_f32_e32 v148, v23, v20
	v_mul_f32_e32 v3, v24, v20
	v_fmac_f32_e32 v147, v22, v17
	v_fma_f32 v4, v21, v17, -v4
	v_dual_add_f32 v1, v1, v5 :: v_dual_add_f32 v2, v2, v143
	s_wait_dscnt 0x0
	v_mul_f32_e32 v146, v30, v29
	v_dual_mul_f32 v5, v31, v29 :: v_dual_fmac_f32 v148, v24, v19
	v_fma_f32 v3, v23, v19, -v3
	v_dual_add_f32 v1, v1, v4 :: v_dual_add_f32 v2, v2, v147
	s_delay_alu instid0(VALU_DEP_4) | instskip(NEXT) | instid1(VALU_DEP_4)
	v_fmac_f32_e32 v146, v31, v28
	v_fma_f32 v4, v30, v28, -v5
	s_delay_alu instid0(VALU_DEP_3) | instskip(NEXT) | instid1(VALU_DEP_1)
	v_dual_add_f32 v1, v1, v3 :: v_dual_add_f32 v2, v2, v148
	v_dual_add_f32 v1, v1, v4 :: v_dual_add_f32 v2, v2, v146
	s_delay_alu instid0(VALU_DEP_1)
	v_dual_sub_f32 v1, v144, v1 :: v_dual_sub_f32 v2, v145, v2
	scratch_store_b64 off, v[1:2], off offset:16
	v_cmpx_lt_u32_e32 1, v0
	s_cbranch_execz .LBB117_335
; %bb.334:
	scratch_load_b64 v[1:2], off, off offset:8
	v_mov_b32_e32 v26, v25
	scratch_store_b64 off, v[25:26], off offset:8
	s_wait_loadcnt 0x0
	ds_store_b64 v27, v[1:2]
.LBB117_335:
	s_wait_alu 0xfffe
	s_or_b32 exec_lo, exec_lo, s0
	s_wait_storecnt_dscnt 0x0
	s_barrier_signal -1
	s_barrier_wait -1
	global_inv scope:SCOPE_SE
	s_clause 0x4
	scratch_load_b128 v[5:8], off, off offset:16
	scratch_load_b128 v[1:4], off, off offset:32
	;; [unrolled: 1-line block ×5, first 2 shown]
	ds_load_b128 v[21:24], v25 offset:448
	ds_load_b128 v[28:31], v25 offset:464
	;; [unrolled: 1-line block ×3, first 2 shown]
	scratch_load_b64 v[144:145], off, off offset:8
	s_mov_b32 s0, exec_lo
	s_wait_loadcnt_dscnt 0x502
	v_mul_f32_e32 v26, v21, v6
	s_wait_loadcnt_dscnt 0x300
	v_dual_mul_f32 v146, v23, v8 :: v_dual_mul_f32 v147, v140, v10
	v_mul_f32_e32 v8, v24, v8
	v_mul_f32_e32 v6, v22, v6
	v_fmac_f32_e32 v26, v22, v5
	v_mul_f32_e32 v10, v141, v10
	v_fmac_f32_e32 v147, v141, v9
	v_fma_f32 v22, v23, v7, -v8
	v_mul_f32_e32 v23, v28, v2
	v_fmac_f32_e32 v146, v24, v7
	v_mul_f32_e32 v148, v142, v12
	v_mul_f32_e32 v12, v143, v12
	;; [unrolled: 1-line block ×3, first 2 shown]
	v_fmac_f32_e32 v23, v29, v1
	v_fma_f32 v21, v21, v5, -v6
	ds_load_b128 v[5:8], v25 offset:496
	v_mul_f32_e32 v24, v30, v4
	v_mul_f32_e32 v4, v31, v4
	v_fmac_f32_e32 v148, v143, v11
	s_delay_alu instid0(VALU_DEP_3) | instskip(NEXT) | instid1(VALU_DEP_3)
	v_fmac_f32_e32 v24, v31, v3
	v_fma_f32 v29, v30, v3, -v4
	v_fma_f32 v30, v140, v9, -v10
	;; [unrolled: 1-line block ×3, first 2 shown]
	ds_load_b128 v[9:12], v25 offset:512
	s_wait_loadcnt_dscnt 0x201
	v_mul_f32_e32 v140, v5, v14
	v_dual_mul_f32 v14, v6, v14 :: v_dual_mul_f32 v141, v7, v16
	v_mul_f32_e32 v16, v8, v16
	s_delay_alu instid0(VALU_DEP_3) | instskip(NEXT) | instid1(VALU_DEP_3)
	v_fmac_f32_e32 v140, v6, v13
	v_fma_f32 v13, v5, v13, -v14
	s_delay_alu instid0(VALU_DEP_4) | instskip(NEXT) | instid1(VALU_DEP_4)
	v_fmac_f32_e32 v141, v8, v15
	v_fma_f32 v14, v7, v15, -v16
	ds_load_b128 v[5:8], v25 offset:528
	s_wait_loadcnt_dscnt 0x101
	v_mul_f32_e32 v15, v9, v18
	v_mul_f32_e32 v16, v10, v18
	;; [unrolled: 1-line block ×3, first 2 shown]
	s_delay_alu instid0(VALU_DEP_3)
	v_dual_mul_f32 v20, v12, v20 :: v_dual_fmac_f32 v15, v10, v17
	v_fma_f32 v28, v28, v1, -v2
	scratch_load_b128 v[1:4], off, off offset:96
	v_fma_f32 v16, v9, v17, -v16
	v_fmac_f32_e32 v18, v12, v19
	v_fma_f32 v17, v11, v19, -v20
	scratch_load_b128 v[9:12], off, off offset:112
	s_wait_loadcnt_dscnt 0x100
	v_mul_f32_e32 v19, v5, v2
	v_mul_f32_e32 v2, v6, v2
	;; [unrolled: 1-line block ×3, first 2 shown]
	s_delay_alu instid0(VALU_DEP_3) | instskip(NEXT) | instid1(VALU_DEP_3)
	v_dual_mul_f32 v4, v8, v4 :: v_dual_fmac_f32 v19, v6, v1
	v_fma_f32 v142, v5, v1, -v2
	s_delay_alu instid0(VALU_DEP_3) | instskip(NEXT) | instid1(VALU_DEP_3)
	v_fmac_f32_e32 v20, v8, v3
	v_fma_f32 v143, v7, v3, -v4
	ds_load_b128 v[1:4], v25 offset:544
	ds_load_b128 v[5:8], v25 offset:560
	s_wait_loadcnt_dscnt 0x1
	v_mul_f32_e32 v149, v1, v10
	v_mul_f32_e32 v10, v2, v10
	s_delay_alu instid0(VALU_DEP_2) | instskip(NEXT) | instid1(VALU_DEP_2)
	v_dual_mul_f32 v150, v3, v12 :: v_dual_fmac_f32 v149, v2, v9
	v_fma_f32 v151, v1, v9, -v10
	v_mul_f32_e32 v1, v4, v12
	s_delay_alu instid0(VALU_DEP_3) | instskip(NEXT) | instid1(VALU_DEP_2)
	v_fmac_f32_e32 v150, v4, v11
	v_fma_f32 v152, v3, v11, -v1
	s_clause 0x1
	scratch_load_b128 v[1:4], off, off offset:128
	scratch_load_b128 v[9:12], off, off offset:144
	s_wait_loadcnt_dscnt 0x100
	v_mul_f32_e32 v153, v5, v2
	v_dual_mul_f32 v2, v6, v2 :: v_dual_mul_f32 v155, v7, v4
	s_delay_alu instid0(VALU_DEP_2) | instskip(NEXT) | instid1(VALU_DEP_2)
	v_fmac_f32_e32 v153, v6, v1
	v_fma_f32 v154, v5, v1, -v2
	v_mul_f32_e32 v1, v8, v4
	s_delay_alu instid0(VALU_DEP_4) | instskip(NEXT) | instid1(VALU_DEP_2)
	v_fmac_f32_e32 v155, v8, v3
	v_fma_f32 v156, v7, v3, -v1
	ds_load_b128 v[1:4], v25 offset:576
	ds_load_b128 v[5:8], v25 offset:592
	s_wait_loadcnt_dscnt 0x1
	v_mul_f32_e32 v157, v1, v10
	v_mul_f32_e32 v159, v3, v12
	s_delay_alu instid0(VALU_DEP_2) | instskip(NEXT) | instid1(VALU_DEP_2)
	v_fmac_f32_e32 v157, v2, v9
	v_dual_mul_f32 v2, v2, v10 :: v_dual_fmac_f32 v159, v4, v11
	s_delay_alu instid0(VALU_DEP_1) | instskip(SKIP_1) | instid1(VALU_DEP_1)
	v_fma_f32 v158, v1, v9, -v2
	v_mul_f32_e32 v1, v4, v12
	v_fma_f32 v160, v3, v11, -v1
	s_clause 0x1
	scratch_load_b128 v[1:4], off, off offset:160
	scratch_load_b128 v[9:12], off, off offset:176
	s_wait_loadcnt_dscnt 0x100
	v_mul_f32_e32 v161, v5, v2
	v_dual_mul_f32 v2, v6, v2 :: v_dual_mul_f32 v163, v7, v4
	s_delay_alu instid0(VALU_DEP_2) | instskip(NEXT) | instid1(VALU_DEP_2)
	v_fmac_f32_e32 v161, v6, v1
	v_fma_f32 v162, v5, v1, -v2
	v_mul_f32_e32 v1, v8, v4
	s_delay_alu instid0(VALU_DEP_4) | instskip(NEXT) | instid1(VALU_DEP_2)
	v_fmac_f32_e32 v163, v8, v3
	v_fma_f32 v164, v7, v3, -v1
	ds_load_b128 v[1:4], v25 offset:608
	ds_load_b128 v[5:8], v25 offset:624
	s_wait_loadcnt_dscnt 0x1
	v_mul_f32_e32 v165, v1, v10
	v_mul_f32_e32 v167, v3, v12
	s_delay_alu instid0(VALU_DEP_2) | instskip(NEXT) | instid1(VALU_DEP_2)
	v_fmac_f32_e32 v165, v2, v9
	v_dual_mul_f32 v2, v2, v10 :: v_dual_fmac_f32 v167, v4, v11
	s_delay_alu instid0(VALU_DEP_1) | instskip(SKIP_1) | instid1(VALU_DEP_1)
	v_fma_f32 v166, v1, v9, -v2
	v_mul_f32_e32 v1, v4, v12
	;; [unrolled: 25-line block ×7, first 2 shown]
	v_fma_f32 v208, v3, v11, -v1
	s_clause 0x1
	scratch_load_b128 v[1:4], off, off offset:352
	scratch_load_b128 v[9:12], off, off offset:368
	s_wait_loadcnt_dscnt 0x100
	v_mul_f32_e32 v209, v5, v2
	v_dual_mul_f32 v2, v6, v2 :: v_dual_mul_f32 v211, v7, v4
	s_delay_alu instid0(VALU_DEP_2) | instskip(NEXT) | instid1(VALU_DEP_2)
	v_fmac_f32_e32 v209, v6, v1
	v_fma_f32 v210, v5, v1, -v2
	v_add_f32_e32 v2, 0, v26
	s_delay_alu instid0(VALU_DEP_1) | instskip(NEXT) | instid1(VALU_DEP_1)
	v_add_f32_e32 v2, v2, v146
	v_add_f32_e32 v2, v2, v23
	s_delay_alu instid0(VALU_DEP_1) | instskip(NEXT) | instid1(VALU_DEP_1)
	v_add_f32_e32 v2, v2, v24
	;; [unrolled: 3-line block ×6, first 2 shown]
	v_dual_mul_f32 v1, v8, v4 :: v_dual_add_f32 v2, v2, v149
	s_delay_alu instid0(VALU_DEP_1) | instskip(NEXT) | instid1(VALU_DEP_2)
	v_fma_f32 v212, v7, v3, -v1
	v_dual_add_f32 v1, 0, v21 :: v_dual_add_f32 v2, v2, v150
	s_delay_alu instid0(VALU_DEP_1) | instskip(NEXT) | instid1(VALU_DEP_1)
	v_dual_add_f32 v1, v1, v22 :: v_dual_add_f32 v2, v2, v153
	v_dual_add_f32 v1, v1, v28 :: v_dual_add_f32 v2, v2, v155
	s_delay_alu instid0(VALU_DEP_1) | instskip(NEXT) | instid1(VALU_DEP_1)
	v_add_f32_e32 v1, v1, v29
	v_dual_add_f32 v2, v2, v157 :: v_dual_add_f32 v1, v1, v30
	s_delay_alu instid0(VALU_DEP_1) | instskip(NEXT) | instid1(VALU_DEP_1)
	v_add_f32_e32 v2, v2, v159
	v_dual_add_f32 v1, v1, v31 :: v_dual_add_f32 v2, v2, v161
	s_delay_alu instid0(VALU_DEP_1) | instskip(NEXT) | instid1(VALU_DEP_1)
	v_dual_add_f32 v1, v1, v13 :: v_dual_add_f32 v2, v2, v163
	v_dual_add_f32 v1, v1, v14 :: v_dual_add_f32 v2, v2, v165
	s_delay_alu instid0(VALU_DEP_1) | instskip(NEXT) | instid1(VALU_DEP_1)
	v_dual_add_f32 v1, v1, v16 :: v_dual_add_f32 v2, v2, v167
	v_add_f32_e32 v1, v1, v17
	s_delay_alu instid0(VALU_DEP_1) | instskip(NEXT) | instid1(VALU_DEP_1)
	v_dual_add_f32 v2, v2, v169 :: v_dual_add_f32 v1, v1, v142
	v_add_f32_e32 v2, v2, v171
	s_delay_alu instid0(VALU_DEP_2) | instskip(NEXT) | instid1(VALU_DEP_1)
	v_add_f32_e32 v1, v1, v143
	v_add_f32_e32 v1, v1, v151
	s_delay_alu instid0(VALU_DEP_1) | instskip(NEXT) | instid1(VALU_DEP_1)
	v_add_f32_e32 v1, v1, v152
	v_add_f32_e32 v1, v1, v154
	s_delay_alu instid0(VALU_DEP_1) | instskip(NEXT) | instid1(VALU_DEP_1)
	;; [unrolled: 3-line block ×8, first 2 shown]
	v_add_f32_e32 v1, v1, v180
	v_add_f32_e32 v1, v1, v182
	s_delay_alu instid0(VALU_DEP_1) | instskip(SKIP_1) | instid1(VALU_DEP_2)
	v_add_f32_e32 v6, v1, v184
	v_add_f32_e32 v2, v2, v173
	;; [unrolled: 1-line block ×3, first 2 shown]
	s_delay_alu instid0(VALU_DEP_2) | instskip(NEXT) | instid1(VALU_DEP_2)
	v_add_f32_e32 v2, v2, v175
	v_add_f32_e32 v13, v6, v188
	s_delay_alu instid0(VALU_DEP_1) | instskip(NEXT) | instid1(VALU_DEP_1)
	v_dual_add_f32 v2, v2, v177 :: v_dual_add_f32 v13, v13, v190
	v_dual_add_f32 v2, v2, v179 :: v_dual_add_f32 v13, v13, v192
	s_delay_alu instid0(VALU_DEP_1) | instskip(NEXT) | instid1(VALU_DEP_2)
	v_add_f32_e32 v5, v2, v181
	v_add_f32_e32 v13, v13, v194
	s_delay_alu instid0(VALU_DEP_2) | instskip(NEXT) | instid1(VALU_DEP_2)
	v_add_f32_e32 v5, v5, v183
	v_dual_add_f32 v18, v13, v196 :: v_dual_fmac_f32 v211, v8, v3
	ds_load_b128 v[1:4], v25 offset:800
	v_dual_add_f32 v5, v5, v185 :: v_dual_add_f32 v18, v18, v198
	s_delay_alu instid0(VALU_DEP_1) | instskip(SKIP_2) | instid1(VALU_DEP_1)
	v_add_f32_e32 v14, v5, v187
	ds_load_b128 v[5:8], v25 offset:816
	v_add_f32_e32 v18, v18, v200
	v_add_f32_e32 v21, v18, v202
	s_delay_alu instid0(VALU_DEP_1)
	v_add_f32_e32 v31, v21, v204
	s_wait_loadcnt_dscnt 0x1
	v_mul_f32_e32 v26, v1, v10
	v_mul_f32_e32 v28, v3, v12
	;; [unrolled: 1-line block ×4, first 2 shown]
	v_add_f32_e32 v14, v14, v189
	v_fmac_f32_e32 v26, v2, v9
	v_fmac_f32_e32 v28, v4, v11
	v_fma_f32 v29, v1, v9, -v10
	v_fma_f32 v30, v3, v11, -v12
	s_clause 0x1
	scratch_load_b128 v[1:4], off, off offset:384
	scratch_load_b128 v[9:12], off, off offset:400
	v_add_f32_e32 v14, v14, v191
	s_delay_alu instid0(VALU_DEP_1) | instskip(SKIP_2) | instid1(VALU_DEP_1)
	v_add_f32_e32 v17, v14, v193
	scratch_load_b128 v[13:16], off, off offset:416
	v_add_f32_e32 v17, v17, v195
	v_add_f32_e32 v17, v17, v197
	s_delay_alu instid0(VALU_DEP_1) | instskip(NEXT) | instid1(VALU_DEP_1)
	v_add_f32_e32 v17, v17, v199
	v_add_f32_e32 v22, v17, v201
	ds_load_b128 v[17:20], v25 offset:832
	v_add_f32_e32 v140, v22, v203
	ds_load_b128 v[21:24], v25 offset:848
	v_add_f32_e32 v25, v31, v206
	s_delay_alu instid0(VALU_DEP_1) | instskip(NEXT) | instid1(VALU_DEP_1)
	v_add_f32_e32 v25, v25, v208
	v_add_f32_e32 v25, v25, v210
	s_delay_alu instid0(VALU_DEP_1) | instskip(NEXT) | instid1(VALU_DEP_1)
	v_add_f32_e32 v25, v25, v212
	v_add_f32_e32 v25, v25, v29
	s_wait_loadcnt_dscnt 0x101
	v_dual_mul_f32 v141, v7, v4 :: v_dual_mul_f32 v142, v17, v10
	v_dual_add_f32 v31, v140, v205 :: v_dual_mul_f32 v140, v5, v2
	v_mul_f32_e32 v2, v6, v2
	v_mul_f32_e32 v4, v8, v4
	s_delay_alu instid0(VALU_DEP_4) | instskip(SKIP_4) | instid1(VALU_DEP_3)
	v_fmac_f32_e32 v141, v8, v3
	s_wait_loadcnt_dscnt 0x0
	v_dual_add_f32 v31, v31, v207 :: v_dual_mul_f32 v146, v21, v14
	v_fma_f32 v2, v5, v1, -v2
	v_dual_fmac_f32 v140, v6, v1 :: v_dual_add_f32 v1, v25, v30
	v_dual_add_f32 v31, v31, v209 :: v_dual_mul_f32 v6, v18, v10
	v_fma_f32 v3, v7, v3, -v4
	v_mul_f32_e32 v143, v19, v12
	s_delay_alu instid0(VALU_DEP_4) | instskip(NEXT) | instid1(VALU_DEP_4)
	v_add_f32_e32 v1, v1, v2
	v_dual_add_f32 v31, v31, v211 :: v_dual_mul_f32 v4, v20, v12
	s_delay_alu instid0(VALU_DEP_3) | instskip(NEXT) | instid1(VALU_DEP_2)
	v_dual_fmac_f32 v142, v18, v9 :: v_dual_fmac_f32 v143, v20, v11
	v_dual_add_f32 v1, v1, v3 :: v_dual_add_f32 v26, v31, v26
	v_mul_f32_e32 v3, v22, v14
	s_delay_alu instid0(VALU_DEP_4) | instskip(SKIP_1) | instid1(VALU_DEP_4)
	v_fma_f32 v4, v19, v11, -v4
	v_dual_mul_f32 v29, v23, v16 :: v_dual_fmac_f32 v146, v22, v13
	v_add_f32_e32 v5, v26, v28
	s_delay_alu instid0(VALU_DEP_4) | instskip(NEXT) | instid1(VALU_DEP_2)
	v_fma_f32 v3, v21, v13, -v3
	v_dual_fmac_f32 v29, v24, v15 :: v_dual_add_f32 v2, v5, v140
	v_fma_f32 v5, v17, v9, -v6
	s_delay_alu instid0(VALU_DEP_2) | instskip(NEXT) | instid1(VALU_DEP_2)
	v_add_f32_e32 v2, v2, v141
	v_add_f32_e32 v1, v1, v5
	s_delay_alu instid0(VALU_DEP_2) | instskip(NEXT) | instid1(VALU_DEP_2)
	v_dual_mul_f32 v5, v24, v16 :: v_dual_add_f32 v2, v2, v142
	v_add_f32_e32 v1, v1, v4
	s_delay_alu instid0(VALU_DEP_2) | instskip(NEXT) | instid1(VALU_DEP_3)
	v_fma_f32 v4, v23, v15, -v5
	v_add_f32_e32 v2, v2, v143
	s_delay_alu instid0(VALU_DEP_1) | instskip(NEXT) | instid1(VALU_DEP_1)
	v_dual_add_f32 v1, v1, v3 :: v_dual_add_f32 v2, v2, v146
	v_dual_add_f32 v1, v1, v4 :: v_dual_add_f32 v2, v2, v29
	s_delay_alu instid0(VALU_DEP_1)
	v_dual_sub_f32 v1, v144, v1 :: v_dual_sub_f32 v2, v145, v2
	scratch_store_b64 off, v[1:2], off offset:8
	v_cmpx_ne_u32_e32 0, v0
	s_cbranch_execz .LBB117_337
; %bb.336:
	scratch_load_b64 v[0:1], off, off
	v_mov_b32_e32 v2, 0
	s_delay_alu instid0(VALU_DEP_1)
	v_mov_b32_e32 v3, v2
	scratch_store_b64 off, v[2:3], off
	s_wait_loadcnt 0x0
	ds_store_b64 v27, v[0:1]
.LBB117_337:
	s_wait_alu 0xfffe
	s_or_b32 exec_lo, exec_lo, s0
	s_wait_storecnt_dscnt 0x0
	s_barrier_signal -1
	s_barrier_wait -1
	global_inv scope:SCOPE_SE
	s_clause 0x6
	scratch_load_b128 v[0:3], off, off offset:8
	scratch_load_b128 v[4:7], off, off offset:24
	;; [unrolled: 1-line block ×7, first 2 shown]
	v_mov_b32_e32 v140, 0
	scratch_load_b64 v[145:146], off, off
	s_and_b32 vcc_lo, exec_lo, s12
	ds_load_2addr_b64 v[28:31], v140 offset0:55 offset1:56
	ds_load_2addr_b64 v[141:144], v140 offset0:57 offset1:58
	s_wait_loadcnt_dscnt 0x701
	v_dual_mul_f32 v147, v28, v1 :: v_dual_mul_f32 v148, v30, v3
	v_mul_f32_e32 v1, v29, v1
	v_mul_f32_e32 v3, v31, v3
	s_delay_alu instid0(VALU_DEP_3) | instskip(NEXT) | instid1(VALU_DEP_3)
	v_dual_fmac_f32 v147, v29, v0 :: v_dual_fmac_f32 v148, v31, v2
	v_fma_f32 v28, v28, v0, -v1
	s_delay_alu instid0(VALU_DEP_3) | instskip(SKIP_4) | instid1(VALU_DEP_2)
	v_fma_f32 v29, v30, v2, -v3
	ds_load_2addr_b64 v[0:3], v140 offset0:59 offset1:60
	s_wait_loadcnt_dscnt 0x601
	v_dual_mul_f32 v30, v141, v5 :: v_dual_mul_f32 v31, v143, v7
	v_mul_f32_e32 v5, v142, v5
	v_dual_mul_f32 v7, v144, v7 :: v_dual_fmac_f32 v30, v142, v4
	s_delay_alu instid0(VALU_DEP_3) | instskip(NEXT) | instid1(VALU_DEP_3)
	v_fmac_f32_e32 v31, v144, v6
	v_fma_f32 v141, v141, v4, -v5
	s_delay_alu instid0(VALU_DEP_3)
	v_fma_f32 v142, v143, v6, -v7
	ds_load_2addr_b64 v[4:7], v140 offset0:61 offset1:62
	s_wait_loadcnt_dscnt 0x501
	v_mul_f32_e32 v143, v1, v9
	v_dual_mul_f32 v144, v0, v9 :: v_dual_mul_f32 v149, v2, v11
	v_mul_f32_e32 v9, v3, v11
	s_delay_alu instid0(VALU_DEP_3) | instskip(NEXT) | instid1(VALU_DEP_3)
	v_fma_f32 v143, v0, v8, -v143
	v_dual_fmac_f32 v144, v1, v8 :: v_dual_fmac_f32 v149, v3, v10
	s_delay_alu instid0(VALU_DEP_3)
	v_fma_f32 v150, v2, v10, -v9
	ds_load_2addr_b64 v[0:3], v140 offset0:63 offset1:64
	s_wait_loadcnt_dscnt 0x401
	v_mul_f32_e32 v151, v4, v13
	v_dual_mul_f32 v8, v5, v13 :: v_dual_mul_f32 v13, v6, v15
	v_mul_f32_e32 v9, v7, v15
	s_delay_alu instid0(VALU_DEP_3) | instskip(NEXT) | instid1(VALU_DEP_3)
	v_fmac_f32_e32 v151, v5, v12
	v_fma_f32 v12, v4, v12, -v8
	s_delay_alu instid0(VALU_DEP_4) | instskip(NEXT) | instid1(VALU_DEP_4)
	v_fmac_f32_e32 v13, v7, v14
	v_fma_f32 v14, v6, v14, -v9
	ds_load_2addr_b64 v[4:7], v140 offset0:65 offset1:66
	s_wait_loadcnt_dscnt 0x301
	v_mul_f32_e32 v15, v0, v17
	v_dual_mul_f32 v8, v1, v17 :: v_dual_mul_f32 v17, v2, v19
	v_mul_f32_e32 v9, v3, v19
	s_delay_alu instid0(VALU_DEP_3) | instskip(NEXT) | instid1(VALU_DEP_3)
	v_fmac_f32_e32 v15, v1, v16
	v_fma_f32 v16, v0, v16, -v8
	s_delay_alu instid0(VALU_DEP_4) | instskip(NEXT) | instid1(VALU_DEP_4)
	v_fmac_f32_e32 v17, v3, v18
	;; [unrolled: 11-line block ×4, first 2 shown]
	v_fma_f32 v26, v2, v26, -v9
	s_clause 0x1
	scratch_load_b128 v[0:3], off, off offset:120
	scratch_load_b128 v[8:11], off, off offset:136
	s_wait_loadcnt_dscnt 0x100
	v_mul_f32_e32 v27, v4, v1
	v_mul_f32_e32 v1, v5, v1
	;; [unrolled: 1-line block ×3, first 2 shown]
	s_delay_alu instid0(VALU_DEP_3) | instskip(NEXT) | instid1(VALU_DEP_3)
	v_fmac_f32_e32 v27, v5, v0
	v_fma_f32 v152, v4, v0, -v1
	v_mul_f32_e32 v0, v7, v3
	s_delay_alu instid0(VALU_DEP_4) | instskip(NEXT) | instid1(VALU_DEP_2)
	v_fmac_f32_e32 v153, v7, v2
	v_fma_f32 v154, v6, v2, -v0
	ds_load_2addr_b64 v[0:3], v140 offset0:71 offset1:72
	ds_load_2addr_b64 v[4:7], v140 offset0:73 offset1:74
	s_wait_loadcnt_dscnt 0x1
	v_mul_f32_e32 v155, v0, v9
	v_mul_f32_e32 v157, v2, v11
	s_delay_alu instid0(VALU_DEP_2) | instskip(SKIP_1) | instid1(VALU_DEP_1)
	v_fmac_f32_e32 v155, v1, v8
	v_mul_f32_e32 v1, v1, v9
	v_fma_f32 v156, v0, v8, -v1
	v_mul_f32_e32 v0, v3, v11
	v_fmac_f32_e32 v157, v3, v10
	s_delay_alu instid0(VALU_DEP_2)
	v_fma_f32 v158, v2, v10, -v0
	s_clause 0x1
	scratch_load_b128 v[0:3], off, off offset:152
	scratch_load_b128 v[8:11], off, off offset:168
	s_wait_loadcnt_dscnt 0x100
	v_mul_f32_e32 v159, v4, v1
	v_mul_f32_e32 v1, v5, v1
	s_delay_alu instid0(VALU_DEP_2) | instskip(NEXT) | instid1(VALU_DEP_2)
	v_fmac_f32_e32 v159, v5, v0
	v_fma_f32 v160, v4, v0, -v1
	v_mul_f32_e32 v161, v6, v3
	v_mul_f32_e32 v0, v7, v3
	s_delay_alu instid0(VALU_DEP_2) | instskip(NEXT) | instid1(VALU_DEP_2)
	v_fmac_f32_e32 v161, v7, v2
	v_fma_f32 v162, v6, v2, -v0
	ds_load_2addr_b64 v[0:3], v140 offset0:75 offset1:76
	ds_load_2addr_b64 v[4:7], v140 offset0:77 offset1:78
	s_wait_loadcnt_dscnt 0x1
	v_mul_f32_e32 v163, v0, v9
	v_mul_f32_e32 v165, v2, v11
	s_delay_alu instid0(VALU_DEP_2) | instskip(SKIP_1) | instid1(VALU_DEP_3)
	v_fmac_f32_e32 v163, v1, v8
	v_mul_f32_e32 v1, v1, v9
	v_fmac_f32_e32 v165, v3, v10
	s_delay_alu instid0(VALU_DEP_2) | instskip(SKIP_1) | instid1(VALU_DEP_1)
	v_fma_f32 v164, v0, v8, -v1
	v_mul_f32_e32 v0, v3, v11
	v_fma_f32 v166, v2, v10, -v0
	s_clause 0x1
	scratch_load_b128 v[0:3], off, off offset:184
	scratch_load_b128 v[8:11], off, off offset:200
	s_wait_loadcnt_dscnt 0x100
	v_mul_f32_e32 v167, v4, v1
	v_mul_f32_e32 v1, v5, v1
	v_mul_f32_e32 v169, v6, v3
	s_delay_alu instid0(VALU_DEP_3) | instskip(NEXT) | instid1(VALU_DEP_3)
	v_fmac_f32_e32 v167, v5, v0
	v_fma_f32 v168, v4, v0, -v1
	v_mul_f32_e32 v0, v7, v3
	s_delay_alu instid0(VALU_DEP_4) | instskip(NEXT) | instid1(VALU_DEP_2)
	v_fmac_f32_e32 v169, v7, v2
	v_fma_f32 v170, v6, v2, -v0
	ds_load_2addr_b64 v[0:3], v140 offset0:79 offset1:80
	ds_load_2addr_b64 v[4:7], v140 offset0:81 offset1:82
	s_wait_loadcnt_dscnt 0x1
	v_mul_f32_e32 v171, v0, v9
	v_mul_f32_e32 v173, v2, v11
	s_delay_alu instid0(VALU_DEP_2) | instskip(SKIP_1) | instid1(VALU_DEP_3)
	v_fmac_f32_e32 v171, v1, v8
	v_mul_f32_e32 v1, v1, v9
	v_fmac_f32_e32 v173, v3, v10
	s_delay_alu instid0(VALU_DEP_2) | instskip(SKIP_1) | instid1(VALU_DEP_1)
	v_fma_f32 v172, v0, v8, -v1
	v_mul_f32_e32 v0, v3, v11
	v_fma_f32 v174, v2, v10, -v0
	s_clause 0x1
	scratch_load_b128 v[0:3], off, off offset:216
	scratch_load_b128 v[8:11], off, off offset:232
	s_wait_loadcnt_dscnt 0x100
	v_mul_f32_e32 v175, v4, v1
	v_mul_f32_e32 v1, v5, v1
	v_mul_f32_e32 v177, v6, v3
	s_delay_alu instid0(VALU_DEP_3) | instskip(NEXT) | instid1(VALU_DEP_3)
	v_fmac_f32_e32 v175, v5, v0
	v_fma_f32 v176, v4, v0, -v1
	v_mul_f32_e32 v0, v7, v3
	s_delay_alu instid0(VALU_DEP_4) | instskip(NEXT) | instid1(VALU_DEP_2)
	;; [unrolled: 27-line block ×5, first 2 shown]
	v_fmac_f32_e32 v201, v7, v2
	v_fma_f32 v202, v6, v2, -v0
	ds_load_2addr_b64 v[0:3], v140 offset0:95 offset1:96
	ds_load_2addr_b64 v[4:7], v140 offset0:97 offset1:98
	s_wait_loadcnt_dscnt 0x1
	v_mul_f32_e32 v203, v0, v9
	v_mul_f32_e32 v205, v2, v11
	s_delay_alu instid0(VALU_DEP_2) | instskip(SKIP_1) | instid1(VALU_DEP_3)
	v_fmac_f32_e32 v203, v1, v8
	v_mul_f32_e32 v1, v1, v9
	v_fmac_f32_e32 v205, v3, v10
	s_delay_alu instid0(VALU_DEP_2) | instskip(SKIP_1) | instid1(VALU_DEP_1)
	v_fma_f32 v204, v0, v8, -v1
	v_mul_f32_e32 v0, v3, v11
	v_fma_f32 v206, v2, v10, -v0
	s_clause 0x1
	scratch_load_b128 v[0:3], off, off offset:344
	scratch_load_b128 v[8:11], off, off offset:360
	s_wait_loadcnt_dscnt 0x100
	v_mul_f32_e32 v207, v4, v1
	v_mul_f32_e32 v1, v5, v1
	;; [unrolled: 1-line block ×3, first 2 shown]
	s_delay_alu instid0(VALU_DEP_3) | instskip(NEXT) | instid1(VALU_DEP_3)
	v_fmac_f32_e32 v207, v5, v0
	v_fma_f32 v208, v4, v0, -v1
	v_mul_f32_e32 v0, v7, v3
	v_add_f32_e32 v1, 0, v147
	v_fmac_f32_e32 v209, v7, v2
	s_delay_alu instid0(VALU_DEP_3) | instskip(SKIP_1) | instid1(VALU_DEP_1)
	v_fma_f32 v210, v6, v2, -v0
	v_add_f32_e32 v0, 0, v28
	v_dual_add_f32 v1, v1, v148 :: v_dual_add_f32 v0, v0, v29
	s_delay_alu instid0(VALU_DEP_1) | instskip(NEXT) | instid1(VALU_DEP_1)
	v_dual_add_f32 v1, v1, v30 :: v_dual_add_f32 v0, v0, v141
	v_dual_add_f32 v1, v1, v31 :: v_dual_add_f32 v0, v0, v142
	s_delay_alu instid0(VALU_DEP_1) | instskip(NEXT) | instid1(VALU_DEP_1)
	v_dual_add_f32 v1, v1, v144 :: v_dual_add_f32 v0, v0, v143
	;; [unrolled: 3-line block ×6, first 2 shown]
	v_add_f32_e32 v1, v1, v25
	scratch_load_b64 v[24:25], off, off offset:424
	v_dual_add_f32 v0, v0, v26 :: v_dual_add_f32 v1, v1, v27
	s_delay_alu instid0(VALU_DEP_1) | instskip(NEXT) | instid1(VALU_DEP_1)
	v_dual_add_f32 v0, v0, v152 :: v_dual_add_f32 v1, v1, v153
	v_dual_add_f32 v0, v0, v154 :: v_dual_add_f32 v1, v1, v155
	s_delay_alu instid0(VALU_DEP_1) | instskip(NEXT) | instid1(VALU_DEP_1)
	v_dual_add_f32 v0, v0, v156 :: v_dual_add_f32 v1, v1, v157
	v_dual_add_f32 v0, v0, v158 :: v_dual_add_f32 v1, v1, v159
	s_delay_alu instid0(VALU_DEP_1) | instskip(NEXT) | instid1(VALU_DEP_1)
	v_add_f32_e32 v0, v0, v160
	v_add_f32_e32 v0, v0, v162
	s_delay_alu instid0(VALU_DEP_1) | instskip(NEXT) | instid1(VALU_DEP_1)
	v_dual_add_f32 v0, v0, v164 :: v_dual_add_f32 v1, v1, v161
	v_dual_add_f32 v0, v0, v166 :: v_dual_add_f32 v1, v1, v163
	s_delay_alu instid0(VALU_DEP_1) | instskip(NEXT) | instid1(VALU_DEP_1)
	v_add_f32_e32 v0, v0, v168
	v_add_f32_e32 v0, v0, v170
	s_delay_alu instid0(VALU_DEP_1) | instskip(NEXT) | instid1(VALU_DEP_1)
	v_dual_add_f32 v0, v0, v172 :: v_dual_add_f32 v1, v1, v165
	v_dual_add_f32 v0, v0, v174 :: v_dual_add_f32 v1, v1, v167
	s_delay_alu instid0(VALU_DEP_1) | instskip(NEXT) | instid1(VALU_DEP_1)
	v_dual_add_f32 v0, v0, v176 :: v_dual_add_f32 v1, v1, v169
	v_dual_add_f32 v0, v0, v178 :: v_dual_add_f32 v1, v1, v171
	s_delay_alu instid0(VALU_DEP_1) | instskip(NEXT) | instid1(VALU_DEP_2)
	v_add_f32_e32 v5, v0, v180
	v_add_f32_e32 v1, v1, v173
	s_delay_alu instid0(VALU_DEP_2) | instskip(NEXT) | instid1(VALU_DEP_1)
	v_add_f32_e32 v5, v5, v182
	v_add_f32_e32 v12, v5, v184
	s_delay_alu instid0(VALU_DEP_1) | instskip(NEXT) | instid1(VALU_DEP_1)
	v_dual_add_f32 v12, v12, v186 :: v_dual_add_f32 v1, v1, v175
	v_add_f32_e32 v12, v12, v188
	s_delay_alu instid0(VALU_DEP_2) | instskip(SKIP_3) | instid1(VALU_DEP_2)
	v_add_f32_e32 v4, v1, v177
	ds_load_2addr_b64 v[0:3], v140 offset0:99 offset1:100
	v_add_f32_e32 v12, v12, v190
	v_add_f32_e32 v4, v4, v179
	v_add_f32_e32 v17, v12, v192
	s_delay_alu instid0(VALU_DEP_1) | instskip(NEXT) | instid1(VALU_DEP_1)
	v_dual_add_f32 v4, v4, v181 :: v_dual_add_f32 v17, v17, v194
	v_add_f32_e32 v13, v4, v183
	ds_load_2addr_b64 v[4:7], v140 offset0:101 offset1:102
	v_add_f32_e32 v17, v17, v196
	v_add_f32_e32 v13, v13, v185
	s_wait_loadcnt_dscnt 0x101
	v_mul_f32_e32 v28, v0, v9
	v_mul_f32_e32 v9, v1, v9
	;; [unrolled: 1-line block ×4, first 2 shown]
	v_add_f32_e32 v13, v13, v187
	v_fmac_f32_e32 v28, v1, v8
	v_fma_f32 v30, v0, v8, -v9
	v_fmac_f32_e32 v29, v3, v10
	v_fma_f32 v31, v2, v10, -v11
	s_clause 0x1
	scratch_load_b128 v[0:3], off, off offset:376
	scratch_load_b128 v[8:11], off, off offset:392
	v_add_f32_e32 v16, v13, v189
	scratch_load_b128 v[12:15], off, off offset:408
	v_dual_add_f32 v17, v17, v198 :: v_dual_add_f32 v16, v16, v191
	s_delay_alu instid0(VALU_DEP_1) | instskip(NEXT) | instid1(VALU_DEP_1)
	v_dual_add_f32 v17, v17, v200 :: v_dual_add_f32 v16, v16, v193
	v_add_f32_e32 v26, v17, v202
	s_delay_alu instid0(VALU_DEP_1) | instskip(NEXT) | instid1(VALU_DEP_1)
	v_dual_add_f32 v16, v16, v195 :: v_dual_add_f32 v141, v26, v204
	v_dual_add_f32 v16, v16, v197 :: v_dual_add_f32 v141, v141, v206
	s_delay_alu instid0(VALU_DEP_1)
	v_add_f32_e32 v20, v16, v199
	ds_load_2addr_b64 v[16:19], v140 offset0:103 offset1:104
	v_add_f32_e32 v141, v141, v208
	v_add_f32_e32 v27, v20, v201
	ds_load_2addr_b64 v[20:23], v140 offset0:105 offset1:106
	v_dual_add_f32 v141, v141, v210 :: v_dual_add_f32 v142, v27, v203
	ds_load_b64 v[26:27], v140 offset:856
	v_add_f32_e32 v30, v141, v30
	v_add_f32_e32 v142, v142, v205
	s_delay_alu instid0(VALU_DEP_1) | instskip(NEXT) | instid1(VALU_DEP_1)
	v_add_f32_e32 v142, v142, v207
	v_add_f32_e32 v142, v142, v209
	s_delay_alu instid0(VALU_DEP_1) | instskip(SKIP_3) | instid1(VALU_DEP_1)
	v_add_f32_e32 v28, v142, v28
	s_wait_loadcnt_dscnt 0x300
	v_mul_f32_e32 v142, v26, v25
	s_wait_loadcnt 0x2
	v_dual_fmac_f32 v142, v27, v24 :: v_dual_mul_f32 v143, v4, v1
	v_dual_mul_f32 v1, v5, v1 :: v_dual_mul_f32 v144, v6, v3
	v_mul_f32_e32 v3, v7, v3
	s_wait_loadcnt 0x1
	v_mul_f32_e32 v147, v16, v9
	v_fmac_f32_e32 v143, v5, v0
	v_fma_f32 v0, v4, v0, -v1
	v_dual_add_f32 v1, v30, v31 :: v_dual_add_f32 v4, v28, v29
	v_dual_mul_f32 v5, v17, v9 :: v_dual_fmac_f32 v144, v7, v2
	v_fma_f32 v2, v6, v2, -v3
	s_delay_alu instid0(VALU_DEP_3)
	v_dual_add_f32 v0, v1, v0 :: v_dual_add_f32 v1, v4, v143
	v_mul_f32_e32 v148, v18, v11
	v_mul_f32_e32 v3, v19, v11
	v_fmac_f32_e32 v147, v17, v8
	v_fma_f32 v4, v16, v8, -v5
	v_dual_add_f32 v0, v0, v2 :: v_dual_add_f32 v1, v1, v144
	s_wait_loadcnt 0x0
	v_mul_f32_e32 v149, v20, v13
	v_mul_f32_e32 v2, v21, v13
	v_fmac_f32_e32 v148, v19, v10
	v_fma_f32 v3, v18, v10, -v3
	v_dual_add_f32 v0, v0, v4 :: v_dual_add_f32 v1, v1, v147
	v_mul_f32_e32 v141, v22, v15
	v_dual_mul_f32 v4, v23, v15 :: v_dual_fmac_f32 v149, v21, v12
	v_fma_f32 v2, v20, v12, -v2
	s_delay_alu instid0(VALU_DEP_4) | instskip(SKIP_3) | instid1(VALU_DEP_4)
	v_dual_add_f32 v0, v0, v3 :: v_dual_add_f32 v1, v1, v148
	v_mul_f32_e32 v3, v27, v25
	v_fmac_f32_e32 v141, v23, v14
	v_fma_f32 v4, v22, v14, -v4
	v_dual_add_f32 v0, v0, v2 :: v_dual_add_f32 v1, v1, v149
	s_delay_alu instid0(VALU_DEP_4) | instskip(NEXT) | instid1(VALU_DEP_2)
	v_fma_f32 v2, v26, v24, -v3
	v_dual_add_f32 v0, v0, v4 :: v_dual_add_f32 v1, v1, v141
	s_delay_alu instid0(VALU_DEP_1) | instskip(NEXT) | instid1(VALU_DEP_2)
	v_add_f32_e32 v0, v0, v2
	v_add_f32_e32 v1, v1, v142
	s_delay_alu instid0(VALU_DEP_1)
	v_dual_sub_f32 v0, v145, v0 :: v_dual_sub_f32 v1, v146, v1
	scratch_store_b64 off, v[0:1], off
	s_wait_alu 0xfffe
	s_cbranch_vccz .LBB117_444
; %bb.338:
	global_load_b32 v0, v140, s[2:3] offset:208
	s_wait_loadcnt 0x0
	v_cmp_ne_u32_e32 vcc_lo, 53, v0
	s_cbranch_vccz .LBB117_340
; %bb.339:
	v_lshlrev_b32_e32 v0, 3, v0
	s_delay_alu instid0(VALU_DEP_1)
	v_mov_b32_e32 v4, v0
	scratch_load_b64 v[0:1], v4, off offset:-8
	scratch_load_b64 v[2:3], off, off offset:416
	s_wait_loadcnt 0x1
	scratch_store_b64 off, v[0:1], off offset:416
	s_wait_loadcnt 0x0
	scratch_store_b64 v4, v[2:3], off offset:-8
.LBB117_340:
	v_mov_b32_e32 v0, 0
	global_load_b32 v1, v0, s[2:3] offset:204
	s_wait_loadcnt 0x0
	v_cmp_eq_u32_e32 vcc_lo, 52, v1
	s_cbranch_vccnz .LBB117_342
; %bb.341:
	v_lshlrev_b32_e32 v1, 3, v1
	s_delay_alu instid0(VALU_DEP_1)
	v_mov_b32_e32 v5, v1
	scratch_load_b64 v[1:2], v5, off offset:-8
	scratch_load_b64 v[3:4], off, off offset:408
	s_wait_loadcnt 0x1
	scratch_store_b64 off, v[1:2], off offset:408
	s_wait_loadcnt 0x0
	scratch_store_b64 v5, v[3:4], off offset:-8
.LBB117_342:
	global_load_b32 v0, v0, s[2:3] offset:200
	s_wait_loadcnt 0x0
	v_cmp_eq_u32_e32 vcc_lo, 51, v0
	s_cbranch_vccnz .LBB117_344
; %bb.343:
	v_lshlrev_b32_e32 v0, 3, v0
	s_delay_alu instid0(VALU_DEP_1)
	v_mov_b32_e32 v4, v0
	scratch_load_b64 v[0:1], v4, off offset:-8
	scratch_load_b64 v[2:3], off, off offset:400
	s_wait_loadcnt 0x1
	scratch_store_b64 off, v[0:1], off offset:400
	s_wait_loadcnt 0x0
	scratch_store_b64 v4, v[2:3], off offset:-8
.LBB117_344:
	v_mov_b32_e32 v0, 0
	global_load_b32 v1, v0, s[2:3] offset:196
	s_wait_loadcnt 0x0
	v_cmp_eq_u32_e32 vcc_lo, 50, v1
	s_cbranch_vccnz .LBB117_346
; %bb.345:
	v_lshlrev_b32_e32 v1, 3, v1
	s_delay_alu instid0(VALU_DEP_1)
	v_mov_b32_e32 v5, v1
	scratch_load_b64 v[1:2], v5, off offset:-8
	scratch_load_b64 v[3:4], off, off offset:392
	s_wait_loadcnt 0x1
	scratch_store_b64 off, v[1:2], off offset:392
	s_wait_loadcnt 0x0
	scratch_store_b64 v5, v[3:4], off offset:-8
.LBB117_346:
	global_load_b32 v0, v0, s[2:3] offset:192
	s_wait_loadcnt 0x0
	v_cmp_eq_u32_e32 vcc_lo, 49, v0
	s_cbranch_vccnz .LBB117_348
; %bb.347:
	v_lshlrev_b32_e32 v0, 3, v0
	s_delay_alu instid0(VALU_DEP_1)
	v_mov_b32_e32 v4, v0
	scratch_load_b64 v[0:1], v4, off offset:-8
	scratch_load_b64 v[2:3], off, off offset:384
	s_wait_loadcnt 0x1
	scratch_store_b64 off, v[0:1], off offset:384
	s_wait_loadcnt 0x0
	scratch_store_b64 v4, v[2:3], off offset:-8
.LBB117_348:
	;; [unrolled: 31-line block ×25, first 2 shown]
	v_mov_b32_e32 v0, 0
	global_load_b32 v1, v0, s[2:3] offset:4
	s_wait_loadcnt 0x0
	v_cmp_eq_u32_e32 vcc_lo, 2, v1
	s_cbranch_vccnz .LBB117_442
; %bb.441:
	v_lshlrev_b32_e32 v1, 3, v1
	s_delay_alu instid0(VALU_DEP_1)
	v_mov_b32_e32 v5, v1
	scratch_load_b64 v[1:2], v5, off offset:-8
	scratch_load_b64 v[3:4], off, off offset:8
	s_wait_loadcnt 0x1
	scratch_store_b64 off, v[1:2], off offset:8
	s_wait_loadcnt 0x0
	scratch_store_b64 v5, v[3:4], off offset:-8
.LBB117_442:
	global_load_b32 v0, v0, s[2:3]
	s_wait_loadcnt 0x0
	v_cmp_eq_u32_e32 vcc_lo, 1, v0
	s_cbranch_vccnz .LBB117_444
; %bb.443:
	v_lshlrev_b32_e32 v0, 3, v0
	s_delay_alu instid0(VALU_DEP_1)
	v_mov_b32_e32 v4, v0
	scratch_load_b64 v[0:1], v4, off offset:-8
	scratch_load_b64 v[2:3], off, off
	s_wait_loadcnt 0x1
	scratch_store_b64 off, v[0:1], off
	s_wait_loadcnt 0x0
	scratch_store_b64 v4, v[2:3], off offset:-8
.LBB117_444:
	scratch_load_b64 v[0:1], off, off
	s_wait_loadcnt 0x0
	flat_store_b64 v[32:33], v[0:1]
	scratch_load_b64 v[0:1], off, off offset:8
	s_wait_loadcnt 0x0
	flat_store_b64 v[34:35], v[0:1]
	scratch_load_b64 v[0:1], off, off offset:16
	;; [unrolled: 3-line block ×53, first 2 shown]
	s_wait_loadcnt 0x0
	flat_store_b64 v[138:139], v[0:1]
	s_nop 0
	s_sendmsg sendmsg(MSG_DEALLOC_VGPRS)
	s_endpgm
	.section	.rodata,"a",@progbits
	.p2align	6, 0x0
	.amdhsa_kernel _ZN9rocsolver6v33100L18getri_kernel_smallILi54E19rocblas_complex_numIfEPKPS3_EEvT1_iilPiilS8_bb
		.amdhsa_group_segment_fixed_size 868
		.amdhsa_private_segment_fixed_size 448
		.amdhsa_kernarg_size 60
		.amdhsa_user_sgpr_count 2
		.amdhsa_user_sgpr_dispatch_ptr 0
		.amdhsa_user_sgpr_queue_ptr 0
		.amdhsa_user_sgpr_kernarg_segment_ptr 1
		.amdhsa_user_sgpr_dispatch_id 0
		.amdhsa_user_sgpr_private_segment_size 0
		.amdhsa_wavefront_size32 1
		.amdhsa_uses_dynamic_stack 0
		.amdhsa_enable_private_segment 1
		.amdhsa_system_sgpr_workgroup_id_x 1
		.amdhsa_system_sgpr_workgroup_id_y 0
		.amdhsa_system_sgpr_workgroup_id_z 0
		.amdhsa_system_sgpr_workgroup_info 0
		.amdhsa_system_vgpr_workitem_id 0
		.amdhsa_next_free_vgpr 252
		.amdhsa_next_free_sgpr 19
		.amdhsa_reserve_vcc 1
		.amdhsa_float_round_mode_32 0
		.amdhsa_float_round_mode_16_64 0
		.amdhsa_float_denorm_mode_32 3
		.amdhsa_float_denorm_mode_16_64 3
		.amdhsa_fp16_overflow 0
		.amdhsa_workgroup_processor_mode 1
		.amdhsa_memory_ordered 1
		.amdhsa_forward_progress 1
		.amdhsa_inst_pref_size 255
		.amdhsa_round_robin_scheduling 0
		.amdhsa_exception_fp_ieee_invalid_op 0
		.amdhsa_exception_fp_denorm_src 0
		.amdhsa_exception_fp_ieee_div_zero 0
		.amdhsa_exception_fp_ieee_overflow 0
		.amdhsa_exception_fp_ieee_underflow 0
		.amdhsa_exception_fp_ieee_inexact 0
		.amdhsa_exception_int_div_zero 0
	.end_amdhsa_kernel
	.section	.text._ZN9rocsolver6v33100L18getri_kernel_smallILi54E19rocblas_complex_numIfEPKPS3_EEvT1_iilPiilS8_bb,"axG",@progbits,_ZN9rocsolver6v33100L18getri_kernel_smallILi54E19rocblas_complex_numIfEPKPS3_EEvT1_iilPiilS8_bb,comdat
.Lfunc_end117:
	.size	_ZN9rocsolver6v33100L18getri_kernel_smallILi54E19rocblas_complex_numIfEPKPS3_EEvT1_iilPiilS8_bb, .Lfunc_end117-_ZN9rocsolver6v33100L18getri_kernel_smallILi54E19rocblas_complex_numIfEPKPS3_EEvT1_iilPiilS8_bb
                                        ; -- End function
	.set _ZN9rocsolver6v33100L18getri_kernel_smallILi54E19rocblas_complex_numIfEPKPS3_EEvT1_iilPiilS8_bb.num_vgpr, 252
	.set _ZN9rocsolver6v33100L18getri_kernel_smallILi54E19rocblas_complex_numIfEPKPS3_EEvT1_iilPiilS8_bb.num_agpr, 0
	.set _ZN9rocsolver6v33100L18getri_kernel_smallILi54E19rocblas_complex_numIfEPKPS3_EEvT1_iilPiilS8_bb.numbered_sgpr, 19
	.set _ZN9rocsolver6v33100L18getri_kernel_smallILi54E19rocblas_complex_numIfEPKPS3_EEvT1_iilPiilS8_bb.num_named_barrier, 0
	.set _ZN9rocsolver6v33100L18getri_kernel_smallILi54E19rocblas_complex_numIfEPKPS3_EEvT1_iilPiilS8_bb.private_seg_size, 448
	.set _ZN9rocsolver6v33100L18getri_kernel_smallILi54E19rocblas_complex_numIfEPKPS3_EEvT1_iilPiilS8_bb.uses_vcc, 1
	.set _ZN9rocsolver6v33100L18getri_kernel_smallILi54E19rocblas_complex_numIfEPKPS3_EEvT1_iilPiilS8_bb.uses_flat_scratch, 1
	.set _ZN9rocsolver6v33100L18getri_kernel_smallILi54E19rocblas_complex_numIfEPKPS3_EEvT1_iilPiilS8_bb.has_dyn_sized_stack, 0
	.set _ZN9rocsolver6v33100L18getri_kernel_smallILi54E19rocblas_complex_numIfEPKPS3_EEvT1_iilPiilS8_bb.has_recursion, 0
	.set _ZN9rocsolver6v33100L18getri_kernel_smallILi54E19rocblas_complex_numIfEPKPS3_EEvT1_iilPiilS8_bb.has_indirect_call, 0
	.section	.AMDGPU.csdata,"",@progbits
; Kernel info:
; codeLenInByte = 97852
; TotalNumSgprs: 21
; NumVgprs: 252
; ScratchSize: 448
; MemoryBound: 0
; FloatMode: 240
; IeeeMode: 1
; LDSByteSize: 868 bytes/workgroup (compile time only)
; SGPRBlocks: 0
; VGPRBlocks: 31
; NumSGPRsForWavesPerEU: 21
; NumVGPRsForWavesPerEU: 252
; Occupancy: 5
; WaveLimiterHint : 1
; COMPUTE_PGM_RSRC2:SCRATCH_EN: 1
; COMPUTE_PGM_RSRC2:USER_SGPR: 2
; COMPUTE_PGM_RSRC2:TRAP_HANDLER: 0
; COMPUTE_PGM_RSRC2:TGID_X_EN: 1
; COMPUTE_PGM_RSRC2:TGID_Y_EN: 0
; COMPUTE_PGM_RSRC2:TGID_Z_EN: 0
; COMPUTE_PGM_RSRC2:TIDIG_COMP_CNT: 0
	.section	.text._ZN9rocsolver6v33100L18getri_kernel_smallILi55E19rocblas_complex_numIfEPKPS3_EEvT1_iilPiilS8_bb,"axG",@progbits,_ZN9rocsolver6v33100L18getri_kernel_smallILi55E19rocblas_complex_numIfEPKPS3_EEvT1_iilPiilS8_bb,comdat
	.globl	_ZN9rocsolver6v33100L18getri_kernel_smallILi55E19rocblas_complex_numIfEPKPS3_EEvT1_iilPiilS8_bb ; -- Begin function _ZN9rocsolver6v33100L18getri_kernel_smallILi55E19rocblas_complex_numIfEPKPS3_EEvT1_iilPiilS8_bb
	.p2align	8
	.type	_ZN9rocsolver6v33100L18getri_kernel_smallILi55E19rocblas_complex_numIfEPKPS3_EEvT1_iilPiilS8_bb,@function
_ZN9rocsolver6v33100L18getri_kernel_smallILi55E19rocblas_complex_numIfEPKPS3_EEvT1_iilPiilS8_bb: ; @_ZN9rocsolver6v33100L18getri_kernel_smallILi55E19rocblas_complex_numIfEPKPS3_EEvT1_iilPiilS8_bb
; %bb.0:
	s_mov_b32 s2, exec_lo
	v_cmpx_gt_u32_e32 55, v0
	s_cbranch_execz .LBB118_234
; %bb.1:
	s_clause 0x1
	s_load_b32 s13, s[0:1], 0x38
	s_load_b64 s[2:3], s[0:1], 0x0
	s_mov_b32 s8, ttmp9
	s_load_b128 s[4:7], s[0:1], 0x28
	s_wait_kmcnt 0x0
	s_bitcmp1_b32 s13, 8
	s_cselect_b32 s12, -1, 0
	s_ashr_i32 s9, ttmp9, 31
	s_delay_alu instid0(SALU_CYCLE_1) | instskip(NEXT) | instid1(SALU_CYCLE_1)
	s_lshl_b64 s[10:11], s[8:9], 3
	s_add_nc_u64 s[2:3], s[2:3], s[10:11]
	s_load_b64 s[10:11], s[2:3], 0x0
	s_bfe_u32 s2, s13, 0x10008
	s_delay_alu instid0(SALU_CYCLE_1)
	s_cmp_eq_u32 s2, 0
                                        ; implicit-def: $sgpr2_sgpr3
	s_cbranch_scc1 .LBB118_3
; %bb.2:
	s_load_b96 s[16:18], s[0:1], 0x18
	s_mul_u64 s[2:3], s[4:5], s[8:9]
	s_delay_alu instid0(SALU_CYCLE_1)
	s_lshl_b64 s[2:3], s[2:3], 2
	s_wait_kmcnt 0x0
	s_ashr_i32 s5, s18, 31
	s_mov_b32 s4, s18
	s_add_nc_u64 s[2:3], s[16:17], s[2:3]
	s_lshl_b64 s[4:5], s[4:5], 2
	s_delay_alu instid0(SALU_CYCLE_1)
	s_add_nc_u64 s[2:3], s[2:3], s[4:5]
.LBB118_3:
	s_clause 0x1
	s_load_b64 s[4:5], s[0:1], 0x8
	s_load_b32 s13, s[0:1], 0x38
	v_lshlrev_b32_e32 v7, 3, v0
	s_wait_kmcnt 0x0
	s_ashr_i32 s1, s4, 31
	s_mov_b32 s0, s4
	v_add3_u32 v3, s5, s5, v0
	s_lshl_b64 s[0:1], s[0:1], 3
	s_delay_alu instid0(SALU_CYCLE_1)
	s_add_nc_u64 s[0:1], s[10:11], s[0:1]
	s_ashr_i32 s11, s5, 31
	v_add_co_u32 v25, s4, s0, v7
	s_wait_alu 0xf1ff
	v_add_co_ci_u32_e64 v26, null, s1, 0, s4
	s_mov_b32 s10, s5
	v_ashrrev_i32_e32 v4, 31, v3
	s_lshl_b64 s[10:11], s[10:11], 3
	flat_load_b64 v[1:2], v[25:26]
	v_add_co_u32 v27, vcc_lo, v25, s10
	s_delay_alu instid0(VALU_DEP_1) | instskip(SKIP_3) | instid1(VALU_DEP_2)
	v_add_co_ci_u32_e64 v28, null, s11, v26, vcc_lo
	v_lshlrev_b64_e32 v[4:5], 3, v[3:4]
	v_add_nc_u32_e32 v3, s5, v3
	s_bitcmp0_b32 s13, 0
	v_add_co_u32 v29, vcc_lo, s0, v4
	s_wait_alu 0xfffd
	s_delay_alu instid0(VALU_DEP_3) | instskip(SKIP_1) | instid1(VALU_DEP_1)
	v_add_co_ci_u32_e64 v30, null, s1, v5, vcc_lo
	v_ashrrev_i32_e32 v4, 31, v3
	v_lshlrev_b64_e32 v[4:5], 3, v[3:4]
	v_add_nc_u32_e32 v3, s5, v3
	s_delay_alu instid0(VALU_DEP_2) | instskip(SKIP_1) | instid1(VALU_DEP_3)
	v_add_co_u32 v31, vcc_lo, s0, v4
	s_wait_alu 0xfffd
	v_add_co_ci_u32_e64 v32, null, s1, v5, vcc_lo
	s_delay_alu instid0(VALU_DEP_3) | instskip(NEXT) | instid1(VALU_DEP_1)
	v_ashrrev_i32_e32 v4, 31, v3
	v_lshlrev_b64_e32 v[4:5], 3, v[3:4]
	v_add_nc_u32_e32 v3, s5, v3
	s_delay_alu instid0(VALU_DEP_2) | instskip(SKIP_1) | instid1(VALU_DEP_3)
	v_add_co_u32 v33, vcc_lo, s0, v4
	s_wait_alu 0xfffd
	v_add_co_ci_u32_e64 v34, null, s1, v5, vcc_lo
	s_delay_alu instid0(VALU_DEP_3) | instskip(NEXT) | instid1(VALU_DEP_1)
	;; [unrolled: 8-line block ×20, first 2 shown]
	v_ashrrev_i32_e32 v4, 31, v3
	v_lshlrev_b64_e32 v[4:5], 3, v[3:4]
	s_wait_loadcnt_dscnt 0x0
	scratch_store_b64 off, v[1:2], off
	flat_load_b64 v[1:2], v[27:28]
	v_add_nc_u32_e32 v3, s5, v3
	v_add_co_u32 v71, vcc_lo, s0, v4
	s_wait_alu 0xfffd
	v_add_co_ci_u32_e64 v72, null, s1, v5, vcc_lo
	s_delay_alu instid0(VALU_DEP_3) | instskip(NEXT) | instid1(VALU_DEP_1)
	v_ashrrev_i32_e32 v4, 31, v3
	v_lshlrev_b64_e32 v[4:5], 3, v[3:4]
	v_add_nc_u32_e32 v3, s5, v3
	s_delay_alu instid0(VALU_DEP_2) | instskip(SKIP_1) | instid1(VALU_DEP_3)
	v_add_co_u32 v73, vcc_lo, s0, v4
	s_wait_alu 0xfffd
	v_add_co_ci_u32_e64 v74, null, s1, v5, vcc_lo
	s_delay_alu instid0(VALU_DEP_3) | instskip(NEXT) | instid1(VALU_DEP_1)
	v_ashrrev_i32_e32 v4, 31, v3
	v_lshlrev_b64_e32 v[4:5], 3, v[3:4]
	v_add_nc_u32_e32 v3, s5, v3
	s_delay_alu instid0(VALU_DEP_2) | instskip(SKIP_1) | instid1(VALU_DEP_3)
	;; [unrolled: 8-line block ×20, first 2 shown]
	v_add_co_u32 v111, vcc_lo, s0, v4
	s_wait_alu 0xfffd
	v_add_co_ci_u32_e64 v112, null, s1, v5, vcc_lo
	s_delay_alu instid0(VALU_DEP_3) | instskip(NEXT) | instid1(VALU_DEP_1)
	v_ashrrev_i32_e32 v4, 31, v3
	v_lshlrev_b64_e32 v[4:5], 3, v[3:4]
	v_add_nc_u32_e32 v3, s5, v3
	s_delay_alu instid0(VALU_DEP_2)
	v_add_co_u32 v113, vcc_lo, s0, v4
	s_wait_loadcnt_dscnt 0x0
	scratch_store_b64 off, v[1:2], off offset:8
	flat_load_b64 v[1:2], v[29:30]
	s_wait_alu 0xfffd
	v_add_co_ci_u32_e64 v114, null, s1, v5, vcc_lo
	v_ashrrev_i32_e32 v4, 31, v3
	s_delay_alu instid0(VALU_DEP_1) | instskip(SKIP_1) | instid1(VALU_DEP_2)
	v_lshlrev_b64_e32 v[4:5], 3, v[3:4]
	v_add_nc_u32_e32 v3, s5, v3
	v_add_co_u32 v115, vcc_lo, s0, v4
	s_wait_alu 0xfffd
	s_delay_alu instid0(VALU_DEP_3) | instskip(NEXT) | instid1(VALU_DEP_3)
	v_add_co_ci_u32_e64 v116, null, s1, v5, vcc_lo
	v_ashrrev_i32_e32 v4, 31, v3
	s_delay_alu instid0(VALU_DEP_1) | instskip(SKIP_1) | instid1(VALU_DEP_2)
	v_lshlrev_b64_e32 v[4:5], 3, v[3:4]
	v_add_nc_u32_e32 v3, s5, v3
	v_add_co_u32 v117, vcc_lo, s0, v4
	s_wait_alu 0xfffd
	s_delay_alu instid0(VALU_DEP_3) | instskip(NEXT) | instid1(VALU_DEP_3)
	;; [unrolled: 8-line block ×9, first 2 shown]
	v_add_co_ci_u32_e64 v132, null, s1, v5, vcc_lo
	v_ashrrev_i32_e32 v4, 31, v3
	s_delay_alu instid0(VALU_DEP_1) | instskip(NEXT) | instid1(VALU_DEP_1)
	v_lshlrev_b64_e32 v[3:4], 3, v[3:4]
	v_add_co_u32 v133, vcc_lo, s0, v3
	s_wait_alu 0xfffd
	s_delay_alu instid0(VALU_DEP_2)
	v_add_co_ci_u32_e64 v134, null, s1, v4, vcc_lo
	s_mov_b32 s1, -1
	s_wait_loadcnt_dscnt 0x0
	scratch_store_b64 off, v[1:2], off offset:16
	flat_load_b64 v[1:2], v[31:32]
	s_wait_loadcnt_dscnt 0x0
	scratch_store_b64 off, v[1:2], off offset:24
	flat_load_b64 v[1:2], v[33:34]
	s_wait_loadcnt_dscnt 0x0
	scratch_store_b64 off, v[1:2], off offset:32
	flat_load_b64 v[1:2], v[35:36]
	s_wait_loadcnt_dscnt 0x0
	scratch_store_b64 off, v[1:2], off offset:40
	flat_load_b64 v[1:2], v[37:38]
	s_wait_loadcnt_dscnt 0x0
	scratch_store_b64 off, v[1:2], off offset:48
	flat_load_b64 v[1:2], v[39:40]
	s_wait_loadcnt_dscnt 0x0
	scratch_store_b64 off, v[1:2], off offset:56
	flat_load_b64 v[1:2], v[41:42]
	s_wait_loadcnt_dscnt 0x0
	scratch_store_b64 off, v[1:2], off offset:64
	flat_load_b64 v[1:2], v[43:44]
	s_wait_loadcnt_dscnt 0x0
	scratch_store_b64 off, v[1:2], off offset:72
	flat_load_b64 v[1:2], v[45:46]
	s_wait_loadcnt_dscnt 0x0
	scratch_store_b64 off, v[1:2], off offset:80
	flat_load_b64 v[1:2], v[47:48]
	s_wait_loadcnt_dscnt 0x0
	scratch_store_b64 off, v[1:2], off offset:88
	flat_load_b64 v[1:2], v[49:50]
	s_wait_loadcnt_dscnt 0x0
	scratch_store_b64 off, v[1:2], off offset:96
	flat_load_b64 v[1:2], v[51:52]
	s_wait_loadcnt_dscnt 0x0
	scratch_store_b64 off, v[1:2], off offset:104
	flat_load_b64 v[1:2], v[53:54]
	s_wait_loadcnt_dscnt 0x0
	scratch_store_b64 off, v[1:2], off offset:112
	flat_load_b64 v[1:2], v[55:56]
	s_wait_loadcnt_dscnt 0x0
	scratch_store_b64 off, v[1:2], off offset:120
	flat_load_b64 v[1:2], v[57:58]
	s_wait_loadcnt_dscnt 0x0
	scratch_store_b64 off, v[1:2], off offset:128
	flat_load_b64 v[1:2], v[59:60]
	s_wait_loadcnt_dscnt 0x0
	scratch_store_b64 off, v[1:2], off offset:136
	flat_load_b64 v[1:2], v[61:62]
	s_wait_loadcnt_dscnt 0x0
	scratch_store_b64 off, v[1:2], off offset:144
	flat_load_b64 v[1:2], v[63:64]
	s_wait_loadcnt_dscnt 0x0
	scratch_store_b64 off, v[1:2], off offset:152
	flat_load_b64 v[1:2], v[65:66]
	s_wait_loadcnt_dscnt 0x0
	scratch_store_b64 off, v[1:2], off offset:160
	flat_load_b64 v[1:2], v[67:68]
	s_wait_loadcnt_dscnt 0x0
	scratch_store_b64 off, v[1:2], off offset:168
	flat_load_b64 v[1:2], v[69:70]
	s_wait_loadcnt_dscnt 0x0
	scratch_store_b64 off, v[1:2], off offset:176
	flat_load_b64 v[1:2], v[71:72]
	s_wait_loadcnt_dscnt 0x0
	scratch_store_b64 off, v[1:2], off offset:184
	flat_load_b64 v[1:2], v[73:74]
	s_wait_loadcnt_dscnt 0x0
	scratch_store_b64 off, v[1:2], off offset:192
	flat_load_b64 v[1:2], v[75:76]
	s_wait_loadcnt_dscnt 0x0
	scratch_store_b64 off, v[1:2], off offset:200
	flat_load_b64 v[1:2], v[77:78]
	s_wait_loadcnt_dscnt 0x0
	scratch_store_b64 off, v[1:2], off offset:208
	flat_load_b64 v[1:2], v[79:80]
	s_wait_loadcnt_dscnt 0x0
	scratch_store_b64 off, v[1:2], off offset:216
	flat_load_b64 v[1:2], v[81:82]
	s_wait_loadcnt_dscnt 0x0
	scratch_store_b64 off, v[1:2], off offset:224
	flat_load_b64 v[1:2], v[83:84]
	s_wait_loadcnt_dscnt 0x0
	scratch_store_b64 off, v[1:2], off offset:232
	flat_load_b64 v[1:2], v[85:86]
	s_wait_loadcnt_dscnt 0x0
	scratch_store_b64 off, v[1:2], off offset:240
	flat_load_b64 v[1:2], v[87:88]
	s_wait_loadcnt_dscnt 0x0
	scratch_store_b64 off, v[1:2], off offset:248
	flat_load_b64 v[1:2], v[89:90]
	s_wait_loadcnt_dscnt 0x0
	scratch_store_b64 off, v[1:2], off offset:256
	flat_load_b64 v[1:2], v[91:92]
	s_wait_loadcnt_dscnt 0x0
	scratch_store_b64 off, v[1:2], off offset:264
	flat_load_b64 v[1:2], v[93:94]
	s_wait_loadcnt_dscnt 0x0
	scratch_store_b64 off, v[1:2], off offset:272
	flat_load_b64 v[1:2], v[95:96]
	s_wait_loadcnt_dscnt 0x0
	scratch_store_b64 off, v[1:2], off offset:280
	flat_load_b64 v[1:2], v[97:98]
	s_wait_loadcnt_dscnt 0x0
	scratch_store_b64 off, v[1:2], off offset:288
	flat_load_b64 v[1:2], v[99:100]
	s_wait_loadcnt_dscnt 0x0
	scratch_store_b64 off, v[1:2], off offset:296
	flat_load_b64 v[1:2], v[101:102]
	s_wait_loadcnt_dscnt 0x0
	scratch_store_b64 off, v[1:2], off offset:304
	flat_load_b64 v[1:2], v[103:104]
	s_wait_loadcnt_dscnt 0x0
	scratch_store_b64 off, v[1:2], off offset:312
	flat_load_b64 v[1:2], v[105:106]
	s_wait_loadcnt_dscnt 0x0
	scratch_store_b64 off, v[1:2], off offset:320
	flat_load_b64 v[1:2], v[107:108]
	s_wait_loadcnt_dscnt 0x0
	scratch_store_b64 off, v[1:2], off offset:328
	flat_load_b64 v[1:2], v[109:110]
	s_wait_loadcnt_dscnt 0x0
	scratch_store_b64 off, v[1:2], off offset:336
	flat_load_b64 v[1:2], v[111:112]
	s_wait_loadcnt_dscnt 0x0
	scratch_store_b64 off, v[1:2], off offset:344
	flat_load_b64 v[1:2], v[113:114]
	s_wait_loadcnt_dscnt 0x0
	scratch_store_b64 off, v[1:2], off offset:352
	flat_load_b64 v[1:2], v[115:116]
	s_wait_loadcnt_dscnt 0x0
	scratch_store_b64 off, v[1:2], off offset:360
	flat_load_b64 v[1:2], v[117:118]
	s_wait_loadcnt_dscnt 0x0
	scratch_store_b64 off, v[1:2], off offset:368
	flat_load_b64 v[1:2], v[119:120]
	s_wait_loadcnt_dscnt 0x0
	scratch_store_b64 off, v[1:2], off offset:376
	flat_load_b64 v[1:2], v[121:122]
	s_wait_loadcnt_dscnt 0x0
	scratch_store_b64 off, v[1:2], off offset:384
	flat_load_b64 v[1:2], v[123:124]
	s_wait_loadcnt_dscnt 0x0
	scratch_store_b64 off, v[1:2], off offset:392
	flat_load_b64 v[1:2], v[125:126]
	s_wait_loadcnt_dscnt 0x0
	scratch_store_b64 off, v[1:2], off offset:400
	flat_load_b64 v[1:2], v[127:128]
	s_wait_loadcnt_dscnt 0x0
	scratch_store_b64 off, v[1:2], off offset:408
	flat_load_b64 v[1:2], v[129:130]
	s_wait_loadcnt_dscnt 0x0
	scratch_store_b64 off, v[1:2], off offset:416
	flat_load_b64 v[1:2], v[131:132]
	s_wait_loadcnt_dscnt 0x0
	scratch_store_b64 off, v[1:2], off offset:424
	flat_load_b64 v[1:2], v[133:134]
	s_wait_loadcnt_dscnt 0x0
	scratch_store_b64 off, v[1:2], off offset:432
	s_cbranch_scc1 .LBB118_232
; %bb.4:
	v_cmp_eq_u32_e64 s0, 0, v0
	s_and_saveexec_b32 s1, s0
; %bb.5:
	v_mov_b32_e32 v1, 0
	ds_store_b32 v1, v1 offset:440
; %bb.6:
	s_wait_alu 0xfffe
	s_or_b32 exec_lo, exec_lo, s1
	s_wait_storecnt_dscnt 0x0
	s_barrier_signal -1
	s_barrier_wait -1
	global_inv scope:SCOPE_SE
	scratch_load_b64 v[1:2], v7, off
	s_wait_loadcnt 0x0
	v_cmp_eq_f32_e32 vcc_lo, 0, v1
	v_cmp_eq_f32_e64 s1, 0, v2
	s_and_b32 s1, vcc_lo, s1
	s_wait_alu 0xfffe
	s_and_saveexec_b32 s4, s1
	s_cbranch_execz .LBB118_10
; %bb.7:
	v_mov_b32_e32 v1, 0
	s_mov_b32 s5, 0
	ds_load_b32 v2, v1 offset:440
	s_wait_dscnt 0x0
	v_readfirstlane_b32 s1, v2
	v_add_nc_u32_e32 v2, 1, v0
	s_cmp_eq_u32 s1, 0
	s_delay_alu instid0(VALU_DEP_1)
	v_cmp_gt_i32_e32 vcc_lo, s1, v2
	s_cselect_b32 s10, -1, 0
	s_wait_alu 0xfffe
	s_or_b32 s10, s10, vcc_lo
	s_wait_alu 0xfffe
	s_and_b32 exec_lo, exec_lo, s10
	s_cbranch_execz .LBB118_10
; %bb.8:
	v_mov_b32_e32 v3, s1
.LBB118_9:                              ; =>This Inner Loop Header: Depth=1
	ds_cmpstore_rtn_b32 v3, v1, v2, v3 offset:440
	s_wait_dscnt 0x0
	v_cmp_ne_u32_e32 vcc_lo, 0, v3
	v_cmp_le_i32_e64 s1, v3, v2
	s_and_b32 s1, vcc_lo, s1
	s_wait_alu 0xfffe
	s_and_b32 s1, exec_lo, s1
	s_wait_alu 0xfffe
	s_or_b32 s5, s1, s5
	s_wait_alu 0xfffe
	s_and_not1_b32 exec_lo, exec_lo, s5
	s_cbranch_execnz .LBB118_9
.LBB118_10:
	s_wait_alu 0xfffe
	s_or_b32 exec_lo, exec_lo, s4
	v_mov_b32_e32 v1, 0
	s_barrier_signal -1
	s_barrier_wait -1
	global_inv scope:SCOPE_SE
	ds_load_b32 v2, v1 offset:440
	s_and_saveexec_b32 s1, s0
	s_cbranch_execz .LBB118_12
; %bb.11:
	s_lshl_b64 s[4:5], s[8:9], 2
	s_wait_alu 0xfffe
	s_add_nc_u64 s[4:5], s[6:7], s[4:5]
	s_wait_dscnt 0x0
	global_store_b32 v1, v2, s[4:5]
.LBB118_12:
	s_wait_alu 0xfffe
	s_or_b32 exec_lo, exec_lo, s1
	s_wait_dscnt 0x0
	v_cmp_ne_u32_e32 vcc_lo, 0, v2
	s_mov_b32 s1, 0
	s_cbranch_vccnz .LBB118_232
; %bb.13:
	v_mov_b32_e32 v8, v7
                                        ; implicit-def: $vgpr3
                                        ; implicit-def: $vgpr5
	scratch_load_b64 v[1:2], v8, off
	s_wait_loadcnt 0x0
	v_cmp_ngt_f32_e64 s1, |v1|, |v2|
	s_wait_alu 0xfffe
	s_and_saveexec_b32 s4, s1
	s_wait_alu 0xfffe
	s_xor_b32 s1, exec_lo, s4
	s_cbranch_execz .LBB118_15
; %bb.14:
	v_div_scale_f32 v3, null, v2, v2, v1
	v_div_scale_f32 v6, vcc_lo, v1, v2, v1
	s_delay_alu instid0(VALU_DEP_2) | instskip(NEXT) | instid1(TRANS32_DEP_1)
	v_rcp_f32_e32 v4, v3
	v_fma_f32 v5, -v3, v4, 1.0
	s_delay_alu instid0(VALU_DEP_1) | instskip(NEXT) | instid1(VALU_DEP_1)
	v_fmac_f32_e32 v4, v5, v4
	v_mul_f32_e32 v5, v6, v4
	s_delay_alu instid0(VALU_DEP_1) | instskip(NEXT) | instid1(VALU_DEP_1)
	v_fma_f32 v9, -v3, v5, v6
	v_fmac_f32_e32 v5, v9, v4
	s_delay_alu instid0(VALU_DEP_1) | instskip(SKIP_1) | instid1(VALU_DEP_1)
	v_fma_f32 v3, -v3, v5, v6
	s_wait_alu 0xfffd
	v_div_fmas_f32 v3, v3, v4, v5
	s_delay_alu instid0(VALU_DEP_1) | instskip(NEXT) | instid1(VALU_DEP_1)
	v_div_fixup_f32 v3, v3, v2, v1
	v_fmac_f32_e32 v2, v1, v3
	s_delay_alu instid0(VALU_DEP_1) | instskip(NEXT) | instid1(VALU_DEP_1)
	v_div_scale_f32 v1, null, v2, v2, 1.0
	v_rcp_f32_e32 v4, v1
	s_delay_alu instid0(TRANS32_DEP_1) | instskip(NEXT) | instid1(VALU_DEP_1)
	v_fma_f32 v5, -v1, v4, 1.0
	v_fmac_f32_e32 v4, v5, v4
	v_div_scale_f32 v5, vcc_lo, 1.0, v2, 1.0
	s_delay_alu instid0(VALU_DEP_1) | instskip(NEXT) | instid1(VALU_DEP_1)
	v_mul_f32_e32 v6, v5, v4
	v_fma_f32 v9, -v1, v6, v5
	s_delay_alu instid0(VALU_DEP_1) | instskip(NEXT) | instid1(VALU_DEP_1)
	v_fmac_f32_e32 v6, v9, v4
	v_fma_f32 v1, -v1, v6, v5
	s_wait_alu 0xfffd
	s_delay_alu instid0(VALU_DEP_1) | instskip(NEXT) | instid1(VALU_DEP_1)
	v_div_fmas_f32 v1, v1, v4, v6
	v_div_fixup_f32 v1, v1, v2, 1.0
	s_delay_alu instid0(VALU_DEP_1) | instskip(SKIP_1) | instid1(VALU_DEP_2)
	v_mul_f32_e32 v3, v3, v1
	v_xor_b32_e32 v4, 0x80000000, v1
                                        ; implicit-def: $vgpr1_vgpr2
	v_xor_b32_e32 v5, 0x80000000, v3
.LBB118_15:
	s_wait_alu 0xfffe
	s_and_not1_saveexec_b32 s1, s1
	s_cbranch_execz .LBB118_17
; %bb.16:
	v_div_scale_f32 v3, null, v1, v1, v2
	v_div_scale_f32 v6, vcc_lo, v2, v1, v2
	s_delay_alu instid0(VALU_DEP_2) | instskip(NEXT) | instid1(TRANS32_DEP_1)
	v_rcp_f32_e32 v4, v3
	v_fma_f32 v5, -v3, v4, 1.0
	s_delay_alu instid0(VALU_DEP_1) | instskip(NEXT) | instid1(VALU_DEP_1)
	v_fmac_f32_e32 v4, v5, v4
	v_mul_f32_e32 v5, v6, v4
	s_delay_alu instid0(VALU_DEP_1) | instskip(NEXT) | instid1(VALU_DEP_1)
	v_fma_f32 v9, -v3, v5, v6
	v_fmac_f32_e32 v5, v9, v4
	s_delay_alu instid0(VALU_DEP_1) | instskip(SKIP_1) | instid1(VALU_DEP_1)
	v_fma_f32 v3, -v3, v5, v6
	s_wait_alu 0xfffd
	v_div_fmas_f32 v3, v3, v4, v5
	s_delay_alu instid0(VALU_DEP_1) | instskip(NEXT) | instid1(VALU_DEP_1)
	v_div_fixup_f32 v4, v3, v1, v2
	v_fmac_f32_e32 v1, v2, v4
	s_delay_alu instid0(VALU_DEP_1) | instskip(SKIP_1) | instid1(VALU_DEP_2)
	v_div_scale_f32 v2, null, v1, v1, 1.0
	v_div_scale_f32 v6, vcc_lo, 1.0, v1, 1.0
	v_rcp_f32_e32 v3, v2
	s_delay_alu instid0(TRANS32_DEP_1) | instskip(NEXT) | instid1(VALU_DEP_1)
	v_fma_f32 v5, -v2, v3, 1.0
	v_fmac_f32_e32 v3, v5, v3
	s_delay_alu instid0(VALU_DEP_1) | instskip(NEXT) | instid1(VALU_DEP_1)
	v_mul_f32_e32 v5, v6, v3
	v_fma_f32 v9, -v2, v5, v6
	s_delay_alu instid0(VALU_DEP_1) | instskip(NEXT) | instid1(VALU_DEP_1)
	v_fmac_f32_e32 v5, v9, v3
	v_fma_f32 v2, -v2, v5, v6
	s_wait_alu 0xfffd
	s_delay_alu instid0(VALU_DEP_1) | instskip(NEXT) | instid1(VALU_DEP_1)
	v_div_fmas_f32 v2, v2, v3, v5
	v_div_fixup_f32 v3, v2, v1, 1.0
	s_delay_alu instid0(VALU_DEP_1)
	v_xor_b32_e32 v5, 0x80000000, v3
	v_mul_f32_e64 v4, v4, -v3
.LBB118_17:
	s_wait_alu 0xfffe
	s_or_b32 exec_lo, exec_lo, s1
	scratch_store_b64 v8, v[3:4], off
	scratch_load_b64 v[2:3], off, off offset:8
	v_xor_b32_e32 v6, 0x80000000, v4
	v_add_nc_u32_e32 v1, 0x1c0, v7
	s_wait_loadcnt 0x0
	ds_store_2addr_b64 v7, v[5:6], v[2:3] offset1:56
	s_wait_storecnt_dscnt 0x0
	s_barrier_signal -1
	s_barrier_wait -1
	global_inv scope:SCOPE_SE
	s_and_saveexec_b32 s1, s0
	s_cbranch_execz .LBB118_19
; %bb.18:
	scratch_load_b64 v[2:3], v8, off
	ds_load_b64 v[4:5], v1
	v_mov_b32_e32 v6, 0
	ds_load_b64 v[9:10], v6 offset:8
	s_wait_loadcnt_dscnt 0x1
	v_mul_f32_e32 v6, v4, v3
	v_mul_f32_e32 v3, v5, v3
	s_delay_alu instid0(VALU_DEP_2) | instskip(NEXT) | instid1(VALU_DEP_2)
	v_fmac_f32_e32 v6, v5, v2
	v_fma_f32 v2, v4, v2, -v3
	s_delay_alu instid0(VALU_DEP_2) | instskip(NEXT) | instid1(VALU_DEP_2)
	v_add_f32_e32 v4, 0, v6
	v_add_f32_e32 v2, 0, v2
	s_wait_dscnt 0x0
	s_delay_alu instid0(VALU_DEP_2) | instskip(NEXT) | instid1(VALU_DEP_2)
	v_mul_f32_e32 v5, v4, v10
	v_mul_f32_e32 v3, v2, v10
	s_delay_alu instid0(VALU_DEP_2) | instskip(NEXT) | instid1(VALU_DEP_2)
	v_fma_f32 v2, v2, v9, -v5
	v_fmac_f32_e32 v3, v4, v9
	scratch_store_b64 off, v[2:3], off offset:8
.LBB118_19:
	s_wait_alu 0xfffe
	s_or_b32 exec_lo, exec_lo, s1
	s_wait_loadcnt 0x0
	s_wait_storecnt 0x0
	s_barrier_signal -1
	s_barrier_wait -1
	global_inv scope:SCOPE_SE
	scratch_load_b64 v[2:3], off, off offset:16
	s_mov_b32 s1, exec_lo
	s_wait_loadcnt 0x0
	ds_store_b64 v1, v[2:3]
	s_wait_dscnt 0x0
	s_barrier_signal -1
	s_barrier_wait -1
	global_inv scope:SCOPE_SE
	v_cmpx_gt_u32_e32 2, v0
	s_cbranch_execz .LBB118_23
; %bb.20:
	scratch_load_b64 v[2:3], v8, off
	ds_load_b64 v[4:5], v1
	s_wait_loadcnt_dscnt 0x0
	v_mul_f32_e32 v6, v5, v3
	v_mul_f32_e32 v9, v4, v3
	s_delay_alu instid0(VALU_DEP_2) | instskip(NEXT) | instid1(VALU_DEP_2)
	v_fma_f32 v3, v4, v2, -v6
	v_fmac_f32_e32 v9, v5, v2
	s_delay_alu instid0(VALU_DEP_1)
	v_dual_add_f32 v3, 0, v3 :: v_dual_add_f32 v2, 0, v9
	s_and_saveexec_b32 s4, s0
	s_cbranch_execz .LBB118_22
; %bb.21:
	scratch_load_b64 v[4:5], off, off offset:8
	v_mov_b32_e32 v6, 0
	ds_load_b64 v[9:10], v6 offset:456
	s_wait_loadcnt_dscnt 0x0
	v_mul_f32_e32 v6, v9, v5
	v_mul_f32_e32 v5, v10, v5
	s_delay_alu instid0(VALU_DEP_2) | instskip(NEXT) | instid1(VALU_DEP_2)
	v_fmac_f32_e32 v6, v10, v4
	v_fma_f32 v4, v9, v4, -v5
	s_delay_alu instid0(VALU_DEP_1)
	v_dual_add_f32 v2, v2, v6 :: v_dual_add_f32 v3, v3, v4
.LBB118_22:
	s_wait_alu 0xfffe
	s_or_b32 exec_lo, exec_lo, s4
	v_mov_b32_e32 v4, 0
	ds_load_b64 v[4:5], v4 offset:16
	s_wait_dscnt 0x0
	v_mul_f32_e32 v9, v2, v5
	v_mul_f32_e32 v6, v3, v5
	s_delay_alu instid0(VALU_DEP_2) | instskip(NEXT) | instid1(VALU_DEP_2)
	v_fma_f32 v5, v3, v4, -v9
	v_fmac_f32_e32 v6, v2, v4
	scratch_store_b64 off, v[5:6], off offset:16
.LBB118_23:
	s_wait_alu 0xfffe
	s_or_b32 exec_lo, exec_lo, s1
	s_wait_loadcnt 0x0
	s_wait_storecnt 0x0
	s_barrier_signal -1
	s_barrier_wait -1
	global_inv scope:SCOPE_SE
	scratch_load_b64 v[3:4], off, off offset:24
	v_add_nc_u32_e32 v2, -1, v0
	s_mov_b32 s0, exec_lo
	s_wait_loadcnt 0x0
	ds_store_b64 v1, v[3:4]
	s_wait_dscnt 0x0
	s_barrier_signal -1
	s_barrier_wait -1
	global_inv scope:SCOPE_SE
	v_cmpx_gt_u32_e32 3, v0
	s_cbranch_execz .LBB118_27
; %bb.24:
	v_dual_mov_b32 v3, 0 :: v_dual_add_nc_u32 v4, -1, v0
	v_dual_mov_b32 v6, v7 :: v_dual_add_nc_u32 v5, 0x1c0, v7
	v_mov_b32_e32 v9, 0
	s_mov_b32 s1, 0
.LBB118_25:                             ; =>This Inner Loop Header: Depth=1
	scratch_load_b64 v[10:11], v6, off
	ds_load_b64 v[12:13], v5
	v_add_nc_u32_e32 v4, 1, v4
	v_add_nc_u32_e32 v5, 8, v5
	s_delay_alu instid0(VALU_DEP_2)
	v_cmp_lt_u32_e32 vcc_lo, 1, v4
	s_wait_alu 0xfffe
	s_or_b32 s1, vcc_lo, s1
	s_wait_loadcnt_dscnt 0x0
	v_mul_f32_e32 v14, v13, v11
	v_mul_f32_e32 v11, v12, v11
	s_delay_alu instid0(VALU_DEP_2) | instskip(NEXT) | instid1(VALU_DEP_2)
	v_fma_f32 v12, v12, v10, -v14
	v_fmac_f32_e32 v11, v13, v10
	s_delay_alu instid0(VALU_DEP_2) | instskip(NEXT) | instid1(VALU_DEP_2)
	v_dual_add_f32 v9, v9, v12 :: v_dual_add_nc_u32 v6, 8, v6
	v_add_f32_e32 v3, v3, v11
	s_wait_alu 0xfffe
	s_and_not1_b32 exec_lo, exec_lo, s1
	s_cbranch_execnz .LBB118_25
; %bb.26:
	s_or_b32 exec_lo, exec_lo, s1
	v_mov_b32_e32 v4, 0
	ds_load_b64 v[4:5], v4 offset:24
	s_wait_dscnt 0x0
	v_mul_f32_e32 v10, v3, v5
	v_mul_f32_e32 v6, v9, v5
	s_delay_alu instid0(VALU_DEP_2) | instskip(NEXT) | instid1(VALU_DEP_2)
	v_fma_f32 v5, v9, v4, -v10
	v_fmac_f32_e32 v6, v3, v4
	scratch_store_b64 off, v[5:6], off offset:24
.LBB118_27:
	s_wait_alu 0xfffe
	s_or_b32 exec_lo, exec_lo, s0
	s_wait_loadcnt 0x0
	s_wait_storecnt 0x0
	s_barrier_signal -1
	s_barrier_wait -1
	global_inv scope:SCOPE_SE
	scratch_load_b64 v[3:4], off, off offset:32
	s_mov_b32 s0, exec_lo
	s_wait_loadcnt 0x0
	ds_store_b64 v1, v[3:4]
	s_wait_dscnt 0x0
	s_barrier_signal -1
	s_barrier_wait -1
	global_inv scope:SCOPE_SE
	v_cmpx_gt_u32_e32 4, v0
	s_cbranch_execz .LBB118_31
; %bb.28:
	v_dual_mov_b32 v3, 0 :: v_dual_add_nc_u32 v4, -1, v0
	v_dual_mov_b32 v6, v7 :: v_dual_add_nc_u32 v5, 0x1c0, v7
	v_mov_b32_e32 v9, 0
	s_mov_b32 s1, 0
.LBB118_29:                             ; =>This Inner Loop Header: Depth=1
	scratch_load_b64 v[10:11], v6, off
	ds_load_b64 v[12:13], v5
	v_add_nc_u32_e32 v4, 1, v4
	v_add_nc_u32_e32 v5, 8, v5
	s_delay_alu instid0(VALU_DEP_2)
	v_cmp_lt_u32_e32 vcc_lo, 2, v4
	s_wait_alu 0xfffe
	s_or_b32 s1, vcc_lo, s1
	s_wait_loadcnt_dscnt 0x0
	v_mul_f32_e32 v14, v13, v11
	v_mul_f32_e32 v11, v12, v11
	s_delay_alu instid0(VALU_DEP_2) | instskip(NEXT) | instid1(VALU_DEP_2)
	v_fma_f32 v12, v12, v10, -v14
	v_fmac_f32_e32 v11, v13, v10
	s_delay_alu instid0(VALU_DEP_2) | instskip(NEXT) | instid1(VALU_DEP_2)
	v_dual_add_f32 v9, v9, v12 :: v_dual_add_nc_u32 v6, 8, v6
	v_add_f32_e32 v3, v3, v11
	s_wait_alu 0xfffe
	s_and_not1_b32 exec_lo, exec_lo, s1
	s_cbranch_execnz .LBB118_29
; %bb.30:
	s_or_b32 exec_lo, exec_lo, s1
	v_mov_b32_e32 v4, 0
	ds_load_b64 v[4:5], v4 offset:32
	s_wait_dscnt 0x0
	v_mul_f32_e32 v10, v3, v5
	v_mul_f32_e32 v6, v9, v5
	s_delay_alu instid0(VALU_DEP_2) | instskip(NEXT) | instid1(VALU_DEP_2)
	v_fma_f32 v5, v9, v4, -v10
	v_fmac_f32_e32 v6, v3, v4
	scratch_store_b64 off, v[5:6], off offset:32
.LBB118_31:
	s_wait_alu 0xfffe
	s_or_b32 exec_lo, exec_lo, s0
	s_wait_loadcnt 0x0
	s_wait_storecnt 0x0
	s_barrier_signal -1
	s_barrier_wait -1
	global_inv scope:SCOPE_SE
	scratch_load_b64 v[3:4], off, off offset:40
	;; [unrolled: 55-line block ×19, first 2 shown]
	s_mov_b32 s0, exec_lo
	s_wait_loadcnt 0x0
	ds_store_b64 v1, v[3:4]
	s_wait_dscnt 0x0
	s_barrier_signal -1
	s_barrier_wait -1
	global_inv scope:SCOPE_SE
	v_cmpx_gt_u32_e32 22, v0
	s_cbranch_execz .LBB118_103
; %bb.100:
	v_dual_mov_b32 v3, 0 :: v_dual_add_nc_u32 v4, -1, v0
	v_dual_mov_b32 v6, v7 :: v_dual_add_nc_u32 v5, 0x1c0, v7
	v_mov_b32_e32 v9, 0
	s_mov_b32 s1, 0
.LBB118_101:                            ; =>This Inner Loop Header: Depth=1
	scratch_load_b64 v[10:11], v6, off
	ds_load_b64 v[12:13], v5
	v_add_nc_u32_e32 v4, 1, v4
	v_add_nc_u32_e32 v5, 8, v5
	s_delay_alu instid0(VALU_DEP_2)
	v_cmp_lt_u32_e32 vcc_lo, 20, v4
	s_wait_alu 0xfffe
	s_or_b32 s1, vcc_lo, s1
	s_wait_loadcnt_dscnt 0x0
	v_mul_f32_e32 v14, v13, v11
	v_mul_f32_e32 v11, v12, v11
	s_delay_alu instid0(VALU_DEP_2) | instskip(NEXT) | instid1(VALU_DEP_2)
	v_fma_f32 v12, v12, v10, -v14
	v_fmac_f32_e32 v11, v13, v10
	s_delay_alu instid0(VALU_DEP_2) | instskip(NEXT) | instid1(VALU_DEP_2)
	v_dual_add_f32 v9, v9, v12 :: v_dual_add_nc_u32 v6, 8, v6
	v_add_f32_e32 v3, v3, v11
	s_wait_alu 0xfffe
	s_and_not1_b32 exec_lo, exec_lo, s1
	s_cbranch_execnz .LBB118_101
; %bb.102:
	s_or_b32 exec_lo, exec_lo, s1
	v_mov_b32_e32 v4, 0
	ds_load_b64 v[4:5], v4 offset:176
	s_wait_dscnt 0x0
	v_mul_f32_e32 v10, v3, v5
	v_mul_f32_e32 v6, v9, v5
	s_delay_alu instid0(VALU_DEP_2) | instskip(NEXT) | instid1(VALU_DEP_2)
	v_fma_f32 v5, v9, v4, -v10
	v_fmac_f32_e32 v6, v3, v4
	scratch_store_b64 off, v[5:6], off offset:176
.LBB118_103:
	s_wait_alu 0xfffe
	s_or_b32 exec_lo, exec_lo, s0
	s_wait_loadcnt 0x0
	s_wait_storecnt 0x0
	s_barrier_signal -1
	s_barrier_wait -1
	global_inv scope:SCOPE_SE
	scratch_load_b64 v[3:4], off, off offset:184
	s_mov_b32 s0, exec_lo
	s_wait_loadcnt 0x0
	ds_store_b64 v1, v[3:4]
	s_wait_dscnt 0x0
	s_barrier_signal -1
	s_barrier_wait -1
	global_inv scope:SCOPE_SE
	v_cmpx_gt_u32_e32 23, v0
	s_cbranch_execz .LBB118_107
; %bb.104:
	v_dual_mov_b32 v3, 0 :: v_dual_add_nc_u32 v4, -1, v0
	v_dual_mov_b32 v6, v7 :: v_dual_add_nc_u32 v5, 0x1c0, v7
	v_mov_b32_e32 v9, 0
	s_mov_b32 s1, 0
.LBB118_105:                            ; =>This Inner Loop Header: Depth=1
	scratch_load_b64 v[10:11], v6, off
	ds_load_b64 v[12:13], v5
	v_add_nc_u32_e32 v4, 1, v4
	v_add_nc_u32_e32 v5, 8, v5
	s_delay_alu instid0(VALU_DEP_2)
	v_cmp_lt_u32_e32 vcc_lo, 21, v4
	s_wait_alu 0xfffe
	s_or_b32 s1, vcc_lo, s1
	s_wait_loadcnt_dscnt 0x0
	v_mul_f32_e32 v14, v13, v11
	v_mul_f32_e32 v11, v12, v11
	s_delay_alu instid0(VALU_DEP_2) | instskip(NEXT) | instid1(VALU_DEP_2)
	v_fma_f32 v12, v12, v10, -v14
	v_fmac_f32_e32 v11, v13, v10
	s_delay_alu instid0(VALU_DEP_2) | instskip(NEXT) | instid1(VALU_DEP_2)
	v_dual_add_f32 v9, v9, v12 :: v_dual_add_nc_u32 v6, 8, v6
	v_add_f32_e32 v3, v3, v11
	s_wait_alu 0xfffe
	s_and_not1_b32 exec_lo, exec_lo, s1
	s_cbranch_execnz .LBB118_105
; %bb.106:
	s_or_b32 exec_lo, exec_lo, s1
	v_mov_b32_e32 v4, 0
	ds_load_b64 v[4:5], v4 offset:184
	s_wait_dscnt 0x0
	v_mul_f32_e32 v10, v3, v5
	v_mul_f32_e32 v6, v9, v5
	s_delay_alu instid0(VALU_DEP_2) | instskip(NEXT) | instid1(VALU_DEP_2)
	v_fma_f32 v5, v9, v4, -v10
	v_fmac_f32_e32 v6, v3, v4
	scratch_store_b64 off, v[5:6], off offset:184
.LBB118_107:
	s_wait_alu 0xfffe
	s_or_b32 exec_lo, exec_lo, s0
	s_wait_loadcnt 0x0
	s_wait_storecnt 0x0
	s_barrier_signal -1
	s_barrier_wait -1
	global_inv scope:SCOPE_SE
	scratch_load_b64 v[3:4], off, off offset:192
	;; [unrolled: 55-line block ×31, first 2 shown]
	s_mov_b32 s0, exec_lo
	s_wait_loadcnt 0x0
	ds_store_b64 v1, v[3:4]
	s_wait_dscnt 0x0
	s_barrier_signal -1
	s_barrier_wait -1
	global_inv scope:SCOPE_SE
	v_cmpx_gt_u32_e32 53, v0
	s_cbranch_execz .LBB118_227
; %bb.224:
	v_dual_mov_b32 v3, 0 :: v_dual_add_nc_u32 v4, -1, v0
	v_dual_mov_b32 v6, v7 :: v_dual_add_nc_u32 v5, 0x1c0, v7
	v_mov_b32_e32 v7, 0
	s_mov_b32 s1, 0
.LBB118_225:                            ; =>This Inner Loop Header: Depth=1
	scratch_load_b64 v[9:10], v6, off
	ds_load_b64 v[11:12], v5
	v_add_nc_u32_e32 v6, 8, v6
	v_add_nc_u32_e32 v4, 1, v4
	;; [unrolled: 1-line block ×3, first 2 shown]
	s_delay_alu instid0(VALU_DEP_2)
	v_cmp_lt_u32_e32 vcc_lo, 51, v4
	s_wait_alu 0xfffe
	s_or_b32 s1, vcc_lo, s1
	s_wait_loadcnt_dscnt 0x0
	v_mul_f32_e32 v13, v12, v10
	v_mul_f32_e32 v10, v11, v10
	s_delay_alu instid0(VALU_DEP_2) | instskip(NEXT) | instid1(VALU_DEP_1)
	v_fma_f32 v11, v11, v9, -v13
	v_dual_fmac_f32 v10, v12, v9 :: v_dual_add_f32 v7, v7, v11
	s_delay_alu instid0(VALU_DEP_1)
	v_add_f32_e32 v3, v3, v10
	s_wait_alu 0xfffe
	s_and_not1_b32 exec_lo, exec_lo, s1
	s_cbranch_execnz .LBB118_225
; %bb.226:
	s_or_b32 exec_lo, exec_lo, s1
	v_mov_b32_e32 v4, 0
	ds_load_b64 v[4:5], v4 offset:424
	s_wait_dscnt 0x0
	v_mul_f32_e32 v9, v3, v5
	v_mul_f32_e32 v6, v7, v5
	s_delay_alu instid0(VALU_DEP_2) | instskip(NEXT) | instid1(VALU_DEP_2)
	v_fma_f32 v5, v7, v4, -v9
	v_fmac_f32_e32 v6, v3, v4
	scratch_store_b64 off, v[5:6], off offset:424
.LBB118_227:
	s_wait_alu 0xfffe
	s_or_b32 exec_lo, exec_lo, s0
	s_wait_loadcnt 0x0
	s_wait_storecnt 0x0
	s_barrier_signal -1
	s_barrier_wait -1
	global_inv scope:SCOPE_SE
	scratch_load_b64 v[3:4], off, off offset:432
	s_mov_b32 s0, exec_lo
	s_wait_loadcnt 0x0
	ds_store_b64 v1, v[3:4]
	s_wait_dscnt 0x0
	s_barrier_signal -1
	s_barrier_wait -1
	global_inv scope:SCOPE_SE
	v_cmpx_ne_u32_e32 54, v0
	s_cbranch_execz .LBB118_231
; %bb.228:
	v_dual_mov_b32 v3, 0 :: v_dual_mov_b32 v4, 0
	s_mov_b32 s1, 0
.LBB118_229:                            ; =>This Inner Loop Header: Depth=1
	scratch_load_b64 v[5:6], v8, off
	ds_load_b64 v[9:10], v1
	v_add_nc_u32_e32 v2, 1, v2
	v_add_nc_u32_e32 v1, 8, v1
	;; [unrolled: 1-line block ×3, first 2 shown]
	s_delay_alu instid0(VALU_DEP_3)
	v_cmp_lt_u32_e32 vcc_lo, 52, v2
	s_wait_alu 0xfffe
	s_or_b32 s1, vcc_lo, s1
	s_wait_loadcnt_dscnt 0x0
	v_mul_f32_e32 v7, v10, v6
	v_mul_f32_e32 v6, v9, v6
	s_delay_alu instid0(VALU_DEP_2) | instskip(NEXT) | instid1(VALU_DEP_2)
	v_fma_f32 v7, v9, v5, -v7
	v_fmac_f32_e32 v6, v10, v5
	s_delay_alu instid0(VALU_DEP_1)
	v_dual_add_f32 v4, v4, v7 :: v_dual_add_f32 v3, v3, v6
	s_wait_alu 0xfffe
	s_and_not1_b32 exec_lo, exec_lo, s1
	s_cbranch_execnz .LBB118_229
; %bb.230:
	s_or_b32 exec_lo, exec_lo, s1
	v_mov_b32_e32 v1, 0
	ds_load_b64 v[1:2], v1 offset:432
	s_wait_dscnt 0x0
	v_mul_f32_e32 v6, v3, v2
	v_mul_f32_e32 v5, v4, v2
	s_delay_alu instid0(VALU_DEP_2) | instskip(NEXT) | instid1(VALU_DEP_2)
	v_fma_f32 v4, v4, v1, -v6
	v_fmac_f32_e32 v5, v3, v1
	scratch_store_b64 off, v[4:5], off offset:432
.LBB118_231:
	s_wait_alu 0xfffe
	s_or_b32 exec_lo, exec_lo, s0
	s_mov_b32 s1, -1
	s_wait_loadcnt 0x0
	s_wait_storecnt 0x0
	s_barrier_signal -1
	s_barrier_wait -1
	global_inv scope:SCOPE_SE
.LBB118_232:
	s_wait_alu 0xfffe
	s_and_b32 vcc_lo, exec_lo, s1
	s_wait_alu 0xfffe
	s_cbranch_vccz .LBB118_234
; %bb.233:
	v_mov_b32_e32 v1, 0
	s_lshl_b64 s[0:1], s[8:9], 2
	s_wait_alu 0xfffe
	s_add_nc_u64 s[0:1], s[6:7], s[0:1]
	global_load_b32 v1, v1, s[0:1]
	s_wait_loadcnt 0x0
	v_cmp_ne_u32_e32 vcc_lo, 0, v1
	s_cbranch_vccz .LBB118_235
.LBB118_234:
	s_nop 0
	s_sendmsg sendmsg(MSG_DEALLOC_VGPRS)
	s_endpgm
.LBB118_235:
	v_lshl_add_u32 v137, v0, 3, 0x1c0
	s_mov_b32 s0, exec_lo
	v_cmpx_eq_u32_e32 54, v0
	s_cbranch_execz .LBB118_237
; %bb.236:
	scratch_load_b64 v[1:2], off, off offset:424
	v_mov_b32_e32 v3, 0
	s_delay_alu instid0(VALU_DEP_1)
	v_mov_b32_e32 v4, v3
	scratch_store_b64 off, v[3:4], off offset:424
	s_wait_loadcnt 0x0
	ds_store_b64 v137, v[1:2]
.LBB118_237:
	s_wait_alu 0xfffe
	s_or_b32 exec_lo, exec_lo, s0
	s_wait_storecnt_dscnt 0x0
	s_barrier_signal -1
	s_barrier_wait -1
	global_inv scope:SCOPE_SE
	s_clause 0x1
	scratch_load_b64 v[2:3], off, off offset:432
	scratch_load_b64 v[4:5], off, off offset:424
	v_mov_b32_e32 v1, 0
	s_mov_b32 s0, exec_lo
	ds_load_b64 v[6:7], v1 offset:880
	s_wait_loadcnt_dscnt 0x100
	v_mul_f32_e32 v8, v7, v3
	v_mul_f32_e32 v3, v6, v3
	s_delay_alu instid0(VALU_DEP_2) | instskip(NEXT) | instid1(VALU_DEP_2)
	v_fma_f32 v6, v6, v2, -v8
	v_fmac_f32_e32 v3, v7, v2
	s_delay_alu instid0(VALU_DEP_1) | instskip(SKIP_1) | instid1(VALU_DEP_1)
	v_dual_add_f32 v2, 0, v6 :: v_dual_add_f32 v3, 0, v3
	s_wait_loadcnt 0x0
	v_dual_sub_f32 v2, v4, v2 :: v_dual_sub_f32 v3, v5, v3
	scratch_store_b64 off, v[2:3], off offset:424
	v_cmpx_lt_u32_e32 52, v0
	s_cbranch_execz .LBB118_239
; %bb.238:
	scratch_load_b64 v[3:4], off, off offset:416
	v_mov_b32_e32 v2, v1
	scratch_store_b64 off, v[1:2], off offset:416
	s_wait_loadcnt 0x0
	ds_store_b64 v137, v[3:4]
.LBB118_239:
	s_wait_alu 0xfffe
	s_or_b32 exec_lo, exec_lo, s0
	s_wait_storecnt_dscnt 0x0
	s_barrier_signal -1
	s_barrier_wait -1
	global_inv scope:SCOPE_SE
	s_clause 0x1
	scratch_load_b128 v[2:5], off, off offset:424
	scratch_load_b64 v[10:11], off, off offset:416
	ds_load_2addr_b64 v[6:9], v1 offset0:109 offset1:110
	s_mov_b32 s0, exec_lo
	s_wait_loadcnt_dscnt 0x100
	v_dual_mul_f32 v1, v7, v3 :: v_dual_mul_f32 v12, v8, v5
	v_mul_f32_e32 v3, v6, v3
	s_delay_alu instid0(VALU_DEP_2) | instskip(NEXT) | instid1(VALU_DEP_2)
	v_fma_f32 v1, v6, v2, -v1
	v_dual_fmac_f32 v12, v9, v4 :: v_dual_fmac_f32 v3, v7, v2
	s_delay_alu instid0(VALU_DEP_2) | instskip(NEXT) | instid1(VALU_DEP_2)
	v_add_f32_e32 v1, 0, v1
	v_add_f32_e32 v3, 0, v3
	v_mul_f32_e32 v5, v9, v5
	s_delay_alu instid0(VALU_DEP_1) | instskip(NEXT) | instid1(VALU_DEP_1)
	v_fma_f32 v2, v8, v4, -v5
	v_dual_add_f32 v1, v1, v2 :: v_dual_add_f32 v2, v3, v12
	s_wait_loadcnt 0x0
	s_delay_alu instid0(VALU_DEP_1)
	v_dual_sub_f32 v1, v10, v1 :: v_dual_sub_f32 v2, v11, v2
	scratch_store_b64 off, v[1:2], off offset:416
	v_cmpx_lt_u32_e32 51, v0
	s_cbranch_execz .LBB118_241
; %bb.240:
	scratch_load_b64 v[1:2], off, off offset:408
	v_mov_b32_e32 v3, 0
	s_delay_alu instid0(VALU_DEP_1)
	v_mov_b32_e32 v4, v3
	scratch_store_b64 off, v[3:4], off offset:408
	s_wait_loadcnt 0x0
	ds_store_b64 v137, v[1:2]
.LBB118_241:
	s_wait_alu 0xfffe
	s_or_b32 exec_lo, exec_lo, s0
	s_wait_storecnt_dscnt 0x0
	s_barrier_signal -1
	s_barrier_wait -1
	global_inv scope:SCOPE_SE
	s_clause 0x2
	scratch_load_b128 v[2:5], off, off offset:416
	scratch_load_b64 v[10:11], off, off offset:432
	scratch_load_b64 v[12:13], off, off offset:408
	v_mov_b32_e32 v1, 0
	ds_load_b128 v[6:9], v1 offset:864
	ds_load_b64 v[14:15], v1 offset:880
	s_mov_b32 s0, exec_lo
	s_wait_loadcnt_dscnt 0x201
	v_dual_mul_f32 v16, v7, v3 :: v_dual_mul_f32 v17, v8, v5
	s_wait_loadcnt_dscnt 0x100
	v_mul_f32_e32 v18, v14, v11
	v_mul_f32_e32 v3, v6, v3
	;; [unrolled: 1-line block ×3, first 2 shown]
	v_fma_f32 v6, v6, v2, -v16
	s_delay_alu instid0(VALU_DEP_4) | instskip(NEXT) | instid1(VALU_DEP_4)
	v_fmac_f32_e32 v18, v15, v10
	v_fmac_f32_e32 v3, v7, v2
	v_mul_f32_e32 v2, v15, v11
	s_delay_alu instid0(VALU_DEP_1) | instskip(SKIP_3) | instid1(VALU_DEP_1)
	v_fma_f32 v2, v14, v10, -v2
	v_fmac_f32_e32 v17, v9, v4
	v_fma_f32 v4, v8, v4, -v5
	v_add_f32_e32 v5, 0, v6
	v_add_f32_e32 v4, v5, v4
	s_delay_alu instid0(VALU_DEP_1) | instskip(SKIP_1) | instid1(VALU_DEP_1)
	v_dual_add_f32 v2, v4, v2 :: v_dual_add_f32 v3, 0, v3
	s_wait_loadcnt 0x0
	v_dual_sub_f32 v2, v12, v2 :: v_dual_add_f32 v3, v3, v17
	s_delay_alu instid0(VALU_DEP_1) | instskip(NEXT) | instid1(VALU_DEP_1)
	v_add_f32_e32 v3, v3, v18
	v_sub_f32_e32 v3, v13, v3
	scratch_store_b64 off, v[2:3], off offset:408
	v_cmpx_lt_u32_e32 50, v0
	s_cbranch_execz .LBB118_243
; %bb.242:
	scratch_load_b64 v[3:4], off, off offset:400
	v_mov_b32_e32 v2, v1
	scratch_store_b64 off, v[1:2], off offset:400
	s_wait_loadcnt 0x0
	ds_store_b64 v137, v[3:4]
.LBB118_243:
	s_wait_alu 0xfffe
	s_or_b32 exec_lo, exec_lo, s0
	s_wait_storecnt_dscnt 0x0
	s_barrier_signal -1
	s_barrier_wait -1
	global_inv scope:SCOPE_SE
	s_clause 0x2
	scratch_load_b128 v[2:5], off, off offset:408
	scratch_load_b128 v[6:9], off, off offset:424
	scratch_load_b64 v[18:19], off, off offset:400
	ds_load_2addr_b64 v[10:13], v1 offset0:107 offset1:108
	ds_load_2addr_b64 v[14:17], v1 offset0:109 offset1:110
	s_mov_b32 s0, exec_lo
	s_wait_loadcnt_dscnt 0x201
	v_dual_mul_f32 v1, v10, v3 :: v_dual_mul_f32 v20, v12, v5
	s_wait_loadcnt_dscnt 0x100
	v_dual_mul_f32 v3, v11, v3 :: v_dual_mul_f32 v22, v16, v9
	v_mul_f32_e32 v5, v13, v5
	s_delay_alu instid0(VALU_DEP_3) | instskip(NEXT) | instid1(VALU_DEP_3)
	v_dual_mul_f32 v21, v14, v7 :: v_dual_fmac_f32 v20, v13, v4
	v_fma_f32 v3, v10, v2, -v3
	s_delay_alu instid0(VALU_DEP_4) | instskip(SKIP_2) | instid1(VALU_DEP_4)
	v_dual_fmac_f32 v1, v11, v2 :: v_dual_fmac_f32 v22, v17, v8
	v_mul_f32_e32 v2, v15, v7
	v_fma_f32 v4, v12, v4, -v5
	v_add_f32_e32 v3, 0, v3
	v_fmac_f32_e32 v21, v15, v6
	s_delay_alu instid0(VALU_DEP_4) | instskip(NEXT) | instid1(VALU_DEP_3)
	v_fma_f32 v2, v14, v6, -v2
	v_add_f32_e32 v3, v3, v4
	s_delay_alu instid0(VALU_DEP_1) | instskip(NEXT) | instid1(VALU_DEP_1)
	v_dual_add_f32 v1, 0, v1 :: v_dual_add_f32 v2, v3, v2
	v_add_f32_e32 v1, v1, v20
	s_delay_alu instid0(VALU_DEP_1) | instskip(NEXT) | instid1(VALU_DEP_1)
	v_add_f32_e32 v1, v1, v21
	v_add_f32_e32 v3, v1, v22
	v_mul_f32_e32 v5, v17, v9
	s_delay_alu instid0(VALU_DEP_1) | instskip(NEXT) | instid1(VALU_DEP_1)
	v_fma_f32 v4, v16, v8, -v5
	v_add_f32_e32 v2, v2, v4
	s_wait_loadcnt 0x0
	s_delay_alu instid0(VALU_DEP_1)
	v_dual_sub_f32 v1, v18, v2 :: v_dual_sub_f32 v2, v19, v3
	scratch_store_b64 off, v[1:2], off offset:400
	v_cmpx_lt_u32_e32 49, v0
	s_cbranch_execz .LBB118_245
; %bb.244:
	scratch_load_b64 v[1:2], off, off offset:392
	v_mov_b32_e32 v3, 0
	s_delay_alu instid0(VALU_DEP_1)
	v_mov_b32_e32 v4, v3
	scratch_store_b64 off, v[3:4], off offset:392
	s_wait_loadcnt 0x0
	ds_store_b64 v137, v[1:2]
.LBB118_245:
	s_wait_alu 0xfffe
	s_or_b32 exec_lo, exec_lo, s0
	s_wait_storecnt_dscnt 0x0
	s_barrier_signal -1
	s_barrier_wait -1
	global_inv scope:SCOPE_SE
	s_clause 0x3
	scratch_load_b128 v[2:5], off, off offset:400
	scratch_load_b128 v[6:9], off, off offset:416
	scratch_load_b64 v[18:19], off, off offset:432
	scratch_load_b64 v[20:21], off, off offset:392
	v_mov_b32_e32 v1, 0
	ds_load_b128 v[10:13], v1 offset:848
	ds_load_b128 v[14:17], v1 offset:864
	ds_load_b64 v[22:23], v1 offset:880
	s_mov_b32 s0, exec_lo
	s_wait_loadcnt_dscnt 0x302
	v_mul_f32_e32 v24, v10, v3
	s_wait_loadcnt_dscnt 0x201
	v_dual_mul_f32 v3, v11, v3 :: v_dual_mul_f32 v138, v16, v9
	v_dual_mul_f32 v135, v12, v5 :: v_dual_mul_f32 v136, v14, v7
	v_mul_f32_e32 v5, v13, v5
	s_delay_alu instid0(VALU_DEP_3)
	v_fma_f32 v3, v10, v2, -v3
	s_wait_loadcnt_dscnt 0x100
	v_dual_mul_f32 v139, v22, v19 :: v_dual_fmac_f32 v24, v11, v2
	v_dual_mul_f32 v2, v15, v7 :: v_dual_fmac_f32 v135, v13, v4
	v_fmac_f32_e32 v136, v15, v6
	v_fma_f32 v4, v12, v4, -v5
	v_dual_add_f32 v3, 0, v3 :: v_dual_fmac_f32 v138, v17, v8
	s_delay_alu instid0(VALU_DEP_4) | instskip(SKIP_1) | instid1(VALU_DEP_3)
	v_fma_f32 v2, v14, v6, -v2
	v_fmac_f32_e32 v139, v23, v18
	v_add_f32_e32 v3, v3, v4
	s_delay_alu instid0(VALU_DEP_1) | instskip(SKIP_1) | instid1(VALU_DEP_2)
	v_dual_add_f32 v5, 0, v24 :: v_dual_add_f32 v2, v3, v2
	v_mul_f32_e32 v7, v17, v9
	v_add_f32_e32 v4, v5, v135
	s_delay_alu instid0(VALU_DEP_2) | instskip(NEXT) | instid1(VALU_DEP_1)
	v_fma_f32 v6, v16, v8, -v7
	v_dual_add_f32 v3, v4, v136 :: v_dual_add_f32 v2, v2, v6
	v_mul_f32_e32 v5, v23, v19
	s_delay_alu instid0(VALU_DEP_2) | instskip(NEXT) | instid1(VALU_DEP_2)
	v_add_f32_e32 v3, v3, v138
	v_fma_f32 v4, v22, v18, -v5
	s_delay_alu instid0(VALU_DEP_1) | instskip(SKIP_1) | instid1(VALU_DEP_1)
	v_dual_add_f32 v2, v2, v4 :: v_dual_add_f32 v3, v3, v139
	s_wait_loadcnt 0x0
	v_dual_sub_f32 v2, v20, v2 :: v_dual_sub_f32 v3, v21, v3
	scratch_store_b64 off, v[2:3], off offset:392
	v_cmpx_lt_u32_e32 48, v0
	s_cbranch_execz .LBB118_247
; %bb.246:
	scratch_load_b64 v[3:4], off, off offset:384
	v_mov_b32_e32 v2, v1
	scratch_store_b64 off, v[1:2], off offset:384
	s_wait_loadcnt 0x0
	ds_store_b64 v137, v[3:4]
.LBB118_247:
	s_wait_alu 0xfffe
	s_or_b32 exec_lo, exec_lo, s0
	s_wait_storecnt_dscnt 0x0
	s_barrier_signal -1
	s_barrier_wait -1
	global_inv scope:SCOPE_SE
	s_clause 0x3
	scratch_load_b128 v[2:5], off, off offset:392
	scratch_load_b128 v[6:9], off, off offset:408
	;; [unrolled: 1-line block ×3, first 2 shown]
	scratch_load_b64 v[22:23], off, off offset:384
	ds_load_2addr_b64 v[14:17], v1 offset0:105 offset1:106
	ds_load_2addr_b64 v[18:21], v1 offset0:107 offset1:108
	;; [unrolled: 1-line block ×3, first 2 shown]
	s_mov_b32 s0, exec_lo
	s_wait_loadcnt_dscnt 0x302
	v_dual_mul_f32 v1, v14, v3 :: v_dual_mul_f32 v24, v16, v5
	v_mul_f32_e32 v3, v15, v3
	v_mul_f32_e32 v5, v17, v5
	s_wait_loadcnt_dscnt 0x201
	v_dual_mul_f32 v135, v18, v7 :: v_dual_mul_f32 v136, v20, v9
	v_fmac_f32_e32 v24, v17, v4
	v_fma_f32 v3, v14, v2, -v3
	s_wait_loadcnt_dscnt 0x100
	v_dual_mul_f32 v142, v138, v11 :: v_dual_mul_f32 v143, v140, v13
	v_dual_fmac_f32 v1, v15, v2 :: v_dual_fmac_f32 v136, v21, v8
	v_mul_f32_e32 v2, v19, v7
	v_fma_f32 v4, v16, v4, -v5
	s_delay_alu instid0(VALU_DEP_4) | instskip(NEXT) | instid1(VALU_DEP_4)
	v_dual_add_f32 v3, 0, v3 :: v_dual_fmac_f32 v142, v139, v10
	v_add_f32_e32 v1, 0, v1
	s_delay_alu instid0(VALU_DEP_4) | instskip(SKIP_1) | instid1(VALU_DEP_4)
	v_fma_f32 v2, v18, v6, -v2
	v_fmac_f32_e32 v143, v141, v12
	v_add_f32_e32 v3, v3, v4
	v_dual_mul_f32 v5, v21, v9 :: v_dual_mul_f32 v4, v139, v11
	s_delay_alu instid0(VALU_DEP_2) | instskip(NEXT) | instid1(VALU_DEP_2)
	v_add_f32_e32 v2, v3, v2
	v_fma_f32 v5, v20, v8, -v5
	v_fmac_f32_e32 v135, v19, v6
	s_delay_alu instid0(VALU_DEP_4) | instskip(NEXT) | instid1(VALU_DEP_3)
	v_fma_f32 v4, v138, v10, -v4
	v_add_f32_e32 v2, v2, v5
	s_delay_alu instid0(VALU_DEP_1) | instskip(NEXT) | instid1(VALU_DEP_1)
	v_dual_mul_f32 v3, v141, v13 :: v_dual_add_f32 v2, v2, v4
	v_fma_f32 v3, v140, v12, -v3
	s_delay_alu instid0(VALU_DEP_1) | instskip(NEXT) | instid1(VALU_DEP_1)
	v_dual_add_f32 v1, v1, v24 :: v_dual_add_f32 v2, v2, v3
	v_add_f32_e32 v1, v1, v135
	s_delay_alu instid0(VALU_DEP_1) | instskip(NEXT) | instid1(VALU_DEP_1)
	v_add_f32_e32 v1, v1, v136
	v_add_f32_e32 v1, v1, v142
	s_delay_alu instid0(VALU_DEP_1) | instskip(SKIP_1) | instid1(VALU_DEP_1)
	v_add_f32_e32 v3, v1, v143
	s_wait_loadcnt 0x0
	v_dual_sub_f32 v1, v22, v2 :: v_dual_sub_f32 v2, v23, v3
	scratch_store_b64 off, v[1:2], off offset:384
	v_cmpx_lt_u32_e32 47, v0
	s_cbranch_execz .LBB118_249
; %bb.248:
	scratch_load_b64 v[1:2], off, off offset:376
	v_mov_b32_e32 v3, 0
	s_delay_alu instid0(VALU_DEP_1)
	v_mov_b32_e32 v4, v3
	scratch_store_b64 off, v[3:4], off offset:376
	s_wait_loadcnt 0x0
	ds_store_b64 v137, v[1:2]
.LBB118_249:
	s_wait_alu 0xfffe
	s_or_b32 exec_lo, exec_lo, s0
	s_wait_storecnt_dscnt 0x0
	s_barrier_signal -1
	s_barrier_wait -1
	global_inv scope:SCOPE_SE
	s_clause 0x4
	scratch_load_b128 v[2:5], off, off offset:384
	scratch_load_b128 v[6:9], off, off offset:400
	;; [unrolled: 1-line block ×3, first 2 shown]
	scratch_load_b64 v[22:23], off, off offset:432
	scratch_load_b64 v[135:136], off, off offset:376
	v_mov_b32_e32 v1, 0
	ds_load_b128 v[14:17], v1 offset:832
	ds_load_b128 v[18:21], v1 offset:848
	;; [unrolled: 1-line block ×3, first 2 shown]
	ds_load_b64 v[142:143], v1 offset:880
	s_mov_b32 s0, exec_lo
	s_wait_loadcnt_dscnt 0x403
	v_mul_f32_e32 v24, v14, v3
	s_wait_loadcnt_dscnt 0x302
	v_dual_mul_f32 v146, v20, v9 :: v_dual_mul_f32 v3, v15, v3
	v_dual_mul_f32 v144, v16, v5 :: v_dual_mul_f32 v145, v18, v7
	v_mul_f32_e32 v5, v17, v5
	s_wait_loadcnt_dscnt 0x100
	v_dual_mul_f32 v149, v142, v23 :: v_dual_fmac_f32 v24, v15, v2
	v_fma_f32 v3, v14, v2, -v3
	v_mul_f32_e32 v2, v19, v7
	v_fmac_f32_e32 v144, v17, v4
	v_fma_f32 v4, v16, v4, -v5
	v_dual_mul_f32 v147, v138, v11 :: v_dual_mul_f32 v148, v140, v13
	v_add_f32_e32 v3, 0, v3
	v_fma_f32 v2, v18, v6, -v2
	s_delay_alu instid0(VALU_DEP_3) | instskip(NEXT) | instid1(VALU_DEP_4)
	v_dual_fmac_f32 v146, v21, v8 :: v_dual_fmac_f32 v147, v139, v10
	v_fmac_f32_e32 v148, v141, v12
	s_delay_alu instid0(VALU_DEP_4) | instskip(NEXT) | instid1(VALU_DEP_1)
	v_add_f32_e32 v3, v3, v4
	v_dual_add_f32 v5, 0, v24 :: v_dual_add_f32 v2, v3, v2
	v_mul_f32_e32 v7, v21, v9
	s_delay_alu instid0(VALU_DEP_2) | instskip(SKIP_1) | instid1(VALU_DEP_3)
	v_dual_fmac_f32 v145, v19, v6 :: v_dual_add_f32 v4, v5, v144
	v_mul_f32_e32 v5, v139, v11
	v_fma_f32 v6, v20, v8, -v7
	s_delay_alu instid0(VALU_DEP_3) | instskip(SKIP_1) | instid1(VALU_DEP_4)
	v_add_f32_e32 v3, v4, v145
	v_mul_f32_e32 v4, v141, v13
	v_fma_f32 v5, v138, v10, -v5
	s_delay_alu instid0(VALU_DEP_4) | instskip(SKIP_3) | instid1(VALU_DEP_4)
	v_add_f32_e32 v2, v2, v6
	v_mul_f32_e32 v6, v143, v23
	v_add_f32_e32 v3, v3, v146
	v_fma_f32 v4, v140, v12, -v4
	v_add_f32_e32 v2, v2, v5
	s_delay_alu instid0(VALU_DEP_4) | instskip(NEXT) | instid1(VALU_DEP_2)
	v_fma_f32 v5, v142, v22, -v6
	v_dual_add_f32 v3, v3, v147 :: v_dual_add_f32 v2, v2, v4
	v_fmac_f32_e32 v149, v143, v22
	s_delay_alu instid0(VALU_DEP_2) | instskip(NEXT) | instid1(VALU_DEP_1)
	v_dual_add_f32 v3, v3, v148 :: v_dual_add_f32 v2, v2, v5
	v_add_f32_e32 v3, v3, v149
	s_wait_loadcnt 0x0
	s_delay_alu instid0(VALU_DEP_1)
	v_dual_sub_f32 v2, v135, v2 :: v_dual_sub_f32 v3, v136, v3
	scratch_store_b64 off, v[2:3], off offset:376
	v_cmpx_lt_u32_e32 46, v0
	s_cbranch_execz .LBB118_251
; %bb.250:
	scratch_load_b64 v[3:4], off, off offset:368
	v_mov_b32_e32 v2, v1
	scratch_store_b64 off, v[1:2], off offset:368
	s_wait_loadcnt 0x0
	ds_store_b64 v137, v[3:4]
.LBB118_251:
	s_wait_alu 0xfffe
	s_or_b32 exec_lo, exec_lo, s0
	s_wait_storecnt_dscnt 0x0
	s_barrier_signal -1
	s_barrier_wait -1
	global_inv scope:SCOPE_SE
	s_clause 0x4
	scratch_load_b128 v[2:5], off, off offset:376
	scratch_load_b128 v[6:9], off, off offset:392
	;; [unrolled: 1-line block ×4, first 2 shown]
	scratch_load_b64 v[22:23], off, off offset:368
	ds_load_2addr_b64 v[18:21], v1 offset0:103 offset1:104
	ds_load_2addr_b64 v[138:141], v1 offset0:105 offset1:106
	;; [unrolled: 1-line block ×4, first 2 shown]
	s_mov_b32 s0, exec_lo
	s_wait_loadcnt_dscnt 0x403
	v_dual_mul_f32 v1, v18, v3 :: v_dual_mul_f32 v24, v20, v5
	v_mul_f32_e32 v3, v19, v3
	v_mul_f32_e32 v5, v21, v5
	s_wait_loadcnt_dscnt 0x302
	v_dual_mul_f32 v135, v138, v7 :: v_dual_mul_f32 v136, v140, v9
	v_fmac_f32_e32 v24, v21, v4
	v_fma_f32 v3, v18, v2, -v3
	s_wait_loadcnt_dscnt 0x201
	v_dual_mul_f32 v150, v142, v11 :: v_dual_mul_f32 v151, v144, v13
	v_dual_fmac_f32 v1, v19, v2 :: v_dual_fmac_f32 v136, v141, v8
	v_mul_f32_e32 v2, v139, v7
	v_fma_f32 v4, v20, v4, -v5
	s_delay_alu instid0(VALU_DEP_4) | instskip(NEXT) | instid1(VALU_DEP_4)
	v_dual_add_f32 v3, 0, v3 :: v_dual_fmac_f32 v150, v143, v10
	v_add_f32_e32 v1, 0, v1
	s_delay_alu instid0(VALU_DEP_4) | instskip(SKIP_4) | instid1(VALU_DEP_3)
	v_fma_f32 v2, v138, v6, -v2
	s_wait_loadcnt_dscnt 0x100
	v_dual_mul_f32 v152, v146, v15 :: v_dual_mul_f32 v153, v148, v17
	v_add_f32_e32 v3, v3, v4
	v_dual_mul_f32 v5, v141, v9 :: v_dual_mul_f32 v4, v143, v11
	v_dual_add_f32 v1, v1, v24 :: v_dual_fmac_f32 v152, v147, v14
	s_delay_alu instid0(VALU_DEP_3) | instskip(NEXT) | instid1(VALU_DEP_3)
	v_add_f32_e32 v2, v3, v2
	v_fma_f32 v5, v140, v8, -v5
	v_fmac_f32_e32 v135, v139, v6
	v_mul_f32_e32 v3, v145, v13
	v_fma_f32 v4, v142, v10, -v4
	s_delay_alu instid0(VALU_DEP_4) | instskip(NEXT) | instid1(VALU_DEP_4)
	v_dual_fmac_f32 v153, v149, v16 :: v_dual_add_f32 v2, v2, v5
	v_add_f32_e32 v1, v1, v135
	v_mul_f32_e32 v5, v147, v15
	v_fma_f32 v3, v144, v12, -v3
	s_delay_alu instid0(VALU_DEP_4) | instskip(NEXT) | instid1(VALU_DEP_4)
	v_add_f32_e32 v2, v2, v4
	v_add_f32_e32 v1, v1, v136
	v_mul_f32_e32 v4, v149, v17
	v_fma_f32 v5, v146, v14, -v5
	s_delay_alu instid0(VALU_DEP_4) | instskip(NEXT) | instid1(VALU_DEP_3)
	v_dual_add_f32 v2, v2, v3 :: v_dual_fmac_f32 v151, v145, v12
	v_fma_f32 v3, v148, v16, -v4
	s_delay_alu instid0(VALU_DEP_2) | instskip(NEXT) | instid1(VALU_DEP_1)
	v_dual_add_f32 v2, v2, v5 :: v_dual_add_f32 v1, v1, v150
	v_add_f32_e32 v2, v2, v3
	s_delay_alu instid0(VALU_DEP_2) | instskip(NEXT) | instid1(VALU_DEP_1)
	v_add_f32_e32 v1, v1, v151
	v_add_f32_e32 v1, v1, v152
	s_delay_alu instid0(VALU_DEP_1) | instskip(SKIP_1) | instid1(VALU_DEP_1)
	v_add_f32_e32 v3, v1, v153
	s_wait_loadcnt 0x0
	v_dual_sub_f32 v1, v22, v2 :: v_dual_sub_f32 v2, v23, v3
	scratch_store_b64 off, v[1:2], off offset:368
	v_cmpx_lt_u32_e32 45, v0
	s_cbranch_execz .LBB118_253
; %bb.252:
	scratch_load_b64 v[1:2], off, off offset:360
	v_mov_b32_e32 v3, 0
	s_delay_alu instid0(VALU_DEP_1)
	v_mov_b32_e32 v4, v3
	scratch_store_b64 off, v[3:4], off offset:360
	s_wait_loadcnt 0x0
	ds_store_b64 v137, v[1:2]
.LBB118_253:
	s_wait_alu 0xfffe
	s_or_b32 exec_lo, exec_lo, s0
	s_wait_storecnt_dscnt 0x0
	s_barrier_signal -1
	s_barrier_wait -1
	global_inv scope:SCOPE_SE
	s_clause 0x5
	scratch_load_b128 v[2:5], off, off offset:368
	scratch_load_b128 v[6:9], off, off offset:384
	;; [unrolled: 1-line block ×4, first 2 shown]
	scratch_load_b64 v[22:23], off, off offset:432
	scratch_load_b64 v[135:136], off, off offset:360
	v_mov_b32_e32 v1, 0
	ds_load_b128 v[18:21], v1 offset:816
	ds_load_b128 v[138:141], v1 offset:832
	ds_load_b128 v[142:145], v1 offset:848
	ds_load_b128 v[146:149], v1 offset:864
	ds_load_b64 v[150:151], v1 offset:880
	s_mov_b32 s0, exec_lo
	s_wait_loadcnt_dscnt 0x504
	v_mul_f32_e32 v24, v18, v3
	s_wait_loadcnt_dscnt 0x302
	v_dual_mul_f32 v3, v19, v3 :: v_dual_mul_f32 v156, v144, v13
	v_dual_mul_f32 v152, v20, v5 :: v_dual_mul_f32 v153, v138, v7
	v_mul_f32_e32 v5, v21, v5
	s_delay_alu instid0(VALU_DEP_3) | instskip(SKIP_3) | instid1(VALU_DEP_3)
	v_fma_f32 v3, v18, v2, -v3
	s_wait_loadcnt_dscnt 0x100
	v_dual_mul_f32 v159, v150, v23 :: v_dual_fmac_f32 v24, v19, v2
	v_mul_f32_e32 v2, v139, v7
	v_dual_fmac_f32 v152, v21, v4 :: v_dual_add_f32 v3, 0, v3
	v_fma_f32 v4, v20, v4, -v5
	v_dual_mul_f32 v154, v140, v9 :: v_dual_mul_f32 v155, v142, v11
	s_delay_alu instid0(VALU_DEP_4) | instskip(SKIP_1) | instid1(VALU_DEP_4)
	v_fma_f32 v2, v138, v6, -v2
	v_dual_mul_f32 v157, v146, v15 :: v_dual_mul_f32 v158, v148, v17
	v_add_f32_e32 v3, v3, v4
	v_add_f32_e32 v5, 0, v24
	v_dual_fmac_f32 v154, v141, v8 :: v_dual_fmac_f32 v155, v143, v10
	v_fmac_f32_e32 v156, v145, v12
	s_delay_alu instid0(VALU_DEP_4) | instskip(NEXT) | instid1(VALU_DEP_4)
	v_dual_add_f32 v2, v3, v2 :: v_dual_mul_f32 v7, v141, v9
	v_dual_fmac_f32 v153, v139, v6 :: v_dual_add_f32 v4, v5, v152
	v_mul_f32_e32 v5, v143, v11
	v_dual_fmac_f32 v157, v147, v14 :: v_dual_fmac_f32 v158, v149, v16
	s_delay_alu instid0(VALU_DEP_4) | instskip(NEXT) | instid1(VALU_DEP_4)
	v_fma_f32 v6, v140, v8, -v7
	v_add_f32_e32 v3, v4, v153
	v_mul_f32_e32 v4, v145, v13
	v_fma_f32 v5, v142, v10, -v5
	s_delay_alu instid0(VALU_DEP_4) | instskip(SKIP_3) | instid1(VALU_DEP_4)
	v_add_f32_e32 v2, v2, v6
	v_mul_f32_e32 v6, v147, v15
	v_add_f32_e32 v3, v3, v154
	v_fma_f32 v4, v144, v12, -v4
	v_add_f32_e32 v2, v2, v5
	v_mul_f32_e32 v5, v149, v17
	s_delay_alu instid0(VALU_DEP_4) | instskip(SKIP_1) | instid1(VALU_DEP_4)
	v_add_f32_e32 v3, v3, v155
	v_fma_f32 v6, v146, v14, -v6
	v_add_f32_e32 v2, v2, v4
	v_mul_f32_e32 v4, v151, v23
	s_delay_alu instid0(VALU_DEP_4) | instskip(SKIP_1) | instid1(VALU_DEP_4)
	v_add_f32_e32 v3, v3, v156
	v_fma_f32 v5, v148, v16, -v5
	v_add_f32_e32 v2, v2, v6
	v_fmac_f32_e32 v159, v151, v22
	v_fma_f32 v4, v150, v22, -v4
	s_delay_alu instid0(VALU_DEP_3) | instskip(NEXT) | instid1(VALU_DEP_1)
	v_add_f32_e32 v2, v2, v5
	v_dual_add_f32 v3, v3, v157 :: v_dual_add_f32 v2, v2, v4
	s_delay_alu instid0(VALU_DEP_1) | instskip(NEXT) | instid1(VALU_DEP_1)
	v_add_f32_e32 v3, v3, v158
	v_add_f32_e32 v3, v3, v159
	s_wait_loadcnt 0x0
	s_delay_alu instid0(VALU_DEP_1)
	v_dual_sub_f32 v2, v135, v2 :: v_dual_sub_f32 v3, v136, v3
	scratch_store_b64 off, v[2:3], off offset:360
	v_cmpx_lt_u32_e32 44, v0
	s_cbranch_execz .LBB118_255
; %bb.254:
	scratch_load_b64 v[3:4], off, off offset:352
	v_mov_b32_e32 v2, v1
	scratch_store_b64 off, v[1:2], off offset:352
	s_wait_loadcnt 0x0
	ds_store_b64 v137, v[3:4]
.LBB118_255:
	s_wait_alu 0xfffe
	s_or_b32 exec_lo, exec_lo, s0
	s_wait_storecnt_dscnt 0x0
	s_barrier_signal -1
	s_barrier_wait -1
	global_inv scope:SCOPE_SE
	s_clause 0x5
	scratch_load_b128 v[2:5], off, off offset:360
	scratch_load_b128 v[6:9], off, off offset:376
	;; [unrolled: 1-line block ×5, first 2 shown]
	scratch_load_b64 v[22:23], off, off offset:352
	ds_load_2addr_b64 v[138:141], v1 offset0:101 offset1:102
	ds_load_2addr_b64 v[142:145], v1 offset0:103 offset1:104
	;; [unrolled: 1-line block ×5, first 2 shown]
	s_mov_b32 s0, exec_lo
	s_wait_loadcnt_dscnt 0x504
	v_dual_mul_f32 v1, v138, v3 :: v_dual_mul_f32 v24, v140, v5
	v_mul_f32_e32 v3, v139, v3
	v_mul_f32_e32 v5, v141, v5
	s_wait_loadcnt_dscnt 0x403
	v_dual_mul_f32 v135, v142, v7 :: v_dual_mul_f32 v136, v144, v9
	v_fmac_f32_e32 v24, v141, v4
	v_fma_f32 v3, v138, v2, -v3
	s_wait_loadcnt_dscnt 0x302
	v_dual_mul_f32 v158, v146, v11 :: v_dual_mul_f32 v159, v148, v13
	v_dual_fmac_f32 v1, v139, v2 :: v_dual_fmac_f32 v136, v145, v8
	v_mul_f32_e32 v2, v143, v7
	v_fma_f32 v4, v140, v4, -v5
	s_delay_alu instid0(VALU_DEP_4) | instskip(NEXT) | instid1(VALU_DEP_4)
	v_dual_add_f32 v3, 0, v3 :: v_dual_fmac_f32 v158, v147, v10
	v_add_f32_e32 v1, 0, v1
	s_delay_alu instid0(VALU_DEP_4) | instskip(SKIP_4) | instid1(VALU_DEP_3)
	v_fma_f32 v2, v142, v6, -v2
	s_wait_loadcnt_dscnt 0x201
	v_dual_mul_f32 v160, v150, v15 :: v_dual_mul_f32 v161, v152, v17
	v_add_f32_e32 v3, v3, v4
	v_dual_mul_f32 v5, v145, v9 :: v_dual_mul_f32 v4, v147, v11
	v_dual_add_f32 v1, v1, v24 :: v_dual_fmac_f32 v160, v151, v14
	s_delay_alu instid0(VALU_DEP_3) | instskip(NEXT) | instid1(VALU_DEP_3)
	v_add_f32_e32 v2, v3, v2
	v_fma_f32 v5, v144, v8, -v5
	v_fmac_f32_e32 v135, v143, v6
	v_fma_f32 v4, v146, v10, -v4
	s_wait_loadcnt_dscnt 0x100
	v_dual_mul_f32 v162, v154, v19 :: v_dual_mul_f32 v163, v156, v21
	s_delay_alu instid0(VALU_DEP_3) | instskip(NEXT) | instid1(VALU_DEP_2)
	v_dual_add_f32 v2, v2, v5 :: v_dual_add_f32 v1, v1, v135
	v_dual_mul_f32 v3, v149, v13 :: v_dual_fmac_f32 v162, v155, v18
	v_fmac_f32_e32 v161, v153, v16
	s_delay_alu instid0(VALU_DEP_3) | instskip(SKIP_1) | instid1(VALU_DEP_4)
	v_add_f32_e32 v2, v2, v4
	v_mul_f32_e32 v4, v153, v17
	v_fma_f32 v3, v148, v12, -v3
	v_add_f32_e32 v1, v1, v136
	v_fmac_f32_e32 v163, v157, v20
	s_delay_alu instid0(VALU_DEP_4) | instskip(SKIP_3) | instid1(VALU_DEP_3)
	v_fma_f32 v4, v152, v16, -v4
	v_mul_f32_e32 v5, v151, v15
	v_add_f32_e32 v2, v2, v3
	v_mul_f32_e32 v3, v155, v19
	v_fma_f32 v5, v150, v14, -v5
	v_fmac_f32_e32 v159, v149, v12
	s_delay_alu instid0(VALU_DEP_3) | instskip(NEXT) | instid1(VALU_DEP_3)
	v_fma_f32 v3, v154, v18, -v3
	v_add_f32_e32 v2, v2, v5
	s_delay_alu instid0(VALU_DEP_1) | instskip(SKIP_1) | instid1(VALU_DEP_2)
	v_dual_mul_f32 v5, v157, v21 :: v_dual_add_f32 v2, v2, v4
	v_add_f32_e32 v1, v1, v158
	v_fma_f32 v4, v156, v20, -v5
	s_delay_alu instid0(VALU_DEP_3) | instskip(NEXT) | instid1(VALU_DEP_1)
	v_add_f32_e32 v2, v2, v3
	v_dual_add_f32 v1, v1, v159 :: v_dual_add_f32 v2, v2, v4
	s_delay_alu instid0(VALU_DEP_1) | instskip(NEXT) | instid1(VALU_DEP_1)
	v_add_f32_e32 v1, v1, v160
	v_add_f32_e32 v1, v1, v161
	s_delay_alu instid0(VALU_DEP_1) | instskip(NEXT) | instid1(VALU_DEP_1)
	v_add_f32_e32 v1, v1, v162
	v_add_f32_e32 v3, v1, v163
	s_wait_loadcnt 0x0
	s_delay_alu instid0(VALU_DEP_1)
	v_dual_sub_f32 v1, v22, v2 :: v_dual_sub_f32 v2, v23, v3
	scratch_store_b64 off, v[1:2], off offset:352
	v_cmpx_lt_u32_e32 43, v0
	s_cbranch_execz .LBB118_257
; %bb.256:
	scratch_load_b64 v[1:2], off, off offset:344
	v_mov_b32_e32 v3, 0
	s_delay_alu instid0(VALU_DEP_1)
	v_mov_b32_e32 v4, v3
	scratch_store_b64 off, v[3:4], off offset:344
	s_wait_loadcnt 0x0
	ds_store_b64 v137, v[1:2]
.LBB118_257:
	s_wait_alu 0xfffe
	s_or_b32 exec_lo, exec_lo, s0
	s_wait_storecnt_dscnt 0x0
	s_barrier_signal -1
	s_barrier_wait -1
	global_inv scope:SCOPE_SE
	s_clause 0x6
	scratch_load_b128 v[2:5], off, off offset:352
	scratch_load_b128 v[6:9], off, off offset:368
	;; [unrolled: 1-line block ×5, first 2 shown]
	scratch_load_b64 v[22:23], off, off offset:432
	scratch_load_b64 v[135:136], off, off offset:344
	v_mov_b32_e32 v1, 0
	ds_load_b128 v[138:141], v1 offset:800
	ds_load_b128 v[142:145], v1 offset:816
	;; [unrolled: 1-line block ×5, first 2 shown]
	ds_load_b64 v[158:159], v1 offset:880
	s_mov_b32 s0, exec_lo
	s_wait_loadcnt_dscnt 0x605
	v_mul_f32_e32 v24, v138, v3
	v_dual_mul_f32 v3, v139, v3 :: v_dual_mul_f32 v160, v140, v5
	s_wait_loadcnt_dscnt 0x302
	v_dual_mul_f32 v161, v142, v7 :: v_dual_mul_f32 v166, v152, v17
	v_mul_f32_e32 v5, v141, v5
	s_delay_alu instid0(VALU_DEP_3) | instskip(SKIP_3) | instid1(VALU_DEP_3)
	v_fma_f32 v3, v138, v2, -v3
	s_wait_loadcnt_dscnt 0x100
	v_dual_mul_f32 v169, v158, v23 :: v_dual_fmac_f32 v24, v139, v2
	v_mul_f32_e32 v2, v143, v7
	v_dual_fmac_f32 v160, v141, v4 :: v_dual_add_f32 v3, 0, v3
	v_fma_f32 v4, v140, v4, -v5
	v_dual_mul_f32 v162, v144, v9 :: v_dual_mul_f32 v163, v146, v11
	s_delay_alu instid0(VALU_DEP_4) | instskip(SKIP_1) | instid1(VALU_DEP_4)
	v_fma_f32 v2, v142, v6, -v2
	v_dual_mul_f32 v164, v148, v13 :: v_dual_mul_f32 v165, v150, v15
	v_add_f32_e32 v3, v3, v4
	v_add_f32_e32 v5, 0, v24
	v_dual_fmac_f32 v162, v145, v8 :: v_dual_fmac_f32 v163, v147, v10
	s_delay_alu instid0(VALU_DEP_4) | instskip(NEXT) | instid1(VALU_DEP_4)
	v_fmac_f32_e32 v164, v149, v12
	v_dual_add_f32 v2, v3, v2 :: v_dual_mul_f32 v7, v145, v9
	s_delay_alu instid0(VALU_DEP_4) | instskip(SKIP_2) | instid1(VALU_DEP_4)
	v_dual_fmac_f32 v161, v143, v6 :: v_dual_add_f32 v4, v5, v160
	v_mul_f32_e32 v5, v147, v11
	v_dual_fmac_f32 v165, v151, v14 :: v_dual_fmac_f32 v166, v153, v16
	v_fma_f32 v6, v144, v8, -v7
	s_delay_alu instid0(VALU_DEP_4)
	v_add_f32_e32 v3, v4, v161
	v_mul_f32_e32 v4, v149, v13
	v_fma_f32 v5, v146, v10, -v5
	v_dual_mul_f32 v167, v154, v19 :: v_dual_mul_f32 v168, v156, v21
	v_add_f32_e32 v2, v2, v6
	v_mul_f32_e32 v6, v151, v15
	v_add_f32_e32 v3, v3, v162
	v_fma_f32 v4, v148, v12, -v4
	s_delay_alu instid0(VALU_DEP_4) | instskip(SKIP_1) | instid1(VALU_DEP_4)
	v_dual_fmac_f32 v167, v155, v18 :: v_dual_add_f32 v2, v2, v5
	v_mul_f32_e32 v5, v153, v17
	v_add_f32_e32 v3, v3, v163
	v_fma_f32 v6, v150, v14, -v6
	v_fmac_f32_e32 v168, v157, v20
	v_add_f32_e32 v2, v2, v4
	v_mul_f32_e32 v4, v155, v19
	v_add_f32_e32 v3, v3, v164
	v_fma_f32 v5, v152, v16, -v5
	s_delay_alu instid0(VALU_DEP_4) | instskip(SKIP_1) | instid1(VALU_DEP_4)
	v_add_f32_e32 v2, v2, v6
	v_mul_f32_e32 v6, v157, v21
	v_add_f32_e32 v3, v3, v165
	v_fma_f32 v4, v154, v18, -v4
	s_delay_alu instid0(VALU_DEP_4) | instskip(NEXT) | instid1(VALU_DEP_4)
	v_add_f32_e32 v2, v2, v5
	v_fma_f32 v6, v156, v20, -v6
	s_delay_alu instid0(VALU_DEP_4) | instskip(NEXT) | instid1(VALU_DEP_3)
	v_add_f32_e32 v3, v3, v166
	v_dual_mul_f32 v5, v159, v23 :: v_dual_add_f32 v2, v2, v4
	s_delay_alu instid0(VALU_DEP_2) | instskip(NEXT) | instid1(VALU_DEP_2)
	v_add_f32_e32 v3, v3, v167
	v_fma_f32 v4, v158, v22, -v5
	s_delay_alu instid0(VALU_DEP_3) | instskip(SKIP_1) | instid1(VALU_DEP_4)
	v_add_f32_e32 v2, v2, v6
	v_fmac_f32_e32 v169, v159, v22
	v_add_f32_e32 v3, v3, v168
	s_delay_alu instid0(VALU_DEP_1) | instskip(SKIP_1) | instid1(VALU_DEP_1)
	v_dual_add_f32 v2, v2, v4 :: v_dual_add_f32 v3, v3, v169
	s_wait_loadcnt 0x0
	v_dual_sub_f32 v2, v135, v2 :: v_dual_sub_f32 v3, v136, v3
	scratch_store_b64 off, v[2:3], off offset:344
	v_cmpx_lt_u32_e32 42, v0
	s_cbranch_execz .LBB118_259
; %bb.258:
	scratch_load_b64 v[3:4], off, off offset:336
	v_mov_b32_e32 v2, v1
	scratch_store_b64 off, v[1:2], off offset:336
	s_wait_loadcnt 0x0
	ds_store_b64 v137, v[3:4]
.LBB118_259:
	s_wait_alu 0xfffe
	s_or_b32 exec_lo, exec_lo, s0
	s_wait_storecnt_dscnt 0x0
	s_barrier_signal -1
	s_barrier_wait -1
	global_inv scope:SCOPE_SE
	s_clause 0x6
	scratch_load_b128 v[2:5], off, off offset:344
	scratch_load_b128 v[6:9], off, off offset:360
	;; [unrolled: 1-line block ×6, first 2 shown]
	scratch_load_b64 v[22:23], off, off offset:336
	ds_load_2addr_b64 v[142:145], v1 offset0:99 offset1:100
	ds_load_2addr_b64 v[146:149], v1 offset0:101 offset1:102
	;; [unrolled: 1-line block ×6, first 2 shown]
	s_mov_b32 s0, exec_lo
	s_wait_loadcnt_dscnt 0x605
	v_dual_mul_f32 v1, v142, v3 :: v_dual_mul_f32 v24, v144, v5
	v_mul_f32_e32 v3, v143, v3
	v_mul_f32_e32 v5, v145, v5
	s_wait_loadcnt_dscnt 0x504
	v_dual_mul_f32 v135, v146, v7 :: v_dual_mul_f32 v136, v148, v9
	v_fmac_f32_e32 v24, v145, v4
	v_fma_f32 v3, v142, v2, -v3
	s_wait_loadcnt_dscnt 0x403
	v_dual_mul_f32 v166, v150, v11 :: v_dual_mul_f32 v167, v152, v13
	v_dual_fmac_f32 v1, v143, v2 :: v_dual_fmac_f32 v136, v149, v8
	v_mul_f32_e32 v2, v147, v7
	v_fma_f32 v4, v144, v4, -v5
	s_delay_alu instid0(VALU_DEP_4) | instskip(NEXT) | instid1(VALU_DEP_4)
	v_dual_add_f32 v3, 0, v3 :: v_dual_fmac_f32 v166, v151, v10
	v_add_f32_e32 v1, 0, v1
	s_delay_alu instid0(VALU_DEP_4) | instskip(SKIP_4) | instid1(VALU_DEP_3)
	v_fma_f32 v2, v146, v6, -v2
	s_wait_loadcnt_dscnt 0x302
	v_dual_mul_f32 v168, v154, v15 :: v_dual_mul_f32 v169, v156, v17
	v_add_f32_e32 v3, v3, v4
	v_dual_mul_f32 v5, v149, v9 :: v_dual_mul_f32 v4, v151, v11
	v_dual_add_f32 v1, v1, v24 :: v_dual_fmac_f32 v168, v155, v14
	s_delay_alu instid0(VALU_DEP_3) | instskip(NEXT) | instid1(VALU_DEP_3)
	v_add_f32_e32 v2, v3, v2
	v_fma_f32 v5, v148, v8, -v5
	v_fmac_f32_e32 v135, v147, v6
	v_fma_f32 v4, v150, v10, -v4
	s_wait_loadcnt_dscnt 0x201
	v_dual_mul_f32 v170, v158, v19 :: v_dual_mul_f32 v171, v160, v21
	s_delay_alu instid0(VALU_DEP_3) | instskip(NEXT) | instid1(VALU_DEP_2)
	v_dual_add_f32 v2, v2, v5 :: v_dual_add_f32 v1, v1, v135
	v_dual_mul_f32 v3, v153, v13 :: v_dual_fmac_f32 v170, v159, v18
	s_wait_loadcnt_dscnt 0x100
	v_dual_mul_f32 v172, v162, v139 :: v_dual_mul_f32 v173, v164, v141
	s_delay_alu instid0(VALU_DEP_3)
	v_add_f32_e32 v2, v2, v4
	v_mul_f32_e32 v4, v157, v17
	v_fma_f32 v3, v152, v12, -v3
	v_add_f32_e32 v1, v1, v136
	v_fmac_f32_e32 v171, v161, v20
	v_fmac_f32_e32 v173, v165, v140
	v_fma_f32 v4, v156, v16, -v4
	v_mul_f32_e32 v5, v155, v15
	v_dual_add_f32 v2, v2, v3 :: v_dual_add_f32 v1, v1, v166
	v_fmac_f32_e32 v172, v163, v138
	s_delay_alu instid0(VALU_DEP_3) | instskip(NEXT) | instid1(VALU_DEP_1)
	v_fma_f32 v5, v154, v14, -v5
	v_dual_fmac_f32 v167, v153, v12 :: v_dual_add_f32 v2, v2, v5
	s_delay_alu instid0(VALU_DEP_1) | instskip(SKIP_1) | instid1(VALU_DEP_3)
	v_add_f32_e32 v2, v2, v4
	v_mul_f32_e32 v4, v163, v139
	v_add_f32_e32 v1, v1, v167
	s_delay_alu instid0(VALU_DEP_2) | instskip(SKIP_1) | instid1(VALU_DEP_1)
	v_fma_f32 v4, v162, v138, -v4
	v_mul_f32_e32 v5, v161, v21
	v_fma_f32 v5, v160, v20, -v5
	v_mul_f32_e32 v3, v159, v19
	s_delay_alu instid0(VALU_DEP_1) | instskip(NEXT) | instid1(VALU_DEP_1)
	v_fma_f32 v3, v158, v18, -v3
	v_dual_fmac_f32 v169, v157, v16 :: v_dual_add_f32 v2, v2, v3
	v_mul_f32_e32 v3, v165, v141
	s_delay_alu instid0(VALU_DEP_2) | instskip(NEXT) | instid1(VALU_DEP_2)
	v_add_f32_e32 v2, v2, v5
	v_fma_f32 v3, v164, v140, -v3
	s_delay_alu instid0(VALU_DEP_2) | instskip(NEXT) | instid1(VALU_DEP_1)
	v_add_f32_e32 v2, v2, v4
	v_dual_add_f32 v1, v1, v168 :: v_dual_add_f32 v2, v2, v3
	s_delay_alu instid0(VALU_DEP_1) | instskip(NEXT) | instid1(VALU_DEP_1)
	v_add_f32_e32 v1, v1, v169
	v_add_f32_e32 v1, v1, v170
	s_delay_alu instid0(VALU_DEP_1) | instskip(NEXT) | instid1(VALU_DEP_1)
	v_add_f32_e32 v1, v1, v171
	v_add_f32_e32 v1, v1, v172
	s_delay_alu instid0(VALU_DEP_1) | instskip(SKIP_1) | instid1(VALU_DEP_1)
	v_add_f32_e32 v3, v1, v173
	s_wait_loadcnt 0x0
	v_dual_sub_f32 v1, v22, v2 :: v_dual_sub_f32 v2, v23, v3
	scratch_store_b64 off, v[1:2], off offset:336
	v_cmpx_lt_u32_e32 41, v0
	s_cbranch_execz .LBB118_261
; %bb.260:
	scratch_load_b64 v[1:2], off, off offset:328
	v_mov_b32_e32 v3, 0
	s_delay_alu instid0(VALU_DEP_1)
	v_mov_b32_e32 v4, v3
	scratch_store_b64 off, v[3:4], off offset:328
	s_wait_loadcnt 0x0
	ds_store_b64 v137, v[1:2]
.LBB118_261:
	s_wait_alu 0xfffe
	s_or_b32 exec_lo, exec_lo, s0
	s_wait_storecnt_dscnt 0x0
	s_barrier_signal -1
	s_barrier_wait -1
	global_inv scope:SCOPE_SE
	s_clause 0x7
	scratch_load_b128 v[2:5], off, off offset:336
	scratch_load_b128 v[6:9], off, off offset:352
	;; [unrolled: 1-line block ×6, first 2 shown]
	scratch_load_b64 v[22:23], off, off offset:432
	scratch_load_b64 v[135:136], off, off offset:328
	v_mov_b32_e32 v1, 0
	ds_load_b128 v[142:145], v1 offset:784
	ds_load_b128 v[146:149], v1 offset:800
	;; [unrolled: 1-line block ×6, first 2 shown]
	ds_load_b64 v[166:167], v1 offset:880
	s_mov_b32 s0, exec_lo
	s_wait_loadcnt_dscnt 0x706
	v_mul_f32_e32 v24, v142, v3
	v_dual_mul_f32 v3, v143, v3 :: v_dual_mul_f32 v168, v144, v5
	s_wait_loadcnt_dscnt 0x302
	v_dual_mul_f32 v169, v146, v7 :: v_dual_mul_f32 v176, v160, v21
	v_mul_f32_e32 v5, v145, v5
	s_delay_alu instid0(VALU_DEP_3) | instskip(SKIP_3) | instid1(VALU_DEP_3)
	v_fma_f32 v3, v142, v2, -v3
	s_wait_loadcnt_dscnt 0x100
	v_dual_mul_f32 v179, v166, v23 :: v_dual_fmac_f32 v24, v143, v2
	v_mul_f32_e32 v2, v147, v7
	v_dual_fmac_f32 v168, v145, v4 :: v_dual_add_f32 v3, 0, v3
	v_fma_f32 v4, v144, v4, -v5
	v_dual_mul_f32 v170, v148, v9 :: v_dual_mul_f32 v171, v150, v11
	s_delay_alu instid0(VALU_DEP_4) | instskip(SKIP_1) | instid1(VALU_DEP_4)
	v_fma_f32 v2, v146, v6, -v2
	v_dual_mul_f32 v172, v152, v13 :: v_dual_mul_f32 v173, v154, v15
	v_add_f32_e32 v3, v3, v4
	v_add_f32_e32 v5, 0, v24
	v_dual_fmac_f32 v170, v149, v8 :: v_dual_fmac_f32 v171, v151, v10
	s_delay_alu instid0(VALU_DEP_4) | instskip(NEXT) | instid1(VALU_DEP_4)
	v_fmac_f32_e32 v172, v153, v12
	v_dual_add_f32 v2, v3, v2 :: v_dual_mul_f32 v7, v149, v9
	s_delay_alu instid0(VALU_DEP_4) | instskip(SKIP_2) | instid1(VALU_DEP_4)
	v_dual_fmac_f32 v169, v147, v6 :: v_dual_add_f32 v4, v5, v168
	v_dual_mul_f32 v5, v151, v11 :: v_dual_mul_f32 v174, v156, v17
	v_mul_f32_e32 v175, v158, v19
	v_fma_f32 v6, v148, v8, -v7
	s_delay_alu instid0(VALU_DEP_4)
	v_add_f32_e32 v3, v4, v169
	v_mul_f32_e32 v4, v153, v13
	v_fma_f32 v5, v150, v10, -v5
	v_dual_fmac_f32 v173, v155, v14 :: v_dual_fmac_f32 v174, v157, v16
	v_add_f32_e32 v2, v2, v6
	v_mul_f32_e32 v6, v155, v15
	v_add_f32_e32 v3, v3, v170
	v_fma_f32 v4, v152, v12, -v4
	v_dual_mul_f32 v177, v162, v139 :: v_dual_mul_f32 v178, v164, v141
	s_delay_alu instid0(VALU_DEP_3) | instskip(SKIP_2) | instid1(VALU_DEP_3)
	v_dual_add_f32 v2, v2, v5 :: v_dual_add_f32 v3, v3, v171
	v_mul_f32_e32 v5, v157, v17
	v_fma_f32 v6, v154, v14, -v6
	v_dual_fmac_f32 v175, v159, v18 :: v_dual_add_f32 v2, v2, v4
	s_delay_alu instid0(VALU_DEP_4) | instskip(SKIP_3) | instid1(VALU_DEP_4)
	v_add_f32_e32 v3, v3, v172
	v_mul_f32_e32 v4, v159, v19
	v_fma_f32 v5, v156, v16, -v5
	v_fmac_f32_e32 v176, v161, v20
	v_dual_add_f32 v2, v2, v6 :: v_dual_add_f32 v3, v3, v173
	v_mul_f32_e32 v6, v161, v21
	v_fma_f32 v4, v158, v18, -v4
	v_dual_fmac_f32 v177, v163, v138 :: v_dual_fmac_f32 v178, v165, v140
	s_delay_alu instid0(VALU_DEP_4) | instskip(SKIP_2) | instid1(VALU_DEP_3)
	v_dual_add_f32 v2, v2, v5 :: v_dual_add_f32 v3, v3, v174
	v_mul_f32_e32 v5, v163, v139
	v_fma_f32 v6, v160, v20, -v6
	v_dual_fmac_f32 v179, v167, v22 :: v_dual_add_f32 v2, v2, v4
	s_delay_alu instid0(VALU_DEP_4) | instskip(NEXT) | instid1(VALU_DEP_4)
	v_dual_add_f32 v3, v3, v175 :: v_dual_mul_f32 v4, v165, v141
	v_fma_f32 v5, v162, v138, -v5
	s_delay_alu instid0(VALU_DEP_2) | instskip(SKIP_1) | instid1(VALU_DEP_4)
	v_dual_add_f32 v2, v2, v6 :: v_dual_add_f32 v3, v3, v176
	v_mul_f32_e32 v6, v167, v23
	v_fma_f32 v4, v164, v140, -v4
	s_delay_alu instid0(VALU_DEP_3) | instskip(NEXT) | instid1(VALU_DEP_4)
	v_add_f32_e32 v2, v2, v5
	v_add_f32_e32 v3, v3, v177
	s_delay_alu instid0(VALU_DEP_4) | instskip(NEXT) | instid1(VALU_DEP_2)
	v_fma_f32 v5, v166, v22, -v6
	v_dual_add_f32 v2, v2, v4 :: v_dual_add_f32 v3, v3, v178
	s_delay_alu instid0(VALU_DEP_1) | instskip(SKIP_1) | instid1(VALU_DEP_1)
	v_dual_add_f32 v2, v2, v5 :: v_dual_add_f32 v3, v3, v179
	s_wait_loadcnt 0x0
	v_dual_sub_f32 v2, v135, v2 :: v_dual_sub_f32 v3, v136, v3
	scratch_store_b64 off, v[2:3], off offset:328
	v_cmpx_lt_u32_e32 40, v0
	s_cbranch_execz .LBB118_263
; %bb.262:
	scratch_load_b64 v[3:4], off, off offset:320
	v_mov_b32_e32 v2, v1
	scratch_store_b64 off, v[1:2], off offset:320
	s_wait_loadcnt 0x0
	ds_store_b64 v137, v[3:4]
.LBB118_263:
	s_wait_alu 0xfffe
	s_or_b32 exec_lo, exec_lo, s0
	s_wait_storecnt_dscnt 0x0
	s_barrier_signal -1
	s_barrier_wait -1
	global_inv scope:SCOPE_SE
	s_clause 0x7
	scratch_load_b128 v[2:5], off, off offset:328
	scratch_load_b128 v[6:9], off, off offset:344
	;; [unrolled: 1-line block ×7, first 2 shown]
	scratch_load_b64 v[22:23], off, off offset:320
	ds_load_2addr_b64 v[146:149], v1 offset0:97 offset1:98
	ds_load_2addr_b64 v[150:153], v1 offset0:99 offset1:100
	;; [unrolled: 1-line block ×7, first 2 shown]
	s_mov_b32 s0, exec_lo
	s_wait_loadcnt_dscnt 0x706
	v_dual_mul_f32 v1, v146, v3 :: v_dual_mul_f32 v24, v148, v5
	v_mul_f32_e32 v3, v147, v3
	v_mul_f32_e32 v5, v149, v5
	s_wait_loadcnt_dscnt 0x605
	v_dual_mul_f32 v135, v150, v7 :: v_dual_mul_f32 v136, v152, v9
	v_fmac_f32_e32 v24, v149, v4
	v_fma_f32 v3, v146, v2, -v3
	s_wait_loadcnt_dscnt 0x504
	v_dual_mul_f32 v174, v154, v11 :: v_dual_mul_f32 v175, v156, v13
	v_dual_fmac_f32 v1, v147, v2 :: v_dual_fmac_f32 v136, v153, v8
	v_mul_f32_e32 v2, v151, v7
	v_fma_f32 v4, v148, v4, -v5
	s_delay_alu instid0(VALU_DEP_4) | instskip(NEXT) | instid1(VALU_DEP_4)
	v_dual_add_f32 v3, 0, v3 :: v_dual_fmac_f32 v174, v155, v10
	v_add_f32_e32 v1, 0, v1
	s_delay_alu instid0(VALU_DEP_4) | instskip(SKIP_4) | instid1(VALU_DEP_3)
	v_fma_f32 v2, v150, v6, -v2
	s_wait_loadcnt_dscnt 0x403
	v_dual_mul_f32 v176, v158, v15 :: v_dual_mul_f32 v177, v160, v17
	v_add_f32_e32 v3, v3, v4
	v_dual_mul_f32 v5, v153, v9 :: v_dual_mul_f32 v4, v155, v11
	v_dual_add_f32 v1, v1, v24 :: v_dual_fmac_f32 v176, v159, v14
	s_delay_alu instid0(VALU_DEP_3) | instskip(NEXT) | instid1(VALU_DEP_3)
	v_add_f32_e32 v2, v3, v2
	v_fma_f32 v5, v152, v8, -v5
	v_fmac_f32_e32 v135, v151, v6
	v_fma_f32 v4, v154, v10, -v4
	s_wait_loadcnt_dscnt 0x302
	v_dual_mul_f32 v178, v162, v19 :: v_dual_mul_f32 v179, v164, v21
	s_delay_alu instid0(VALU_DEP_3) | instskip(NEXT) | instid1(VALU_DEP_2)
	v_dual_add_f32 v2, v2, v5 :: v_dual_add_f32 v1, v1, v135
	v_dual_mul_f32 v3, v157, v13 :: v_dual_fmac_f32 v178, v163, v18
	s_wait_loadcnt_dscnt 0x201
	v_dual_mul_f32 v180, v166, v139 :: v_dual_mul_f32 v181, v168, v141
	s_delay_alu instid0(VALU_DEP_3)
	v_add_f32_e32 v2, v2, v4
	v_mul_f32_e32 v4, v161, v17
	v_fma_f32 v3, v156, v12, -v3
	s_wait_loadcnt_dscnt 0x100
	v_dual_add_f32 v1, v1, v136 :: v_dual_mul_f32 v182, v170, v143
	v_mul_f32_e32 v183, v172, v145
	v_fma_f32 v4, v160, v16, -v4
	v_mul_f32_e32 v5, v159, v15
	s_delay_alu instid0(VALU_DEP_4) | instskip(SKIP_1) | instid1(VALU_DEP_3)
	v_dual_add_f32 v2, v2, v3 :: v_dual_add_f32 v1, v1, v174
	v_dual_fmac_f32 v180, v167, v138 :: v_dual_fmac_f32 v181, v169, v140
	v_fma_f32 v5, v158, v14, -v5
	v_dual_fmac_f32 v175, v157, v12 :: v_dual_fmac_f32 v182, v171, v142
	s_delay_alu instid0(VALU_DEP_2) | instskip(NEXT) | instid1(VALU_DEP_1)
	v_dual_fmac_f32 v183, v173, v144 :: v_dual_add_f32 v2, v2, v5
	v_add_f32_e32 v2, v2, v4
	v_mul_f32_e32 v4, v167, v139
	s_delay_alu instid0(VALU_DEP_4) | instskip(NEXT) | instid1(VALU_DEP_2)
	v_add_f32_e32 v1, v1, v175
	v_fma_f32 v4, v166, v138, -v4
	v_mul_f32_e32 v5, v165, v21
	s_delay_alu instid0(VALU_DEP_3) | instskip(NEXT) | instid1(VALU_DEP_2)
	v_add_f32_e32 v1, v1, v176
	v_fma_f32 v5, v164, v20, -v5
	v_mul_f32_e32 v3, v163, v19
	s_delay_alu instid0(VALU_DEP_1) | instskip(NEXT) | instid1(VALU_DEP_1)
	v_fma_f32 v3, v162, v18, -v3
	v_dual_fmac_f32 v177, v161, v16 :: v_dual_add_f32 v2, v2, v3
	v_mul_f32_e32 v3, v169, v141
	s_delay_alu instid0(VALU_DEP_2) | instskip(NEXT) | instid1(VALU_DEP_2)
	v_dual_add_f32 v2, v2, v5 :: v_dual_mul_f32 v5, v171, v143
	v_fma_f32 v3, v168, v140, -v3
	s_delay_alu instid0(VALU_DEP_2) | instskip(SKIP_1) | instid1(VALU_DEP_4)
	v_dual_add_f32 v2, v2, v4 :: v_dual_add_f32 v1, v1, v177
	v_mul_f32_e32 v4, v173, v145
	v_fma_f32 v5, v170, v142, -v5
	s_delay_alu instid0(VALU_DEP_3) | instskip(NEXT) | instid1(VALU_DEP_3)
	v_dual_add_f32 v2, v2, v3 :: v_dual_fmac_f32 v179, v165, v20
	v_fma_f32 v3, v172, v144, -v4
	s_delay_alu instid0(VALU_DEP_2) | instskip(NEXT) | instid1(VALU_DEP_1)
	v_dual_add_f32 v2, v2, v5 :: v_dual_add_f32 v1, v1, v178
	v_add_f32_e32 v2, v2, v3
	s_delay_alu instid0(VALU_DEP_2) | instskip(NEXT) | instid1(VALU_DEP_1)
	v_add_f32_e32 v1, v1, v179
	v_add_f32_e32 v1, v1, v180
	s_delay_alu instid0(VALU_DEP_1) | instskip(NEXT) | instid1(VALU_DEP_1)
	v_add_f32_e32 v1, v1, v181
	v_add_f32_e32 v1, v1, v182
	s_delay_alu instid0(VALU_DEP_1) | instskip(SKIP_1) | instid1(VALU_DEP_1)
	v_add_f32_e32 v3, v1, v183
	s_wait_loadcnt 0x0
	v_dual_sub_f32 v1, v22, v2 :: v_dual_sub_f32 v2, v23, v3
	scratch_store_b64 off, v[1:2], off offset:320
	v_cmpx_lt_u32_e32 39, v0
	s_cbranch_execz .LBB118_265
; %bb.264:
	scratch_load_b64 v[1:2], off, off offset:312
	v_mov_b32_e32 v3, 0
	s_delay_alu instid0(VALU_DEP_1)
	v_mov_b32_e32 v4, v3
	scratch_store_b64 off, v[3:4], off offset:312
	s_wait_loadcnt 0x0
	ds_store_b64 v137, v[1:2]
.LBB118_265:
	s_wait_alu 0xfffe
	s_or_b32 exec_lo, exec_lo, s0
	s_wait_storecnt_dscnt 0x0
	s_barrier_signal -1
	s_barrier_wait -1
	global_inv scope:SCOPE_SE
	s_clause 0x8
	scratch_load_b128 v[2:5], off, off offset:320
	scratch_load_b128 v[6:9], off, off offset:336
	;; [unrolled: 1-line block ×7, first 2 shown]
	scratch_load_b64 v[22:23], off, off offset:432
	scratch_load_b64 v[135:136], off, off offset:312
	v_mov_b32_e32 v1, 0
	ds_load_b128 v[146:149], v1 offset:768
	ds_load_b128 v[150:153], v1 offset:784
	;; [unrolled: 1-line block ×7, first 2 shown]
	ds_load_b64 v[174:175], v1 offset:880
	s_mov_b32 s0, exec_lo
	s_wait_loadcnt_dscnt 0x807
	v_mul_f32_e32 v24, v146, v3
	v_dual_mul_f32 v3, v147, v3 :: v_dual_mul_f32 v176, v148, v5
	s_wait_loadcnt_dscnt 0x706
	v_mul_f32_e32 v177, v150, v7
	v_mul_f32_e32 v5, v149, v5
	s_wait_loadcnt_dscnt 0x302
	v_mul_f32_e32 v186, v168, v141
	v_fma_f32 v3, v146, v2, -v3
	s_wait_loadcnt_dscnt 0x100
	v_dual_mul_f32 v189, v174, v23 :: v_dual_fmac_f32 v24, v147, v2
	v_mul_f32_e32 v2, v151, v7
	s_delay_alu instid0(VALU_DEP_3) | instskip(SKIP_2) | instid1(VALU_DEP_4)
	v_dual_fmac_f32 v176, v149, v4 :: v_dual_add_f32 v3, 0, v3
	v_fma_f32 v4, v148, v4, -v5
	v_dual_mul_f32 v178, v152, v9 :: v_dual_mul_f32 v179, v154, v11
	v_fma_f32 v2, v150, v6, -v2
	v_dual_mul_f32 v180, v156, v13 :: v_dual_mul_f32 v181, v158, v15
	s_delay_alu instid0(VALU_DEP_4) | instskip(SKIP_1) | instid1(VALU_DEP_3)
	v_add_f32_e32 v3, v3, v4
	v_add_f32_e32 v5, 0, v24
	v_dual_fmac_f32 v179, v155, v10 :: v_dual_fmac_f32 v180, v157, v12
	v_fmac_f32_e32 v178, v153, v8
	s_delay_alu instid0(VALU_DEP_4) | instskip(NEXT) | instid1(VALU_DEP_4)
	v_dual_add_f32 v2, v3, v2 :: v_dual_mul_f32 v7, v153, v9
	v_dual_fmac_f32 v177, v151, v6 :: v_dual_add_f32 v4, v5, v176
	v_dual_mul_f32 v5, v155, v11 :: v_dual_mul_f32 v182, v160, v17
	v_mul_f32_e32 v183, v162, v19
	s_delay_alu instid0(VALU_DEP_4) | instskip(NEXT) | instid1(VALU_DEP_4)
	v_fma_f32 v6, v152, v8, -v7
	v_add_f32_e32 v3, v4, v177
	v_mul_f32_e32 v4, v157, v13
	v_fma_f32 v5, v154, v10, -v5
	v_dual_fmac_f32 v181, v159, v14 :: v_dual_fmac_f32 v182, v161, v16
	v_add_f32_e32 v2, v2, v6
	v_mul_f32_e32 v6, v159, v15
	v_add_f32_e32 v3, v3, v178
	v_fma_f32 v4, v156, v12, -v4
	v_dual_mul_f32 v184, v164, v21 :: v_dual_mul_f32 v185, v166, v139
	s_delay_alu instid0(VALU_DEP_3) | instskip(SKIP_2) | instid1(VALU_DEP_3)
	v_dual_add_f32 v2, v2, v5 :: v_dual_add_f32 v3, v3, v179
	v_mul_f32_e32 v5, v161, v17
	v_fma_f32 v6, v158, v14, -v6
	v_dual_fmac_f32 v183, v163, v18 :: v_dual_add_f32 v2, v2, v4
	s_delay_alu instid0(VALU_DEP_4) | instskip(SKIP_3) | instid1(VALU_DEP_4)
	v_add_f32_e32 v3, v3, v180
	v_mul_f32_e32 v4, v163, v19
	v_fma_f32 v5, v160, v16, -v5
	v_fmac_f32_e32 v184, v165, v20
	v_dual_add_f32 v2, v2, v6 :: v_dual_add_f32 v3, v3, v181
	v_mul_f32_e32 v6, v165, v21
	v_fma_f32 v4, v162, v18, -v4
	v_dual_mul_f32 v187, v170, v143 :: v_dual_mul_f32 v188, v172, v145
	s_delay_alu instid0(VALU_DEP_4) | instskip(SKIP_3) | instid1(VALU_DEP_4)
	v_dual_add_f32 v2, v2, v5 :: v_dual_add_f32 v3, v3, v182
	v_mul_f32_e32 v5, v167, v139
	v_fma_f32 v6, v164, v20, -v6
	v_dual_fmac_f32 v185, v167, v138 :: v_dual_fmac_f32 v186, v169, v140
	v_dual_add_f32 v2, v2, v4 :: v_dual_add_f32 v3, v3, v183
	v_mul_f32_e32 v4, v169, v141
	v_fma_f32 v5, v166, v138, -v5
	v_fmac_f32_e32 v187, v171, v142
	s_delay_alu instid0(VALU_DEP_4) | instskip(SKIP_3) | instid1(VALU_DEP_4)
	v_dual_add_f32 v2, v2, v6 :: v_dual_add_f32 v3, v3, v184
	v_mul_f32_e32 v6, v171, v143
	v_fma_f32 v4, v168, v140, -v4
	v_fmac_f32_e32 v188, v173, v144
	v_add_f32_e32 v2, v2, v5
	v_add_f32_e32 v3, v3, v185
	v_mul_f32_e32 v5, v173, v145
	v_fma_f32 v6, v170, v142, -v6
	s_delay_alu instid0(VALU_DEP_3) | instskip(SKIP_1) | instid1(VALU_DEP_4)
	v_dual_add_f32 v2, v2, v4 :: v_dual_add_f32 v3, v3, v186
	v_mul_f32_e32 v4, v175, v23
	v_fma_f32 v5, v172, v144, -v5
	s_delay_alu instid0(VALU_DEP_3) | instskip(SKIP_1) | instid1(VALU_DEP_4)
	v_dual_add_f32 v2, v2, v6 :: v_dual_add_f32 v3, v3, v187
	v_fmac_f32_e32 v189, v175, v22
	v_fma_f32 v4, v174, v22, -v4
	s_delay_alu instid0(VALU_DEP_3) | instskip(NEXT) | instid1(VALU_DEP_1)
	v_dual_add_f32 v2, v2, v5 :: v_dual_add_f32 v3, v3, v188
	v_dual_add_f32 v2, v2, v4 :: v_dual_add_f32 v3, v3, v189
	s_wait_loadcnt 0x0
	s_delay_alu instid0(VALU_DEP_1)
	v_dual_sub_f32 v2, v135, v2 :: v_dual_sub_f32 v3, v136, v3
	scratch_store_b64 off, v[2:3], off offset:312
	v_cmpx_lt_u32_e32 38, v0
	s_cbranch_execz .LBB118_267
; %bb.266:
	scratch_load_b64 v[3:4], off, off offset:304
	v_mov_b32_e32 v2, v1
	scratch_store_b64 off, v[1:2], off offset:304
	s_wait_loadcnt 0x0
	ds_store_b64 v137, v[3:4]
.LBB118_267:
	s_wait_alu 0xfffe
	s_or_b32 exec_lo, exec_lo, s0
	s_wait_storecnt_dscnt 0x0
	s_barrier_signal -1
	s_barrier_wait -1
	global_inv scope:SCOPE_SE
	s_clause 0x8
	scratch_load_b128 v[2:5], off, off offset:312
	scratch_load_b128 v[6:9], off, off offset:328
	;; [unrolled: 1-line block ×8, first 2 shown]
	scratch_load_b64 v[22:23], off, off offset:304
	ds_load_2addr_b64 v[150:153], v1 offset0:95 offset1:96
	ds_load_2addr_b64 v[154:157], v1 offset0:97 offset1:98
	;; [unrolled: 1-line block ×8, first 2 shown]
	s_mov_b32 s0, exec_lo
	s_wait_loadcnt_dscnt 0x807
	v_dual_mul_f32 v1, v150, v3 :: v_dual_mul_f32 v24, v152, v5
	v_mul_f32_e32 v3, v151, v3
	v_mul_f32_e32 v5, v153, v5
	s_wait_loadcnt_dscnt 0x706
	v_dual_mul_f32 v135, v154, v7 :: v_dual_mul_f32 v136, v156, v9
	v_fmac_f32_e32 v24, v153, v4
	v_fma_f32 v3, v150, v2, -v3
	s_wait_loadcnt_dscnt 0x605
	v_dual_mul_f32 v182, v158, v11 :: v_dual_mul_f32 v183, v160, v13
	v_dual_fmac_f32 v1, v151, v2 :: v_dual_fmac_f32 v136, v157, v8
	v_mul_f32_e32 v2, v155, v7
	v_fma_f32 v4, v152, v4, -v5
	s_delay_alu instid0(VALU_DEP_4) | instskip(NEXT) | instid1(VALU_DEP_4)
	v_dual_add_f32 v3, 0, v3 :: v_dual_fmac_f32 v182, v159, v10
	v_add_f32_e32 v1, 0, v1
	s_delay_alu instid0(VALU_DEP_4) | instskip(SKIP_4) | instid1(VALU_DEP_3)
	v_fma_f32 v2, v154, v6, -v2
	s_wait_loadcnt_dscnt 0x504
	v_dual_mul_f32 v184, v162, v15 :: v_dual_mul_f32 v185, v164, v17
	v_add_f32_e32 v3, v3, v4
	v_dual_mul_f32 v5, v157, v9 :: v_dual_mul_f32 v4, v159, v11
	v_dual_add_f32 v1, v1, v24 :: v_dual_fmac_f32 v184, v163, v14
	s_delay_alu instid0(VALU_DEP_3) | instskip(NEXT) | instid1(VALU_DEP_3)
	v_add_f32_e32 v2, v3, v2
	v_fma_f32 v5, v156, v8, -v5
	v_fmac_f32_e32 v135, v155, v6
	v_fma_f32 v4, v158, v10, -v4
	s_wait_loadcnt_dscnt 0x403
	v_dual_mul_f32 v186, v166, v19 :: v_dual_mul_f32 v187, v168, v21
	s_delay_alu instid0(VALU_DEP_3) | instskip(NEXT) | instid1(VALU_DEP_2)
	v_dual_add_f32 v2, v2, v5 :: v_dual_add_f32 v1, v1, v135
	v_dual_mul_f32 v3, v161, v13 :: v_dual_fmac_f32 v186, v167, v18
	s_wait_loadcnt_dscnt 0x302
	v_dual_mul_f32 v188, v170, v139 :: v_dual_mul_f32 v189, v172, v141
	s_delay_alu instid0(VALU_DEP_3)
	v_add_f32_e32 v2, v2, v4
	v_mul_f32_e32 v4, v165, v17
	v_fma_f32 v3, v160, v12, -v3
	s_wait_loadcnt_dscnt 0x100
	v_dual_add_f32 v1, v1, v136 :: v_dual_mul_f32 v192, v178, v147
	v_mul_f32_e32 v193, v180, v149
	v_fma_f32 v4, v164, v16, -v4
	v_mul_f32_e32 v5, v163, v15
	s_delay_alu instid0(VALU_DEP_4) | instskip(SKIP_1) | instid1(VALU_DEP_3)
	v_dual_add_f32 v2, v2, v3 :: v_dual_add_f32 v1, v1, v182
	v_dual_mul_f32 v190, v174, v143 :: v_dual_mul_f32 v191, v176, v145
	v_fma_f32 v5, v162, v14, -v5
	v_dual_fmac_f32 v183, v161, v12 :: v_dual_fmac_f32 v188, v171, v138
	s_delay_alu instid0(VALU_DEP_3) | instskip(NEXT) | instid1(VALU_DEP_3)
	v_dual_fmac_f32 v190, v175, v142 :: v_dual_fmac_f32 v191, v177, v144
	v_dual_add_f32 v2, v2, v5 :: v_dual_fmac_f32 v193, v181, v148
	v_fmac_f32_e32 v192, v179, v146
	s_delay_alu instid0(VALU_DEP_2) | instskip(SKIP_2) | instid1(VALU_DEP_2)
	v_add_f32_e32 v2, v2, v4
	v_mul_f32_e32 v4, v171, v139
	v_add_f32_e32 v1, v1, v183
	v_fma_f32 v4, v170, v138, -v4
	v_mul_f32_e32 v5, v169, v21
	s_delay_alu instid0(VALU_DEP_3) | instskip(NEXT) | instid1(VALU_DEP_2)
	v_add_f32_e32 v1, v1, v184
	v_fma_f32 v5, v168, v20, -v5
	v_mul_f32_e32 v3, v167, v19
	s_delay_alu instid0(VALU_DEP_1) | instskip(NEXT) | instid1(VALU_DEP_1)
	v_fma_f32 v3, v166, v18, -v3
	v_dual_fmac_f32 v185, v165, v16 :: v_dual_add_f32 v2, v2, v3
	v_mul_f32_e32 v3, v173, v141
	s_delay_alu instid0(VALU_DEP_2) | instskip(NEXT) | instid1(VALU_DEP_2)
	v_dual_add_f32 v2, v2, v5 :: v_dual_mul_f32 v5, v175, v143
	v_fma_f32 v3, v172, v140, -v3
	s_delay_alu instid0(VALU_DEP_2) | instskip(SKIP_1) | instid1(VALU_DEP_4)
	v_dual_add_f32 v2, v2, v4 :: v_dual_add_f32 v1, v1, v185
	v_mul_f32_e32 v4, v177, v145
	v_fma_f32 v5, v174, v142, -v5
	s_delay_alu instid0(VALU_DEP_3) | instskip(SKIP_1) | instid1(VALU_DEP_4)
	v_dual_add_f32 v2, v2, v3 :: v_dual_fmac_f32 v187, v169, v20
	v_mul_f32_e32 v3, v179, v147
	v_fma_f32 v4, v176, v144, -v4
	s_delay_alu instid0(VALU_DEP_3) | instskip(SKIP_1) | instid1(VALU_DEP_4)
	v_dual_add_f32 v2, v2, v5 :: v_dual_add_f32 v1, v1, v186
	v_mul_f32_e32 v5, v181, v149
	v_fma_f32 v3, v178, v146, -v3
	s_delay_alu instid0(VALU_DEP_3) | instskip(SKIP_1) | instid1(VALU_DEP_4)
	v_add_f32_e32 v2, v2, v4
	v_fmac_f32_e32 v189, v173, v140
	v_fma_f32 v4, v180, v148, -v5
	s_delay_alu instid0(VALU_DEP_3) | instskip(NEXT) | instid1(VALU_DEP_1)
	v_add_f32_e32 v2, v2, v3
	v_dual_add_f32 v1, v1, v187 :: v_dual_add_f32 v2, v2, v4
	s_delay_alu instid0(VALU_DEP_1) | instskip(NEXT) | instid1(VALU_DEP_1)
	v_add_f32_e32 v1, v1, v188
	v_add_f32_e32 v1, v1, v189
	s_delay_alu instid0(VALU_DEP_1) | instskip(NEXT) | instid1(VALU_DEP_1)
	v_add_f32_e32 v1, v1, v190
	v_add_f32_e32 v1, v1, v191
	;; [unrolled: 3-line block ×3, first 2 shown]
	s_wait_loadcnt 0x0
	s_delay_alu instid0(VALU_DEP_1)
	v_dual_sub_f32 v1, v22, v2 :: v_dual_sub_f32 v2, v23, v3
	scratch_store_b64 off, v[1:2], off offset:304
	v_cmpx_lt_u32_e32 37, v0
	s_cbranch_execz .LBB118_269
; %bb.268:
	scratch_load_b64 v[1:2], off, off offset:296
	v_mov_b32_e32 v3, 0
	s_delay_alu instid0(VALU_DEP_1)
	v_mov_b32_e32 v4, v3
	scratch_store_b64 off, v[3:4], off offset:296
	s_wait_loadcnt 0x0
	ds_store_b64 v137, v[1:2]
.LBB118_269:
	s_wait_alu 0xfffe
	s_or_b32 exec_lo, exec_lo, s0
	s_wait_storecnt_dscnt 0x0
	s_barrier_signal -1
	s_barrier_wait -1
	global_inv scope:SCOPE_SE
	s_clause 0x9
	scratch_load_b128 v[2:5], off, off offset:304
	scratch_load_b128 v[6:9], off, off offset:320
	;; [unrolled: 1-line block ×8, first 2 shown]
	scratch_load_b64 v[22:23], off, off offset:432
	scratch_load_b64 v[135:136], off, off offset:296
	v_mov_b32_e32 v1, 0
	ds_load_b128 v[150:153], v1 offset:752
	ds_load_b128 v[154:157], v1 offset:768
	ds_load_b128 v[158:161], v1 offset:784
	ds_load_b128 v[162:165], v1 offset:800
	ds_load_b128 v[166:169], v1 offset:816
	ds_load_b128 v[170:173], v1 offset:832
	ds_load_b128 v[174:177], v1 offset:848
	ds_load_b128 v[178:181], v1 offset:864
	ds_load_b64 v[182:183], v1 offset:880
	s_mov_b32 s0, exec_lo
	s_wait_loadcnt_dscnt 0x908
	v_mul_f32_e32 v24, v150, v3
	s_wait_loadcnt_dscnt 0x807
	v_dual_mul_f32 v184, v152, v5 :: v_dual_mul_f32 v185, v154, v7
	v_mul_f32_e32 v3, v151, v3
	s_delay_alu instid0(VALU_DEP_3)
	v_dual_mul_f32 v5, v153, v5 :: v_dual_fmac_f32 v24, v151, v2
	s_wait_loadcnt_dscnt 0x302
	v_mul_f32_e32 v196, v176, v145
	v_dual_mul_f32 v186, v156, v9 :: v_dual_mul_f32 v187, v158, v11
	v_fma_f32 v3, v150, v2, -v3
	s_wait_loadcnt_dscnt 0x100
	v_mul_f32_e32 v199, v182, v23
	v_mul_f32_e32 v2, v155, v7
	v_fmac_f32_e32 v184, v153, v4
	v_fma_f32 v4, v152, v4, -v5
	v_dual_add_f32 v3, 0, v3 :: v_dual_mul_f32 v188, v160, v13
	v_mul_f32_e32 v189, v162, v15
	v_fma_f32 v2, v154, v6, -v2
	v_fmac_f32_e32 v187, v159, v10
	s_delay_alu instid0(VALU_DEP_4)
	v_add_f32_e32 v3, v3, v4
	v_add_f32_e32 v5, 0, v24
	v_fmac_f32_e32 v188, v161, v12
	v_fmac_f32_e32 v186, v157, v8
	v_dual_mul_f32 v190, v164, v17 :: v_dual_mul_f32 v191, v166, v19
	v_dual_add_f32 v2, v3, v2 :: v_dual_mul_f32 v7, v157, v9
	v_dual_fmac_f32 v185, v155, v6 :: v_dual_add_f32 v4, v5, v184
	v_mul_f32_e32 v5, v159, v11
	s_delay_alu instid0(VALU_DEP_4) | instskip(NEXT) | instid1(VALU_DEP_4)
	v_dual_fmac_f32 v189, v163, v14 :: v_dual_fmac_f32 v190, v165, v16
	v_fma_f32 v6, v156, v8, -v7
	s_delay_alu instid0(VALU_DEP_4)
	v_add_f32_e32 v3, v4, v185
	v_mul_f32_e32 v4, v161, v13
	v_fma_f32 v5, v158, v10, -v5
	v_dual_mul_f32 v192, v168, v21 :: v_dual_mul_f32 v193, v170, v139
	v_add_f32_e32 v2, v2, v6
	v_mul_f32_e32 v6, v163, v15
	v_add_f32_e32 v3, v3, v186
	v_fma_f32 v4, v160, v12, -v4
	v_dual_mul_f32 v194, v172, v141 :: v_dual_mul_f32 v195, v174, v143
	s_delay_alu instid0(VALU_DEP_3) | instskip(SKIP_2) | instid1(VALU_DEP_3)
	v_dual_add_f32 v2, v2, v5 :: v_dual_add_f32 v3, v3, v187
	v_mul_f32_e32 v5, v165, v17
	v_fma_f32 v6, v162, v14, -v6
	v_dual_fmac_f32 v191, v167, v18 :: v_dual_add_f32 v2, v2, v4
	s_delay_alu instid0(VALU_DEP_4) | instskip(SKIP_3) | instid1(VALU_DEP_4)
	v_add_f32_e32 v3, v3, v188
	v_mul_f32_e32 v4, v167, v19
	v_fma_f32 v5, v164, v16, -v5
	v_fmac_f32_e32 v192, v169, v20
	v_dual_add_f32 v2, v2, v6 :: v_dual_add_f32 v3, v3, v189
	v_mul_f32_e32 v6, v169, v21
	v_fma_f32 v4, v166, v18, -v4
	v_dual_fmac_f32 v193, v171, v138 :: v_dual_fmac_f32 v194, v173, v140
	s_delay_alu instid0(VALU_DEP_4) | instskip(SKIP_3) | instid1(VALU_DEP_4)
	v_dual_add_f32 v2, v2, v5 :: v_dual_add_f32 v3, v3, v190
	v_mul_f32_e32 v5, v171, v139
	v_fma_f32 v6, v168, v20, -v6
	v_dual_mul_f32 v197, v178, v147 :: v_dual_mul_f32 v198, v180, v149
	v_dual_add_f32 v2, v2, v4 :: v_dual_add_f32 v3, v3, v191
	v_mul_f32_e32 v4, v173, v141
	v_fma_f32 v5, v170, v138, -v5
	v_fmac_f32_e32 v195, v175, v142
	s_delay_alu instid0(VALU_DEP_4) | instskip(SKIP_3) | instid1(VALU_DEP_4)
	v_dual_add_f32 v2, v2, v6 :: v_dual_add_f32 v3, v3, v192
	v_mul_f32_e32 v6, v175, v143
	v_fma_f32 v4, v172, v140, -v4
	v_fmac_f32_e32 v196, v177, v144
	v_add_f32_e32 v2, v2, v5
	v_add_f32_e32 v3, v3, v193
	v_mul_f32_e32 v5, v177, v145
	v_fma_f32 v6, v174, v142, -v6
	s_delay_alu instid0(VALU_DEP_4) | instskip(NEXT) | instid1(VALU_DEP_4)
	v_dual_fmac_f32 v197, v179, v146 :: v_dual_add_f32 v2, v2, v4
	v_add_f32_e32 v3, v3, v194
	v_mul_f32_e32 v4, v179, v147
	v_fma_f32 v5, v176, v144, -v5
	v_fmac_f32_e32 v198, v181, v148
	s_delay_alu instid0(VALU_DEP_4) | instskip(SKIP_2) | instid1(VALU_DEP_3)
	v_dual_add_f32 v2, v2, v6 :: v_dual_add_f32 v3, v3, v195
	v_mul_f32_e32 v6, v181, v149
	v_fma_f32 v4, v178, v146, -v4
	v_dual_add_f32 v2, v2, v5 :: v_dual_add_f32 v3, v3, v196
	v_mul_f32_e32 v5, v183, v23
	s_delay_alu instid0(VALU_DEP_4) | instskip(NEXT) | instid1(VALU_DEP_3)
	v_fma_f32 v6, v180, v148, -v6
	v_dual_add_f32 v2, v2, v4 :: v_dual_add_f32 v3, v3, v197
	s_delay_alu instid0(VALU_DEP_3) | instskip(NEXT) | instid1(VALU_DEP_2)
	v_fma_f32 v4, v182, v22, -v5
	v_add_f32_e32 v3, v3, v198
	s_delay_alu instid0(VALU_DEP_3) | instskip(NEXT) | instid1(VALU_DEP_1)
	v_add_f32_e32 v2, v2, v6
	v_dual_fmac_f32 v199, v183, v22 :: v_dual_add_f32 v2, v2, v4
	s_delay_alu instid0(VALU_DEP_1) | instskip(SKIP_1) | instid1(VALU_DEP_1)
	v_add_f32_e32 v3, v3, v199
	s_wait_loadcnt 0x0
	v_dual_sub_f32 v2, v135, v2 :: v_dual_sub_f32 v3, v136, v3
	scratch_store_b64 off, v[2:3], off offset:296
	v_cmpx_lt_u32_e32 36, v0
	s_cbranch_execz .LBB118_271
; %bb.270:
	scratch_load_b64 v[3:4], off, off offset:288
	v_mov_b32_e32 v2, v1
	scratch_store_b64 off, v[1:2], off offset:288
	s_wait_loadcnt 0x0
	ds_store_b64 v137, v[3:4]
.LBB118_271:
	s_wait_alu 0xfffe
	s_or_b32 exec_lo, exec_lo, s0
	s_wait_storecnt_dscnt 0x0
	s_barrier_signal -1
	s_barrier_wait -1
	global_inv scope:SCOPE_SE
	s_clause 0x9
	scratch_load_b128 v[2:5], off, off offset:296
	scratch_load_b128 v[6:9], off, off offset:312
	;; [unrolled: 1-line block ×9, first 2 shown]
	scratch_load_b64 v[22:23], off, off offset:288
	ds_load_2addr_b64 v[154:157], v1 offset0:93 offset1:94
	ds_load_2addr_b64 v[158:161], v1 offset0:95 offset1:96
	;; [unrolled: 1-line block ×9, first 2 shown]
	s_mov_b32 s0, exec_lo
	s_wait_loadcnt_dscnt 0x908
	v_dual_mul_f32 v1, v154, v3 :: v_dual_mul_f32 v24, v156, v5
	v_mul_f32_e32 v3, v155, v3
	v_mul_f32_e32 v5, v157, v5
	s_wait_loadcnt_dscnt 0x807
	v_dual_mul_f32 v135, v158, v7 :: v_dual_mul_f32 v136, v160, v9
	v_fmac_f32_e32 v24, v157, v4
	v_fma_f32 v3, v154, v2, -v3
	s_wait_loadcnt_dscnt 0x706
	v_dual_mul_f32 v190, v162, v11 :: v_dual_mul_f32 v191, v164, v13
	v_dual_fmac_f32 v1, v155, v2 :: v_dual_fmac_f32 v136, v161, v8
	v_mul_f32_e32 v2, v159, v7
	v_fma_f32 v4, v156, v4, -v5
	s_delay_alu instid0(VALU_DEP_4) | instskip(NEXT) | instid1(VALU_DEP_4)
	v_dual_add_f32 v3, 0, v3 :: v_dual_fmac_f32 v190, v163, v10
	v_add_f32_e32 v1, 0, v1
	s_delay_alu instid0(VALU_DEP_4) | instskip(SKIP_4) | instid1(VALU_DEP_3)
	v_fma_f32 v2, v158, v6, -v2
	s_wait_loadcnt_dscnt 0x605
	v_dual_mul_f32 v192, v166, v15 :: v_dual_mul_f32 v193, v168, v17
	v_add_f32_e32 v3, v3, v4
	v_dual_mul_f32 v5, v161, v9 :: v_dual_mul_f32 v4, v163, v11
	v_dual_add_f32 v1, v1, v24 :: v_dual_fmac_f32 v192, v167, v14
	s_delay_alu instid0(VALU_DEP_3) | instskip(NEXT) | instid1(VALU_DEP_3)
	v_add_f32_e32 v2, v3, v2
	v_fma_f32 v5, v160, v8, -v5
	v_fmac_f32_e32 v135, v159, v6
	v_fma_f32 v4, v162, v10, -v4
	s_wait_loadcnt_dscnt 0x504
	v_dual_mul_f32 v194, v170, v19 :: v_dual_mul_f32 v195, v172, v21
	s_delay_alu instid0(VALU_DEP_3) | instskip(NEXT) | instid1(VALU_DEP_2)
	v_dual_add_f32 v2, v2, v5 :: v_dual_add_f32 v1, v1, v135
	v_dual_mul_f32 v3, v165, v13 :: v_dual_fmac_f32 v194, v171, v18
	s_wait_loadcnt_dscnt 0x403
	v_dual_mul_f32 v196, v174, v139 :: v_dual_mul_f32 v197, v176, v141
	s_delay_alu instid0(VALU_DEP_3)
	v_add_f32_e32 v2, v2, v4
	v_mul_f32_e32 v4, v169, v17
	v_fma_f32 v3, v164, v12, -v3
	s_wait_loadcnt_dscnt 0x201
	v_dual_add_f32 v1, v1, v136 :: v_dual_mul_f32 v200, v182, v147
	v_mul_f32_e32 v201, v184, v149
	v_fma_f32 v4, v168, v16, -v4
	v_mul_f32_e32 v5, v167, v15
	s_delay_alu instid0(VALU_DEP_4) | instskip(SKIP_1) | instid1(VALU_DEP_3)
	v_dual_add_f32 v2, v2, v3 :: v_dual_add_f32 v1, v1, v190
	v_dual_mul_f32 v198, v178, v143 :: v_dual_mul_f32 v199, v180, v145
	v_fma_f32 v5, v166, v14, -v5
	v_dual_fmac_f32 v191, v165, v12 :: v_dual_fmac_f32 v196, v175, v138
	s_delay_alu instid0(VALU_DEP_3) | instskip(SKIP_4) | instid1(VALU_DEP_3)
	v_fmac_f32_e32 v198, v179, v142
	s_wait_loadcnt_dscnt 0x100
	v_dual_mul_f32 v202, v186, v151 :: v_dual_mul_f32 v203, v188, v153
	v_dual_add_f32 v2, v2, v5 :: v_dual_fmac_f32 v197, v177, v140
	v_dual_fmac_f32 v201, v185, v148 :: v_dual_fmac_f32 v200, v183, v146
	v_fmac_f32_e32 v203, v189, v152
	s_delay_alu instid0(VALU_DEP_3) | instskip(SKIP_2) | instid1(VALU_DEP_2)
	v_add_f32_e32 v2, v2, v4
	v_mul_f32_e32 v4, v175, v139
	v_dual_add_f32 v1, v1, v191 :: v_dual_fmac_f32 v202, v187, v150
	v_fma_f32 v4, v174, v138, -v4
	v_mul_f32_e32 v5, v173, v21
	s_delay_alu instid0(VALU_DEP_3) | instskip(NEXT) | instid1(VALU_DEP_2)
	v_add_f32_e32 v1, v1, v192
	v_fma_f32 v5, v172, v20, -v5
	v_mul_f32_e32 v3, v171, v19
	s_delay_alu instid0(VALU_DEP_1) | instskip(NEXT) | instid1(VALU_DEP_1)
	v_fma_f32 v3, v170, v18, -v3
	v_dual_fmac_f32 v193, v169, v16 :: v_dual_add_f32 v2, v2, v3
	v_mul_f32_e32 v3, v177, v141
	s_delay_alu instid0(VALU_DEP_2) | instskip(NEXT) | instid1(VALU_DEP_2)
	v_dual_add_f32 v2, v2, v5 :: v_dual_mul_f32 v5, v179, v143
	v_fma_f32 v3, v176, v140, -v3
	s_delay_alu instid0(VALU_DEP_2) | instskip(SKIP_1) | instid1(VALU_DEP_4)
	v_dual_add_f32 v2, v2, v4 :: v_dual_add_f32 v1, v1, v193
	v_mul_f32_e32 v4, v181, v145
	v_fma_f32 v5, v178, v142, -v5
	s_delay_alu instid0(VALU_DEP_3) | instskip(NEXT) | instid1(VALU_DEP_3)
	v_dual_add_f32 v2, v2, v3 :: v_dual_fmac_f32 v195, v173, v20
	v_fma_f32 v4, v180, v144, -v4
	s_delay_alu instid0(VALU_DEP_2) | instskip(SKIP_1) | instid1(VALU_DEP_2)
	v_add_f32_e32 v2, v2, v5
	v_mul_f32_e32 v5, v185, v149
	v_dual_add_f32 v1, v1, v194 :: v_dual_add_f32 v2, v2, v4
	s_delay_alu instid0(VALU_DEP_2) | instskip(SKIP_1) | instid1(VALU_DEP_3)
	v_fma_f32 v5, v184, v148, -v5
	v_mul_f32_e32 v3, v183, v147
	v_add_f32_e32 v1, v1, v195
	v_mul_f32_e32 v4, v187, v151
	s_delay_alu instid0(VALU_DEP_3) | instskip(NEXT) | instid1(VALU_DEP_3)
	v_fma_f32 v3, v182, v146, -v3
	v_add_f32_e32 v1, v1, v196
	s_delay_alu instid0(VALU_DEP_3) | instskip(NEXT) | instid1(VALU_DEP_3)
	v_fma_f32 v4, v186, v150, -v4
	v_dual_add_f32 v2, v2, v3 :: v_dual_mul_f32 v3, v189, v153
	s_delay_alu instid0(VALU_DEP_1) | instskip(NEXT) | instid1(VALU_DEP_4)
	v_add_f32_e32 v2, v2, v5
	v_add_f32_e32 v1, v1, v197
	s_delay_alu instid0(VALU_DEP_3) | instskip(NEXT) | instid1(VALU_DEP_3)
	v_fma_f32 v3, v188, v152, -v3
	v_add_f32_e32 v2, v2, v4
	v_fmac_f32_e32 v199, v181, v144
	s_delay_alu instid0(VALU_DEP_2) | instskip(NEXT) | instid1(VALU_DEP_1)
	v_dual_add_f32 v1, v1, v198 :: v_dual_add_f32 v2, v2, v3
	v_add_f32_e32 v1, v1, v199
	s_delay_alu instid0(VALU_DEP_1) | instskip(NEXT) | instid1(VALU_DEP_1)
	v_add_f32_e32 v1, v1, v200
	v_add_f32_e32 v1, v1, v201
	s_delay_alu instid0(VALU_DEP_1) | instskip(NEXT) | instid1(VALU_DEP_1)
	v_add_f32_e32 v1, v1, v202
	v_add_f32_e32 v3, v1, v203
	s_wait_loadcnt 0x0
	s_delay_alu instid0(VALU_DEP_1)
	v_dual_sub_f32 v1, v22, v2 :: v_dual_sub_f32 v2, v23, v3
	scratch_store_b64 off, v[1:2], off offset:288
	v_cmpx_lt_u32_e32 35, v0
	s_cbranch_execz .LBB118_273
; %bb.272:
	scratch_load_b64 v[1:2], off, off offset:280
	v_mov_b32_e32 v3, 0
	s_delay_alu instid0(VALU_DEP_1)
	v_mov_b32_e32 v4, v3
	scratch_store_b64 off, v[3:4], off offset:280
	s_wait_loadcnt 0x0
	ds_store_b64 v137, v[1:2]
.LBB118_273:
	s_wait_alu 0xfffe
	s_or_b32 exec_lo, exec_lo, s0
	s_wait_storecnt_dscnt 0x0
	s_barrier_signal -1
	s_barrier_wait -1
	global_inv scope:SCOPE_SE
	s_clause 0xa
	scratch_load_b128 v[2:5], off, off offset:288
	scratch_load_b128 v[6:9], off, off offset:304
	scratch_load_b128 v[10:13], off, off offset:320
	scratch_load_b128 v[14:17], off, off offset:336
	scratch_load_b128 v[18:21], off, off offset:352
	scratch_load_b128 v[138:141], off, off offset:368
	scratch_load_b128 v[142:145], off, off offset:384
	scratch_load_b128 v[146:149], off, off offset:400
	scratch_load_b128 v[150:153], off, off offset:416
	scratch_load_b64 v[22:23], off, off offset:432
	scratch_load_b64 v[135:136], off, off offset:280
	v_mov_b32_e32 v1, 0
	ds_load_b128 v[154:157], v1 offset:736
	ds_load_b128 v[158:161], v1 offset:752
	;; [unrolled: 1-line block ×9, first 2 shown]
	ds_load_b64 v[190:191], v1 offset:880
	s_mov_b32 s0, exec_lo
	s_wait_loadcnt_dscnt 0xa09
	v_mul_f32_e32 v24, v154, v3
	s_wait_loadcnt_dscnt 0x908
	v_dual_mul_f32 v192, v156, v5 :: v_dual_mul_f32 v193, v158, v7
	v_mul_f32_e32 v3, v155, v3
	s_delay_alu instid0(VALU_DEP_3)
	v_dual_mul_f32 v5, v157, v5 :: v_dual_fmac_f32 v24, v155, v2
	s_wait_loadcnt_dscnt 0x807
	v_dual_mul_f32 v194, v160, v9 :: v_dual_mul_f32 v195, v162, v11
	s_wait_loadcnt_dscnt 0x302
	v_mul_f32_e32 v206, v184, v149
	v_fma_f32 v3, v154, v2, -v3
	s_wait_loadcnt_dscnt 0x100
	v_mul_f32_e32 v209, v190, v23
	v_mul_f32_e32 v2, v159, v7
	v_fmac_f32_e32 v192, v157, v4
	v_fma_f32 v4, v156, v4, -v5
	v_dual_add_f32 v3, 0, v3 :: v_dual_mul_f32 v196, v164, v13
	v_mul_f32_e32 v197, v166, v15
	v_fma_f32 v2, v158, v6, -v2
	v_fmac_f32_e32 v195, v163, v10
	s_delay_alu instid0(VALU_DEP_4) | instskip(SKIP_3) | instid1(VALU_DEP_4)
	v_add_f32_e32 v3, v3, v4
	v_add_f32_e32 v5, 0, v24
	v_fmac_f32_e32 v196, v165, v12
	v_dual_mul_f32 v198, v168, v17 :: v_dual_mul_f32 v199, v170, v19
	v_dual_add_f32 v2, v3, v2 :: v_dual_mul_f32 v7, v161, v9
	s_delay_alu instid0(VALU_DEP_4) | instskip(SKIP_1) | instid1(VALU_DEP_3)
	v_dual_fmac_f32 v193, v159, v6 :: v_dual_add_f32 v4, v5, v192
	v_dual_mul_f32 v5, v163, v11 :: v_dual_fmac_f32 v194, v161, v8
	v_fma_f32 v6, v160, v8, -v7
	v_dual_fmac_f32 v197, v167, v14 :: v_dual_fmac_f32 v198, v169, v16
	s_delay_alu instid0(VALU_DEP_4)
	v_add_f32_e32 v3, v4, v193
	v_mul_f32_e32 v4, v165, v13
	v_fma_f32 v5, v162, v10, -v5
	v_add_f32_e32 v2, v2, v6
	v_mul_f32_e32 v6, v167, v15
	v_add_f32_e32 v3, v3, v194
	v_fma_f32 v4, v164, v12, -v4
	v_dual_mul_f32 v200, v172, v21 :: v_dual_mul_f32 v201, v174, v139
	s_delay_alu instid0(VALU_DEP_3) | instskip(SKIP_3) | instid1(VALU_DEP_4)
	v_dual_add_f32 v2, v2, v5 :: v_dual_add_f32 v3, v3, v195
	v_mul_f32_e32 v5, v169, v17
	v_fma_f32 v6, v166, v14, -v6
	v_dual_mul_f32 v202, v176, v141 :: v_dual_mul_f32 v203, v178, v143
	v_add_f32_e32 v2, v2, v4
	v_add_f32_e32 v3, v3, v196
	v_mul_f32_e32 v4, v171, v19
	v_fma_f32 v5, v168, v16, -v5
	v_fmac_f32_e32 v199, v171, v18
	s_delay_alu instid0(VALU_DEP_4) | instskip(SKIP_3) | instid1(VALU_DEP_4)
	v_dual_add_f32 v2, v2, v6 :: v_dual_add_f32 v3, v3, v197
	v_fmac_f32_e32 v200, v173, v20
	v_mul_f32_e32 v6, v173, v21
	v_fma_f32 v4, v170, v18, -v4
	v_dual_add_f32 v2, v2, v5 :: v_dual_add_f32 v3, v3, v198
	v_mul_f32_e32 v5, v175, v139
	s_delay_alu instid0(VALU_DEP_4) | instskip(SKIP_1) | instid1(VALU_DEP_4)
	v_fma_f32 v6, v172, v20, -v6
	v_dual_fmac_f32 v201, v175, v138 :: v_dual_fmac_f32 v202, v177, v140
	v_dual_add_f32 v2, v2, v4 :: v_dual_add_f32 v3, v3, v199
	v_mul_f32_e32 v4, v177, v141
	v_fma_f32 v5, v174, v138, -v5
	v_fmac_f32_e32 v203, v179, v142
	s_delay_alu instid0(VALU_DEP_4) | instskip(SKIP_3) | instid1(VALU_DEP_4)
	v_dual_add_f32 v2, v2, v6 :: v_dual_add_f32 v3, v3, v200
	v_mul_f32_e32 v6, v179, v143
	v_fma_f32 v4, v176, v140, -v4
	v_dual_mul_f32 v204, v180, v145 :: v_dual_mul_f32 v205, v182, v147
	v_add_f32_e32 v2, v2, v5
	v_add_f32_e32 v3, v3, v201
	v_mul_f32_e32 v5, v181, v145
	v_fma_f32 v6, v178, v142, -v6
	v_fmac_f32_e32 v204, v181, v144
	s_delay_alu instid0(VALU_DEP_4) | instskip(SKIP_3) | instid1(VALU_DEP_4)
	v_dual_add_f32 v2, v2, v4 :: v_dual_add_f32 v3, v3, v202
	v_mul_f32_e32 v4, v183, v147
	v_fma_f32 v5, v180, v144, -v5
	v_fmac_f32_e32 v205, v183, v146
	v_dual_add_f32 v2, v2, v6 :: v_dual_add_f32 v3, v3, v203
	v_mul_f32_e32 v6, v185, v149
	v_fma_f32 v4, v182, v146, -v4
	v_dual_mul_f32 v207, v186, v151 :: v_dual_mul_f32 v208, v188, v153
	s_delay_alu instid0(VALU_DEP_4) | instskip(SKIP_2) | instid1(VALU_DEP_3)
	v_dual_add_f32 v2, v2, v5 :: v_dual_add_f32 v3, v3, v204
	v_dual_mul_f32 v5, v187, v151 :: v_dual_fmac_f32 v206, v185, v148
	v_fma_f32 v6, v184, v148, -v6
	v_dual_add_f32 v2, v2, v4 :: v_dual_add_f32 v3, v3, v205
	v_dual_mul_f32 v4, v189, v153 :: v_dual_fmac_f32 v207, v187, v150
	s_delay_alu instid0(VALU_DEP_4) | instskip(NEXT) | instid1(VALU_DEP_3)
	v_fma_f32 v5, v186, v150, -v5
	v_dual_fmac_f32 v208, v189, v152 :: v_dual_add_f32 v3, v3, v206
	s_delay_alu instid0(VALU_DEP_4) | instskip(SKIP_3) | instid1(VALU_DEP_4)
	v_add_f32_e32 v2, v2, v6
	v_mul_f32_e32 v6, v191, v23
	v_fma_f32 v4, v188, v152, -v4
	v_fmac_f32_e32 v209, v191, v22
	v_dual_add_f32 v3, v3, v207 :: v_dual_add_f32 v2, v2, v5
	s_delay_alu instid0(VALU_DEP_4) | instskip(NEXT) | instid1(VALU_DEP_2)
	v_fma_f32 v5, v190, v22, -v6
	v_add_f32_e32 v3, v3, v208
	s_delay_alu instid0(VALU_DEP_1) | instskip(SKIP_1) | instid1(VALU_DEP_1)
	v_dual_add_f32 v2, v2, v4 :: v_dual_add_f32 v3, v3, v209
	s_wait_loadcnt 0x0
	v_dual_add_f32 v2, v2, v5 :: v_dual_sub_f32 v3, v136, v3
	s_delay_alu instid0(VALU_DEP_1)
	v_sub_f32_e32 v2, v135, v2
	scratch_store_b64 off, v[2:3], off offset:280
	v_cmpx_lt_u32_e32 34, v0
	s_cbranch_execz .LBB118_275
; %bb.274:
	scratch_load_b64 v[3:4], off, off offset:272
	v_mov_b32_e32 v2, v1
	scratch_store_b64 off, v[1:2], off offset:272
	s_wait_loadcnt 0x0
	ds_store_b64 v137, v[3:4]
.LBB118_275:
	s_wait_alu 0xfffe
	s_or_b32 exec_lo, exec_lo, s0
	s_wait_storecnt_dscnt 0x0
	s_barrier_signal -1
	s_barrier_wait -1
	global_inv scope:SCOPE_SE
	s_clause 0xa
	scratch_load_b128 v[2:5], off, off offset:280
	scratch_load_b128 v[6:9], off, off offset:296
	scratch_load_b128 v[10:13], off, off offset:312
	scratch_load_b128 v[14:17], off, off offset:328
	scratch_load_b128 v[18:21], off, off offset:344
	scratch_load_b128 v[138:141], off, off offset:360
	scratch_load_b128 v[142:145], off, off offset:376
	scratch_load_b128 v[146:149], off, off offset:392
	scratch_load_b128 v[150:153], off, off offset:408
	scratch_load_b128 v[154:157], off, off offset:424
	scratch_load_b64 v[22:23], off, off offset:272
	ds_load_2addr_b64 v[158:161], v1 offset0:91 offset1:92
	ds_load_2addr_b64 v[162:165], v1 offset0:93 offset1:94
	;; [unrolled: 1-line block ×10, first 2 shown]
	s_mov_b32 s0, exec_lo
	s_wait_loadcnt_dscnt 0xa09
	v_dual_mul_f32 v1, v158, v3 :: v_dual_mul_f32 v24, v160, v5
	v_mul_f32_e32 v3, v159, v3
	v_mul_f32_e32 v5, v161, v5
	s_wait_loadcnt_dscnt 0x908
	v_dual_mul_f32 v135, v162, v7 :: v_dual_mul_f32 v136, v164, v9
	v_fmac_f32_e32 v24, v161, v4
	v_fma_f32 v3, v158, v2, -v3
	s_wait_loadcnt_dscnt 0x807
	v_dual_mul_f32 v198, v166, v11 :: v_dual_mul_f32 v199, v168, v13
	v_dual_fmac_f32 v1, v159, v2 :: v_dual_fmac_f32 v136, v165, v8
	v_mul_f32_e32 v2, v163, v7
	v_fma_f32 v4, v160, v4, -v5
	s_delay_alu instid0(VALU_DEP_4) | instskip(NEXT) | instid1(VALU_DEP_4)
	v_dual_add_f32 v3, 0, v3 :: v_dual_fmac_f32 v198, v167, v10
	v_add_f32_e32 v1, 0, v1
	s_delay_alu instid0(VALU_DEP_4) | instskip(SKIP_4) | instid1(VALU_DEP_3)
	v_fma_f32 v2, v162, v6, -v2
	s_wait_loadcnt_dscnt 0x706
	v_dual_mul_f32 v200, v170, v15 :: v_dual_mul_f32 v201, v172, v17
	v_add_f32_e32 v3, v3, v4
	v_dual_mul_f32 v5, v165, v9 :: v_dual_mul_f32 v4, v167, v11
	v_dual_add_f32 v1, v1, v24 :: v_dual_fmac_f32 v200, v171, v14
	s_delay_alu instid0(VALU_DEP_3) | instskip(NEXT) | instid1(VALU_DEP_3)
	v_add_f32_e32 v2, v3, v2
	v_fma_f32 v5, v164, v8, -v5
	v_fmac_f32_e32 v135, v163, v6
	v_fma_f32 v4, v166, v10, -v4
	s_wait_loadcnt_dscnt 0x605
	v_dual_mul_f32 v202, v174, v19 :: v_dual_mul_f32 v203, v176, v21
	s_delay_alu instid0(VALU_DEP_3) | instskip(NEXT) | instid1(VALU_DEP_2)
	v_dual_add_f32 v2, v2, v5 :: v_dual_add_f32 v1, v1, v135
	v_dual_mul_f32 v3, v169, v13 :: v_dual_fmac_f32 v202, v175, v18
	s_wait_loadcnt_dscnt 0x504
	v_dual_mul_f32 v204, v178, v139 :: v_dual_mul_f32 v205, v180, v141
	s_delay_alu instid0(VALU_DEP_3)
	v_add_f32_e32 v2, v2, v4
	v_mul_f32_e32 v4, v173, v17
	v_fma_f32 v3, v168, v12, -v3
	s_wait_loadcnt_dscnt 0x302
	v_dual_add_f32 v1, v1, v136 :: v_dual_mul_f32 v208, v186, v147
	v_mul_f32_e32 v209, v188, v149
	v_fma_f32 v4, v172, v16, -v4
	v_mul_f32_e32 v5, v171, v15
	s_delay_alu instid0(VALU_DEP_4) | instskip(SKIP_1) | instid1(VALU_DEP_3)
	v_dual_add_f32 v2, v2, v3 :: v_dual_add_f32 v1, v1, v198
	v_dual_mul_f32 v206, v182, v143 :: v_dual_mul_f32 v207, v184, v145
	v_fma_f32 v5, v170, v14, -v5
	v_dual_fmac_f32 v199, v169, v12 :: v_dual_fmac_f32 v204, v179, v138
	s_delay_alu instid0(VALU_DEP_3)
	v_fmac_f32_e32 v206, v183, v142
	s_wait_loadcnt_dscnt 0x201
	v_dual_mul_f32 v210, v190, v151 :: v_dual_mul_f32 v211, v192, v153
	v_dual_add_f32 v2, v2, v5 :: v_dual_fmac_f32 v205, v181, v140
	s_wait_loadcnt_dscnt 0x100
	v_dual_mul_f32 v212, v194, v155 :: v_dual_mul_f32 v213, v196, v157
	v_fmac_f32_e32 v207, v185, v144
	s_delay_alu instid0(VALU_DEP_3) | instskip(SKIP_1) | instid1(VALU_DEP_4)
	v_add_f32_e32 v2, v2, v4
	v_mul_f32_e32 v4, v179, v139
	v_dual_add_f32 v1, v1, v199 :: v_dual_fmac_f32 v212, v195, v154
	v_fmac_f32_e32 v209, v189, v148
	v_fmac_f32_e32 v211, v193, v152
	s_delay_alu instid0(VALU_DEP_4) | instskip(SKIP_3) | instid1(VALU_DEP_3)
	v_fma_f32 v4, v178, v138, -v4
	v_mul_f32_e32 v5, v177, v21
	v_dual_add_f32 v1, v1, v200 :: v_dual_fmac_f32 v208, v187, v146
	v_dual_fmac_f32 v213, v197, v156 :: v_dual_fmac_f32 v210, v191, v150
	v_fma_f32 v5, v176, v20, -v5
	v_mul_f32_e32 v3, v175, v19
	s_delay_alu instid0(VALU_DEP_1) | instskip(NEXT) | instid1(VALU_DEP_1)
	v_fma_f32 v3, v174, v18, -v3
	v_dual_fmac_f32 v201, v173, v16 :: v_dual_add_f32 v2, v2, v3
	v_mul_f32_e32 v3, v181, v141
	s_delay_alu instid0(VALU_DEP_2) | instskip(NEXT) | instid1(VALU_DEP_2)
	v_dual_add_f32 v2, v2, v5 :: v_dual_mul_f32 v5, v183, v143
	v_fma_f32 v3, v180, v140, -v3
	s_delay_alu instid0(VALU_DEP_2) | instskip(SKIP_1) | instid1(VALU_DEP_4)
	v_dual_add_f32 v2, v2, v4 :: v_dual_add_f32 v1, v1, v201
	v_mul_f32_e32 v4, v185, v145
	v_fma_f32 v5, v182, v142, -v5
	s_delay_alu instid0(VALU_DEP_3) | instskip(NEXT) | instid1(VALU_DEP_3)
	v_dual_add_f32 v2, v2, v3 :: v_dual_fmac_f32 v203, v177, v20
	v_fma_f32 v4, v184, v144, -v4
	s_delay_alu instid0(VALU_DEP_2) | instskip(SKIP_1) | instid1(VALU_DEP_2)
	v_add_f32_e32 v2, v2, v5
	v_mul_f32_e32 v5, v189, v149
	v_dual_add_f32 v1, v1, v202 :: v_dual_add_f32 v2, v2, v4
	s_delay_alu instid0(VALU_DEP_2) | instskip(SKIP_1) | instid1(VALU_DEP_3)
	v_fma_f32 v5, v188, v148, -v5
	v_mul_f32_e32 v3, v187, v147
	v_add_f32_e32 v1, v1, v203
	v_mul_f32_e32 v4, v191, v151
	s_delay_alu instid0(VALU_DEP_3) | instskip(NEXT) | instid1(VALU_DEP_3)
	v_fma_f32 v3, v186, v146, -v3
	v_add_f32_e32 v1, v1, v204
	s_delay_alu instid0(VALU_DEP_3) | instskip(NEXT) | instid1(VALU_DEP_3)
	v_fma_f32 v4, v190, v150, -v4
	v_dual_add_f32 v2, v2, v3 :: v_dual_mul_f32 v3, v193, v153
	s_delay_alu instid0(VALU_DEP_1) | instskip(NEXT) | instid1(VALU_DEP_4)
	v_add_f32_e32 v2, v2, v5
	v_add_f32_e32 v1, v1, v205
	v_mul_f32_e32 v5, v195, v155
	s_delay_alu instid0(VALU_DEP_4) | instskip(NEXT) | instid1(VALU_DEP_3)
	v_fma_f32 v3, v192, v152, -v3
	v_dual_add_f32 v2, v2, v4 :: v_dual_add_f32 v1, v1, v206
	v_mul_f32_e32 v4, v197, v157
	s_delay_alu instid0(VALU_DEP_4) | instskip(NEXT) | instid1(VALU_DEP_3)
	v_fma_f32 v5, v194, v154, -v5
	v_add_f32_e32 v2, v2, v3
	s_delay_alu instid0(VALU_DEP_4) | instskip(NEXT) | instid1(VALU_DEP_4)
	v_add_f32_e32 v1, v1, v207
	v_fma_f32 v3, v196, v156, -v4
	s_delay_alu instid0(VALU_DEP_2) | instskip(NEXT) | instid1(VALU_DEP_1)
	v_dual_add_f32 v2, v2, v5 :: v_dual_add_f32 v1, v1, v208
	v_dual_add_f32 v2, v2, v3 :: v_dual_add_f32 v1, v1, v209
	s_delay_alu instid0(VALU_DEP_1) | instskip(NEXT) | instid1(VALU_DEP_1)
	v_add_f32_e32 v1, v1, v210
	v_add_f32_e32 v1, v1, v211
	s_delay_alu instid0(VALU_DEP_1) | instskip(NEXT) | instid1(VALU_DEP_1)
	v_add_f32_e32 v1, v1, v212
	v_add_f32_e32 v3, v1, v213
	s_wait_loadcnt 0x0
	s_delay_alu instid0(VALU_DEP_1)
	v_dual_sub_f32 v1, v22, v2 :: v_dual_sub_f32 v2, v23, v3
	scratch_store_b64 off, v[1:2], off offset:272
	v_cmpx_lt_u32_e32 33, v0
	s_cbranch_execz .LBB118_277
; %bb.276:
	scratch_load_b64 v[1:2], off, off offset:264
	v_mov_b32_e32 v3, 0
	s_delay_alu instid0(VALU_DEP_1)
	v_mov_b32_e32 v4, v3
	scratch_store_b64 off, v[3:4], off offset:264
	s_wait_loadcnt 0x0
	ds_store_b64 v137, v[1:2]
.LBB118_277:
	s_wait_alu 0xfffe
	s_or_b32 exec_lo, exec_lo, s0
	s_wait_storecnt_dscnt 0x0
	s_barrier_signal -1
	s_barrier_wait -1
	global_inv scope:SCOPE_SE
	s_clause 0xb
	scratch_load_b128 v[2:5], off, off offset:272
	scratch_load_b128 v[6:9], off, off offset:288
	scratch_load_b128 v[10:13], off, off offset:304
	scratch_load_b128 v[14:17], off, off offset:320
	scratch_load_b128 v[18:21], off, off offset:336
	scratch_load_b128 v[138:141], off, off offset:352
	scratch_load_b128 v[142:145], off, off offset:368
	scratch_load_b128 v[146:149], off, off offset:384
	scratch_load_b128 v[150:153], off, off offset:400
	scratch_load_b128 v[154:157], off, off offset:416
	scratch_load_b64 v[22:23], off, off offset:432
	scratch_load_b64 v[135:136], off, off offset:264
	v_mov_b32_e32 v1, 0
	ds_load_b128 v[158:161], v1 offset:720
	ds_load_b128 v[162:165], v1 offset:736
	;; [unrolled: 1-line block ×10, first 2 shown]
	ds_load_b64 v[198:199], v1 offset:880
	s_mov_b32 s0, exec_lo
	s_wait_loadcnt_dscnt 0xb0a
	v_mul_f32_e32 v24, v158, v3
	s_wait_loadcnt_dscnt 0xa09
	v_dual_mul_f32 v200, v160, v5 :: v_dual_mul_f32 v201, v162, v7
	v_mul_f32_e32 v5, v161, v5
	v_dual_mul_f32 v3, v159, v3 :: v_dual_mul_f32 v202, v164, v9
	s_wait_loadcnt_dscnt 0x908
	v_dual_mul_f32 v203, v166, v11 :: v_dual_fmac_f32 v24, v159, v2
	s_wait_loadcnt_dscnt 0x302
	v_mul_f32_e32 v216, v192, v153
	v_fma_f32 v3, v158, v2, -v3
	s_wait_loadcnt_dscnt 0x100
	v_mul_f32_e32 v219, v198, v23
	v_mul_f32_e32 v2, v163, v7
	v_fmac_f32_e32 v200, v161, v4
	v_fma_f32 v4, v160, v4, -v5
	v_dual_add_f32 v3, 0, v3 :: v_dual_mul_f32 v204, v168, v13
	v_mul_f32_e32 v205, v170, v15
	v_fma_f32 v2, v162, v6, -v2
	v_fmac_f32_e32 v203, v167, v10
	s_delay_alu instid0(VALU_DEP_4) | instskip(SKIP_3) | instid1(VALU_DEP_4)
	v_add_f32_e32 v3, v3, v4
	v_add_f32_e32 v5, 0, v24
	v_fmac_f32_e32 v204, v169, v12
	v_dual_mul_f32 v206, v172, v17 :: v_dual_mul_f32 v207, v174, v19
	v_dual_add_f32 v2, v3, v2 :: v_dual_mul_f32 v7, v165, v9
	s_delay_alu instid0(VALU_DEP_4) | instskip(SKIP_1) | instid1(VALU_DEP_3)
	v_dual_fmac_f32 v201, v163, v6 :: v_dual_add_f32 v4, v5, v200
	v_dual_mul_f32 v5, v167, v11 :: v_dual_fmac_f32 v202, v165, v8
	v_fma_f32 v6, v164, v8, -v7
	v_dual_fmac_f32 v205, v171, v14 :: v_dual_fmac_f32 v206, v173, v16
	s_delay_alu instid0(VALU_DEP_4)
	v_add_f32_e32 v3, v4, v201
	v_mul_f32_e32 v4, v169, v13
	v_fma_f32 v5, v166, v10, -v5
	v_add_f32_e32 v2, v2, v6
	v_mul_f32_e32 v6, v171, v15
	v_add_f32_e32 v3, v3, v202
	v_fma_f32 v4, v168, v12, -v4
	v_dual_mul_f32 v208, v176, v21 :: v_dual_mul_f32 v209, v178, v139
	s_delay_alu instid0(VALU_DEP_3) | instskip(SKIP_3) | instid1(VALU_DEP_4)
	v_dual_add_f32 v2, v2, v5 :: v_dual_add_f32 v3, v3, v203
	v_mul_f32_e32 v5, v173, v17
	v_fma_f32 v6, v170, v14, -v6
	v_dual_mul_f32 v210, v180, v141 :: v_dual_mul_f32 v211, v182, v143
	v_add_f32_e32 v2, v2, v4
	v_add_f32_e32 v3, v3, v204
	v_mul_f32_e32 v4, v175, v19
	v_fma_f32 v5, v172, v16, -v5
	v_fmac_f32_e32 v207, v175, v18
	s_delay_alu instid0(VALU_DEP_4) | instskip(SKIP_3) | instid1(VALU_DEP_4)
	v_dual_add_f32 v2, v2, v6 :: v_dual_add_f32 v3, v3, v205
	v_fmac_f32_e32 v208, v177, v20
	v_mul_f32_e32 v6, v177, v21
	v_fma_f32 v4, v174, v18, -v4
	v_dual_add_f32 v2, v2, v5 :: v_dual_add_f32 v3, v3, v206
	v_mul_f32_e32 v5, v179, v139
	s_delay_alu instid0(VALU_DEP_4) | instskip(SKIP_1) | instid1(VALU_DEP_4)
	v_fma_f32 v6, v176, v20, -v6
	v_dual_fmac_f32 v209, v179, v138 :: v_dual_fmac_f32 v210, v181, v140
	v_dual_add_f32 v2, v2, v4 :: v_dual_add_f32 v3, v3, v207
	v_mul_f32_e32 v4, v181, v141
	v_fma_f32 v5, v178, v138, -v5
	v_dual_mul_f32 v212, v184, v145 :: v_dual_mul_f32 v213, v186, v147
	s_delay_alu instid0(VALU_DEP_4) | instskip(SKIP_2) | instid1(VALU_DEP_3)
	v_dual_add_f32 v2, v2, v6 :: v_dual_add_f32 v3, v3, v208
	v_mul_f32_e32 v6, v183, v143
	v_fma_f32 v4, v180, v140, -v4
	v_dual_fmac_f32 v211, v183, v142 :: v_dual_add_f32 v2, v2, v5
	s_delay_alu instid0(VALU_DEP_4) | instskip(SKIP_3) | instid1(VALU_DEP_4)
	v_add_f32_e32 v3, v3, v209
	v_mul_f32_e32 v5, v185, v145
	v_fma_f32 v6, v182, v142, -v6
	v_fmac_f32_e32 v212, v185, v144
	v_dual_add_f32 v2, v2, v4 :: v_dual_add_f32 v3, v3, v210
	v_mul_f32_e32 v4, v187, v147
	v_fma_f32 v5, v184, v144, -v5
	v_dual_mul_f32 v214, v188, v149 :: v_dual_mul_f32 v215, v190, v151
	s_delay_alu instid0(VALU_DEP_4) | instskip(SKIP_2) | instid1(VALU_DEP_3)
	v_dual_add_f32 v2, v2, v6 :: v_dual_add_f32 v3, v3, v211
	v_dual_mul_f32 v6, v189, v149 :: v_dual_fmac_f32 v213, v187, v146
	v_fma_f32 v4, v186, v146, -v4
	v_dual_add_f32 v2, v2, v5 :: v_dual_add_f32 v3, v3, v212
	v_dual_mul_f32 v5, v191, v151 :: v_dual_fmac_f32 v214, v189, v148
	s_delay_alu instid0(VALU_DEP_4) | instskip(NEXT) | instid1(VALU_DEP_3)
	v_fma_f32 v6, v188, v148, -v6
	v_dual_add_f32 v2, v2, v4 :: v_dual_add_f32 v3, v3, v213
	v_dual_mul_f32 v4, v193, v153 :: v_dual_fmac_f32 v215, v191, v150
	s_delay_alu instid0(VALU_DEP_4) | instskip(NEXT) | instid1(VALU_DEP_3)
	v_fma_f32 v5, v190, v150, -v5
	v_dual_fmac_f32 v216, v193, v152 :: v_dual_add_f32 v3, v3, v214
	s_delay_alu instid0(VALU_DEP_4) | instskip(SKIP_3) | instid1(VALU_DEP_4)
	v_add_f32_e32 v2, v2, v6
	v_dual_mul_f32 v217, v194, v155 :: v_dual_mul_f32 v218, v196, v157
	v_mul_f32_e32 v6, v195, v155
	v_fma_f32 v4, v192, v152, -v4
	v_dual_add_f32 v3, v3, v215 :: v_dual_add_f32 v2, v2, v5
	s_delay_alu instid0(VALU_DEP_4) | instskip(SKIP_2) | instid1(VALU_DEP_4)
	v_fmac_f32_e32 v217, v195, v154
	v_mul_f32_e32 v5, v197, v157
	v_fma_f32 v6, v194, v154, -v6
	v_add_f32_e32 v3, v3, v216
	v_add_f32_e32 v2, v2, v4
	v_mul_f32_e32 v4, v199, v23
	v_dual_fmac_f32 v218, v197, v156 :: v_dual_fmac_f32 v219, v199, v22
	v_fma_f32 v5, v196, v156, -v5
	s_delay_alu instid0(VALU_DEP_4) | instskip(NEXT) | instid1(VALU_DEP_4)
	v_dual_add_f32 v3, v3, v217 :: v_dual_add_f32 v2, v2, v6
	v_fma_f32 v4, v198, v22, -v4
	s_delay_alu instid0(VALU_DEP_2) | instskip(NEXT) | instid1(VALU_DEP_1)
	v_dual_add_f32 v3, v3, v218 :: v_dual_add_f32 v2, v2, v5
	v_dual_add_f32 v3, v3, v219 :: v_dual_add_f32 v2, v2, v4
	s_wait_loadcnt 0x0
	s_delay_alu instid0(VALU_DEP_1)
	v_dual_sub_f32 v3, v136, v3 :: v_dual_sub_f32 v2, v135, v2
	scratch_store_b64 off, v[2:3], off offset:264
	v_cmpx_lt_u32_e32 32, v0
	s_cbranch_execz .LBB118_279
; %bb.278:
	scratch_load_b64 v[3:4], off, off offset:256
	v_mov_b32_e32 v2, v1
	scratch_store_b64 off, v[1:2], off offset:256
	s_wait_loadcnt 0x0
	ds_store_b64 v137, v[3:4]
.LBB118_279:
	s_wait_alu 0xfffe
	s_or_b32 exec_lo, exec_lo, s0
	s_wait_storecnt_dscnt 0x0
	s_barrier_signal -1
	s_barrier_wait -1
	global_inv scope:SCOPE_SE
	s_clause 0xb
	scratch_load_b128 v[2:5], off, off offset:264
	scratch_load_b128 v[6:9], off, off offset:280
	;; [unrolled: 1-line block ×11, first 2 shown]
	scratch_load_b64 v[22:23], off, off offset:256
	ds_load_2addr_b64 v[162:165], v1 offset0:89 offset1:90
	ds_load_2addr_b64 v[166:169], v1 offset0:91 offset1:92
	;; [unrolled: 1-line block ×11, first 2 shown]
	s_mov_b32 s0, exec_lo
	s_wait_loadcnt_dscnt 0xb0a
	v_dual_mul_f32 v1, v162, v3 :: v_dual_mul_f32 v24, v164, v5
	v_mul_f32_e32 v3, v163, v3
	v_mul_f32_e32 v5, v165, v5
	s_wait_loadcnt_dscnt 0xa09
	v_dual_mul_f32 v135, v166, v7 :: v_dual_mul_f32 v136, v168, v9
	v_fmac_f32_e32 v24, v165, v4
	v_fma_f32 v3, v162, v2, -v3
	s_wait_loadcnt_dscnt 0x908
	v_dual_mul_f32 v206, v170, v11 :: v_dual_mul_f32 v207, v172, v13
	v_dual_fmac_f32 v1, v163, v2 :: v_dual_fmac_f32 v136, v169, v8
	v_mul_f32_e32 v2, v167, v7
	v_fma_f32 v4, v164, v4, -v5
	s_delay_alu instid0(VALU_DEP_4) | instskip(NEXT) | instid1(VALU_DEP_4)
	v_dual_add_f32 v3, 0, v3 :: v_dual_fmac_f32 v206, v171, v10
	v_add_f32_e32 v1, 0, v1
	s_delay_alu instid0(VALU_DEP_4) | instskip(SKIP_4) | instid1(VALU_DEP_3)
	v_fma_f32 v2, v166, v6, -v2
	s_wait_loadcnt_dscnt 0x807
	v_dual_mul_f32 v208, v174, v15 :: v_dual_mul_f32 v209, v176, v17
	v_add_f32_e32 v3, v3, v4
	v_dual_mul_f32 v5, v169, v9 :: v_dual_mul_f32 v4, v171, v11
	v_dual_add_f32 v1, v1, v24 :: v_dual_fmac_f32 v208, v175, v14
	s_delay_alu instid0(VALU_DEP_3) | instskip(NEXT) | instid1(VALU_DEP_3)
	v_add_f32_e32 v2, v3, v2
	v_fma_f32 v5, v168, v8, -v5
	v_fmac_f32_e32 v135, v167, v6
	v_fma_f32 v4, v170, v10, -v4
	s_wait_loadcnt_dscnt 0x706
	v_dual_mul_f32 v210, v178, v19 :: v_dual_mul_f32 v211, v180, v21
	s_delay_alu instid0(VALU_DEP_3) | instskip(NEXT) | instid1(VALU_DEP_2)
	v_dual_add_f32 v2, v2, v5 :: v_dual_add_f32 v1, v1, v135
	v_dual_mul_f32 v3, v173, v13 :: v_dual_fmac_f32 v210, v179, v18
	s_wait_loadcnt_dscnt 0x605
	v_dual_mul_f32 v212, v182, v139 :: v_dual_mul_f32 v213, v184, v141
	s_delay_alu instid0(VALU_DEP_3)
	v_add_f32_e32 v2, v2, v4
	v_mul_f32_e32 v4, v177, v17
	v_fma_f32 v3, v172, v12, -v3
	s_wait_loadcnt_dscnt 0x403
	v_dual_add_f32 v1, v1, v136 :: v_dual_mul_f32 v216, v190, v147
	v_mul_f32_e32 v217, v192, v149
	v_fma_f32 v4, v176, v16, -v4
	v_mul_f32_e32 v5, v175, v15
	s_delay_alu instid0(VALU_DEP_4) | instskip(SKIP_1) | instid1(VALU_DEP_3)
	v_dual_add_f32 v2, v2, v3 :: v_dual_add_f32 v1, v1, v206
	v_dual_mul_f32 v214, v186, v143 :: v_dual_mul_f32 v215, v188, v145
	v_fma_f32 v5, v174, v14, -v5
	v_dual_fmac_f32 v207, v173, v12 :: v_dual_fmac_f32 v212, v183, v138
	s_delay_alu instid0(VALU_DEP_3)
	v_fmac_f32_e32 v214, v187, v142
	s_wait_loadcnt_dscnt 0x100
	v_dual_mul_f32 v222, v202, v159 :: v_dual_mul_f32 v223, v204, v161
	v_add_f32_e32 v2, v2, v5
	v_dual_mul_f32 v218, v194, v151 :: v_dual_mul_f32 v219, v196, v153
	v_dual_fmac_f32 v213, v185, v140 :: v_dual_mul_f32 v220, v198, v155
	s_delay_alu instid0(VALU_DEP_3) | instskip(SKIP_2) | instid1(VALU_DEP_4)
	v_dual_mul_f32 v221, v200, v157 :: v_dual_add_f32 v2, v2, v4
	v_mul_f32_e32 v4, v183, v139
	v_add_f32_e32 v1, v1, v207
	v_dual_fmac_f32 v215, v189, v144 :: v_dual_fmac_f32 v220, v199, v154
	v_fmac_f32_e32 v216, v191, v146
	s_delay_alu instid0(VALU_DEP_4)
	v_fma_f32 v4, v182, v138, -v4
	v_mul_f32_e32 v5, v181, v21
	v_add_f32_e32 v1, v1, v208
	v_fmac_f32_e32 v219, v197, v152
	v_fmac_f32_e32 v221, v201, v156
	;; [unrolled: 1-line block ×3, first 2 shown]
	v_fma_f32 v5, v180, v20, -v5
	v_mul_f32_e32 v3, v179, v19
	v_fmac_f32_e32 v222, v203, v158
	v_fmac_f32_e32 v218, v195, v150
	s_delay_alu instid0(VALU_DEP_3) | instskip(NEXT) | instid1(VALU_DEP_1)
	v_fma_f32 v3, v178, v18, -v3
	v_dual_fmac_f32 v209, v177, v16 :: v_dual_add_f32 v2, v2, v3
	v_mul_f32_e32 v3, v185, v141
	s_delay_alu instid0(VALU_DEP_2) | instskip(NEXT) | instid1(VALU_DEP_2)
	v_dual_add_f32 v2, v2, v5 :: v_dual_mul_f32 v5, v187, v143
	v_fma_f32 v3, v184, v140, -v3
	s_delay_alu instid0(VALU_DEP_2) | instskip(SKIP_1) | instid1(VALU_DEP_4)
	v_dual_add_f32 v2, v2, v4 :: v_dual_add_f32 v1, v1, v209
	v_mul_f32_e32 v4, v189, v145
	v_fma_f32 v5, v186, v142, -v5
	s_delay_alu instid0(VALU_DEP_3) | instskip(NEXT) | instid1(VALU_DEP_3)
	v_dual_add_f32 v2, v2, v3 :: v_dual_fmac_f32 v211, v181, v20
	v_fma_f32 v4, v188, v144, -v4
	s_delay_alu instid0(VALU_DEP_2) | instskip(SKIP_1) | instid1(VALU_DEP_2)
	v_add_f32_e32 v2, v2, v5
	v_mul_f32_e32 v5, v193, v149
	v_dual_add_f32 v1, v1, v210 :: v_dual_add_f32 v2, v2, v4
	s_delay_alu instid0(VALU_DEP_2) | instskip(SKIP_1) | instid1(VALU_DEP_3)
	v_fma_f32 v5, v192, v148, -v5
	v_mul_f32_e32 v3, v191, v147
	v_add_f32_e32 v1, v1, v211
	v_mul_f32_e32 v4, v195, v151
	s_delay_alu instid0(VALU_DEP_3) | instskip(NEXT) | instid1(VALU_DEP_3)
	v_fma_f32 v3, v190, v146, -v3
	v_add_f32_e32 v1, v1, v212
	s_delay_alu instid0(VALU_DEP_3) | instskip(NEXT) | instid1(VALU_DEP_3)
	v_fma_f32 v4, v194, v150, -v4
	v_add_f32_e32 v2, v2, v3
	s_delay_alu instid0(VALU_DEP_1) | instskip(NEXT) | instid1(VALU_DEP_4)
	v_add_f32_e32 v2, v2, v5
	v_add_f32_e32 v1, v1, v213
	s_delay_alu instid0(VALU_DEP_2) | instskip(SKIP_1) | instid1(VALU_DEP_2)
	v_dual_mul_f32 v5, v199, v155 :: v_dual_add_f32 v2, v2, v4
	v_mul_f32_e32 v4, v201, v157
	v_fma_f32 v5, v198, v154, -v5
	s_delay_alu instid0(VALU_DEP_2) | instskip(SKIP_1) | instid1(VALU_DEP_1)
	v_fma_f32 v4, v200, v156, -v4
	v_mul_f32_e32 v3, v197, v153
	v_fma_f32 v3, v196, v152, -v3
	s_delay_alu instid0(VALU_DEP_1) | instskip(NEXT) | instid1(VALU_DEP_1)
	v_dual_add_f32 v1, v1, v214 :: v_dual_add_f32 v2, v2, v3
	v_add_f32_e32 v1, v1, v215
	s_delay_alu instid0(VALU_DEP_2) | instskip(NEXT) | instid1(VALU_DEP_2)
	v_dual_mul_f32 v3, v203, v159 :: v_dual_add_f32 v2, v2, v5
	v_add_f32_e32 v1, v1, v216
	v_mul_f32_e32 v5, v205, v161
	s_delay_alu instid0(VALU_DEP_3) | instskip(NEXT) | instid1(VALU_DEP_4)
	v_fma_f32 v3, v202, v158, -v3
	v_add_f32_e32 v2, v2, v4
	v_fmac_f32_e32 v217, v193, v148
	s_delay_alu instid0(VALU_DEP_4) | instskip(NEXT) | instid1(VALU_DEP_2)
	v_fma_f32 v4, v204, v160, -v5
	v_dual_add_f32 v2, v2, v3 :: v_dual_add_f32 v1, v1, v217
	s_delay_alu instid0(VALU_DEP_1) | instskip(NEXT) | instid1(VALU_DEP_1)
	v_dual_add_f32 v2, v2, v4 :: v_dual_add_f32 v1, v1, v218
	v_add_f32_e32 v1, v1, v219
	s_delay_alu instid0(VALU_DEP_1) | instskip(NEXT) | instid1(VALU_DEP_1)
	v_add_f32_e32 v1, v1, v220
	v_add_f32_e32 v1, v1, v221
	s_delay_alu instid0(VALU_DEP_1) | instskip(NEXT) | instid1(VALU_DEP_1)
	v_add_f32_e32 v1, v1, v222
	v_add_f32_e32 v3, v1, v223
	s_wait_loadcnt 0x0
	s_delay_alu instid0(VALU_DEP_1)
	v_dual_sub_f32 v1, v22, v2 :: v_dual_sub_f32 v2, v23, v3
	scratch_store_b64 off, v[1:2], off offset:256
	v_cmpx_lt_u32_e32 31, v0
	s_cbranch_execz .LBB118_281
; %bb.280:
	scratch_load_b64 v[1:2], off, off offset:248
	v_mov_b32_e32 v3, 0
	s_delay_alu instid0(VALU_DEP_1)
	v_mov_b32_e32 v4, v3
	scratch_store_b64 off, v[3:4], off offset:248
	s_wait_loadcnt 0x0
	ds_store_b64 v137, v[1:2]
.LBB118_281:
	s_wait_alu 0xfffe
	s_or_b32 exec_lo, exec_lo, s0
	s_wait_storecnt_dscnt 0x0
	s_barrier_signal -1
	s_barrier_wait -1
	global_inv scope:SCOPE_SE
	s_clause 0xc
	scratch_load_b128 v[2:5], off, off offset:256
	scratch_load_b128 v[6:9], off, off offset:272
	;; [unrolled: 1-line block ×11, first 2 shown]
	scratch_load_b64 v[22:23], off, off offset:432
	scratch_load_b64 v[135:136], off, off offset:248
	v_mov_b32_e32 v1, 0
	ds_load_b128 v[162:165], v1 offset:704
	ds_load_b128 v[166:169], v1 offset:720
	ds_load_b128 v[170:173], v1 offset:736
	ds_load_b128 v[174:177], v1 offset:752
	ds_load_b128 v[178:181], v1 offset:768
	ds_load_b128 v[182:185], v1 offset:784
	ds_load_b128 v[186:189], v1 offset:800
	ds_load_b128 v[190:193], v1 offset:816
	ds_load_b128 v[194:197], v1 offset:832
	ds_load_b128 v[198:201], v1 offset:848
	ds_load_b128 v[202:205], v1 offset:864
	ds_load_b64 v[206:207], v1 offset:880
	s_mov_b32 s0, exec_lo
	s_wait_loadcnt_dscnt 0xc0b
	v_mul_f32_e32 v24, v162, v3
	s_wait_loadcnt_dscnt 0xb0a
	v_dual_mul_f32 v208, v164, v5 :: v_dual_mul_f32 v209, v166, v7
	v_mul_f32_e32 v5, v165, v5
	s_wait_loadcnt_dscnt 0xa09
	v_dual_mul_f32 v210, v168, v9 :: v_dual_mul_f32 v211, v170, v11
	v_mul_f32_e32 v3, v163, v3
	v_fmac_f32_e32 v24, v163, v2
	s_wait_loadcnt_dscnt 0x908
	v_dual_mul_f32 v212, v172, v13 :: v_dual_mul_f32 v213, v174, v15
	s_wait_loadcnt_dscnt 0x302
	v_mul_f32_e32 v226, v200, v157
	v_fma_f32 v3, v162, v2, -v3
	s_wait_loadcnt_dscnt 0x100
	v_mul_f32_e32 v229, v206, v23
	v_mul_f32_e32 v2, v167, v7
	v_fmac_f32_e32 v208, v165, v4
	v_fma_f32 v4, v164, v4, -v5
	v_add_f32_e32 v3, 0, v3
	v_dual_fmac_f32 v211, v171, v10 :: v_dual_fmac_f32 v212, v173, v12
	v_fma_f32 v2, v166, v6, -v2
	v_dual_mul_f32 v214, v176, v17 :: v_dual_mul_f32 v215, v178, v19
	s_delay_alu instid0(VALU_DEP_4) | instskip(SKIP_1) | instid1(VALU_DEP_3)
	v_add_f32_e32 v3, v3, v4
	v_add_f32_e32 v5, 0, v24
	v_dual_fmac_f32 v213, v175, v14 :: v_dual_fmac_f32 v214, v177, v16
	v_fmac_f32_e32 v210, v169, v8
	s_delay_alu instid0(VALU_DEP_4) | instskip(NEXT) | instid1(VALU_DEP_4)
	v_dual_add_f32 v2, v3, v2 :: v_dual_mul_f32 v7, v169, v9
	v_dual_fmac_f32 v209, v167, v6 :: v_dual_add_f32 v4, v5, v208
	v_dual_mul_f32 v5, v171, v11 :: v_dual_mul_f32 v216, v180, v21
	v_mul_f32_e32 v217, v182, v139
	s_delay_alu instid0(VALU_DEP_4) | instskip(NEXT) | instid1(VALU_DEP_4)
	v_fma_f32 v6, v168, v8, -v7
	v_add_f32_e32 v3, v4, v209
	v_mul_f32_e32 v4, v173, v13
	v_fma_f32 v5, v170, v10, -v5
	v_dual_mul_f32 v218, v184, v141 :: v_dual_mul_f32 v219, v186, v143
	v_add_f32_e32 v2, v2, v6
	v_mul_f32_e32 v6, v175, v15
	v_add_f32_e32 v3, v3, v210
	v_fma_f32 v4, v172, v12, -v4
	v_dual_fmac_f32 v217, v183, v138 :: v_dual_fmac_f32 v218, v185, v140
	s_delay_alu instid0(VALU_DEP_3) | instskip(SKIP_2) | instid1(VALU_DEP_3)
	v_dual_add_f32 v2, v2, v5 :: v_dual_add_f32 v3, v3, v211
	v_mul_f32_e32 v5, v177, v17
	v_fma_f32 v6, v174, v14, -v6
	v_dual_fmac_f32 v215, v179, v18 :: v_dual_add_f32 v2, v2, v4
	s_delay_alu instid0(VALU_DEP_4) | instskip(SKIP_3) | instid1(VALU_DEP_4)
	v_add_f32_e32 v3, v3, v212
	v_mul_f32_e32 v4, v179, v19
	v_fma_f32 v5, v176, v16, -v5
	v_fmac_f32_e32 v216, v181, v20
	v_dual_add_f32 v2, v2, v6 :: v_dual_add_f32 v3, v3, v213
	v_mul_f32_e32 v6, v181, v21
	v_fma_f32 v4, v178, v18, -v4
	v_dual_mul_f32 v220, v188, v145 :: v_dual_mul_f32 v221, v190, v147
	s_delay_alu instid0(VALU_DEP_4) | instskip(SKIP_3) | instid1(VALU_DEP_4)
	v_dual_add_f32 v2, v2, v5 :: v_dual_add_f32 v3, v3, v214
	v_mul_f32_e32 v5, v183, v139
	v_fma_f32 v6, v180, v20, -v6
	v_dual_mul_f32 v222, v192, v149 :: v_dual_mul_f32 v223, v194, v151
	v_dual_add_f32 v2, v2, v4 :: v_dual_add_f32 v3, v3, v215
	v_mul_f32_e32 v4, v185, v141
	v_fma_f32 v5, v182, v138, -v5
	v_fmac_f32_e32 v219, v187, v142
	s_delay_alu instid0(VALU_DEP_4) | instskip(SKIP_3) | instid1(VALU_DEP_4)
	v_dual_add_f32 v2, v2, v6 :: v_dual_add_f32 v3, v3, v216
	v_mul_f32_e32 v6, v187, v143
	v_fma_f32 v4, v184, v140, -v4
	v_fmac_f32_e32 v220, v189, v144
	v_add_f32_e32 v2, v2, v5
	v_add_f32_e32 v3, v3, v217
	v_mul_f32_e32 v5, v189, v145
	v_fma_f32 v6, v186, v142, -v6
	s_delay_alu instid0(VALU_DEP_4) | instskip(NEXT) | instid1(VALU_DEP_4)
	v_dual_fmac_f32 v221, v191, v146 :: v_dual_add_f32 v2, v2, v4
	v_add_f32_e32 v3, v3, v218
	v_mul_f32_e32 v4, v191, v147
	v_fma_f32 v5, v188, v144, -v5
	v_dual_mul_f32 v224, v196, v153 :: v_dual_mul_f32 v225, v198, v155
	s_delay_alu instid0(VALU_DEP_4) | instskip(SKIP_3) | instid1(VALU_DEP_4)
	v_dual_add_f32 v2, v2, v6 :: v_dual_add_f32 v3, v3, v219
	v_mul_f32_e32 v6, v193, v149
	v_fma_f32 v4, v190, v146, -v4
	v_fmac_f32_e32 v222, v193, v148
	v_dual_add_f32 v2, v2, v5 :: v_dual_add_f32 v3, v3, v220
	v_mul_f32_e32 v5, v195, v151
	v_fma_f32 v6, v192, v148, -v6
	s_delay_alu instid0(VALU_DEP_3) | instskip(NEXT) | instid1(VALU_DEP_4)
	v_dual_fmac_f32 v223, v195, v150 :: v_dual_add_f32 v2, v2, v4
	v_add_f32_e32 v3, v3, v221
	v_mul_f32_e32 v4, v197, v153
	v_fma_f32 v5, v194, v150, -v5
	v_dual_fmac_f32 v224, v197, v152 :: v_dual_fmac_f32 v225, v199, v154
	s_delay_alu instid0(VALU_DEP_4) | instskip(SKIP_4) | instid1(VALU_DEP_4)
	v_add_f32_e32 v3, v3, v222
	v_add_f32_e32 v2, v2, v6
	v_mul_f32_e32 v6, v199, v155
	v_fma_f32 v4, v196, v152, -v4
	v_dual_mul_f32 v227, v202, v159 :: v_dual_mul_f32 v228, v204, v161
	v_dual_add_f32 v3, v3, v223 :: v_dual_add_f32 v2, v2, v5
	v_mul_f32_e32 v5, v201, v157
	v_fma_f32 v6, v198, v154, -v6
	s_delay_alu instid0(VALU_DEP_4) | instskip(NEXT) | instid1(VALU_DEP_4)
	v_dual_fmac_f32 v226, v201, v156 :: v_dual_fmac_f32 v227, v203, v158
	v_add_f32_e32 v3, v3, v224
	v_add_f32_e32 v2, v2, v4
	v_mul_f32_e32 v4, v203, v159
	v_fma_f32 v5, v200, v156, -v5
	v_fmac_f32_e32 v229, v207, v22
	s_delay_alu instid0(VALU_DEP_4) | instskip(SKIP_2) | instid1(VALU_DEP_3)
	v_dual_add_f32 v3, v3, v225 :: v_dual_add_f32 v2, v2, v6
	v_mul_f32_e32 v6, v205, v161
	v_fma_f32 v4, v202, v158, -v4
	v_dual_add_f32 v3, v3, v226 :: v_dual_add_f32 v2, v2, v5
	v_dual_mul_f32 v5, v207, v23 :: v_dual_fmac_f32 v228, v205, v160
	s_delay_alu instid0(VALU_DEP_4) | instskip(NEXT) | instid1(VALU_DEP_3)
	v_fma_f32 v6, v204, v160, -v6
	v_dual_add_f32 v3, v3, v227 :: v_dual_add_f32 v2, v2, v4
	s_delay_alu instid0(VALU_DEP_3) | instskip(NEXT) | instid1(VALU_DEP_2)
	v_fma_f32 v4, v206, v22, -v5
	v_dual_add_f32 v3, v3, v228 :: v_dual_add_f32 v2, v2, v6
	s_delay_alu instid0(VALU_DEP_1) | instskip(SKIP_1) | instid1(VALU_DEP_1)
	v_dual_add_f32 v3, v3, v229 :: v_dual_add_f32 v2, v2, v4
	s_wait_loadcnt 0x0
	v_dual_sub_f32 v3, v136, v3 :: v_dual_sub_f32 v2, v135, v2
	scratch_store_b64 off, v[2:3], off offset:248
	v_cmpx_lt_u32_e32 30, v0
	s_cbranch_execz .LBB118_283
; %bb.282:
	scratch_load_b64 v[3:4], off, off offset:240
	v_mov_b32_e32 v2, v1
	scratch_store_b64 off, v[1:2], off offset:240
	s_wait_loadcnt 0x0
	ds_store_b64 v137, v[3:4]
.LBB118_283:
	s_wait_alu 0xfffe
	s_or_b32 exec_lo, exec_lo, s0
	s_wait_storecnt_dscnt 0x0
	s_barrier_signal -1
	s_barrier_wait -1
	global_inv scope:SCOPE_SE
	s_clause 0xc
	scratch_load_b128 v[2:5], off, off offset:248
	scratch_load_b128 v[6:9], off, off offset:264
	;; [unrolled: 1-line block ×12, first 2 shown]
	scratch_load_b64 v[22:23], off, off offset:240
	ds_load_2addr_b64 v[166:169], v1 offset0:87 offset1:88
	ds_load_2addr_b64 v[170:173], v1 offset0:89 offset1:90
	;; [unrolled: 1-line block ×12, first 2 shown]
	s_mov_b32 s0, exec_lo
	s_wait_loadcnt_dscnt 0xc0b
	v_dual_mul_f32 v1, v166, v3 :: v_dual_mul_f32 v24, v168, v5
	v_mul_f32_e32 v3, v167, v3
	v_mul_f32_e32 v5, v169, v5
	s_wait_loadcnt_dscnt 0xb0a
	v_dual_mul_f32 v135, v170, v7 :: v_dual_mul_f32 v136, v172, v9
	v_fmac_f32_e32 v24, v169, v4
	v_fma_f32 v3, v166, v2, -v3
	s_wait_loadcnt_dscnt 0xa09
	v_dual_mul_f32 v214, v174, v11 :: v_dual_mul_f32 v215, v176, v13
	v_dual_fmac_f32 v1, v167, v2 :: v_dual_fmac_f32 v136, v173, v8
	v_mul_f32_e32 v2, v171, v7
	v_fma_f32 v4, v168, v4, -v5
	s_delay_alu instid0(VALU_DEP_4) | instskip(NEXT) | instid1(VALU_DEP_4)
	v_dual_add_f32 v3, 0, v3 :: v_dual_fmac_f32 v214, v175, v10
	v_add_f32_e32 v1, 0, v1
	s_delay_alu instid0(VALU_DEP_4) | instskip(SKIP_4) | instid1(VALU_DEP_3)
	v_fma_f32 v2, v170, v6, -v2
	s_wait_loadcnt_dscnt 0x908
	v_dual_mul_f32 v216, v178, v15 :: v_dual_mul_f32 v217, v180, v17
	v_add_f32_e32 v3, v3, v4
	v_dual_mul_f32 v5, v173, v9 :: v_dual_mul_f32 v4, v175, v11
	v_dual_add_f32 v1, v1, v24 :: v_dual_fmac_f32 v216, v179, v14
	s_delay_alu instid0(VALU_DEP_3) | instskip(NEXT) | instid1(VALU_DEP_3)
	v_add_f32_e32 v2, v3, v2
	v_fma_f32 v5, v172, v8, -v5
	v_fmac_f32_e32 v135, v171, v6
	v_fma_f32 v4, v174, v10, -v4
	s_wait_loadcnt_dscnt 0x807
	v_dual_mul_f32 v218, v182, v19 :: v_dual_mul_f32 v219, v184, v21
	s_delay_alu instid0(VALU_DEP_3) | instskip(NEXT) | instid1(VALU_DEP_2)
	v_dual_add_f32 v2, v2, v5 :: v_dual_add_f32 v1, v1, v135
	v_dual_mul_f32 v3, v177, v13 :: v_dual_fmac_f32 v218, v183, v18
	s_wait_loadcnt_dscnt 0x706
	v_dual_mul_f32 v220, v186, v139 :: v_dual_mul_f32 v221, v188, v141
	s_delay_alu instid0(VALU_DEP_3)
	v_add_f32_e32 v2, v2, v4
	v_mul_f32_e32 v4, v181, v17
	v_fma_f32 v3, v176, v12, -v3
	s_wait_loadcnt_dscnt 0x504
	v_dual_add_f32 v1, v1, v136 :: v_dual_mul_f32 v224, v194, v147
	v_mul_f32_e32 v225, v196, v149
	v_fma_f32 v4, v180, v16, -v4
	v_mul_f32_e32 v5, v179, v15
	s_delay_alu instid0(VALU_DEP_4) | instskip(SKIP_1) | instid1(VALU_DEP_3)
	v_dual_add_f32 v2, v2, v3 :: v_dual_add_f32 v1, v1, v214
	v_dual_mul_f32 v222, v190, v143 :: v_dual_mul_f32 v223, v192, v145
	v_fma_f32 v5, v178, v14, -v5
	v_dual_fmac_f32 v215, v177, v12 :: v_dual_fmac_f32 v220, v187, v138
	s_delay_alu instid0(VALU_DEP_3)
	v_fmac_f32_e32 v222, v191, v142
	s_wait_loadcnt_dscnt 0x201
	v_dual_mul_f32 v230, v206, v159 :: v_dual_mul_f32 v231, v208, v161
	v_add_f32_e32 v2, v2, v5
	v_dual_mul_f32 v226, v198, v151 :: v_dual_mul_f32 v227, v200, v153
	v_dual_fmac_f32 v221, v189, v140 :: v_dual_mul_f32 v228, v202, v155
	s_delay_alu instid0(VALU_DEP_3) | instskip(SKIP_2) | instid1(VALU_DEP_4)
	v_dual_mul_f32 v229, v204, v157 :: v_dual_add_f32 v2, v2, v4
	v_mul_f32_e32 v4, v187, v139
	v_add_f32_e32 v1, v1, v215
	v_dual_fmac_f32 v223, v193, v144 :: v_dual_fmac_f32 v228, v203, v154
	v_fmac_f32_e32 v224, v195, v146
	s_delay_alu instid0(VALU_DEP_4)
	v_fma_f32 v4, v186, v138, -v4
	v_mul_f32_e32 v5, v185, v21
	v_add_f32_e32 v1, v1, v216
	s_wait_loadcnt_dscnt 0x100
	v_dual_fmac_f32 v225, v197, v148 :: v_dual_mul_f32 v232, v210, v163
	v_mul_f32_e32 v233, v212, v165
	v_fma_f32 v5, v184, v20, -v5
	v_mul_f32_e32 v3, v183, v19
	v_dual_fmac_f32 v231, v209, v160 :: v_dual_fmac_f32 v230, v207, v158
	s_delay_alu instid0(VALU_DEP_4) | instskip(NEXT) | instid1(VALU_DEP_3)
	v_dual_fmac_f32 v233, v213, v164 :: v_dual_fmac_f32 v226, v199, v150
	v_fma_f32 v3, v182, v18, -v3
	v_dual_fmac_f32 v217, v181, v16 :: v_dual_fmac_f32 v232, v211, v162
	s_delay_alu instid0(VALU_DEP_2) | instskip(NEXT) | instid1(VALU_DEP_1)
	v_dual_add_f32 v2, v2, v3 :: v_dual_mul_f32 v3, v189, v141
	v_dual_add_f32 v2, v2, v5 :: v_dual_mul_f32 v5, v191, v143
	s_delay_alu instid0(VALU_DEP_2) | instskip(NEXT) | instid1(VALU_DEP_2)
	v_fma_f32 v3, v188, v140, -v3
	v_dual_add_f32 v2, v2, v4 :: v_dual_add_f32 v1, v1, v217
	v_mul_f32_e32 v4, v193, v145
	s_delay_alu instid0(VALU_DEP_4) | instskip(NEXT) | instid1(VALU_DEP_3)
	v_fma_f32 v5, v190, v142, -v5
	v_dual_add_f32 v2, v2, v3 :: v_dual_fmac_f32 v219, v185, v20
	s_delay_alu instid0(VALU_DEP_3) | instskip(NEXT) | instid1(VALU_DEP_2)
	v_fma_f32 v4, v192, v144, -v4
	v_add_f32_e32 v2, v2, v5
	v_mul_f32_e32 v5, v197, v149
	s_delay_alu instid0(VALU_DEP_2) | instskip(NEXT) | instid1(VALU_DEP_2)
	v_dual_add_f32 v1, v1, v218 :: v_dual_add_f32 v2, v2, v4
	v_fma_f32 v5, v196, v148, -v5
	v_mul_f32_e32 v3, v195, v147
	s_delay_alu instid0(VALU_DEP_3) | instskip(SKIP_1) | instid1(VALU_DEP_3)
	v_add_f32_e32 v1, v1, v219
	v_mul_f32_e32 v4, v199, v151
	v_fma_f32 v3, v194, v146, -v3
	s_delay_alu instid0(VALU_DEP_3) | instskip(NEXT) | instid1(VALU_DEP_3)
	v_add_f32_e32 v1, v1, v220
	v_fma_f32 v4, v198, v150, -v4
	s_delay_alu instid0(VALU_DEP_3) | instskip(NEXT) | instid1(VALU_DEP_1)
	v_add_f32_e32 v2, v2, v3
	v_add_f32_e32 v2, v2, v5
	s_delay_alu instid0(VALU_DEP_4) | instskip(NEXT) | instid1(VALU_DEP_2)
	v_add_f32_e32 v1, v1, v221
	v_dual_mul_f32 v5, v203, v155 :: v_dual_add_f32 v2, v2, v4
	v_mul_f32_e32 v4, v205, v157
	s_delay_alu instid0(VALU_DEP_2) | instskip(NEXT) | instid1(VALU_DEP_2)
	v_fma_f32 v5, v202, v154, -v5
	v_fma_f32 v4, v204, v156, -v4
	v_mul_f32_e32 v3, v201, v153
	s_delay_alu instid0(VALU_DEP_1) | instskip(NEXT) | instid1(VALU_DEP_1)
	v_fma_f32 v3, v200, v152, -v3
	v_dual_add_f32 v1, v1, v222 :: v_dual_add_f32 v2, v2, v3
	s_delay_alu instid0(VALU_DEP_1) | instskip(NEXT) | instid1(VALU_DEP_2)
	v_add_f32_e32 v1, v1, v223
	v_dual_mul_f32 v3, v207, v159 :: v_dual_add_f32 v2, v2, v5
	v_mul_f32_e32 v5, v209, v161
	s_delay_alu instid0(VALU_DEP_2) | instskip(NEXT) | instid1(VALU_DEP_3)
	v_fma_f32 v3, v206, v158, -v3
	v_add_f32_e32 v2, v2, v4
	v_dual_add_f32 v1, v1, v224 :: v_dual_mul_f32 v4, v211, v163
	s_delay_alu instid0(VALU_DEP_4) | instskip(NEXT) | instid1(VALU_DEP_2)
	v_fma_f32 v5, v208, v160, -v5
	v_dual_add_f32 v2, v2, v3 :: v_dual_add_f32 v1, v1, v225
	v_fmac_f32_e32 v227, v201, v152
	s_delay_alu instid0(VALU_DEP_4) | instskip(SKIP_1) | instid1(VALU_DEP_4)
	v_fma_f32 v4, v210, v162, -v4
	v_mul_f32_e32 v3, v213, v165
	v_dual_add_f32 v2, v2, v5 :: v_dual_add_f32 v1, v1, v226
	s_delay_alu instid0(VALU_DEP_2) | instskip(NEXT) | instid1(VALU_DEP_2)
	v_fma_f32 v3, v212, v164, -v3
	v_dual_add_f32 v2, v2, v4 :: v_dual_add_f32 v1, v1, v227
	s_delay_alu instid0(VALU_DEP_1) | instskip(NEXT) | instid1(VALU_DEP_2)
	v_dual_fmac_f32 v229, v205, v156 :: v_dual_add_f32 v2, v2, v3
	v_add_f32_e32 v1, v1, v228
	s_delay_alu instid0(VALU_DEP_1) | instskip(NEXT) | instid1(VALU_DEP_1)
	v_add_f32_e32 v1, v1, v229
	v_add_f32_e32 v1, v1, v230
	s_delay_alu instid0(VALU_DEP_1) | instskip(NEXT) | instid1(VALU_DEP_1)
	v_add_f32_e32 v1, v1, v231
	v_add_f32_e32 v1, v1, v232
	s_delay_alu instid0(VALU_DEP_1) | instskip(SKIP_1) | instid1(VALU_DEP_1)
	v_add_f32_e32 v3, v1, v233
	s_wait_loadcnt 0x0
	v_dual_sub_f32 v1, v22, v2 :: v_dual_sub_f32 v2, v23, v3
	scratch_store_b64 off, v[1:2], off offset:240
	v_cmpx_lt_u32_e32 29, v0
	s_cbranch_execz .LBB118_285
; %bb.284:
	scratch_load_b64 v[1:2], off, off offset:232
	v_mov_b32_e32 v3, 0
	s_delay_alu instid0(VALU_DEP_1)
	v_mov_b32_e32 v4, v3
	scratch_store_b64 off, v[3:4], off offset:232
	s_wait_loadcnt 0x0
	ds_store_b64 v137, v[1:2]
.LBB118_285:
	s_wait_alu 0xfffe
	s_or_b32 exec_lo, exec_lo, s0
	s_wait_storecnt_dscnt 0x0
	s_barrier_signal -1
	s_barrier_wait -1
	global_inv scope:SCOPE_SE
	s_clause 0xd
	scratch_load_b128 v[2:5], off, off offset:240
	scratch_load_b128 v[6:9], off, off offset:256
	;; [unrolled: 1-line block ×12, first 2 shown]
	scratch_load_b64 v[22:23], off, off offset:432
	scratch_load_b64 v[135:136], off, off offset:232
	v_mov_b32_e32 v1, 0
	ds_load_b128 v[166:169], v1 offset:688
	ds_load_b128 v[170:173], v1 offset:704
	;; [unrolled: 1-line block ×12, first 2 shown]
	ds_load_b64 v[214:215], v1 offset:880
	s_mov_b32 s0, exec_lo
	s_wait_loadcnt_dscnt 0xd0c
	v_mul_f32_e32 v24, v166, v3
	s_wait_loadcnt_dscnt 0xc0b
	v_dual_mul_f32 v216, v168, v5 :: v_dual_mul_f32 v217, v170, v7
	v_mul_f32_e32 v5, v169, v5
	s_wait_loadcnt_dscnt 0xb0a
	v_dual_mul_f32 v218, v172, v9 :: v_dual_mul_f32 v219, v174, v11
	v_dual_mul_f32 v3, v167, v3 :: v_dual_mul_f32 v220, v176, v13
	s_wait_loadcnt_dscnt 0xa09
	v_dual_mul_f32 v221, v178, v15 :: v_dual_fmac_f32 v24, v167, v2
	s_wait_loadcnt_dscnt 0x302
	v_mul_f32_e32 v236, v208, v161
	v_fma_f32 v3, v166, v2, -v3
	s_wait_loadcnt_dscnt 0x100
	v_mul_f32_e32 v239, v214, v23
	v_mul_f32_e32 v2, v171, v7
	v_fmac_f32_e32 v216, v169, v4
	v_fma_f32 v4, v168, v4, -v5
	v_add_f32_e32 v3, 0, v3
	v_dual_fmac_f32 v219, v175, v10 :: v_dual_fmac_f32 v220, v177, v12
	v_fma_f32 v2, v170, v6, -v2
	v_dual_mul_f32 v222, v180, v17 :: v_dual_mul_f32 v223, v182, v19
	s_delay_alu instid0(VALU_DEP_4) | instskip(SKIP_1) | instid1(VALU_DEP_3)
	v_add_f32_e32 v3, v3, v4
	v_add_f32_e32 v5, 0, v24
	v_dual_fmac_f32 v221, v179, v14 :: v_dual_fmac_f32 v222, v181, v16
	v_fmac_f32_e32 v218, v173, v8
	s_delay_alu instid0(VALU_DEP_4) | instskip(NEXT) | instid1(VALU_DEP_4)
	v_dual_add_f32 v2, v3, v2 :: v_dual_mul_f32 v7, v173, v9
	v_dual_fmac_f32 v217, v171, v6 :: v_dual_add_f32 v4, v5, v216
	v_dual_mul_f32 v5, v175, v11 :: v_dual_mul_f32 v224, v184, v21
	v_mul_f32_e32 v225, v186, v139
	s_delay_alu instid0(VALU_DEP_4) | instskip(NEXT) | instid1(VALU_DEP_4)
	v_fma_f32 v6, v172, v8, -v7
	v_add_f32_e32 v3, v4, v217
	v_mul_f32_e32 v4, v177, v13
	v_fma_f32 v5, v174, v10, -v5
	v_dual_mul_f32 v226, v188, v141 :: v_dual_mul_f32 v227, v190, v143
	v_add_f32_e32 v2, v2, v6
	v_mul_f32_e32 v6, v179, v15
	v_add_f32_e32 v3, v3, v218
	v_fma_f32 v4, v176, v12, -v4
	v_dual_fmac_f32 v225, v187, v138 :: v_dual_fmac_f32 v226, v189, v140
	s_delay_alu instid0(VALU_DEP_3) | instskip(SKIP_3) | instid1(VALU_DEP_4)
	v_dual_add_f32 v2, v2, v5 :: v_dual_add_f32 v3, v3, v219
	v_mul_f32_e32 v5, v181, v17
	v_fma_f32 v6, v178, v14, -v6
	v_dual_mul_f32 v228, v192, v145 :: v_dual_mul_f32 v229, v194, v147
	v_add_f32_e32 v2, v2, v4
	v_add_f32_e32 v3, v3, v220
	v_mul_f32_e32 v4, v183, v19
	v_fma_f32 v5, v180, v16, -v5
	v_fmac_f32_e32 v223, v183, v18
	s_delay_alu instid0(VALU_DEP_4) | instskip(SKIP_3) | instid1(VALU_DEP_4)
	v_dual_add_f32 v2, v2, v6 :: v_dual_add_f32 v3, v3, v221
	v_fmac_f32_e32 v224, v185, v20
	v_mul_f32_e32 v6, v185, v21
	v_fma_f32 v4, v182, v18, -v4
	v_dual_add_f32 v2, v2, v5 :: v_dual_add_f32 v3, v3, v222
	v_mul_f32_e32 v5, v187, v139
	s_delay_alu instid0(VALU_DEP_4) | instskip(SKIP_1) | instid1(VALU_DEP_4)
	v_fma_f32 v6, v184, v20, -v6
	v_dual_mul_f32 v230, v196, v149 :: v_dual_mul_f32 v231, v198, v151
	v_dual_add_f32 v2, v2, v4 :: v_dual_add_f32 v3, v3, v223
	v_mul_f32_e32 v4, v189, v141
	v_fma_f32 v5, v186, v138, -v5
	v_fmac_f32_e32 v227, v191, v142
	s_delay_alu instid0(VALU_DEP_4) | instskip(SKIP_3) | instid1(VALU_DEP_4)
	v_dual_add_f32 v2, v2, v6 :: v_dual_add_f32 v3, v3, v224
	v_mul_f32_e32 v6, v191, v143
	v_fma_f32 v4, v188, v140, -v4
	v_fmac_f32_e32 v228, v193, v144
	v_add_f32_e32 v2, v2, v5
	v_add_f32_e32 v3, v3, v225
	v_mul_f32_e32 v5, v193, v145
	v_fma_f32 v6, v190, v142, -v6
	s_delay_alu instid0(VALU_DEP_4) | instskip(NEXT) | instid1(VALU_DEP_4)
	v_dual_fmac_f32 v229, v195, v146 :: v_dual_add_f32 v2, v2, v4
	v_add_f32_e32 v3, v3, v226
	v_mul_f32_e32 v4, v195, v147
	v_fma_f32 v5, v192, v144, -v5
	v_dual_mul_f32 v232, v200, v153 :: v_dual_mul_f32 v233, v202, v155
	s_delay_alu instid0(VALU_DEP_4) | instskip(SKIP_3) | instid1(VALU_DEP_4)
	v_dual_add_f32 v2, v2, v6 :: v_dual_add_f32 v3, v3, v227
	v_mul_f32_e32 v6, v197, v149
	v_fma_f32 v4, v194, v146, -v4
	v_fmac_f32_e32 v230, v197, v148
	v_dual_add_f32 v2, v2, v5 :: v_dual_add_f32 v3, v3, v228
	v_mul_f32_e32 v5, v199, v151
	v_fma_f32 v6, v196, v148, -v6
	s_delay_alu instid0(VALU_DEP_3) | instskip(NEXT) | instid1(VALU_DEP_4)
	v_dual_fmac_f32 v231, v199, v150 :: v_dual_add_f32 v2, v2, v4
	v_add_f32_e32 v3, v3, v229
	v_mul_f32_e32 v4, v201, v153
	v_fma_f32 v5, v198, v150, -v5
	v_fmac_f32_e32 v232, v201, v152
	v_dual_mul_f32 v234, v204, v157 :: v_dual_mul_f32 v235, v206, v159
	v_add_f32_e32 v3, v3, v230
	v_add_f32_e32 v2, v2, v6
	v_mul_f32_e32 v6, v203, v155
	v_fma_f32 v4, v200, v152, -v4
	v_fmac_f32_e32 v233, v203, v154
	s_delay_alu instid0(VALU_DEP_4) | instskip(SKIP_3) | instid1(VALU_DEP_4)
	v_dual_add_f32 v3, v3, v231 :: v_dual_add_f32 v2, v2, v5
	v_mul_f32_e32 v5, v205, v157
	v_fma_f32 v6, v202, v154, -v6
	v_dual_fmac_f32 v234, v205, v156 :: v_dual_fmac_f32 v235, v207, v158
	v_add_f32_e32 v3, v3, v232
	v_add_f32_e32 v2, v2, v4
	v_mul_f32_e32 v4, v207, v159
	v_fma_f32 v5, v204, v156, -v5
	v_dual_mul_f32 v237, v210, v163 :: v_dual_mul_f32 v238, v212, v165
	s_delay_alu instid0(VALU_DEP_4) | instskip(SKIP_2) | instid1(VALU_DEP_4)
	v_dual_add_f32 v3, v3, v233 :: v_dual_add_f32 v2, v2, v6
	v_mul_f32_e32 v6, v209, v161
	v_fma_f32 v4, v206, v158, -v4
	v_fmac_f32_e32 v237, v211, v162
	s_delay_alu instid0(VALU_DEP_4) | instskip(SKIP_2) | instid1(VALU_DEP_3)
	v_dual_add_f32 v3, v3, v234 :: v_dual_add_f32 v2, v2, v5
	v_dual_mul_f32 v5, v211, v163 :: v_dual_fmac_f32 v236, v209, v160
	v_fma_f32 v6, v208, v160, -v6
	v_dual_add_f32 v3, v3, v235 :: v_dual_add_f32 v2, v2, v4
	v_mul_f32_e32 v4, v213, v165
	s_delay_alu instid0(VALU_DEP_4) | instskip(SKIP_1) | instid1(VALU_DEP_4)
	v_fma_f32 v5, v210, v162, -v5
	v_dual_fmac_f32 v238, v213, v164 :: v_dual_fmac_f32 v239, v215, v22
	v_dual_add_f32 v3, v3, v236 :: v_dual_add_f32 v2, v2, v6
	v_mul_f32_e32 v6, v215, v23
	v_fma_f32 v4, v212, v164, -v4
	s_delay_alu instid0(VALU_DEP_3) | instskip(NEXT) | instid1(VALU_DEP_4)
	v_add_f32_e32 v3, v3, v237
	v_add_f32_e32 v2, v2, v5
	s_delay_alu instid0(VALU_DEP_4) | instskip(NEXT) | instid1(VALU_DEP_2)
	v_fma_f32 v5, v214, v22, -v6
	v_dual_add_f32 v3, v3, v238 :: v_dual_add_f32 v2, v2, v4
	s_delay_alu instid0(VALU_DEP_1) | instskip(SKIP_1) | instid1(VALU_DEP_1)
	v_dual_add_f32 v3, v3, v239 :: v_dual_add_f32 v2, v2, v5
	s_wait_loadcnt 0x0
	v_dual_sub_f32 v3, v136, v3 :: v_dual_sub_f32 v2, v135, v2
	scratch_store_b64 off, v[2:3], off offset:232
	v_cmpx_lt_u32_e32 28, v0
	s_cbranch_execz .LBB118_287
; %bb.286:
	scratch_load_b64 v[3:4], off, off offset:224
	v_mov_b32_e32 v2, v1
	scratch_store_b64 off, v[1:2], off offset:224
	s_wait_loadcnt 0x0
	ds_store_b64 v137, v[3:4]
.LBB118_287:
	s_wait_alu 0xfffe
	s_or_b32 exec_lo, exec_lo, s0
	s_wait_storecnt_dscnt 0x0
	s_barrier_signal -1
	s_barrier_wait -1
	global_inv scope:SCOPE_SE
	s_clause 0xd
	scratch_load_b128 v[2:5], off, off offset:232
	scratch_load_b128 v[6:9], off, off offset:248
	;; [unrolled: 1-line block ×13, first 2 shown]
	scratch_load_b64 v[22:23], off, off offset:224
	ds_load_2addr_b64 v[170:173], v1 offset0:85 offset1:86
	ds_load_2addr_b64 v[174:177], v1 offset0:87 offset1:88
	;; [unrolled: 1-line block ×13, first 2 shown]
	s_mov_b32 s0, exec_lo
	s_wait_loadcnt_dscnt 0xd0c
	v_dual_mul_f32 v1, v170, v3 :: v_dual_mul_f32 v24, v172, v5
	v_mul_f32_e32 v3, v171, v3
	v_mul_f32_e32 v5, v173, v5
	s_wait_loadcnt_dscnt 0xc0b
	v_dual_mul_f32 v135, v174, v7 :: v_dual_mul_f32 v136, v176, v9
	v_fmac_f32_e32 v24, v173, v4
	v_fma_f32 v3, v170, v2, -v3
	s_wait_loadcnt_dscnt 0xb0a
	v_dual_mul_f32 v222, v178, v11 :: v_dual_mul_f32 v223, v180, v13
	v_dual_fmac_f32 v1, v171, v2 :: v_dual_fmac_f32 v136, v177, v8
	v_mul_f32_e32 v2, v175, v7
	v_fma_f32 v4, v172, v4, -v5
	s_delay_alu instid0(VALU_DEP_4) | instskip(NEXT) | instid1(VALU_DEP_4)
	v_dual_add_f32 v3, 0, v3 :: v_dual_fmac_f32 v222, v179, v10
	v_add_f32_e32 v1, 0, v1
	s_delay_alu instid0(VALU_DEP_4) | instskip(SKIP_4) | instid1(VALU_DEP_3)
	v_fma_f32 v2, v174, v6, -v2
	s_wait_loadcnt_dscnt 0xa09
	v_dual_mul_f32 v224, v182, v15 :: v_dual_mul_f32 v225, v184, v17
	v_add_f32_e32 v3, v3, v4
	v_dual_mul_f32 v5, v177, v9 :: v_dual_mul_f32 v4, v179, v11
	v_dual_add_f32 v1, v1, v24 :: v_dual_fmac_f32 v224, v183, v14
	s_delay_alu instid0(VALU_DEP_3) | instskip(NEXT) | instid1(VALU_DEP_3)
	v_add_f32_e32 v2, v3, v2
	v_fma_f32 v5, v176, v8, -v5
	v_fmac_f32_e32 v135, v175, v6
	v_fma_f32 v4, v178, v10, -v4
	s_wait_loadcnt_dscnt 0x908
	v_dual_mul_f32 v226, v186, v19 :: v_dual_mul_f32 v227, v188, v21
	s_delay_alu instid0(VALU_DEP_3) | instskip(NEXT) | instid1(VALU_DEP_2)
	v_dual_add_f32 v2, v2, v5 :: v_dual_add_f32 v1, v1, v135
	v_dual_mul_f32 v3, v181, v13 :: v_dual_fmac_f32 v226, v187, v18
	s_wait_loadcnt_dscnt 0x807
	v_dual_mul_f32 v228, v190, v139 :: v_dual_mul_f32 v229, v192, v141
	s_delay_alu instid0(VALU_DEP_3)
	v_add_f32_e32 v2, v2, v4
	v_mul_f32_e32 v4, v185, v17
	v_fma_f32 v3, v180, v12, -v3
	s_wait_loadcnt_dscnt 0x605
	v_dual_add_f32 v1, v1, v136 :: v_dual_mul_f32 v232, v198, v147
	v_mul_f32_e32 v233, v200, v149
	v_fma_f32 v4, v184, v16, -v4
	v_mul_f32_e32 v5, v183, v15
	s_delay_alu instid0(VALU_DEP_4) | instskip(SKIP_1) | instid1(VALU_DEP_3)
	v_dual_add_f32 v2, v2, v3 :: v_dual_add_f32 v1, v1, v222
	v_dual_mul_f32 v230, v194, v143 :: v_dual_mul_f32 v231, v196, v145
	v_fma_f32 v5, v182, v14, -v5
	v_dual_fmac_f32 v223, v181, v12 :: v_dual_fmac_f32 v228, v191, v138
	s_delay_alu instid0(VALU_DEP_3)
	v_fmac_f32_e32 v230, v195, v142
	s_wait_loadcnt_dscnt 0x302
	v_dual_mul_f32 v238, v210, v159 :: v_dual_mul_f32 v239, v212, v161
	v_add_f32_e32 v2, v2, v5
	v_dual_mul_f32 v234, v202, v151 :: v_dual_mul_f32 v235, v204, v153
	v_dual_fmac_f32 v229, v193, v140 :: v_dual_mul_f32 v236, v206, v155
	s_delay_alu instid0(VALU_DEP_3) | instskip(SKIP_2) | instid1(VALU_DEP_4)
	v_dual_mul_f32 v237, v208, v157 :: v_dual_add_f32 v2, v2, v4
	v_mul_f32_e32 v4, v191, v139
	v_add_f32_e32 v1, v1, v223
	v_dual_fmac_f32 v231, v197, v144 :: v_dual_fmac_f32 v236, v207, v154
	v_fmac_f32_e32 v232, v199, v146
	s_delay_alu instid0(VALU_DEP_4)
	v_fma_f32 v4, v190, v138, -v4
	v_mul_f32_e32 v5, v189, v21
	v_add_f32_e32 v1, v1, v224
	s_wait_loadcnt_dscnt 0x201
	v_dual_fmac_f32 v233, v201, v148 :: v_dual_mul_f32 v240, v214, v163
	v_mul_f32_e32 v241, v216, v165
	v_fma_f32 v5, v188, v20, -v5
	v_mul_f32_e32 v3, v187, v19
	s_wait_loadcnt_dscnt 0x100
	v_dual_mul_f32 v242, v218, v167 :: v_dual_mul_f32 v243, v220, v169
	v_fmac_f32_e32 v239, v213, v160
	v_fmac_f32_e32 v241, v217, v164
	v_fma_f32 v3, v186, v18, -v3
	v_fmac_f32_e32 v225, v185, v16
	v_dual_fmac_f32 v243, v221, v168 :: v_dual_fmac_f32 v238, v211, v158
	v_fmac_f32_e32 v234, v203, v150
	s_delay_alu instid0(VALU_DEP_4) | instskip(SKIP_2) | instid1(VALU_DEP_3)
	v_dual_add_f32 v2, v2, v3 :: v_dual_mul_f32 v3, v193, v141
	v_fmac_f32_e32 v240, v215, v162
	v_fmac_f32_e32 v242, v219, v166
	v_dual_add_f32 v2, v2, v5 :: v_dual_mul_f32 v5, v195, v143
	s_delay_alu instid0(VALU_DEP_4) | instskip(NEXT) | instid1(VALU_DEP_2)
	v_fma_f32 v3, v192, v140, -v3
	v_dual_add_f32 v2, v2, v4 :: v_dual_add_f32 v1, v1, v225
	v_mul_f32_e32 v4, v197, v145
	s_delay_alu instid0(VALU_DEP_4) | instskip(NEXT) | instid1(VALU_DEP_3)
	v_fma_f32 v5, v194, v142, -v5
	v_dual_add_f32 v2, v2, v3 :: v_dual_fmac_f32 v227, v189, v20
	s_delay_alu instid0(VALU_DEP_3) | instskip(NEXT) | instid1(VALU_DEP_2)
	v_fma_f32 v4, v196, v144, -v4
	v_add_f32_e32 v2, v2, v5
	v_mul_f32_e32 v5, v201, v149
	s_delay_alu instid0(VALU_DEP_2) | instskip(NEXT) | instid1(VALU_DEP_2)
	v_dual_add_f32 v1, v1, v226 :: v_dual_add_f32 v2, v2, v4
	v_fma_f32 v5, v200, v148, -v5
	v_mul_f32_e32 v3, v199, v147
	s_delay_alu instid0(VALU_DEP_3) | instskip(SKIP_1) | instid1(VALU_DEP_3)
	v_add_f32_e32 v1, v1, v227
	v_mul_f32_e32 v4, v203, v151
	v_fma_f32 v3, v198, v146, -v3
	s_delay_alu instid0(VALU_DEP_3) | instskip(NEXT) | instid1(VALU_DEP_3)
	v_add_f32_e32 v1, v1, v228
	v_fma_f32 v4, v202, v150, -v4
	s_delay_alu instid0(VALU_DEP_3) | instskip(NEXT) | instid1(VALU_DEP_1)
	v_add_f32_e32 v2, v2, v3
	v_add_f32_e32 v2, v2, v5
	s_delay_alu instid0(VALU_DEP_4) | instskip(NEXT) | instid1(VALU_DEP_2)
	v_add_f32_e32 v1, v1, v229
	v_dual_mul_f32 v5, v207, v155 :: v_dual_add_f32 v2, v2, v4
	v_mul_f32_e32 v4, v209, v157
	s_delay_alu instid0(VALU_DEP_2) | instskip(NEXT) | instid1(VALU_DEP_2)
	v_fma_f32 v5, v206, v154, -v5
	v_fma_f32 v4, v208, v156, -v4
	v_mul_f32_e32 v3, v205, v153
	s_delay_alu instid0(VALU_DEP_1) | instskip(NEXT) | instid1(VALU_DEP_1)
	v_fma_f32 v3, v204, v152, -v3
	v_dual_add_f32 v1, v1, v230 :: v_dual_add_f32 v2, v2, v3
	s_delay_alu instid0(VALU_DEP_1) | instskip(NEXT) | instid1(VALU_DEP_2)
	v_add_f32_e32 v1, v1, v231
	v_dual_mul_f32 v3, v211, v159 :: v_dual_add_f32 v2, v2, v5
	v_mul_f32_e32 v5, v213, v161
	s_delay_alu instid0(VALU_DEP_2) | instskip(NEXT) | instid1(VALU_DEP_3)
	v_fma_f32 v3, v210, v158, -v3
	v_add_f32_e32 v2, v2, v4
	v_dual_add_f32 v1, v1, v232 :: v_dual_mul_f32 v4, v215, v163
	s_delay_alu instid0(VALU_DEP_4) | instskip(NEXT) | instid1(VALU_DEP_2)
	v_fma_f32 v5, v212, v160, -v5
	v_dual_add_f32 v2, v2, v3 :: v_dual_add_f32 v1, v1, v233
	v_fmac_f32_e32 v235, v205, v152
	v_mul_f32_e32 v3, v217, v165
	v_fma_f32 v4, v214, v162, -v4
	s_delay_alu instid0(VALU_DEP_4) | instskip(SKIP_1) | instid1(VALU_DEP_4)
	v_dual_add_f32 v2, v2, v5 :: v_dual_add_f32 v1, v1, v234
	v_mul_f32_e32 v5, v219, v167
	v_fma_f32 v3, v216, v164, -v3
	s_delay_alu instid0(VALU_DEP_3) | instskip(SKIP_1) | instid1(VALU_DEP_4)
	v_dual_add_f32 v2, v2, v4 :: v_dual_add_f32 v1, v1, v235
	v_fmac_f32_e32 v237, v209, v156
	v_fma_f32 v5, v218, v166, -v5
	v_mul_f32_e32 v4, v221, v169
	s_delay_alu instid0(VALU_DEP_4) | instskip(NEXT) | instid1(VALU_DEP_2)
	v_dual_add_f32 v2, v2, v3 :: v_dual_add_f32 v1, v1, v236
	v_fma_f32 v3, v220, v168, -v4
	s_delay_alu instid0(VALU_DEP_2) | instskip(NEXT) | instid1(VALU_DEP_1)
	v_add_f32_e32 v2, v2, v5
	v_dual_add_f32 v1, v1, v237 :: v_dual_add_f32 v2, v2, v3
	s_delay_alu instid0(VALU_DEP_1) | instskip(NEXT) | instid1(VALU_DEP_1)
	v_add_f32_e32 v1, v1, v238
	v_add_f32_e32 v1, v1, v239
	s_delay_alu instid0(VALU_DEP_1) | instskip(NEXT) | instid1(VALU_DEP_1)
	v_add_f32_e32 v1, v1, v240
	v_add_f32_e32 v1, v1, v241
	;; [unrolled: 3-line block ×3, first 2 shown]
	s_wait_loadcnt 0x0
	s_delay_alu instid0(VALU_DEP_1)
	v_dual_sub_f32 v1, v22, v2 :: v_dual_sub_f32 v2, v23, v3
	scratch_store_b64 off, v[1:2], off offset:224
	v_cmpx_lt_u32_e32 27, v0
	s_cbranch_execz .LBB118_289
; %bb.288:
	scratch_load_b64 v[1:2], off, off offset:216
	v_mov_b32_e32 v3, 0
	s_delay_alu instid0(VALU_DEP_1)
	v_mov_b32_e32 v4, v3
	scratch_store_b64 off, v[3:4], off offset:216
	s_wait_loadcnt 0x0
	ds_store_b64 v137, v[1:2]
.LBB118_289:
	s_wait_alu 0xfffe
	s_or_b32 exec_lo, exec_lo, s0
	s_wait_storecnt_dscnt 0x0
	s_barrier_signal -1
	s_barrier_wait -1
	global_inv scope:SCOPE_SE
	s_clause 0xe
	scratch_load_b128 v[2:5], off, off offset:224
	scratch_load_b128 v[6:9], off, off offset:240
	;; [unrolled: 1-line block ×13, first 2 shown]
	scratch_load_b64 v[22:23], off, off offset:432
	scratch_load_b64 v[135:136], off, off offset:216
	v_mov_b32_e32 v1, 0
	ds_load_b128 v[170:173], v1 offset:672
	ds_load_b128 v[174:177], v1 offset:688
	ds_load_b128 v[178:181], v1 offset:704
	ds_load_b128 v[182:185], v1 offset:720
	ds_load_b128 v[186:189], v1 offset:736
	ds_load_b128 v[190:193], v1 offset:752
	ds_load_b128 v[194:197], v1 offset:768
	ds_load_b128 v[198:201], v1 offset:784
	ds_load_b128 v[202:205], v1 offset:800
	ds_load_b128 v[206:209], v1 offset:816
	ds_load_b128 v[210:213], v1 offset:832
	ds_load_b128 v[214:217], v1 offset:848
	ds_load_b128 v[218:221], v1 offset:864
	ds_load_b64 v[222:223], v1 offset:880
	s_mov_b32 s0, exec_lo
	s_wait_loadcnt_dscnt 0xe0d
	v_mul_f32_e32 v24, v170, v3
	s_wait_loadcnt_dscnt 0xd0c
	v_dual_mul_f32 v224, v172, v5 :: v_dual_mul_f32 v225, v174, v7
	v_mul_f32_e32 v5, v173, v5
	s_wait_loadcnt_dscnt 0xc0b
	v_dual_mul_f32 v226, v176, v9 :: v_dual_mul_f32 v227, v178, v11
	s_wait_loadcnt_dscnt 0xb0a
	v_dual_mul_f32 v228, v180, v13 :: v_dual_mul_f32 v229, v182, v15
	v_mul_f32_e32 v3, v171, v3
	v_fmac_f32_e32 v24, v171, v2
	s_delay_alu instid0(VALU_DEP_3)
	v_dual_fmac_f32 v227, v179, v10 :: v_dual_fmac_f32 v228, v181, v12
	s_wait_loadcnt_dscnt 0x302
	v_mul_f32_e32 v246, v216, v165
	v_fma_f32 v3, v170, v2, -v3
	s_wait_loadcnt_dscnt 0x100
	v_mul_f32_e32 v249, v222, v23
	v_mul_f32_e32 v2, v175, v7
	v_fmac_f32_e32 v224, v173, v4
	v_fma_f32 v4, v172, v4, -v5
	v_dual_add_f32 v3, 0, v3 :: v_dual_mul_f32 v230, v184, v17
	v_mul_f32_e32 v231, v186, v19
	v_fma_f32 v2, v174, v6, -v2
	v_fmac_f32_e32 v229, v183, v14
	s_delay_alu instid0(VALU_DEP_4) | instskip(SKIP_2) | instid1(VALU_DEP_3)
	v_add_f32_e32 v3, v3, v4
	v_dual_add_f32 v5, 0, v24 :: v_dual_mul_f32 v232, v188, v21
	v_dual_mul_f32 v233, v190, v139 :: v_dual_fmac_f32 v226, v177, v8
	v_dual_add_f32 v2, v3, v2 :: v_dual_mul_f32 v7, v177, v9
	s_delay_alu instid0(VALU_DEP_3) | instskip(SKIP_1) | instid1(VALU_DEP_3)
	v_dual_fmac_f32 v225, v175, v6 :: v_dual_add_f32 v4, v5, v224
	v_dual_mul_f32 v5, v179, v11 :: v_dual_fmac_f32 v230, v185, v16
	v_fma_f32 v6, v176, v8, -v7
	v_dual_mul_f32 v234, v192, v141 :: v_dual_mul_f32 v235, v194, v143
	s_delay_alu instid0(VALU_DEP_4)
	v_add_f32_e32 v3, v4, v225
	v_mul_f32_e32 v4, v181, v13
	v_fma_f32 v5, v178, v10, -v5
	v_add_f32_e32 v2, v2, v6
	v_mul_f32_e32 v6, v183, v15
	v_add_f32_e32 v3, v3, v226
	v_fma_f32 v4, v180, v12, -v4
	v_dual_fmac_f32 v233, v191, v138 :: v_dual_fmac_f32 v234, v193, v140
	s_delay_alu instid0(VALU_DEP_3) | instskip(SKIP_3) | instid1(VALU_DEP_4)
	v_dual_add_f32 v2, v2, v5 :: v_dual_add_f32 v3, v3, v227
	v_mul_f32_e32 v5, v185, v17
	v_fma_f32 v6, v182, v14, -v6
	v_dual_mul_f32 v236, v196, v145 :: v_dual_mul_f32 v237, v198, v147
	v_add_f32_e32 v2, v2, v4
	v_add_f32_e32 v3, v3, v228
	v_mul_f32_e32 v4, v187, v19
	v_fma_f32 v5, v184, v16, -v5
	v_fmac_f32_e32 v231, v187, v18
	s_delay_alu instid0(VALU_DEP_4) | instskip(SKIP_3) | instid1(VALU_DEP_4)
	v_dual_add_f32 v2, v2, v6 :: v_dual_add_f32 v3, v3, v229
	v_fmac_f32_e32 v232, v189, v20
	v_mul_f32_e32 v6, v189, v21
	v_fma_f32 v4, v186, v18, -v4
	v_dual_add_f32 v2, v2, v5 :: v_dual_add_f32 v3, v3, v230
	v_mul_f32_e32 v5, v191, v139
	s_delay_alu instid0(VALU_DEP_4) | instskip(SKIP_1) | instid1(VALU_DEP_4)
	v_fma_f32 v6, v188, v20, -v6
	v_dual_mul_f32 v238, v200, v149 :: v_dual_mul_f32 v239, v202, v151
	v_dual_add_f32 v2, v2, v4 :: v_dual_add_f32 v3, v3, v231
	v_mul_f32_e32 v4, v193, v141
	v_fma_f32 v5, v190, v138, -v5
	v_fmac_f32_e32 v235, v195, v142
	s_delay_alu instid0(VALU_DEP_4) | instskip(SKIP_3) | instid1(VALU_DEP_4)
	v_dual_add_f32 v2, v2, v6 :: v_dual_add_f32 v3, v3, v232
	v_mul_f32_e32 v6, v195, v143
	v_fma_f32 v4, v192, v140, -v4
	v_fmac_f32_e32 v236, v197, v144
	v_add_f32_e32 v2, v2, v5
	v_add_f32_e32 v3, v3, v233
	v_mul_f32_e32 v5, v197, v145
	v_fma_f32 v6, v194, v142, -v6
	s_delay_alu instid0(VALU_DEP_4) | instskip(NEXT) | instid1(VALU_DEP_4)
	v_dual_fmac_f32 v237, v199, v146 :: v_dual_add_f32 v2, v2, v4
	v_add_f32_e32 v3, v3, v234
	v_mul_f32_e32 v4, v199, v147
	v_fma_f32 v5, v196, v144, -v5
	v_fmac_f32_e32 v238, v201, v148
	s_delay_alu instid0(VALU_DEP_4) | instskip(SKIP_3) | instid1(VALU_DEP_4)
	v_dual_add_f32 v2, v2, v6 :: v_dual_add_f32 v3, v3, v235
	v_mul_f32_e32 v6, v201, v149
	v_fma_f32 v4, v198, v146, -v4
	v_dual_mul_f32 v240, v204, v153 :: v_dual_mul_f32 v241, v206, v155
	v_dual_add_f32 v2, v2, v5 :: v_dual_add_f32 v3, v3, v236
	v_mul_f32_e32 v5, v203, v151
	v_fma_f32 v6, v200, v148, -v6
	s_delay_alu instid0(VALU_DEP_3) | instskip(NEXT) | instid1(VALU_DEP_4)
	v_dual_fmac_f32 v239, v203, v150 :: v_dual_add_f32 v2, v2, v4
	v_add_f32_e32 v3, v3, v237
	v_mul_f32_e32 v4, v205, v153
	v_fma_f32 v5, v202, v150, -v5
	v_fmac_f32_e32 v240, v205, v152
	v_dual_mul_f32 v242, v208, v157 :: v_dual_mul_f32 v243, v210, v159
	v_add_f32_e32 v3, v3, v238
	v_add_f32_e32 v2, v2, v6
	v_mul_f32_e32 v6, v207, v155
	v_fma_f32 v4, v204, v152, -v4
	v_fmac_f32_e32 v241, v207, v154
	s_delay_alu instid0(VALU_DEP_4) | instskip(NEXT) | instid1(VALU_DEP_4)
	v_dual_add_f32 v3, v3, v239 :: v_dual_add_f32 v2, v2, v5
	v_fma_f32 v6, v206, v154, -v6
	v_mul_f32_e32 v5, v209, v157
	v_dual_fmac_f32 v242, v209, v156 :: v_dual_fmac_f32 v243, v211, v158
	s_delay_alu instid0(VALU_DEP_4) | instskip(SKIP_3) | instid1(VALU_DEP_4)
	v_add_f32_e32 v3, v3, v240
	v_add_f32_e32 v2, v2, v4
	v_dual_mul_f32 v244, v212, v161 :: v_dual_mul_f32 v245, v214, v163
	v_mul_f32_e32 v4, v211, v159
	v_add_f32_e32 v3, v3, v241
	v_fma_f32 v5, v208, v156, -v5
	v_add_f32_e32 v2, v2, v6
	v_mul_f32_e32 v6, v213, v161
	v_fma_f32 v4, v210, v158, -v4
	v_dual_add_f32 v3, v3, v242 :: v_dual_fmac_f32 v244, v213, v160
	s_delay_alu instid0(VALU_DEP_4) | instskip(NEXT) | instid1(VALU_DEP_4)
	v_dual_add_f32 v2, v2, v5 :: v_dual_mul_f32 v5, v215, v163
	v_fma_f32 v6, v212, v160, -v6
	s_delay_alu instid0(VALU_DEP_3) | instskip(NEXT) | instid1(VALU_DEP_3)
	v_add_f32_e32 v3, v3, v243
	v_dual_fmac_f32 v245, v215, v162 :: v_dual_add_f32 v2, v2, v4
	v_dual_mul_f32 v4, v217, v165 :: v_dual_mul_f32 v247, v218, v167
	s_delay_alu instid0(VALU_DEP_3) | instskip(SKIP_1) | instid1(VALU_DEP_4)
	v_dual_mul_f32 v248, v220, v169 :: v_dual_add_f32 v3, v3, v244
	v_fma_f32 v5, v214, v162, -v5
	v_add_f32_e32 v2, v2, v6
	s_delay_alu instid0(VALU_DEP_4) | instskip(NEXT) | instid1(VALU_DEP_4)
	v_dual_fmac_f32 v246, v217, v164 :: v_dual_fmac_f32 v247, v219, v166
	v_add_f32_e32 v3, v3, v245
	v_mul_f32_e32 v6, v219, v167
	v_fma_f32 v4, v216, v164, -v4
	v_add_f32_e32 v2, v2, v5
	v_mul_f32_e32 v5, v221, v169
	v_add_f32_e32 v3, v3, v246
	v_fma_f32 v6, v218, v166, -v6
	v_dual_fmac_f32 v248, v221, v168 :: v_dual_fmac_f32 v249, v223, v22
	s_delay_alu instid0(VALU_DEP_3) | instskip(SKIP_2) | instid1(VALU_DEP_3)
	v_dual_add_f32 v2, v2, v4 :: v_dual_add_f32 v3, v3, v247
	v_mul_f32_e32 v4, v223, v23
	v_fma_f32 v5, v220, v168, -v5
	v_dual_add_f32 v2, v2, v6 :: v_dual_add_f32 v3, v3, v248
	s_delay_alu instid0(VALU_DEP_3) | instskip(NEXT) | instid1(VALU_DEP_2)
	v_fma_f32 v4, v222, v22, -v4
	v_add_f32_e32 v3, v3, v249
	s_wait_loadcnt 0x0
	s_delay_alu instid0(VALU_DEP_1) | instskip(NEXT) | instid1(VALU_DEP_1)
	v_dual_add_f32 v2, v2, v5 :: v_dual_sub_f32 v3, v136, v3
	v_add_f32_e32 v2, v2, v4
	s_delay_alu instid0(VALU_DEP_1)
	v_sub_f32_e32 v2, v135, v2
	scratch_store_b64 off, v[2:3], off offset:216
	v_cmpx_lt_u32_e32 26, v0
	s_cbranch_execz .LBB118_291
; %bb.290:
	scratch_load_b64 v[3:4], off, off offset:208
	v_mov_b32_e32 v2, v1
	scratch_store_b64 off, v[1:2], off offset:208
	s_wait_loadcnt 0x0
	ds_store_b64 v137, v[3:4]
.LBB118_291:
	s_wait_alu 0xfffe
	s_or_b32 exec_lo, exec_lo, s0
	s_wait_storecnt_dscnt 0x0
	s_barrier_signal -1
	s_barrier_wait -1
	global_inv scope:SCOPE_SE
	s_clause 0xe
	scratch_load_b128 v[2:5], off, off offset:216
	scratch_load_b128 v[6:9], off, off offset:232
	;; [unrolled: 1-line block ×14, first 2 shown]
	scratch_load_b64 v[22:23], off, off offset:208
	ds_load_2addr_b64 v[174:177], v1 offset0:83 offset1:84
	ds_load_2addr_b64 v[178:181], v1 offset0:85 offset1:86
	;; [unrolled: 1-line block ×14, first 2 shown]
	s_mov_b32 s0, exec_lo
	s_wait_loadcnt_dscnt 0xe0d
	v_dual_mul_f32 v1, v174, v3 :: v_dual_mul_f32 v24, v176, v5
	v_mul_f32_e32 v3, v175, v3
	v_mul_f32_e32 v5, v177, v5
	s_wait_loadcnt_dscnt 0xd0c
	v_dual_mul_f32 v135, v178, v7 :: v_dual_mul_f32 v136, v180, v9
	v_fmac_f32_e32 v24, v177, v4
	v_fma_f32 v3, v174, v2, -v3
	s_wait_loadcnt_dscnt 0xc0b
	v_dual_mul_f32 v230, v182, v11 :: v_dual_mul_f32 v231, v184, v13
	v_dual_fmac_f32 v1, v175, v2 :: v_dual_fmac_f32 v136, v181, v8
	v_mul_f32_e32 v2, v179, v7
	v_fma_f32 v4, v176, v4, -v5
	s_delay_alu instid0(VALU_DEP_4) | instskip(NEXT) | instid1(VALU_DEP_4)
	v_dual_add_f32 v3, 0, v3 :: v_dual_fmac_f32 v230, v183, v10
	v_add_f32_e32 v1, 0, v1
	s_delay_alu instid0(VALU_DEP_4) | instskip(SKIP_4) | instid1(VALU_DEP_3)
	v_fma_f32 v2, v178, v6, -v2
	s_wait_loadcnt_dscnt 0xb0a
	v_dual_mul_f32 v232, v186, v15 :: v_dual_mul_f32 v233, v188, v17
	v_add_f32_e32 v3, v3, v4
	v_dual_mul_f32 v5, v181, v9 :: v_dual_mul_f32 v4, v183, v11
	v_dual_add_f32 v1, v1, v24 :: v_dual_fmac_f32 v232, v187, v14
	s_delay_alu instid0(VALU_DEP_3) | instskip(NEXT) | instid1(VALU_DEP_3)
	v_add_f32_e32 v2, v3, v2
	v_fma_f32 v5, v180, v8, -v5
	v_fmac_f32_e32 v135, v179, v6
	v_fma_f32 v4, v182, v10, -v4
	s_wait_loadcnt_dscnt 0xa09
	v_dual_mul_f32 v234, v190, v19 :: v_dual_mul_f32 v235, v192, v21
	s_delay_alu instid0(VALU_DEP_3) | instskip(NEXT) | instid1(VALU_DEP_2)
	v_dual_add_f32 v2, v2, v5 :: v_dual_add_f32 v1, v1, v135
	v_dual_mul_f32 v3, v185, v13 :: v_dual_fmac_f32 v234, v191, v18
	s_wait_loadcnt_dscnt 0x908
	v_dual_mul_f32 v236, v194, v139 :: v_dual_mul_f32 v237, v196, v141
	s_delay_alu instid0(VALU_DEP_3)
	v_add_f32_e32 v2, v2, v4
	v_mul_f32_e32 v4, v189, v17
	v_fma_f32 v3, v184, v12, -v3
	s_wait_loadcnt_dscnt 0x706
	v_dual_add_f32 v1, v1, v136 :: v_dual_mul_f32 v240, v202, v147
	v_mul_f32_e32 v241, v204, v149
	v_fma_f32 v4, v188, v16, -v4
	v_mul_f32_e32 v5, v187, v15
	s_delay_alu instid0(VALU_DEP_4) | instskip(SKIP_1) | instid1(VALU_DEP_3)
	v_dual_add_f32 v2, v2, v3 :: v_dual_add_f32 v1, v1, v230
	v_dual_mul_f32 v238, v198, v143 :: v_dual_mul_f32 v239, v200, v145
	v_fma_f32 v5, v186, v14, -v5
	v_dual_fmac_f32 v231, v185, v12 :: v_dual_fmac_f32 v236, v195, v138
	s_delay_alu instid0(VALU_DEP_3)
	v_fmac_f32_e32 v238, v199, v142
	s_wait_loadcnt_dscnt 0x403
	v_dual_mul_f32 v246, v214, v159 :: v_dual_mul_f32 v247, v216, v161
	v_add_f32_e32 v2, v2, v5
	v_dual_mul_f32 v242, v206, v151 :: v_dual_mul_f32 v243, v208, v153
	v_dual_fmac_f32 v237, v197, v140 :: v_dual_mul_f32 v244, v210, v155
	s_delay_alu instid0(VALU_DEP_3) | instskip(SKIP_2) | instid1(VALU_DEP_4)
	v_dual_mul_f32 v245, v212, v157 :: v_dual_add_f32 v2, v2, v4
	v_mul_f32_e32 v4, v195, v139
	v_add_f32_e32 v1, v1, v231
	v_dual_fmac_f32 v239, v201, v144 :: v_dual_fmac_f32 v244, v211, v154
	v_fmac_f32_e32 v240, v203, v146
	s_delay_alu instid0(VALU_DEP_4)
	v_fma_f32 v4, v194, v138, -v4
	v_mul_f32_e32 v5, v193, v21
	s_wait_loadcnt_dscnt 0x100
	v_dual_add_f32 v1, v1, v232 :: v_dual_mul_f32 v252, v226, v171
	v_mul_f32_e32 v253, v228, v173
	v_fmac_f32_e32 v241, v205, v148
	v_fma_f32 v5, v192, v20, -v5
	v_mul_f32_e32 v3, v191, v19
	v_dual_mul_f32 v248, v218, v163 :: v_dual_mul_f32 v249, v220, v165
	v_dual_mul_f32 v250, v222, v167 :: v_dual_mul_f32 v251, v224, v169
	s_delay_alu instid0(VALU_DEP_3) | instskip(SKIP_1) | instid1(VALU_DEP_4)
	v_fma_f32 v3, v190, v18, -v3
	v_fmac_f32_e32 v233, v189, v16
	v_fmac_f32_e32 v249, v221, v164
	;; [unrolled: 1-line block ×3, first 2 shown]
	s_delay_alu instid0(VALU_DEP_4) | instskip(SKIP_3) | instid1(VALU_DEP_4)
	v_dual_fmac_f32 v251, v225, v168 :: v_dual_add_f32 v2, v2, v3
	v_dual_mul_f32 v3, v197, v141 :: v_dual_fmac_f32 v246, v215, v158
	v_fmac_f32_e32 v242, v207, v150
	v_fmac_f32_e32 v252, v227, v170
	v_dual_add_f32 v2, v2, v5 :: v_dual_mul_f32 v5, v199, v143
	s_delay_alu instid0(VALU_DEP_4) | instskip(SKIP_2) | instid1(VALU_DEP_4)
	v_fma_f32 v3, v196, v140, -v3
	v_fmac_f32_e32 v248, v219, v162
	v_fmac_f32_e32 v250, v223, v166
	v_dual_add_f32 v2, v2, v4 :: v_dual_add_f32 v1, v1, v233
	v_mul_f32_e32 v4, v201, v145
	v_fma_f32 v5, v198, v142, -v5
	s_delay_alu instid0(VALU_DEP_3) | instskip(NEXT) | instid1(VALU_DEP_3)
	v_dual_add_f32 v2, v2, v3 :: v_dual_fmac_f32 v235, v193, v20
	v_fma_f32 v4, v200, v144, -v4
	s_delay_alu instid0(VALU_DEP_2) | instskip(SKIP_1) | instid1(VALU_DEP_2)
	v_add_f32_e32 v2, v2, v5
	v_mul_f32_e32 v5, v205, v149
	v_dual_add_f32 v1, v1, v234 :: v_dual_add_f32 v2, v2, v4
	s_delay_alu instid0(VALU_DEP_2) | instskip(SKIP_1) | instid1(VALU_DEP_3)
	v_fma_f32 v5, v204, v148, -v5
	v_mul_f32_e32 v3, v203, v147
	v_add_f32_e32 v1, v1, v235
	v_mul_f32_e32 v4, v207, v151
	s_delay_alu instid0(VALU_DEP_3) | instskip(NEXT) | instid1(VALU_DEP_3)
	v_fma_f32 v3, v202, v146, -v3
	v_add_f32_e32 v1, v1, v236
	s_delay_alu instid0(VALU_DEP_3) | instskip(NEXT) | instid1(VALU_DEP_3)
	v_fma_f32 v4, v206, v150, -v4
	v_add_f32_e32 v2, v2, v3
	s_delay_alu instid0(VALU_DEP_1) | instskip(NEXT) | instid1(VALU_DEP_4)
	v_add_f32_e32 v2, v2, v5
	v_add_f32_e32 v1, v1, v237
	s_delay_alu instid0(VALU_DEP_2) | instskip(SKIP_1) | instid1(VALU_DEP_2)
	v_dual_mul_f32 v5, v211, v155 :: v_dual_add_f32 v2, v2, v4
	v_mul_f32_e32 v4, v213, v157
	v_fma_f32 v5, v210, v154, -v5
	s_delay_alu instid0(VALU_DEP_2) | instskip(SKIP_1) | instid1(VALU_DEP_1)
	v_fma_f32 v4, v212, v156, -v4
	v_mul_f32_e32 v3, v209, v153
	v_fma_f32 v3, v208, v152, -v3
	s_delay_alu instid0(VALU_DEP_1) | instskip(NEXT) | instid1(VALU_DEP_1)
	v_dual_add_f32 v1, v1, v238 :: v_dual_add_f32 v2, v2, v3
	v_add_f32_e32 v1, v1, v239
	s_delay_alu instid0(VALU_DEP_2) | instskip(SKIP_1) | instid1(VALU_DEP_2)
	v_dual_mul_f32 v3, v215, v159 :: v_dual_add_f32 v2, v2, v5
	v_mul_f32_e32 v5, v217, v161
	v_fma_f32 v3, v214, v158, -v3
	s_delay_alu instid0(VALU_DEP_3) | instskip(SKIP_1) | instid1(VALU_DEP_4)
	v_add_f32_e32 v2, v2, v4
	v_dual_add_f32 v1, v1, v240 :: v_dual_mul_f32 v4, v219, v163
	v_fma_f32 v5, v216, v160, -v5
	s_delay_alu instid0(VALU_DEP_2) | instskip(SKIP_3) | instid1(VALU_DEP_4)
	v_dual_add_f32 v2, v2, v3 :: v_dual_add_f32 v1, v1, v241
	v_fmac_f32_e32 v243, v209, v152
	v_mul_f32_e32 v3, v221, v165
	v_fma_f32 v4, v218, v162, -v4
	v_dual_add_f32 v2, v2, v5 :: v_dual_add_f32 v1, v1, v242
	v_mul_f32_e32 v5, v223, v167
	s_delay_alu instid0(VALU_DEP_4) | instskip(NEXT) | instid1(VALU_DEP_3)
	v_fma_f32 v3, v220, v164, -v3
	v_dual_add_f32 v2, v2, v4 :: v_dual_add_f32 v1, v1, v243
	v_fmac_f32_e32 v245, v213, v156
	v_mul_f32_e32 v4, v225, v169
	v_fma_f32 v5, v222, v166, -v5
	s_delay_alu instid0(VALU_DEP_4) | instskip(SKIP_1) | instid1(VALU_DEP_4)
	v_dual_add_f32 v2, v2, v3 :: v_dual_add_f32 v1, v1, v244
	v_mul_f32_e32 v3, v227, v171
	v_fma_f32 v4, v224, v168, -v4
	s_delay_alu instid0(VALU_DEP_3) | instskip(NEXT) | instid1(VALU_DEP_4)
	v_add_f32_e32 v2, v2, v5
	v_add_f32_e32 v1, v1, v245
	v_mul_f32_e32 v5, v229, v173
	v_fma_f32 v3, v226, v170, -v3
	s_delay_alu instid0(VALU_DEP_4) | instskip(SKIP_1) | instid1(VALU_DEP_4)
	v_add_f32_e32 v2, v2, v4
	v_fmac_f32_e32 v247, v217, v160
	v_fma_f32 v4, v228, v172, -v5
	s_delay_alu instid0(VALU_DEP_3) | instskip(NEXT) | instid1(VALU_DEP_1)
	v_dual_add_f32 v2, v2, v3 :: v_dual_add_f32 v1, v1, v246
	v_dual_add_f32 v2, v2, v4 :: v_dual_add_f32 v1, v1, v247
	s_delay_alu instid0(VALU_DEP_1) | instskip(NEXT) | instid1(VALU_DEP_1)
	v_add_f32_e32 v1, v1, v248
	v_add_f32_e32 v1, v1, v249
	s_delay_alu instid0(VALU_DEP_1) | instskip(NEXT) | instid1(VALU_DEP_1)
	v_add_f32_e32 v1, v1, v250
	v_add_f32_e32 v1, v1, v251
	;; [unrolled: 3-line block ×3, first 2 shown]
	s_wait_loadcnt 0x0
	s_delay_alu instid0(VALU_DEP_1)
	v_dual_sub_f32 v1, v22, v2 :: v_dual_sub_f32 v2, v23, v3
	scratch_store_b64 off, v[1:2], off offset:208
	v_cmpx_lt_u32_e32 25, v0
	s_cbranch_execz .LBB118_293
; %bb.292:
	scratch_load_b64 v[1:2], off, off offset:200
	v_mov_b32_e32 v3, 0
	s_delay_alu instid0(VALU_DEP_1)
	v_mov_b32_e32 v4, v3
	scratch_store_b64 off, v[3:4], off offset:200
	s_wait_loadcnt 0x0
	ds_store_b64 v137, v[1:2]
.LBB118_293:
	s_wait_alu 0xfffe
	s_or_b32 exec_lo, exec_lo, s0
	s_wait_storecnt_dscnt 0x0
	s_barrier_signal -1
	s_barrier_wait -1
	global_inv scope:SCOPE_SE
	s_clause 0x4
	scratch_load_b128 v[2:5], off, off offset:208
	scratch_load_b128 v[6:9], off, off offset:224
	scratch_load_b128 v[10:13], off, off offset:240
	scratch_load_b128 v[14:17], off, off offset:256
	scratch_load_b128 v[18:21], off, off offset:272
	v_mov_b32_e32 v1, 0
	ds_load_b128 v[138:141], v1 offset:656
	ds_load_b128 v[142:145], v1 offset:672
	;; [unrolled: 1-line block ×3, first 2 shown]
	scratch_load_b64 v[22:23], off, off offset:200
	s_mov_b32 s0, exec_lo
	s_wait_loadcnt_dscnt 0x502
	v_mul_f32_e32 v24, v139, v3
	v_dual_mul_f32 v135, v138, v3 :: v_dual_mul_f32 v136, v140, v5
	v_mul_f32_e32 v3, v141, v5
	s_wait_loadcnt_dscnt 0x300
	v_mul_f32_e32 v150, v148, v13
	v_fma_f32 v24, v138, v2, -v24
	v_dual_fmac_f32 v135, v139, v2 :: v_dual_fmac_f32 v136, v141, v4
	v_fma_f32 v138, v140, v4, -v3
	ds_load_b128 v[2:5], v1 offset:704
	v_dual_mul_f32 v139, v142, v7 :: v_dual_mul_f32 v140, v144, v9
	v_mul_f32_e32 v7, v143, v7
	v_mul_f32_e32 v9, v145, v9
	;; [unrolled: 1-line block ×3, first 2 shown]
	v_dual_mul_f32 v11, v147, v11 :: v_dual_fmac_f32 v150, v149, v12
	v_mul_f32_e32 v13, v149, v13
	v_fmac_f32_e32 v139, v143, v6
	v_fma_f32 v142, v142, v6, -v7
	v_fmac_f32_e32 v140, v145, v8
	v_fma_f32 v143, v144, v8, -v9
	scratch_load_b128 v[6:9], off, off offset:288
	v_fmac_f32_e32 v141, v147, v10
	v_fma_f32 v144, v146, v10, -v11
	v_fma_f32 v145, v148, v12, -v13
	ds_load_b128 v[10:13], v1 offset:720
	s_wait_loadcnt_dscnt 0x301
	v_mul_f32_e32 v146, v2, v15
	v_mul_f32_e32 v15, v3, v15
	;; [unrolled: 1-line block ×3, first 2 shown]
	s_delay_alu instid0(VALU_DEP_3) | instskip(NEXT) | instid1(VALU_DEP_3)
	v_dual_mul_f32 v17, v5, v17 :: v_dual_fmac_f32 v146, v3, v14
	v_fma_f32 v14, v2, v14, -v15
	s_delay_alu instid0(VALU_DEP_3) | instskip(NEXT) | instid1(VALU_DEP_3)
	v_fmac_f32_e32 v147, v5, v16
	v_fma_f32 v15, v4, v16, -v17
	ds_load_b128 v[2:5], v1 offset:736
	s_wait_loadcnt_dscnt 0x201
	v_mul_f32_e32 v16, v10, v19
	v_mul_f32_e32 v17, v11, v19
	;; [unrolled: 1-line block ×3, first 2 shown]
	s_delay_alu instid0(VALU_DEP_3) | instskip(NEXT) | instid1(VALU_DEP_3)
	v_dual_mul_f32 v21, v13, v21 :: v_dual_fmac_f32 v16, v11, v18
	v_fma_f32 v17, v10, v18, -v17
	s_delay_alu instid0(VALU_DEP_3) | instskip(NEXT) | instid1(VALU_DEP_3)
	v_fmac_f32_e32 v19, v13, v20
	v_fma_f32 v18, v12, v20, -v21
	scratch_load_b128 v[10:13], off, off offset:304
	s_wait_loadcnt_dscnt 0x100
	v_mul_f32_e32 v20, v2, v7
	v_mul_f32_e32 v7, v3, v7
	;; [unrolled: 1-line block ×3, first 2 shown]
	s_delay_alu instid0(VALU_DEP_3) | instskip(NEXT) | instid1(VALU_DEP_3)
	v_dual_mul_f32 v9, v5, v9 :: v_dual_fmac_f32 v20, v3, v6
	v_fma_f32 v148, v2, v6, -v7
	s_delay_alu instid0(VALU_DEP_3) | instskip(NEXT) | instid1(VALU_DEP_3)
	v_fmac_f32_e32 v21, v5, v8
	v_fma_f32 v149, v4, v8, -v9
	ds_load_b128 v[2:5], v1 offset:752
	ds_load_b128 v[6:9], v1 offset:768
	s_wait_loadcnt_dscnt 0x1
	v_mul_f32_e32 v151, v2, v11
	v_dual_mul_f32 v11, v3, v11 :: v_dual_mul_f32 v152, v4, v13
	s_delay_alu instid0(VALU_DEP_2) | instskip(NEXT) | instid1(VALU_DEP_2)
	v_fmac_f32_e32 v151, v3, v10
	v_fma_f32 v153, v2, v10, -v11
	v_mul_f32_e32 v2, v5, v13
	s_delay_alu instid0(VALU_DEP_4) | instskip(NEXT) | instid1(VALU_DEP_2)
	v_fmac_f32_e32 v152, v5, v12
	v_fma_f32 v154, v4, v12, -v2
	s_clause 0x1
	scratch_load_b128 v[2:5], off, off offset:320
	scratch_load_b128 v[10:13], off, off offset:336
	s_wait_loadcnt_dscnt 0x100
	v_mul_f32_e32 v155, v6, v3
	v_mul_f32_e32 v3, v7, v3
	;; [unrolled: 1-line block ×3, first 2 shown]
	s_delay_alu instid0(VALU_DEP_3) | instskip(NEXT) | instid1(VALU_DEP_3)
	v_fmac_f32_e32 v155, v7, v2
	v_fma_f32 v156, v6, v2, -v3
	v_mul_f32_e32 v2, v9, v5
	s_delay_alu instid0(VALU_DEP_4) | instskip(NEXT) | instid1(VALU_DEP_2)
	v_fmac_f32_e32 v157, v9, v4
	v_fma_f32 v158, v8, v4, -v2
	ds_load_b128 v[2:5], v1 offset:784
	ds_load_b128 v[6:9], v1 offset:800
	s_wait_loadcnt_dscnt 0x1
	v_mul_f32_e32 v159, v2, v11
	v_mul_f32_e32 v161, v4, v13
	s_delay_alu instid0(VALU_DEP_2) | instskip(SKIP_1) | instid1(VALU_DEP_3)
	v_fmac_f32_e32 v159, v3, v10
	v_mul_f32_e32 v3, v3, v11
	v_fmac_f32_e32 v161, v5, v12
	s_delay_alu instid0(VALU_DEP_2) | instskip(SKIP_1) | instid1(VALU_DEP_1)
	v_fma_f32 v160, v2, v10, -v3
	v_mul_f32_e32 v2, v5, v13
	v_fma_f32 v162, v4, v12, -v2
	s_clause 0x1
	scratch_load_b128 v[2:5], off, off offset:352
	scratch_load_b128 v[10:13], off, off offset:368
	s_wait_loadcnt_dscnt 0x100
	v_mul_f32_e32 v163, v6, v3
	v_mul_f32_e32 v3, v7, v3
	s_delay_alu instid0(VALU_DEP_2) | instskip(NEXT) | instid1(VALU_DEP_2)
	v_fmac_f32_e32 v163, v7, v2
	v_fma_f32 v164, v6, v2, -v3
	v_dual_mul_f32 v2, v9, v5 :: v_dual_add_f32 v3, 0, v135
	s_delay_alu instid0(VALU_DEP_1) | instskip(SKIP_1) | instid1(VALU_DEP_3)
	v_fma_f32 v166, v8, v4, -v2
	v_add_f32_e32 v2, 0, v24
	v_add_f32_e32 v3, v3, v136
	scratch_load_b64 v[135:136], off, off offset:432
	v_dual_add_f32 v2, v2, v138 :: v_dual_add_f32 v3, v3, v139
	s_delay_alu instid0(VALU_DEP_1) | instskip(NEXT) | instid1(VALU_DEP_1)
	v_dual_add_f32 v2, v2, v142 :: v_dual_add_f32 v3, v3, v140
	v_add_f32_e32 v2, v2, v143
	s_delay_alu instid0(VALU_DEP_2) | instskip(NEXT) | instid1(VALU_DEP_2)
	v_add_f32_e32 v6, v3, v141
	v_add_f32_e32 v2, v2, v144
	s_delay_alu instid0(VALU_DEP_2) | instskip(NEXT) | instid1(VALU_DEP_2)
	v_add_f32_e32 v6, v6, v150
	;; [unrolled: 3-line block ×3, first 2 shown]
	v_add_f32_e32 v7, v7, v14
	s_delay_alu instid0(VALU_DEP_1) | instskip(NEXT) | instid1(VALU_DEP_3)
	v_add_f32_e32 v14, v7, v15
	v_add_f32_e32 v15, v6, v147
	s_delay_alu instid0(VALU_DEP_1) | instskip(NEXT) | instid1(VALU_DEP_1)
	v_dual_add_f32 v14, v14, v17 :: v_dual_add_f32 v15, v15, v16
	v_dual_add_f32 v14, v14, v18 :: v_dual_add_f32 v15, v15, v19
	s_delay_alu instid0(VALU_DEP_1) | instskip(NEXT) | instid1(VALU_DEP_1)
	v_add_f32_e32 v14, v14, v148
	v_dual_add_f32 v18, v15, v20 :: v_dual_add_f32 v19, v14, v149
	scratch_load_b128 v[14:17], off, off offset:416
	v_add_f32_e32 v18, v18, v21
	s_delay_alu instid0(VALU_DEP_1) | instskip(NEXT) | instid1(VALU_DEP_1)
	v_dual_add_f32 v19, v19, v153 :: v_dual_add_f32 v18, v18, v151
	v_dual_add_f32 v19, v19, v154 :: v_dual_add_f32 v18, v18, v152
	v_mul_f32_e32 v165, v8, v5
	s_delay_alu instid0(VALU_DEP_2) | instskip(NEXT) | instid1(VALU_DEP_2)
	v_dual_add_f32 v19, v19, v156 :: v_dual_add_f32 v18, v18, v155
	v_fmac_f32_e32 v165, v9, v4
	ds_load_b128 v[2:5], v1 offset:816
	ds_load_b128 v[6:9], v1 offset:832
	v_add_f32_e32 v19, v19, v158
	s_delay_alu instid0(VALU_DEP_1)
	v_add_f32_e32 v142, v19, v160
	s_wait_loadcnt_dscnt 0x201
	v_mul_f32_e32 v24, v2, v11
	v_mul_f32_e32 v144, v4, v13
	v_add_f32_e32 v138, v18, v157
	ds_load_b128 v[18:21], v1 offset:848
	v_fmac_f32_e32 v24, v3, v10
	v_dual_fmac_f32 v144, v5, v12 :: v_dual_add_f32 v143, v138, v159
	ds_load_b128 v[138:141], v1 offset:864
	v_dual_add_f32 v147, v142, v162 :: v_dual_add_f32 v148, v143, v161
	ds_load_b64 v[142:143], v1 offset:880
	v_dual_mul_f32 v13, v5, v13 :: v_dual_add_f32 v148, v148, v163
	s_delay_alu instid0(VALU_DEP_1) | instskip(NEXT) | instid1(VALU_DEP_1)
	v_add_f32_e32 v148, v148, v165
	v_dual_add_f32 v24, v148, v24 :: v_dual_mul_f32 v11, v3, v11
	s_delay_alu instid0(VALU_DEP_1) | instskip(NEXT) | instid1(VALU_DEP_2)
	v_add_f32_e32 v24, v24, v144
	v_fma_f32 v145, v2, v10, -v11
	s_wait_loadcnt_dscnt 0x100
	v_mul_f32_e32 v144, v142, v136
	v_fma_f32 v146, v4, v12, -v13
	s_clause 0x1
	scratch_load_b128 v[2:5], off, off offset:384
	scratch_load_b128 v[10:13], off, off offset:400
	v_fmac_f32_e32 v144, v143, v135
	s_wait_loadcnt 0x2
	v_mul_f32_e32 v151, v138, v15
	s_delay_alu instid0(VALU_DEP_1)
	v_fmac_f32_e32 v151, v139, v14
	s_wait_loadcnt 0x1
	v_mul_f32_e32 v149, v6, v3
	v_dual_mul_f32 v3, v7, v3 :: v_dual_mul_f32 v150, v8, v5
	v_mul_f32_e32 v5, v9, v5
	s_wait_loadcnt 0x0
	s_delay_alu instid0(VALU_DEP_3) | instskip(NEXT) | instid1(VALU_DEP_3)
	v_dual_mul_f32 v148, v20, v13 :: v_dual_fmac_f32 v149, v7, v2
	v_fma_f32 v3, v6, v2, -v3
	v_mul_f32_e32 v6, v21, v13
	v_fmac_f32_e32 v150, v9, v4
	v_fma_f32 v2, v8, v4, -v5
	v_mul_f32_e32 v4, v19, v11
	v_fmac_f32_e32 v148, v21, v12
	v_fma_f32 v6, v20, v12, -v6
	v_add_f32_e32 v147, v147, v164
	v_add_f32_e32 v5, v24, v149
	v_fma_f32 v4, v18, v10, -v4
	s_delay_alu instid0(VALU_DEP_3) | instskip(NEXT) | instid1(VALU_DEP_1)
	v_add_f32_e32 v147, v147, v166
	v_add_f32_e32 v145, v147, v145
	v_mul_f32_e32 v147, v18, v11
	s_delay_alu instid0(VALU_DEP_2) | instskip(NEXT) | instid1(VALU_DEP_2)
	v_add_f32_e32 v145, v145, v146
	v_dual_fmac_f32 v147, v19, v10 :: v_dual_mul_f32 v146, v140, v17
	s_delay_alu instid0(VALU_DEP_2) | instskip(NEXT) | instid1(VALU_DEP_2)
	v_add_f32_e32 v3, v145, v3
	v_fmac_f32_e32 v146, v141, v16
	s_delay_alu instid0(VALU_DEP_2) | instskip(SKIP_1) | instid1(VALU_DEP_2)
	v_add_f32_e32 v2, v3, v2
	v_add_f32_e32 v3, v5, v150
	v_dual_mul_f32 v5, v139, v15 :: v_dual_add_f32 v2, v2, v4
	s_delay_alu instid0(VALU_DEP_2) | instskip(NEXT) | instid1(VALU_DEP_2)
	v_dual_add_f32 v3, v3, v147 :: v_dual_mul_f32 v4, v141, v17
	v_fma_f32 v5, v138, v14, -v5
	s_delay_alu instid0(VALU_DEP_2) | instskip(SKIP_1) | instid1(VALU_DEP_4)
	v_dual_add_f32 v2, v2, v6 :: v_dual_add_f32 v3, v3, v148
	v_mul_f32_e32 v6, v143, v136
	v_fma_f32 v4, v140, v16, -v4
	s_delay_alu instid0(VALU_DEP_3) | instskip(NEXT) | instid1(VALU_DEP_3)
	v_dual_add_f32 v2, v2, v5 :: v_dual_add_f32 v3, v3, v151
	v_fma_f32 v5, v142, v135, -v6
	s_delay_alu instid0(VALU_DEP_2) | instskip(NEXT) | instid1(VALU_DEP_1)
	v_dual_add_f32 v2, v2, v4 :: v_dual_add_f32 v3, v3, v146
	v_dual_add_f32 v2, v2, v5 :: v_dual_add_f32 v3, v3, v144
	s_delay_alu instid0(VALU_DEP_1)
	v_dual_sub_f32 v2, v22, v2 :: v_dual_sub_f32 v3, v23, v3
	scratch_store_b64 off, v[2:3], off offset:200
	v_cmpx_lt_u32_e32 24, v0
	s_cbranch_execz .LBB118_295
; %bb.294:
	scratch_load_b64 v[3:4], off, off offset:192
	v_mov_b32_e32 v2, v1
	scratch_store_b64 off, v[1:2], off offset:192
	s_wait_loadcnt 0x0
	ds_store_b64 v137, v[3:4]
.LBB118_295:
	s_wait_alu 0xfffe
	s_or_b32 exec_lo, exec_lo, s0
	s_wait_storecnt_dscnt 0x0
	s_barrier_signal -1
	s_barrier_wait -1
	global_inv scope:SCOPE_SE
	s_clause 0x4
	scratch_load_b128 v[2:5], off, off offset:200
	scratch_load_b128 v[6:9], off, off offset:216
	;; [unrolled: 1-line block ×5, first 2 shown]
	ds_load_2addr_b64 v[138:141], v1 offset0:81 offset1:82
	ds_load_2addr_b64 v[142:145], v1 offset0:83 offset1:84
	;; [unrolled: 1-line block ×3, first 2 shown]
	scratch_load_b64 v[22:23], off, off offset:192
	s_mov_b32 s0, exec_lo
	s_wait_loadcnt_dscnt 0x502
	v_mul_f32_e32 v24, v139, v3
	v_dual_mul_f32 v135, v138, v3 :: v_dual_mul_f32 v136, v140, v5
	v_mul_f32_e32 v3, v141, v5
	s_wait_loadcnt_dscnt 0x300
	v_mul_f32_e32 v150, v148, v13
	v_fma_f32 v24, v138, v2, -v24
	v_dual_fmac_f32 v135, v139, v2 :: v_dual_fmac_f32 v136, v141, v4
	v_fma_f32 v138, v140, v4, -v3
	ds_load_2addr_b64 v[2:5], v1 offset0:87 offset1:88
	v_dual_mul_f32 v139, v142, v7 :: v_dual_mul_f32 v140, v144, v9
	v_mul_f32_e32 v7, v143, v7
	v_mul_f32_e32 v9, v145, v9
	;; [unrolled: 1-line block ×3, first 2 shown]
	v_dual_mul_f32 v11, v147, v11 :: v_dual_fmac_f32 v150, v149, v12
	v_mul_f32_e32 v13, v149, v13
	v_fmac_f32_e32 v139, v143, v6
	v_fma_f32 v142, v142, v6, -v7
	v_fmac_f32_e32 v140, v145, v8
	v_fma_f32 v143, v144, v8, -v9
	scratch_load_b128 v[6:9], off, off offset:280
	v_fmac_f32_e32 v141, v147, v10
	v_fma_f32 v144, v146, v10, -v11
	v_fma_f32 v145, v148, v12, -v13
	ds_load_2addr_b64 v[10:13], v1 offset0:89 offset1:90
	s_wait_loadcnt_dscnt 0x301
	v_mul_f32_e32 v146, v2, v15
	v_mul_f32_e32 v15, v3, v15
	;; [unrolled: 1-line block ×3, first 2 shown]
	s_delay_alu instid0(VALU_DEP_3) | instskip(NEXT) | instid1(VALU_DEP_3)
	v_dual_mul_f32 v17, v5, v17 :: v_dual_fmac_f32 v146, v3, v14
	v_fma_f32 v14, v2, v14, -v15
	s_delay_alu instid0(VALU_DEP_3) | instskip(NEXT) | instid1(VALU_DEP_3)
	v_fmac_f32_e32 v147, v5, v16
	v_fma_f32 v15, v4, v16, -v17
	ds_load_2addr_b64 v[2:5], v1 offset0:91 offset1:92
	s_wait_loadcnt_dscnt 0x201
	v_mul_f32_e32 v16, v10, v19
	v_mul_f32_e32 v17, v11, v19
	;; [unrolled: 1-line block ×3, first 2 shown]
	s_delay_alu instid0(VALU_DEP_3) | instskip(NEXT) | instid1(VALU_DEP_3)
	v_dual_mul_f32 v21, v13, v21 :: v_dual_fmac_f32 v16, v11, v18
	v_fma_f32 v17, v10, v18, -v17
	s_delay_alu instid0(VALU_DEP_3) | instskip(NEXT) | instid1(VALU_DEP_3)
	v_fmac_f32_e32 v19, v13, v20
	v_fma_f32 v18, v12, v20, -v21
	scratch_load_b128 v[10:13], off, off offset:296
	s_wait_loadcnt_dscnt 0x100
	v_mul_f32_e32 v20, v2, v7
	v_mul_f32_e32 v7, v3, v7
	;; [unrolled: 1-line block ×3, first 2 shown]
	s_delay_alu instid0(VALU_DEP_3) | instskip(NEXT) | instid1(VALU_DEP_3)
	v_dual_mul_f32 v9, v5, v9 :: v_dual_fmac_f32 v20, v3, v6
	v_fma_f32 v148, v2, v6, -v7
	s_delay_alu instid0(VALU_DEP_3) | instskip(NEXT) | instid1(VALU_DEP_3)
	v_fmac_f32_e32 v21, v5, v8
	v_fma_f32 v149, v4, v8, -v9
	ds_load_2addr_b64 v[2:5], v1 offset0:93 offset1:94
	ds_load_2addr_b64 v[6:9], v1 offset0:95 offset1:96
	s_wait_loadcnt_dscnt 0x1
	v_mul_f32_e32 v151, v2, v11
	v_dual_mul_f32 v11, v3, v11 :: v_dual_mul_f32 v152, v4, v13
	s_delay_alu instid0(VALU_DEP_2) | instskip(NEXT) | instid1(VALU_DEP_2)
	v_fmac_f32_e32 v151, v3, v10
	v_fma_f32 v153, v2, v10, -v11
	v_mul_f32_e32 v2, v5, v13
	s_delay_alu instid0(VALU_DEP_4) | instskip(NEXT) | instid1(VALU_DEP_2)
	v_fmac_f32_e32 v152, v5, v12
	v_fma_f32 v154, v4, v12, -v2
	s_clause 0x1
	scratch_load_b128 v[2:5], off, off offset:312
	scratch_load_b128 v[10:13], off, off offset:328
	s_wait_loadcnt_dscnt 0x100
	v_mul_f32_e32 v155, v6, v3
	v_mul_f32_e32 v3, v7, v3
	;; [unrolled: 1-line block ×3, first 2 shown]
	s_delay_alu instid0(VALU_DEP_3) | instskip(NEXT) | instid1(VALU_DEP_3)
	v_fmac_f32_e32 v155, v7, v2
	v_fma_f32 v156, v6, v2, -v3
	v_mul_f32_e32 v2, v9, v5
	s_delay_alu instid0(VALU_DEP_4) | instskip(NEXT) | instid1(VALU_DEP_2)
	v_fmac_f32_e32 v157, v9, v4
	v_fma_f32 v158, v8, v4, -v2
	ds_load_2addr_b64 v[2:5], v1 offset0:97 offset1:98
	ds_load_2addr_b64 v[6:9], v1 offset0:99 offset1:100
	s_wait_loadcnt_dscnt 0x1
	v_mul_f32_e32 v159, v2, v11
	v_mul_f32_e32 v161, v4, v13
	s_delay_alu instid0(VALU_DEP_2) | instskip(SKIP_1) | instid1(VALU_DEP_3)
	v_fmac_f32_e32 v159, v3, v10
	v_mul_f32_e32 v3, v3, v11
	v_fmac_f32_e32 v161, v5, v12
	s_delay_alu instid0(VALU_DEP_2) | instskip(SKIP_1) | instid1(VALU_DEP_1)
	v_fma_f32 v160, v2, v10, -v3
	v_mul_f32_e32 v2, v5, v13
	v_fma_f32 v162, v4, v12, -v2
	s_clause 0x1
	scratch_load_b128 v[2:5], off, off offset:344
	scratch_load_b128 v[10:13], off, off offset:360
	s_wait_loadcnt_dscnt 0x100
	v_mul_f32_e32 v163, v6, v3
	v_mul_f32_e32 v3, v7, v3
	s_delay_alu instid0(VALU_DEP_2) | instskip(NEXT) | instid1(VALU_DEP_2)
	v_fmac_f32_e32 v163, v7, v2
	v_fma_f32 v164, v6, v2, -v3
	v_dual_mul_f32 v2, v9, v5 :: v_dual_add_f32 v3, 0, v135
	s_delay_alu instid0(VALU_DEP_1) | instskip(SKIP_1) | instid1(VALU_DEP_1)
	v_fma_f32 v166, v8, v4, -v2
	v_add_f32_e32 v2, 0, v24
	v_dual_add_f32 v3, v3, v136 :: v_dual_add_f32 v2, v2, v138
	s_delay_alu instid0(VALU_DEP_1) | instskip(NEXT) | instid1(VALU_DEP_1)
	v_dual_add_f32 v3, v3, v139 :: v_dual_add_f32 v2, v2, v142
	v_dual_add_f32 v3, v3, v140 :: v_dual_add_f32 v2, v2, v143
	s_delay_alu instid0(VALU_DEP_1) | instskip(NEXT) | instid1(VALU_DEP_1)
	v_dual_add_f32 v3, v3, v141 :: v_dual_add_f32 v2, v2, v144
	v_add_f32_e32 v6, v3, v150
	s_delay_alu instid0(VALU_DEP_2) | instskip(NEXT) | instid1(VALU_DEP_1)
	v_add_f32_e32 v2, v2, v145
	v_add_f32_e32 v7, v2, v14
	s_delay_alu instid0(VALU_DEP_1) | instskip(NEXT) | instid1(VALU_DEP_1)
	v_dual_add_f32 v14, v6, v146 :: v_dual_add_f32 v15, v7, v15
	v_dual_add_f32 v14, v14, v147 :: v_dual_add_f32 v15, v15, v17
	s_delay_alu instid0(VALU_DEP_1) | instskip(NEXT) | instid1(VALU_DEP_1)
	v_add_f32_e32 v14, v14, v16
	v_dual_add_f32 v18, v15, v18 :: v_dual_add_f32 v19, v14, v19
	ds_load_2addr_b64 v[14:17], v1 offset0:103 offset1:104
	v_add_f32_e32 v18, v18, v148
	s_delay_alu instid0(VALU_DEP_1) | instskip(NEXT) | instid1(VALU_DEP_1)
	v_dual_add_f32 v19, v19, v20 :: v_dual_add_f32 v18, v18, v149
	v_add_f32_e32 v19, v19, v21
	s_delay_alu instid0(VALU_DEP_2) | instskip(NEXT) | instid1(VALU_DEP_1)
	v_add_f32_e32 v18, v18, v153
	v_dual_add_f32 v138, v19, v151 :: v_dual_add_f32 v139, v18, v154
	s_delay_alu instid0(VALU_DEP_1)
	v_dual_add_f32 v138, v138, v152 :: v_dual_mul_f32 v165, v8, v5
	scratch_load_b128 v[18:21], off, off offset:424
	v_dual_add_f32 v139, v139, v156 :: v_dual_add_f32 v138, v138, v155
	v_fmac_f32_e32 v165, v9, v4
	scratch_load_b128 v[6:9], off, off offset:376
	ds_load_2addr_b64 v[2:5], v1 offset0:101 offset1:102
	s_wait_loadcnt_dscnt 0x200
	v_dual_add_f32 v139, v139, v158 :: v_dual_mul_f32 v24, v2, v11
	v_mul_f32_e32 v11, v3, v11
	v_mul_f32_e32 v135, v4, v13
	s_delay_alu instid0(VALU_DEP_3) | instskip(NEXT) | instid1(VALU_DEP_3)
	v_dual_mul_f32 v13, v5, v13 :: v_dual_fmac_f32 v24, v3, v10
	v_fma_f32 v136, v2, v10, -v11
	s_delay_alu instid0(VALU_DEP_3) | instskip(NEXT) | instid1(VALU_DEP_3)
	v_fmac_f32_e32 v135, v5, v12
	v_fma_f32 v142, v4, v12, -v13
	s_clause 0x1
	scratch_load_b128 v[2:5], off, off offset:392
	scratch_load_b128 v[10:13], off, off offset:408
	s_wait_loadcnt 0x2
	v_mul_f32_e32 v143, v14, v7
	v_dual_mul_f32 v7, v15, v7 :: v_dual_mul_f32 v144, v16, v9
	v_mul_f32_e32 v9, v17, v9
	s_delay_alu instid0(VALU_DEP_3) | instskip(NEXT) | instid1(VALU_DEP_3)
	v_fmac_f32_e32 v143, v15, v6
	v_fma_f32 v145, v14, v6, -v7
	v_add_f32_e32 v14, v138, v157
	v_add_f32_e32 v138, v139, v160
	v_fmac_f32_e32 v144, v17, v8
	v_fma_f32 v146, v16, v8, -v9
	ds_load_2addr_b64 v[6:9], v1 offset0:105 offset1:106
	v_add_f32_e32 v139, v14, v159
	v_add_f32_e32 v147, v138, v162
	ds_load_2addr_b64 v[14:17], v1 offset0:107 offset1:108
	v_add_f32_e32 v148, v139, v161
	ds_load_2addr_b64 v[138:141], v1 offset0:109 offset1:110
	v_add_f32_e32 v1, v147, v164
	v_add_f32_e32 v147, v148, v163
	s_delay_alu instid0(VALU_DEP_2) | instskip(NEXT) | instid1(VALU_DEP_2)
	v_add_f32_e32 v1, v1, v166
	v_add_f32_e32 v147, v147, v165
	s_wait_loadcnt_dscnt 0x102
	s_delay_alu instid0(VALU_DEP_2) | instskip(SKIP_1) | instid1(VALU_DEP_2)
	v_dual_add_f32 v1, v1, v136 :: v_dual_mul_f32 v148, v6, v3
	v_dual_mul_f32 v3, v7, v3 :: v_dual_mul_f32 v136, v8, v5
	v_add_f32_e32 v1, v1, v142
	v_dual_mul_f32 v5, v9, v5 :: v_dual_add_f32 v24, v147, v24
	s_delay_alu instid0(VALU_DEP_3) | instskip(NEXT) | instid1(VALU_DEP_4)
	v_fma_f32 v3, v6, v2, -v3
	v_fmac_f32_e32 v136, v9, v4
	s_delay_alu instid0(VALU_DEP_4) | instskip(NEXT) | instid1(VALU_DEP_4)
	v_add_f32_e32 v1, v1, v145
	v_fma_f32 v4, v8, v4, -v5
	s_wait_loadcnt_dscnt 0x1
	v_dual_fmac_f32 v148, v7, v2 :: v_dual_mul_f32 v147, v14, v11
	s_delay_alu instid0(VALU_DEP_3) | instskip(SKIP_2) | instid1(VALU_DEP_3)
	v_dual_mul_f32 v6, v15, v11 :: v_dual_add_f32 v1, v1, v146
	v_mul_f32_e32 v149, v16, v13
	s_wait_dscnt 0x0
	v_dual_mul_f32 v142, v140, v21 :: v_dual_fmac_f32 v147, v15, v10
	s_delay_alu instid0(VALU_DEP_3) | instskip(SKIP_4) | instid1(VALU_DEP_4)
	v_fma_f32 v5, v14, v10, -v6
	v_add_f32_e32 v1, v1, v3
	v_mul_f32_e32 v3, v17, v13
	v_fmac_f32_e32 v149, v17, v12
	v_fmac_f32_e32 v142, v141, v20
	v_dual_add_f32 v1, v1, v4 :: v_dual_mul_f32 v4, v139, v19
	v_add_f32_e32 v24, v24, v135
	v_mul_f32_e32 v135, v138, v19
	v_fma_f32 v3, v16, v12, -v3
	s_delay_alu instid0(VALU_DEP_4) | instskip(NEXT) | instid1(VALU_DEP_4)
	v_add_f32_e32 v1, v1, v5
	v_dual_mul_f32 v5, v141, v21 :: v_dual_add_f32 v24, v24, v143
	s_delay_alu instid0(VALU_DEP_4) | instskip(SKIP_1) | instid1(VALU_DEP_4)
	v_fmac_f32_e32 v135, v139, v18
	v_fma_f32 v4, v138, v18, -v4
	v_add_f32_e32 v1, v1, v3
	s_delay_alu instid0(VALU_DEP_4) | instskip(SKIP_1) | instid1(VALU_DEP_3)
	v_fma_f32 v3, v140, v20, -v5
	v_add_f32_e32 v2, v24, v144
	v_add_f32_e32 v1, v1, v4
	s_delay_alu instid0(VALU_DEP_1) | instskip(NEXT) | instid1(VALU_DEP_1)
	v_dual_add_f32 v2, v2, v148 :: v_dual_add_f32 v1, v1, v3
	v_add_f32_e32 v2, v2, v136
	s_delay_alu instid0(VALU_DEP_2) | instskip(NEXT) | instid1(VALU_DEP_2)
	v_sub_f32_e32 v1, v22, v1
	v_add_f32_e32 v2, v2, v147
	s_delay_alu instid0(VALU_DEP_1) | instskip(NEXT) | instid1(VALU_DEP_1)
	v_add_f32_e32 v2, v2, v149
	v_add_f32_e32 v2, v2, v135
	s_delay_alu instid0(VALU_DEP_1) | instskip(NEXT) | instid1(VALU_DEP_1)
	v_add_f32_e32 v2, v2, v142
	v_sub_f32_e32 v2, v23, v2
	scratch_store_b64 off, v[1:2], off offset:192
	v_cmpx_lt_u32_e32 23, v0
	s_cbranch_execz .LBB118_297
; %bb.296:
	scratch_load_b64 v[1:2], off, off offset:184
	v_mov_b32_e32 v3, 0
	s_delay_alu instid0(VALU_DEP_1)
	v_mov_b32_e32 v4, v3
	scratch_store_b64 off, v[3:4], off offset:184
	s_wait_loadcnt 0x0
	ds_store_b64 v137, v[1:2]
.LBB118_297:
	s_wait_alu 0xfffe
	s_or_b32 exec_lo, exec_lo, s0
	s_wait_storecnt_dscnt 0x0
	s_barrier_signal -1
	s_barrier_wait -1
	global_inv scope:SCOPE_SE
	s_clause 0x4
	scratch_load_b128 v[5:8], off, off offset:192
	scratch_load_b128 v[1:4], off, off offset:208
	scratch_load_b128 v[9:12], off, off offset:224
	scratch_load_b128 v[13:16], off, off offset:240
	scratch_load_b128 v[17:20], off, off offset:256
	v_mov_b32_e32 v21, 0
	ds_load_b128 v[138:141], v21 offset:640
	ds_load_b128 v[142:145], v21 offset:656
	;; [unrolled: 1-line block ×3, first 2 shown]
	scratch_load_b64 v[22:23], off, off offset:184
	s_mov_b32 s0, exec_lo
	s_wait_loadcnt_dscnt 0x502
	v_mul_f32_e32 v24, v139, v6
	v_dual_mul_f32 v135, v138, v6 :: v_dual_mul_f32 v136, v140, v8
	v_mul_f32_e32 v6, v141, v8
	s_delay_alu instid0(VALU_DEP_3) | instskip(NEXT) | instid1(VALU_DEP_3)
	v_fma_f32 v24, v138, v5, -v24
	v_dual_fmac_f32 v135, v139, v5 :: v_dual_fmac_f32 v136, v141, v7
	s_wait_loadcnt_dscnt 0x401
	v_mul_f32_e32 v139, v142, v2
	v_fma_f32 v138, v140, v7, -v6
	ds_load_b128 v[5:8], v21 offset:688
	s_wait_loadcnt_dscnt 0x301
	v_dual_mul_f32 v140, v144, v4 :: v_dual_mul_f32 v141, v146, v10
	v_dual_mul_f32 v4, v145, v4 :: v_dual_fmac_f32 v139, v143, v1
	v_mul_f32_e32 v10, v147, v10
	s_delay_alu instid0(VALU_DEP_3)
	v_dual_mul_f32 v150, v148, v12 :: v_dual_fmac_f32 v141, v147, v9
	v_mul_f32_e32 v12, v149, v12
	v_mul_f32_e32 v2, v143, v2
	v_fmac_f32_e32 v140, v145, v3
	v_fma_f32 v143, v144, v3, -v4
	v_fma_f32 v144, v146, v9, -v10
	v_fmac_f32_e32 v150, v149, v11
	v_fma_f32 v145, v148, v11, -v12
	ds_load_b128 v[9:12], v21 offset:704
	s_wait_loadcnt_dscnt 0x201
	v_dual_mul_f32 v147, v7, v16 :: v_dual_mul_f32 v146, v5, v14
	v_mul_f32_e32 v14, v6, v14
	v_mul_f32_e32 v16, v8, v16
	s_delay_alu instid0(VALU_DEP_3)
	v_fmac_f32_e32 v147, v8, v15
	v_fma_f32 v142, v142, v1, -v2
	scratch_load_b128 v[1:4], off, off offset:272
	v_fmac_f32_e32 v146, v6, v13
	v_fma_f32 v13, v5, v13, -v14
	v_fma_f32 v14, v7, v15, -v16
	ds_load_b128 v[5:8], v21 offset:720
	s_wait_loadcnt_dscnt 0x201
	v_mul_f32_e32 v15, v9, v18
	v_mul_f32_e32 v16, v10, v18
	;; [unrolled: 1-line block ×3, first 2 shown]
	s_delay_alu instid0(VALU_DEP_3) | instskip(NEXT) | instid1(VALU_DEP_3)
	v_dual_mul_f32 v20, v12, v20 :: v_dual_fmac_f32 v15, v10, v17
	v_fma_f32 v16, v9, v17, -v16
	s_delay_alu instid0(VALU_DEP_3) | instskip(NEXT) | instid1(VALU_DEP_3)
	v_fmac_f32_e32 v18, v12, v19
	v_fma_f32 v17, v11, v19, -v20
	scratch_load_b128 v[9:12], off, off offset:288
	s_wait_loadcnt_dscnt 0x100
	v_mul_f32_e32 v19, v5, v2
	v_mul_f32_e32 v2, v6, v2
	;; [unrolled: 1-line block ×3, first 2 shown]
	s_delay_alu instid0(VALU_DEP_3) | instskip(NEXT) | instid1(VALU_DEP_3)
	v_dual_mul_f32 v4, v8, v4 :: v_dual_fmac_f32 v19, v6, v1
	v_fma_f32 v148, v5, v1, -v2
	s_delay_alu instid0(VALU_DEP_3) | instskip(NEXT) | instid1(VALU_DEP_3)
	v_fmac_f32_e32 v20, v8, v3
	v_fma_f32 v149, v7, v3, -v4
	ds_load_b128 v[1:4], v21 offset:736
	ds_load_b128 v[5:8], v21 offset:752
	s_wait_loadcnt_dscnt 0x1
	v_mul_f32_e32 v151, v1, v10
	v_mul_f32_e32 v10, v2, v10
	s_delay_alu instid0(VALU_DEP_2) | instskip(NEXT) | instid1(VALU_DEP_2)
	v_dual_mul_f32 v152, v3, v12 :: v_dual_fmac_f32 v151, v2, v9
	v_fma_f32 v153, v1, v9, -v10
	v_mul_f32_e32 v1, v4, v12
	s_delay_alu instid0(VALU_DEP_3) | instskip(NEXT) | instid1(VALU_DEP_2)
	v_fmac_f32_e32 v152, v4, v11
	v_fma_f32 v154, v3, v11, -v1
	s_clause 0x1
	scratch_load_b128 v[1:4], off, off offset:304
	scratch_load_b128 v[9:12], off, off offset:320
	s_wait_loadcnt_dscnt 0x100
	v_mul_f32_e32 v155, v5, v2
	v_dual_mul_f32 v2, v6, v2 :: v_dual_mul_f32 v157, v7, v4
	s_delay_alu instid0(VALU_DEP_2) | instskip(NEXT) | instid1(VALU_DEP_2)
	v_fmac_f32_e32 v155, v6, v1
	v_fma_f32 v156, v5, v1, -v2
	v_mul_f32_e32 v1, v8, v4
	s_delay_alu instid0(VALU_DEP_4) | instskip(NEXT) | instid1(VALU_DEP_2)
	v_fmac_f32_e32 v157, v8, v3
	v_fma_f32 v158, v7, v3, -v1
	ds_load_b128 v[1:4], v21 offset:768
	ds_load_b128 v[5:8], v21 offset:784
	s_wait_loadcnt_dscnt 0x1
	v_mul_f32_e32 v159, v1, v10
	v_mul_f32_e32 v161, v3, v12
	s_delay_alu instid0(VALU_DEP_2) | instskip(NEXT) | instid1(VALU_DEP_2)
	v_fmac_f32_e32 v159, v2, v9
	v_dual_mul_f32 v2, v2, v10 :: v_dual_fmac_f32 v161, v4, v11
	s_delay_alu instid0(VALU_DEP_1) | instskip(SKIP_1) | instid1(VALU_DEP_1)
	v_fma_f32 v160, v1, v9, -v2
	v_mul_f32_e32 v1, v4, v12
	v_fma_f32 v162, v3, v11, -v1
	s_clause 0x1
	scratch_load_b128 v[1:4], off, off offset:336
	scratch_load_b128 v[9:12], off, off offset:352
	s_wait_loadcnt_dscnt 0x100
	v_mul_f32_e32 v163, v5, v2
	v_dual_mul_f32 v165, v7, v4 :: v_dual_mul_f32 v2, v6, v2
	s_delay_alu instid0(VALU_DEP_2) | instskip(NEXT) | instid1(VALU_DEP_2)
	v_fmac_f32_e32 v163, v6, v1
	v_fmac_f32_e32 v165, v8, v3
	s_delay_alu instid0(VALU_DEP_3) | instskip(SKIP_1) | instid1(VALU_DEP_1)
	v_fma_f32 v164, v5, v1, -v2
	v_dual_mul_f32 v1, v8, v4 :: v_dual_add_f32 v2, 0, v135
	v_fma_f32 v166, v7, v3, -v1
	s_delay_alu instid0(VALU_DEP_2) | instskip(NEXT) | instid1(VALU_DEP_1)
	v_add_f32_e32 v2, v2, v136
	v_dual_add_f32 v1, 0, v24 :: v_dual_add_f32 v2, v2, v139
	s_delay_alu instid0(VALU_DEP_1) | instskip(NEXT) | instid1(VALU_DEP_1)
	v_dual_add_f32 v1, v1, v138 :: v_dual_add_f32 v2, v2, v140
	v_dual_add_f32 v1, v1, v142 :: v_dual_add_f32 v2, v2, v141
	s_delay_alu instid0(VALU_DEP_1) | instskip(NEXT) | instid1(VALU_DEP_1)
	v_add_f32_e32 v1, v1, v143
	v_add_f32_e32 v1, v1, v144
	s_delay_alu instid0(VALU_DEP_1) | instskip(NEXT) | instid1(VALU_DEP_1)
	v_add_f32_e32 v1, v1, v145
	v_dual_add_f32 v5, v2, v150 :: v_dual_add_f32 v6, v1, v13
	scratch_load_b128 v[1:4], off, off offset:368
	v_add_f32_e32 v13, v5, v146
	v_add_f32_e32 v14, v6, v14
	ds_load_b128 v[5:8], v21 offset:800
	v_dual_add_f32 v13, v13, v147 :: v_dual_add_f32 v14, v14, v16
	s_delay_alu instid0(VALU_DEP_1) | instskip(NEXT) | instid1(VALU_DEP_1)
	v_add_f32_e32 v13, v13, v15
	v_dual_add_f32 v17, v14, v17 :: v_dual_add_f32 v18, v13, v18
	ds_load_b128 v[13:16], v21 offset:816
	v_add_f32_e32 v18, v18, v19
	s_wait_loadcnt_dscnt 0x101
	v_mul_f32_e32 v144, v7, v12
	s_delay_alu instid0(VALU_DEP_2) | instskip(SKIP_2) | instid1(VALU_DEP_3)
	v_add_f32_e32 v18, v18, v20
	v_mul_f32_e32 v24, v5, v10
	v_mul_f32_e32 v10, v6, v10
	v_dual_mul_f32 v12, v8, v12 :: v_dual_add_f32 v135, v18, v151
	s_delay_alu instid0(VALU_DEP_3) | instskip(NEXT) | instid1(VALU_DEP_3)
	v_dual_add_f32 v17, v17, v148 :: v_dual_fmac_f32 v24, v6, v9
	v_fma_f32 v145, v5, v9, -v10
	s_delay_alu instid0(VALU_DEP_3) | instskip(NEXT) | instid1(VALU_DEP_3)
	v_fma_f32 v146, v7, v11, -v12
	v_dual_add_f32 v17, v17, v149 :: v_dual_fmac_f32 v144, v8, v11
	s_clause 0x1
	scratch_load_b128 v[5:8], off, off offset:384
	scratch_load_b128 v[9:12], off, off offset:400
	v_dual_add_f32 v138, v135, v152 :: v_dual_add_f32 v17, v17, v153
	s_delay_alu instid0(VALU_DEP_1)
	v_add_f32_e32 v136, v17, v154
	scratch_load_b128 v[17:20], off, off offset:416
	s_wait_loadcnt_dscnt 0x300
	v_mul_f32_e32 v147, v13, v2
	v_dual_add_f32 v139, v136, v156 :: v_dual_add_f32 v138, v138, v155
	scratch_load_b64 v[135:136], off, off offset:432
	v_mul_f32_e32 v2, v14, v2
	v_dual_mul_f32 v148, v15, v4 :: v_dual_fmac_f32 v147, v14, v1
	v_dual_add_f32 v139, v139, v158 :: v_dual_mul_f32 v4, v16, v4
	s_delay_alu instid0(VALU_DEP_1) | instskip(NEXT) | instid1(VALU_DEP_2)
	v_add_f32_e32 v139, v139, v160
	v_fma_f32 v150, v15, v3, -v4
	s_delay_alu instid0(VALU_DEP_2) | instskip(NEXT) | instid1(VALU_DEP_1)
	v_add_f32_e32 v14, v139, v162
	v_add_f32_e32 v142, v14, v164
	s_delay_alu instid0(VALU_DEP_1) | instskip(NEXT) | instid1(VALU_DEP_1)
	v_dual_fmac_f32 v148, v16, v3 :: v_dual_add_f32 v151, v142, v166
	v_add_f32_e32 v145, v151, v145
	v_fma_f32 v149, v13, v1, -v2
	ds_load_b128 v[1:4], v21 offset:832
	v_dual_add_f32 v138, v138, v157 :: v_dual_add_f32 v145, v145, v146
	s_delay_alu instid0(VALU_DEP_1) | instskip(NEXT) | instid1(VALU_DEP_2)
	v_add_f32_e32 v13, v138, v159
	v_add_f32_e32 v145, v145, v149
	s_delay_alu instid0(VALU_DEP_2)
	v_add_f32_e32 v138, v13, v161
	ds_load_b128 v[13:16], v21 offset:848
	v_add_f32_e32 v145, v145, v150
	v_add_f32_e32 v143, v138, v163
	ds_load_b128 v[138:141], v21 offset:864
	s_wait_loadcnt_dscnt 0x302
	v_dual_mul_f32 v151, v1, v6 :: v_dual_add_f32 v152, v143, v165
	ds_load_b64 v[142:143], v21 offset:880
	v_mul_f32_e32 v6, v2, v6
	v_fmac_f32_e32 v151, v2, v5
	s_delay_alu instid0(VALU_DEP_2) | instskip(SKIP_2) | instid1(VALU_DEP_2)
	v_fma_f32 v1, v1, v5, -v6
	s_wait_loadcnt_dscnt 0x202
	v_dual_mul_f32 v146, v13, v10 :: v_dual_mul_f32 v5, v16, v12
	v_add_f32_e32 v1, v145, v1
	s_wait_loadcnt_dscnt 0x101
	v_dual_mul_f32 v149, v138, v18 :: v_dual_add_f32 v24, v152, v24
	s_delay_alu instid0(VALU_DEP_3) | instskip(SKIP_1) | instid1(VALU_DEP_3)
	v_fma_f32 v5, v15, v11, -v5
	v_fmac_f32_e32 v146, v14, v9
	v_dual_fmac_f32 v149, v139, v17 :: v_dual_add_f32 v24, v24, v144
	v_mul_f32_e32 v144, v3, v8
	v_mul_f32_e32 v8, v4, v8
	s_delay_alu instid0(VALU_DEP_1) | instskip(NEXT) | instid1(VALU_DEP_4)
	v_fma_f32 v2, v3, v7, -v8
	v_dual_add_f32 v24, v24, v147 :: v_dual_mul_f32 v3, v14, v10
	s_delay_alu instid0(VALU_DEP_4) | instskip(NEXT) | instid1(VALU_DEP_2)
	v_dual_fmac_f32 v144, v4, v7 :: v_dual_mul_f32 v147, v15, v12
	v_dual_add_f32 v1, v1, v2 :: v_dual_add_f32 v24, v24, v148
	s_delay_alu instid0(VALU_DEP_3) | instskip(SKIP_1) | instid1(VALU_DEP_4)
	v_fma_f32 v3, v13, v9, -v3
	v_mul_f32_e32 v150, v140, v20
	v_fmac_f32_e32 v147, v16, v11
	s_delay_alu instid0(VALU_DEP_3) | instskip(SKIP_1) | instid1(VALU_DEP_4)
	v_add_f32_e32 v1, v1, v3
	v_dual_add_f32 v4, v24, v151 :: v_dual_mul_f32 v3, v141, v20
	v_fmac_f32_e32 v150, v141, v19
	s_delay_alu instid0(VALU_DEP_3) | instskip(NEXT) | instid1(VALU_DEP_3)
	v_add_f32_e32 v1, v1, v5
	v_fma_f32 v3, v140, v19, -v3
	s_delay_alu instid0(VALU_DEP_4) | instskip(SKIP_1) | instid1(VALU_DEP_1)
	v_add_f32_e32 v2, v4, v144
	v_mul_f32_e32 v4, v139, v18
	v_fma_f32 v4, v138, v17, -v4
	s_delay_alu instid0(VALU_DEP_1) | instskip(NEXT) | instid1(VALU_DEP_1)
	v_add_f32_e32 v1, v1, v4
	v_add_f32_e32 v1, v1, v3
	s_wait_loadcnt_dscnt 0x0
	v_mul_f32_e32 v5, v143, v136
	v_mul_f32_e32 v148, v142, v136
	s_delay_alu instid0(VALU_DEP_2) | instskip(SKIP_1) | instid1(VALU_DEP_2)
	v_fma_f32 v4, v142, v135, -v5
	v_add_f32_e32 v2, v2, v146
	v_dual_fmac_f32 v148, v143, v135 :: v_dual_add_f32 v1, v1, v4
	s_delay_alu instid0(VALU_DEP_2) | instskip(NEXT) | instid1(VALU_DEP_2)
	v_add_f32_e32 v2, v2, v147
	v_sub_f32_e32 v1, v22, v1
	s_delay_alu instid0(VALU_DEP_2) | instskip(NEXT) | instid1(VALU_DEP_1)
	v_add_f32_e32 v2, v2, v149
	v_add_f32_e32 v2, v2, v150
	s_delay_alu instid0(VALU_DEP_1) | instskip(NEXT) | instid1(VALU_DEP_1)
	v_add_f32_e32 v2, v2, v148
	v_sub_f32_e32 v2, v23, v2
	scratch_store_b64 off, v[1:2], off offset:184
	v_cmpx_lt_u32_e32 22, v0
	s_cbranch_execz .LBB118_299
; %bb.298:
	scratch_load_b64 v[1:2], off, off offset:176
	v_mov_b32_e32 v22, v21
	scratch_store_b64 off, v[21:22], off offset:176
	s_wait_loadcnt 0x0
	ds_store_b64 v137, v[1:2]
.LBB118_299:
	s_wait_alu 0xfffe
	s_or_b32 exec_lo, exec_lo, s0
	s_wait_storecnt_dscnt 0x0
	s_barrier_signal -1
	s_barrier_wait -1
	global_inv scope:SCOPE_SE
	s_clause 0x4
	scratch_load_b128 v[5:8], off, off offset:184
	scratch_load_b128 v[1:4], off, off offset:200
	;; [unrolled: 1-line block ×5, first 2 shown]
	ds_load_2addr_b64 v[138:141], v21 offset0:79 offset1:80
	ds_load_2addr_b64 v[142:145], v21 offset0:81 offset1:82
	;; [unrolled: 1-line block ×3, first 2 shown]
	scratch_load_b64 v[135:136], off, off offset:176
	s_mov_b32 s0, exec_lo
	s_wait_loadcnt_dscnt 0x502
	v_mul_f32_e32 v22, v139, v6
	v_dual_mul_f32 v23, v138, v6 :: v_dual_mul_f32 v24, v140, v8
	v_mul_f32_e32 v6, v141, v8
	s_delay_alu instid0(VALU_DEP_3) | instskip(NEXT) | instid1(VALU_DEP_3)
	v_fma_f32 v22, v138, v5, -v22
	v_dual_fmac_f32 v23, v139, v5 :: v_dual_fmac_f32 v24, v141, v7
	s_wait_loadcnt_dscnt 0x401
	v_mul_f32_e32 v139, v142, v2
	v_fma_f32 v138, v140, v7, -v6
	ds_load_2addr_b64 v[5:8], v21 offset0:85 offset1:86
	s_wait_loadcnt_dscnt 0x301
	v_dual_mul_f32 v140, v144, v4 :: v_dual_mul_f32 v141, v146, v10
	v_dual_mul_f32 v4, v145, v4 :: v_dual_fmac_f32 v139, v143, v1
	v_mul_f32_e32 v10, v147, v10
	s_delay_alu instid0(VALU_DEP_3)
	v_dual_mul_f32 v150, v148, v12 :: v_dual_fmac_f32 v141, v147, v9
	v_mul_f32_e32 v12, v149, v12
	v_mul_f32_e32 v2, v143, v2
	v_fmac_f32_e32 v140, v145, v3
	v_fma_f32 v143, v144, v3, -v4
	v_fma_f32 v144, v146, v9, -v10
	v_fmac_f32_e32 v150, v149, v11
	v_fma_f32 v145, v148, v11, -v12
	ds_load_2addr_b64 v[9:12], v21 offset0:87 offset1:88
	s_wait_loadcnt_dscnt 0x201
	v_mul_f32_e32 v146, v5, v14
	v_dual_mul_f32 v14, v6, v14 :: v_dual_mul_f32 v147, v7, v16
	v_mul_f32_e32 v16, v8, v16
	s_delay_alu instid0(VALU_DEP_3) | instskip(NEXT) | instid1(VALU_DEP_3)
	v_fmac_f32_e32 v146, v6, v13
	v_fma_f32 v13, v5, v13, -v14
	s_delay_alu instid0(VALU_DEP_4) | instskip(NEXT) | instid1(VALU_DEP_4)
	v_fmac_f32_e32 v147, v8, v15
	v_fma_f32 v14, v7, v15, -v16
	ds_load_2addr_b64 v[5:8], v21 offset0:89 offset1:90
	s_wait_loadcnt_dscnt 0x101
	v_mul_f32_e32 v15, v9, v18
	v_mul_f32_e32 v16, v10, v18
	;; [unrolled: 1-line block ×3, first 2 shown]
	s_delay_alu instid0(VALU_DEP_3)
	v_dual_mul_f32 v20, v12, v20 :: v_dual_fmac_f32 v15, v10, v17
	v_fma_f32 v142, v142, v1, -v2
	scratch_load_b128 v[1:4], off, off offset:264
	v_fma_f32 v16, v9, v17, -v16
	v_fmac_f32_e32 v18, v12, v19
	v_fma_f32 v17, v11, v19, -v20
	scratch_load_b128 v[9:12], off, off offset:280
	s_wait_loadcnt_dscnt 0x100
	v_mul_f32_e32 v19, v5, v2
	v_mul_f32_e32 v2, v6, v2
	;; [unrolled: 1-line block ×3, first 2 shown]
	s_delay_alu instid0(VALU_DEP_3) | instskip(NEXT) | instid1(VALU_DEP_3)
	v_dual_mul_f32 v4, v8, v4 :: v_dual_fmac_f32 v19, v6, v1
	v_fma_f32 v148, v5, v1, -v2
	s_delay_alu instid0(VALU_DEP_3) | instskip(NEXT) | instid1(VALU_DEP_3)
	v_fmac_f32_e32 v20, v8, v3
	v_fma_f32 v149, v7, v3, -v4
	ds_load_2addr_b64 v[1:4], v21 offset0:91 offset1:92
	ds_load_2addr_b64 v[5:8], v21 offset0:93 offset1:94
	s_wait_loadcnt_dscnt 0x1
	v_mul_f32_e32 v151, v1, v10
	v_mul_f32_e32 v10, v2, v10
	s_delay_alu instid0(VALU_DEP_2) | instskip(NEXT) | instid1(VALU_DEP_2)
	v_dual_mul_f32 v152, v3, v12 :: v_dual_fmac_f32 v151, v2, v9
	v_fma_f32 v153, v1, v9, -v10
	v_mul_f32_e32 v1, v4, v12
	s_delay_alu instid0(VALU_DEP_3) | instskip(NEXT) | instid1(VALU_DEP_2)
	v_fmac_f32_e32 v152, v4, v11
	v_fma_f32 v154, v3, v11, -v1
	s_clause 0x1
	scratch_load_b128 v[1:4], off, off offset:296
	scratch_load_b128 v[9:12], off, off offset:312
	s_wait_loadcnt_dscnt 0x100
	v_mul_f32_e32 v155, v5, v2
	v_dual_mul_f32 v2, v6, v2 :: v_dual_mul_f32 v157, v7, v4
	s_delay_alu instid0(VALU_DEP_2) | instskip(NEXT) | instid1(VALU_DEP_2)
	v_fmac_f32_e32 v155, v6, v1
	v_fma_f32 v156, v5, v1, -v2
	v_mul_f32_e32 v1, v8, v4
	s_delay_alu instid0(VALU_DEP_4) | instskip(NEXT) | instid1(VALU_DEP_2)
	v_fmac_f32_e32 v157, v8, v3
	v_fma_f32 v158, v7, v3, -v1
	ds_load_2addr_b64 v[1:4], v21 offset0:95 offset1:96
	ds_load_2addr_b64 v[5:8], v21 offset0:97 offset1:98
	s_wait_loadcnt_dscnt 0x1
	v_mul_f32_e32 v159, v1, v10
	v_mul_f32_e32 v161, v3, v12
	s_delay_alu instid0(VALU_DEP_2) | instskip(NEXT) | instid1(VALU_DEP_2)
	v_fmac_f32_e32 v159, v2, v9
	v_dual_mul_f32 v2, v2, v10 :: v_dual_fmac_f32 v161, v4, v11
	s_delay_alu instid0(VALU_DEP_1) | instskip(SKIP_1) | instid1(VALU_DEP_1)
	v_fma_f32 v160, v1, v9, -v2
	v_mul_f32_e32 v1, v4, v12
	v_fma_f32 v162, v3, v11, -v1
	s_clause 0x1
	scratch_load_b128 v[1:4], off, off offset:328
	scratch_load_b128 v[9:12], off, off offset:344
	s_wait_loadcnt_dscnt 0x100
	v_mul_f32_e32 v163, v5, v2
	v_dual_mul_f32 v2, v6, v2 :: v_dual_mul_f32 v165, v7, v4
	s_delay_alu instid0(VALU_DEP_2) | instskip(NEXT) | instid1(VALU_DEP_2)
	v_fmac_f32_e32 v163, v6, v1
	v_fma_f32 v164, v5, v1, -v2
	v_mul_f32_e32 v1, v8, v4
	s_delay_alu instid0(VALU_DEP_4) | instskip(NEXT) | instid1(VALU_DEP_2)
	v_fmac_f32_e32 v165, v8, v3
	v_fma_f32 v166, v7, v3, -v1
	ds_load_2addr_b64 v[1:4], v21 offset0:99 offset1:100
	ds_load_2addr_b64 v[5:8], v21 offset0:101 offset1:102
	s_wait_loadcnt_dscnt 0x1
	v_mul_f32_e32 v167, v1, v10
	v_mul_f32_e32 v169, v3, v12
	s_delay_alu instid0(VALU_DEP_2) | instskip(NEXT) | instid1(VALU_DEP_2)
	v_fmac_f32_e32 v167, v2, v9
	v_dual_mul_f32 v2, v2, v10 :: v_dual_fmac_f32 v169, v4, v11
	s_delay_alu instid0(VALU_DEP_1) | instskip(SKIP_1) | instid1(VALU_DEP_1)
	v_fma_f32 v168, v1, v9, -v2
	v_mul_f32_e32 v1, v4, v12
	v_fma_f32 v170, v3, v11, -v1
	s_clause 0x1
	scratch_load_b128 v[1:4], off, off offset:360
	scratch_load_b128 v[9:12], off, off offset:376
	s_wait_loadcnt_dscnt 0x100
	v_mul_f32_e32 v171, v5, v2
	v_mul_f32_e32 v2, v6, v2
	s_delay_alu instid0(VALU_DEP_1) | instskip(SKIP_1) | instid1(VALU_DEP_1)
	v_fma_f32 v172, v5, v1, -v2
	v_add_f32_e32 v2, 0, v23
	v_add_f32_e32 v2, v2, v24
	v_fmac_f32_e32 v171, v6, v1
	s_delay_alu instid0(VALU_DEP_2) | instskip(NEXT) | instid1(VALU_DEP_1)
	v_add_f32_e32 v2, v2, v139
	v_add_f32_e32 v2, v2, v140
	s_delay_alu instid0(VALU_DEP_1) | instskip(NEXT) | instid1(VALU_DEP_1)
	v_dual_mul_f32 v173, v7, v4 :: v_dual_add_f32 v2, v2, v141
	v_dual_fmac_f32 v173, v8, v3 :: v_dual_add_f32 v2, v2, v150
	s_delay_alu instid0(VALU_DEP_1) | instskip(NEXT) | instid1(VALU_DEP_1)
	v_dual_mul_f32 v1, v8, v4 :: v_dual_add_f32 v2, v2, v146
	v_fma_f32 v174, v7, v3, -v1
	s_delay_alu instid0(VALU_DEP_2) | instskip(NEXT) | instid1(VALU_DEP_1)
	v_dual_add_f32 v1, 0, v22 :: v_dual_add_f32 v2, v2, v147
	v_add_f32_e32 v1, v1, v138
	s_delay_alu instid0(VALU_DEP_2) | instskip(NEXT) | instid1(VALU_DEP_2)
	v_add_f32_e32 v5, v2, v15
	v_add_f32_e32 v1, v1, v142
	s_delay_alu instid0(VALU_DEP_2) | instskip(NEXT) | instid1(VALU_DEP_2)
	v_add_f32_e32 v5, v5, v18
	;; [unrolled: 3-line block ×3, first 2 shown]
	v_add_f32_e32 v1, v1, v144
	s_delay_alu instid0(VALU_DEP_1) | instskip(NEXT) | instid1(VALU_DEP_1)
	v_add_f32_e32 v1, v1, v145
	v_add_f32_e32 v1, v1, v13
	s_delay_alu instid0(VALU_DEP_1) | instskip(SKIP_1) | instid1(VALU_DEP_1)
	v_add_f32_e32 v1, v1, v14
	v_add_f32_e32 v14, v5, v20
	;; [unrolled: 1-line block ×3, first 2 shown]
	s_delay_alu instid0(VALU_DEP_1) | instskip(NEXT) | instid1(VALU_DEP_4)
	v_add_f32_e32 v14, v14, v152
	v_add_f32_e32 v1, v1, v16
	s_delay_alu instid0(VALU_DEP_1) | instskip(SKIP_3) | instid1(VALU_DEP_1)
	v_add_f32_e32 v6, v1, v17
	ds_load_2addr_b64 v[1:4], v21 offset0:103 offset1:104
	v_add_f32_e32 v17, v14, v155
	v_add_f32_e32 v6, v6, v148
	;; [unrolled: 1-line block ×3, first 2 shown]
	ds_load_2addr_b64 v[5:8], v21 offset0:105 offset1:106
	s_wait_loadcnt_dscnt 0x1
	v_dual_mul_f32 v138, v1, v10 :: v_dual_mul_f32 v139, v3, v12
	v_mul_f32_e32 v10, v2, v10
	v_mul_f32_e32 v12, v4, v12
	s_delay_alu instid0(VALU_DEP_3) | instskip(NEXT) | instid1(VALU_DEP_3)
	v_dual_fmac_f32 v138, v2, v9 :: v_dual_fmac_f32 v139, v4, v11
	v_fma_f32 v140, v1, v9, -v10
	s_delay_alu instid0(VALU_DEP_3)
	v_fma_f32 v141, v3, v11, -v12
	s_clause 0x1
	scratch_load_b128 v[1:4], off, off offset:392
	scratch_load_b128 v[9:12], off, off offset:408
	s_wait_loadcnt_dscnt 0x100
	v_mul_f32_e32 v144, v5, v2
	v_dual_add_f32 v13, v13, v153 :: v_dual_mul_f32 v2, v6, v2
	v_mul_f32_e32 v145, v7, v4
	v_mul_f32_e32 v4, v8, v4
	s_delay_alu instid0(VALU_DEP_3) | instskip(NEXT) | instid1(VALU_DEP_4)
	v_dual_fmac_f32 v144, v6, v1 :: v_dual_add_f32 v13, v13, v154
	v_fma_f32 v2, v5, v1, -v2
	s_delay_alu instid0(VALU_DEP_2) | instskip(NEXT) | instid1(VALU_DEP_1)
	v_add_f32_e32 v13, v13, v156
	v_add_f32_e32 v18, v13, v158
	scratch_load_b128 v[13:16], off, off offset:424
	v_add_f32_e32 v18, v18, v160
	s_delay_alu instid0(VALU_DEP_1) | instskip(NEXT) | instid1(VALU_DEP_1)
	v_add_f32_e32 v18, v18, v162
	v_add_f32_e32 v22, v18, v164
	s_delay_alu instid0(VALU_DEP_1) | instskip(NEXT) | instid1(VALU_DEP_1)
	v_add_f32_e32 v142, v22, v166
	v_add_f32_e32 v142, v142, v168
	s_delay_alu instid0(VALU_DEP_1) | instskip(NEXT) | instid1(VALU_DEP_1)
	v_dual_add_f32 v142, v142, v170 :: v_dual_add_f32 v17, v17, v157
	v_dual_add_f32 v142, v142, v172 :: v_dual_add_f32 v17, v17, v159
	s_delay_alu instid0(VALU_DEP_1) | instskip(NEXT) | instid1(VALU_DEP_1)
	v_dual_add_f32 v142, v142, v174 :: v_dual_add_f32 v17, v17, v161
	v_dual_add_f32 v140, v142, v140 :: v_dual_add_f32 v23, v17, v163
	ds_load_2addr_b64 v[17:20], v21 offset0:107 offset1:108
	v_add_f32_e32 v1, v140, v141
	v_add_f32_e32 v143, v23, v165
	ds_load_2addr_b64 v[21:24], v21 offset0:109 offset1:110
	s_wait_loadcnt_dscnt 0x101
	v_dual_mul_f32 v146, v17, v10 :: v_dual_add_f32 v143, v143, v167
	v_mul_f32_e32 v6, v18, v10
	s_delay_alu instid0(VALU_DEP_2) | instskip(NEXT) | instid1(VALU_DEP_3)
	v_fmac_f32_e32 v146, v18, v9
	v_add_f32_e32 v143, v143, v169
	v_fmac_f32_e32 v145, v8, v3
	v_fma_f32 v3, v7, v3, -v4
	s_delay_alu instid0(VALU_DEP_3) | instskip(NEXT) | instid1(VALU_DEP_1)
	v_dual_mul_f32 v4, v20, v12 :: v_dual_add_f32 v143, v143, v171
	v_fma_f32 v4, v19, v11, -v4
	s_delay_alu instid0(VALU_DEP_2) | instskip(NEXT) | instid1(VALU_DEP_1)
	v_add_f32_e32 v143, v143, v173
	v_add_f32_e32 v138, v143, v138
	s_wait_loadcnt_dscnt 0x0
	s_delay_alu instid0(VALU_DEP_1) | instskip(SKIP_2) | instid1(VALU_DEP_3)
	v_dual_add_f32 v5, v138, v139 :: v_dual_mul_f32 v142, v23, v16
	v_mul_f32_e32 v148, v21, v14
	v_add_f32_e32 v1, v1, v2
	v_add_f32_e32 v2, v5, v144
	v_mul_f32_e32 v147, v19, v12
	v_fma_f32 v5, v17, v9, -v6
	v_fmac_f32_e32 v148, v22, v13
	v_fmac_f32_e32 v142, v24, v15
	s_delay_alu instid0(VALU_DEP_4) | instskip(NEXT) | instid1(VALU_DEP_1)
	v_dual_add_f32 v2, v2, v145 :: v_dual_fmac_f32 v147, v20, v11
	v_add_f32_e32 v2, v2, v146
	s_delay_alu instid0(VALU_DEP_1) | instskip(SKIP_2) | instid1(VALU_DEP_3)
	v_add_f32_e32 v2, v2, v147
	v_add_f32_e32 v1, v1, v3
	v_mul_f32_e32 v3, v22, v14
	v_add_f32_e32 v2, v2, v148
	s_delay_alu instid0(VALU_DEP_2) | instskip(NEXT) | instid1(VALU_DEP_2)
	v_fma_f32 v3, v21, v13, -v3
	v_dual_add_f32 v2, v2, v142 :: v_dual_add_f32 v1, v1, v5
	v_mul_f32_e32 v5, v24, v16
	s_delay_alu instid0(VALU_DEP_2) | instskip(NEXT) | instid1(VALU_DEP_2)
	v_dual_sub_f32 v2, v136, v2 :: v_dual_add_f32 v1, v1, v4
	v_fma_f32 v4, v23, v15, -v5
	s_delay_alu instid0(VALU_DEP_2) | instskip(NEXT) | instid1(VALU_DEP_1)
	v_add_f32_e32 v1, v1, v3
	v_add_f32_e32 v1, v1, v4
	s_delay_alu instid0(VALU_DEP_1)
	v_sub_f32_e32 v1, v135, v1
	scratch_store_b64 off, v[1:2], off offset:176
	v_cmpx_lt_u32_e32 21, v0
	s_cbranch_execz .LBB118_301
; %bb.300:
	scratch_load_b64 v[1:2], off, off offset:168
	v_mov_b32_e32 v3, 0
	s_delay_alu instid0(VALU_DEP_1)
	v_mov_b32_e32 v4, v3
	scratch_store_b64 off, v[3:4], off offset:168
	s_wait_loadcnt 0x0
	ds_store_b64 v137, v[1:2]
.LBB118_301:
	s_wait_alu 0xfffe
	s_or_b32 exec_lo, exec_lo, s0
	s_wait_storecnt_dscnt 0x0
	s_barrier_signal -1
	s_barrier_wait -1
	global_inv scope:SCOPE_SE
	s_clause 0x4
	scratch_load_b128 v[5:8], off, off offset:176
	scratch_load_b128 v[1:4], off, off offset:192
	;; [unrolled: 1-line block ×5, first 2 shown]
	v_mov_b32_e32 v21, 0
	ds_load_b128 v[138:141], v21 offset:624
	ds_load_b128 v[142:145], v21 offset:640
	ds_load_b128 v[146:149], v21 offset:656
	scratch_load_b64 v[22:23], off, off offset:168
	s_mov_b32 s0, exec_lo
	s_wait_loadcnt_dscnt 0x502
	v_mul_f32_e32 v24, v139, v6
	v_dual_mul_f32 v135, v138, v6 :: v_dual_mul_f32 v136, v140, v8
	v_mul_f32_e32 v6, v141, v8
	s_delay_alu instid0(VALU_DEP_3) | instskip(NEXT) | instid1(VALU_DEP_3)
	v_fma_f32 v24, v138, v5, -v24
	v_dual_fmac_f32 v135, v139, v5 :: v_dual_fmac_f32 v136, v141, v7
	s_wait_loadcnt_dscnt 0x401
	v_mul_f32_e32 v139, v142, v2
	v_fma_f32 v138, v140, v7, -v6
	ds_load_b128 v[5:8], v21 offset:672
	s_wait_loadcnt_dscnt 0x301
	v_dual_mul_f32 v140, v144, v4 :: v_dual_mul_f32 v141, v146, v10
	v_dual_mul_f32 v4, v145, v4 :: v_dual_fmac_f32 v139, v143, v1
	v_mul_f32_e32 v10, v147, v10
	s_delay_alu instid0(VALU_DEP_3)
	v_dual_mul_f32 v150, v148, v12 :: v_dual_fmac_f32 v141, v147, v9
	v_mul_f32_e32 v12, v149, v12
	v_mul_f32_e32 v2, v143, v2
	v_fmac_f32_e32 v140, v145, v3
	v_fma_f32 v143, v144, v3, -v4
	v_fma_f32 v144, v146, v9, -v10
	v_fmac_f32_e32 v150, v149, v11
	v_fma_f32 v145, v148, v11, -v12
	ds_load_b128 v[9:12], v21 offset:688
	s_wait_loadcnt_dscnt 0x201
	v_dual_mul_f32 v147, v7, v16 :: v_dual_mul_f32 v146, v5, v14
	v_mul_f32_e32 v14, v6, v14
	v_mul_f32_e32 v16, v8, v16
	s_delay_alu instid0(VALU_DEP_3)
	v_fmac_f32_e32 v147, v8, v15
	v_fma_f32 v142, v142, v1, -v2
	scratch_load_b128 v[1:4], off, off offset:256
	v_fmac_f32_e32 v146, v6, v13
	v_fma_f32 v13, v5, v13, -v14
	v_fma_f32 v14, v7, v15, -v16
	ds_load_b128 v[5:8], v21 offset:704
	s_wait_loadcnt_dscnt 0x201
	v_mul_f32_e32 v15, v9, v18
	v_mul_f32_e32 v16, v10, v18
	;; [unrolled: 1-line block ×3, first 2 shown]
	s_delay_alu instid0(VALU_DEP_3) | instskip(NEXT) | instid1(VALU_DEP_3)
	v_dual_mul_f32 v20, v12, v20 :: v_dual_fmac_f32 v15, v10, v17
	v_fma_f32 v16, v9, v17, -v16
	s_delay_alu instid0(VALU_DEP_3) | instskip(NEXT) | instid1(VALU_DEP_3)
	v_fmac_f32_e32 v18, v12, v19
	v_fma_f32 v17, v11, v19, -v20
	scratch_load_b128 v[9:12], off, off offset:272
	s_wait_loadcnt_dscnt 0x100
	v_mul_f32_e32 v19, v5, v2
	v_mul_f32_e32 v2, v6, v2
	;; [unrolled: 1-line block ×3, first 2 shown]
	s_delay_alu instid0(VALU_DEP_3) | instskip(NEXT) | instid1(VALU_DEP_3)
	v_dual_mul_f32 v4, v8, v4 :: v_dual_fmac_f32 v19, v6, v1
	v_fma_f32 v148, v5, v1, -v2
	s_delay_alu instid0(VALU_DEP_3) | instskip(NEXT) | instid1(VALU_DEP_3)
	v_fmac_f32_e32 v20, v8, v3
	v_fma_f32 v149, v7, v3, -v4
	ds_load_b128 v[1:4], v21 offset:720
	ds_load_b128 v[5:8], v21 offset:736
	s_wait_loadcnt_dscnt 0x1
	v_mul_f32_e32 v151, v1, v10
	v_mul_f32_e32 v10, v2, v10
	s_delay_alu instid0(VALU_DEP_2) | instskip(NEXT) | instid1(VALU_DEP_2)
	v_dual_mul_f32 v152, v3, v12 :: v_dual_fmac_f32 v151, v2, v9
	v_fma_f32 v153, v1, v9, -v10
	v_mul_f32_e32 v1, v4, v12
	s_delay_alu instid0(VALU_DEP_3) | instskip(NEXT) | instid1(VALU_DEP_2)
	v_fmac_f32_e32 v152, v4, v11
	v_fma_f32 v154, v3, v11, -v1
	s_clause 0x1
	scratch_load_b128 v[1:4], off, off offset:288
	scratch_load_b128 v[9:12], off, off offset:304
	s_wait_loadcnt_dscnt 0x100
	v_mul_f32_e32 v155, v5, v2
	v_dual_mul_f32 v2, v6, v2 :: v_dual_mul_f32 v157, v7, v4
	s_delay_alu instid0(VALU_DEP_2) | instskip(NEXT) | instid1(VALU_DEP_2)
	v_fmac_f32_e32 v155, v6, v1
	v_fma_f32 v156, v5, v1, -v2
	v_mul_f32_e32 v1, v8, v4
	s_delay_alu instid0(VALU_DEP_4) | instskip(NEXT) | instid1(VALU_DEP_2)
	v_fmac_f32_e32 v157, v8, v3
	v_fma_f32 v158, v7, v3, -v1
	ds_load_b128 v[1:4], v21 offset:752
	ds_load_b128 v[5:8], v21 offset:768
	s_wait_loadcnt_dscnt 0x1
	v_mul_f32_e32 v159, v1, v10
	v_mul_f32_e32 v161, v3, v12
	s_delay_alu instid0(VALU_DEP_2) | instskip(NEXT) | instid1(VALU_DEP_2)
	v_fmac_f32_e32 v159, v2, v9
	v_dual_mul_f32 v2, v2, v10 :: v_dual_fmac_f32 v161, v4, v11
	s_delay_alu instid0(VALU_DEP_1) | instskip(SKIP_1) | instid1(VALU_DEP_1)
	v_fma_f32 v160, v1, v9, -v2
	v_mul_f32_e32 v1, v4, v12
	v_fma_f32 v162, v3, v11, -v1
	s_clause 0x1
	scratch_load_b128 v[1:4], off, off offset:320
	scratch_load_b128 v[9:12], off, off offset:336
	s_wait_loadcnt_dscnt 0x100
	v_mul_f32_e32 v163, v5, v2
	v_dual_mul_f32 v165, v7, v4 :: v_dual_mul_f32 v2, v6, v2
	s_delay_alu instid0(VALU_DEP_2) | instskip(NEXT) | instid1(VALU_DEP_2)
	v_fmac_f32_e32 v163, v6, v1
	v_fmac_f32_e32 v165, v8, v3
	s_delay_alu instid0(VALU_DEP_3) | instskip(SKIP_1) | instid1(VALU_DEP_1)
	v_fma_f32 v164, v5, v1, -v2
	v_mul_f32_e32 v1, v8, v4
	v_fma_f32 v166, v7, v3, -v1
	ds_load_b128 v[1:4], v21 offset:784
	ds_load_b128 v[5:8], v21 offset:800
	s_wait_loadcnt_dscnt 0x1
	v_mul_f32_e32 v167, v1, v10
	v_mul_f32_e32 v169, v3, v12
	s_delay_alu instid0(VALU_DEP_2) | instskip(NEXT) | instid1(VALU_DEP_2)
	v_fmac_f32_e32 v167, v2, v9
	v_dual_mul_f32 v2, v2, v10 :: v_dual_fmac_f32 v169, v4, v11
	s_delay_alu instid0(VALU_DEP_1) | instskip(SKIP_1) | instid1(VALU_DEP_1)
	v_fma_f32 v168, v1, v9, -v2
	v_mul_f32_e32 v1, v4, v12
	v_fma_f32 v170, v3, v11, -v1
	s_clause 0x1
	scratch_load_b128 v[1:4], off, off offset:352
	scratch_load_b128 v[9:12], off, off offset:368
	s_wait_loadcnt_dscnt 0x100
	v_mul_f32_e32 v171, v5, v2
	v_mul_f32_e32 v2, v6, v2
	s_delay_alu instid0(VALU_DEP_1) | instskip(SKIP_1) | instid1(VALU_DEP_1)
	v_fma_f32 v172, v5, v1, -v2
	v_add_f32_e32 v2, 0, v135
	v_add_f32_e32 v2, v2, v136
	scratch_load_b64 v[135:136], off, off offset:432
	v_add_f32_e32 v2, v2, v139
	s_delay_alu instid0(VALU_DEP_1) | instskip(SKIP_2) | instid1(VALU_DEP_2)
	v_add_f32_e32 v2, v2, v140
	v_mul_f32_e32 v173, v7, v4
	v_fmac_f32_e32 v171, v6, v1
	v_dual_add_f32 v2, v2, v141 :: v_dual_fmac_f32 v173, v8, v3
	s_delay_alu instid0(VALU_DEP_1) | instskip(NEXT) | instid1(VALU_DEP_1)
	v_dual_add_f32 v2, v2, v150 :: v_dual_mul_f32 v1, v8, v4
	v_add_f32_e32 v2, v2, v146
	s_delay_alu instid0(VALU_DEP_2) | instskip(NEXT) | instid1(VALU_DEP_2)
	v_fma_f32 v174, v7, v3, -v1
	v_dual_add_f32 v1, 0, v24 :: v_dual_add_f32 v2, v2, v147
	s_delay_alu instid0(VALU_DEP_1) | instskip(NEXT) | instid1(VALU_DEP_1)
	v_add_f32_e32 v1, v1, v138
	v_add_f32_e32 v1, v1, v142
	s_delay_alu instid0(VALU_DEP_1) | instskip(NEXT) | instid1(VALU_DEP_1)
	v_add_f32_e32 v1, v1, v143
	v_add_f32_e32 v1, v1, v144
	;; [unrolled: 3-line block ×4, first 2 shown]
	s_delay_alu instid0(VALU_DEP_1) | instskip(SKIP_2) | instid1(VALU_DEP_1)
	v_dual_add_f32 v5, v2, v15 :: v_dual_add_f32 v6, v1, v17
	ds_load_b128 v[1:4], v21 offset:816
	v_dual_add_f32 v5, v5, v18 :: v_dual_add_f32 v6, v6, v148
	v_add_f32_e32 v13, v6, v149
	s_delay_alu instid0(VALU_DEP_1) | instskip(NEXT) | instid1(VALU_DEP_1)
	v_add_f32_e32 v13, v13, v153
	v_add_f32_e32 v13, v13, v154
	s_delay_alu instid0(VALU_DEP_1) | instskip(NEXT) | instid1(VALU_DEP_1)
	v_add_f32_e32 v13, v13, v156
	v_add_f32_e32 v18, v13, v158
	s_delay_alu instid0(VALU_DEP_1) | instskip(NEXT) | instid1(VALU_DEP_1)
	v_dual_add_f32 v5, v5, v19 :: v_dual_add_f32 v18, v18, v160
	v_add_f32_e32 v14, v5, v20
	ds_load_b128 v[5:8], v21 offset:832
	s_wait_loadcnt_dscnt 0x101
	v_mul_f32_e32 v24, v1, v10
	v_mul_f32_e32 v10, v2, v10
	;; [unrolled: 1-line block ×4, first 2 shown]
	v_add_f32_e32 v14, v14, v151
	v_fmac_f32_e32 v24, v2, v9
	v_fma_f32 v145, v1, v9, -v10
	v_fmac_f32_e32 v144, v4, v11
	v_fma_f32 v146, v3, v11, -v12
	s_clause 0x1
	scratch_load_b128 v[1:4], off, off offset:384
	scratch_load_b128 v[9:12], off, off offset:400
	v_add_f32_e32 v14, v14, v152
	v_add_f32_e32 v18, v18, v162
	s_delay_alu instid0(VALU_DEP_2) | instskip(SKIP_2) | instid1(VALU_DEP_1)
	v_add_f32_e32 v17, v14, v155
	scratch_load_b128 v[13:16], off, off offset:416
	v_dual_add_f32 v18, v18, v164 :: v_dual_add_f32 v17, v17, v157
	v_add_f32_e32 v18, v18, v166
	s_delay_alu instid0(VALU_DEP_1) | instskip(NEXT) | instid1(VALU_DEP_1)
	v_add_f32_e32 v142, v18, v168
	v_add_f32_e32 v147, v142, v170
	s_wait_loadcnt_dscnt 0x200
	v_mul_f32_e32 v149, v5, v2
	v_dual_mul_f32 v2, v6, v2 :: v_dual_add_f32 v17, v17, v159
	v_mul_f32_e32 v150, v7, v4
	v_mul_f32_e32 v4, v8, v4
	v_add_f32_e32 v147, v147, v172
	s_delay_alu instid0(VALU_DEP_4) | instskip(NEXT) | instid1(VALU_DEP_4)
	v_fma_f32 v2, v5, v1, -v2
	v_dual_add_f32 v17, v17, v161 :: v_dual_fmac_f32 v150, v8, v3
	s_delay_alu instid0(VALU_DEP_1) | instskip(NEXT) | instid1(VALU_DEP_1)
	v_add_f32_e32 v17, v17, v163
	v_add_f32_e32 v138, v17, v165
	ds_load_b128 v[17:20], v21 offset:848
	v_add_f32_e32 v143, v138, v167
	ds_load_b128 v[138:141], v21 offset:864
	v_add_f32_e32 v147, v147, v174
	v_add_f32_e32 v148, v143, v169
	ds_load_b64 v[142:143], v21 offset:880
	v_add_f32_e32 v148, v148, v171
	s_delay_alu instid0(VALU_DEP_1) | instskip(SKIP_2) | instid1(VALU_DEP_2)
	v_add_f32_e32 v148, v148, v173
	s_wait_loadcnt_dscnt 0x102
	v_mul_f32_e32 v5, v20, v12
	v_dual_add_f32 v24, v148, v24 :: v_dual_add_f32 v145, v147, v145
	v_dual_mul_f32 v147, v17, v10 :: v_dual_mul_f32 v148, v19, v12
	s_delay_alu instid0(VALU_DEP_2)
	v_dual_add_f32 v24, v24, v144 :: v_dual_add_f32 v145, v145, v146
	s_wait_dscnt 0x0
	v_mul_f32_e32 v144, v142, v136
	v_fmac_f32_e32 v149, v6, v1
	v_fma_f32 v1, v7, v3, -v4
	v_dual_mul_f32 v3, v18, v10 :: v_dual_fmac_f32 v148, v20, v11
	v_add_f32_e32 v2, v145, v2
	s_wait_loadcnt 0x0
	v_dual_mul_f32 v151, v138, v14 :: v_dual_add_f32 v4, v24, v149
	v_dual_mul_f32 v146, v140, v16 :: v_dual_fmac_f32 v147, v18, v9
	v_fma_f32 v3, v17, v9, -v3
	s_delay_alu instid0(VALU_DEP_3) | instskip(SKIP_3) | instid1(VALU_DEP_4)
	v_dual_add_f32 v1, v2, v1 :: v_dual_add_f32 v2, v4, v150
	v_mul_f32_e32 v4, v139, v14
	v_fma_f32 v5, v19, v11, -v5
	v_dual_fmac_f32 v146, v141, v15 :: v_dual_fmac_f32 v151, v139, v13
	v_add_f32_e32 v2, v2, v147
	v_add_f32_e32 v1, v1, v3
	v_mul_f32_e32 v3, v141, v16
	v_fma_f32 v4, v138, v13, -v4
	v_fmac_f32_e32 v144, v143, v135
	s_delay_alu instid0(VALU_DEP_4) | instskip(SKIP_2) | instid1(VALU_DEP_3)
	v_dual_add_f32 v2, v2, v148 :: v_dual_add_f32 v1, v1, v5
	v_mul_f32_e32 v5, v143, v136
	v_fma_f32 v3, v140, v15, -v3
	v_dual_add_f32 v2, v2, v151 :: v_dual_add_f32 v1, v1, v4
	s_delay_alu instid0(VALU_DEP_3) | instskip(NEXT) | instid1(VALU_DEP_2)
	v_fma_f32 v4, v142, v135, -v5
	v_dual_add_f32 v2, v2, v146 :: v_dual_add_f32 v1, v1, v3
	s_delay_alu instid0(VALU_DEP_1) | instskip(NEXT) | instid1(VALU_DEP_1)
	v_add_f32_e32 v2, v2, v144
	v_dual_add_f32 v1, v1, v4 :: v_dual_sub_f32 v2, v23, v2
	s_delay_alu instid0(VALU_DEP_1)
	v_sub_f32_e32 v1, v22, v1
	scratch_store_b64 off, v[1:2], off offset:168
	v_cmpx_lt_u32_e32 20, v0
	s_cbranch_execz .LBB118_303
; %bb.302:
	scratch_load_b64 v[1:2], off, off offset:160
	v_mov_b32_e32 v22, v21
	scratch_store_b64 off, v[21:22], off offset:160
	s_wait_loadcnt 0x0
	ds_store_b64 v137, v[1:2]
.LBB118_303:
	s_wait_alu 0xfffe
	s_or_b32 exec_lo, exec_lo, s0
	s_wait_storecnt_dscnt 0x0
	s_barrier_signal -1
	s_barrier_wait -1
	global_inv scope:SCOPE_SE
	s_clause 0x4
	scratch_load_b128 v[5:8], off, off offset:168
	scratch_load_b128 v[1:4], off, off offset:184
	;; [unrolled: 1-line block ×5, first 2 shown]
	ds_load_2addr_b64 v[138:141], v21 offset0:77 offset1:78
	ds_load_2addr_b64 v[142:145], v21 offset0:79 offset1:80
	;; [unrolled: 1-line block ×3, first 2 shown]
	scratch_load_b64 v[135:136], off, off offset:160
	s_mov_b32 s0, exec_lo
	s_wait_loadcnt_dscnt 0x502
	v_mul_f32_e32 v22, v139, v6
	v_dual_mul_f32 v23, v138, v6 :: v_dual_mul_f32 v24, v140, v8
	v_mul_f32_e32 v6, v141, v8
	s_delay_alu instid0(VALU_DEP_3) | instskip(NEXT) | instid1(VALU_DEP_3)
	v_fma_f32 v22, v138, v5, -v22
	v_dual_fmac_f32 v23, v139, v5 :: v_dual_fmac_f32 v24, v141, v7
	s_wait_loadcnt_dscnt 0x401
	v_mul_f32_e32 v139, v142, v2
	v_fma_f32 v138, v140, v7, -v6
	ds_load_2addr_b64 v[5:8], v21 offset0:83 offset1:84
	s_wait_loadcnt_dscnt 0x301
	v_dual_mul_f32 v140, v144, v4 :: v_dual_mul_f32 v141, v146, v10
	v_dual_mul_f32 v4, v145, v4 :: v_dual_fmac_f32 v139, v143, v1
	v_mul_f32_e32 v10, v147, v10
	s_delay_alu instid0(VALU_DEP_3)
	v_dual_mul_f32 v150, v148, v12 :: v_dual_fmac_f32 v141, v147, v9
	v_mul_f32_e32 v12, v149, v12
	v_mul_f32_e32 v2, v143, v2
	v_fmac_f32_e32 v140, v145, v3
	v_fma_f32 v143, v144, v3, -v4
	v_fma_f32 v144, v146, v9, -v10
	v_fmac_f32_e32 v150, v149, v11
	v_fma_f32 v145, v148, v11, -v12
	ds_load_2addr_b64 v[9:12], v21 offset0:85 offset1:86
	s_wait_loadcnt_dscnt 0x201
	v_mul_f32_e32 v146, v5, v14
	v_dual_mul_f32 v14, v6, v14 :: v_dual_mul_f32 v147, v7, v16
	v_mul_f32_e32 v16, v8, v16
	s_delay_alu instid0(VALU_DEP_3) | instskip(NEXT) | instid1(VALU_DEP_3)
	v_fmac_f32_e32 v146, v6, v13
	v_fma_f32 v13, v5, v13, -v14
	s_delay_alu instid0(VALU_DEP_4) | instskip(NEXT) | instid1(VALU_DEP_4)
	v_fmac_f32_e32 v147, v8, v15
	v_fma_f32 v14, v7, v15, -v16
	ds_load_2addr_b64 v[5:8], v21 offset0:87 offset1:88
	s_wait_loadcnt_dscnt 0x101
	v_mul_f32_e32 v15, v9, v18
	v_mul_f32_e32 v16, v10, v18
	;; [unrolled: 1-line block ×3, first 2 shown]
	s_delay_alu instid0(VALU_DEP_3)
	v_dual_mul_f32 v20, v12, v20 :: v_dual_fmac_f32 v15, v10, v17
	v_fma_f32 v142, v142, v1, -v2
	scratch_load_b128 v[1:4], off, off offset:248
	v_fma_f32 v16, v9, v17, -v16
	v_fmac_f32_e32 v18, v12, v19
	v_fma_f32 v17, v11, v19, -v20
	scratch_load_b128 v[9:12], off, off offset:264
	s_wait_loadcnt_dscnt 0x100
	v_mul_f32_e32 v19, v5, v2
	v_mul_f32_e32 v2, v6, v2
	;; [unrolled: 1-line block ×3, first 2 shown]
	s_delay_alu instid0(VALU_DEP_3) | instskip(NEXT) | instid1(VALU_DEP_3)
	v_dual_mul_f32 v4, v8, v4 :: v_dual_fmac_f32 v19, v6, v1
	v_fma_f32 v148, v5, v1, -v2
	s_delay_alu instid0(VALU_DEP_3) | instskip(NEXT) | instid1(VALU_DEP_3)
	v_fmac_f32_e32 v20, v8, v3
	v_fma_f32 v149, v7, v3, -v4
	ds_load_2addr_b64 v[1:4], v21 offset0:89 offset1:90
	ds_load_2addr_b64 v[5:8], v21 offset0:91 offset1:92
	s_wait_loadcnt_dscnt 0x1
	v_mul_f32_e32 v151, v1, v10
	v_mul_f32_e32 v10, v2, v10
	s_delay_alu instid0(VALU_DEP_2) | instskip(NEXT) | instid1(VALU_DEP_2)
	v_dual_mul_f32 v152, v3, v12 :: v_dual_fmac_f32 v151, v2, v9
	v_fma_f32 v153, v1, v9, -v10
	v_mul_f32_e32 v1, v4, v12
	s_delay_alu instid0(VALU_DEP_3) | instskip(NEXT) | instid1(VALU_DEP_2)
	v_fmac_f32_e32 v152, v4, v11
	v_fma_f32 v154, v3, v11, -v1
	s_clause 0x1
	scratch_load_b128 v[1:4], off, off offset:280
	scratch_load_b128 v[9:12], off, off offset:296
	s_wait_loadcnt_dscnt 0x100
	v_mul_f32_e32 v155, v5, v2
	v_dual_mul_f32 v2, v6, v2 :: v_dual_mul_f32 v157, v7, v4
	s_delay_alu instid0(VALU_DEP_2) | instskip(NEXT) | instid1(VALU_DEP_2)
	v_fmac_f32_e32 v155, v6, v1
	v_fma_f32 v156, v5, v1, -v2
	v_mul_f32_e32 v1, v8, v4
	s_delay_alu instid0(VALU_DEP_4) | instskip(NEXT) | instid1(VALU_DEP_2)
	v_fmac_f32_e32 v157, v8, v3
	v_fma_f32 v158, v7, v3, -v1
	ds_load_2addr_b64 v[1:4], v21 offset0:93 offset1:94
	ds_load_2addr_b64 v[5:8], v21 offset0:95 offset1:96
	s_wait_loadcnt_dscnt 0x1
	v_mul_f32_e32 v159, v1, v10
	v_mul_f32_e32 v161, v3, v12
	s_delay_alu instid0(VALU_DEP_2) | instskip(NEXT) | instid1(VALU_DEP_2)
	v_fmac_f32_e32 v159, v2, v9
	v_dual_mul_f32 v2, v2, v10 :: v_dual_fmac_f32 v161, v4, v11
	s_delay_alu instid0(VALU_DEP_1) | instskip(SKIP_1) | instid1(VALU_DEP_1)
	v_fma_f32 v160, v1, v9, -v2
	v_mul_f32_e32 v1, v4, v12
	v_fma_f32 v162, v3, v11, -v1
	s_clause 0x1
	scratch_load_b128 v[1:4], off, off offset:312
	scratch_load_b128 v[9:12], off, off offset:328
	s_wait_loadcnt_dscnt 0x100
	v_mul_f32_e32 v163, v5, v2
	v_dual_mul_f32 v2, v6, v2 :: v_dual_mul_f32 v165, v7, v4
	s_delay_alu instid0(VALU_DEP_2) | instskip(NEXT) | instid1(VALU_DEP_2)
	v_fmac_f32_e32 v163, v6, v1
	v_fma_f32 v164, v5, v1, -v2
	v_mul_f32_e32 v1, v8, v4
	s_delay_alu instid0(VALU_DEP_4) | instskip(NEXT) | instid1(VALU_DEP_2)
	v_fmac_f32_e32 v165, v8, v3
	v_fma_f32 v166, v7, v3, -v1
	ds_load_2addr_b64 v[1:4], v21 offset0:97 offset1:98
	ds_load_2addr_b64 v[5:8], v21 offset0:99 offset1:100
	s_wait_loadcnt_dscnt 0x1
	v_mul_f32_e32 v167, v1, v10
	v_mul_f32_e32 v169, v3, v12
	s_delay_alu instid0(VALU_DEP_2) | instskip(NEXT) | instid1(VALU_DEP_2)
	v_fmac_f32_e32 v167, v2, v9
	v_dual_mul_f32 v2, v2, v10 :: v_dual_fmac_f32 v169, v4, v11
	s_delay_alu instid0(VALU_DEP_1) | instskip(SKIP_1) | instid1(VALU_DEP_1)
	v_fma_f32 v168, v1, v9, -v2
	v_mul_f32_e32 v1, v4, v12
	v_fma_f32 v170, v3, v11, -v1
	s_clause 0x1
	scratch_load_b128 v[1:4], off, off offset:344
	scratch_load_b128 v[9:12], off, off offset:360
	s_wait_loadcnt_dscnt 0x100
	v_mul_f32_e32 v171, v5, v2
	v_mul_f32_e32 v2, v6, v2
	s_delay_alu instid0(VALU_DEP_1) | instskip(SKIP_1) | instid1(VALU_DEP_1)
	v_fma_f32 v172, v5, v1, -v2
	v_add_f32_e32 v2, 0, v23
	v_add_f32_e32 v2, v2, v24
	v_fmac_f32_e32 v171, v6, v1
	s_delay_alu instid0(VALU_DEP_2) | instskip(NEXT) | instid1(VALU_DEP_1)
	v_add_f32_e32 v2, v2, v139
	v_add_f32_e32 v2, v2, v140
	s_delay_alu instid0(VALU_DEP_1) | instskip(NEXT) | instid1(VALU_DEP_1)
	v_dual_mul_f32 v173, v7, v4 :: v_dual_add_f32 v2, v2, v141
	v_dual_fmac_f32 v173, v8, v3 :: v_dual_add_f32 v2, v2, v150
	s_delay_alu instid0(VALU_DEP_1) | instskip(NEXT) | instid1(VALU_DEP_1)
	v_dual_mul_f32 v1, v8, v4 :: v_dual_add_f32 v2, v2, v146
	v_fma_f32 v174, v7, v3, -v1
	s_delay_alu instid0(VALU_DEP_2) | instskip(NEXT) | instid1(VALU_DEP_1)
	v_dual_add_f32 v1, 0, v22 :: v_dual_add_f32 v2, v2, v147
	v_dual_add_f32 v1, v1, v138 :: v_dual_add_f32 v2, v2, v15
	s_delay_alu instid0(VALU_DEP_1) | instskip(NEXT) | instid1(VALU_DEP_2)
	v_add_f32_e32 v1, v1, v142
	v_add_f32_e32 v5, v2, v18
	s_delay_alu instid0(VALU_DEP_2) | instskip(NEXT) | instid1(VALU_DEP_1)
	v_add_f32_e32 v1, v1, v143
	v_add_f32_e32 v1, v1, v144
	s_delay_alu instid0(VALU_DEP_1) | instskip(NEXT) | instid1(VALU_DEP_1)
	v_add_f32_e32 v1, v1, v145
	v_add_f32_e32 v1, v1, v13
	;; [unrolled: 1-line block ×3, first 2 shown]
	s_delay_alu instid0(VALU_DEP_1) | instskip(NEXT) | instid1(VALU_DEP_1)
	v_add_f32_e32 v13, v13, v20
	v_add_f32_e32 v13, v13, v151
	s_delay_alu instid0(VALU_DEP_1) | instskip(NEXT) | instid1(VALU_DEP_1)
	v_add_f32_e32 v18, v13, v152
	v_dual_add_f32 v18, v18, v155 :: v_dual_add_f32 v1, v1, v14
	s_delay_alu instid0(VALU_DEP_1) | instskip(NEXT) | instid1(VALU_DEP_1)
	v_dual_add_f32 v18, v18, v157 :: v_dual_add_f32 v1, v1, v16
	v_dual_add_f32 v22, v18, v159 :: v_dual_add_f32 v1, v1, v17
	s_delay_alu instid0(VALU_DEP_1) | instskip(NEXT) | instid1(VALU_DEP_2)
	v_add_f32_e32 v22, v22, v161
	v_add_f32_e32 v6, v1, v148
	ds_load_2addr_b64 v[1:4], v21 offset0:101 offset1:102
	v_add_f32_e32 v22, v22, v163
	v_add_f32_e32 v14, v6, v149
	scratch_load_b128 v[5:8], off, off offset:376
	v_add_f32_e32 v14, v14, v153
	s_delay_alu instid0(VALU_DEP_1)
	v_add_f32_e32 v17, v14, v154
	ds_load_2addr_b64 v[13:16], v21 offset0:103 offset1:104
	v_add_f32_e32 v17, v17, v156
	s_wait_loadcnt_dscnt 0x101
	v_dual_mul_f32 v138, v1, v10 :: v_dual_mul_f32 v139, v3, v12
	v_mul_f32_e32 v10, v2, v10
	v_mul_f32_e32 v12, v4, v12
	s_delay_alu instid0(VALU_DEP_3) | instskip(NEXT) | instid1(VALU_DEP_3)
	v_dual_fmac_f32 v138, v2, v9 :: v_dual_fmac_f32 v139, v4, v11
	v_fma_f32 v140, v1, v9, -v10
	s_delay_alu instid0(VALU_DEP_3)
	v_fma_f32 v141, v3, v11, -v12
	s_clause 0x1
	scratch_load_b128 v[1:4], off, off offset:392
	scratch_load_b128 v[9:12], off, off offset:408
	s_wait_loadcnt_dscnt 0x200
	v_mul_f32_e32 v142, v13, v6
	v_add_f32_e32 v17, v17, v158
	v_dual_mul_f32 v6, v14, v6 :: v_dual_mul_f32 v143, v15, v8
	v_mul_f32_e32 v8, v16, v8
	s_delay_alu instid0(VALU_DEP_3) | instskip(NEXT) | instid1(VALU_DEP_3)
	v_dual_fmac_f32 v142, v14, v5 :: v_dual_add_f32 v17, v17, v160
	v_fma_f32 v144, v13, v5, -v6
	v_add_f32_e32 v13, v22, v165
	v_fmac_f32_e32 v143, v16, v7
	v_fma_f32 v145, v15, v7, -v8
	v_add_f32_e32 v23, v17, v162
	scratch_load_b128 v[17:20], off, off offset:424
	ds_load_2addr_b64 v[5:8], v21 offset0:105 offset1:106
	v_add_f32_e32 v23, v23, v164
	s_delay_alu instid0(VALU_DEP_1) | instskip(NEXT) | instid1(VALU_DEP_1)
	v_add_f32_e32 v23, v23, v166
	v_add_f32_e32 v22, v23, v168
	s_delay_alu instid0(VALU_DEP_1) | instskip(NEXT) | instid1(VALU_DEP_1)
	v_add_f32_e32 v146, v22, v170
	;; [unrolled: 3-line block ×3, first 2 shown]
	v_dual_add_f32 v140, v146, v140 :: v_dual_add_f32 v23, v13, v167
	ds_load_2addr_b64 v[13:16], v21 offset0:107 offset1:108
	s_wait_loadcnt_dscnt 0x201
	v_mul_f32_e32 v148, v5, v2
	v_mul_f32_e32 v2, v6, v2
	v_add_f32_e32 v140, v140, v141
	v_add_f32_e32 v147, v23, v169
	ds_load_2addr_b64 v[21:24], v21 offset0:109 offset1:110
	v_mul_f32_e32 v146, v7, v4
	v_mul_f32_e32 v4, v8, v4
	v_dual_add_f32 v140, v140, v144 :: v_dual_add_f32 v147, v147, v171
	v_fma_f32 v2, v5, v1, -v2
	s_delay_alu instid0(VALU_DEP_4) | instskip(NEXT) | instid1(VALU_DEP_4)
	v_fmac_f32_e32 v146, v8, v3
	v_fma_f32 v3, v7, v3, -v4
	v_fmac_f32_e32 v148, v6, v1
	v_add_f32_e32 v147, v147, v173
	s_delay_alu instid0(VALU_DEP_1) | instskip(SKIP_3) | instid1(VALU_DEP_3)
	v_add_f32_e32 v138, v147, v138
	s_wait_loadcnt_dscnt 0x101
	v_dual_mul_f32 v147, v13, v10 :: v_dual_mul_f32 v4, v16, v12
	v_mul_f32_e32 v6, v14, v10
	v_dual_add_f32 v138, v138, v139 :: v_dual_mul_f32 v149, v15, v12
	s_delay_alu instid0(VALU_DEP_3) | instskip(NEXT) | instid1(VALU_DEP_4)
	v_fmac_f32_e32 v147, v14, v9
	v_fma_f32 v4, v15, v11, -v4
	s_delay_alu instid0(VALU_DEP_3) | instskip(NEXT) | instid1(VALU_DEP_1)
	v_add_f32_e32 v138, v138, v142
	v_add_f32_e32 v5, v138, v143
	;; [unrolled: 1-line block ×3, first 2 shown]
	s_delay_alu instid0(VALU_DEP_1) | instskip(NEXT) | instid1(VALU_DEP_3)
	v_add_f32_e32 v1, v1, v2
	v_add_f32_e32 v2, v5, v148
	v_fma_f32 v5, v13, v9, -v6
	s_delay_alu instid0(VALU_DEP_2) | instskip(NEXT) | instid1(VALU_DEP_1)
	v_dual_add_f32 v1, v1, v3 :: v_dual_add_f32 v2, v2, v146
	v_dual_add_f32 v1, v1, v5 :: v_dual_add_f32 v2, v2, v147
	s_wait_loadcnt_dscnt 0x0
	v_mul_f32_e32 v139, v21, v18
	v_mul_f32_e32 v141, v23, v20
	;; [unrolled: 1-line block ×3, first 2 shown]
	s_delay_alu instid0(VALU_DEP_3) | instskip(NEXT) | instid1(VALU_DEP_3)
	v_fmac_f32_e32 v139, v22, v17
	v_fmac_f32_e32 v141, v24, v19
	;; [unrolled: 1-line block ×3, first 2 shown]
	v_mul_f32_e32 v5, v24, v20
	v_fma_f32 v3, v21, v17, -v3
	s_delay_alu instid0(VALU_DEP_3) | instskip(NEXT) | instid1(VALU_DEP_3)
	v_dual_add_f32 v2, v2, v149 :: v_dual_add_f32 v1, v1, v4
	v_fma_f32 v4, v23, v19, -v5
	s_delay_alu instid0(VALU_DEP_2) | instskip(NEXT) | instid1(VALU_DEP_1)
	v_add_f32_e32 v2, v2, v139
	v_dual_add_f32 v1, v1, v3 :: v_dual_add_f32 v2, v2, v141
	s_delay_alu instid0(VALU_DEP_1) | instskip(NEXT) | instid1(VALU_DEP_1)
	v_dual_add_f32 v1, v1, v4 :: v_dual_sub_f32 v2, v136, v2
	v_sub_f32_e32 v1, v135, v1
	scratch_store_b64 off, v[1:2], off offset:160
	v_cmpx_lt_u32_e32 19, v0
	s_cbranch_execz .LBB118_305
; %bb.304:
	scratch_load_b64 v[1:2], off, off offset:152
	v_mov_b32_e32 v3, 0
	s_delay_alu instid0(VALU_DEP_1)
	v_mov_b32_e32 v4, v3
	scratch_store_b64 off, v[3:4], off offset:152
	s_wait_loadcnt 0x0
	ds_store_b64 v137, v[1:2]
.LBB118_305:
	s_wait_alu 0xfffe
	s_or_b32 exec_lo, exec_lo, s0
	s_wait_storecnt_dscnt 0x0
	s_barrier_signal -1
	s_barrier_wait -1
	global_inv scope:SCOPE_SE
	s_clause 0x4
	scratch_load_b128 v[5:8], off, off offset:160
	scratch_load_b128 v[1:4], off, off offset:176
	scratch_load_b128 v[9:12], off, off offset:192
	scratch_load_b128 v[13:16], off, off offset:208
	scratch_load_b128 v[17:20], off, off offset:224
	v_mov_b32_e32 v21, 0
	ds_load_b128 v[138:141], v21 offset:608
	ds_load_b128 v[142:145], v21 offset:624
	;; [unrolled: 1-line block ×3, first 2 shown]
	scratch_load_b64 v[22:23], off, off offset:152
	s_mov_b32 s0, exec_lo
	s_wait_loadcnt_dscnt 0x502
	v_mul_f32_e32 v24, v139, v6
	v_dual_mul_f32 v135, v138, v6 :: v_dual_mul_f32 v136, v140, v8
	v_mul_f32_e32 v6, v141, v8
	s_delay_alu instid0(VALU_DEP_3) | instskip(NEXT) | instid1(VALU_DEP_3)
	v_fma_f32 v24, v138, v5, -v24
	v_dual_fmac_f32 v135, v139, v5 :: v_dual_fmac_f32 v136, v141, v7
	s_wait_loadcnt_dscnt 0x401
	v_mul_f32_e32 v139, v142, v2
	v_fma_f32 v138, v140, v7, -v6
	ds_load_b128 v[5:8], v21 offset:656
	s_wait_loadcnt_dscnt 0x301
	v_dual_mul_f32 v140, v144, v4 :: v_dual_mul_f32 v141, v146, v10
	v_dual_mul_f32 v4, v145, v4 :: v_dual_fmac_f32 v139, v143, v1
	v_mul_f32_e32 v10, v147, v10
	s_delay_alu instid0(VALU_DEP_3)
	v_dual_mul_f32 v150, v148, v12 :: v_dual_fmac_f32 v141, v147, v9
	v_mul_f32_e32 v12, v149, v12
	v_mul_f32_e32 v2, v143, v2
	v_fmac_f32_e32 v140, v145, v3
	v_fma_f32 v143, v144, v3, -v4
	v_fma_f32 v144, v146, v9, -v10
	v_fmac_f32_e32 v150, v149, v11
	v_fma_f32 v145, v148, v11, -v12
	ds_load_b128 v[9:12], v21 offset:672
	s_wait_loadcnt_dscnt 0x201
	v_dual_mul_f32 v147, v7, v16 :: v_dual_mul_f32 v146, v5, v14
	v_mul_f32_e32 v14, v6, v14
	v_mul_f32_e32 v16, v8, v16
	s_delay_alu instid0(VALU_DEP_3)
	v_fmac_f32_e32 v147, v8, v15
	v_fma_f32 v142, v142, v1, -v2
	scratch_load_b128 v[1:4], off, off offset:240
	v_fmac_f32_e32 v146, v6, v13
	v_fma_f32 v13, v5, v13, -v14
	v_fma_f32 v14, v7, v15, -v16
	ds_load_b128 v[5:8], v21 offset:688
	s_wait_loadcnt_dscnt 0x201
	v_mul_f32_e32 v15, v9, v18
	v_mul_f32_e32 v16, v10, v18
	;; [unrolled: 1-line block ×3, first 2 shown]
	s_delay_alu instid0(VALU_DEP_3) | instskip(NEXT) | instid1(VALU_DEP_3)
	v_dual_mul_f32 v20, v12, v20 :: v_dual_fmac_f32 v15, v10, v17
	v_fma_f32 v16, v9, v17, -v16
	s_delay_alu instid0(VALU_DEP_3) | instskip(NEXT) | instid1(VALU_DEP_3)
	v_fmac_f32_e32 v18, v12, v19
	v_fma_f32 v17, v11, v19, -v20
	scratch_load_b128 v[9:12], off, off offset:256
	s_wait_loadcnt_dscnt 0x100
	v_mul_f32_e32 v19, v5, v2
	v_mul_f32_e32 v2, v6, v2
	;; [unrolled: 1-line block ×3, first 2 shown]
	s_delay_alu instid0(VALU_DEP_3) | instskip(NEXT) | instid1(VALU_DEP_3)
	v_dual_mul_f32 v4, v8, v4 :: v_dual_fmac_f32 v19, v6, v1
	v_fma_f32 v148, v5, v1, -v2
	s_delay_alu instid0(VALU_DEP_3) | instskip(NEXT) | instid1(VALU_DEP_3)
	v_fmac_f32_e32 v20, v8, v3
	v_fma_f32 v149, v7, v3, -v4
	ds_load_b128 v[1:4], v21 offset:704
	ds_load_b128 v[5:8], v21 offset:720
	s_wait_loadcnt_dscnt 0x1
	v_mul_f32_e32 v151, v1, v10
	v_mul_f32_e32 v10, v2, v10
	s_delay_alu instid0(VALU_DEP_2) | instskip(NEXT) | instid1(VALU_DEP_2)
	v_dual_mul_f32 v152, v3, v12 :: v_dual_fmac_f32 v151, v2, v9
	v_fma_f32 v153, v1, v9, -v10
	v_mul_f32_e32 v1, v4, v12
	s_delay_alu instid0(VALU_DEP_3) | instskip(NEXT) | instid1(VALU_DEP_2)
	v_fmac_f32_e32 v152, v4, v11
	v_fma_f32 v154, v3, v11, -v1
	s_clause 0x1
	scratch_load_b128 v[1:4], off, off offset:272
	scratch_load_b128 v[9:12], off, off offset:288
	s_wait_loadcnt_dscnt 0x100
	v_mul_f32_e32 v155, v5, v2
	v_dual_mul_f32 v2, v6, v2 :: v_dual_mul_f32 v157, v7, v4
	s_delay_alu instid0(VALU_DEP_2) | instskip(NEXT) | instid1(VALU_DEP_2)
	v_fmac_f32_e32 v155, v6, v1
	v_fma_f32 v156, v5, v1, -v2
	v_mul_f32_e32 v1, v8, v4
	s_delay_alu instid0(VALU_DEP_4) | instskip(NEXT) | instid1(VALU_DEP_2)
	v_fmac_f32_e32 v157, v8, v3
	v_fma_f32 v158, v7, v3, -v1
	ds_load_b128 v[1:4], v21 offset:736
	ds_load_b128 v[5:8], v21 offset:752
	s_wait_loadcnt_dscnt 0x1
	v_mul_f32_e32 v159, v1, v10
	v_mul_f32_e32 v161, v3, v12
	s_delay_alu instid0(VALU_DEP_2) | instskip(NEXT) | instid1(VALU_DEP_2)
	v_fmac_f32_e32 v159, v2, v9
	v_dual_mul_f32 v2, v2, v10 :: v_dual_fmac_f32 v161, v4, v11
	s_delay_alu instid0(VALU_DEP_1) | instskip(SKIP_1) | instid1(VALU_DEP_1)
	v_fma_f32 v160, v1, v9, -v2
	v_mul_f32_e32 v1, v4, v12
	v_fma_f32 v162, v3, v11, -v1
	s_clause 0x1
	scratch_load_b128 v[1:4], off, off offset:304
	scratch_load_b128 v[9:12], off, off offset:320
	s_wait_loadcnt_dscnt 0x100
	v_mul_f32_e32 v163, v5, v2
	v_dual_mul_f32 v165, v7, v4 :: v_dual_mul_f32 v2, v6, v2
	s_delay_alu instid0(VALU_DEP_2) | instskip(NEXT) | instid1(VALU_DEP_2)
	v_fmac_f32_e32 v163, v6, v1
	v_fmac_f32_e32 v165, v8, v3
	s_delay_alu instid0(VALU_DEP_3) | instskip(SKIP_1) | instid1(VALU_DEP_1)
	v_fma_f32 v164, v5, v1, -v2
	v_mul_f32_e32 v1, v8, v4
	v_fma_f32 v166, v7, v3, -v1
	ds_load_b128 v[1:4], v21 offset:768
	ds_load_b128 v[5:8], v21 offset:784
	s_wait_loadcnt_dscnt 0x1
	v_mul_f32_e32 v167, v1, v10
	v_mul_f32_e32 v169, v3, v12
	s_delay_alu instid0(VALU_DEP_2) | instskip(NEXT) | instid1(VALU_DEP_2)
	v_fmac_f32_e32 v167, v2, v9
	v_dual_mul_f32 v2, v2, v10 :: v_dual_fmac_f32 v169, v4, v11
	s_delay_alu instid0(VALU_DEP_1) | instskip(SKIP_1) | instid1(VALU_DEP_1)
	v_fma_f32 v168, v1, v9, -v2
	v_mul_f32_e32 v1, v4, v12
	v_fma_f32 v170, v3, v11, -v1
	s_clause 0x1
	scratch_load_b128 v[1:4], off, off offset:336
	scratch_load_b128 v[9:12], off, off offset:352
	s_wait_loadcnt_dscnt 0x100
	v_mul_f32_e32 v171, v5, v2
	v_mul_f32_e32 v2, v6, v2
	s_delay_alu instid0(VALU_DEP_1) | instskip(SKIP_1) | instid1(VALU_DEP_1)
	v_fma_f32 v172, v5, v1, -v2
	v_add_f32_e32 v2, 0, v135
	v_add_f32_e32 v2, v2, v136
	s_delay_alu instid0(VALU_DEP_1) | instskip(NEXT) | instid1(VALU_DEP_1)
	v_add_f32_e32 v2, v2, v139
	v_add_f32_e32 v2, v2, v140
	v_mul_f32_e32 v173, v7, v4
	v_fmac_f32_e32 v171, v6, v1
	s_delay_alu instid0(VALU_DEP_2) | instskip(NEXT) | instid1(VALU_DEP_1)
	v_dual_add_f32 v2, v2, v141 :: v_dual_fmac_f32 v173, v8, v3
	v_dual_add_f32 v2, v2, v150 :: v_dual_mul_f32 v1, v8, v4
	s_delay_alu instid0(VALU_DEP_1) | instskip(NEXT) | instid1(VALU_DEP_2)
	v_add_f32_e32 v2, v2, v146
	v_fma_f32 v174, v7, v3, -v1
	s_delay_alu instid0(VALU_DEP_2) | instskip(NEXT) | instid1(VALU_DEP_1)
	v_dual_add_f32 v1, 0, v24 :: v_dual_add_f32 v2, v2, v147
	v_dual_add_f32 v1, v1, v138 :: v_dual_add_f32 v2, v2, v15
	s_delay_alu instid0(VALU_DEP_1) | instskip(NEXT) | instid1(VALU_DEP_2)
	v_add_f32_e32 v1, v1, v142
	v_add_f32_e32 v5, v2, v18
	s_delay_alu instid0(VALU_DEP_2) | instskip(NEXT) | instid1(VALU_DEP_1)
	v_add_f32_e32 v1, v1, v143
	v_add_f32_e32 v1, v1, v144
	s_delay_alu instid0(VALU_DEP_1) | instskip(NEXT) | instid1(VALU_DEP_1)
	v_add_f32_e32 v1, v1, v145
	v_add_f32_e32 v1, v1, v13
	;; [unrolled: 1-line block ×3, first 2 shown]
	s_delay_alu instid0(VALU_DEP_2) | instskip(NEXT) | instid1(VALU_DEP_2)
	v_add_f32_e32 v1, v1, v14
	v_add_f32_e32 v13, v13, v20
	s_delay_alu instid0(VALU_DEP_2) | instskip(NEXT) | instid1(VALU_DEP_1)
	v_add_f32_e32 v1, v1, v16
	v_add_f32_e32 v1, v1, v17
	s_delay_alu instid0(VALU_DEP_1)
	v_add_f32_e32 v6, v1, v148
	scratch_load_b128 v[1:4], off, off offset:368
	v_dual_add_f32 v13, v13, v151 :: v_dual_add_f32 v14, v6, v149
	ds_load_b128 v[5:8], v21 offset:800
	v_add_f32_e32 v18, v13, v152
	v_add_f32_e32 v14, v14, v153
	s_delay_alu instid0(VALU_DEP_2) | instskip(NEXT) | instid1(VALU_DEP_2)
	v_add_f32_e32 v18, v18, v155
	v_add_f32_e32 v17, v14, v154
	ds_load_b128 v[13:16], v21 offset:816
	v_add_f32_e32 v18, v18, v157
	s_wait_loadcnt_dscnt 0x101
	s_delay_alu instid0(VALU_DEP_1) | instskip(SKIP_3) | instid1(VALU_DEP_4)
	v_dual_add_f32 v135, v18, v159 :: v_dual_mul_f32 v24, v5, v10
	v_mul_f32_e32 v10, v6, v10
	v_mul_f32_e32 v144, v7, v12
	;; [unrolled: 1-line block ×3, first 2 shown]
	v_add_f32_e32 v138, v135, v161
	v_fmac_f32_e32 v24, v6, v9
	v_fma_f32 v145, v5, v9, -v10
	v_fmac_f32_e32 v144, v8, v11
	v_fma_f32 v146, v7, v11, -v12
	scratch_load_b128 v[5:8], off, off offset:384
	v_add_f32_e32 v138, v138, v163
	scratch_load_b128 v[9:12], off, off offset:400
	v_add_f32_e32 v138, v138, v165
	s_wait_loadcnt_dscnt 0x200
	v_mul_f32_e32 v148, v15, v4
	v_add_f32_e32 v17, v17, v156
	v_dual_mul_f32 v4, v16, v4 :: v_dual_mul_f32 v147, v13, v2
	v_mul_f32_e32 v2, v14, v2
	s_delay_alu instid0(VALU_DEP_3) | instskip(NEXT) | instid1(VALU_DEP_3)
	v_dual_fmac_f32 v148, v16, v3 :: v_dual_add_f32 v17, v17, v158
	v_fma_f32 v150, v15, v3, -v4
	s_delay_alu instid0(VALU_DEP_3) | instskip(SKIP_1) | instid1(VALU_DEP_4)
	v_fma_f32 v149, v13, v1, -v2
	v_add_f32_e32 v13, v138, v167
	v_add_f32_e32 v17, v17, v160
	s_delay_alu instid0(VALU_DEP_2) | instskip(NEXT) | instid1(VALU_DEP_2)
	v_add_f32_e32 v138, v13, v169
	v_add_f32_e32 v136, v17, v162
	scratch_load_b128 v[17:20], off, off offset:416
	v_add_f32_e32 v143, v138, v171
	v_add_f32_e32 v139, v136, v164
	scratch_load_b64 v[135:136], off, off offset:432
	v_add_f32_e32 v152, v143, v173
	s_delay_alu instid0(VALU_DEP_1) | instskip(NEXT) | instid1(VALU_DEP_1)
	v_dual_add_f32 v139, v139, v166 :: v_dual_add_f32 v24, v152, v24
	v_add_f32_e32 v139, v139, v168
	v_fmac_f32_e32 v147, v14, v1
	ds_load_b128 v[1:4], v21 offset:832
	v_add_f32_e32 v24, v24, v144
	v_add_f32_e32 v14, v139, v170
	ds_load_b128 v[138:141], v21 offset:864
	v_add_f32_e32 v24, v24, v147
	v_add_f32_e32 v142, v14, v172
	ds_load_b128 v[13:16], v21 offset:848
	v_dual_add_f32 v24, v24, v148 :: v_dual_add_f32 v151, v142, v174
	ds_load_b64 v[142:143], v21 offset:880
	s_wait_loadcnt_dscnt 0x303
	v_mul_f32_e32 v144, v3, v8
	v_add_f32_e32 v145, v151, v145
	v_dual_mul_f32 v151, v1, v6 :: v_dual_mul_f32 v8, v4, v8
	v_mul_f32_e32 v6, v2, v6
	s_delay_alu instid0(VALU_DEP_3) | instskip(NEXT) | instid1(VALU_DEP_3)
	v_dual_fmac_f32 v144, v4, v7 :: v_dual_add_f32 v145, v145, v146
	v_fmac_f32_e32 v151, v2, v5
	s_delay_alu instid0(VALU_DEP_4) | instskip(NEXT) | instid1(VALU_DEP_4)
	v_fma_f32 v2, v3, v7, -v8
	v_fma_f32 v1, v1, v5, -v6
	s_wait_loadcnt_dscnt 0x201
	v_dual_mul_f32 v146, v13, v10 :: v_dual_mul_f32 v147, v15, v12
	v_add_f32_e32 v145, v145, v149
	v_dual_mul_f32 v3, v14, v10 :: v_dual_add_f32 v4, v24, v151
	s_delay_alu instid0(VALU_DEP_3) | instskip(NEXT) | instid1(VALU_DEP_3)
	v_dual_mul_f32 v5, v16, v12 :: v_dual_fmac_f32 v146, v14, v9
	v_add_f32_e32 v145, v145, v150
	v_fmac_f32_e32 v147, v16, v11
	s_delay_alu instid0(VALU_DEP_4) | instskip(NEXT) | instid1(VALU_DEP_4)
	v_fma_f32 v3, v13, v9, -v3
	v_fma_f32 v5, v15, v11, -v5
	s_wait_loadcnt 0x1
	v_dual_mul_f32 v149, v138, v18 :: v_dual_mul_f32 v150, v140, v20
	s_wait_loadcnt_dscnt 0x0
	v_dual_mul_f32 v148, v142, v136 :: v_dual_add_f32 v1, v145, v1
	s_delay_alu instid0(VALU_DEP_2) | instskip(NEXT) | instid1(VALU_DEP_2)
	v_dual_fmac_f32 v149, v139, v17 :: v_dual_fmac_f32 v150, v141, v19
	v_dual_fmac_f32 v148, v143, v135 :: v_dual_add_f32 v1, v1, v2
	v_add_f32_e32 v2, v4, v144
	s_delay_alu instid0(VALU_DEP_1) | instskip(NEXT) | instid1(VALU_DEP_1)
	v_add_f32_e32 v2, v2, v146
	v_add_f32_e32 v2, v2, v147
	s_delay_alu instid0(VALU_DEP_4) | instskip(NEXT) | instid1(VALU_DEP_2)
	v_dual_mul_f32 v4, v139, v18 :: v_dual_add_f32 v1, v1, v3
	v_dual_mul_f32 v3, v141, v20 :: v_dual_add_f32 v2, v2, v149
	s_delay_alu instid0(VALU_DEP_2) | instskip(NEXT) | instid1(VALU_DEP_3)
	v_fma_f32 v4, v138, v17, -v4
	v_add_f32_e32 v1, v1, v5
	v_mul_f32_e32 v5, v143, v136
	s_delay_alu instid0(VALU_DEP_4) | instskip(SKIP_1) | instid1(VALU_DEP_1)
	v_fma_f32 v3, v140, v19, -v3
	v_add_f32_e32 v2, v2, v150
	v_add_f32_e32 v2, v2, v148
	;; [unrolled: 1-line block ×3, first 2 shown]
	v_fma_f32 v4, v142, v135, -v5
	s_delay_alu instid0(VALU_DEP_2) | instskip(NEXT) | instid1(VALU_DEP_1)
	v_dual_sub_f32 v2, v23, v2 :: v_dual_add_f32 v1, v1, v3
	v_add_f32_e32 v1, v1, v4
	s_delay_alu instid0(VALU_DEP_1)
	v_sub_f32_e32 v1, v22, v1
	scratch_store_b64 off, v[1:2], off offset:152
	v_cmpx_lt_u32_e32 18, v0
	s_cbranch_execz .LBB118_307
; %bb.306:
	scratch_load_b64 v[1:2], off, off offset:144
	v_mov_b32_e32 v22, v21
	scratch_store_b64 off, v[21:22], off offset:144
	s_wait_loadcnt 0x0
	ds_store_b64 v137, v[1:2]
.LBB118_307:
	s_wait_alu 0xfffe
	s_or_b32 exec_lo, exec_lo, s0
	s_wait_storecnt_dscnt 0x0
	s_barrier_signal -1
	s_barrier_wait -1
	global_inv scope:SCOPE_SE
	s_clause 0x4
	scratch_load_b128 v[5:8], off, off offset:152
	scratch_load_b128 v[1:4], off, off offset:168
	scratch_load_b128 v[9:12], off, off offset:184
	scratch_load_b128 v[13:16], off, off offset:200
	scratch_load_b128 v[17:20], off, off offset:216
	ds_load_2addr_b64 v[138:141], v21 offset0:75 offset1:76
	ds_load_2addr_b64 v[142:145], v21 offset0:77 offset1:78
	;; [unrolled: 1-line block ×3, first 2 shown]
	scratch_load_b64 v[135:136], off, off offset:144
	s_mov_b32 s0, exec_lo
	s_wait_loadcnt_dscnt 0x502
	v_mul_f32_e32 v22, v139, v6
	v_dual_mul_f32 v23, v138, v6 :: v_dual_mul_f32 v24, v140, v8
	v_mul_f32_e32 v6, v141, v8
	s_delay_alu instid0(VALU_DEP_3) | instskip(NEXT) | instid1(VALU_DEP_3)
	v_fma_f32 v22, v138, v5, -v22
	v_dual_fmac_f32 v23, v139, v5 :: v_dual_fmac_f32 v24, v141, v7
	s_wait_loadcnt_dscnt 0x401
	v_mul_f32_e32 v139, v142, v2
	v_fma_f32 v138, v140, v7, -v6
	ds_load_2addr_b64 v[5:8], v21 offset0:81 offset1:82
	s_wait_loadcnt_dscnt 0x301
	v_dual_mul_f32 v140, v144, v4 :: v_dual_mul_f32 v141, v146, v10
	v_dual_mul_f32 v4, v145, v4 :: v_dual_fmac_f32 v139, v143, v1
	v_mul_f32_e32 v10, v147, v10
	s_delay_alu instid0(VALU_DEP_3)
	v_dual_mul_f32 v150, v148, v12 :: v_dual_fmac_f32 v141, v147, v9
	v_mul_f32_e32 v12, v149, v12
	v_mul_f32_e32 v2, v143, v2
	v_fmac_f32_e32 v140, v145, v3
	v_fma_f32 v143, v144, v3, -v4
	v_fma_f32 v144, v146, v9, -v10
	v_fmac_f32_e32 v150, v149, v11
	v_fma_f32 v145, v148, v11, -v12
	ds_load_2addr_b64 v[9:12], v21 offset0:83 offset1:84
	s_wait_loadcnt_dscnt 0x201
	v_mul_f32_e32 v146, v5, v14
	v_dual_mul_f32 v14, v6, v14 :: v_dual_mul_f32 v147, v7, v16
	v_mul_f32_e32 v16, v8, v16
	s_delay_alu instid0(VALU_DEP_3) | instskip(NEXT) | instid1(VALU_DEP_3)
	v_fmac_f32_e32 v146, v6, v13
	v_fma_f32 v13, v5, v13, -v14
	s_delay_alu instid0(VALU_DEP_4) | instskip(NEXT) | instid1(VALU_DEP_4)
	v_fmac_f32_e32 v147, v8, v15
	v_fma_f32 v14, v7, v15, -v16
	ds_load_2addr_b64 v[5:8], v21 offset0:85 offset1:86
	s_wait_loadcnt_dscnt 0x101
	v_mul_f32_e32 v15, v9, v18
	v_mul_f32_e32 v16, v10, v18
	;; [unrolled: 1-line block ×3, first 2 shown]
	s_delay_alu instid0(VALU_DEP_3)
	v_dual_mul_f32 v20, v12, v20 :: v_dual_fmac_f32 v15, v10, v17
	v_fma_f32 v142, v142, v1, -v2
	scratch_load_b128 v[1:4], off, off offset:232
	v_fma_f32 v16, v9, v17, -v16
	v_fmac_f32_e32 v18, v12, v19
	v_fma_f32 v17, v11, v19, -v20
	scratch_load_b128 v[9:12], off, off offset:248
	s_wait_loadcnt_dscnt 0x100
	v_mul_f32_e32 v19, v5, v2
	v_mul_f32_e32 v2, v6, v2
	;; [unrolled: 1-line block ×3, first 2 shown]
	s_delay_alu instid0(VALU_DEP_3) | instskip(NEXT) | instid1(VALU_DEP_3)
	v_dual_mul_f32 v4, v8, v4 :: v_dual_fmac_f32 v19, v6, v1
	v_fma_f32 v148, v5, v1, -v2
	s_delay_alu instid0(VALU_DEP_3) | instskip(NEXT) | instid1(VALU_DEP_3)
	v_fmac_f32_e32 v20, v8, v3
	v_fma_f32 v149, v7, v3, -v4
	ds_load_2addr_b64 v[1:4], v21 offset0:87 offset1:88
	ds_load_2addr_b64 v[5:8], v21 offset0:89 offset1:90
	s_wait_loadcnt_dscnt 0x1
	v_mul_f32_e32 v151, v1, v10
	v_mul_f32_e32 v10, v2, v10
	s_delay_alu instid0(VALU_DEP_2) | instskip(NEXT) | instid1(VALU_DEP_2)
	v_dual_mul_f32 v152, v3, v12 :: v_dual_fmac_f32 v151, v2, v9
	v_fma_f32 v153, v1, v9, -v10
	v_mul_f32_e32 v1, v4, v12
	s_delay_alu instid0(VALU_DEP_3) | instskip(NEXT) | instid1(VALU_DEP_2)
	v_fmac_f32_e32 v152, v4, v11
	v_fma_f32 v154, v3, v11, -v1
	s_clause 0x1
	scratch_load_b128 v[1:4], off, off offset:264
	scratch_load_b128 v[9:12], off, off offset:280
	s_wait_loadcnt_dscnt 0x100
	v_mul_f32_e32 v155, v5, v2
	v_dual_mul_f32 v2, v6, v2 :: v_dual_mul_f32 v157, v7, v4
	s_delay_alu instid0(VALU_DEP_2) | instskip(NEXT) | instid1(VALU_DEP_2)
	v_fmac_f32_e32 v155, v6, v1
	v_fma_f32 v156, v5, v1, -v2
	v_mul_f32_e32 v1, v8, v4
	s_delay_alu instid0(VALU_DEP_4) | instskip(NEXT) | instid1(VALU_DEP_2)
	v_fmac_f32_e32 v157, v8, v3
	v_fma_f32 v158, v7, v3, -v1
	ds_load_2addr_b64 v[1:4], v21 offset0:91 offset1:92
	ds_load_2addr_b64 v[5:8], v21 offset0:93 offset1:94
	s_wait_loadcnt_dscnt 0x1
	v_mul_f32_e32 v159, v1, v10
	v_mul_f32_e32 v161, v3, v12
	s_delay_alu instid0(VALU_DEP_2) | instskip(NEXT) | instid1(VALU_DEP_2)
	v_fmac_f32_e32 v159, v2, v9
	v_dual_mul_f32 v2, v2, v10 :: v_dual_fmac_f32 v161, v4, v11
	s_delay_alu instid0(VALU_DEP_1) | instskip(SKIP_1) | instid1(VALU_DEP_1)
	v_fma_f32 v160, v1, v9, -v2
	v_mul_f32_e32 v1, v4, v12
	v_fma_f32 v162, v3, v11, -v1
	s_clause 0x1
	scratch_load_b128 v[1:4], off, off offset:296
	scratch_load_b128 v[9:12], off, off offset:312
	s_wait_loadcnt_dscnt 0x100
	v_mul_f32_e32 v163, v5, v2
	v_dual_mul_f32 v2, v6, v2 :: v_dual_mul_f32 v165, v7, v4
	s_delay_alu instid0(VALU_DEP_2) | instskip(NEXT) | instid1(VALU_DEP_2)
	v_fmac_f32_e32 v163, v6, v1
	v_fma_f32 v164, v5, v1, -v2
	v_mul_f32_e32 v1, v8, v4
	s_delay_alu instid0(VALU_DEP_4) | instskip(NEXT) | instid1(VALU_DEP_2)
	v_fmac_f32_e32 v165, v8, v3
	v_fma_f32 v166, v7, v3, -v1
	ds_load_2addr_b64 v[1:4], v21 offset0:95 offset1:96
	ds_load_2addr_b64 v[5:8], v21 offset0:97 offset1:98
	s_wait_loadcnt_dscnt 0x1
	v_mul_f32_e32 v167, v1, v10
	v_mul_f32_e32 v169, v3, v12
	s_delay_alu instid0(VALU_DEP_2) | instskip(NEXT) | instid1(VALU_DEP_2)
	v_fmac_f32_e32 v167, v2, v9
	v_dual_mul_f32 v2, v2, v10 :: v_dual_fmac_f32 v169, v4, v11
	s_delay_alu instid0(VALU_DEP_1) | instskip(SKIP_1) | instid1(VALU_DEP_1)
	v_fma_f32 v168, v1, v9, -v2
	v_mul_f32_e32 v1, v4, v12
	;; [unrolled: 25-line block ×3, first 2 shown]
	v_fma_f32 v178, v3, v11, -v1
	s_clause 0x1
	scratch_load_b128 v[1:4], off, off offset:360
	scratch_load_b128 v[9:12], off, off offset:376
	s_wait_loadcnt_dscnt 0x100
	v_mul_f32_e32 v179, v5, v2
	v_mul_f32_e32 v2, v6, v2
	s_delay_alu instid0(VALU_DEP_1) | instskip(SKIP_1) | instid1(VALU_DEP_1)
	v_fma_f32 v180, v5, v1, -v2
	v_add_f32_e32 v2, 0, v23
	v_add_f32_e32 v2, v2, v24
	s_delay_alu instid0(VALU_DEP_1) | instskip(NEXT) | instid1(VALU_DEP_1)
	v_add_f32_e32 v2, v2, v139
	v_add_f32_e32 v2, v2, v140
	s_delay_alu instid0(VALU_DEP_1) | instskip(NEXT) | instid1(VALU_DEP_1)
	;; [unrolled: 3-line block ×3, first 2 shown]
	v_add_f32_e32 v2, v2, v146
	v_add_f32_e32 v2, v2, v147
	s_delay_alu instid0(VALU_DEP_1) | instskip(SKIP_1) | instid1(VALU_DEP_2)
	v_add_f32_e32 v2, v2, v15
	v_fmac_f32_e32 v179, v6, v1
	v_dual_mul_f32 v181, v7, v4 :: v_dual_add_f32 v2, v2, v18
	s_delay_alu instid0(VALU_DEP_1) | instskip(NEXT) | instid1(VALU_DEP_1)
	v_dual_mul_f32 v1, v8, v4 :: v_dual_add_f32 v2, v2, v19
	v_fma_f32 v182, v7, v3, -v1
	v_add_f32_e32 v1, 0, v22
	s_delay_alu instid0(VALU_DEP_3) | instskip(NEXT) | instid1(VALU_DEP_2)
	v_dual_fmac_f32 v181, v8, v3 :: v_dual_add_f32 v2, v2, v20
	v_add_f32_e32 v1, v1, v138
	s_delay_alu instid0(VALU_DEP_2) | instskip(NEXT) | instid1(VALU_DEP_2)
	v_add_f32_e32 v5, v2, v151
	v_add_f32_e32 v1, v1, v142
	s_delay_alu instid0(VALU_DEP_2) | instskip(NEXT) | instid1(VALU_DEP_2)
	v_add_f32_e32 v5, v5, v152
	;; [unrolled: 3-line block ×3, first 2 shown]
	v_add_f32_e32 v1, v1, v144
	s_delay_alu instid0(VALU_DEP_1) | instskip(NEXT) | instid1(VALU_DEP_1)
	v_add_f32_e32 v1, v1, v145
	v_add_f32_e32 v1, v1, v13
	s_delay_alu instid0(VALU_DEP_1) | instskip(SKIP_1) | instid1(VALU_DEP_1)
	v_add_f32_e32 v1, v1, v14
	v_add_f32_e32 v14, v5, v157
	v_dual_add_f32 v1, v1, v16 :: v_dual_add_f32 v14, v14, v159
	s_delay_alu instid0(VALU_DEP_1) | instskip(NEXT) | instid1(VALU_DEP_1)
	v_add_f32_e32 v1, v1, v17
	v_dual_add_f32 v14, v14, v161 :: v_dual_add_f32 v1, v1, v148
	s_delay_alu instid0(VALU_DEP_1) | instskip(NEXT) | instid1(VALU_DEP_2)
	v_add_f32_e32 v17, v14, v163
	v_add_f32_e32 v1, v1, v149
	s_delay_alu instid0(VALU_DEP_2) | instskip(NEXT) | instid1(VALU_DEP_2)
	v_add_f32_e32 v17, v17, v165
	v_add_f32_e32 v1, v1, v153
	s_delay_alu instid0(VALU_DEP_1) | instskip(SKIP_2) | instid1(VALU_DEP_1)
	v_add_f32_e32 v6, v1, v154
	ds_load_2addr_b64 v[1:4], v21 offset0:103 offset1:104
	v_dual_add_f32 v17, v17, v167 :: v_dual_add_f32 v6, v6, v156
	v_add_f32_e32 v17, v17, v169
	s_delay_alu instid0(VALU_DEP_2)
	v_add_f32_e32 v13, v6, v158
	ds_load_2addr_b64 v[5:8], v21 offset0:105 offset1:106
	s_wait_loadcnt_dscnt 0x1
	v_mul_f32_e32 v138, v1, v10
	v_dual_mul_f32 v10, v2, v10 :: v_dual_mul_f32 v139, v3, v12
	v_dual_mul_f32 v12, v4, v12 :: v_dual_add_f32 v23, v17, v171
	s_delay_alu instid0(VALU_DEP_3) | instskip(NEXT) | instid1(VALU_DEP_3)
	v_dual_fmac_f32 v138, v2, v9 :: v_dual_add_f32 v13, v13, v160
	v_fma_f32 v140, v1, v9, -v10
	s_delay_alu instid0(VALU_DEP_3) | instskip(NEXT) | instid1(VALU_DEP_4)
	v_fma_f32 v141, v3, v11, -v12
	v_add_f32_e32 v143, v23, v173
	s_delay_alu instid0(VALU_DEP_4) | instskip(NEXT) | instid1(VALU_DEP_1)
	v_add_f32_e32 v13, v13, v162
	v_add_f32_e32 v13, v13, v164
	s_delay_alu instid0(VALU_DEP_1) | instskip(SKIP_2) | instid1(VALU_DEP_1)
	v_add_f32_e32 v18, v13, v166
	scratch_load_b128 v[13:16], off, off offset:424
	v_add_f32_e32 v18, v18, v168
	v_add_f32_e32 v18, v18, v170
	s_delay_alu instid0(VALU_DEP_1)
	v_add_f32_e32 v22, v18, v172
	ds_load_2addr_b64 v[17:20], v21 offset0:107 offset1:108
	v_add_f32_e32 v142, v22, v174
	ds_load_2addr_b64 v[21:24], v21 offset0:109 offset1:110
	v_fmac_f32_e32 v139, v4, v11
	s_clause 0x1
	scratch_load_b128 v[1:4], off, off offset:392
	scratch_load_b128 v[9:12], off, off offset:408
	v_add_f32_e32 v142, v142, v176
	s_delay_alu instid0(VALU_DEP_1) | instskip(NEXT) | instid1(VALU_DEP_1)
	v_add_f32_e32 v142, v142, v178
	v_add_f32_e32 v142, v142, v180
	s_delay_alu instid0(VALU_DEP_1) | instskip(NEXT) | instid1(VALU_DEP_1)
	v_add_f32_e32 v142, v142, v182
	v_add_f32_e32 v140, v142, v140
	s_wait_loadcnt_dscnt 0x200
	v_mul_f32_e32 v142, v23, v16
	v_mul_f32_e32 v148, v21, v14
	s_delay_alu instid0(VALU_DEP_2) | instskip(SKIP_1) | instid1(VALU_DEP_2)
	v_fmac_f32_e32 v142, v24, v15
	s_wait_loadcnt 0x1
	v_dual_fmac_f32 v148, v22, v13 :: v_dual_mul_f32 v145, v7, v4
	s_wait_loadcnt 0x0
	v_dual_mul_f32 v147, v19, v12 :: v_dual_mul_f32 v144, v5, v2
	v_mul_f32_e32 v2, v6, v2
	v_mul_f32_e32 v4, v8, v4
	v_fmac_f32_e32 v145, v8, v3
	v_add_f32_e32 v143, v143, v175
	v_fmac_f32_e32 v147, v20, v11
	v_fma_f32 v2, v5, v1, -v2
	v_fmac_f32_e32 v144, v6, v1
	v_add_f32_e32 v1, v140, v141
	v_dual_add_f32 v143, v143, v177 :: v_dual_mul_f32 v146, v17, v10
	v_mul_f32_e32 v6, v18, v10
	v_fma_f32 v3, v7, v3, -v4
	s_delay_alu instid0(VALU_DEP_4) | instskip(NEXT) | instid1(VALU_DEP_4)
	v_add_f32_e32 v1, v1, v2
	v_dual_add_f32 v143, v143, v179 :: v_dual_mul_f32 v4, v20, v12
	s_delay_alu instid0(VALU_DEP_2) | instskip(NEXT) | instid1(VALU_DEP_2)
	v_dual_fmac_f32 v146, v18, v9 :: v_dual_add_f32 v1, v1, v3
	v_add_f32_e32 v143, v143, v181
	v_mul_f32_e32 v3, v22, v14
	s_delay_alu instid0(VALU_DEP_4) | instskip(NEXT) | instid1(VALU_DEP_3)
	v_fma_f32 v4, v19, v11, -v4
	v_add_f32_e32 v138, v143, v138
	s_delay_alu instid0(VALU_DEP_3) | instskip(NEXT) | instid1(VALU_DEP_2)
	v_fma_f32 v3, v21, v13, -v3
	v_add_f32_e32 v5, v138, v139
	s_delay_alu instid0(VALU_DEP_1) | instskip(SKIP_1) | instid1(VALU_DEP_2)
	v_add_f32_e32 v2, v5, v144
	v_fma_f32 v5, v17, v9, -v6
	v_add_f32_e32 v2, v2, v145
	s_delay_alu instid0(VALU_DEP_2) | instskip(NEXT) | instid1(VALU_DEP_2)
	v_add_f32_e32 v1, v1, v5
	v_dual_mul_f32 v5, v24, v16 :: v_dual_add_f32 v2, v2, v146
	s_delay_alu instid0(VALU_DEP_2) | instskip(NEXT) | instid1(VALU_DEP_2)
	v_add_f32_e32 v1, v1, v4
	v_fma_f32 v4, v23, v15, -v5
	s_delay_alu instid0(VALU_DEP_3) | instskip(NEXT) | instid1(VALU_DEP_1)
	v_add_f32_e32 v2, v2, v147
	v_dual_add_f32 v1, v1, v3 :: v_dual_add_f32 v2, v2, v148
	s_delay_alu instid0(VALU_DEP_1) | instskip(NEXT) | instid1(VALU_DEP_1)
	v_dual_add_f32 v1, v1, v4 :: v_dual_add_f32 v2, v2, v142
	v_dual_sub_f32 v1, v135, v1 :: v_dual_sub_f32 v2, v136, v2
	scratch_store_b64 off, v[1:2], off offset:144
	v_cmpx_lt_u32_e32 17, v0
	s_cbranch_execz .LBB118_309
; %bb.308:
	scratch_load_b64 v[1:2], off, off offset:136
	v_mov_b32_e32 v3, 0
	s_delay_alu instid0(VALU_DEP_1)
	v_mov_b32_e32 v4, v3
	scratch_store_b64 off, v[3:4], off offset:136
	s_wait_loadcnt 0x0
	ds_store_b64 v137, v[1:2]
.LBB118_309:
	s_wait_alu 0xfffe
	s_or_b32 exec_lo, exec_lo, s0
	s_wait_storecnt_dscnt 0x0
	s_barrier_signal -1
	s_barrier_wait -1
	global_inv scope:SCOPE_SE
	s_clause 0x4
	scratch_load_b128 v[5:8], off, off offset:144
	scratch_load_b128 v[1:4], off, off offset:160
	;; [unrolled: 1-line block ×5, first 2 shown]
	v_mov_b32_e32 v21, 0
	ds_load_b128 v[138:141], v21 offset:592
	ds_load_b128 v[142:145], v21 offset:608
	;; [unrolled: 1-line block ×3, first 2 shown]
	scratch_load_b64 v[22:23], off, off offset:136
	s_mov_b32 s0, exec_lo
	s_wait_loadcnt_dscnt 0x502
	v_mul_f32_e32 v24, v139, v6
	v_dual_mul_f32 v135, v138, v6 :: v_dual_mul_f32 v136, v140, v8
	v_mul_f32_e32 v6, v141, v8
	s_delay_alu instid0(VALU_DEP_3) | instskip(NEXT) | instid1(VALU_DEP_3)
	v_fma_f32 v24, v138, v5, -v24
	v_dual_fmac_f32 v135, v139, v5 :: v_dual_fmac_f32 v136, v141, v7
	s_wait_loadcnt_dscnt 0x401
	v_mul_f32_e32 v139, v142, v2
	v_fma_f32 v138, v140, v7, -v6
	ds_load_b128 v[5:8], v21 offset:640
	s_wait_loadcnt_dscnt 0x301
	v_dual_mul_f32 v140, v144, v4 :: v_dual_mul_f32 v141, v146, v10
	v_dual_mul_f32 v4, v145, v4 :: v_dual_fmac_f32 v139, v143, v1
	v_mul_f32_e32 v10, v147, v10
	s_delay_alu instid0(VALU_DEP_3)
	v_dual_mul_f32 v150, v148, v12 :: v_dual_fmac_f32 v141, v147, v9
	v_mul_f32_e32 v12, v149, v12
	v_mul_f32_e32 v2, v143, v2
	v_fmac_f32_e32 v140, v145, v3
	v_fma_f32 v143, v144, v3, -v4
	v_fma_f32 v144, v146, v9, -v10
	v_fmac_f32_e32 v150, v149, v11
	v_fma_f32 v145, v148, v11, -v12
	ds_load_b128 v[9:12], v21 offset:656
	s_wait_loadcnt_dscnt 0x201
	v_dual_mul_f32 v147, v7, v16 :: v_dual_mul_f32 v146, v5, v14
	v_mul_f32_e32 v14, v6, v14
	v_mul_f32_e32 v16, v8, v16
	s_delay_alu instid0(VALU_DEP_3)
	v_fmac_f32_e32 v147, v8, v15
	v_fma_f32 v142, v142, v1, -v2
	scratch_load_b128 v[1:4], off, off offset:224
	v_fmac_f32_e32 v146, v6, v13
	v_fma_f32 v13, v5, v13, -v14
	v_fma_f32 v14, v7, v15, -v16
	ds_load_b128 v[5:8], v21 offset:672
	s_wait_loadcnt_dscnt 0x201
	v_mul_f32_e32 v15, v9, v18
	v_mul_f32_e32 v16, v10, v18
	;; [unrolled: 1-line block ×3, first 2 shown]
	s_delay_alu instid0(VALU_DEP_3) | instskip(NEXT) | instid1(VALU_DEP_3)
	v_dual_mul_f32 v20, v12, v20 :: v_dual_fmac_f32 v15, v10, v17
	v_fma_f32 v16, v9, v17, -v16
	s_delay_alu instid0(VALU_DEP_3) | instskip(NEXT) | instid1(VALU_DEP_3)
	v_fmac_f32_e32 v18, v12, v19
	v_fma_f32 v17, v11, v19, -v20
	scratch_load_b128 v[9:12], off, off offset:240
	s_wait_loadcnt_dscnt 0x100
	v_mul_f32_e32 v19, v5, v2
	v_mul_f32_e32 v2, v6, v2
	;; [unrolled: 1-line block ×3, first 2 shown]
	s_delay_alu instid0(VALU_DEP_3) | instskip(NEXT) | instid1(VALU_DEP_3)
	v_dual_mul_f32 v4, v8, v4 :: v_dual_fmac_f32 v19, v6, v1
	v_fma_f32 v148, v5, v1, -v2
	s_delay_alu instid0(VALU_DEP_3) | instskip(NEXT) | instid1(VALU_DEP_3)
	v_fmac_f32_e32 v20, v8, v3
	v_fma_f32 v149, v7, v3, -v4
	ds_load_b128 v[1:4], v21 offset:688
	ds_load_b128 v[5:8], v21 offset:704
	s_wait_loadcnt_dscnt 0x1
	v_mul_f32_e32 v151, v1, v10
	v_mul_f32_e32 v10, v2, v10
	s_delay_alu instid0(VALU_DEP_2) | instskip(NEXT) | instid1(VALU_DEP_2)
	v_dual_mul_f32 v152, v3, v12 :: v_dual_fmac_f32 v151, v2, v9
	v_fma_f32 v153, v1, v9, -v10
	v_mul_f32_e32 v1, v4, v12
	s_delay_alu instid0(VALU_DEP_3) | instskip(NEXT) | instid1(VALU_DEP_2)
	v_fmac_f32_e32 v152, v4, v11
	v_fma_f32 v154, v3, v11, -v1
	s_clause 0x1
	scratch_load_b128 v[1:4], off, off offset:256
	scratch_load_b128 v[9:12], off, off offset:272
	s_wait_loadcnt_dscnt 0x100
	v_mul_f32_e32 v155, v5, v2
	v_dual_mul_f32 v2, v6, v2 :: v_dual_mul_f32 v157, v7, v4
	s_delay_alu instid0(VALU_DEP_2) | instskip(NEXT) | instid1(VALU_DEP_2)
	v_fmac_f32_e32 v155, v6, v1
	v_fma_f32 v156, v5, v1, -v2
	v_mul_f32_e32 v1, v8, v4
	s_delay_alu instid0(VALU_DEP_4) | instskip(NEXT) | instid1(VALU_DEP_2)
	v_fmac_f32_e32 v157, v8, v3
	v_fma_f32 v158, v7, v3, -v1
	ds_load_b128 v[1:4], v21 offset:720
	ds_load_b128 v[5:8], v21 offset:736
	s_wait_loadcnt_dscnt 0x1
	v_mul_f32_e32 v159, v1, v10
	v_mul_f32_e32 v161, v3, v12
	s_delay_alu instid0(VALU_DEP_2) | instskip(NEXT) | instid1(VALU_DEP_2)
	v_fmac_f32_e32 v159, v2, v9
	v_dual_mul_f32 v2, v2, v10 :: v_dual_fmac_f32 v161, v4, v11
	s_delay_alu instid0(VALU_DEP_1) | instskip(SKIP_1) | instid1(VALU_DEP_1)
	v_fma_f32 v160, v1, v9, -v2
	v_mul_f32_e32 v1, v4, v12
	v_fma_f32 v162, v3, v11, -v1
	s_clause 0x1
	scratch_load_b128 v[1:4], off, off offset:288
	scratch_load_b128 v[9:12], off, off offset:304
	s_wait_loadcnt_dscnt 0x100
	v_mul_f32_e32 v163, v5, v2
	v_dual_mul_f32 v165, v7, v4 :: v_dual_mul_f32 v2, v6, v2
	s_delay_alu instid0(VALU_DEP_2) | instskip(NEXT) | instid1(VALU_DEP_2)
	v_fmac_f32_e32 v163, v6, v1
	v_fmac_f32_e32 v165, v8, v3
	s_delay_alu instid0(VALU_DEP_3) | instskip(SKIP_1) | instid1(VALU_DEP_1)
	v_fma_f32 v164, v5, v1, -v2
	v_mul_f32_e32 v1, v8, v4
	v_fma_f32 v166, v7, v3, -v1
	ds_load_b128 v[1:4], v21 offset:752
	ds_load_b128 v[5:8], v21 offset:768
	s_wait_loadcnt_dscnt 0x1
	v_mul_f32_e32 v167, v1, v10
	v_mul_f32_e32 v169, v3, v12
	s_delay_alu instid0(VALU_DEP_2) | instskip(NEXT) | instid1(VALU_DEP_2)
	v_fmac_f32_e32 v167, v2, v9
	v_dual_mul_f32 v2, v2, v10 :: v_dual_fmac_f32 v169, v4, v11
	s_delay_alu instid0(VALU_DEP_1) | instskip(SKIP_1) | instid1(VALU_DEP_1)
	v_fma_f32 v168, v1, v9, -v2
	v_mul_f32_e32 v1, v4, v12
	v_fma_f32 v170, v3, v11, -v1
	s_clause 0x1
	scratch_load_b128 v[1:4], off, off offset:320
	scratch_load_b128 v[9:12], off, off offset:336
	s_wait_loadcnt_dscnt 0x100
	v_mul_f32_e32 v171, v5, v2
	v_dual_mul_f32 v2, v6, v2 :: v_dual_mul_f32 v173, v7, v4
	s_delay_alu instid0(VALU_DEP_2) | instskip(NEXT) | instid1(VALU_DEP_2)
	v_fmac_f32_e32 v171, v6, v1
	v_fma_f32 v172, v5, v1, -v2
	v_mul_f32_e32 v1, v8, v4
	s_delay_alu instid0(VALU_DEP_4) | instskip(NEXT) | instid1(VALU_DEP_2)
	v_fmac_f32_e32 v173, v8, v3
	v_fma_f32 v174, v7, v3, -v1
	ds_load_b128 v[1:4], v21 offset:784
	ds_load_b128 v[5:8], v21 offset:800
	s_wait_loadcnt_dscnt 0x1
	v_mul_f32_e32 v175, v1, v10
	v_mul_f32_e32 v177, v3, v12
	s_delay_alu instid0(VALU_DEP_2) | instskip(NEXT) | instid1(VALU_DEP_2)
	v_fmac_f32_e32 v175, v2, v9
	v_dual_mul_f32 v2, v2, v10 :: v_dual_fmac_f32 v177, v4, v11
	s_delay_alu instid0(VALU_DEP_1) | instskip(SKIP_1) | instid1(VALU_DEP_1)
	v_fma_f32 v176, v1, v9, -v2
	v_mul_f32_e32 v1, v4, v12
	v_fma_f32 v178, v3, v11, -v1
	s_clause 0x1
	scratch_load_b128 v[1:4], off, off offset:352
	scratch_load_b128 v[9:12], off, off offset:368
	s_wait_loadcnt_dscnt 0x100
	v_mul_f32_e32 v179, v5, v2
	v_mul_f32_e32 v2, v6, v2
	s_delay_alu instid0(VALU_DEP_1) | instskip(SKIP_1) | instid1(VALU_DEP_1)
	v_fma_f32 v180, v5, v1, -v2
	v_add_f32_e32 v2, 0, v135
	v_add_f32_e32 v2, v2, v136
	scratch_load_b64 v[135:136], off, off offset:432
	v_add_f32_e32 v2, v2, v139
	s_delay_alu instid0(VALU_DEP_1) | instskip(NEXT) | instid1(VALU_DEP_1)
	v_add_f32_e32 v2, v2, v140
	v_add_f32_e32 v2, v2, v141
	s_delay_alu instid0(VALU_DEP_1) | instskip(NEXT) | instid1(VALU_DEP_1)
	v_add_f32_e32 v2, v2, v150
	;; [unrolled: 3-line block ×3, first 2 shown]
	v_dual_add_f32 v2, v2, v15 :: v_dual_mul_f32 v181, v7, v4
	s_delay_alu instid0(VALU_DEP_1) | instskip(NEXT) | instid1(VALU_DEP_1)
	v_add_f32_e32 v2, v2, v18
	v_add_f32_e32 v2, v2, v19
	s_delay_alu instid0(VALU_DEP_3) | instskip(SKIP_1) | instid1(VALU_DEP_3)
	v_fmac_f32_e32 v181, v8, v3
	v_fmac_f32_e32 v179, v6, v1
	v_add_f32_e32 v2, v2, v20
	s_delay_alu instid0(VALU_DEP_1) | instskip(NEXT) | instid1(VALU_DEP_1)
	v_add_f32_e32 v5, v2, v151
	v_add_f32_e32 v5, v5, v152
	s_delay_alu instid0(VALU_DEP_1) | instskip(SKIP_1) | instid1(VALU_DEP_1)
	v_add_f32_e32 v5, v5, v155
	v_mul_f32_e32 v1, v8, v4
	v_fma_f32 v182, v7, v3, -v1
	v_add_f32_e32 v1, 0, v24
	s_delay_alu instid0(VALU_DEP_1) | instskip(NEXT) | instid1(VALU_DEP_1)
	v_add_f32_e32 v1, v1, v138
	v_add_f32_e32 v1, v1, v142
	s_delay_alu instid0(VALU_DEP_1) | instskip(NEXT) | instid1(VALU_DEP_1)
	v_add_f32_e32 v1, v1, v143
	;; [unrolled: 3-line block ×3, first 2 shown]
	v_add_f32_e32 v1, v1, v13
	s_delay_alu instid0(VALU_DEP_1) | instskip(SKIP_1) | instid1(VALU_DEP_1)
	v_add_f32_e32 v1, v1, v14
	v_add_f32_e32 v14, v5, v157
	;; [unrolled: 1-line block ×3, first 2 shown]
	s_delay_alu instid0(VALU_DEP_1) | instskip(NEXT) | instid1(VALU_DEP_1)
	v_dual_add_f32 v14, v14, v161 :: v_dual_add_f32 v1, v1, v16
	v_add_f32_e32 v1, v1, v17
	s_delay_alu instid0(VALU_DEP_1) | instskip(NEXT) | instid1(VALU_DEP_1)
	v_add_f32_e32 v1, v1, v148
	v_add_f32_e32 v1, v1, v149
	s_delay_alu instid0(VALU_DEP_1) | instskip(NEXT) | instid1(VALU_DEP_1)
	v_add_f32_e32 v1, v1, v153
	v_add_f32_e32 v6, v1, v154
	ds_load_b128 v[1:4], v21 offset:816
	v_add_f32_e32 v6, v6, v156
	s_delay_alu instid0(VALU_DEP_1)
	v_add_f32_e32 v13, v6, v158
	ds_load_b128 v[5:8], v21 offset:832
	s_wait_loadcnt_dscnt 0x101
	v_mul_f32_e32 v24, v1, v10
	v_mul_f32_e32 v10, v2, v10
	;; [unrolled: 1-line block ×4, first 2 shown]
	s_delay_alu instid0(VALU_DEP_4) | instskip(NEXT) | instid1(VALU_DEP_4)
	v_fmac_f32_e32 v24, v2, v9
	v_fma_f32 v145, v1, v9, -v10
	s_delay_alu instid0(VALU_DEP_4) | instskip(NEXT) | instid1(VALU_DEP_4)
	v_fmac_f32_e32 v144, v4, v11
	v_fma_f32 v146, v3, v11, -v12
	s_clause 0x1
	scratch_load_b128 v[1:4], off, off offset:384
	scratch_load_b128 v[9:12], off, off offset:400
	s_wait_loadcnt_dscnt 0x100
	v_dual_add_f32 v17, v14, v163 :: v_dual_mul_f32 v150, v7, v4
	s_delay_alu instid0(VALU_DEP_1)
	v_add_f32_e32 v17, v17, v165
	v_mul_f32_e32 v149, v5, v2
	v_mul_f32_e32 v2, v6, v2
	;; [unrolled: 1-line block ×3, first 2 shown]
	v_fmac_f32_e32 v150, v8, v3
	v_add_f32_e32 v17, v17, v167
	v_fmac_f32_e32 v149, v6, v1
	v_fma_f32 v2, v5, v1, -v2
	v_fma_f32 v1, v7, v3, -v4
	s_delay_alu instid0(VALU_DEP_4) | instskip(NEXT) | instid1(VALU_DEP_1)
	v_add_f32_e32 v17, v17, v169
	v_add_f32_e32 v17, v17, v171
	s_delay_alu instid0(VALU_DEP_1) | instskip(SKIP_1) | instid1(VALU_DEP_2)
	v_add_f32_e32 v138, v17, v173
	v_add_f32_e32 v13, v13, v160
	;; [unrolled: 1-line block ×3, first 2 shown]
	s_delay_alu instid0(VALU_DEP_2) | instskip(SKIP_2) | instid1(VALU_DEP_1)
	v_add_f32_e32 v13, v13, v162
	ds_load_b128 v[138:141], v21 offset:864
	v_add_f32_e32 v148, v143, v177
	v_add_f32_e32 v148, v148, v179
	s_delay_alu instid0(VALU_DEP_1) | instskip(NEXT) | instid1(VALU_DEP_1)
	v_add_f32_e32 v148, v148, v181
	v_add_f32_e32 v24, v148, v24
	s_delay_alu instid0(VALU_DEP_1) | instskip(NEXT) | instid1(VALU_DEP_1)
	v_add_f32_e32 v24, v24, v144
	v_dual_add_f32 v13, v13, v164 :: v_dual_add_f32 v4, v24, v149
	s_delay_alu instid0(VALU_DEP_1) | instskip(SKIP_2) | instid1(VALU_DEP_1)
	v_add_f32_e32 v18, v13, v166
	scratch_load_b128 v[13:16], off, off offset:416
	v_add_f32_e32 v18, v18, v168
	v_add_f32_e32 v18, v18, v170
	s_delay_alu instid0(VALU_DEP_1) | instskip(NEXT) | instid1(VALU_DEP_1)
	v_add_f32_e32 v18, v18, v172
	v_add_f32_e32 v18, v18, v174
	s_delay_alu instid0(VALU_DEP_1)
	v_add_f32_e32 v142, v18, v176
	ds_load_b128 v[17:20], v21 offset:848
	s_wait_loadcnt_dscnt 0x100
	v_dual_mul_f32 v148, v19, v12 :: v_dual_add_f32 v147, v142, v178
	ds_load_b64 v[142:143], v21 offset:880
	v_dual_mul_f32 v3, v18, v10 :: v_dual_fmac_f32 v148, v20, v11
	v_add_f32_e32 v147, v147, v180
	s_delay_alu instid0(VALU_DEP_2) | instskip(NEXT) | instid1(VALU_DEP_2)
	v_fma_f32 v3, v17, v9, -v3
	v_add_f32_e32 v147, v147, v182
	s_wait_dscnt 0x0
	s_delay_alu instid0(VALU_DEP_1) | instskip(NEXT) | instid1(VALU_DEP_1)
	v_dual_add_f32 v145, v147, v145 :: v_dual_mul_f32 v144, v142, v136
	v_dual_add_f32 v145, v145, v146 :: v_dual_fmac_f32 v144, v143, v135
	s_delay_alu instid0(VALU_DEP_1) | instskip(NEXT) | instid1(VALU_DEP_1)
	v_add_f32_e32 v2, v145, v2
	v_dual_add_f32 v1, v2, v1 :: v_dual_add_f32 v2, v4, v150
	s_wait_loadcnt 0x0
	v_dual_mul_f32 v146, v140, v16 :: v_dual_mul_f32 v151, v138, v14
	v_mul_f32_e32 v4, v139, v14
	s_delay_alu instid0(VALU_DEP_2) | instskip(SKIP_1) | instid1(VALU_DEP_3)
	v_dual_fmac_f32 v146, v141, v15 :: v_dual_fmac_f32 v151, v139, v13
	v_mul_f32_e32 v147, v17, v10
	v_fma_f32 v4, v138, v13, -v4
	s_delay_alu instid0(VALU_DEP_2) | instskip(NEXT) | instid1(VALU_DEP_1)
	v_fmac_f32_e32 v147, v18, v9
	v_add_f32_e32 v2, v2, v147
	s_delay_alu instid0(VALU_DEP_1) | instskip(NEXT) | instid1(VALU_DEP_1)
	v_add_f32_e32 v2, v2, v148
	v_dual_add_f32 v2, v2, v151 :: v_dual_mul_f32 v5, v20, v12
	s_delay_alu instid0(VALU_DEP_1) | instskip(NEXT) | instid1(VALU_DEP_2)
	v_add_f32_e32 v2, v2, v146
	v_fma_f32 v5, v19, v11, -v5
	v_add_f32_e32 v1, v1, v3
	v_mul_f32_e32 v3, v141, v16
	s_delay_alu instid0(VALU_DEP_2) | instskip(SKIP_1) | instid1(VALU_DEP_3)
	v_dual_add_f32 v2, v2, v144 :: v_dual_add_f32 v1, v1, v5
	v_mul_f32_e32 v5, v143, v136
	v_fma_f32 v3, v140, v15, -v3
	s_delay_alu instid0(VALU_DEP_3) | instskip(NEXT) | instid1(VALU_DEP_3)
	v_dual_sub_f32 v2, v23, v2 :: v_dual_add_f32 v1, v1, v4
	v_fma_f32 v4, v142, v135, -v5
	s_delay_alu instid0(VALU_DEP_2) | instskip(NEXT) | instid1(VALU_DEP_1)
	v_add_f32_e32 v1, v1, v3
	v_add_f32_e32 v1, v1, v4
	s_delay_alu instid0(VALU_DEP_1)
	v_sub_f32_e32 v1, v22, v1
	scratch_store_b64 off, v[1:2], off offset:136
	v_cmpx_lt_u32_e32 16, v0
	s_cbranch_execz .LBB118_311
; %bb.310:
	scratch_load_b64 v[1:2], off, off offset:128
	v_mov_b32_e32 v22, v21
	scratch_store_b64 off, v[21:22], off offset:128
	s_wait_loadcnt 0x0
	ds_store_b64 v137, v[1:2]
.LBB118_311:
	s_wait_alu 0xfffe
	s_or_b32 exec_lo, exec_lo, s0
	s_wait_storecnt_dscnt 0x0
	s_barrier_signal -1
	s_barrier_wait -1
	global_inv scope:SCOPE_SE
	s_clause 0x4
	scratch_load_b128 v[5:8], off, off offset:136
	scratch_load_b128 v[1:4], off, off offset:152
	;; [unrolled: 1-line block ×5, first 2 shown]
	ds_load_2addr_b64 v[138:141], v21 offset0:73 offset1:74
	ds_load_2addr_b64 v[142:145], v21 offset0:75 offset1:76
	ds_load_2addr_b64 v[146:149], v21 offset0:77 offset1:78
	scratch_load_b64 v[135:136], off, off offset:128
	s_mov_b32 s0, exec_lo
	s_wait_loadcnt_dscnt 0x502
	v_mul_f32_e32 v22, v139, v6
	v_dual_mul_f32 v23, v138, v6 :: v_dual_mul_f32 v24, v140, v8
	v_mul_f32_e32 v6, v141, v8
	s_delay_alu instid0(VALU_DEP_3) | instskip(NEXT) | instid1(VALU_DEP_3)
	v_fma_f32 v22, v138, v5, -v22
	v_dual_fmac_f32 v23, v139, v5 :: v_dual_fmac_f32 v24, v141, v7
	s_wait_loadcnt_dscnt 0x401
	v_mul_f32_e32 v139, v142, v2
	v_fma_f32 v138, v140, v7, -v6
	ds_load_2addr_b64 v[5:8], v21 offset0:79 offset1:80
	s_wait_loadcnt_dscnt 0x301
	v_dual_mul_f32 v140, v144, v4 :: v_dual_mul_f32 v141, v146, v10
	v_dual_mul_f32 v4, v145, v4 :: v_dual_fmac_f32 v139, v143, v1
	v_mul_f32_e32 v10, v147, v10
	s_delay_alu instid0(VALU_DEP_3)
	v_dual_mul_f32 v150, v148, v12 :: v_dual_fmac_f32 v141, v147, v9
	v_mul_f32_e32 v12, v149, v12
	v_mul_f32_e32 v2, v143, v2
	v_fmac_f32_e32 v140, v145, v3
	v_fma_f32 v143, v144, v3, -v4
	v_fma_f32 v144, v146, v9, -v10
	v_fmac_f32_e32 v150, v149, v11
	v_fma_f32 v145, v148, v11, -v12
	ds_load_2addr_b64 v[9:12], v21 offset0:81 offset1:82
	s_wait_loadcnt_dscnt 0x201
	v_mul_f32_e32 v146, v5, v14
	v_dual_mul_f32 v14, v6, v14 :: v_dual_mul_f32 v147, v7, v16
	v_mul_f32_e32 v16, v8, v16
	s_delay_alu instid0(VALU_DEP_3) | instskip(NEXT) | instid1(VALU_DEP_3)
	v_fmac_f32_e32 v146, v6, v13
	v_fma_f32 v13, v5, v13, -v14
	s_delay_alu instid0(VALU_DEP_4) | instskip(NEXT) | instid1(VALU_DEP_4)
	v_fmac_f32_e32 v147, v8, v15
	v_fma_f32 v14, v7, v15, -v16
	ds_load_2addr_b64 v[5:8], v21 offset0:83 offset1:84
	s_wait_loadcnt_dscnt 0x101
	v_mul_f32_e32 v15, v9, v18
	v_mul_f32_e32 v16, v10, v18
	;; [unrolled: 1-line block ×3, first 2 shown]
	s_delay_alu instid0(VALU_DEP_3)
	v_dual_mul_f32 v20, v12, v20 :: v_dual_fmac_f32 v15, v10, v17
	v_fma_f32 v142, v142, v1, -v2
	scratch_load_b128 v[1:4], off, off offset:216
	v_fma_f32 v16, v9, v17, -v16
	v_fmac_f32_e32 v18, v12, v19
	v_fma_f32 v17, v11, v19, -v20
	scratch_load_b128 v[9:12], off, off offset:232
	s_wait_loadcnt_dscnt 0x100
	v_mul_f32_e32 v19, v5, v2
	v_mul_f32_e32 v2, v6, v2
	;; [unrolled: 1-line block ×3, first 2 shown]
	s_delay_alu instid0(VALU_DEP_3) | instskip(NEXT) | instid1(VALU_DEP_3)
	v_dual_mul_f32 v4, v8, v4 :: v_dual_fmac_f32 v19, v6, v1
	v_fma_f32 v148, v5, v1, -v2
	s_delay_alu instid0(VALU_DEP_3) | instskip(NEXT) | instid1(VALU_DEP_3)
	v_fmac_f32_e32 v20, v8, v3
	v_fma_f32 v149, v7, v3, -v4
	ds_load_2addr_b64 v[1:4], v21 offset0:85 offset1:86
	ds_load_2addr_b64 v[5:8], v21 offset0:87 offset1:88
	s_wait_loadcnt_dscnt 0x1
	v_mul_f32_e32 v151, v1, v10
	v_mul_f32_e32 v10, v2, v10
	s_delay_alu instid0(VALU_DEP_2) | instskip(NEXT) | instid1(VALU_DEP_2)
	v_dual_mul_f32 v152, v3, v12 :: v_dual_fmac_f32 v151, v2, v9
	v_fma_f32 v153, v1, v9, -v10
	v_mul_f32_e32 v1, v4, v12
	s_delay_alu instid0(VALU_DEP_3) | instskip(NEXT) | instid1(VALU_DEP_2)
	v_fmac_f32_e32 v152, v4, v11
	v_fma_f32 v154, v3, v11, -v1
	s_clause 0x1
	scratch_load_b128 v[1:4], off, off offset:248
	scratch_load_b128 v[9:12], off, off offset:264
	s_wait_loadcnt_dscnt 0x100
	v_mul_f32_e32 v155, v5, v2
	v_dual_mul_f32 v2, v6, v2 :: v_dual_mul_f32 v157, v7, v4
	s_delay_alu instid0(VALU_DEP_2) | instskip(NEXT) | instid1(VALU_DEP_2)
	v_fmac_f32_e32 v155, v6, v1
	v_fma_f32 v156, v5, v1, -v2
	v_mul_f32_e32 v1, v8, v4
	s_delay_alu instid0(VALU_DEP_4) | instskip(NEXT) | instid1(VALU_DEP_2)
	v_fmac_f32_e32 v157, v8, v3
	v_fma_f32 v158, v7, v3, -v1
	ds_load_2addr_b64 v[1:4], v21 offset0:89 offset1:90
	ds_load_2addr_b64 v[5:8], v21 offset0:91 offset1:92
	s_wait_loadcnt_dscnt 0x1
	v_mul_f32_e32 v159, v1, v10
	v_mul_f32_e32 v161, v3, v12
	s_delay_alu instid0(VALU_DEP_2) | instskip(NEXT) | instid1(VALU_DEP_2)
	v_fmac_f32_e32 v159, v2, v9
	v_dual_mul_f32 v2, v2, v10 :: v_dual_fmac_f32 v161, v4, v11
	s_delay_alu instid0(VALU_DEP_1) | instskip(SKIP_1) | instid1(VALU_DEP_1)
	v_fma_f32 v160, v1, v9, -v2
	v_mul_f32_e32 v1, v4, v12
	v_fma_f32 v162, v3, v11, -v1
	s_clause 0x1
	scratch_load_b128 v[1:4], off, off offset:280
	scratch_load_b128 v[9:12], off, off offset:296
	s_wait_loadcnt_dscnt 0x100
	v_mul_f32_e32 v163, v5, v2
	v_dual_mul_f32 v2, v6, v2 :: v_dual_mul_f32 v165, v7, v4
	s_delay_alu instid0(VALU_DEP_2) | instskip(NEXT) | instid1(VALU_DEP_2)
	v_fmac_f32_e32 v163, v6, v1
	v_fma_f32 v164, v5, v1, -v2
	v_mul_f32_e32 v1, v8, v4
	s_delay_alu instid0(VALU_DEP_4) | instskip(NEXT) | instid1(VALU_DEP_2)
	v_fmac_f32_e32 v165, v8, v3
	v_fma_f32 v166, v7, v3, -v1
	ds_load_2addr_b64 v[1:4], v21 offset0:93 offset1:94
	ds_load_2addr_b64 v[5:8], v21 offset0:95 offset1:96
	s_wait_loadcnt_dscnt 0x1
	v_mul_f32_e32 v167, v1, v10
	v_mul_f32_e32 v169, v3, v12
	s_delay_alu instid0(VALU_DEP_2) | instskip(NEXT) | instid1(VALU_DEP_2)
	v_fmac_f32_e32 v167, v2, v9
	v_dual_mul_f32 v2, v2, v10 :: v_dual_fmac_f32 v169, v4, v11
	s_delay_alu instid0(VALU_DEP_1) | instskip(SKIP_1) | instid1(VALU_DEP_1)
	v_fma_f32 v168, v1, v9, -v2
	v_mul_f32_e32 v1, v4, v12
	;; [unrolled: 25-line block ×3, first 2 shown]
	v_fma_f32 v178, v3, v11, -v1
	s_clause 0x1
	scratch_load_b128 v[1:4], off, off offset:344
	scratch_load_b128 v[9:12], off, off offset:360
	s_wait_loadcnt_dscnt 0x100
	v_mul_f32_e32 v179, v5, v2
	v_mul_f32_e32 v2, v6, v2
	s_delay_alu instid0(VALU_DEP_1) | instskip(SKIP_1) | instid1(VALU_DEP_1)
	v_fma_f32 v180, v5, v1, -v2
	v_add_f32_e32 v2, 0, v23
	v_add_f32_e32 v2, v2, v24
	s_delay_alu instid0(VALU_DEP_1) | instskip(NEXT) | instid1(VALU_DEP_1)
	v_add_f32_e32 v2, v2, v139
	v_add_f32_e32 v2, v2, v140
	s_delay_alu instid0(VALU_DEP_1) | instskip(NEXT) | instid1(VALU_DEP_1)
	;; [unrolled: 3-line block ×3, first 2 shown]
	v_add_f32_e32 v2, v2, v146
	v_add_f32_e32 v2, v2, v147
	s_delay_alu instid0(VALU_DEP_1) | instskip(SKIP_1) | instid1(VALU_DEP_2)
	v_dual_add_f32 v2, v2, v15 :: v_dual_mul_f32 v181, v7, v4
	v_fmac_f32_e32 v179, v6, v1
	v_dual_add_f32 v2, v2, v18 :: v_dual_mul_f32 v1, v8, v4
	s_delay_alu instid0(VALU_DEP_1) | instskip(NEXT) | instid1(VALU_DEP_4)
	v_add_f32_e32 v2, v2, v19
	v_fmac_f32_e32 v181, v8, v3
	s_delay_alu instid0(VALU_DEP_3) | instskip(NEXT) | instid1(VALU_DEP_3)
	v_fma_f32 v182, v7, v3, -v1
	v_dual_add_f32 v2, v2, v20 :: v_dual_add_f32 v1, 0, v22
	s_delay_alu instid0(VALU_DEP_1) | instskip(NEXT) | instid1(VALU_DEP_1)
	v_dual_add_f32 v2, v2, v151 :: v_dual_add_f32 v1, v1, v138
	v_add_f32_e32 v5, v2, v152
	s_delay_alu instid0(VALU_DEP_2) | instskip(NEXT) | instid1(VALU_DEP_1)
	v_add_f32_e32 v1, v1, v142
	v_add_f32_e32 v1, v1, v143
	s_delay_alu instid0(VALU_DEP_1) | instskip(NEXT) | instid1(VALU_DEP_1)
	v_add_f32_e32 v1, v1, v144
	v_add_f32_e32 v1, v1, v145
	s_delay_alu instid0(VALU_DEP_1) | instskip(SKIP_1) | instid1(VALU_DEP_2)
	v_add_f32_e32 v1, v1, v13
	v_add_f32_e32 v13, v5, v155
	v_add_f32_e32 v1, v1, v14
	s_delay_alu instid0(VALU_DEP_2) | instskip(NEXT) | instid1(VALU_DEP_1)
	v_add_f32_e32 v13, v13, v157
	v_add_f32_e32 v13, v13, v159
	s_delay_alu instid0(VALU_DEP_1) | instskip(NEXT) | instid1(VALU_DEP_1)
	v_add_f32_e32 v18, v13, v161
	v_dual_add_f32 v18, v18, v163 :: v_dual_add_f32 v1, v1, v16
	s_delay_alu instid0(VALU_DEP_1) | instskip(NEXT) | instid1(VALU_DEP_2)
	v_add_f32_e32 v18, v18, v165
	v_add_f32_e32 v1, v1, v17
	s_delay_alu instid0(VALU_DEP_1) | instskip(NEXT) | instid1(VALU_DEP_1)
	v_add_f32_e32 v1, v1, v148
	v_add_f32_e32 v1, v1, v149
	s_delay_alu instid0(VALU_DEP_1) | instskip(NEXT) | instid1(VALU_DEP_1)
	v_add_f32_e32 v1, v1, v153
	v_add_f32_e32 v1, v1, v154
	s_delay_alu instid0(VALU_DEP_1)
	v_add_f32_e32 v6, v1, v156
	ds_load_2addr_b64 v[1:4], v21 offset0:101 offset1:102
	v_add_f32_e32 v22, v18, v167
	v_add_f32_e32 v14, v6, v158
	scratch_load_b128 v[5:8], off, off offset:376
	v_add_f32_e32 v22, v22, v169
	v_add_f32_e32 v14, v14, v160
	s_delay_alu instid0(VALU_DEP_1)
	v_add_f32_e32 v17, v14, v162
	ds_load_2addr_b64 v[13:16], v21 offset0:103 offset1:104
	s_wait_loadcnt_dscnt 0x101
	v_mul_f32_e32 v138, v1, v10
	v_dual_mul_f32 v10, v2, v10 :: v_dual_mul_f32 v139, v3, v12
	v_mul_f32_e32 v12, v4, v12
	v_add_f32_e32 v22, v22, v171
	s_delay_alu instid0(VALU_DEP_4) | instskip(NEXT) | instid1(VALU_DEP_4)
	v_fmac_f32_e32 v138, v2, v9
	v_fma_f32 v140, v1, v9, -v10
	v_fmac_f32_e32 v139, v4, v11
	v_fma_f32 v141, v3, v11, -v12
	s_clause 0x1
	scratch_load_b128 v[1:4], off, off offset:392
	scratch_load_b128 v[9:12], off, off offset:408
	v_add_f32_e32 v17, v17, v164
	s_delay_alu instid0(VALU_DEP_1) | instskip(NEXT) | instid1(VALU_DEP_1)
	v_add_f32_e32 v17, v17, v166
	v_add_f32_e32 v17, v17, v168
	s_delay_alu instid0(VALU_DEP_1)
	v_add_f32_e32 v23, v17, v170
	scratch_load_b128 v[17:20], off, off offset:424
	s_wait_loadcnt_dscnt 0x300
	v_mul_f32_e32 v142, v13, v6
	v_dual_mul_f32 v6, v14, v6 :: v_dual_mul_f32 v143, v15, v8
	v_mul_f32_e32 v8, v16, v8
	s_delay_alu instid0(VALU_DEP_3) | instskip(NEXT) | instid1(VALU_DEP_3)
	v_dual_fmac_f32 v142, v14, v5 :: v_dual_add_f32 v23, v23, v172
	v_fma_f32 v144, v13, v5, -v6
	s_delay_alu instid0(VALU_DEP_4) | instskip(NEXT) | instid1(VALU_DEP_4)
	v_fmac_f32_e32 v143, v16, v7
	v_fma_f32 v145, v15, v7, -v8
	ds_load_2addr_b64 v[5:8], v21 offset0:105 offset1:106
	v_add_f32_e32 v23, v23, v174
	s_delay_alu instid0(VALU_DEP_1) | instskip(NEXT) | instid1(VALU_DEP_1)
	v_dual_add_f32 v13, v22, v173 :: v_dual_add_f32 v22, v23, v176
	v_add_f32_e32 v146, v22, v178
	s_delay_alu instid0(VALU_DEP_1) | instskip(NEXT) | instid1(VALU_DEP_1)
	v_add_f32_e32 v146, v146, v180
	v_add_f32_e32 v146, v146, v182
	s_delay_alu instid0(VALU_DEP_1) | instskip(NEXT) | instid1(VALU_DEP_1)
	v_add_f32_e32 v140, v146, v140
	v_add_f32_e32 v140, v140, v141
	s_delay_alu instid0(VALU_DEP_1)
	v_dual_add_f32 v140, v140, v144 :: v_dual_add_f32 v23, v13, v175
	ds_load_2addr_b64 v[13:16], v21 offset0:107 offset1:108
	s_wait_loadcnt_dscnt 0x201
	v_mul_f32_e32 v148, v5, v2
	v_mul_f32_e32 v146, v7, v4
	;; [unrolled: 1-line block ×4, first 2 shown]
	s_delay_alu instid0(VALU_DEP_4) | instskip(NEXT) | instid1(VALU_DEP_4)
	v_fmac_f32_e32 v148, v6, v1
	v_fmac_f32_e32 v146, v8, v3
	s_delay_alu instid0(VALU_DEP_4) | instskip(NEXT) | instid1(VALU_DEP_4)
	v_fma_f32 v3, v7, v3, -v4
	v_fma_f32 v2, v5, v1, -v2
	v_add_f32_e32 v1, v140, v145
	s_wait_loadcnt_dscnt 0x100
	v_mul_f32_e32 v149, v15, v12
	v_dual_mul_f32 v4, v16, v12 :: v_dual_add_f32 v147, v23, v177
	ds_load_2addr_b64 v[21:24], v21 offset0:109 offset1:110
	v_dual_mul_f32 v6, v14, v10 :: v_dual_fmac_f32 v149, v16, v11
	v_fma_f32 v4, v15, v11, -v4
	v_add_f32_e32 v147, v147, v179
	s_delay_alu instid0(VALU_DEP_1) | instskip(NEXT) | instid1(VALU_DEP_1)
	v_add_f32_e32 v147, v147, v181
	v_add_f32_e32 v138, v147, v138
	s_delay_alu instid0(VALU_DEP_1) | instskip(SKIP_2) | instid1(VALU_DEP_2)
	v_dual_mul_f32 v147, v13, v10 :: v_dual_add_f32 v138, v138, v139
	s_wait_loadcnt_dscnt 0x0
	v_mul_f32_e32 v141, v23, v20
	v_fmac_f32_e32 v147, v14, v9
	s_delay_alu instid0(VALU_DEP_2) | instskip(SKIP_1) | instid1(VALU_DEP_2)
	v_dual_add_f32 v138, v138, v142 :: v_dual_fmac_f32 v141, v24, v19
	v_add_f32_e32 v1, v1, v2
	v_add_f32_e32 v5, v138, v143
	s_delay_alu instid0(VALU_DEP_1) | instskip(SKIP_1) | instid1(VALU_DEP_2)
	v_add_f32_e32 v2, v5, v148
	v_fma_f32 v5, v13, v9, -v6
	v_add_f32_e32 v2, v2, v146
	s_delay_alu instid0(VALU_DEP_1) | instskip(NEXT) | instid1(VALU_DEP_1)
	v_dual_mul_f32 v139, v21, v18 :: v_dual_add_f32 v2, v2, v147
	v_fmac_f32_e32 v139, v22, v17
	s_delay_alu instid0(VALU_DEP_2) | instskip(NEXT) | instid1(VALU_DEP_1)
	v_add_f32_e32 v2, v2, v149
	v_add_f32_e32 v2, v2, v139
	s_delay_alu instid0(VALU_DEP_1) | instskip(SKIP_1) | instid1(VALU_DEP_2)
	v_dual_add_f32 v2, v2, v141 :: v_dual_add_f32 v1, v1, v3
	v_mul_f32_e32 v3, v22, v18
	v_dual_sub_f32 v2, v136, v2 :: v_dual_add_f32 v1, v1, v5
	v_mul_f32_e32 v5, v24, v20
	s_delay_alu instid0(VALU_DEP_3) | instskip(NEXT) | instid1(VALU_DEP_3)
	v_fma_f32 v3, v21, v17, -v3
	v_add_f32_e32 v1, v1, v4
	s_delay_alu instid0(VALU_DEP_3) | instskip(NEXT) | instid1(VALU_DEP_2)
	v_fma_f32 v4, v23, v19, -v5
	v_add_f32_e32 v1, v1, v3
	s_delay_alu instid0(VALU_DEP_1) | instskip(NEXT) | instid1(VALU_DEP_1)
	v_add_f32_e32 v1, v1, v4
	v_sub_f32_e32 v1, v135, v1
	scratch_store_b64 off, v[1:2], off offset:128
	v_cmpx_lt_u32_e32 15, v0
	s_cbranch_execz .LBB118_313
; %bb.312:
	scratch_load_b64 v[1:2], off, off offset:120
	v_mov_b32_e32 v3, 0
	s_delay_alu instid0(VALU_DEP_1)
	v_mov_b32_e32 v4, v3
	scratch_store_b64 off, v[3:4], off offset:120
	s_wait_loadcnt 0x0
	ds_store_b64 v137, v[1:2]
.LBB118_313:
	s_wait_alu 0xfffe
	s_or_b32 exec_lo, exec_lo, s0
	s_wait_storecnt_dscnt 0x0
	s_barrier_signal -1
	s_barrier_wait -1
	global_inv scope:SCOPE_SE
	s_clause 0x4
	scratch_load_b128 v[5:8], off, off offset:128
	scratch_load_b128 v[1:4], off, off offset:144
	;; [unrolled: 1-line block ×5, first 2 shown]
	v_mov_b32_e32 v21, 0
	ds_load_b128 v[138:141], v21 offset:576
	ds_load_b128 v[142:145], v21 offset:592
	ds_load_b128 v[146:149], v21 offset:608
	scratch_load_b64 v[22:23], off, off offset:120
	s_mov_b32 s0, exec_lo
	s_wait_loadcnt_dscnt 0x502
	v_mul_f32_e32 v24, v139, v6
	v_dual_mul_f32 v135, v138, v6 :: v_dual_mul_f32 v136, v140, v8
	v_mul_f32_e32 v6, v141, v8
	s_delay_alu instid0(VALU_DEP_3) | instskip(NEXT) | instid1(VALU_DEP_3)
	v_fma_f32 v24, v138, v5, -v24
	v_dual_fmac_f32 v135, v139, v5 :: v_dual_fmac_f32 v136, v141, v7
	s_wait_loadcnt_dscnt 0x401
	v_mul_f32_e32 v139, v142, v2
	v_fma_f32 v138, v140, v7, -v6
	ds_load_b128 v[5:8], v21 offset:624
	s_wait_loadcnt_dscnt 0x301
	v_dual_mul_f32 v140, v144, v4 :: v_dual_mul_f32 v141, v146, v10
	v_dual_mul_f32 v4, v145, v4 :: v_dual_fmac_f32 v139, v143, v1
	v_mul_f32_e32 v10, v147, v10
	s_delay_alu instid0(VALU_DEP_3)
	v_dual_mul_f32 v150, v148, v12 :: v_dual_fmac_f32 v141, v147, v9
	v_mul_f32_e32 v12, v149, v12
	v_mul_f32_e32 v2, v143, v2
	v_fmac_f32_e32 v140, v145, v3
	v_fma_f32 v143, v144, v3, -v4
	v_fma_f32 v144, v146, v9, -v10
	v_fmac_f32_e32 v150, v149, v11
	v_fma_f32 v145, v148, v11, -v12
	ds_load_b128 v[9:12], v21 offset:640
	s_wait_loadcnt_dscnt 0x201
	v_dual_mul_f32 v147, v7, v16 :: v_dual_mul_f32 v146, v5, v14
	v_mul_f32_e32 v14, v6, v14
	v_mul_f32_e32 v16, v8, v16
	s_delay_alu instid0(VALU_DEP_3)
	v_fmac_f32_e32 v147, v8, v15
	v_fma_f32 v142, v142, v1, -v2
	scratch_load_b128 v[1:4], off, off offset:208
	v_fmac_f32_e32 v146, v6, v13
	v_fma_f32 v13, v5, v13, -v14
	v_fma_f32 v14, v7, v15, -v16
	ds_load_b128 v[5:8], v21 offset:656
	s_wait_loadcnt_dscnt 0x201
	v_mul_f32_e32 v15, v9, v18
	v_mul_f32_e32 v16, v10, v18
	;; [unrolled: 1-line block ×3, first 2 shown]
	s_delay_alu instid0(VALU_DEP_3) | instskip(NEXT) | instid1(VALU_DEP_3)
	v_dual_mul_f32 v20, v12, v20 :: v_dual_fmac_f32 v15, v10, v17
	v_fma_f32 v16, v9, v17, -v16
	s_delay_alu instid0(VALU_DEP_3) | instskip(NEXT) | instid1(VALU_DEP_3)
	v_fmac_f32_e32 v18, v12, v19
	v_fma_f32 v17, v11, v19, -v20
	scratch_load_b128 v[9:12], off, off offset:224
	s_wait_loadcnt_dscnt 0x100
	v_mul_f32_e32 v19, v5, v2
	v_mul_f32_e32 v2, v6, v2
	;; [unrolled: 1-line block ×3, first 2 shown]
	s_delay_alu instid0(VALU_DEP_3) | instskip(NEXT) | instid1(VALU_DEP_3)
	v_dual_mul_f32 v4, v8, v4 :: v_dual_fmac_f32 v19, v6, v1
	v_fma_f32 v148, v5, v1, -v2
	s_delay_alu instid0(VALU_DEP_3) | instskip(NEXT) | instid1(VALU_DEP_3)
	v_fmac_f32_e32 v20, v8, v3
	v_fma_f32 v149, v7, v3, -v4
	ds_load_b128 v[1:4], v21 offset:672
	ds_load_b128 v[5:8], v21 offset:688
	s_wait_loadcnt_dscnt 0x1
	v_mul_f32_e32 v151, v1, v10
	v_mul_f32_e32 v10, v2, v10
	s_delay_alu instid0(VALU_DEP_2) | instskip(NEXT) | instid1(VALU_DEP_2)
	v_dual_mul_f32 v152, v3, v12 :: v_dual_fmac_f32 v151, v2, v9
	v_fma_f32 v153, v1, v9, -v10
	v_mul_f32_e32 v1, v4, v12
	s_delay_alu instid0(VALU_DEP_3) | instskip(NEXT) | instid1(VALU_DEP_2)
	v_fmac_f32_e32 v152, v4, v11
	v_fma_f32 v154, v3, v11, -v1
	s_clause 0x1
	scratch_load_b128 v[1:4], off, off offset:240
	scratch_load_b128 v[9:12], off, off offset:256
	s_wait_loadcnt_dscnt 0x100
	v_mul_f32_e32 v155, v5, v2
	v_dual_mul_f32 v2, v6, v2 :: v_dual_mul_f32 v157, v7, v4
	s_delay_alu instid0(VALU_DEP_2) | instskip(NEXT) | instid1(VALU_DEP_2)
	v_fmac_f32_e32 v155, v6, v1
	v_fma_f32 v156, v5, v1, -v2
	v_mul_f32_e32 v1, v8, v4
	s_delay_alu instid0(VALU_DEP_4) | instskip(NEXT) | instid1(VALU_DEP_2)
	v_fmac_f32_e32 v157, v8, v3
	v_fma_f32 v158, v7, v3, -v1
	ds_load_b128 v[1:4], v21 offset:704
	ds_load_b128 v[5:8], v21 offset:720
	s_wait_loadcnt_dscnt 0x1
	v_mul_f32_e32 v159, v1, v10
	v_mul_f32_e32 v161, v3, v12
	s_delay_alu instid0(VALU_DEP_2) | instskip(NEXT) | instid1(VALU_DEP_2)
	v_fmac_f32_e32 v159, v2, v9
	v_dual_mul_f32 v2, v2, v10 :: v_dual_fmac_f32 v161, v4, v11
	s_delay_alu instid0(VALU_DEP_1) | instskip(SKIP_1) | instid1(VALU_DEP_1)
	v_fma_f32 v160, v1, v9, -v2
	v_mul_f32_e32 v1, v4, v12
	v_fma_f32 v162, v3, v11, -v1
	s_clause 0x1
	scratch_load_b128 v[1:4], off, off offset:272
	scratch_load_b128 v[9:12], off, off offset:288
	s_wait_loadcnt_dscnt 0x100
	v_mul_f32_e32 v163, v5, v2
	v_dual_mul_f32 v165, v7, v4 :: v_dual_mul_f32 v2, v6, v2
	s_delay_alu instid0(VALU_DEP_2) | instskip(NEXT) | instid1(VALU_DEP_2)
	v_fmac_f32_e32 v163, v6, v1
	v_fmac_f32_e32 v165, v8, v3
	s_delay_alu instid0(VALU_DEP_3) | instskip(SKIP_1) | instid1(VALU_DEP_1)
	v_fma_f32 v164, v5, v1, -v2
	v_mul_f32_e32 v1, v8, v4
	v_fma_f32 v166, v7, v3, -v1
	ds_load_b128 v[1:4], v21 offset:736
	ds_load_b128 v[5:8], v21 offset:752
	s_wait_loadcnt_dscnt 0x1
	v_mul_f32_e32 v167, v1, v10
	v_mul_f32_e32 v169, v3, v12
	s_delay_alu instid0(VALU_DEP_2) | instskip(NEXT) | instid1(VALU_DEP_2)
	v_fmac_f32_e32 v167, v2, v9
	v_dual_mul_f32 v2, v2, v10 :: v_dual_fmac_f32 v169, v4, v11
	s_delay_alu instid0(VALU_DEP_1) | instskip(SKIP_1) | instid1(VALU_DEP_1)
	v_fma_f32 v168, v1, v9, -v2
	v_mul_f32_e32 v1, v4, v12
	v_fma_f32 v170, v3, v11, -v1
	s_clause 0x1
	scratch_load_b128 v[1:4], off, off offset:304
	scratch_load_b128 v[9:12], off, off offset:320
	s_wait_loadcnt_dscnt 0x100
	v_mul_f32_e32 v171, v5, v2
	v_dual_mul_f32 v2, v6, v2 :: v_dual_mul_f32 v173, v7, v4
	s_delay_alu instid0(VALU_DEP_2) | instskip(NEXT) | instid1(VALU_DEP_2)
	v_fmac_f32_e32 v171, v6, v1
	v_fma_f32 v172, v5, v1, -v2
	v_mul_f32_e32 v1, v8, v4
	s_delay_alu instid0(VALU_DEP_4) | instskip(NEXT) | instid1(VALU_DEP_2)
	v_fmac_f32_e32 v173, v8, v3
	v_fma_f32 v174, v7, v3, -v1
	ds_load_b128 v[1:4], v21 offset:768
	ds_load_b128 v[5:8], v21 offset:784
	s_wait_loadcnt_dscnt 0x1
	v_mul_f32_e32 v175, v1, v10
	v_mul_f32_e32 v177, v3, v12
	s_delay_alu instid0(VALU_DEP_2) | instskip(NEXT) | instid1(VALU_DEP_2)
	v_fmac_f32_e32 v175, v2, v9
	v_dual_mul_f32 v2, v2, v10 :: v_dual_fmac_f32 v177, v4, v11
	s_delay_alu instid0(VALU_DEP_1) | instskip(SKIP_1) | instid1(VALU_DEP_1)
	v_fma_f32 v176, v1, v9, -v2
	v_mul_f32_e32 v1, v4, v12
	v_fma_f32 v178, v3, v11, -v1
	s_clause 0x1
	scratch_load_b128 v[1:4], off, off offset:336
	scratch_load_b128 v[9:12], off, off offset:352
	s_wait_loadcnt_dscnt 0x100
	v_mul_f32_e32 v179, v5, v2
	v_mul_f32_e32 v2, v6, v2
	s_delay_alu instid0(VALU_DEP_1) | instskip(SKIP_1) | instid1(VALU_DEP_1)
	v_fma_f32 v180, v5, v1, -v2
	v_add_f32_e32 v2, 0, v135
	v_add_f32_e32 v2, v2, v136
	s_delay_alu instid0(VALU_DEP_1) | instskip(NEXT) | instid1(VALU_DEP_1)
	v_add_f32_e32 v2, v2, v139
	v_add_f32_e32 v2, v2, v140
	s_delay_alu instid0(VALU_DEP_1) | instskip(NEXT) | instid1(VALU_DEP_1)
	v_add_f32_e32 v2, v2, v141
	v_add_f32_e32 v2, v2, v150
	s_delay_alu instid0(VALU_DEP_1) | instskip(NEXT) | instid1(VALU_DEP_1)
	v_add_f32_e32 v2, v2, v146
	v_add_f32_e32 v2, v2, v147
	s_delay_alu instid0(VALU_DEP_1) | instskip(NEXT) | instid1(VALU_DEP_1)
	v_dual_add_f32 v2, v2, v15 :: v_dual_mul_f32 v181, v7, v4
	v_add_f32_e32 v2, v2, v18
	s_delay_alu instid0(VALU_DEP_1) | instskip(SKIP_1) | instid1(VALU_DEP_2)
	v_add_f32_e32 v2, v2, v19
	v_fmac_f32_e32 v179, v6, v1
	v_dual_fmac_f32 v181, v8, v3 :: v_dual_add_f32 v2, v2, v20
	s_delay_alu instid0(VALU_DEP_1) | instskip(NEXT) | instid1(VALU_DEP_1)
	v_dual_mul_f32 v1, v8, v4 :: v_dual_add_f32 v2, v2, v151
	v_fma_f32 v182, v7, v3, -v1
	v_add_f32_e32 v1, 0, v24
	s_delay_alu instid0(VALU_DEP_3) | instskip(NEXT) | instid1(VALU_DEP_2)
	v_add_f32_e32 v5, v2, v152
	v_add_f32_e32 v1, v1, v138
	s_delay_alu instid0(VALU_DEP_1) | instskip(NEXT) | instid1(VALU_DEP_1)
	v_add_f32_e32 v1, v1, v142
	v_add_f32_e32 v1, v1, v143
	s_delay_alu instid0(VALU_DEP_1) | instskip(NEXT) | instid1(VALU_DEP_1)
	v_add_f32_e32 v1, v1, v144
	v_add_f32_e32 v1, v1, v145
	s_delay_alu instid0(VALU_DEP_1) | instskip(SKIP_1) | instid1(VALU_DEP_1)
	v_add_f32_e32 v1, v1, v13
	v_add_f32_e32 v13, v5, v155
	;; [unrolled: 1-line block ×3, first 2 shown]
	s_delay_alu instid0(VALU_DEP_1) | instskip(NEXT) | instid1(VALU_DEP_1)
	v_add_f32_e32 v13, v13, v159
	v_add_f32_e32 v18, v13, v161
	s_delay_alu instid0(VALU_DEP_1) | instskip(NEXT) | instid1(VALU_DEP_1)
	v_dual_add_f32 v18, v18, v163 :: v_dual_add_f32 v1, v1, v14
	v_dual_add_f32 v18, v18, v165 :: v_dual_add_f32 v1, v1, v16
	s_delay_alu instid0(VALU_DEP_1) | instskip(NEXT) | instid1(VALU_DEP_1)
	v_add_f32_e32 v1, v1, v17
	v_add_f32_e32 v1, v1, v148
	s_delay_alu instid0(VALU_DEP_1) | instskip(NEXT) | instid1(VALU_DEP_1)
	v_add_f32_e32 v1, v1, v149
	v_add_f32_e32 v1, v1, v153
	;; [unrolled: 3-line block ×3, first 2 shown]
	scratch_load_b128 v[1:4], off, off offset:368
	v_add_f32_e32 v135, v18, v167
	v_add_f32_e32 v14, v6, v158
	ds_load_b128 v[5:8], v21 offset:800
	v_add_f32_e32 v138, v135, v169
	v_add_f32_e32 v14, v14, v160
	s_delay_alu instid0(VALU_DEP_1)
	v_add_f32_e32 v17, v14, v162
	ds_load_b128 v[13:16], v21 offset:816
	s_wait_loadcnt_dscnt 0x101
	v_mul_f32_e32 v24, v5, v10
	v_mul_f32_e32 v10, v6, v10
	;; [unrolled: 1-line block ×4, first 2 shown]
	v_add_f32_e32 v138, v138, v171
	v_fmac_f32_e32 v24, v6, v9
	v_fma_f32 v145, v5, v9, -v10
	v_fmac_f32_e32 v144, v8, v11
	v_fma_f32 v146, v7, v11, -v12
	scratch_load_b128 v[5:8], off, off offset:384
	v_add_f32_e32 v138, v138, v173
	scratch_load_b128 v[9:12], off, off offset:400
	s_wait_loadcnt_dscnt 0x200
	v_mul_f32_e32 v147, v13, v2
	v_mul_f32_e32 v2, v14, v2
	;; [unrolled: 1-line block ×3, first 2 shown]
	s_delay_alu instid0(VALU_DEP_3) | instskip(NEXT) | instid1(VALU_DEP_3)
	v_dual_mul_f32 v4, v16, v4 :: v_dual_fmac_f32 v147, v14, v1
	v_fma_f32 v149, v13, v1, -v2
	v_add_f32_e32 v13, v138, v175
	s_delay_alu instid0(VALU_DEP_4) | instskip(NEXT) | instid1(VALU_DEP_4)
	v_fmac_f32_e32 v148, v16, v3
	v_fma_f32 v150, v15, v3, -v4
	ds_load_b128 v[1:4], v21 offset:832
	v_add_f32_e32 v138, v13, v177
	v_add_f32_e32 v17, v17, v164
	s_delay_alu instid0(VALU_DEP_2) | instskip(NEXT) | instid1(VALU_DEP_1)
	v_add_f32_e32 v143, v138, v179
	v_dual_add_f32 v152, v143, v181 :: v_dual_add_f32 v17, v17, v166
	s_delay_alu instid0(VALU_DEP_1) | instskip(NEXT) | instid1(VALU_DEP_1)
	v_add_f32_e32 v24, v152, v24
	v_add_f32_e32 v24, v24, v144
	s_delay_alu instid0(VALU_DEP_1) | instskip(NEXT) | instid1(VALU_DEP_1)
	v_dual_add_f32 v17, v17, v168 :: v_dual_add_f32 v24, v24, v147
	v_add_f32_e32 v136, v17, v170
	scratch_load_b128 v[17:20], off, off offset:416
	v_add_f32_e32 v24, v24, v148
	v_add_f32_e32 v139, v136, v172
	scratch_load_b64 v[135:136], off, off offset:432
	v_add_f32_e32 v139, v139, v174
	s_delay_alu instid0(VALU_DEP_1) | instskip(NEXT) | instid1(VALU_DEP_1)
	v_add_f32_e32 v139, v139, v176
	v_add_f32_e32 v14, v139, v178
	ds_load_b128 v[138:141], v21 offset:864
	v_add_f32_e32 v142, v14, v180
	ds_load_b128 v[13:16], v21 offset:848
	s_wait_loadcnt_dscnt 0x302
	v_mul_f32_e32 v144, v3, v8
	v_mul_f32_e32 v8, v4, v8
	s_delay_alu instid0(VALU_DEP_2) | instskip(SKIP_3) | instid1(VALU_DEP_1)
	v_dual_fmac_f32 v144, v4, v7 :: v_dual_add_f32 v151, v142, v182
	ds_load_b64 v[142:143], v21 offset:880
	s_wait_loadcnt_dscnt 0x0
	v_dual_add_f32 v145, v151, v145 :: v_dual_mul_f32 v148, v142, v136
	v_add_f32_e32 v145, v145, v146
	v_mul_f32_e32 v146, v13, v10
	v_mul_f32_e32 v151, v1, v6
	;; [unrolled: 1-line block ×3, first 2 shown]
	v_fmac_f32_e32 v148, v143, v135
	s_delay_alu instid0(VALU_DEP_4) | instskip(NEXT) | instid1(VALU_DEP_4)
	v_fmac_f32_e32 v146, v14, v9
	v_fmac_f32_e32 v151, v2, v5
	s_delay_alu instid0(VALU_DEP_4) | instskip(SKIP_1) | instid1(VALU_DEP_3)
	v_fma_f32 v1, v1, v5, -v6
	v_fma_f32 v2, v3, v7, -v8
	v_dual_mul_f32 v3, v14, v10 :: v_dual_add_f32 v4, v24, v151
	v_add_f32_e32 v145, v145, v149
	s_delay_alu instid0(VALU_DEP_2) | instskip(NEXT) | instid1(VALU_DEP_2)
	v_fma_f32 v3, v13, v9, -v3
	v_dual_add_f32 v145, v145, v150 :: v_dual_mul_f32 v150, v140, v20
	s_delay_alu instid0(VALU_DEP_1) | instskip(NEXT) | instid1(VALU_DEP_2)
	v_dual_mul_f32 v149, v138, v18 :: v_dual_fmac_f32 v150, v141, v19
	v_add_f32_e32 v1, v145, v1
	s_delay_alu instid0(VALU_DEP_2) | instskip(NEXT) | instid1(VALU_DEP_2)
	v_fmac_f32_e32 v149, v139, v17
	v_dual_add_f32 v1, v1, v2 :: v_dual_add_f32 v2, v4, v144
	v_mul_f32_e32 v147, v15, v12
	v_mul_f32_e32 v4, v139, v18
	s_delay_alu instid0(VALU_DEP_2) | instskip(NEXT) | instid1(VALU_DEP_2)
	v_dual_add_f32 v2, v2, v146 :: v_dual_fmac_f32 v147, v16, v11
	v_fma_f32 v4, v138, v17, -v4
	s_delay_alu instid0(VALU_DEP_2) | instskip(NEXT) | instid1(VALU_DEP_1)
	v_dual_add_f32 v2, v2, v147 :: v_dual_mul_f32 v5, v16, v12
	v_add_f32_e32 v2, v2, v149
	s_delay_alu instid0(VALU_DEP_2) | instskip(NEXT) | instid1(VALU_DEP_2)
	v_fma_f32 v5, v15, v11, -v5
	v_add_f32_e32 v2, v2, v150
	s_delay_alu instid0(VALU_DEP_1) | instskip(NEXT) | instid1(VALU_DEP_1)
	v_dual_add_f32 v2, v2, v148 :: v_dual_add_f32 v1, v1, v3
	v_dual_mul_f32 v3, v141, v20 :: v_dual_sub_f32 v2, v23, v2
	s_delay_alu instid0(VALU_DEP_2) | instskip(SKIP_1) | instid1(VALU_DEP_3)
	v_add_f32_e32 v1, v1, v5
	v_mul_f32_e32 v5, v143, v136
	v_fma_f32 v3, v140, v19, -v3
	s_delay_alu instid0(VALU_DEP_3) | instskip(NEXT) | instid1(VALU_DEP_3)
	v_add_f32_e32 v1, v1, v4
	v_fma_f32 v4, v142, v135, -v5
	s_delay_alu instid0(VALU_DEP_2) | instskip(NEXT) | instid1(VALU_DEP_1)
	v_add_f32_e32 v1, v1, v3
	v_add_f32_e32 v1, v1, v4
	s_delay_alu instid0(VALU_DEP_1)
	v_sub_f32_e32 v1, v22, v1
	scratch_store_b64 off, v[1:2], off offset:120
	v_cmpx_lt_u32_e32 14, v0
	s_cbranch_execz .LBB118_315
; %bb.314:
	scratch_load_b64 v[1:2], off, off offset:112
	v_mov_b32_e32 v22, v21
	scratch_store_b64 off, v[21:22], off offset:112
	s_wait_loadcnt 0x0
	ds_store_b64 v137, v[1:2]
.LBB118_315:
	s_wait_alu 0xfffe
	s_or_b32 exec_lo, exec_lo, s0
	s_wait_storecnt_dscnt 0x0
	s_barrier_signal -1
	s_barrier_wait -1
	global_inv scope:SCOPE_SE
	s_clause 0x4
	scratch_load_b128 v[5:8], off, off offset:120
	scratch_load_b128 v[1:4], off, off offset:136
	;; [unrolled: 1-line block ×5, first 2 shown]
	ds_load_2addr_b64 v[138:141], v21 offset0:71 offset1:72
	ds_load_2addr_b64 v[142:145], v21 offset0:73 offset1:74
	;; [unrolled: 1-line block ×3, first 2 shown]
	scratch_load_b64 v[135:136], off, off offset:112
	s_mov_b32 s0, exec_lo
	s_wait_loadcnt_dscnt 0x502
	v_mul_f32_e32 v22, v139, v6
	v_dual_mul_f32 v23, v138, v6 :: v_dual_mul_f32 v24, v140, v8
	v_mul_f32_e32 v6, v141, v8
	s_delay_alu instid0(VALU_DEP_3) | instskip(NEXT) | instid1(VALU_DEP_3)
	v_fma_f32 v22, v138, v5, -v22
	v_dual_fmac_f32 v23, v139, v5 :: v_dual_fmac_f32 v24, v141, v7
	s_wait_loadcnt_dscnt 0x401
	v_mul_f32_e32 v139, v142, v2
	v_fma_f32 v138, v140, v7, -v6
	ds_load_2addr_b64 v[5:8], v21 offset0:77 offset1:78
	s_wait_loadcnt_dscnt 0x301
	v_dual_mul_f32 v140, v144, v4 :: v_dual_mul_f32 v141, v146, v10
	v_dual_mul_f32 v4, v145, v4 :: v_dual_fmac_f32 v139, v143, v1
	v_mul_f32_e32 v10, v147, v10
	s_delay_alu instid0(VALU_DEP_3)
	v_dual_mul_f32 v150, v148, v12 :: v_dual_fmac_f32 v141, v147, v9
	v_mul_f32_e32 v12, v149, v12
	v_mul_f32_e32 v2, v143, v2
	v_fmac_f32_e32 v140, v145, v3
	v_fma_f32 v143, v144, v3, -v4
	v_fma_f32 v144, v146, v9, -v10
	v_fmac_f32_e32 v150, v149, v11
	v_fma_f32 v145, v148, v11, -v12
	ds_load_2addr_b64 v[9:12], v21 offset0:79 offset1:80
	s_wait_loadcnt_dscnt 0x201
	v_mul_f32_e32 v146, v5, v14
	v_dual_mul_f32 v14, v6, v14 :: v_dual_mul_f32 v147, v7, v16
	v_mul_f32_e32 v16, v8, v16
	s_delay_alu instid0(VALU_DEP_3) | instskip(NEXT) | instid1(VALU_DEP_3)
	v_fmac_f32_e32 v146, v6, v13
	v_fma_f32 v13, v5, v13, -v14
	s_delay_alu instid0(VALU_DEP_4) | instskip(NEXT) | instid1(VALU_DEP_4)
	v_fmac_f32_e32 v147, v8, v15
	v_fma_f32 v14, v7, v15, -v16
	ds_load_2addr_b64 v[5:8], v21 offset0:81 offset1:82
	s_wait_loadcnt_dscnt 0x101
	v_mul_f32_e32 v15, v9, v18
	v_mul_f32_e32 v16, v10, v18
	;; [unrolled: 1-line block ×3, first 2 shown]
	s_delay_alu instid0(VALU_DEP_3)
	v_dual_mul_f32 v20, v12, v20 :: v_dual_fmac_f32 v15, v10, v17
	v_fma_f32 v142, v142, v1, -v2
	scratch_load_b128 v[1:4], off, off offset:200
	v_fma_f32 v16, v9, v17, -v16
	v_fmac_f32_e32 v18, v12, v19
	v_fma_f32 v17, v11, v19, -v20
	scratch_load_b128 v[9:12], off, off offset:216
	s_wait_loadcnt_dscnt 0x100
	v_mul_f32_e32 v19, v5, v2
	v_mul_f32_e32 v2, v6, v2
	;; [unrolled: 1-line block ×3, first 2 shown]
	s_delay_alu instid0(VALU_DEP_3) | instskip(NEXT) | instid1(VALU_DEP_3)
	v_dual_mul_f32 v4, v8, v4 :: v_dual_fmac_f32 v19, v6, v1
	v_fma_f32 v148, v5, v1, -v2
	s_delay_alu instid0(VALU_DEP_3) | instskip(NEXT) | instid1(VALU_DEP_3)
	v_fmac_f32_e32 v20, v8, v3
	v_fma_f32 v149, v7, v3, -v4
	ds_load_2addr_b64 v[1:4], v21 offset0:83 offset1:84
	ds_load_2addr_b64 v[5:8], v21 offset0:85 offset1:86
	s_wait_loadcnt_dscnt 0x1
	v_mul_f32_e32 v151, v1, v10
	v_mul_f32_e32 v10, v2, v10
	s_delay_alu instid0(VALU_DEP_2) | instskip(NEXT) | instid1(VALU_DEP_2)
	v_dual_mul_f32 v152, v3, v12 :: v_dual_fmac_f32 v151, v2, v9
	v_fma_f32 v153, v1, v9, -v10
	v_mul_f32_e32 v1, v4, v12
	s_delay_alu instid0(VALU_DEP_3) | instskip(NEXT) | instid1(VALU_DEP_2)
	v_fmac_f32_e32 v152, v4, v11
	v_fma_f32 v154, v3, v11, -v1
	s_clause 0x1
	scratch_load_b128 v[1:4], off, off offset:232
	scratch_load_b128 v[9:12], off, off offset:248
	s_wait_loadcnt_dscnt 0x100
	v_mul_f32_e32 v155, v5, v2
	v_dual_mul_f32 v2, v6, v2 :: v_dual_mul_f32 v157, v7, v4
	s_delay_alu instid0(VALU_DEP_2) | instskip(NEXT) | instid1(VALU_DEP_2)
	v_fmac_f32_e32 v155, v6, v1
	v_fma_f32 v156, v5, v1, -v2
	v_mul_f32_e32 v1, v8, v4
	s_delay_alu instid0(VALU_DEP_4) | instskip(NEXT) | instid1(VALU_DEP_2)
	v_fmac_f32_e32 v157, v8, v3
	v_fma_f32 v158, v7, v3, -v1
	ds_load_2addr_b64 v[1:4], v21 offset0:87 offset1:88
	ds_load_2addr_b64 v[5:8], v21 offset0:89 offset1:90
	s_wait_loadcnt_dscnt 0x1
	v_mul_f32_e32 v159, v1, v10
	v_mul_f32_e32 v161, v3, v12
	s_delay_alu instid0(VALU_DEP_2) | instskip(NEXT) | instid1(VALU_DEP_2)
	v_fmac_f32_e32 v159, v2, v9
	v_dual_mul_f32 v2, v2, v10 :: v_dual_fmac_f32 v161, v4, v11
	s_delay_alu instid0(VALU_DEP_1) | instskip(SKIP_1) | instid1(VALU_DEP_1)
	v_fma_f32 v160, v1, v9, -v2
	v_mul_f32_e32 v1, v4, v12
	v_fma_f32 v162, v3, v11, -v1
	s_clause 0x1
	scratch_load_b128 v[1:4], off, off offset:264
	scratch_load_b128 v[9:12], off, off offset:280
	s_wait_loadcnt_dscnt 0x100
	v_mul_f32_e32 v163, v5, v2
	v_dual_mul_f32 v2, v6, v2 :: v_dual_mul_f32 v165, v7, v4
	s_delay_alu instid0(VALU_DEP_2) | instskip(NEXT) | instid1(VALU_DEP_2)
	v_fmac_f32_e32 v163, v6, v1
	v_fma_f32 v164, v5, v1, -v2
	v_mul_f32_e32 v1, v8, v4
	s_delay_alu instid0(VALU_DEP_4) | instskip(NEXT) | instid1(VALU_DEP_2)
	v_fmac_f32_e32 v165, v8, v3
	v_fma_f32 v166, v7, v3, -v1
	ds_load_2addr_b64 v[1:4], v21 offset0:91 offset1:92
	ds_load_2addr_b64 v[5:8], v21 offset0:93 offset1:94
	s_wait_loadcnt_dscnt 0x1
	v_mul_f32_e32 v167, v1, v10
	v_mul_f32_e32 v169, v3, v12
	s_delay_alu instid0(VALU_DEP_2) | instskip(NEXT) | instid1(VALU_DEP_2)
	v_fmac_f32_e32 v167, v2, v9
	v_dual_mul_f32 v2, v2, v10 :: v_dual_fmac_f32 v169, v4, v11
	s_delay_alu instid0(VALU_DEP_1) | instskip(SKIP_1) | instid1(VALU_DEP_1)
	v_fma_f32 v168, v1, v9, -v2
	v_mul_f32_e32 v1, v4, v12
	;; [unrolled: 25-line block ×4, first 2 shown]
	v_fma_f32 v186, v3, v11, -v1
	s_clause 0x1
	scratch_load_b128 v[1:4], off, off offset:360
	scratch_load_b128 v[9:12], off, off offset:376
	s_wait_loadcnt_dscnt 0x100
	v_mul_f32_e32 v187, v5, v2
	v_mul_f32_e32 v2, v6, v2
	s_delay_alu instid0(VALU_DEP_1) | instskip(SKIP_1) | instid1(VALU_DEP_1)
	v_fma_f32 v188, v5, v1, -v2
	v_add_f32_e32 v2, 0, v23
	v_add_f32_e32 v2, v2, v24
	s_delay_alu instid0(VALU_DEP_1) | instskip(NEXT) | instid1(VALU_DEP_1)
	v_add_f32_e32 v2, v2, v139
	v_add_f32_e32 v2, v2, v140
	s_delay_alu instid0(VALU_DEP_1) | instskip(NEXT) | instid1(VALU_DEP_1)
	;; [unrolled: 3-line block ×6, first 2 shown]
	v_add_f32_e32 v2, v2, v151
	v_add_f32_e32 v2, v2, v152
	v_fmac_f32_e32 v187, v6, v1
	s_delay_alu instid0(VALU_DEP_2) | instskip(NEXT) | instid1(VALU_DEP_1)
	v_dual_add_f32 v2, v2, v155 :: v_dual_mul_f32 v189, v7, v4
	v_add_f32_e32 v2, v2, v157
	s_delay_alu instid0(VALU_DEP_1) | instskip(NEXT) | instid1(VALU_DEP_1)
	v_add_f32_e32 v5, v2, v159
	v_add_f32_e32 v5, v5, v161
	s_delay_alu instid0(VALU_DEP_1) | instskip(SKIP_1) | instid1(VALU_DEP_1)
	v_add_f32_e32 v5, v5, v163
	v_mul_f32_e32 v1, v8, v4
	v_fma_f32 v190, v7, v3, -v1
	v_add_f32_e32 v1, 0, v22
	s_delay_alu instid0(VALU_DEP_1) | instskip(NEXT) | instid1(VALU_DEP_1)
	v_add_f32_e32 v1, v1, v138
	v_add_f32_e32 v1, v1, v142
	s_delay_alu instid0(VALU_DEP_1) | instskip(NEXT) | instid1(VALU_DEP_1)
	v_add_f32_e32 v1, v1, v143
	;; [unrolled: 3-line block ×3, first 2 shown]
	v_add_f32_e32 v1, v1, v13
	s_delay_alu instid0(VALU_DEP_1) | instskip(SKIP_1) | instid1(VALU_DEP_2)
	v_add_f32_e32 v1, v1, v14
	v_add_f32_e32 v14, v5, v165
	;; [unrolled: 1-line block ×3, first 2 shown]
	s_delay_alu instid0(VALU_DEP_1) | instskip(NEXT) | instid1(VALU_DEP_1)
	v_add_f32_e32 v1, v1, v17
	v_add_f32_e32 v1, v1, v148
	s_delay_alu instid0(VALU_DEP_1) | instskip(NEXT) | instid1(VALU_DEP_1)
	v_add_f32_e32 v1, v1, v149
	v_add_f32_e32 v1, v1, v153
	;; [unrolled: 3-line block ×4, first 2 shown]
	s_delay_alu instid0(VALU_DEP_1) | instskip(SKIP_3) | instid1(VALU_DEP_2)
	v_dual_add_f32 v6, v1, v162 :: v_dual_fmac_f32 v189, v8, v3
	ds_load_2addr_b64 v[1:4], v21 offset0:103 offset1:104
	v_add_f32_e32 v14, v14, v167
	v_add_f32_e32 v6, v6, v164
	;; [unrolled: 1-line block ×3, first 2 shown]
	s_delay_alu instid0(VALU_DEP_2)
	v_add_f32_e32 v13, v6, v166
	ds_load_2addr_b64 v[5:8], v21 offset0:105 offset1:106
	s_wait_loadcnt_dscnt 0x1
	v_dual_mul_f32 v138, v1, v10 :: v_dual_mul_f32 v139, v3, v12
	v_mul_f32_e32 v10, v2, v10
	v_dual_mul_f32 v12, v4, v12 :: v_dual_add_f32 v17, v14, v171
	s_delay_alu instid0(VALU_DEP_3) | instskip(NEXT) | instid1(VALU_DEP_3)
	v_dual_fmac_f32 v138, v2, v9 :: v_dual_fmac_f32 v139, v4, v11
	v_fma_f32 v140, v1, v9, -v10
	s_delay_alu instid0(VALU_DEP_3) | instskip(SKIP_4) | instid1(VALU_DEP_1)
	v_fma_f32 v141, v3, v11, -v12
	s_clause 0x1
	scratch_load_b128 v[1:4], off, off offset:392
	scratch_load_b128 v[9:12], off, off offset:408
	v_add_f32_e32 v13, v13, v168
	v_add_f32_e32 v13, v13, v170
	s_delay_alu instid0(VALU_DEP_1) | instskip(NEXT) | instid1(VALU_DEP_1)
	v_add_f32_e32 v13, v13, v172
	v_add_f32_e32 v18, v13, v174
	scratch_load_b128 v[13:16], off, off offset:424
	v_dual_add_f32 v17, v17, v173 :: v_dual_add_f32 v18, v18, v176
	s_delay_alu instid0(VALU_DEP_1) | instskip(NEXT) | instid1(VALU_DEP_1)
	v_dual_add_f32 v17, v17, v175 :: v_dual_add_f32 v18, v18, v178
	v_dual_add_f32 v17, v17, v177 :: v_dual_add_f32 v22, v18, v180
	s_delay_alu instid0(VALU_DEP_1) | instskip(SKIP_4) | instid1(VALU_DEP_1)
	v_add_f32_e32 v23, v17, v179
	ds_load_2addr_b64 v[17:20], v21 offset0:107 offset1:108
	v_dual_add_f32 v142, v22, v182 :: v_dual_add_f32 v143, v23, v181
	ds_load_2addr_b64 v[21:24], v21 offset0:109 offset1:110
	v_add_f32_e32 v142, v142, v184
	v_add_f32_e32 v142, v142, v186
	s_delay_alu instid0(VALU_DEP_1) | instskip(NEXT) | instid1(VALU_DEP_1)
	v_add_f32_e32 v142, v142, v188
	v_add_f32_e32 v142, v142, v190
	s_delay_alu instid0(VALU_DEP_1)
	v_add_f32_e32 v140, v142, v140
	s_wait_loadcnt_dscnt 0x202
	v_dual_mul_f32 v144, v5, v2 :: v_dual_add_f32 v143, v143, v183
	s_wait_loadcnt_dscnt 0x101
	v_mul_f32_e32 v146, v17, v10
	v_dual_mul_f32 v2, v6, v2 :: v_dual_mul_f32 v145, v7, v4
	s_delay_alu instid0(VALU_DEP_3) | instskip(SKIP_1) | instid1(VALU_DEP_3)
	v_dual_mul_f32 v4, v8, v4 :: v_dual_add_f32 v143, v143, v185
	v_fmac_f32_e32 v144, v6, v1
	v_fma_f32 v2, v5, v1, -v2
	v_dual_add_f32 v1, v140, v141 :: v_dual_mul_f32 v6, v18, v10
	s_delay_alu instid0(VALU_DEP_4) | instskip(SKIP_2) | instid1(VALU_DEP_4)
	v_add_f32_e32 v143, v143, v187
	v_fmac_f32_e32 v145, v8, v3
	v_fma_f32 v3, v7, v3, -v4
	v_add_f32_e32 v1, v1, v2
	v_mul_f32_e32 v147, v19, v12
	v_dual_add_f32 v143, v143, v189 :: v_dual_mul_f32 v4, v20, v12
	s_delay_alu instid0(VALU_DEP_3) | instskip(SKIP_2) | instid1(VALU_DEP_3)
	v_dual_fmac_f32 v146, v18, v9 :: v_dual_add_f32 v1, v1, v3
	s_wait_loadcnt_dscnt 0x0
	v_mul_f32_e32 v148, v21, v14
	v_add_f32_e32 v138, v143, v138
	v_mul_f32_e32 v3, v22, v14
	v_fmac_f32_e32 v147, v20, v11
	v_fma_f32 v4, v19, v11, -v4
	s_delay_alu instid0(VALU_DEP_4) | instskip(SKIP_2) | instid1(VALU_DEP_3)
	v_dual_mul_f32 v142, v23, v16 :: v_dual_add_f32 v5, v138, v139
	v_fmac_f32_e32 v148, v22, v13
	v_fma_f32 v3, v21, v13, -v3
	v_fmac_f32_e32 v142, v24, v15
	s_delay_alu instid0(VALU_DEP_4) | instskip(SKIP_1) | instid1(VALU_DEP_2)
	v_add_f32_e32 v2, v5, v144
	v_fma_f32 v5, v17, v9, -v6
	v_add_f32_e32 v2, v2, v145
	s_delay_alu instid0(VALU_DEP_2) | instskip(NEXT) | instid1(VALU_DEP_2)
	v_add_f32_e32 v1, v1, v5
	v_dual_mul_f32 v5, v24, v16 :: v_dual_add_f32 v2, v2, v146
	s_delay_alu instid0(VALU_DEP_2) | instskip(NEXT) | instid1(VALU_DEP_2)
	v_add_f32_e32 v1, v1, v4
	v_fma_f32 v4, v23, v15, -v5
	s_delay_alu instid0(VALU_DEP_3) | instskip(NEXT) | instid1(VALU_DEP_1)
	v_add_f32_e32 v2, v2, v147
	v_dual_add_f32 v1, v1, v3 :: v_dual_add_f32 v2, v2, v148
	s_delay_alu instid0(VALU_DEP_1) | instskip(NEXT) | instid1(VALU_DEP_1)
	v_dual_add_f32 v1, v1, v4 :: v_dual_add_f32 v2, v2, v142
	v_dual_sub_f32 v1, v135, v1 :: v_dual_sub_f32 v2, v136, v2
	scratch_store_b64 off, v[1:2], off offset:112
	v_cmpx_lt_u32_e32 13, v0
	s_cbranch_execz .LBB118_317
; %bb.316:
	scratch_load_b64 v[1:2], off, off offset:104
	v_mov_b32_e32 v3, 0
	s_delay_alu instid0(VALU_DEP_1)
	v_mov_b32_e32 v4, v3
	scratch_store_b64 off, v[3:4], off offset:104
	s_wait_loadcnt 0x0
	ds_store_b64 v137, v[1:2]
.LBB118_317:
	s_wait_alu 0xfffe
	s_or_b32 exec_lo, exec_lo, s0
	s_wait_storecnt_dscnt 0x0
	s_barrier_signal -1
	s_barrier_wait -1
	global_inv scope:SCOPE_SE
	s_clause 0x4
	scratch_load_b128 v[5:8], off, off offset:112
	scratch_load_b128 v[1:4], off, off offset:128
	;; [unrolled: 1-line block ×5, first 2 shown]
	v_mov_b32_e32 v21, 0
	ds_load_b128 v[138:141], v21 offset:560
	ds_load_b128 v[142:145], v21 offset:576
	;; [unrolled: 1-line block ×3, first 2 shown]
	scratch_load_b64 v[22:23], off, off offset:104
	s_mov_b32 s0, exec_lo
	s_wait_loadcnt_dscnt 0x502
	v_mul_f32_e32 v24, v139, v6
	v_dual_mul_f32 v135, v138, v6 :: v_dual_mul_f32 v136, v140, v8
	v_mul_f32_e32 v6, v141, v8
	s_delay_alu instid0(VALU_DEP_3) | instskip(NEXT) | instid1(VALU_DEP_3)
	v_fma_f32 v24, v138, v5, -v24
	v_dual_fmac_f32 v135, v139, v5 :: v_dual_fmac_f32 v136, v141, v7
	s_wait_loadcnt_dscnt 0x401
	v_mul_f32_e32 v139, v142, v2
	v_fma_f32 v138, v140, v7, -v6
	ds_load_b128 v[5:8], v21 offset:608
	s_wait_loadcnt_dscnt 0x301
	v_dual_mul_f32 v140, v144, v4 :: v_dual_mul_f32 v141, v146, v10
	v_dual_mul_f32 v4, v145, v4 :: v_dual_fmac_f32 v139, v143, v1
	v_mul_f32_e32 v10, v147, v10
	s_delay_alu instid0(VALU_DEP_3)
	v_dual_mul_f32 v150, v148, v12 :: v_dual_fmac_f32 v141, v147, v9
	v_mul_f32_e32 v12, v149, v12
	v_mul_f32_e32 v2, v143, v2
	v_fmac_f32_e32 v140, v145, v3
	v_fma_f32 v143, v144, v3, -v4
	v_fma_f32 v144, v146, v9, -v10
	v_fmac_f32_e32 v150, v149, v11
	v_fma_f32 v145, v148, v11, -v12
	ds_load_b128 v[9:12], v21 offset:624
	s_wait_loadcnt_dscnt 0x201
	v_dual_mul_f32 v147, v7, v16 :: v_dual_mul_f32 v146, v5, v14
	v_mul_f32_e32 v14, v6, v14
	v_mul_f32_e32 v16, v8, v16
	s_delay_alu instid0(VALU_DEP_3)
	v_fmac_f32_e32 v147, v8, v15
	v_fma_f32 v142, v142, v1, -v2
	scratch_load_b128 v[1:4], off, off offset:192
	v_fmac_f32_e32 v146, v6, v13
	v_fma_f32 v13, v5, v13, -v14
	v_fma_f32 v14, v7, v15, -v16
	ds_load_b128 v[5:8], v21 offset:640
	s_wait_loadcnt_dscnt 0x201
	v_mul_f32_e32 v15, v9, v18
	v_mul_f32_e32 v16, v10, v18
	;; [unrolled: 1-line block ×3, first 2 shown]
	s_delay_alu instid0(VALU_DEP_3) | instskip(NEXT) | instid1(VALU_DEP_3)
	v_dual_mul_f32 v20, v12, v20 :: v_dual_fmac_f32 v15, v10, v17
	v_fma_f32 v16, v9, v17, -v16
	s_delay_alu instid0(VALU_DEP_3) | instskip(NEXT) | instid1(VALU_DEP_3)
	v_fmac_f32_e32 v18, v12, v19
	v_fma_f32 v17, v11, v19, -v20
	scratch_load_b128 v[9:12], off, off offset:208
	s_wait_loadcnt_dscnt 0x100
	v_mul_f32_e32 v19, v5, v2
	v_mul_f32_e32 v2, v6, v2
	;; [unrolled: 1-line block ×3, first 2 shown]
	s_delay_alu instid0(VALU_DEP_3) | instskip(NEXT) | instid1(VALU_DEP_3)
	v_dual_mul_f32 v4, v8, v4 :: v_dual_fmac_f32 v19, v6, v1
	v_fma_f32 v148, v5, v1, -v2
	s_delay_alu instid0(VALU_DEP_3) | instskip(NEXT) | instid1(VALU_DEP_3)
	v_fmac_f32_e32 v20, v8, v3
	v_fma_f32 v149, v7, v3, -v4
	ds_load_b128 v[1:4], v21 offset:656
	ds_load_b128 v[5:8], v21 offset:672
	s_wait_loadcnt_dscnt 0x1
	v_mul_f32_e32 v151, v1, v10
	v_mul_f32_e32 v10, v2, v10
	s_delay_alu instid0(VALU_DEP_2) | instskip(NEXT) | instid1(VALU_DEP_2)
	v_dual_mul_f32 v152, v3, v12 :: v_dual_fmac_f32 v151, v2, v9
	v_fma_f32 v153, v1, v9, -v10
	v_mul_f32_e32 v1, v4, v12
	s_delay_alu instid0(VALU_DEP_3) | instskip(NEXT) | instid1(VALU_DEP_2)
	v_fmac_f32_e32 v152, v4, v11
	v_fma_f32 v154, v3, v11, -v1
	s_clause 0x1
	scratch_load_b128 v[1:4], off, off offset:224
	scratch_load_b128 v[9:12], off, off offset:240
	s_wait_loadcnt_dscnt 0x100
	v_mul_f32_e32 v155, v5, v2
	v_dual_mul_f32 v2, v6, v2 :: v_dual_mul_f32 v157, v7, v4
	s_delay_alu instid0(VALU_DEP_2) | instskip(NEXT) | instid1(VALU_DEP_2)
	v_fmac_f32_e32 v155, v6, v1
	v_fma_f32 v156, v5, v1, -v2
	v_mul_f32_e32 v1, v8, v4
	s_delay_alu instid0(VALU_DEP_4) | instskip(NEXT) | instid1(VALU_DEP_2)
	v_fmac_f32_e32 v157, v8, v3
	v_fma_f32 v158, v7, v3, -v1
	ds_load_b128 v[1:4], v21 offset:688
	ds_load_b128 v[5:8], v21 offset:704
	s_wait_loadcnt_dscnt 0x1
	v_mul_f32_e32 v159, v1, v10
	v_mul_f32_e32 v161, v3, v12
	s_delay_alu instid0(VALU_DEP_2) | instskip(NEXT) | instid1(VALU_DEP_2)
	v_fmac_f32_e32 v159, v2, v9
	v_dual_mul_f32 v2, v2, v10 :: v_dual_fmac_f32 v161, v4, v11
	s_delay_alu instid0(VALU_DEP_1) | instskip(SKIP_1) | instid1(VALU_DEP_1)
	v_fma_f32 v160, v1, v9, -v2
	v_mul_f32_e32 v1, v4, v12
	v_fma_f32 v162, v3, v11, -v1
	s_clause 0x1
	scratch_load_b128 v[1:4], off, off offset:256
	scratch_load_b128 v[9:12], off, off offset:272
	s_wait_loadcnt_dscnt 0x100
	v_mul_f32_e32 v163, v5, v2
	v_dual_mul_f32 v165, v7, v4 :: v_dual_mul_f32 v2, v6, v2
	s_delay_alu instid0(VALU_DEP_2) | instskip(NEXT) | instid1(VALU_DEP_2)
	v_fmac_f32_e32 v163, v6, v1
	v_fmac_f32_e32 v165, v8, v3
	s_delay_alu instid0(VALU_DEP_3) | instskip(SKIP_1) | instid1(VALU_DEP_1)
	v_fma_f32 v164, v5, v1, -v2
	v_mul_f32_e32 v1, v8, v4
	v_fma_f32 v166, v7, v3, -v1
	ds_load_b128 v[1:4], v21 offset:720
	ds_load_b128 v[5:8], v21 offset:736
	s_wait_loadcnt_dscnt 0x1
	v_mul_f32_e32 v167, v1, v10
	v_mul_f32_e32 v169, v3, v12
	s_delay_alu instid0(VALU_DEP_2) | instskip(NEXT) | instid1(VALU_DEP_2)
	v_fmac_f32_e32 v167, v2, v9
	v_dual_mul_f32 v2, v2, v10 :: v_dual_fmac_f32 v169, v4, v11
	s_delay_alu instid0(VALU_DEP_1) | instskip(SKIP_1) | instid1(VALU_DEP_1)
	v_fma_f32 v168, v1, v9, -v2
	v_mul_f32_e32 v1, v4, v12
	v_fma_f32 v170, v3, v11, -v1
	s_clause 0x1
	scratch_load_b128 v[1:4], off, off offset:288
	scratch_load_b128 v[9:12], off, off offset:304
	s_wait_loadcnt_dscnt 0x100
	v_mul_f32_e32 v171, v5, v2
	v_dual_mul_f32 v2, v6, v2 :: v_dual_mul_f32 v173, v7, v4
	s_delay_alu instid0(VALU_DEP_2) | instskip(NEXT) | instid1(VALU_DEP_2)
	v_fmac_f32_e32 v171, v6, v1
	v_fma_f32 v172, v5, v1, -v2
	v_mul_f32_e32 v1, v8, v4
	s_delay_alu instid0(VALU_DEP_4) | instskip(NEXT) | instid1(VALU_DEP_2)
	v_fmac_f32_e32 v173, v8, v3
	v_fma_f32 v174, v7, v3, -v1
	ds_load_b128 v[1:4], v21 offset:752
	ds_load_b128 v[5:8], v21 offset:768
	s_wait_loadcnt_dscnt 0x1
	v_mul_f32_e32 v175, v1, v10
	v_mul_f32_e32 v177, v3, v12
	s_delay_alu instid0(VALU_DEP_2) | instskip(NEXT) | instid1(VALU_DEP_2)
	v_fmac_f32_e32 v175, v2, v9
	v_dual_mul_f32 v2, v2, v10 :: v_dual_fmac_f32 v177, v4, v11
	s_delay_alu instid0(VALU_DEP_1) | instskip(SKIP_1) | instid1(VALU_DEP_1)
	v_fma_f32 v176, v1, v9, -v2
	v_mul_f32_e32 v1, v4, v12
	v_fma_f32 v178, v3, v11, -v1
	s_clause 0x1
	scratch_load_b128 v[1:4], off, off offset:320
	scratch_load_b128 v[9:12], off, off offset:336
	s_wait_loadcnt_dscnt 0x100
	v_mul_f32_e32 v179, v5, v2
	v_dual_mul_f32 v2, v6, v2 :: v_dual_mul_f32 v181, v7, v4
	s_delay_alu instid0(VALU_DEP_2) | instskip(NEXT) | instid1(VALU_DEP_2)
	v_fmac_f32_e32 v179, v6, v1
	v_fma_f32 v180, v5, v1, -v2
	v_mul_f32_e32 v1, v8, v4
	s_delay_alu instid0(VALU_DEP_4) | instskip(NEXT) | instid1(VALU_DEP_2)
	v_fmac_f32_e32 v181, v8, v3
	v_fma_f32 v182, v7, v3, -v1
	ds_load_b128 v[1:4], v21 offset:784
	ds_load_b128 v[5:8], v21 offset:800
	s_wait_loadcnt_dscnt 0x1
	v_mul_f32_e32 v183, v1, v10
	v_mul_f32_e32 v185, v3, v12
	s_delay_alu instid0(VALU_DEP_2) | instskip(NEXT) | instid1(VALU_DEP_2)
	v_fmac_f32_e32 v183, v2, v9
	v_dual_mul_f32 v2, v2, v10 :: v_dual_fmac_f32 v185, v4, v11
	s_delay_alu instid0(VALU_DEP_1) | instskip(SKIP_1) | instid1(VALU_DEP_1)
	v_fma_f32 v184, v1, v9, -v2
	v_mul_f32_e32 v1, v4, v12
	v_fma_f32 v186, v3, v11, -v1
	s_clause 0x1
	scratch_load_b128 v[1:4], off, off offset:352
	scratch_load_b128 v[9:12], off, off offset:368
	s_wait_loadcnt_dscnt 0x100
	v_mul_f32_e32 v187, v5, v2
	v_mul_f32_e32 v2, v6, v2
	s_delay_alu instid0(VALU_DEP_1) | instskip(SKIP_1) | instid1(VALU_DEP_1)
	v_fma_f32 v188, v5, v1, -v2
	v_add_f32_e32 v2, 0, v135
	v_add_f32_e32 v2, v2, v136
	scratch_load_b64 v[135:136], off, off offset:432
	v_add_f32_e32 v2, v2, v139
	s_delay_alu instid0(VALU_DEP_1) | instskip(NEXT) | instid1(VALU_DEP_1)
	v_add_f32_e32 v2, v2, v140
	v_add_f32_e32 v2, v2, v141
	s_delay_alu instid0(VALU_DEP_1) | instskip(NEXT) | instid1(VALU_DEP_1)
	v_add_f32_e32 v2, v2, v150
	;; [unrolled: 3-line block ×6, first 2 shown]
	v_add_f32_e32 v2, v2, v155
	s_delay_alu instid0(VALU_DEP_1) | instskip(SKIP_2) | instid1(VALU_DEP_3)
	v_add_f32_e32 v2, v2, v157
	v_fmac_f32_e32 v187, v6, v1
	v_mul_f32_e32 v1, v8, v4
	v_add_f32_e32 v5, v2, v159
	s_delay_alu instid0(VALU_DEP_2) | instskip(SKIP_1) | instid1(VALU_DEP_3)
	v_fma_f32 v190, v7, v3, -v1
	v_add_f32_e32 v1, 0, v24
	v_add_f32_e32 v5, v5, v161
	s_delay_alu instid0(VALU_DEP_2) | instskip(NEXT) | instid1(VALU_DEP_2)
	v_add_f32_e32 v1, v1, v138
	v_add_f32_e32 v5, v5, v163
	v_mul_f32_e32 v189, v7, v4
	s_delay_alu instid0(VALU_DEP_3) | instskip(NEXT) | instid1(VALU_DEP_1)
	v_add_f32_e32 v1, v1, v142
	v_add_f32_e32 v1, v1, v143
	s_delay_alu instid0(VALU_DEP_1) | instskip(NEXT) | instid1(VALU_DEP_1)
	v_add_f32_e32 v1, v1, v144
	v_add_f32_e32 v1, v1, v145
	s_delay_alu instid0(VALU_DEP_1) | instskip(NEXT) | instid1(VALU_DEP_1)
	v_add_f32_e32 v1, v1, v13
	v_add_f32_e32 v1, v1, v14
	;; [unrolled: 1-line block ×3, first 2 shown]
	s_delay_alu instid0(VALU_DEP_2) | instskip(NEXT) | instid1(VALU_DEP_1)
	v_add_f32_e32 v1, v1, v16
	v_add_f32_e32 v1, v1, v17
	s_delay_alu instid0(VALU_DEP_1) | instskip(NEXT) | instid1(VALU_DEP_1)
	v_add_f32_e32 v1, v1, v148
	v_add_f32_e32 v1, v1, v149
	s_delay_alu instid0(VALU_DEP_1) | instskip(NEXT) | instid1(VALU_DEP_1)
	;; [unrolled: 3-line block ×4, first 2 shown]
	v_add_f32_e32 v1, v1, v160
	v_dual_add_f32 v6, v1, v162 :: v_dual_fmac_f32 v189, v8, v3
	ds_load_b128 v[1:4], v21 offset:816
	v_add_f32_e32 v14, v14, v167
	v_add_f32_e32 v6, v6, v164
	s_delay_alu instid0(VALU_DEP_2) | instskip(NEXT) | instid1(VALU_DEP_2)
	v_add_f32_e32 v14, v14, v169
	v_add_f32_e32 v13, v6, v166
	ds_load_b128 v[5:8], v21 offset:832
	s_wait_loadcnt_dscnt 0x101
	v_mul_f32_e32 v24, v1, v10
	v_mul_f32_e32 v10, v2, v10
	;; [unrolled: 1-line block ×4, first 2 shown]
	s_delay_alu instid0(VALU_DEP_4) | instskip(NEXT) | instid1(VALU_DEP_4)
	v_fmac_f32_e32 v24, v2, v9
	v_fma_f32 v145, v1, v9, -v10
	s_delay_alu instid0(VALU_DEP_4) | instskip(NEXT) | instid1(VALU_DEP_4)
	v_fmac_f32_e32 v144, v4, v11
	v_fma_f32 v146, v3, v11, -v12
	s_clause 0x1
	scratch_load_b128 v[1:4], off, off offset:384
	scratch_load_b128 v[9:12], off, off offset:400
	s_wait_loadcnt_dscnt 0x100
	v_dual_mul_f32 v150, v7, v4 :: v_dual_mul_f32 v149, v5, v2
	v_mul_f32_e32 v2, v6, v2
	v_mul_f32_e32 v4, v8, v4
	s_delay_alu instid0(VALU_DEP_3) | instskip(NEXT) | instid1(VALU_DEP_3)
	v_dual_fmac_f32 v150, v8, v3 :: v_dual_add_f32 v13, v13, v168
	v_fma_f32 v2, v5, v1, -v2
	s_delay_alu instid0(VALU_DEP_2) | instskip(NEXT) | instid1(VALU_DEP_1)
	v_add_f32_e32 v13, v13, v170
	v_add_f32_e32 v13, v13, v172
	s_delay_alu instid0(VALU_DEP_1) | instskip(NEXT) | instid1(VALU_DEP_1)
	v_add_f32_e32 v18, v13, v174
	v_add_f32_e32 v18, v18, v176
	s_delay_alu instid0(VALU_DEP_1) | instskip(NEXT) | instid1(VALU_DEP_1)
	;; [unrolled: 3-line block ×5, first 2 shown]
	v_add_f32_e32 v147, v147, v190
	v_add_f32_e32 v145, v147, v145
	s_delay_alu instid0(VALU_DEP_1) | instskip(SKIP_4) | instid1(VALU_DEP_1)
	v_add_f32_e32 v145, v145, v146
	v_add_f32_e32 v17, v14, v171
	scratch_load_b128 v[13:16], off, off offset:416
	v_add_f32_e32 v2, v145, v2
	v_add_f32_e32 v17, v17, v173
	;; [unrolled: 1-line block ×3, first 2 shown]
	s_delay_alu instid0(VALU_DEP_1) | instskip(NEXT) | instid1(VALU_DEP_1)
	v_add_f32_e32 v17, v17, v177
	v_add_f32_e32 v17, v17, v179
	s_delay_alu instid0(VALU_DEP_1)
	v_add_f32_e32 v138, v17, v181
	ds_load_b128 v[17:20], v21 offset:848
	v_add_f32_e32 v143, v138, v183
	ds_load_b128 v[138:141], v21 offset:864
	v_add_f32_e32 v148, v143, v185
	ds_load_b64 v[142:143], v21 offset:880
	v_add_f32_e32 v148, v148, v187
	s_wait_loadcnt_dscnt 0x102
	s_delay_alu instid0(VALU_DEP_1) | instskip(SKIP_1) | instid1(VALU_DEP_2)
	v_dual_add_f32 v148, v148, v189 :: v_dual_mul_f32 v147, v17, v10
	v_mul_f32_e32 v5, v20, v12
	v_add_f32_e32 v24, v148, v24
	s_delay_alu instid0(VALU_DEP_3) | instskip(NEXT) | instid1(VALU_DEP_3)
	v_dual_mul_f32 v148, v19, v12 :: v_dual_fmac_f32 v147, v18, v9
	v_fma_f32 v5, v19, v11, -v5
	s_delay_alu instid0(VALU_DEP_3) | instskip(NEXT) | instid1(VALU_DEP_3)
	v_add_f32_e32 v24, v24, v144
	v_fmac_f32_e32 v148, v20, v11
	s_wait_dscnt 0x0
	v_mul_f32_e32 v144, v142, v136
	s_delay_alu instid0(VALU_DEP_1) | instskip(SKIP_1) | instid1(VALU_DEP_2)
	v_dual_fmac_f32 v144, v143, v135 :: v_dual_fmac_f32 v149, v6, v1
	v_fma_f32 v1, v7, v3, -v4
	v_dual_mul_f32 v3, v18, v10 :: v_dual_add_f32 v4, v24, v149
	s_delay_alu instid0(VALU_DEP_2) | instskip(NEXT) | instid1(VALU_DEP_2)
	v_add_f32_e32 v1, v2, v1
	v_fma_f32 v3, v17, v9, -v3
	s_delay_alu instid0(VALU_DEP_1) | instskip(NEXT) | instid1(VALU_DEP_1)
	v_dual_add_f32 v2, v4, v150 :: v_dual_add_f32 v1, v1, v3
	v_dual_add_f32 v2, v2, v147 :: v_dual_add_f32 v1, v1, v5
	v_mul_f32_e32 v5, v143, v136
	s_delay_alu instid0(VALU_DEP_2)
	v_add_f32_e32 v2, v2, v148
	s_wait_loadcnt 0x0
	v_mul_f32_e32 v151, v138, v14
	v_mul_f32_e32 v4, v139, v14
	;; [unrolled: 1-line block ×4, first 2 shown]
	s_delay_alu instid0(VALU_DEP_4) | instskip(NEXT) | instid1(VALU_DEP_4)
	v_fmac_f32_e32 v151, v139, v13
	v_fma_f32 v4, v138, v13, -v4
	s_delay_alu instid0(VALU_DEP_4) | instskip(NEXT) | instid1(VALU_DEP_4)
	v_fmac_f32_e32 v146, v141, v15
	v_fma_f32 v3, v140, v15, -v3
	s_delay_alu instid0(VALU_DEP_3) | instskip(SKIP_1) | instid1(VALU_DEP_2)
	v_dual_add_f32 v2, v2, v151 :: v_dual_add_f32 v1, v1, v4
	v_fma_f32 v4, v142, v135, -v5
	v_dual_add_f32 v2, v2, v146 :: v_dual_add_f32 v1, v1, v3
	s_delay_alu instid0(VALU_DEP_1) | instskip(NEXT) | instid1(VALU_DEP_1)
	v_add_f32_e32 v2, v2, v144
	v_dual_add_f32 v1, v1, v4 :: v_dual_sub_f32 v2, v23, v2
	s_delay_alu instid0(VALU_DEP_1)
	v_sub_f32_e32 v1, v22, v1
	scratch_store_b64 off, v[1:2], off offset:104
	v_cmpx_lt_u32_e32 12, v0
	s_cbranch_execz .LBB118_319
; %bb.318:
	scratch_load_b64 v[1:2], off, off offset:96
	v_mov_b32_e32 v22, v21
	scratch_store_b64 off, v[21:22], off offset:96
	s_wait_loadcnt 0x0
	ds_store_b64 v137, v[1:2]
.LBB118_319:
	s_wait_alu 0xfffe
	s_or_b32 exec_lo, exec_lo, s0
	s_wait_storecnt_dscnt 0x0
	s_barrier_signal -1
	s_barrier_wait -1
	global_inv scope:SCOPE_SE
	s_clause 0x4
	scratch_load_b128 v[5:8], off, off offset:104
	scratch_load_b128 v[1:4], off, off offset:120
	scratch_load_b128 v[9:12], off, off offset:136
	scratch_load_b128 v[13:16], off, off offset:152
	scratch_load_b128 v[17:20], off, off offset:168
	ds_load_2addr_b64 v[138:141], v21 offset0:69 offset1:70
	ds_load_2addr_b64 v[142:145], v21 offset0:71 offset1:72
	;; [unrolled: 1-line block ×3, first 2 shown]
	scratch_load_b64 v[135:136], off, off offset:96
	s_mov_b32 s0, exec_lo
	s_wait_loadcnt_dscnt 0x502
	v_mul_f32_e32 v22, v139, v6
	v_dual_mul_f32 v23, v138, v6 :: v_dual_mul_f32 v24, v140, v8
	v_mul_f32_e32 v6, v141, v8
	s_delay_alu instid0(VALU_DEP_3) | instskip(NEXT) | instid1(VALU_DEP_3)
	v_fma_f32 v22, v138, v5, -v22
	v_dual_fmac_f32 v23, v139, v5 :: v_dual_fmac_f32 v24, v141, v7
	s_wait_loadcnt_dscnt 0x401
	v_mul_f32_e32 v139, v142, v2
	v_fma_f32 v138, v140, v7, -v6
	ds_load_2addr_b64 v[5:8], v21 offset0:75 offset1:76
	s_wait_loadcnt_dscnt 0x301
	v_dual_mul_f32 v140, v144, v4 :: v_dual_mul_f32 v141, v146, v10
	v_dual_mul_f32 v4, v145, v4 :: v_dual_fmac_f32 v139, v143, v1
	v_mul_f32_e32 v10, v147, v10
	s_delay_alu instid0(VALU_DEP_3)
	v_dual_mul_f32 v150, v148, v12 :: v_dual_fmac_f32 v141, v147, v9
	v_mul_f32_e32 v12, v149, v12
	v_mul_f32_e32 v2, v143, v2
	v_fmac_f32_e32 v140, v145, v3
	v_fma_f32 v143, v144, v3, -v4
	v_fma_f32 v144, v146, v9, -v10
	v_fmac_f32_e32 v150, v149, v11
	v_fma_f32 v145, v148, v11, -v12
	ds_load_2addr_b64 v[9:12], v21 offset0:77 offset1:78
	s_wait_loadcnt_dscnt 0x201
	v_mul_f32_e32 v146, v5, v14
	v_dual_mul_f32 v14, v6, v14 :: v_dual_mul_f32 v147, v7, v16
	v_mul_f32_e32 v16, v8, v16
	s_delay_alu instid0(VALU_DEP_3) | instskip(NEXT) | instid1(VALU_DEP_3)
	v_fmac_f32_e32 v146, v6, v13
	v_fma_f32 v13, v5, v13, -v14
	s_delay_alu instid0(VALU_DEP_4) | instskip(NEXT) | instid1(VALU_DEP_4)
	v_fmac_f32_e32 v147, v8, v15
	v_fma_f32 v14, v7, v15, -v16
	ds_load_2addr_b64 v[5:8], v21 offset0:79 offset1:80
	s_wait_loadcnt_dscnt 0x101
	v_mul_f32_e32 v15, v9, v18
	v_mul_f32_e32 v16, v10, v18
	;; [unrolled: 1-line block ×3, first 2 shown]
	s_delay_alu instid0(VALU_DEP_3)
	v_dual_mul_f32 v20, v12, v20 :: v_dual_fmac_f32 v15, v10, v17
	v_fma_f32 v142, v142, v1, -v2
	scratch_load_b128 v[1:4], off, off offset:184
	v_fma_f32 v16, v9, v17, -v16
	v_fmac_f32_e32 v18, v12, v19
	v_fma_f32 v17, v11, v19, -v20
	scratch_load_b128 v[9:12], off, off offset:200
	s_wait_loadcnt_dscnt 0x100
	v_mul_f32_e32 v19, v5, v2
	v_mul_f32_e32 v2, v6, v2
	;; [unrolled: 1-line block ×3, first 2 shown]
	s_delay_alu instid0(VALU_DEP_3) | instskip(NEXT) | instid1(VALU_DEP_3)
	v_dual_mul_f32 v4, v8, v4 :: v_dual_fmac_f32 v19, v6, v1
	v_fma_f32 v148, v5, v1, -v2
	s_delay_alu instid0(VALU_DEP_3) | instskip(NEXT) | instid1(VALU_DEP_3)
	v_fmac_f32_e32 v20, v8, v3
	v_fma_f32 v149, v7, v3, -v4
	ds_load_2addr_b64 v[1:4], v21 offset0:81 offset1:82
	ds_load_2addr_b64 v[5:8], v21 offset0:83 offset1:84
	s_wait_loadcnt_dscnt 0x1
	v_mul_f32_e32 v151, v1, v10
	v_mul_f32_e32 v10, v2, v10
	s_delay_alu instid0(VALU_DEP_2) | instskip(NEXT) | instid1(VALU_DEP_2)
	v_dual_mul_f32 v152, v3, v12 :: v_dual_fmac_f32 v151, v2, v9
	v_fma_f32 v153, v1, v9, -v10
	v_mul_f32_e32 v1, v4, v12
	s_delay_alu instid0(VALU_DEP_3) | instskip(NEXT) | instid1(VALU_DEP_2)
	v_fmac_f32_e32 v152, v4, v11
	v_fma_f32 v154, v3, v11, -v1
	s_clause 0x1
	scratch_load_b128 v[1:4], off, off offset:216
	scratch_load_b128 v[9:12], off, off offset:232
	s_wait_loadcnt_dscnt 0x100
	v_mul_f32_e32 v155, v5, v2
	v_dual_mul_f32 v2, v6, v2 :: v_dual_mul_f32 v157, v7, v4
	s_delay_alu instid0(VALU_DEP_2) | instskip(NEXT) | instid1(VALU_DEP_2)
	v_fmac_f32_e32 v155, v6, v1
	v_fma_f32 v156, v5, v1, -v2
	v_mul_f32_e32 v1, v8, v4
	s_delay_alu instid0(VALU_DEP_4) | instskip(NEXT) | instid1(VALU_DEP_2)
	v_fmac_f32_e32 v157, v8, v3
	v_fma_f32 v158, v7, v3, -v1
	ds_load_2addr_b64 v[1:4], v21 offset0:85 offset1:86
	ds_load_2addr_b64 v[5:8], v21 offset0:87 offset1:88
	s_wait_loadcnt_dscnt 0x1
	v_mul_f32_e32 v159, v1, v10
	v_mul_f32_e32 v161, v3, v12
	s_delay_alu instid0(VALU_DEP_2) | instskip(NEXT) | instid1(VALU_DEP_2)
	v_fmac_f32_e32 v159, v2, v9
	v_dual_mul_f32 v2, v2, v10 :: v_dual_fmac_f32 v161, v4, v11
	s_delay_alu instid0(VALU_DEP_1) | instskip(SKIP_1) | instid1(VALU_DEP_1)
	v_fma_f32 v160, v1, v9, -v2
	v_mul_f32_e32 v1, v4, v12
	v_fma_f32 v162, v3, v11, -v1
	s_clause 0x1
	scratch_load_b128 v[1:4], off, off offset:248
	scratch_load_b128 v[9:12], off, off offset:264
	s_wait_loadcnt_dscnt 0x100
	v_mul_f32_e32 v163, v5, v2
	v_dual_mul_f32 v2, v6, v2 :: v_dual_mul_f32 v165, v7, v4
	s_delay_alu instid0(VALU_DEP_2) | instskip(NEXT) | instid1(VALU_DEP_2)
	v_fmac_f32_e32 v163, v6, v1
	v_fma_f32 v164, v5, v1, -v2
	v_mul_f32_e32 v1, v8, v4
	s_delay_alu instid0(VALU_DEP_4) | instskip(NEXT) | instid1(VALU_DEP_2)
	v_fmac_f32_e32 v165, v8, v3
	v_fma_f32 v166, v7, v3, -v1
	ds_load_2addr_b64 v[1:4], v21 offset0:89 offset1:90
	ds_load_2addr_b64 v[5:8], v21 offset0:91 offset1:92
	s_wait_loadcnt_dscnt 0x1
	v_mul_f32_e32 v167, v1, v10
	v_mul_f32_e32 v169, v3, v12
	s_delay_alu instid0(VALU_DEP_2) | instskip(NEXT) | instid1(VALU_DEP_2)
	v_fmac_f32_e32 v167, v2, v9
	v_dual_mul_f32 v2, v2, v10 :: v_dual_fmac_f32 v169, v4, v11
	s_delay_alu instid0(VALU_DEP_1) | instskip(SKIP_1) | instid1(VALU_DEP_1)
	v_fma_f32 v168, v1, v9, -v2
	v_mul_f32_e32 v1, v4, v12
	;; [unrolled: 25-line block ×4, first 2 shown]
	v_fma_f32 v186, v3, v11, -v1
	s_clause 0x1
	scratch_load_b128 v[1:4], off, off offset:344
	scratch_load_b128 v[9:12], off, off offset:360
	s_wait_loadcnt_dscnt 0x100
	v_mul_f32_e32 v187, v5, v2
	v_mul_f32_e32 v2, v6, v2
	s_delay_alu instid0(VALU_DEP_1) | instskip(SKIP_1) | instid1(VALU_DEP_1)
	v_fma_f32 v188, v5, v1, -v2
	v_add_f32_e32 v2, 0, v23
	v_add_f32_e32 v2, v2, v24
	s_delay_alu instid0(VALU_DEP_1) | instskip(NEXT) | instid1(VALU_DEP_1)
	v_add_f32_e32 v2, v2, v139
	v_add_f32_e32 v2, v2, v140
	s_delay_alu instid0(VALU_DEP_1) | instskip(NEXT) | instid1(VALU_DEP_1)
	;; [unrolled: 3-line block ×6, first 2 shown]
	v_add_f32_e32 v2, v2, v151
	v_add_f32_e32 v2, v2, v152
	v_fmac_f32_e32 v187, v6, v1
	s_delay_alu instid0(VALU_DEP_2) | instskip(NEXT) | instid1(VALU_DEP_1)
	v_dual_add_f32 v2, v2, v155 :: v_dual_mul_f32 v189, v7, v4
	v_dual_add_f32 v2, v2, v157 :: v_dual_mul_f32 v1, v8, v4
	s_delay_alu instid0(VALU_DEP_1) | instskip(NEXT) | instid1(VALU_DEP_2)
	v_add_f32_e32 v2, v2, v159
	v_fma_f32 v190, v7, v3, -v1
	v_add_f32_e32 v1, 0, v22
	s_delay_alu instid0(VALU_DEP_3) | instskip(NEXT) | instid1(VALU_DEP_2)
	v_add_f32_e32 v5, v2, v161
	v_add_f32_e32 v1, v1, v138
	s_delay_alu instid0(VALU_DEP_1) | instskip(NEXT) | instid1(VALU_DEP_1)
	v_add_f32_e32 v1, v1, v142
	v_add_f32_e32 v1, v1, v143
	s_delay_alu instid0(VALU_DEP_1) | instskip(NEXT) | instid1(VALU_DEP_1)
	v_add_f32_e32 v1, v1, v144
	v_add_f32_e32 v1, v1, v145
	s_delay_alu instid0(VALU_DEP_1) | instskip(SKIP_1) | instid1(VALU_DEP_2)
	v_add_f32_e32 v1, v1, v13
	v_add_f32_e32 v13, v5, v163
	;; [unrolled: 1-line block ×3, first 2 shown]
	s_delay_alu instid0(VALU_DEP_2) | instskip(NEXT) | instid1(VALU_DEP_2)
	v_add_f32_e32 v13, v13, v165
	v_add_f32_e32 v1, v1, v16
	s_delay_alu instid0(VALU_DEP_1) | instskip(NEXT) | instid1(VALU_DEP_1)
	v_add_f32_e32 v1, v1, v17
	v_add_f32_e32 v1, v1, v148
	s_delay_alu instid0(VALU_DEP_1) | instskip(NEXT) | instid1(VALU_DEP_1)
	;; [unrolled: 3-line block ×5, first 2 shown]
	v_add_f32_e32 v1, v1, v162
	v_dual_add_f32 v6, v1, v164 :: v_dual_fmac_f32 v189, v8, v3
	ds_load_2addr_b64 v[1:4], v21 offset0:101 offset1:102
	v_dual_add_f32 v13, v13, v167 :: v_dual_add_f32 v14, v6, v166
	scratch_load_b128 v[5:8], off, off offset:376
	v_add_f32_e32 v18, v13, v169
	v_add_f32_e32 v14, v14, v168
	s_delay_alu instid0(VALU_DEP_1)
	v_add_f32_e32 v17, v14, v170
	ds_load_2addr_b64 v[13:16], v21 offset0:103 offset1:104
	s_wait_loadcnt_dscnt 0x101
	v_mul_f32_e32 v138, v1, v10
	v_dual_mul_f32 v10, v2, v10 :: v_dual_mul_f32 v139, v3, v12
	v_mul_f32_e32 v12, v4, v12
	v_add_f32_e32 v18, v18, v171
	s_delay_alu instid0(VALU_DEP_4) | instskip(NEXT) | instid1(VALU_DEP_4)
	v_fmac_f32_e32 v138, v2, v9
	v_fma_f32 v140, v1, v9, -v10
	v_fmac_f32_e32 v139, v4, v11
	v_fma_f32 v141, v3, v11, -v12
	s_clause 0x1
	scratch_load_b128 v[1:4], off, off offset:392
	scratch_load_b128 v[9:12], off, off offset:408
	v_add_f32_e32 v18, v18, v173
	s_delay_alu instid0(VALU_DEP_1) | instskip(NEXT) | instid1(VALU_DEP_1)
	v_add_f32_e32 v22, v18, v175
	v_add_f32_e32 v22, v22, v177
	s_wait_loadcnt_dscnt 0x200
	v_mul_f32_e32 v142, v13, v6
	v_dual_mul_f32 v6, v14, v6 :: v_dual_mul_f32 v143, v15, v8
	v_mul_f32_e32 v8, v16, v8
	v_add_f32_e32 v22, v22, v179
	s_delay_alu instid0(VALU_DEP_4) | instskip(NEXT) | instid1(VALU_DEP_4)
	v_fmac_f32_e32 v142, v14, v5
	v_fma_f32 v144, v13, v5, -v6
	v_fmac_f32_e32 v143, v16, v7
	v_fma_f32 v145, v15, v7, -v8
	ds_load_2addr_b64 v[5:8], v21 offset0:105 offset1:106
	v_add_f32_e32 v17, v17, v172
	v_add_f32_e32 v13, v22, v181
	s_delay_alu instid0(VALU_DEP_2) | instskip(NEXT) | instid1(VALU_DEP_1)
	v_add_f32_e32 v17, v17, v174
	v_add_f32_e32 v17, v17, v176
	s_delay_alu instid0(VALU_DEP_1) | instskip(SKIP_2) | instid1(VALU_DEP_1)
	v_add_f32_e32 v23, v17, v178
	scratch_load_b128 v[17:20], off, off offset:424
	v_add_f32_e32 v23, v23, v180
	v_add_f32_e32 v23, v23, v182
	s_delay_alu instid0(VALU_DEP_1)
	v_dual_add_f32 v22, v23, v184 :: v_dual_add_f32 v23, v13, v183
	ds_load_2addr_b64 v[13:16], v21 offset0:107 offset1:108
	s_wait_loadcnt_dscnt 0x201
	v_mul_f32_e32 v148, v5, v2
	v_mul_f32_e32 v2, v6, v2
	v_dual_add_f32 v146, v22, v186 :: v_dual_add_f32 v147, v23, v185
	ds_load_2addr_b64 v[21:24], v21 offset0:109 offset1:110
	v_fmac_f32_e32 v148, v6, v1
	v_fma_f32 v2, v5, v1, -v2
	v_dual_add_f32 v146, v146, v188 :: v_dual_add_f32 v147, v147, v187
	s_delay_alu instid0(VALU_DEP_1) | instskip(NEXT) | instid1(VALU_DEP_1)
	v_dual_add_f32 v146, v146, v190 :: v_dual_add_f32 v147, v147, v189
	v_add_f32_e32 v140, v146, v140
	s_delay_alu instid0(VALU_DEP_2)
	v_add_f32_e32 v138, v147, v138
	s_wait_loadcnt_dscnt 0x101
	v_mul_f32_e32 v6, v14, v10
	v_mul_f32_e32 v146, v7, v4
	;; [unrolled: 1-line block ×3, first 2 shown]
	v_add_f32_e32 v140, v140, v141
	v_dual_add_f32 v138, v138, v139 :: v_dual_mul_f32 v147, v13, v10
	s_delay_alu instid0(VALU_DEP_4) | instskip(NEXT) | instid1(VALU_DEP_4)
	v_fmac_f32_e32 v146, v8, v3
	v_fma_f32 v3, v7, v3, -v4
	s_delay_alu instid0(VALU_DEP_4) | instskip(NEXT) | instid1(VALU_DEP_4)
	v_add_f32_e32 v140, v140, v144
	v_dual_add_f32 v138, v138, v142 :: v_dual_mul_f32 v149, v15, v12
	v_dual_mul_f32 v4, v16, v12 :: v_dual_fmac_f32 v147, v14, v9
	s_delay_alu instid0(VALU_DEP_3) | instskip(NEXT) | instid1(VALU_DEP_3)
	v_add_f32_e32 v1, v140, v145
	v_add_f32_e32 v5, v138, v143
	s_delay_alu instid0(VALU_DEP_4) | instskip(NEXT) | instid1(VALU_DEP_4)
	v_fmac_f32_e32 v149, v16, v11
	v_fma_f32 v4, v15, v11, -v4
	s_delay_alu instid0(VALU_DEP_4) | instskip(NEXT) | instid1(VALU_DEP_4)
	v_add_f32_e32 v1, v1, v2
	v_add_f32_e32 v2, v5, v148
	v_fma_f32 v5, v13, v9, -v6
	s_delay_alu instid0(VALU_DEP_2) | instskip(NEXT) | instid1(VALU_DEP_1)
	v_dual_add_f32 v1, v1, v3 :: v_dual_add_f32 v2, v2, v146
	v_dual_add_f32 v1, v1, v5 :: v_dual_add_f32 v2, v2, v147
	s_delay_alu instid0(VALU_DEP_1)
	v_dual_add_f32 v1, v1, v4 :: v_dual_add_f32 v2, v2, v149
	s_wait_loadcnt_dscnt 0x0
	v_mul_f32_e32 v139, v21, v18
	v_mul_f32_e32 v3, v22, v18
	;; [unrolled: 1-line block ×4, first 2 shown]
	s_delay_alu instid0(VALU_DEP_4) | instskip(NEXT) | instid1(VALU_DEP_4)
	v_fmac_f32_e32 v139, v22, v17
	v_fma_f32 v3, v21, v17, -v3
	s_delay_alu instid0(VALU_DEP_4) | instskip(NEXT) | instid1(VALU_DEP_4)
	v_fmac_f32_e32 v141, v24, v19
	v_fma_f32 v4, v23, v19, -v5
	s_delay_alu instid0(VALU_DEP_4) | instskip(NEXT) | instid1(VALU_DEP_1)
	v_add_f32_e32 v2, v2, v139
	v_dual_add_f32 v1, v1, v3 :: v_dual_add_f32 v2, v2, v141
	s_delay_alu instid0(VALU_DEP_1) | instskip(NEXT) | instid1(VALU_DEP_1)
	v_dual_add_f32 v1, v1, v4 :: v_dual_sub_f32 v2, v136, v2
	v_sub_f32_e32 v1, v135, v1
	scratch_store_b64 off, v[1:2], off offset:96
	v_cmpx_lt_u32_e32 11, v0
	s_cbranch_execz .LBB118_321
; %bb.320:
	scratch_load_b64 v[1:2], off, off offset:88
	v_mov_b32_e32 v3, 0
	s_delay_alu instid0(VALU_DEP_1)
	v_mov_b32_e32 v4, v3
	scratch_store_b64 off, v[3:4], off offset:88
	s_wait_loadcnt 0x0
	ds_store_b64 v137, v[1:2]
.LBB118_321:
	s_wait_alu 0xfffe
	s_or_b32 exec_lo, exec_lo, s0
	s_wait_storecnt_dscnt 0x0
	s_barrier_signal -1
	s_barrier_wait -1
	global_inv scope:SCOPE_SE
	s_clause 0x4
	scratch_load_b128 v[5:8], off, off offset:96
	scratch_load_b128 v[1:4], off, off offset:112
	;; [unrolled: 1-line block ×5, first 2 shown]
	v_mov_b32_e32 v21, 0
	ds_load_b128 v[138:141], v21 offset:544
	ds_load_b128 v[142:145], v21 offset:560
	;; [unrolled: 1-line block ×3, first 2 shown]
	scratch_load_b64 v[22:23], off, off offset:88
	s_mov_b32 s0, exec_lo
	s_wait_loadcnt_dscnt 0x502
	v_mul_f32_e32 v24, v139, v6
	v_dual_mul_f32 v135, v138, v6 :: v_dual_mul_f32 v136, v140, v8
	v_mul_f32_e32 v6, v141, v8
	s_delay_alu instid0(VALU_DEP_3) | instskip(NEXT) | instid1(VALU_DEP_3)
	v_fma_f32 v24, v138, v5, -v24
	v_dual_fmac_f32 v135, v139, v5 :: v_dual_fmac_f32 v136, v141, v7
	s_wait_loadcnt_dscnt 0x401
	v_mul_f32_e32 v139, v142, v2
	v_fma_f32 v138, v140, v7, -v6
	ds_load_b128 v[5:8], v21 offset:592
	s_wait_loadcnt_dscnt 0x301
	v_dual_mul_f32 v140, v144, v4 :: v_dual_mul_f32 v141, v146, v10
	v_dual_mul_f32 v4, v145, v4 :: v_dual_fmac_f32 v139, v143, v1
	v_mul_f32_e32 v10, v147, v10
	s_delay_alu instid0(VALU_DEP_3)
	v_dual_mul_f32 v150, v148, v12 :: v_dual_fmac_f32 v141, v147, v9
	v_mul_f32_e32 v12, v149, v12
	v_mul_f32_e32 v2, v143, v2
	v_fmac_f32_e32 v140, v145, v3
	v_fma_f32 v143, v144, v3, -v4
	v_fma_f32 v144, v146, v9, -v10
	v_fmac_f32_e32 v150, v149, v11
	v_fma_f32 v145, v148, v11, -v12
	ds_load_b128 v[9:12], v21 offset:608
	s_wait_loadcnt_dscnt 0x201
	v_dual_mul_f32 v147, v7, v16 :: v_dual_mul_f32 v146, v5, v14
	v_mul_f32_e32 v14, v6, v14
	v_mul_f32_e32 v16, v8, v16
	s_delay_alu instid0(VALU_DEP_3)
	v_fmac_f32_e32 v147, v8, v15
	v_fma_f32 v142, v142, v1, -v2
	scratch_load_b128 v[1:4], off, off offset:176
	v_fmac_f32_e32 v146, v6, v13
	v_fma_f32 v13, v5, v13, -v14
	v_fma_f32 v14, v7, v15, -v16
	ds_load_b128 v[5:8], v21 offset:624
	s_wait_loadcnt_dscnt 0x201
	v_mul_f32_e32 v15, v9, v18
	v_mul_f32_e32 v16, v10, v18
	;; [unrolled: 1-line block ×3, first 2 shown]
	s_delay_alu instid0(VALU_DEP_3) | instskip(NEXT) | instid1(VALU_DEP_3)
	v_dual_mul_f32 v20, v12, v20 :: v_dual_fmac_f32 v15, v10, v17
	v_fma_f32 v16, v9, v17, -v16
	s_delay_alu instid0(VALU_DEP_3) | instskip(NEXT) | instid1(VALU_DEP_3)
	v_fmac_f32_e32 v18, v12, v19
	v_fma_f32 v17, v11, v19, -v20
	scratch_load_b128 v[9:12], off, off offset:192
	s_wait_loadcnt_dscnt 0x100
	v_mul_f32_e32 v19, v5, v2
	v_mul_f32_e32 v2, v6, v2
	;; [unrolled: 1-line block ×3, first 2 shown]
	s_delay_alu instid0(VALU_DEP_3) | instskip(NEXT) | instid1(VALU_DEP_3)
	v_dual_mul_f32 v4, v8, v4 :: v_dual_fmac_f32 v19, v6, v1
	v_fma_f32 v148, v5, v1, -v2
	s_delay_alu instid0(VALU_DEP_3) | instskip(NEXT) | instid1(VALU_DEP_3)
	v_fmac_f32_e32 v20, v8, v3
	v_fma_f32 v149, v7, v3, -v4
	ds_load_b128 v[1:4], v21 offset:640
	ds_load_b128 v[5:8], v21 offset:656
	s_wait_loadcnt_dscnt 0x1
	v_mul_f32_e32 v151, v1, v10
	v_mul_f32_e32 v10, v2, v10
	s_delay_alu instid0(VALU_DEP_2) | instskip(NEXT) | instid1(VALU_DEP_2)
	v_dual_mul_f32 v152, v3, v12 :: v_dual_fmac_f32 v151, v2, v9
	v_fma_f32 v153, v1, v9, -v10
	v_mul_f32_e32 v1, v4, v12
	s_delay_alu instid0(VALU_DEP_3) | instskip(NEXT) | instid1(VALU_DEP_2)
	v_fmac_f32_e32 v152, v4, v11
	v_fma_f32 v154, v3, v11, -v1
	s_clause 0x1
	scratch_load_b128 v[1:4], off, off offset:208
	scratch_load_b128 v[9:12], off, off offset:224
	s_wait_loadcnt_dscnt 0x100
	v_mul_f32_e32 v155, v5, v2
	v_dual_mul_f32 v2, v6, v2 :: v_dual_mul_f32 v157, v7, v4
	s_delay_alu instid0(VALU_DEP_2) | instskip(NEXT) | instid1(VALU_DEP_2)
	v_fmac_f32_e32 v155, v6, v1
	v_fma_f32 v156, v5, v1, -v2
	v_mul_f32_e32 v1, v8, v4
	s_delay_alu instid0(VALU_DEP_4) | instskip(NEXT) | instid1(VALU_DEP_2)
	v_fmac_f32_e32 v157, v8, v3
	v_fma_f32 v158, v7, v3, -v1
	ds_load_b128 v[1:4], v21 offset:672
	ds_load_b128 v[5:8], v21 offset:688
	s_wait_loadcnt_dscnt 0x1
	v_mul_f32_e32 v159, v1, v10
	v_mul_f32_e32 v161, v3, v12
	s_delay_alu instid0(VALU_DEP_2) | instskip(NEXT) | instid1(VALU_DEP_2)
	v_fmac_f32_e32 v159, v2, v9
	v_dual_mul_f32 v2, v2, v10 :: v_dual_fmac_f32 v161, v4, v11
	s_delay_alu instid0(VALU_DEP_1) | instskip(SKIP_1) | instid1(VALU_DEP_1)
	v_fma_f32 v160, v1, v9, -v2
	v_mul_f32_e32 v1, v4, v12
	v_fma_f32 v162, v3, v11, -v1
	s_clause 0x1
	scratch_load_b128 v[1:4], off, off offset:240
	scratch_load_b128 v[9:12], off, off offset:256
	s_wait_loadcnt_dscnt 0x100
	v_mul_f32_e32 v163, v5, v2
	v_dual_mul_f32 v165, v7, v4 :: v_dual_mul_f32 v2, v6, v2
	s_delay_alu instid0(VALU_DEP_2) | instskip(NEXT) | instid1(VALU_DEP_2)
	v_fmac_f32_e32 v163, v6, v1
	v_fmac_f32_e32 v165, v8, v3
	s_delay_alu instid0(VALU_DEP_3) | instskip(SKIP_1) | instid1(VALU_DEP_1)
	v_fma_f32 v164, v5, v1, -v2
	v_mul_f32_e32 v1, v8, v4
	v_fma_f32 v166, v7, v3, -v1
	ds_load_b128 v[1:4], v21 offset:704
	ds_load_b128 v[5:8], v21 offset:720
	s_wait_loadcnt_dscnt 0x1
	v_mul_f32_e32 v167, v1, v10
	v_mul_f32_e32 v169, v3, v12
	s_delay_alu instid0(VALU_DEP_2) | instskip(NEXT) | instid1(VALU_DEP_2)
	v_fmac_f32_e32 v167, v2, v9
	v_dual_mul_f32 v2, v2, v10 :: v_dual_fmac_f32 v169, v4, v11
	s_delay_alu instid0(VALU_DEP_1) | instskip(SKIP_1) | instid1(VALU_DEP_1)
	v_fma_f32 v168, v1, v9, -v2
	v_mul_f32_e32 v1, v4, v12
	v_fma_f32 v170, v3, v11, -v1
	s_clause 0x1
	scratch_load_b128 v[1:4], off, off offset:272
	scratch_load_b128 v[9:12], off, off offset:288
	s_wait_loadcnt_dscnt 0x100
	v_mul_f32_e32 v171, v5, v2
	v_dual_mul_f32 v2, v6, v2 :: v_dual_mul_f32 v173, v7, v4
	s_delay_alu instid0(VALU_DEP_2) | instskip(NEXT) | instid1(VALU_DEP_2)
	v_fmac_f32_e32 v171, v6, v1
	v_fma_f32 v172, v5, v1, -v2
	v_mul_f32_e32 v1, v8, v4
	s_delay_alu instid0(VALU_DEP_4) | instskip(NEXT) | instid1(VALU_DEP_2)
	v_fmac_f32_e32 v173, v8, v3
	v_fma_f32 v174, v7, v3, -v1
	ds_load_b128 v[1:4], v21 offset:736
	ds_load_b128 v[5:8], v21 offset:752
	s_wait_loadcnt_dscnt 0x1
	v_mul_f32_e32 v175, v1, v10
	v_mul_f32_e32 v177, v3, v12
	s_delay_alu instid0(VALU_DEP_2) | instskip(NEXT) | instid1(VALU_DEP_2)
	v_fmac_f32_e32 v175, v2, v9
	v_dual_mul_f32 v2, v2, v10 :: v_dual_fmac_f32 v177, v4, v11
	s_delay_alu instid0(VALU_DEP_1) | instskip(SKIP_1) | instid1(VALU_DEP_1)
	v_fma_f32 v176, v1, v9, -v2
	v_mul_f32_e32 v1, v4, v12
	v_fma_f32 v178, v3, v11, -v1
	s_clause 0x1
	scratch_load_b128 v[1:4], off, off offset:304
	scratch_load_b128 v[9:12], off, off offset:320
	s_wait_loadcnt_dscnt 0x100
	v_mul_f32_e32 v179, v5, v2
	v_dual_mul_f32 v2, v6, v2 :: v_dual_mul_f32 v181, v7, v4
	s_delay_alu instid0(VALU_DEP_2) | instskip(NEXT) | instid1(VALU_DEP_2)
	v_fmac_f32_e32 v179, v6, v1
	v_fma_f32 v180, v5, v1, -v2
	v_mul_f32_e32 v1, v8, v4
	s_delay_alu instid0(VALU_DEP_4) | instskip(NEXT) | instid1(VALU_DEP_2)
	v_fmac_f32_e32 v181, v8, v3
	v_fma_f32 v182, v7, v3, -v1
	ds_load_b128 v[1:4], v21 offset:768
	ds_load_b128 v[5:8], v21 offset:784
	s_wait_loadcnt_dscnt 0x1
	v_mul_f32_e32 v183, v1, v10
	v_mul_f32_e32 v185, v3, v12
	s_delay_alu instid0(VALU_DEP_2) | instskip(NEXT) | instid1(VALU_DEP_2)
	v_fmac_f32_e32 v183, v2, v9
	v_dual_mul_f32 v2, v2, v10 :: v_dual_fmac_f32 v185, v4, v11
	s_delay_alu instid0(VALU_DEP_1) | instskip(SKIP_1) | instid1(VALU_DEP_1)
	v_fma_f32 v184, v1, v9, -v2
	v_mul_f32_e32 v1, v4, v12
	v_fma_f32 v186, v3, v11, -v1
	s_clause 0x1
	scratch_load_b128 v[1:4], off, off offset:336
	scratch_load_b128 v[9:12], off, off offset:352
	s_wait_loadcnt_dscnt 0x100
	v_mul_f32_e32 v187, v5, v2
	v_mul_f32_e32 v2, v6, v2
	s_delay_alu instid0(VALU_DEP_1) | instskip(SKIP_1) | instid1(VALU_DEP_1)
	v_fma_f32 v188, v5, v1, -v2
	v_add_f32_e32 v2, 0, v135
	v_add_f32_e32 v2, v2, v136
	s_delay_alu instid0(VALU_DEP_1) | instskip(NEXT) | instid1(VALU_DEP_1)
	v_add_f32_e32 v2, v2, v139
	v_add_f32_e32 v2, v2, v140
	s_delay_alu instid0(VALU_DEP_1) | instskip(NEXT) | instid1(VALU_DEP_1)
	;; [unrolled: 3-line block ×7, first 2 shown]
	v_add_f32_e32 v2, v2, v155
	v_add_f32_e32 v2, v2, v157
	v_fmac_f32_e32 v187, v6, v1
	v_mul_f32_e32 v1, v8, v4
	s_delay_alu instid0(VALU_DEP_3) | instskip(NEXT) | instid1(VALU_DEP_2)
	v_dual_mul_f32 v189, v7, v4 :: v_dual_add_f32 v2, v2, v159
	v_fma_f32 v190, v7, v3, -v1
	v_add_f32_e32 v1, 0, v24
	s_delay_alu instid0(VALU_DEP_3) | instskip(NEXT) | instid1(VALU_DEP_2)
	v_add_f32_e32 v5, v2, v161
	v_add_f32_e32 v1, v1, v138
	s_delay_alu instid0(VALU_DEP_1) | instskip(NEXT) | instid1(VALU_DEP_1)
	v_add_f32_e32 v1, v1, v142
	v_add_f32_e32 v1, v1, v143
	s_delay_alu instid0(VALU_DEP_1) | instskip(NEXT) | instid1(VALU_DEP_1)
	v_add_f32_e32 v1, v1, v144
	v_add_f32_e32 v1, v1, v145
	s_delay_alu instid0(VALU_DEP_1) | instskip(SKIP_1) | instid1(VALU_DEP_2)
	v_add_f32_e32 v1, v1, v13
	v_add_f32_e32 v13, v5, v163
	;; [unrolled: 1-line block ×3, first 2 shown]
	s_delay_alu instid0(VALU_DEP_2) | instskip(NEXT) | instid1(VALU_DEP_2)
	v_add_f32_e32 v13, v13, v165
	v_add_f32_e32 v1, v1, v16
	s_delay_alu instid0(VALU_DEP_1) | instskip(NEXT) | instid1(VALU_DEP_1)
	v_add_f32_e32 v1, v1, v17
	v_add_f32_e32 v1, v1, v148
	s_delay_alu instid0(VALU_DEP_1) | instskip(NEXT) | instid1(VALU_DEP_1)
	;; [unrolled: 3-line block ×5, first 2 shown]
	v_add_f32_e32 v1, v1, v162
	v_dual_add_f32 v6, v1, v164 :: v_dual_fmac_f32 v189, v8, v3
	scratch_load_b128 v[1:4], off, off offset:368
	v_dual_add_f32 v13, v13, v167 :: v_dual_add_f32 v14, v6, v166
	ds_load_b128 v[5:8], v21 offset:800
	v_add_f32_e32 v18, v13, v169
	v_add_f32_e32 v14, v14, v168
	s_delay_alu instid0(VALU_DEP_1)
	v_add_f32_e32 v17, v14, v170
	ds_load_b128 v[13:16], v21 offset:816
	s_wait_loadcnt_dscnt 0x101
	v_mul_f32_e32 v24, v5, v10
	v_add_f32_e32 v18, v18, v171
	v_mul_f32_e32 v10, v6, v10
	v_mul_f32_e32 v144, v7, v12
	v_mul_f32_e32 v12, v8, v12
	v_fmac_f32_e32 v24, v6, v9
	v_add_f32_e32 v18, v18, v173
	v_fma_f32 v145, v5, v9, -v10
	v_fmac_f32_e32 v144, v8, v11
	v_fma_f32 v146, v7, v11, -v12
	scratch_load_b128 v[9:12], off, off offset:400
	v_add_f32_e32 v135, v18, v175
	scratch_load_b128 v[5:8], off, off offset:384
	v_add_f32_e32 v138, v135, v177
	s_delay_alu instid0(VALU_DEP_1) | instskip(SKIP_1) | instid1(VALU_DEP_1)
	v_add_f32_e32 v138, v138, v179
	s_wait_loadcnt_dscnt 0x200
	v_dual_add_f32 v138, v138, v181 :: v_dual_mul_f32 v147, v13, v2
	v_mul_f32_e32 v2, v14, v2
	v_mul_f32_e32 v148, v15, v4
	s_delay_alu instid0(VALU_DEP_3) | instskip(NEXT) | instid1(VALU_DEP_3)
	v_dual_mul_f32 v4, v16, v4 :: v_dual_fmac_f32 v147, v14, v1
	v_fma_f32 v149, v13, v1, -v2
	v_add_f32_e32 v13, v138, v183
	s_delay_alu instid0(VALU_DEP_4) | instskip(NEXT) | instid1(VALU_DEP_4)
	v_fmac_f32_e32 v148, v16, v3
	v_fma_f32 v150, v15, v3, -v4
	ds_load_b128 v[1:4], v21 offset:832
	v_add_f32_e32 v138, v13, v185
	v_add_f32_e32 v17, v17, v172
	s_delay_alu instid0(VALU_DEP_1) | instskip(NEXT) | instid1(VALU_DEP_1)
	v_add_f32_e32 v17, v17, v174
	v_add_f32_e32 v17, v17, v176
	s_delay_alu instid0(VALU_DEP_1)
	v_add_f32_e32 v136, v17, v178
	scratch_load_b128 v[17:20], off, off offset:416
	v_add_f32_e32 v143, v138, v187
	v_add_f32_e32 v139, v136, v180
	scratch_load_b64 v[135:136], off, off offset:432
	v_add_f32_e32 v152, v143, v189
	s_delay_alu instid0(VALU_DEP_1) | instskip(NEXT) | instid1(VALU_DEP_1)
	v_dual_add_f32 v139, v139, v182 :: v_dual_add_f32 v24, v152, v24
	v_add_f32_e32 v139, v139, v184
	s_delay_alu instid0(VALU_DEP_2) | instskip(NEXT) | instid1(VALU_DEP_2)
	v_add_f32_e32 v24, v24, v144
	v_add_f32_e32 v14, v139, v186
	ds_load_b128 v[138:141], v21 offset:864
	v_add_f32_e32 v24, v24, v147
	v_add_f32_e32 v142, v14, v188
	ds_load_b128 v[13:16], v21 offset:848
	v_add_f32_e32 v24, v24, v148
	s_wait_loadcnt_dscnt 0x202
	v_mul_f32_e32 v144, v3, v8
	v_dual_mul_f32 v8, v4, v8 :: v_dual_add_f32 v151, v142, v190
	ds_load_b64 v[142:143], v21 offset:880
	s_wait_dscnt 0x1
	v_dual_fmac_f32 v144, v4, v7 :: v_dual_mul_f32 v147, v15, v12
	s_delay_alu instid0(VALU_DEP_1) | instskip(SKIP_2) | instid1(VALU_DEP_1)
	v_fmac_f32_e32 v147, v16, v11
	s_wait_loadcnt_dscnt 0x0
	v_dual_add_f32 v145, v151, v145 :: v_dual_mul_f32 v148, v142, v136
	v_add_f32_e32 v145, v145, v146
	v_mul_f32_e32 v146, v13, v10
	s_delay_alu instid0(VALU_DEP_2) | instskip(SKIP_1) | instid1(VALU_DEP_2)
	v_dual_fmac_f32 v148, v143, v135 :: v_dual_add_f32 v145, v145, v149
	v_mul_f32_e32 v149, v138, v18
	v_dual_fmac_f32 v146, v14, v9 :: v_dual_add_f32 v145, v145, v150
	s_delay_alu instid0(VALU_DEP_2) | instskip(SKIP_2) | instid1(VALU_DEP_2)
	v_fmac_f32_e32 v149, v139, v17
	v_mul_f32_e32 v151, v1, v6
	v_mul_f32_e32 v6, v2, v6
	v_dual_mul_f32 v150, v140, v20 :: v_dual_fmac_f32 v151, v2, v5
	s_delay_alu instid0(VALU_DEP_2) | instskip(SKIP_3) | instid1(VALU_DEP_4)
	v_fma_f32 v1, v1, v5, -v6
	v_fma_f32 v2, v3, v7, -v8
	v_mul_f32_e32 v3, v14, v10
	v_mul_f32_e32 v5, v16, v12
	v_dual_add_f32 v4, v24, v151 :: v_dual_add_f32 v1, v145, v1
	v_fmac_f32_e32 v150, v141, v19
	s_delay_alu instid0(VALU_DEP_4) | instskip(NEXT) | instid1(VALU_DEP_4)
	v_fma_f32 v3, v13, v9, -v3
	v_fma_f32 v5, v15, v11, -v5
	s_delay_alu instid0(VALU_DEP_4) | instskip(NEXT) | instid1(VALU_DEP_1)
	v_dual_add_f32 v1, v1, v2 :: v_dual_add_f32 v2, v4, v144
	v_dual_mul_f32 v4, v139, v18 :: v_dual_add_f32 v1, v1, v3
	s_delay_alu instid0(VALU_DEP_2) | instskip(NEXT) | instid1(VALU_DEP_2)
	v_dual_add_f32 v2, v2, v146 :: v_dual_mul_f32 v3, v141, v20
	v_fma_f32 v4, v138, v17, -v4
	s_delay_alu instid0(VALU_DEP_2) | instskip(SKIP_1) | instid1(VALU_DEP_4)
	v_dual_add_f32 v1, v1, v5 :: v_dual_add_f32 v2, v2, v147
	v_mul_f32_e32 v5, v143, v136
	v_fma_f32 v3, v140, v19, -v3
	s_delay_alu instid0(VALU_DEP_3) | instskip(NEXT) | instid1(VALU_DEP_3)
	v_dual_add_f32 v1, v1, v4 :: v_dual_add_f32 v2, v2, v149
	v_fma_f32 v4, v142, v135, -v5
	s_delay_alu instid0(VALU_DEP_2) | instskip(NEXT) | instid1(VALU_DEP_1)
	v_dual_add_f32 v1, v1, v3 :: v_dual_add_f32 v2, v2, v150
	v_add_f32_e32 v1, v1, v4
	s_delay_alu instid0(VALU_DEP_2) | instskip(NEXT) | instid1(VALU_DEP_1)
	v_add_f32_e32 v2, v2, v148
	v_dual_sub_f32 v1, v22, v1 :: v_dual_sub_f32 v2, v23, v2
	scratch_store_b64 off, v[1:2], off offset:88
	v_cmpx_lt_u32_e32 10, v0
	s_cbranch_execz .LBB118_323
; %bb.322:
	scratch_load_b64 v[1:2], off, off offset:80
	v_mov_b32_e32 v22, v21
	scratch_store_b64 off, v[21:22], off offset:80
	s_wait_loadcnt 0x0
	ds_store_b64 v137, v[1:2]
.LBB118_323:
	s_wait_alu 0xfffe
	s_or_b32 exec_lo, exec_lo, s0
	s_wait_storecnt_dscnt 0x0
	s_barrier_signal -1
	s_barrier_wait -1
	global_inv scope:SCOPE_SE
	s_clause 0x4
	scratch_load_b128 v[5:8], off, off offset:88
	scratch_load_b128 v[1:4], off, off offset:104
	;; [unrolled: 1-line block ×5, first 2 shown]
	ds_load_2addr_b64 v[138:141], v21 offset0:67 offset1:68
	ds_load_2addr_b64 v[142:145], v21 offset0:69 offset1:70
	;; [unrolled: 1-line block ×3, first 2 shown]
	scratch_load_b64 v[135:136], off, off offset:80
	s_mov_b32 s0, exec_lo
	s_wait_loadcnt_dscnt 0x502
	v_mul_f32_e32 v22, v139, v6
	v_dual_mul_f32 v23, v138, v6 :: v_dual_mul_f32 v24, v140, v8
	v_mul_f32_e32 v6, v141, v8
	s_delay_alu instid0(VALU_DEP_3) | instskip(NEXT) | instid1(VALU_DEP_3)
	v_fma_f32 v22, v138, v5, -v22
	v_dual_fmac_f32 v23, v139, v5 :: v_dual_fmac_f32 v24, v141, v7
	s_wait_loadcnt_dscnt 0x401
	v_mul_f32_e32 v139, v142, v2
	v_fma_f32 v138, v140, v7, -v6
	ds_load_2addr_b64 v[5:8], v21 offset0:73 offset1:74
	s_wait_loadcnt_dscnt 0x301
	v_dual_mul_f32 v140, v144, v4 :: v_dual_mul_f32 v141, v146, v10
	v_dual_mul_f32 v4, v145, v4 :: v_dual_fmac_f32 v139, v143, v1
	v_mul_f32_e32 v10, v147, v10
	s_delay_alu instid0(VALU_DEP_3)
	v_dual_mul_f32 v150, v148, v12 :: v_dual_fmac_f32 v141, v147, v9
	v_mul_f32_e32 v12, v149, v12
	v_mul_f32_e32 v2, v143, v2
	v_fmac_f32_e32 v140, v145, v3
	v_fma_f32 v143, v144, v3, -v4
	v_fma_f32 v144, v146, v9, -v10
	v_fmac_f32_e32 v150, v149, v11
	v_fma_f32 v145, v148, v11, -v12
	ds_load_2addr_b64 v[9:12], v21 offset0:75 offset1:76
	s_wait_loadcnt_dscnt 0x201
	v_mul_f32_e32 v146, v5, v14
	v_dual_mul_f32 v14, v6, v14 :: v_dual_mul_f32 v147, v7, v16
	v_mul_f32_e32 v16, v8, v16
	s_delay_alu instid0(VALU_DEP_3) | instskip(NEXT) | instid1(VALU_DEP_3)
	v_fmac_f32_e32 v146, v6, v13
	v_fma_f32 v13, v5, v13, -v14
	s_delay_alu instid0(VALU_DEP_4) | instskip(NEXT) | instid1(VALU_DEP_4)
	v_fmac_f32_e32 v147, v8, v15
	v_fma_f32 v14, v7, v15, -v16
	ds_load_2addr_b64 v[5:8], v21 offset0:77 offset1:78
	s_wait_loadcnt_dscnt 0x101
	v_mul_f32_e32 v15, v9, v18
	v_mul_f32_e32 v16, v10, v18
	;; [unrolled: 1-line block ×3, first 2 shown]
	s_delay_alu instid0(VALU_DEP_3)
	v_dual_mul_f32 v20, v12, v20 :: v_dual_fmac_f32 v15, v10, v17
	v_fma_f32 v142, v142, v1, -v2
	scratch_load_b128 v[1:4], off, off offset:168
	v_fma_f32 v16, v9, v17, -v16
	v_fmac_f32_e32 v18, v12, v19
	v_fma_f32 v17, v11, v19, -v20
	scratch_load_b128 v[9:12], off, off offset:184
	s_wait_loadcnt_dscnt 0x100
	v_mul_f32_e32 v19, v5, v2
	v_mul_f32_e32 v2, v6, v2
	;; [unrolled: 1-line block ×3, first 2 shown]
	s_delay_alu instid0(VALU_DEP_3) | instskip(NEXT) | instid1(VALU_DEP_3)
	v_dual_mul_f32 v4, v8, v4 :: v_dual_fmac_f32 v19, v6, v1
	v_fma_f32 v148, v5, v1, -v2
	s_delay_alu instid0(VALU_DEP_3) | instskip(NEXT) | instid1(VALU_DEP_3)
	v_fmac_f32_e32 v20, v8, v3
	v_fma_f32 v149, v7, v3, -v4
	ds_load_2addr_b64 v[1:4], v21 offset0:79 offset1:80
	ds_load_2addr_b64 v[5:8], v21 offset0:81 offset1:82
	s_wait_loadcnt_dscnt 0x1
	v_mul_f32_e32 v151, v1, v10
	v_mul_f32_e32 v10, v2, v10
	s_delay_alu instid0(VALU_DEP_2) | instskip(NEXT) | instid1(VALU_DEP_2)
	v_dual_mul_f32 v152, v3, v12 :: v_dual_fmac_f32 v151, v2, v9
	v_fma_f32 v153, v1, v9, -v10
	v_mul_f32_e32 v1, v4, v12
	s_delay_alu instid0(VALU_DEP_3) | instskip(NEXT) | instid1(VALU_DEP_2)
	v_fmac_f32_e32 v152, v4, v11
	v_fma_f32 v154, v3, v11, -v1
	s_clause 0x1
	scratch_load_b128 v[1:4], off, off offset:200
	scratch_load_b128 v[9:12], off, off offset:216
	s_wait_loadcnt_dscnt 0x100
	v_mul_f32_e32 v155, v5, v2
	v_dual_mul_f32 v2, v6, v2 :: v_dual_mul_f32 v157, v7, v4
	s_delay_alu instid0(VALU_DEP_2) | instskip(NEXT) | instid1(VALU_DEP_2)
	v_fmac_f32_e32 v155, v6, v1
	v_fma_f32 v156, v5, v1, -v2
	v_mul_f32_e32 v1, v8, v4
	s_delay_alu instid0(VALU_DEP_4) | instskip(NEXT) | instid1(VALU_DEP_2)
	v_fmac_f32_e32 v157, v8, v3
	v_fma_f32 v158, v7, v3, -v1
	ds_load_2addr_b64 v[1:4], v21 offset0:83 offset1:84
	ds_load_2addr_b64 v[5:8], v21 offset0:85 offset1:86
	s_wait_loadcnt_dscnt 0x1
	v_mul_f32_e32 v159, v1, v10
	v_mul_f32_e32 v161, v3, v12
	s_delay_alu instid0(VALU_DEP_2) | instskip(NEXT) | instid1(VALU_DEP_2)
	v_fmac_f32_e32 v159, v2, v9
	v_dual_mul_f32 v2, v2, v10 :: v_dual_fmac_f32 v161, v4, v11
	s_delay_alu instid0(VALU_DEP_1) | instskip(SKIP_1) | instid1(VALU_DEP_1)
	v_fma_f32 v160, v1, v9, -v2
	v_mul_f32_e32 v1, v4, v12
	v_fma_f32 v162, v3, v11, -v1
	s_clause 0x1
	scratch_load_b128 v[1:4], off, off offset:232
	scratch_load_b128 v[9:12], off, off offset:248
	s_wait_loadcnt_dscnt 0x100
	v_mul_f32_e32 v163, v5, v2
	v_dual_mul_f32 v2, v6, v2 :: v_dual_mul_f32 v165, v7, v4
	s_delay_alu instid0(VALU_DEP_2) | instskip(NEXT) | instid1(VALU_DEP_2)
	v_fmac_f32_e32 v163, v6, v1
	v_fma_f32 v164, v5, v1, -v2
	v_mul_f32_e32 v1, v8, v4
	s_delay_alu instid0(VALU_DEP_4) | instskip(NEXT) | instid1(VALU_DEP_2)
	v_fmac_f32_e32 v165, v8, v3
	v_fma_f32 v166, v7, v3, -v1
	ds_load_2addr_b64 v[1:4], v21 offset0:87 offset1:88
	ds_load_2addr_b64 v[5:8], v21 offset0:89 offset1:90
	s_wait_loadcnt_dscnt 0x1
	v_mul_f32_e32 v167, v1, v10
	v_mul_f32_e32 v169, v3, v12
	s_delay_alu instid0(VALU_DEP_2) | instskip(NEXT) | instid1(VALU_DEP_2)
	v_fmac_f32_e32 v167, v2, v9
	v_dual_mul_f32 v2, v2, v10 :: v_dual_fmac_f32 v169, v4, v11
	s_delay_alu instid0(VALU_DEP_1) | instskip(SKIP_1) | instid1(VALU_DEP_1)
	v_fma_f32 v168, v1, v9, -v2
	v_mul_f32_e32 v1, v4, v12
	v_fma_f32 v170, v3, v11, -v1
	s_clause 0x1
	scratch_load_b128 v[1:4], off, off offset:264
	scratch_load_b128 v[9:12], off, off offset:280
	s_wait_loadcnt_dscnt 0x100
	v_mul_f32_e32 v171, v5, v2
	v_dual_mul_f32 v2, v6, v2 :: v_dual_mul_f32 v173, v7, v4
	s_delay_alu instid0(VALU_DEP_2) | instskip(NEXT) | instid1(VALU_DEP_2)
	v_fmac_f32_e32 v171, v6, v1
	v_fma_f32 v172, v5, v1, -v2
	v_mul_f32_e32 v1, v8, v4
	s_delay_alu instid0(VALU_DEP_4) | instskip(NEXT) | instid1(VALU_DEP_2)
	v_fmac_f32_e32 v173, v8, v3
	v_fma_f32 v174, v7, v3, -v1
	ds_load_2addr_b64 v[1:4], v21 offset0:91 offset1:92
	ds_load_2addr_b64 v[5:8], v21 offset0:93 offset1:94
	s_wait_loadcnt_dscnt 0x1
	v_mul_f32_e32 v175, v1, v10
	v_mul_f32_e32 v177, v3, v12
	s_delay_alu instid0(VALU_DEP_2) | instskip(NEXT) | instid1(VALU_DEP_2)
	v_fmac_f32_e32 v175, v2, v9
	v_dual_mul_f32 v2, v2, v10 :: v_dual_fmac_f32 v177, v4, v11
	s_delay_alu instid0(VALU_DEP_1) | instskip(SKIP_1) | instid1(VALU_DEP_1)
	v_fma_f32 v176, v1, v9, -v2
	v_mul_f32_e32 v1, v4, v12
	v_fma_f32 v178, v3, v11, -v1
	s_clause 0x1
	scratch_load_b128 v[1:4], off, off offset:296
	scratch_load_b128 v[9:12], off, off offset:312
	s_wait_loadcnt_dscnt 0x100
	v_mul_f32_e32 v179, v5, v2
	v_dual_mul_f32 v2, v6, v2 :: v_dual_mul_f32 v181, v7, v4
	s_delay_alu instid0(VALU_DEP_2) | instskip(NEXT) | instid1(VALU_DEP_2)
	v_fmac_f32_e32 v179, v6, v1
	v_fma_f32 v180, v5, v1, -v2
	v_mul_f32_e32 v1, v8, v4
	s_delay_alu instid0(VALU_DEP_4) | instskip(NEXT) | instid1(VALU_DEP_2)
	v_fmac_f32_e32 v181, v8, v3
	v_fma_f32 v182, v7, v3, -v1
	ds_load_2addr_b64 v[1:4], v21 offset0:95 offset1:96
	ds_load_2addr_b64 v[5:8], v21 offset0:97 offset1:98
	s_wait_loadcnt_dscnt 0x1
	v_mul_f32_e32 v183, v1, v10
	v_mul_f32_e32 v185, v3, v12
	s_delay_alu instid0(VALU_DEP_2) | instskip(NEXT) | instid1(VALU_DEP_2)
	v_fmac_f32_e32 v183, v2, v9
	v_dual_mul_f32 v2, v2, v10 :: v_dual_fmac_f32 v185, v4, v11
	s_delay_alu instid0(VALU_DEP_1) | instskip(SKIP_1) | instid1(VALU_DEP_1)
	v_fma_f32 v184, v1, v9, -v2
	v_mul_f32_e32 v1, v4, v12
	v_fma_f32 v186, v3, v11, -v1
	s_clause 0x1
	scratch_load_b128 v[1:4], off, off offset:328
	scratch_load_b128 v[9:12], off, off offset:344
	s_wait_loadcnt_dscnt 0x100
	v_mul_f32_e32 v187, v5, v2
	v_dual_mul_f32 v2, v6, v2 :: v_dual_mul_f32 v189, v7, v4
	s_delay_alu instid0(VALU_DEP_2) | instskip(NEXT) | instid1(VALU_DEP_2)
	v_fmac_f32_e32 v187, v6, v1
	v_fma_f32 v188, v5, v1, -v2
	v_mul_f32_e32 v1, v8, v4
	s_delay_alu instid0(VALU_DEP_4) | instskip(NEXT) | instid1(VALU_DEP_2)
	v_fmac_f32_e32 v189, v8, v3
	v_fma_f32 v190, v7, v3, -v1
	ds_load_2addr_b64 v[1:4], v21 offset0:99 offset1:100
	ds_load_2addr_b64 v[5:8], v21 offset0:101 offset1:102
	s_wait_loadcnt_dscnt 0x1
	v_mul_f32_e32 v191, v1, v10
	v_mul_f32_e32 v193, v3, v12
	s_delay_alu instid0(VALU_DEP_2) | instskip(NEXT) | instid1(VALU_DEP_2)
	v_fmac_f32_e32 v191, v2, v9
	v_dual_mul_f32 v2, v2, v10 :: v_dual_fmac_f32 v193, v4, v11
	s_delay_alu instid0(VALU_DEP_1) | instskip(SKIP_1) | instid1(VALU_DEP_1)
	v_fma_f32 v192, v1, v9, -v2
	v_mul_f32_e32 v1, v4, v12
	v_fma_f32 v194, v3, v11, -v1
	s_clause 0x1
	scratch_load_b128 v[1:4], off, off offset:360
	scratch_load_b128 v[9:12], off, off offset:376
	s_wait_loadcnt_dscnt 0x100
	v_mul_f32_e32 v195, v5, v2
	v_mul_f32_e32 v2, v6, v2
	s_delay_alu instid0(VALU_DEP_2) | instskip(NEXT) | instid1(VALU_DEP_2)
	v_fmac_f32_e32 v195, v6, v1
	v_fma_f32 v196, v5, v1, -v2
	v_dual_mul_f32 v1, v8, v4 :: v_dual_add_f32 v2, 0, v23
	s_delay_alu instid0(VALU_DEP_1) | instskip(NEXT) | instid1(VALU_DEP_2)
	v_fma_f32 v198, v7, v3, -v1
	v_dual_add_f32 v1, 0, v22 :: v_dual_add_f32 v2, v2, v24
	s_delay_alu instid0(VALU_DEP_1) | instskip(NEXT) | instid1(VALU_DEP_1)
	v_dual_add_f32 v1, v1, v138 :: v_dual_add_f32 v2, v2, v139
	v_dual_add_f32 v1, v1, v142 :: v_dual_add_f32 v2, v2, v140
	s_delay_alu instid0(VALU_DEP_1) | instskip(NEXT) | instid1(VALU_DEP_1)
	v_dual_add_f32 v1, v1, v143 :: v_dual_add_f32 v2, v2, v141
	;; [unrolled: 3-line block ×5, first 2 shown]
	v_add_f32_e32 v1, v1, v148
	s_delay_alu instid0(VALU_DEP_1) | instskip(NEXT) | instid1(VALU_DEP_1)
	v_dual_add_f32 v2, v2, v20 :: v_dual_add_f32 v1, v1, v149
	v_dual_add_f32 v2, v2, v151 :: v_dual_add_f32 v1, v1, v153
	s_delay_alu instid0(VALU_DEP_1) | instskip(NEXT) | instid1(VALU_DEP_1)
	v_dual_add_f32 v2, v2, v152 :: v_dual_add_f32 v1, v1, v154
	v_dual_add_f32 v2, v2, v155 :: v_dual_add_f32 v1, v1, v156
	;; [unrolled: 3-line block ×4, first 2 shown]
	s_delay_alu instid0(VALU_DEP_1) | instskip(NEXT) | instid1(VALU_DEP_1)
	v_dual_add_f32 v2, v2, v165 :: v_dual_add_f32 v1, v1, v166
	v_add_f32_e32 v1, v1, v168
	s_delay_alu instid0(VALU_DEP_1) | instskip(NEXT) | instid1(VALU_DEP_1)
	v_dual_add_f32 v6, v1, v170 :: v_dual_add_f32 v5, v2, v167
	v_dual_add_f32 v6, v6, v172 :: v_dual_add_f32 v5, v5, v169
	s_delay_alu instid0(VALU_DEP_1) | instskip(NEXT) | instid1(VALU_DEP_2)
	v_add_f32_e32 v13, v6, v174
	v_add_f32_e32 v5, v5, v171
	v_mul_f32_e32 v197, v7, v4
	s_delay_alu instid0(VALU_DEP_3) | instskip(NEXT) | instid1(VALU_DEP_2)
	v_add_f32_e32 v13, v13, v176
	v_dual_add_f32 v14, v5, v173 :: v_dual_fmac_f32 v197, v8, v3
	ds_load_2addr_b64 v[1:4], v21 offset0:103 offset1:104
	ds_load_2addr_b64 v[5:8], v21 offset0:105 offset1:106
	v_add_f32_e32 v13, v13, v178
	s_delay_alu instid0(VALU_DEP_1) | instskip(NEXT) | instid1(VALU_DEP_1)
	v_add_f32_e32 v13, v13, v180
	v_add_f32_e32 v18, v13, v182
	s_delay_alu instid0(VALU_DEP_1)
	v_add_f32_e32 v18, v18, v184
	s_wait_loadcnt_dscnt 0x1
	v_dual_mul_f32 v138, v1, v10 :: v_dual_mul_f32 v139, v3, v12
	v_mul_f32_e32 v10, v2, v10
	v_mul_f32_e32 v12, v4, v12
	v_add_f32_e32 v14, v14, v175
	s_delay_alu instid0(VALU_DEP_4) | instskip(NEXT) | instid1(VALU_DEP_4)
	v_dual_fmac_f32 v138, v2, v9 :: v_dual_fmac_f32 v139, v4, v11
	v_fma_f32 v140, v1, v9, -v10
	s_delay_alu instid0(VALU_DEP_4)
	v_fma_f32 v141, v3, v11, -v12
	s_clause 0x1
	scratch_load_b128 v[1:4], off, off offset:392
	scratch_load_b128 v[9:12], off, off offset:408
	v_add_f32_e32 v14, v14, v177
	v_add_f32_e32 v18, v18, v186
	s_delay_alu instid0(VALU_DEP_2) | instskip(SKIP_2) | instid1(VALU_DEP_1)
	v_add_f32_e32 v17, v14, v179
	scratch_load_b128 v[13:16], off, off offset:424
	v_dual_add_f32 v22, v18, v188 :: v_dual_add_f32 v17, v17, v181
	v_add_f32_e32 v142, v22, v190
	s_delay_alu instid0(VALU_DEP_1) | instskip(NEXT) | instid1(VALU_DEP_1)
	v_add_f32_e32 v142, v142, v192
	v_add_f32_e32 v142, v142, v194
	s_delay_alu instid0(VALU_DEP_1) | instskip(NEXT) | instid1(VALU_DEP_1)
	v_add_f32_e32 v142, v142, v196
	v_add_f32_e32 v142, v142, v198
	s_delay_alu instid0(VALU_DEP_1)
	v_add_f32_e32 v140, v142, v140
	s_wait_loadcnt_dscnt 0x200
	v_mul_f32_e32 v144, v5, v2
	v_add_f32_e32 v17, v17, v183
	v_mul_f32_e32 v145, v7, v4
	v_mul_f32_e32 v4, v8, v4
	;; [unrolled: 1-line block ×3, first 2 shown]
	v_fmac_f32_e32 v144, v6, v1
	v_add_f32_e32 v17, v17, v185
	v_fmac_f32_e32 v145, v8, v3
	v_fma_f32 v3, v7, v3, -v4
	v_fma_f32 v2, v5, v1, -v2
	v_add_f32_e32 v1, v140, v141
	v_add_f32_e32 v23, v17, v187
	ds_load_2addr_b64 v[17:20], v21 offset0:107 offset1:108
	v_add_f32_e32 v1, v1, v2
	v_add_f32_e32 v143, v23, v189
	ds_load_2addr_b64 v[21:24], v21 offset0:109 offset1:110
	v_add_f32_e32 v1, v1, v3
	s_wait_loadcnt_dscnt 0x101
	v_mul_f32_e32 v146, v17, v10
	v_dual_mul_f32 v6, v18, v10 :: v_dual_mul_f32 v147, v19, v12
	v_mul_f32_e32 v4, v20, v12
	s_wait_loadcnt_dscnt 0x0
	v_dual_mul_f32 v148, v21, v14 :: v_dual_add_f32 v143, v143, v191
	v_fmac_f32_e32 v146, v18, v9
	v_mul_f32_e32 v3, v22, v14
	v_fmac_f32_e32 v147, v20, v11
	v_fma_f32 v4, v19, v11, -v4
	v_add_f32_e32 v143, v143, v193
	v_mul_f32_e32 v142, v23, v16
	v_fmac_f32_e32 v148, v22, v13
	v_fma_f32 v3, v21, v13, -v3
	s_delay_alu instid0(VALU_DEP_4) | instskip(NEXT) | instid1(VALU_DEP_1)
	v_add_f32_e32 v143, v143, v195
	v_dual_fmac_f32 v142, v24, v15 :: v_dual_add_f32 v143, v143, v197
	s_delay_alu instid0(VALU_DEP_1) | instskip(NEXT) | instid1(VALU_DEP_1)
	v_add_f32_e32 v138, v143, v138
	v_add_f32_e32 v5, v138, v139
	s_delay_alu instid0(VALU_DEP_1) | instskip(SKIP_1) | instid1(VALU_DEP_2)
	v_add_f32_e32 v2, v5, v144
	v_fma_f32 v5, v17, v9, -v6
	v_add_f32_e32 v2, v2, v145
	s_delay_alu instid0(VALU_DEP_2) | instskip(NEXT) | instid1(VALU_DEP_2)
	v_add_f32_e32 v1, v1, v5
	v_dual_mul_f32 v5, v24, v16 :: v_dual_add_f32 v2, v2, v146
	s_delay_alu instid0(VALU_DEP_2) | instskip(NEXT) | instid1(VALU_DEP_2)
	v_add_f32_e32 v1, v1, v4
	v_fma_f32 v4, v23, v15, -v5
	s_delay_alu instid0(VALU_DEP_3) | instskip(NEXT) | instid1(VALU_DEP_1)
	v_add_f32_e32 v2, v2, v147
	v_dual_add_f32 v1, v1, v3 :: v_dual_add_f32 v2, v2, v148
	s_delay_alu instid0(VALU_DEP_1) | instskip(NEXT) | instid1(VALU_DEP_1)
	v_dual_add_f32 v1, v1, v4 :: v_dual_add_f32 v2, v2, v142
	v_dual_sub_f32 v1, v135, v1 :: v_dual_sub_f32 v2, v136, v2
	scratch_store_b64 off, v[1:2], off offset:80
	v_cmpx_lt_u32_e32 9, v0
	s_cbranch_execz .LBB118_325
; %bb.324:
	scratch_load_b64 v[1:2], off, off offset:72
	v_mov_b32_e32 v3, 0
	s_delay_alu instid0(VALU_DEP_1)
	v_mov_b32_e32 v4, v3
	scratch_store_b64 off, v[3:4], off offset:72
	s_wait_loadcnt 0x0
	ds_store_b64 v137, v[1:2]
.LBB118_325:
	s_wait_alu 0xfffe
	s_or_b32 exec_lo, exec_lo, s0
	s_wait_storecnt_dscnt 0x0
	s_barrier_signal -1
	s_barrier_wait -1
	global_inv scope:SCOPE_SE
	s_clause 0x4
	scratch_load_b128 v[5:8], off, off offset:80
	scratch_load_b128 v[1:4], off, off offset:96
	;; [unrolled: 1-line block ×5, first 2 shown]
	v_mov_b32_e32 v21, 0
	ds_load_b128 v[138:141], v21 offset:528
	ds_load_b128 v[142:145], v21 offset:544
	;; [unrolled: 1-line block ×3, first 2 shown]
	scratch_load_b64 v[22:23], off, off offset:72
	s_mov_b32 s0, exec_lo
	s_wait_loadcnt_dscnt 0x502
	v_mul_f32_e32 v24, v139, v6
	v_dual_mul_f32 v135, v138, v6 :: v_dual_mul_f32 v136, v140, v8
	v_mul_f32_e32 v6, v141, v8
	s_delay_alu instid0(VALU_DEP_3) | instskip(NEXT) | instid1(VALU_DEP_3)
	v_fma_f32 v24, v138, v5, -v24
	v_dual_fmac_f32 v135, v139, v5 :: v_dual_fmac_f32 v136, v141, v7
	s_wait_loadcnt_dscnt 0x401
	v_mul_f32_e32 v139, v142, v2
	v_fma_f32 v138, v140, v7, -v6
	ds_load_b128 v[5:8], v21 offset:576
	s_wait_loadcnt_dscnt 0x301
	v_dual_mul_f32 v140, v144, v4 :: v_dual_mul_f32 v141, v146, v10
	v_dual_mul_f32 v4, v145, v4 :: v_dual_fmac_f32 v139, v143, v1
	v_mul_f32_e32 v10, v147, v10
	s_delay_alu instid0(VALU_DEP_3)
	v_dual_mul_f32 v150, v148, v12 :: v_dual_fmac_f32 v141, v147, v9
	v_mul_f32_e32 v12, v149, v12
	v_mul_f32_e32 v2, v143, v2
	v_fmac_f32_e32 v140, v145, v3
	v_fma_f32 v143, v144, v3, -v4
	v_fma_f32 v144, v146, v9, -v10
	v_fmac_f32_e32 v150, v149, v11
	v_fma_f32 v145, v148, v11, -v12
	ds_load_b128 v[9:12], v21 offset:592
	s_wait_loadcnt_dscnt 0x201
	v_dual_mul_f32 v147, v7, v16 :: v_dual_mul_f32 v146, v5, v14
	v_mul_f32_e32 v14, v6, v14
	v_mul_f32_e32 v16, v8, v16
	s_delay_alu instid0(VALU_DEP_3)
	v_fmac_f32_e32 v147, v8, v15
	v_fma_f32 v142, v142, v1, -v2
	scratch_load_b128 v[1:4], off, off offset:160
	v_fmac_f32_e32 v146, v6, v13
	v_fma_f32 v13, v5, v13, -v14
	v_fma_f32 v14, v7, v15, -v16
	ds_load_b128 v[5:8], v21 offset:608
	s_wait_loadcnt_dscnt 0x201
	v_mul_f32_e32 v15, v9, v18
	v_mul_f32_e32 v16, v10, v18
	;; [unrolled: 1-line block ×3, first 2 shown]
	s_delay_alu instid0(VALU_DEP_3) | instskip(NEXT) | instid1(VALU_DEP_3)
	v_dual_mul_f32 v20, v12, v20 :: v_dual_fmac_f32 v15, v10, v17
	v_fma_f32 v16, v9, v17, -v16
	s_delay_alu instid0(VALU_DEP_3) | instskip(NEXT) | instid1(VALU_DEP_3)
	v_fmac_f32_e32 v18, v12, v19
	v_fma_f32 v17, v11, v19, -v20
	scratch_load_b128 v[9:12], off, off offset:176
	s_wait_loadcnt_dscnt 0x100
	v_mul_f32_e32 v19, v5, v2
	v_mul_f32_e32 v2, v6, v2
	v_mul_f32_e32 v20, v7, v4
	s_delay_alu instid0(VALU_DEP_3) | instskip(NEXT) | instid1(VALU_DEP_3)
	v_dual_mul_f32 v4, v8, v4 :: v_dual_fmac_f32 v19, v6, v1
	v_fma_f32 v148, v5, v1, -v2
	s_delay_alu instid0(VALU_DEP_3) | instskip(NEXT) | instid1(VALU_DEP_3)
	v_fmac_f32_e32 v20, v8, v3
	v_fma_f32 v149, v7, v3, -v4
	ds_load_b128 v[1:4], v21 offset:624
	ds_load_b128 v[5:8], v21 offset:640
	s_wait_loadcnt_dscnt 0x1
	v_mul_f32_e32 v151, v1, v10
	v_mul_f32_e32 v10, v2, v10
	s_delay_alu instid0(VALU_DEP_2) | instskip(NEXT) | instid1(VALU_DEP_2)
	v_dual_mul_f32 v152, v3, v12 :: v_dual_fmac_f32 v151, v2, v9
	v_fma_f32 v153, v1, v9, -v10
	v_mul_f32_e32 v1, v4, v12
	s_delay_alu instid0(VALU_DEP_3) | instskip(NEXT) | instid1(VALU_DEP_2)
	v_fmac_f32_e32 v152, v4, v11
	v_fma_f32 v154, v3, v11, -v1
	s_clause 0x1
	scratch_load_b128 v[1:4], off, off offset:192
	scratch_load_b128 v[9:12], off, off offset:208
	s_wait_loadcnt_dscnt 0x100
	v_mul_f32_e32 v155, v5, v2
	v_dual_mul_f32 v2, v6, v2 :: v_dual_mul_f32 v157, v7, v4
	s_delay_alu instid0(VALU_DEP_2) | instskip(NEXT) | instid1(VALU_DEP_2)
	v_fmac_f32_e32 v155, v6, v1
	v_fma_f32 v156, v5, v1, -v2
	v_mul_f32_e32 v1, v8, v4
	s_delay_alu instid0(VALU_DEP_4) | instskip(NEXT) | instid1(VALU_DEP_2)
	v_fmac_f32_e32 v157, v8, v3
	v_fma_f32 v158, v7, v3, -v1
	ds_load_b128 v[1:4], v21 offset:656
	ds_load_b128 v[5:8], v21 offset:672
	s_wait_loadcnt_dscnt 0x1
	v_mul_f32_e32 v159, v1, v10
	v_mul_f32_e32 v161, v3, v12
	s_delay_alu instid0(VALU_DEP_2) | instskip(NEXT) | instid1(VALU_DEP_2)
	v_fmac_f32_e32 v159, v2, v9
	v_dual_mul_f32 v2, v2, v10 :: v_dual_fmac_f32 v161, v4, v11
	s_delay_alu instid0(VALU_DEP_1) | instskip(SKIP_1) | instid1(VALU_DEP_1)
	v_fma_f32 v160, v1, v9, -v2
	v_mul_f32_e32 v1, v4, v12
	v_fma_f32 v162, v3, v11, -v1
	s_clause 0x1
	scratch_load_b128 v[1:4], off, off offset:224
	scratch_load_b128 v[9:12], off, off offset:240
	s_wait_loadcnt_dscnt 0x100
	v_mul_f32_e32 v163, v5, v2
	v_dual_mul_f32 v165, v7, v4 :: v_dual_mul_f32 v2, v6, v2
	s_delay_alu instid0(VALU_DEP_2) | instskip(NEXT) | instid1(VALU_DEP_2)
	v_fmac_f32_e32 v163, v6, v1
	v_fmac_f32_e32 v165, v8, v3
	s_delay_alu instid0(VALU_DEP_3) | instskip(SKIP_1) | instid1(VALU_DEP_1)
	v_fma_f32 v164, v5, v1, -v2
	v_mul_f32_e32 v1, v8, v4
	v_fma_f32 v166, v7, v3, -v1
	ds_load_b128 v[1:4], v21 offset:688
	ds_load_b128 v[5:8], v21 offset:704
	s_wait_loadcnt_dscnt 0x1
	v_mul_f32_e32 v167, v1, v10
	v_mul_f32_e32 v169, v3, v12
	s_delay_alu instid0(VALU_DEP_2) | instskip(NEXT) | instid1(VALU_DEP_2)
	v_fmac_f32_e32 v167, v2, v9
	v_dual_mul_f32 v2, v2, v10 :: v_dual_fmac_f32 v169, v4, v11
	s_delay_alu instid0(VALU_DEP_1) | instskip(SKIP_1) | instid1(VALU_DEP_1)
	v_fma_f32 v168, v1, v9, -v2
	v_mul_f32_e32 v1, v4, v12
	v_fma_f32 v170, v3, v11, -v1
	s_clause 0x1
	scratch_load_b128 v[1:4], off, off offset:256
	scratch_load_b128 v[9:12], off, off offset:272
	s_wait_loadcnt_dscnt 0x100
	v_mul_f32_e32 v171, v5, v2
	v_dual_mul_f32 v2, v6, v2 :: v_dual_mul_f32 v173, v7, v4
	s_delay_alu instid0(VALU_DEP_2) | instskip(NEXT) | instid1(VALU_DEP_2)
	v_fmac_f32_e32 v171, v6, v1
	v_fma_f32 v172, v5, v1, -v2
	v_mul_f32_e32 v1, v8, v4
	s_delay_alu instid0(VALU_DEP_4) | instskip(NEXT) | instid1(VALU_DEP_2)
	v_fmac_f32_e32 v173, v8, v3
	v_fma_f32 v174, v7, v3, -v1
	ds_load_b128 v[1:4], v21 offset:720
	ds_load_b128 v[5:8], v21 offset:736
	s_wait_loadcnt_dscnt 0x1
	v_mul_f32_e32 v175, v1, v10
	v_mul_f32_e32 v177, v3, v12
	s_delay_alu instid0(VALU_DEP_2) | instskip(NEXT) | instid1(VALU_DEP_2)
	v_fmac_f32_e32 v175, v2, v9
	v_dual_mul_f32 v2, v2, v10 :: v_dual_fmac_f32 v177, v4, v11
	s_delay_alu instid0(VALU_DEP_1) | instskip(SKIP_1) | instid1(VALU_DEP_1)
	v_fma_f32 v176, v1, v9, -v2
	v_mul_f32_e32 v1, v4, v12
	v_fma_f32 v178, v3, v11, -v1
	s_clause 0x1
	scratch_load_b128 v[1:4], off, off offset:288
	scratch_load_b128 v[9:12], off, off offset:304
	s_wait_loadcnt_dscnt 0x100
	v_mul_f32_e32 v179, v5, v2
	v_dual_mul_f32 v2, v6, v2 :: v_dual_mul_f32 v181, v7, v4
	s_delay_alu instid0(VALU_DEP_2) | instskip(NEXT) | instid1(VALU_DEP_2)
	v_fmac_f32_e32 v179, v6, v1
	v_fma_f32 v180, v5, v1, -v2
	v_mul_f32_e32 v1, v8, v4
	s_delay_alu instid0(VALU_DEP_4) | instskip(NEXT) | instid1(VALU_DEP_2)
	v_fmac_f32_e32 v181, v8, v3
	;; [unrolled: 25-line block ×3, first 2 shown]
	v_fma_f32 v190, v7, v3, -v1
	ds_load_b128 v[1:4], v21 offset:784
	ds_load_b128 v[5:8], v21 offset:800
	s_wait_loadcnt_dscnt 0x1
	v_mul_f32_e32 v191, v1, v10
	v_mul_f32_e32 v193, v3, v12
	s_delay_alu instid0(VALU_DEP_2) | instskip(NEXT) | instid1(VALU_DEP_2)
	v_fmac_f32_e32 v191, v2, v9
	v_dual_mul_f32 v2, v2, v10 :: v_dual_fmac_f32 v193, v4, v11
	s_delay_alu instid0(VALU_DEP_1) | instskip(SKIP_1) | instid1(VALU_DEP_1)
	v_fma_f32 v192, v1, v9, -v2
	v_mul_f32_e32 v1, v4, v12
	v_fma_f32 v194, v3, v11, -v1
	s_clause 0x1
	scratch_load_b128 v[1:4], off, off offset:352
	scratch_load_b128 v[9:12], off, off offset:368
	s_wait_loadcnt_dscnt 0x100
	v_mul_f32_e32 v195, v5, v2
	v_dual_mul_f32 v2, v6, v2 :: v_dual_mul_f32 v197, v7, v4
	s_delay_alu instid0(VALU_DEP_2) | instskip(NEXT) | instid1(VALU_DEP_2)
	v_fmac_f32_e32 v195, v6, v1
	v_fma_f32 v196, v5, v1, -v2
	v_dual_add_f32 v2, 0, v135 :: v_dual_mul_f32 v1, v8, v4
	s_delay_alu instid0(VALU_DEP_1) | instskip(NEXT) | instid1(VALU_DEP_2)
	v_dual_fmac_f32 v197, v8, v3 :: v_dual_add_f32 v2, v2, v136
	v_fma_f32 v198, v7, v3, -v1
	scratch_load_b64 v[135:136], off, off offset:432
	v_add_f32_e32 v2, v2, v139
	s_delay_alu instid0(VALU_DEP_1) | instskip(NEXT) | instid1(VALU_DEP_1)
	v_add_f32_e32 v2, v2, v140
	v_dual_add_f32 v1, 0, v24 :: v_dual_add_f32 v2, v2, v141
	s_delay_alu instid0(VALU_DEP_1) | instskip(NEXT) | instid1(VALU_DEP_2)
	v_add_f32_e32 v1, v1, v138
	v_add_f32_e32 v2, v2, v150
	s_delay_alu instid0(VALU_DEP_2) | instskip(NEXT) | instid1(VALU_DEP_1)
	v_add_f32_e32 v1, v1, v142
	v_dual_add_f32 v2, v2, v146 :: v_dual_add_f32 v1, v1, v143
	s_delay_alu instid0(VALU_DEP_1) | instskip(NEXT) | instid1(VALU_DEP_1)
	v_dual_add_f32 v2, v2, v147 :: v_dual_add_f32 v1, v1, v144
	v_dual_add_f32 v2, v2, v15 :: v_dual_add_f32 v1, v1, v145
	s_delay_alu instid0(VALU_DEP_1) | instskip(NEXT) | instid1(VALU_DEP_1)
	v_dual_add_f32 v2, v2, v18 :: v_dual_add_f32 v1, v1, v13
	v_add_f32_e32 v2, v2, v19
	s_delay_alu instid0(VALU_DEP_1) | instskip(NEXT) | instid1(VALU_DEP_1)
	v_add_f32_e32 v2, v2, v20
	v_add_f32_e32 v2, v2, v151
	s_delay_alu instid0(VALU_DEP_1) | instskip(NEXT) | instid1(VALU_DEP_1)
	v_add_f32_e32 v2, v2, v152
	;; [unrolled: 3-line block ×4, first 2 shown]
	v_add_f32_e32 v2, v2, v163
	s_delay_alu instid0(VALU_DEP_1) | instskip(NEXT) | instid1(VALU_DEP_1)
	v_dual_add_f32 v2, v2, v165 :: v_dual_add_f32 v1, v1, v14
	v_add_f32_e32 v1, v1, v16
	s_delay_alu instid0(VALU_DEP_1) | instskip(NEXT) | instid1(VALU_DEP_1)
	v_add_f32_e32 v1, v1, v17
	v_add_f32_e32 v1, v1, v148
	s_delay_alu instid0(VALU_DEP_1) | instskip(NEXT) | instid1(VALU_DEP_1)
	v_add_f32_e32 v1, v1, v149
	;; [unrolled: 3-line block ×6, first 2 shown]
	v_add_f32_e32 v1, v1, v168
	s_delay_alu instid0(VALU_DEP_1) | instskip(SKIP_2) | instid1(VALU_DEP_1)
	v_dual_add_f32 v6, v1, v170 :: v_dual_add_f32 v5, v2, v167
	ds_load_b128 v[1:4], v21 offset:816
	v_dual_add_f32 v6, v6, v172 :: v_dual_add_f32 v5, v5, v169
	v_add_f32_e32 v13, v6, v174
	s_delay_alu instid0(VALU_DEP_2) | instskip(NEXT) | instid1(VALU_DEP_2)
	v_add_f32_e32 v5, v5, v171
	v_add_f32_e32 v13, v13, v176
	s_delay_alu instid0(VALU_DEP_2)
	v_add_f32_e32 v14, v5, v173
	ds_load_b128 v[5:8], v21 offset:832
	v_add_f32_e32 v13, v13, v178
	s_wait_loadcnt_dscnt 0x101
	v_mul_f32_e32 v24, v1, v10
	v_mul_f32_e32 v10, v2, v10
	;; [unrolled: 1-line block ×4, first 2 shown]
	s_delay_alu instid0(VALU_DEP_4) | instskip(NEXT) | instid1(VALU_DEP_4)
	v_dual_add_f32 v13, v13, v180 :: v_dual_fmac_f32 v24, v2, v9
	v_fma_f32 v145, v1, v9, -v10
	s_delay_alu instid0(VALU_DEP_4) | instskip(NEXT) | instid1(VALU_DEP_4)
	v_fmac_f32_e32 v144, v4, v11
	v_fma_f32 v146, v3, v11, -v12
	s_clause 0x1
	scratch_load_b128 v[1:4], off, off offset:384
	scratch_load_b128 v[9:12], off, off offset:400
	v_add_f32_e32 v18, v13, v182
	v_add_f32_e32 v14, v14, v175
	s_delay_alu instid0(VALU_DEP_2) | instskip(NEXT) | instid1(VALU_DEP_2)
	v_add_f32_e32 v18, v18, v184
	v_add_f32_e32 v14, v14, v177
	s_delay_alu instid0(VALU_DEP_2) | instskip(NEXT) | instid1(VALU_DEP_1)
	v_add_f32_e32 v18, v18, v186
	v_add_f32_e32 v18, v18, v188
	s_delay_alu instid0(VALU_DEP_1) | instskip(NEXT) | instid1(VALU_DEP_1)
	v_add_f32_e32 v18, v18, v190
	v_add_f32_e32 v142, v18, v192
	s_delay_alu instid0(VALU_DEP_1) | instskip(NEXT) | instid1(VALU_DEP_1)
	;; [unrolled: 3-line block ×3, first 2 shown]
	v_add_f32_e32 v147, v147, v198
	v_add_f32_e32 v145, v147, v145
	s_delay_alu instid0(VALU_DEP_1) | instskip(SKIP_4) | instid1(VALU_DEP_3)
	v_add_f32_e32 v145, v145, v146
	s_wait_loadcnt_dscnt 0x100
	v_mul_f32_e32 v149, v5, v2
	v_mul_f32_e32 v2, v6, v2
	;; [unrolled: 1-line block ×3, first 2 shown]
	v_dual_mul_f32 v4, v8, v4 :: v_dual_fmac_f32 v149, v6, v1
	s_delay_alu instid0(VALU_DEP_3)
	v_fma_f32 v2, v5, v1, -v2
	v_add_f32_e32 v17, v14, v179
	scratch_load_b128 v[13:16], off, off offset:416
	v_fmac_f32_e32 v150, v8, v3
	v_fma_f32 v1, v7, v3, -v4
	v_add_f32_e32 v2, v145, v2
	v_add_f32_e32 v17, v17, v181
	s_delay_alu instid0(VALU_DEP_2) | instskip(NEXT) | instid1(VALU_DEP_2)
	v_add_f32_e32 v1, v2, v1
	v_add_f32_e32 v17, v17, v183
	s_delay_alu instid0(VALU_DEP_1) | instskip(NEXT) | instid1(VALU_DEP_1)
	v_add_f32_e32 v17, v17, v185
	v_add_f32_e32 v17, v17, v187
	s_delay_alu instid0(VALU_DEP_1)
	v_add_f32_e32 v138, v17, v189
	ds_load_b128 v[17:20], v21 offset:848
	v_add_f32_e32 v143, v138, v191
	ds_load_b128 v[138:141], v21 offset:864
	v_add_f32_e32 v148, v143, v193
	ds_load_b64 v[142:143], v21 offset:880
	v_add_f32_e32 v148, v148, v195
	s_wait_loadcnt_dscnt 0x102
	s_delay_alu instid0(VALU_DEP_1) | instskip(SKIP_2) | instid1(VALU_DEP_3)
	v_dual_add_f32 v148, v148, v197 :: v_dual_mul_f32 v147, v17, v10
	v_mul_f32_e32 v3, v18, v10
	v_mul_f32_e32 v5, v20, v12
	v_add_f32_e32 v24, v148, v24
	s_delay_alu instid0(VALU_DEP_4) | instskip(NEXT) | instid1(VALU_DEP_4)
	v_dual_mul_f32 v148, v19, v12 :: v_dual_fmac_f32 v147, v18, v9
	v_fma_f32 v3, v17, v9, -v3
	s_delay_alu instid0(VALU_DEP_4) | instskip(NEXT) | instid1(VALU_DEP_4)
	v_fma_f32 v5, v19, v11, -v5
	v_add_f32_e32 v24, v24, v144
	s_delay_alu instid0(VALU_DEP_4) | instskip(SKIP_2) | instid1(VALU_DEP_3)
	v_fmac_f32_e32 v148, v20, v11
	s_wait_dscnt 0x0
	v_dual_mul_f32 v144, v142, v136 :: v_dual_add_f32 v1, v1, v3
	v_add_f32_e32 v4, v24, v149
	s_delay_alu instid0(VALU_DEP_2) | instskip(NEXT) | instid1(VALU_DEP_2)
	v_dual_fmac_f32 v144, v143, v135 :: v_dual_add_f32 v1, v1, v5
	v_dual_mul_f32 v5, v143, v136 :: v_dual_add_f32 v2, v4, v150
	s_delay_alu instid0(VALU_DEP_1) | instskip(NEXT) | instid1(VALU_DEP_1)
	v_add_f32_e32 v2, v2, v147
	v_add_f32_e32 v2, v2, v148
	s_wait_loadcnt 0x0
	v_mul_f32_e32 v151, v138, v14
	v_mul_f32_e32 v4, v139, v14
	;; [unrolled: 1-line block ×4, first 2 shown]
	s_delay_alu instid0(VALU_DEP_4) | instskip(NEXT) | instid1(VALU_DEP_4)
	v_fmac_f32_e32 v151, v139, v13
	v_fma_f32 v4, v138, v13, -v4
	s_delay_alu instid0(VALU_DEP_4) | instskip(NEXT) | instid1(VALU_DEP_4)
	v_fmac_f32_e32 v146, v141, v15
	v_fma_f32 v3, v140, v15, -v3
	s_delay_alu instid0(VALU_DEP_3) | instskip(SKIP_1) | instid1(VALU_DEP_2)
	v_dual_add_f32 v2, v2, v151 :: v_dual_add_f32 v1, v1, v4
	v_fma_f32 v4, v142, v135, -v5
	v_dual_add_f32 v2, v2, v146 :: v_dual_add_f32 v1, v1, v3
	s_delay_alu instid0(VALU_DEP_1) | instskip(NEXT) | instid1(VALU_DEP_1)
	v_add_f32_e32 v2, v2, v144
	v_dual_add_f32 v1, v1, v4 :: v_dual_sub_f32 v2, v23, v2
	s_delay_alu instid0(VALU_DEP_1)
	v_sub_f32_e32 v1, v22, v1
	scratch_store_b64 off, v[1:2], off offset:72
	v_cmpx_lt_u32_e32 8, v0
	s_cbranch_execz .LBB118_327
; %bb.326:
	scratch_load_b64 v[1:2], off, off offset:64
	v_mov_b32_e32 v22, v21
	scratch_store_b64 off, v[21:22], off offset:64
	s_wait_loadcnt 0x0
	ds_store_b64 v137, v[1:2]
.LBB118_327:
	s_wait_alu 0xfffe
	s_or_b32 exec_lo, exec_lo, s0
	s_wait_storecnt_dscnt 0x0
	s_barrier_signal -1
	s_barrier_wait -1
	global_inv scope:SCOPE_SE
	s_clause 0x4
	scratch_load_b128 v[5:8], off, off offset:72
	scratch_load_b128 v[1:4], off, off offset:88
	;; [unrolled: 1-line block ×5, first 2 shown]
	ds_load_2addr_b64 v[138:141], v21 offset0:65 offset1:66
	ds_load_2addr_b64 v[142:145], v21 offset0:67 offset1:68
	;; [unrolled: 1-line block ×3, first 2 shown]
	scratch_load_b64 v[135:136], off, off offset:64
	s_mov_b32 s0, exec_lo
	s_wait_loadcnt_dscnt 0x502
	v_mul_f32_e32 v22, v139, v6
	v_dual_mul_f32 v23, v138, v6 :: v_dual_mul_f32 v24, v140, v8
	v_mul_f32_e32 v6, v141, v8
	s_delay_alu instid0(VALU_DEP_3) | instskip(NEXT) | instid1(VALU_DEP_3)
	v_fma_f32 v22, v138, v5, -v22
	v_dual_fmac_f32 v23, v139, v5 :: v_dual_fmac_f32 v24, v141, v7
	s_wait_loadcnt_dscnt 0x401
	v_mul_f32_e32 v139, v142, v2
	v_fma_f32 v138, v140, v7, -v6
	ds_load_2addr_b64 v[5:8], v21 offset0:71 offset1:72
	s_wait_loadcnt_dscnt 0x301
	v_dual_mul_f32 v140, v144, v4 :: v_dual_mul_f32 v141, v146, v10
	v_dual_mul_f32 v4, v145, v4 :: v_dual_fmac_f32 v139, v143, v1
	v_mul_f32_e32 v10, v147, v10
	s_delay_alu instid0(VALU_DEP_3)
	v_dual_mul_f32 v150, v148, v12 :: v_dual_fmac_f32 v141, v147, v9
	v_mul_f32_e32 v12, v149, v12
	v_mul_f32_e32 v2, v143, v2
	v_fmac_f32_e32 v140, v145, v3
	v_fma_f32 v143, v144, v3, -v4
	v_fma_f32 v144, v146, v9, -v10
	v_fmac_f32_e32 v150, v149, v11
	v_fma_f32 v145, v148, v11, -v12
	ds_load_2addr_b64 v[9:12], v21 offset0:73 offset1:74
	s_wait_loadcnt_dscnt 0x201
	v_mul_f32_e32 v146, v5, v14
	v_dual_mul_f32 v14, v6, v14 :: v_dual_mul_f32 v147, v7, v16
	v_mul_f32_e32 v16, v8, v16
	s_delay_alu instid0(VALU_DEP_3) | instskip(NEXT) | instid1(VALU_DEP_3)
	v_fmac_f32_e32 v146, v6, v13
	v_fma_f32 v13, v5, v13, -v14
	s_delay_alu instid0(VALU_DEP_4) | instskip(NEXT) | instid1(VALU_DEP_4)
	v_fmac_f32_e32 v147, v8, v15
	v_fma_f32 v14, v7, v15, -v16
	ds_load_2addr_b64 v[5:8], v21 offset0:75 offset1:76
	s_wait_loadcnt_dscnt 0x101
	v_mul_f32_e32 v15, v9, v18
	v_mul_f32_e32 v16, v10, v18
	v_mul_f32_e32 v18, v11, v20
	s_delay_alu instid0(VALU_DEP_3)
	v_dual_mul_f32 v20, v12, v20 :: v_dual_fmac_f32 v15, v10, v17
	v_fma_f32 v142, v142, v1, -v2
	scratch_load_b128 v[1:4], off, off offset:152
	v_fma_f32 v16, v9, v17, -v16
	v_fmac_f32_e32 v18, v12, v19
	v_fma_f32 v17, v11, v19, -v20
	scratch_load_b128 v[9:12], off, off offset:168
	s_wait_loadcnt_dscnt 0x100
	v_mul_f32_e32 v19, v5, v2
	v_mul_f32_e32 v2, v6, v2
	;; [unrolled: 1-line block ×3, first 2 shown]
	s_delay_alu instid0(VALU_DEP_3) | instskip(NEXT) | instid1(VALU_DEP_3)
	v_dual_mul_f32 v4, v8, v4 :: v_dual_fmac_f32 v19, v6, v1
	v_fma_f32 v148, v5, v1, -v2
	s_delay_alu instid0(VALU_DEP_3) | instskip(NEXT) | instid1(VALU_DEP_3)
	v_fmac_f32_e32 v20, v8, v3
	v_fma_f32 v149, v7, v3, -v4
	ds_load_2addr_b64 v[1:4], v21 offset0:77 offset1:78
	ds_load_2addr_b64 v[5:8], v21 offset0:79 offset1:80
	s_wait_loadcnt_dscnt 0x1
	v_mul_f32_e32 v151, v1, v10
	v_mul_f32_e32 v10, v2, v10
	s_delay_alu instid0(VALU_DEP_2) | instskip(NEXT) | instid1(VALU_DEP_2)
	v_dual_mul_f32 v152, v3, v12 :: v_dual_fmac_f32 v151, v2, v9
	v_fma_f32 v153, v1, v9, -v10
	v_mul_f32_e32 v1, v4, v12
	s_delay_alu instid0(VALU_DEP_3) | instskip(NEXT) | instid1(VALU_DEP_2)
	v_fmac_f32_e32 v152, v4, v11
	v_fma_f32 v154, v3, v11, -v1
	s_clause 0x1
	scratch_load_b128 v[1:4], off, off offset:184
	scratch_load_b128 v[9:12], off, off offset:200
	s_wait_loadcnt_dscnt 0x100
	v_mul_f32_e32 v155, v5, v2
	v_dual_mul_f32 v2, v6, v2 :: v_dual_mul_f32 v157, v7, v4
	s_delay_alu instid0(VALU_DEP_2) | instskip(NEXT) | instid1(VALU_DEP_2)
	v_fmac_f32_e32 v155, v6, v1
	v_fma_f32 v156, v5, v1, -v2
	v_mul_f32_e32 v1, v8, v4
	s_delay_alu instid0(VALU_DEP_4) | instskip(NEXT) | instid1(VALU_DEP_2)
	v_fmac_f32_e32 v157, v8, v3
	v_fma_f32 v158, v7, v3, -v1
	ds_load_2addr_b64 v[1:4], v21 offset0:81 offset1:82
	ds_load_2addr_b64 v[5:8], v21 offset0:83 offset1:84
	s_wait_loadcnt_dscnt 0x1
	v_mul_f32_e32 v159, v1, v10
	v_mul_f32_e32 v161, v3, v12
	s_delay_alu instid0(VALU_DEP_2) | instskip(NEXT) | instid1(VALU_DEP_2)
	v_fmac_f32_e32 v159, v2, v9
	v_dual_mul_f32 v2, v2, v10 :: v_dual_fmac_f32 v161, v4, v11
	s_delay_alu instid0(VALU_DEP_1) | instskip(SKIP_1) | instid1(VALU_DEP_1)
	v_fma_f32 v160, v1, v9, -v2
	v_mul_f32_e32 v1, v4, v12
	v_fma_f32 v162, v3, v11, -v1
	s_clause 0x1
	scratch_load_b128 v[1:4], off, off offset:216
	scratch_load_b128 v[9:12], off, off offset:232
	s_wait_loadcnt_dscnt 0x100
	v_mul_f32_e32 v163, v5, v2
	v_dual_mul_f32 v2, v6, v2 :: v_dual_mul_f32 v165, v7, v4
	s_delay_alu instid0(VALU_DEP_2) | instskip(NEXT) | instid1(VALU_DEP_2)
	v_fmac_f32_e32 v163, v6, v1
	v_fma_f32 v164, v5, v1, -v2
	v_mul_f32_e32 v1, v8, v4
	s_delay_alu instid0(VALU_DEP_4) | instskip(NEXT) | instid1(VALU_DEP_2)
	v_fmac_f32_e32 v165, v8, v3
	v_fma_f32 v166, v7, v3, -v1
	ds_load_2addr_b64 v[1:4], v21 offset0:85 offset1:86
	ds_load_2addr_b64 v[5:8], v21 offset0:87 offset1:88
	s_wait_loadcnt_dscnt 0x1
	v_mul_f32_e32 v167, v1, v10
	v_mul_f32_e32 v169, v3, v12
	s_delay_alu instid0(VALU_DEP_2) | instskip(NEXT) | instid1(VALU_DEP_2)
	v_fmac_f32_e32 v167, v2, v9
	v_dual_mul_f32 v2, v2, v10 :: v_dual_fmac_f32 v169, v4, v11
	s_delay_alu instid0(VALU_DEP_1) | instskip(SKIP_1) | instid1(VALU_DEP_1)
	v_fma_f32 v168, v1, v9, -v2
	v_mul_f32_e32 v1, v4, v12
	v_fma_f32 v170, v3, v11, -v1
	s_clause 0x1
	scratch_load_b128 v[1:4], off, off offset:248
	scratch_load_b128 v[9:12], off, off offset:264
	s_wait_loadcnt_dscnt 0x100
	v_mul_f32_e32 v171, v5, v2
	v_dual_mul_f32 v2, v6, v2 :: v_dual_mul_f32 v173, v7, v4
	s_delay_alu instid0(VALU_DEP_2) | instskip(NEXT) | instid1(VALU_DEP_2)
	v_fmac_f32_e32 v171, v6, v1
	v_fma_f32 v172, v5, v1, -v2
	v_mul_f32_e32 v1, v8, v4
	s_delay_alu instid0(VALU_DEP_4) | instskip(NEXT) | instid1(VALU_DEP_2)
	v_fmac_f32_e32 v173, v8, v3
	v_fma_f32 v174, v7, v3, -v1
	ds_load_2addr_b64 v[1:4], v21 offset0:89 offset1:90
	ds_load_2addr_b64 v[5:8], v21 offset0:91 offset1:92
	s_wait_loadcnt_dscnt 0x1
	v_mul_f32_e32 v175, v1, v10
	v_mul_f32_e32 v177, v3, v12
	s_delay_alu instid0(VALU_DEP_2) | instskip(NEXT) | instid1(VALU_DEP_2)
	v_fmac_f32_e32 v175, v2, v9
	v_dual_mul_f32 v2, v2, v10 :: v_dual_fmac_f32 v177, v4, v11
	s_delay_alu instid0(VALU_DEP_1) | instskip(SKIP_1) | instid1(VALU_DEP_1)
	v_fma_f32 v176, v1, v9, -v2
	v_mul_f32_e32 v1, v4, v12
	v_fma_f32 v178, v3, v11, -v1
	s_clause 0x1
	scratch_load_b128 v[1:4], off, off offset:280
	scratch_load_b128 v[9:12], off, off offset:296
	s_wait_loadcnt_dscnt 0x100
	v_mul_f32_e32 v179, v5, v2
	v_dual_mul_f32 v2, v6, v2 :: v_dual_mul_f32 v181, v7, v4
	s_delay_alu instid0(VALU_DEP_2) | instskip(NEXT) | instid1(VALU_DEP_2)
	v_fmac_f32_e32 v179, v6, v1
	v_fma_f32 v180, v5, v1, -v2
	v_mul_f32_e32 v1, v8, v4
	s_delay_alu instid0(VALU_DEP_4) | instskip(NEXT) | instid1(VALU_DEP_2)
	v_fmac_f32_e32 v181, v8, v3
	v_fma_f32 v182, v7, v3, -v1
	ds_load_2addr_b64 v[1:4], v21 offset0:93 offset1:94
	ds_load_2addr_b64 v[5:8], v21 offset0:95 offset1:96
	s_wait_loadcnt_dscnt 0x1
	v_mul_f32_e32 v183, v1, v10
	v_mul_f32_e32 v185, v3, v12
	s_delay_alu instid0(VALU_DEP_2) | instskip(NEXT) | instid1(VALU_DEP_2)
	v_fmac_f32_e32 v183, v2, v9
	v_dual_mul_f32 v2, v2, v10 :: v_dual_fmac_f32 v185, v4, v11
	s_delay_alu instid0(VALU_DEP_1) | instskip(SKIP_1) | instid1(VALU_DEP_1)
	v_fma_f32 v184, v1, v9, -v2
	v_mul_f32_e32 v1, v4, v12
	v_fma_f32 v186, v3, v11, -v1
	s_clause 0x1
	scratch_load_b128 v[1:4], off, off offset:312
	scratch_load_b128 v[9:12], off, off offset:328
	s_wait_loadcnt_dscnt 0x100
	v_mul_f32_e32 v187, v5, v2
	v_dual_mul_f32 v2, v6, v2 :: v_dual_mul_f32 v189, v7, v4
	s_delay_alu instid0(VALU_DEP_2) | instskip(NEXT) | instid1(VALU_DEP_2)
	v_fmac_f32_e32 v187, v6, v1
	v_fma_f32 v188, v5, v1, -v2
	v_mul_f32_e32 v1, v8, v4
	s_delay_alu instid0(VALU_DEP_4) | instskip(NEXT) | instid1(VALU_DEP_2)
	v_fmac_f32_e32 v189, v8, v3
	v_fma_f32 v190, v7, v3, -v1
	ds_load_2addr_b64 v[1:4], v21 offset0:97 offset1:98
	ds_load_2addr_b64 v[5:8], v21 offset0:99 offset1:100
	s_wait_loadcnt_dscnt 0x1
	v_mul_f32_e32 v191, v1, v10
	v_mul_f32_e32 v193, v3, v12
	s_delay_alu instid0(VALU_DEP_2) | instskip(NEXT) | instid1(VALU_DEP_2)
	v_fmac_f32_e32 v191, v2, v9
	v_dual_mul_f32 v2, v2, v10 :: v_dual_fmac_f32 v193, v4, v11
	s_delay_alu instid0(VALU_DEP_1) | instskip(SKIP_1) | instid1(VALU_DEP_1)
	v_fma_f32 v192, v1, v9, -v2
	v_mul_f32_e32 v1, v4, v12
	v_fma_f32 v194, v3, v11, -v1
	s_clause 0x1
	scratch_load_b128 v[1:4], off, off offset:344
	scratch_load_b128 v[9:12], off, off offset:360
	s_wait_loadcnt_dscnt 0x100
	v_mul_f32_e32 v195, v5, v2
	v_mul_f32_e32 v2, v6, v2
	s_delay_alu instid0(VALU_DEP_2) | instskip(NEXT) | instid1(VALU_DEP_2)
	v_fmac_f32_e32 v195, v6, v1
	v_fma_f32 v196, v5, v1, -v2
	v_dual_add_f32 v2, 0, v23 :: v_dual_mul_f32 v1, v8, v4
	s_delay_alu instid0(VALU_DEP_1) | instskip(NEXT) | instid1(VALU_DEP_2)
	v_add_f32_e32 v2, v2, v24
	v_fma_f32 v198, v7, v3, -v1
	s_delay_alu instid0(VALU_DEP_2) | instskip(NEXT) | instid1(VALU_DEP_1)
	v_dual_add_f32 v1, 0, v22 :: v_dual_add_f32 v2, v2, v139
	v_dual_add_f32 v1, v1, v138 :: v_dual_add_f32 v2, v2, v140
	s_delay_alu instid0(VALU_DEP_1) | instskip(NEXT) | instid1(VALU_DEP_1)
	v_add_f32_e32 v2, v2, v141
	v_add_f32_e32 v2, v2, v150
	s_delay_alu instid0(VALU_DEP_1) | instskip(NEXT) | instid1(VALU_DEP_1)
	v_add_f32_e32 v2, v2, v146
	v_dual_add_f32 v1, v1, v142 :: v_dual_add_f32 v2, v2, v147
	s_delay_alu instid0(VALU_DEP_1) | instskip(NEXT) | instid1(VALU_DEP_1)
	v_add_f32_e32 v1, v1, v143
	v_dual_add_f32 v2, v2, v15 :: v_dual_add_f32 v1, v1, v144
	s_delay_alu instid0(VALU_DEP_1) | instskip(NEXT) | instid1(VALU_DEP_1)
	v_dual_add_f32 v2, v2, v18 :: v_dual_add_f32 v1, v1, v145
	v_dual_add_f32 v2, v2, v19 :: v_dual_add_f32 v1, v1, v13
	s_delay_alu instid0(VALU_DEP_1) | instskip(NEXT) | instid1(VALU_DEP_1)
	v_dual_add_f32 v2, v2, v20 :: v_dual_add_f32 v1, v1, v14
	;; [unrolled: 3-line block ×3, first 2 shown]
	v_dual_add_f32 v2, v2, v155 :: v_dual_add_f32 v1, v1, v148
	s_delay_alu instid0(VALU_DEP_1) | instskip(NEXT) | instid1(VALU_DEP_1)
	v_add_f32_e32 v2, v2, v157
	v_dual_add_f32 v1, v1, v149 :: v_dual_add_f32 v2, v2, v159
	s_delay_alu instid0(VALU_DEP_1) | instskip(NEXT) | instid1(VALU_DEP_1)
	v_add_f32_e32 v1, v1, v153
	v_dual_add_f32 v2, v2, v161 :: v_dual_add_f32 v1, v1, v154
	s_delay_alu instid0(VALU_DEP_1) | instskip(NEXT) | instid1(VALU_DEP_1)
	v_dual_add_f32 v2, v2, v163 :: v_dual_add_f32 v1, v1, v156
	v_dual_add_f32 v2, v2, v165 :: v_dual_add_f32 v1, v1, v158
	s_delay_alu instid0(VALU_DEP_1) | instskip(NEXT) | instid1(VALU_DEP_1)
	v_add_f32_e32 v1, v1, v160
	v_add_f32_e32 v1, v1, v162
	s_delay_alu instid0(VALU_DEP_1) | instskip(NEXT) | instid1(VALU_DEP_1)
	v_add_f32_e32 v1, v1, v164
	v_add_f32_e32 v1, v1, v166
	;; [unrolled: 3-line block ×3, first 2 shown]
	s_delay_alu instid0(VALU_DEP_1) | instskip(SKIP_1) | instid1(VALU_DEP_2)
	v_add_f32_e32 v6, v1, v172
	v_dual_add_f32 v2, v2, v167 :: v_dual_mul_f32 v197, v7, v4
	v_add_f32_e32 v14, v6, v174
	s_delay_alu instid0(VALU_DEP_2) | instskip(NEXT) | instid1(VALU_DEP_3)
	v_add_f32_e32 v5, v2, v169
	v_fmac_f32_e32 v197, v8, v3
	ds_load_2addr_b64 v[1:4], v21 offset0:101 offset1:102
	v_dual_add_f32 v14, v14, v176 :: v_dual_add_f32 v13, v5, v171
	scratch_load_b128 v[5:8], off, off offset:376
	v_add_f32_e32 v17, v14, v178
	v_add_f32_e32 v13, v13, v173
	s_delay_alu instid0(VALU_DEP_2) | instskip(NEXT) | instid1(VALU_DEP_2)
	v_add_f32_e32 v17, v17, v180
	v_add_f32_e32 v13, v13, v175
	s_delay_alu instid0(VALU_DEP_2) | instskip(NEXT) | instid1(VALU_DEP_2)
	v_add_f32_e32 v17, v17, v182
	v_add_f32_e32 v18, v13, v177
	ds_load_2addr_b64 v[13:16], v21 offset0:103 offset1:104
	s_wait_loadcnt_dscnt 0x101
	v_mul_f32_e32 v138, v1, v10
	v_dual_mul_f32 v10, v2, v10 :: v_dual_mul_f32 v139, v3, v12
	v_mul_f32_e32 v12, v4, v12
	s_delay_alu instid0(VALU_DEP_3) | instskip(NEXT) | instid1(VALU_DEP_3)
	v_dual_add_f32 v17, v17, v184 :: v_dual_fmac_f32 v138, v2, v9
	v_fma_f32 v140, v1, v9, -v10
	s_delay_alu instid0(VALU_DEP_4) | instskip(NEXT) | instid1(VALU_DEP_4)
	v_fmac_f32_e32 v139, v4, v11
	v_fma_f32 v141, v3, v11, -v12
	s_clause 0x1
	scratch_load_b128 v[1:4], off, off offset:392
	scratch_load_b128 v[9:12], off, off offset:408
	v_add_f32_e32 v23, v17, v186
	s_delay_alu instid0(VALU_DEP_1) | instskip(NEXT) | instid1(VALU_DEP_1)
	v_add_f32_e32 v23, v23, v188
	v_add_f32_e32 v23, v23, v190
	s_wait_loadcnt_dscnt 0x200
	v_mul_f32_e32 v142, v13, v6
	v_dual_add_f32 v18, v18, v179 :: v_dual_mul_f32 v143, v15, v8
	v_mul_f32_e32 v8, v16, v8
	v_mul_f32_e32 v6, v14, v6
	s_delay_alu instid0(VALU_DEP_4) | instskip(NEXT) | instid1(VALU_DEP_4)
	v_fmac_f32_e32 v142, v14, v5
	v_dual_add_f32 v18, v18, v181 :: v_dual_fmac_f32 v143, v16, v7
	s_delay_alu instid0(VALU_DEP_4) | instskip(NEXT) | instid1(VALU_DEP_4)
	v_fma_f32 v145, v15, v7, -v8
	v_fma_f32 v144, v13, v5, -v6
	ds_load_2addr_b64 v[5:8], v21 offset0:105 offset1:106
	v_add_f32_e32 v22, v18, v183
	scratch_load_b128 v[17:20], off, off offset:424
	v_add_f32_e32 v22, v22, v185
	s_delay_alu instid0(VALU_DEP_1) | instskip(NEXT) | instid1(VALU_DEP_1)
	v_add_f32_e32 v22, v22, v187
	v_dual_add_f32 v13, v22, v189 :: v_dual_add_f32 v22, v23, v192
	s_delay_alu instid0(VALU_DEP_1)
	v_dual_add_f32 v23, v13, v191 :: v_dual_add_f32 v146, v22, v194
	ds_load_2addr_b64 v[13:16], v21 offset0:107 offset1:108
	s_wait_loadcnt_dscnt 0x201
	v_mul_f32_e32 v148, v5, v2
	v_dual_mul_f32 v2, v6, v2 :: v_dual_add_f32 v147, v23, v193
	v_add_f32_e32 v146, v146, v196
	ds_load_2addr_b64 v[21:24], v21 offset0:109 offset1:110
	v_fmac_f32_e32 v148, v6, v1
	v_fma_f32 v2, v5, v1, -v2
	v_dual_add_f32 v147, v147, v195 :: v_dual_add_f32 v146, v146, v198
	s_delay_alu instid0(VALU_DEP_1) | instskip(SKIP_2) | instid1(VALU_DEP_3)
	v_dual_add_f32 v147, v147, v197 :: v_dual_add_f32 v140, v146, v140
	v_mul_f32_e32 v146, v7, v4
	v_mul_f32_e32 v4, v8, v4
	v_add_f32_e32 v138, v147, v138
	s_wait_loadcnt_dscnt 0x101
	v_dual_add_f32 v140, v140, v141 :: v_dual_mul_f32 v147, v13, v10
	v_mul_f32_e32 v6, v14, v10
	v_fmac_f32_e32 v146, v8, v3
	v_add_f32_e32 v138, v138, v139
	s_delay_alu instid0(VALU_DEP_4) | instskip(SKIP_3) | instid1(VALU_DEP_4)
	v_add_f32_e32 v140, v140, v144
	v_fma_f32 v3, v7, v3, -v4
	v_mul_f32_e32 v149, v15, v12
	v_mul_f32_e32 v4, v16, v12
	v_dual_add_f32 v138, v138, v142 :: v_dual_add_f32 v1, v140, v145
	v_fmac_f32_e32 v147, v14, v9
	s_delay_alu instid0(VALU_DEP_4) | instskip(NEXT) | instid1(VALU_DEP_4)
	v_fmac_f32_e32 v149, v16, v11
	v_fma_f32 v4, v15, v11, -v4
	s_delay_alu instid0(VALU_DEP_4) | instskip(SKIP_1) | instid1(VALU_DEP_2)
	v_add_f32_e32 v5, v138, v143
	v_add_f32_e32 v1, v1, v2
	;; [unrolled: 1-line block ×3, first 2 shown]
	v_fma_f32 v5, v13, v9, -v6
	s_delay_alu instid0(VALU_DEP_2) | instskip(NEXT) | instid1(VALU_DEP_1)
	v_dual_add_f32 v1, v1, v3 :: v_dual_add_f32 v2, v2, v146
	v_dual_add_f32 v1, v1, v5 :: v_dual_add_f32 v2, v2, v147
	s_delay_alu instid0(VALU_DEP_1)
	v_dual_add_f32 v1, v1, v4 :: v_dual_add_f32 v2, v2, v149
	s_wait_loadcnt_dscnt 0x0
	v_mul_f32_e32 v139, v21, v18
	v_mul_f32_e32 v3, v22, v18
	v_mul_f32_e32 v141, v23, v20
	v_mul_f32_e32 v5, v24, v20
	s_delay_alu instid0(VALU_DEP_4) | instskip(NEXT) | instid1(VALU_DEP_4)
	v_fmac_f32_e32 v139, v22, v17
	v_fma_f32 v3, v21, v17, -v3
	s_delay_alu instid0(VALU_DEP_4) | instskip(NEXT) | instid1(VALU_DEP_4)
	v_fmac_f32_e32 v141, v24, v19
	v_fma_f32 v4, v23, v19, -v5
	s_delay_alu instid0(VALU_DEP_4) | instskip(NEXT) | instid1(VALU_DEP_1)
	v_add_f32_e32 v2, v2, v139
	v_dual_add_f32 v1, v1, v3 :: v_dual_add_f32 v2, v2, v141
	s_delay_alu instid0(VALU_DEP_1) | instskip(NEXT) | instid1(VALU_DEP_1)
	v_dual_add_f32 v1, v1, v4 :: v_dual_sub_f32 v2, v136, v2
	v_sub_f32_e32 v1, v135, v1
	scratch_store_b64 off, v[1:2], off offset:64
	v_cmpx_lt_u32_e32 7, v0
	s_cbranch_execz .LBB118_329
; %bb.328:
	scratch_load_b64 v[1:2], off, off offset:56
	v_mov_b32_e32 v3, 0
	s_delay_alu instid0(VALU_DEP_1)
	v_mov_b32_e32 v4, v3
	scratch_store_b64 off, v[3:4], off offset:56
	s_wait_loadcnt 0x0
	ds_store_b64 v137, v[1:2]
.LBB118_329:
	s_wait_alu 0xfffe
	s_or_b32 exec_lo, exec_lo, s0
	s_wait_storecnt_dscnt 0x0
	s_barrier_signal -1
	s_barrier_wait -1
	global_inv scope:SCOPE_SE
	s_clause 0x4
	scratch_load_b128 v[5:8], off, off offset:64
	scratch_load_b128 v[1:4], off, off offset:80
	;; [unrolled: 1-line block ×5, first 2 shown]
	v_mov_b32_e32 v21, 0
	ds_load_b128 v[138:141], v21 offset:512
	ds_load_b128 v[142:145], v21 offset:528
	;; [unrolled: 1-line block ×3, first 2 shown]
	scratch_load_b64 v[22:23], off, off offset:56
	s_mov_b32 s0, exec_lo
	s_wait_loadcnt_dscnt 0x502
	v_mul_f32_e32 v24, v139, v6
	v_dual_mul_f32 v135, v138, v6 :: v_dual_mul_f32 v136, v140, v8
	v_mul_f32_e32 v6, v141, v8
	s_delay_alu instid0(VALU_DEP_3) | instskip(NEXT) | instid1(VALU_DEP_3)
	v_fma_f32 v24, v138, v5, -v24
	v_dual_fmac_f32 v135, v139, v5 :: v_dual_fmac_f32 v136, v141, v7
	s_wait_loadcnt_dscnt 0x401
	v_mul_f32_e32 v139, v142, v2
	v_fma_f32 v138, v140, v7, -v6
	ds_load_b128 v[5:8], v21 offset:560
	s_wait_loadcnt_dscnt 0x301
	v_dual_mul_f32 v140, v144, v4 :: v_dual_mul_f32 v141, v146, v10
	v_dual_mul_f32 v4, v145, v4 :: v_dual_fmac_f32 v139, v143, v1
	v_mul_f32_e32 v10, v147, v10
	s_delay_alu instid0(VALU_DEP_3)
	v_dual_mul_f32 v150, v148, v12 :: v_dual_fmac_f32 v141, v147, v9
	v_mul_f32_e32 v12, v149, v12
	v_mul_f32_e32 v2, v143, v2
	v_fmac_f32_e32 v140, v145, v3
	v_fma_f32 v143, v144, v3, -v4
	v_fma_f32 v144, v146, v9, -v10
	v_fmac_f32_e32 v150, v149, v11
	v_fma_f32 v145, v148, v11, -v12
	ds_load_b128 v[9:12], v21 offset:576
	s_wait_loadcnt_dscnt 0x201
	v_dual_mul_f32 v147, v7, v16 :: v_dual_mul_f32 v146, v5, v14
	v_mul_f32_e32 v14, v6, v14
	v_mul_f32_e32 v16, v8, v16
	s_delay_alu instid0(VALU_DEP_3)
	v_fmac_f32_e32 v147, v8, v15
	v_fma_f32 v142, v142, v1, -v2
	scratch_load_b128 v[1:4], off, off offset:144
	v_fmac_f32_e32 v146, v6, v13
	v_fma_f32 v13, v5, v13, -v14
	v_fma_f32 v14, v7, v15, -v16
	ds_load_b128 v[5:8], v21 offset:592
	s_wait_loadcnt_dscnt 0x201
	v_mul_f32_e32 v15, v9, v18
	v_mul_f32_e32 v16, v10, v18
	;; [unrolled: 1-line block ×3, first 2 shown]
	s_delay_alu instid0(VALU_DEP_3) | instskip(NEXT) | instid1(VALU_DEP_3)
	v_dual_mul_f32 v20, v12, v20 :: v_dual_fmac_f32 v15, v10, v17
	v_fma_f32 v16, v9, v17, -v16
	s_delay_alu instid0(VALU_DEP_3) | instskip(NEXT) | instid1(VALU_DEP_3)
	v_fmac_f32_e32 v18, v12, v19
	v_fma_f32 v17, v11, v19, -v20
	scratch_load_b128 v[9:12], off, off offset:160
	s_wait_loadcnt_dscnt 0x100
	v_mul_f32_e32 v19, v5, v2
	v_mul_f32_e32 v2, v6, v2
	;; [unrolled: 1-line block ×3, first 2 shown]
	s_delay_alu instid0(VALU_DEP_3) | instskip(NEXT) | instid1(VALU_DEP_3)
	v_dual_mul_f32 v4, v8, v4 :: v_dual_fmac_f32 v19, v6, v1
	v_fma_f32 v148, v5, v1, -v2
	s_delay_alu instid0(VALU_DEP_3) | instskip(NEXT) | instid1(VALU_DEP_3)
	v_fmac_f32_e32 v20, v8, v3
	v_fma_f32 v149, v7, v3, -v4
	ds_load_b128 v[1:4], v21 offset:608
	ds_load_b128 v[5:8], v21 offset:624
	s_wait_loadcnt_dscnt 0x1
	v_mul_f32_e32 v151, v1, v10
	v_mul_f32_e32 v10, v2, v10
	s_delay_alu instid0(VALU_DEP_2) | instskip(NEXT) | instid1(VALU_DEP_2)
	v_dual_mul_f32 v152, v3, v12 :: v_dual_fmac_f32 v151, v2, v9
	v_fma_f32 v153, v1, v9, -v10
	v_mul_f32_e32 v1, v4, v12
	s_delay_alu instid0(VALU_DEP_3) | instskip(NEXT) | instid1(VALU_DEP_2)
	v_fmac_f32_e32 v152, v4, v11
	v_fma_f32 v154, v3, v11, -v1
	s_clause 0x1
	scratch_load_b128 v[1:4], off, off offset:176
	scratch_load_b128 v[9:12], off, off offset:192
	s_wait_loadcnt_dscnt 0x100
	v_mul_f32_e32 v155, v5, v2
	v_dual_mul_f32 v2, v6, v2 :: v_dual_mul_f32 v157, v7, v4
	s_delay_alu instid0(VALU_DEP_2) | instskip(NEXT) | instid1(VALU_DEP_2)
	v_fmac_f32_e32 v155, v6, v1
	v_fma_f32 v156, v5, v1, -v2
	v_mul_f32_e32 v1, v8, v4
	s_delay_alu instid0(VALU_DEP_4) | instskip(NEXT) | instid1(VALU_DEP_2)
	v_fmac_f32_e32 v157, v8, v3
	v_fma_f32 v158, v7, v3, -v1
	ds_load_b128 v[1:4], v21 offset:640
	ds_load_b128 v[5:8], v21 offset:656
	s_wait_loadcnt_dscnt 0x1
	v_mul_f32_e32 v159, v1, v10
	v_mul_f32_e32 v161, v3, v12
	s_delay_alu instid0(VALU_DEP_2) | instskip(NEXT) | instid1(VALU_DEP_2)
	v_fmac_f32_e32 v159, v2, v9
	v_dual_mul_f32 v2, v2, v10 :: v_dual_fmac_f32 v161, v4, v11
	s_delay_alu instid0(VALU_DEP_1) | instskip(SKIP_1) | instid1(VALU_DEP_1)
	v_fma_f32 v160, v1, v9, -v2
	v_mul_f32_e32 v1, v4, v12
	v_fma_f32 v162, v3, v11, -v1
	s_clause 0x1
	scratch_load_b128 v[1:4], off, off offset:208
	scratch_load_b128 v[9:12], off, off offset:224
	s_wait_loadcnt_dscnt 0x100
	v_mul_f32_e32 v163, v5, v2
	v_dual_mul_f32 v165, v7, v4 :: v_dual_mul_f32 v2, v6, v2
	s_delay_alu instid0(VALU_DEP_2) | instskip(NEXT) | instid1(VALU_DEP_2)
	v_fmac_f32_e32 v163, v6, v1
	v_fmac_f32_e32 v165, v8, v3
	s_delay_alu instid0(VALU_DEP_3) | instskip(SKIP_1) | instid1(VALU_DEP_1)
	v_fma_f32 v164, v5, v1, -v2
	v_mul_f32_e32 v1, v8, v4
	v_fma_f32 v166, v7, v3, -v1
	ds_load_b128 v[1:4], v21 offset:672
	ds_load_b128 v[5:8], v21 offset:688
	s_wait_loadcnt_dscnt 0x1
	v_mul_f32_e32 v167, v1, v10
	v_mul_f32_e32 v169, v3, v12
	s_delay_alu instid0(VALU_DEP_2) | instskip(NEXT) | instid1(VALU_DEP_2)
	v_fmac_f32_e32 v167, v2, v9
	v_dual_mul_f32 v2, v2, v10 :: v_dual_fmac_f32 v169, v4, v11
	s_delay_alu instid0(VALU_DEP_1) | instskip(SKIP_1) | instid1(VALU_DEP_1)
	v_fma_f32 v168, v1, v9, -v2
	v_mul_f32_e32 v1, v4, v12
	v_fma_f32 v170, v3, v11, -v1
	s_clause 0x1
	scratch_load_b128 v[1:4], off, off offset:240
	scratch_load_b128 v[9:12], off, off offset:256
	s_wait_loadcnt_dscnt 0x100
	v_mul_f32_e32 v171, v5, v2
	v_dual_mul_f32 v2, v6, v2 :: v_dual_mul_f32 v173, v7, v4
	s_delay_alu instid0(VALU_DEP_2) | instskip(NEXT) | instid1(VALU_DEP_2)
	v_fmac_f32_e32 v171, v6, v1
	v_fma_f32 v172, v5, v1, -v2
	v_mul_f32_e32 v1, v8, v4
	s_delay_alu instid0(VALU_DEP_4) | instskip(NEXT) | instid1(VALU_DEP_2)
	v_fmac_f32_e32 v173, v8, v3
	v_fma_f32 v174, v7, v3, -v1
	ds_load_b128 v[1:4], v21 offset:704
	ds_load_b128 v[5:8], v21 offset:720
	s_wait_loadcnt_dscnt 0x1
	v_mul_f32_e32 v175, v1, v10
	v_mul_f32_e32 v177, v3, v12
	s_delay_alu instid0(VALU_DEP_2) | instskip(NEXT) | instid1(VALU_DEP_2)
	v_fmac_f32_e32 v175, v2, v9
	v_dual_mul_f32 v2, v2, v10 :: v_dual_fmac_f32 v177, v4, v11
	s_delay_alu instid0(VALU_DEP_1) | instskip(SKIP_1) | instid1(VALU_DEP_1)
	v_fma_f32 v176, v1, v9, -v2
	v_mul_f32_e32 v1, v4, v12
	v_fma_f32 v178, v3, v11, -v1
	s_clause 0x1
	scratch_load_b128 v[1:4], off, off offset:272
	scratch_load_b128 v[9:12], off, off offset:288
	s_wait_loadcnt_dscnt 0x100
	v_mul_f32_e32 v179, v5, v2
	v_dual_mul_f32 v2, v6, v2 :: v_dual_mul_f32 v181, v7, v4
	s_delay_alu instid0(VALU_DEP_2) | instskip(NEXT) | instid1(VALU_DEP_2)
	v_fmac_f32_e32 v179, v6, v1
	v_fma_f32 v180, v5, v1, -v2
	v_mul_f32_e32 v1, v8, v4
	s_delay_alu instid0(VALU_DEP_4) | instskip(NEXT) | instid1(VALU_DEP_2)
	v_fmac_f32_e32 v181, v8, v3
	;; [unrolled: 25-line block ×3, first 2 shown]
	v_fma_f32 v190, v7, v3, -v1
	ds_load_b128 v[1:4], v21 offset:768
	ds_load_b128 v[5:8], v21 offset:784
	s_wait_loadcnt_dscnt 0x1
	v_mul_f32_e32 v191, v1, v10
	v_mul_f32_e32 v193, v3, v12
	s_delay_alu instid0(VALU_DEP_2) | instskip(NEXT) | instid1(VALU_DEP_2)
	v_fmac_f32_e32 v191, v2, v9
	v_dual_mul_f32 v2, v2, v10 :: v_dual_fmac_f32 v193, v4, v11
	s_delay_alu instid0(VALU_DEP_1) | instskip(SKIP_1) | instid1(VALU_DEP_1)
	v_fma_f32 v192, v1, v9, -v2
	v_mul_f32_e32 v1, v4, v12
	v_fma_f32 v194, v3, v11, -v1
	s_clause 0x1
	scratch_load_b128 v[1:4], off, off offset:336
	scratch_load_b128 v[9:12], off, off offset:352
	s_wait_loadcnt_dscnt 0x100
	v_mul_f32_e32 v195, v5, v2
	v_mul_f32_e32 v2, v6, v2
	s_delay_alu instid0(VALU_DEP_2) | instskip(NEXT) | instid1(VALU_DEP_2)
	v_fmac_f32_e32 v195, v6, v1
	v_fma_f32 v196, v5, v1, -v2
	v_dual_add_f32 v2, 0, v135 :: v_dual_mul_f32 v1, v8, v4
	s_delay_alu instid0(VALU_DEP_1) | instskip(NEXT) | instid1(VALU_DEP_2)
	v_add_f32_e32 v2, v2, v136
	v_fma_f32 v198, v7, v3, -v1
	s_delay_alu instid0(VALU_DEP_2) | instskip(NEXT) | instid1(VALU_DEP_1)
	v_dual_add_f32 v1, 0, v24 :: v_dual_add_f32 v2, v2, v139
	v_dual_add_f32 v1, v1, v138 :: v_dual_add_f32 v2, v2, v140
	s_delay_alu instid0(VALU_DEP_1) | instskip(NEXT) | instid1(VALU_DEP_1)
	v_add_f32_e32 v2, v2, v141
	v_add_f32_e32 v2, v2, v150
	s_delay_alu instid0(VALU_DEP_1) | instskip(NEXT) | instid1(VALU_DEP_1)
	v_add_f32_e32 v2, v2, v146
	v_dual_add_f32 v1, v1, v142 :: v_dual_add_f32 v2, v2, v147
	s_delay_alu instid0(VALU_DEP_1) | instskip(NEXT) | instid1(VALU_DEP_1)
	v_add_f32_e32 v2, v2, v15
	v_add_f32_e32 v2, v2, v18
	s_delay_alu instid0(VALU_DEP_1) | instskip(NEXT) | instid1(VALU_DEP_1)
	v_add_f32_e32 v2, v2, v19
	v_dual_add_f32 v2, v2, v20 :: v_dual_add_f32 v1, v1, v143
	s_delay_alu instid0(VALU_DEP_1) | instskip(NEXT) | instid1(VALU_DEP_1)
	v_dual_add_f32 v2, v2, v151 :: v_dual_add_f32 v1, v1, v144
	v_dual_add_f32 v2, v2, v152 :: v_dual_add_f32 v1, v1, v145
	s_delay_alu instid0(VALU_DEP_1) | instskip(NEXT) | instid1(VALU_DEP_1)
	v_dual_add_f32 v2, v2, v155 :: v_dual_add_f32 v1, v1, v13
	;; [unrolled: 3-line block ×3, first 2 shown]
	v_add_f32_e32 v2, v2, v161
	s_delay_alu instid0(VALU_DEP_1) | instskip(NEXT) | instid1(VALU_DEP_1)
	v_dual_add_f32 v1, v1, v17 :: v_dual_add_f32 v2, v2, v163
	v_dual_add_f32 v1, v1, v148 :: v_dual_add_f32 v2, v2, v165
	s_delay_alu instid0(VALU_DEP_1) | instskip(NEXT) | instid1(VALU_DEP_1)
	v_add_f32_e32 v1, v1, v149
	v_add_f32_e32 v1, v1, v153
	s_delay_alu instid0(VALU_DEP_1) | instskip(NEXT) | instid1(VALU_DEP_1)
	v_add_f32_e32 v1, v1, v154
	v_add_f32_e32 v1, v1, v156
	;; [unrolled: 3-line block ×6, first 2 shown]
	v_dual_add_f32 v2, v2, v167 :: v_dual_mul_f32 v197, v7, v4
	s_delay_alu instid0(VALU_DEP_2) | instskip(NEXT) | instid1(VALU_DEP_2)
	v_add_f32_e32 v14, v6, v174
	v_add_f32_e32 v5, v2, v169
	s_delay_alu instid0(VALU_DEP_1) | instskip(NEXT) | instid1(VALU_DEP_1)
	v_dual_add_f32 v14, v14, v176 :: v_dual_add_f32 v13, v5, v171
	v_add_f32_e32 v17, v14, v178
	s_delay_alu instid0(VALU_DEP_2) | instskip(NEXT) | instid1(VALU_DEP_2)
	v_add_f32_e32 v13, v13, v173
	v_add_f32_e32 v17, v17, v180
	s_delay_alu instid0(VALU_DEP_2)
	v_add_f32_e32 v13, v13, v175
	v_fmac_f32_e32 v197, v8, v3
	scratch_load_b128 v[1:4], off, off offset:368
	ds_load_b128 v[5:8], v21 offset:800
	v_add_f32_e32 v17, v17, v182
	v_add_f32_e32 v18, v13, v177
	ds_load_b128 v[13:16], v21 offset:816
	v_add_f32_e32 v17, v17, v184
	s_delay_alu instid0(VALU_DEP_1)
	v_add_f32_e32 v136, v17, v186
	s_wait_loadcnt_dscnt 0x101
	v_mul_f32_e32 v24, v5, v10
	v_mul_f32_e32 v10, v6, v10
	;; [unrolled: 1-line block ×4, first 2 shown]
	v_add_f32_e32 v18, v18, v179
	v_fmac_f32_e32 v24, v6, v9
	v_fma_f32 v145, v5, v9, -v10
	v_fmac_f32_e32 v144, v8, v11
	v_fma_f32 v146, v7, v11, -v12
	s_clause 0x1
	scratch_load_b128 v[5:8], off, off offset:384
	scratch_load_b128 v[9:12], off, off offset:400
	v_add_f32_e32 v18, v18, v181
	s_delay_alu instid0(VALU_DEP_1) | instskip(SKIP_4) | instid1(VALU_DEP_1)
	v_add_f32_e32 v135, v18, v183
	scratch_load_b128 v[17:20], off, off offset:416
	v_dual_add_f32 v139, v136, v188 :: v_dual_add_f32 v138, v135, v185
	scratch_load_b64 v[135:136], off, off offset:432
	v_dual_add_f32 v139, v139, v190 :: v_dual_add_f32 v138, v138, v187
	v_dual_add_f32 v139, v139, v192 :: v_dual_add_f32 v138, v138, v189
	s_wait_loadcnt_dscnt 0x400
	v_mul_f32_e32 v147, v13, v2
	v_mul_f32_e32 v2, v14, v2
	v_mul_f32_e32 v148, v15, v4
	s_delay_alu instid0(VALU_DEP_3) | instskip(NEXT) | instid1(VALU_DEP_3)
	v_dual_mul_f32 v4, v16, v4 :: v_dual_fmac_f32 v147, v14, v1
	v_fma_f32 v149, v13, v1, -v2
	v_dual_add_f32 v13, v138, v191 :: v_dual_add_f32 v14, v139, v194
	s_delay_alu instid0(VALU_DEP_4) | instskip(NEXT) | instid1(VALU_DEP_4)
	v_fmac_f32_e32 v148, v16, v3
	v_fma_f32 v150, v15, v3, -v4
	ds_load_b128 v[1:4], v21 offset:832
	v_add_f32_e32 v138, v13, v193
	v_add_f32_e32 v142, v14, v196
	ds_load_b128 v[13:16], v21 offset:848
	v_add_f32_e32 v143, v138, v195
	v_add_f32_e32 v151, v142, v198
	ds_load_b128 v[138:141], v21 offset:864
	v_add_f32_e32 v152, v143, v197
	v_add_f32_e32 v145, v151, v145
	ds_load_b64 v[142:143], v21 offset:880
	v_dual_add_f32 v24, v152, v24 :: v_dual_add_f32 v145, v145, v146
	s_wait_loadcnt_dscnt 0x303
	s_delay_alu instid0(VALU_DEP_1) | instskip(NEXT) | instid1(VALU_DEP_2)
	v_dual_mul_f32 v151, v1, v6 :: v_dual_add_f32 v24, v24, v144
	v_dual_mul_f32 v6, v2, v6 :: v_dual_add_f32 v145, v145, v149
	v_mul_f32_e32 v144, v3, v8
	v_mul_f32_e32 v8, v4, v8
	s_delay_alu instid0(VALU_DEP_4) | instskip(NEXT) | instid1(VALU_DEP_4)
	v_add_f32_e32 v24, v24, v147
	v_fma_f32 v1, v1, v5, -v6
	v_add_f32_e32 v145, v145, v150
	s_wait_loadcnt_dscnt 0x202
	v_dual_fmac_f32 v151, v2, v5 :: v_dual_mul_f32 v146, v13, v10
	v_add_f32_e32 v24, v24, v148
	v_fmac_f32_e32 v144, v4, v7
	v_fma_f32 v2, v3, v7, -v8
	v_mul_f32_e32 v3, v14, v10
	s_delay_alu instid0(VALU_DEP_4) | instskip(SKIP_2) | instid1(VALU_DEP_4)
	v_dual_add_f32 v1, v145, v1 :: v_dual_add_f32 v4, v24, v151
	v_mul_f32_e32 v147, v15, v12
	v_dual_mul_f32 v5, v16, v12 :: v_dual_fmac_f32 v146, v14, v9
	v_fma_f32 v3, v13, v9, -v3
	s_delay_alu instid0(VALU_DEP_4)
	v_dual_add_f32 v1, v1, v2 :: v_dual_add_f32 v2, v4, v144
	s_wait_loadcnt_dscnt 0x101
	v_mul_f32_e32 v149, v138, v18
	v_dual_mul_f32 v4, v139, v18 :: v_dual_fmac_f32 v147, v16, v11
	v_fma_f32 v5, v15, v11, -v5
	v_dual_add_f32 v1, v1, v3 :: v_dual_add_f32 v2, v2, v146
	v_mul_f32_e32 v150, v140, v20
	v_mul_f32_e32 v3, v141, v20
	v_fmac_f32_e32 v149, v139, v17
	v_fma_f32 v4, v138, v17, -v4
	v_dual_add_f32 v1, v1, v5 :: v_dual_add_f32 v2, v2, v147
	s_wait_loadcnt_dscnt 0x0
	v_mul_f32_e32 v148, v142, v136
	v_dual_mul_f32 v5, v143, v136 :: v_dual_fmac_f32 v150, v141, v19
	v_fma_f32 v3, v140, v19, -v3
	v_dual_add_f32 v1, v1, v4 :: v_dual_add_f32 v2, v2, v149
	s_delay_alu instid0(VALU_DEP_4) | instskip(NEXT) | instid1(VALU_DEP_4)
	v_fmac_f32_e32 v148, v143, v135
	v_fma_f32 v4, v142, v135, -v5
	s_delay_alu instid0(VALU_DEP_3) | instskip(NEXT) | instid1(VALU_DEP_1)
	v_dual_add_f32 v1, v1, v3 :: v_dual_add_f32 v2, v2, v150
	v_add_f32_e32 v1, v1, v4
	s_delay_alu instid0(VALU_DEP_2) | instskip(NEXT) | instid1(VALU_DEP_1)
	v_add_f32_e32 v2, v2, v148
	v_dual_sub_f32 v1, v22, v1 :: v_dual_sub_f32 v2, v23, v2
	scratch_store_b64 off, v[1:2], off offset:56
	v_cmpx_lt_u32_e32 6, v0
	s_cbranch_execz .LBB118_331
; %bb.330:
	scratch_load_b64 v[1:2], off, off offset:48
	v_mov_b32_e32 v22, v21
	scratch_store_b64 off, v[21:22], off offset:48
	s_wait_loadcnt 0x0
	ds_store_b64 v137, v[1:2]
.LBB118_331:
	s_wait_alu 0xfffe
	s_or_b32 exec_lo, exec_lo, s0
	s_wait_storecnt_dscnt 0x0
	s_barrier_signal -1
	s_barrier_wait -1
	global_inv scope:SCOPE_SE
	s_clause 0x4
	scratch_load_b128 v[5:8], off, off offset:56
	scratch_load_b128 v[1:4], off, off offset:72
	;; [unrolled: 1-line block ×5, first 2 shown]
	ds_load_2addr_b64 v[138:141], v21 offset0:63 offset1:64
	ds_load_2addr_b64 v[142:145], v21 offset0:65 offset1:66
	ds_load_2addr_b64 v[146:149], v21 offset0:67 offset1:68
	scratch_load_b64 v[135:136], off, off offset:48
	s_mov_b32 s0, exec_lo
	s_wait_loadcnt_dscnt 0x502
	v_mul_f32_e32 v22, v139, v6
	v_dual_mul_f32 v23, v138, v6 :: v_dual_mul_f32 v24, v140, v8
	v_mul_f32_e32 v6, v141, v8
	s_delay_alu instid0(VALU_DEP_3) | instskip(NEXT) | instid1(VALU_DEP_3)
	v_fma_f32 v22, v138, v5, -v22
	v_dual_fmac_f32 v23, v139, v5 :: v_dual_fmac_f32 v24, v141, v7
	s_wait_loadcnt_dscnt 0x401
	v_mul_f32_e32 v139, v142, v2
	v_fma_f32 v138, v140, v7, -v6
	ds_load_2addr_b64 v[5:8], v21 offset0:69 offset1:70
	s_wait_loadcnt_dscnt 0x301
	v_dual_mul_f32 v140, v144, v4 :: v_dual_mul_f32 v141, v146, v10
	v_dual_mul_f32 v4, v145, v4 :: v_dual_fmac_f32 v139, v143, v1
	v_mul_f32_e32 v10, v147, v10
	s_delay_alu instid0(VALU_DEP_3)
	v_dual_mul_f32 v150, v148, v12 :: v_dual_fmac_f32 v141, v147, v9
	v_mul_f32_e32 v12, v149, v12
	v_mul_f32_e32 v2, v143, v2
	v_fmac_f32_e32 v140, v145, v3
	v_fma_f32 v143, v144, v3, -v4
	v_fma_f32 v144, v146, v9, -v10
	v_fmac_f32_e32 v150, v149, v11
	v_fma_f32 v145, v148, v11, -v12
	ds_load_2addr_b64 v[9:12], v21 offset0:71 offset1:72
	s_wait_loadcnt_dscnt 0x201
	v_mul_f32_e32 v146, v5, v14
	v_dual_mul_f32 v14, v6, v14 :: v_dual_mul_f32 v147, v7, v16
	v_mul_f32_e32 v16, v8, v16
	s_delay_alu instid0(VALU_DEP_3) | instskip(NEXT) | instid1(VALU_DEP_3)
	v_fmac_f32_e32 v146, v6, v13
	v_fma_f32 v13, v5, v13, -v14
	s_delay_alu instid0(VALU_DEP_4) | instskip(NEXT) | instid1(VALU_DEP_4)
	v_fmac_f32_e32 v147, v8, v15
	v_fma_f32 v14, v7, v15, -v16
	ds_load_2addr_b64 v[5:8], v21 offset0:73 offset1:74
	s_wait_loadcnt_dscnt 0x101
	v_mul_f32_e32 v15, v9, v18
	v_mul_f32_e32 v16, v10, v18
	;; [unrolled: 1-line block ×3, first 2 shown]
	s_delay_alu instid0(VALU_DEP_3)
	v_dual_mul_f32 v20, v12, v20 :: v_dual_fmac_f32 v15, v10, v17
	v_fma_f32 v142, v142, v1, -v2
	scratch_load_b128 v[1:4], off, off offset:136
	v_fma_f32 v16, v9, v17, -v16
	v_fmac_f32_e32 v18, v12, v19
	v_fma_f32 v17, v11, v19, -v20
	scratch_load_b128 v[9:12], off, off offset:152
	s_wait_loadcnt_dscnt 0x100
	v_mul_f32_e32 v19, v5, v2
	v_mul_f32_e32 v2, v6, v2
	;; [unrolled: 1-line block ×3, first 2 shown]
	s_delay_alu instid0(VALU_DEP_3) | instskip(NEXT) | instid1(VALU_DEP_3)
	v_dual_mul_f32 v4, v8, v4 :: v_dual_fmac_f32 v19, v6, v1
	v_fma_f32 v148, v5, v1, -v2
	s_delay_alu instid0(VALU_DEP_3) | instskip(NEXT) | instid1(VALU_DEP_3)
	v_fmac_f32_e32 v20, v8, v3
	v_fma_f32 v149, v7, v3, -v4
	ds_load_2addr_b64 v[1:4], v21 offset0:75 offset1:76
	ds_load_2addr_b64 v[5:8], v21 offset0:77 offset1:78
	s_wait_loadcnt_dscnt 0x1
	v_mul_f32_e32 v151, v1, v10
	v_mul_f32_e32 v10, v2, v10
	s_delay_alu instid0(VALU_DEP_2) | instskip(NEXT) | instid1(VALU_DEP_2)
	v_dual_mul_f32 v152, v3, v12 :: v_dual_fmac_f32 v151, v2, v9
	v_fma_f32 v153, v1, v9, -v10
	v_mul_f32_e32 v1, v4, v12
	s_delay_alu instid0(VALU_DEP_3) | instskip(NEXT) | instid1(VALU_DEP_2)
	v_fmac_f32_e32 v152, v4, v11
	v_fma_f32 v154, v3, v11, -v1
	s_clause 0x1
	scratch_load_b128 v[1:4], off, off offset:168
	scratch_load_b128 v[9:12], off, off offset:184
	s_wait_loadcnt_dscnt 0x100
	v_mul_f32_e32 v155, v5, v2
	v_dual_mul_f32 v2, v6, v2 :: v_dual_mul_f32 v157, v7, v4
	s_delay_alu instid0(VALU_DEP_2) | instskip(NEXT) | instid1(VALU_DEP_2)
	v_fmac_f32_e32 v155, v6, v1
	v_fma_f32 v156, v5, v1, -v2
	v_mul_f32_e32 v1, v8, v4
	s_delay_alu instid0(VALU_DEP_4) | instskip(NEXT) | instid1(VALU_DEP_2)
	v_fmac_f32_e32 v157, v8, v3
	v_fma_f32 v158, v7, v3, -v1
	ds_load_2addr_b64 v[1:4], v21 offset0:79 offset1:80
	ds_load_2addr_b64 v[5:8], v21 offset0:81 offset1:82
	s_wait_loadcnt_dscnt 0x1
	v_mul_f32_e32 v159, v1, v10
	v_mul_f32_e32 v161, v3, v12
	s_delay_alu instid0(VALU_DEP_2) | instskip(NEXT) | instid1(VALU_DEP_2)
	v_fmac_f32_e32 v159, v2, v9
	v_dual_mul_f32 v2, v2, v10 :: v_dual_fmac_f32 v161, v4, v11
	s_delay_alu instid0(VALU_DEP_1) | instskip(SKIP_1) | instid1(VALU_DEP_1)
	v_fma_f32 v160, v1, v9, -v2
	v_mul_f32_e32 v1, v4, v12
	v_fma_f32 v162, v3, v11, -v1
	s_clause 0x1
	scratch_load_b128 v[1:4], off, off offset:200
	scratch_load_b128 v[9:12], off, off offset:216
	s_wait_loadcnt_dscnt 0x100
	v_mul_f32_e32 v163, v5, v2
	v_dual_mul_f32 v2, v6, v2 :: v_dual_mul_f32 v165, v7, v4
	s_delay_alu instid0(VALU_DEP_2) | instskip(NEXT) | instid1(VALU_DEP_2)
	v_fmac_f32_e32 v163, v6, v1
	v_fma_f32 v164, v5, v1, -v2
	v_mul_f32_e32 v1, v8, v4
	s_delay_alu instid0(VALU_DEP_4) | instskip(NEXT) | instid1(VALU_DEP_2)
	v_fmac_f32_e32 v165, v8, v3
	v_fma_f32 v166, v7, v3, -v1
	ds_load_2addr_b64 v[1:4], v21 offset0:83 offset1:84
	ds_load_2addr_b64 v[5:8], v21 offset0:85 offset1:86
	s_wait_loadcnt_dscnt 0x1
	v_mul_f32_e32 v167, v1, v10
	v_mul_f32_e32 v169, v3, v12
	s_delay_alu instid0(VALU_DEP_2) | instskip(NEXT) | instid1(VALU_DEP_2)
	v_fmac_f32_e32 v167, v2, v9
	v_dual_mul_f32 v2, v2, v10 :: v_dual_fmac_f32 v169, v4, v11
	s_delay_alu instid0(VALU_DEP_1) | instskip(SKIP_1) | instid1(VALU_DEP_1)
	v_fma_f32 v168, v1, v9, -v2
	v_mul_f32_e32 v1, v4, v12
	;; [unrolled: 25-line block ×6, first 2 shown]
	v_fma_f32 v202, v3, v11, -v1
	s_clause 0x1
	scratch_load_b128 v[1:4], off, off offset:360
	scratch_load_b128 v[9:12], off, off offset:376
	s_wait_loadcnt_dscnt 0x100
	v_mul_f32_e32 v203, v5, v2
	v_dual_mul_f32 v2, v6, v2 :: v_dual_mul_f32 v205, v7, v4
	s_delay_alu instid0(VALU_DEP_2) | instskip(NEXT) | instid1(VALU_DEP_2)
	v_fmac_f32_e32 v203, v6, v1
	v_fma_f32 v204, v5, v1, -v2
	v_add_f32_e32 v2, 0, v23
	s_delay_alu instid0(VALU_DEP_1) | instskip(NEXT) | instid1(VALU_DEP_1)
	v_dual_fmac_f32 v205, v8, v3 :: v_dual_add_f32 v2, v2, v24
	v_add_f32_e32 v2, v2, v139
	s_delay_alu instid0(VALU_DEP_1) | instskip(NEXT) | instid1(VALU_DEP_1)
	v_add_f32_e32 v2, v2, v140
	v_add_f32_e32 v2, v2, v141
	s_delay_alu instid0(VALU_DEP_1) | instskip(NEXT) | instid1(VALU_DEP_1)
	v_add_f32_e32 v2, v2, v150
	;; [unrolled: 3-line block ×3, first 2 shown]
	v_add_f32_e32 v2, v2, v15
	s_delay_alu instid0(VALU_DEP_1) | instskip(NEXT) | instid1(VALU_DEP_1)
	v_dual_add_f32 v2, v2, v18 :: v_dual_mul_f32 v1, v8, v4
	v_add_f32_e32 v2, v2, v19
	s_delay_alu instid0(VALU_DEP_2) | instskip(NEXT) | instid1(VALU_DEP_2)
	v_fma_f32 v206, v7, v3, -v1
	v_dual_add_f32 v1, 0, v22 :: v_dual_add_f32 v2, v2, v20
	s_delay_alu instid0(VALU_DEP_1) | instskip(NEXT) | instid1(VALU_DEP_1)
	v_dual_add_f32 v1, v1, v138 :: v_dual_add_f32 v2, v2, v151
	v_dual_add_f32 v1, v1, v142 :: v_dual_add_f32 v2, v2, v152
	s_delay_alu instid0(VALU_DEP_1) | instskip(NEXT) | instid1(VALU_DEP_1)
	v_add_f32_e32 v1, v1, v143
	v_dual_add_f32 v2, v2, v155 :: v_dual_add_f32 v1, v1, v144
	s_delay_alu instid0(VALU_DEP_1) | instskip(NEXT) | instid1(VALU_DEP_1)
	v_add_f32_e32 v2, v2, v157
	;; [unrolled: 3-line block ×3, first 2 shown]
	v_dual_add_f32 v2, v2, v161 :: v_dual_add_f32 v1, v1, v14
	s_delay_alu instid0(VALU_DEP_1) | instskip(NEXT) | instid1(VALU_DEP_1)
	v_dual_add_f32 v2, v2, v163 :: v_dual_add_f32 v1, v1, v16
	v_add_f32_e32 v2, v2, v165
	s_delay_alu instid0(VALU_DEP_2) | instskip(NEXT) | instid1(VALU_DEP_1)
	v_add_f32_e32 v1, v1, v17
	v_add_f32_e32 v1, v1, v148
	s_delay_alu instid0(VALU_DEP_1) | instskip(NEXT) | instid1(VALU_DEP_1)
	v_add_f32_e32 v1, v1, v149
	v_add_f32_e32 v1, v1, v153
	s_delay_alu instid0(VALU_DEP_1) | instskip(NEXT) | instid1(VALU_DEP_1)
	;; [unrolled: 3-line block ×7, first 2 shown]
	v_add_f32_e32 v1, v1, v174
	v_add_f32_e32 v1, v1, v176
	s_delay_alu instid0(VALU_DEP_1) | instskip(SKIP_1) | instid1(VALU_DEP_2)
	v_add_f32_e32 v6, v1, v178
	v_add_f32_e32 v2, v2, v167
	;; [unrolled: 1-line block ×3, first 2 shown]
	s_delay_alu instid0(VALU_DEP_2) | instskip(NEXT) | instid1(VALU_DEP_2)
	v_add_f32_e32 v2, v2, v169
	v_add_f32_e32 v13, v6, v182
	s_delay_alu instid0(VALU_DEP_1) | instskip(NEXT) | instid1(VALU_DEP_1)
	v_dual_add_f32 v2, v2, v171 :: v_dual_add_f32 v13, v13, v184
	v_dual_add_f32 v2, v2, v173 :: v_dual_add_f32 v13, v13, v186
	s_delay_alu instid0(VALU_DEP_1) | instskip(SKIP_3) | instid1(VALU_DEP_2)
	v_add_f32_e32 v5, v2, v175
	ds_load_2addr_b64 v[1:4], v21 offset0:103 offset1:104
	v_add_f32_e32 v13, v13, v188
	v_add_f32_e32 v5, v5, v177
	;; [unrolled: 1-line block ×3, first 2 shown]
	s_delay_alu instid0(VALU_DEP_1) | instskip(NEXT) | instid1(VALU_DEP_1)
	v_dual_add_f32 v5, v5, v179 :: v_dual_add_f32 v18, v18, v192
	v_add_f32_e32 v14, v5, v181
	ds_load_2addr_b64 v[5:8], v21 offset0:105 offset1:106
	v_add_f32_e32 v18, v18, v194
	s_wait_loadcnt_dscnt 0x1
	v_dual_mul_f32 v138, v1, v10 :: v_dual_mul_f32 v139, v3, v12
	v_mul_f32_e32 v10, v2, v10
	v_mul_f32_e32 v12, v4, v12
	v_add_f32_e32 v22, v18, v196
	s_delay_alu instid0(VALU_DEP_4) | instskip(NEXT) | instid1(VALU_DEP_4)
	v_dual_fmac_f32 v138, v2, v9 :: v_dual_fmac_f32 v139, v4, v11
	v_fma_f32 v140, v1, v9, -v10
	s_delay_alu instid0(VALU_DEP_4) | instskip(SKIP_4) | instid1(VALU_DEP_1)
	v_fma_f32 v141, v3, v11, -v12
	s_clause 0x1
	scratch_load_b128 v[1:4], off, off offset:392
	scratch_load_b128 v[9:12], off, off offset:408
	v_add_f32_e32 v142, v22, v198
	v_add_f32_e32 v142, v142, v200
	s_delay_alu instid0(VALU_DEP_1) | instskip(NEXT) | instid1(VALU_DEP_1)
	v_add_f32_e32 v142, v142, v202
	v_add_f32_e32 v142, v142, v204
	s_delay_alu instid0(VALU_DEP_1) | instskip(NEXT) | instid1(VALU_DEP_1)
	v_add_f32_e32 v142, v142, v206
	v_add_f32_e32 v140, v142, v140
	s_wait_loadcnt_dscnt 0x100
	v_mul_f32_e32 v144, v5, v2
	v_dual_add_f32 v14, v14, v183 :: v_dual_mul_f32 v145, v7, v4
	v_mul_f32_e32 v4, v8, v4
	v_mul_f32_e32 v2, v6, v2
	s_delay_alu instid0(VALU_DEP_4) | instskip(NEXT) | instid1(VALU_DEP_4)
	v_fmac_f32_e32 v144, v6, v1
	v_dual_add_f32 v14, v14, v185 :: v_dual_fmac_f32 v145, v8, v3
	s_delay_alu instid0(VALU_DEP_4) | instskip(NEXT) | instid1(VALU_DEP_4)
	v_fma_f32 v3, v7, v3, -v4
	v_fma_f32 v2, v5, v1, -v2
	v_add_f32_e32 v1, v140, v141
	s_delay_alu instid0(VALU_DEP_4) | instskip(SKIP_3) | instid1(VALU_DEP_2)
	v_add_f32_e32 v17, v14, v187
	scratch_load_b128 v[13:16], off, off offset:424
	v_add_f32_e32 v1, v1, v2
	v_add_f32_e32 v17, v17, v189
	;; [unrolled: 1-line block ×3, first 2 shown]
	s_delay_alu instid0(VALU_DEP_2) | instskip(NEXT) | instid1(VALU_DEP_1)
	v_add_f32_e32 v17, v17, v191
	v_add_f32_e32 v17, v17, v193
	s_delay_alu instid0(VALU_DEP_1)
	v_add_f32_e32 v23, v17, v195
	ds_load_2addr_b64 v[17:20], v21 offset0:107 offset1:108
	v_add_f32_e32 v143, v23, v197
	ds_load_2addr_b64 v[21:24], v21 offset0:109 offset1:110
	v_add_f32_e32 v143, v143, v199
	s_wait_loadcnt_dscnt 0x101
	s_delay_alu instid0(VALU_DEP_1) | instskip(SKIP_2) | instid1(VALU_DEP_2)
	v_dual_add_f32 v143, v143, v201 :: v_dual_mul_f32 v146, v17, v10
	v_dual_mul_f32 v6, v18, v10 :: v_dual_mul_f32 v147, v19, v12
	v_mul_f32_e32 v4, v20, v12
	v_dual_fmac_f32 v146, v18, v9 :: v_dual_fmac_f32 v147, v20, v11
	s_delay_alu instid0(VALU_DEP_2) | instskip(SKIP_3) | instid1(VALU_DEP_2)
	v_fma_f32 v4, v19, v11, -v4
	s_wait_loadcnt_dscnt 0x0
	v_mul_f32_e32 v142, v23, v16
	v_dual_add_f32 v143, v143, v203 :: v_dual_mul_f32 v148, v21, v14
	v_dual_mul_f32 v3, v22, v14 :: v_dual_fmac_f32 v142, v24, v15
	s_delay_alu instid0(VALU_DEP_2) | instskip(NEXT) | instid1(VALU_DEP_3)
	v_add_f32_e32 v143, v143, v205
	v_fmac_f32_e32 v148, v22, v13
	s_delay_alu instid0(VALU_DEP_3) | instskip(NEXT) | instid1(VALU_DEP_3)
	v_fma_f32 v3, v21, v13, -v3
	v_add_f32_e32 v138, v143, v138
	s_delay_alu instid0(VALU_DEP_1) | instskip(NEXT) | instid1(VALU_DEP_1)
	v_add_f32_e32 v5, v138, v139
	v_add_f32_e32 v2, v5, v144
	v_fma_f32 v5, v17, v9, -v6
	s_delay_alu instid0(VALU_DEP_2) | instskip(NEXT) | instid1(VALU_DEP_2)
	v_add_f32_e32 v2, v2, v145
	v_add_f32_e32 v1, v1, v5
	s_delay_alu instid0(VALU_DEP_2) | instskip(NEXT) | instid1(VALU_DEP_2)
	v_dual_mul_f32 v5, v24, v16 :: v_dual_add_f32 v2, v2, v146
	v_add_f32_e32 v1, v1, v4
	s_delay_alu instid0(VALU_DEP_2) | instskip(NEXT) | instid1(VALU_DEP_3)
	v_fma_f32 v4, v23, v15, -v5
	v_add_f32_e32 v2, v2, v147
	s_delay_alu instid0(VALU_DEP_1) | instskip(NEXT) | instid1(VALU_DEP_1)
	v_dual_add_f32 v1, v1, v3 :: v_dual_add_f32 v2, v2, v148
	v_dual_add_f32 v1, v1, v4 :: v_dual_add_f32 v2, v2, v142
	s_delay_alu instid0(VALU_DEP_1)
	v_dual_sub_f32 v1, v135, v1 :: v_dual_sub_f32 v2, v136, v2
	scratch_store_b64 off, v[1:2], off offset:48
	v_cmpx_lt_u32_e32 5, v0
	s_cbranch_execz .LBB118_333
; %bb.332:
	scratch_load_b64 v[1:2], off, off offset:40
	v_mov_b32_e32 v3, 0
	s_delay_alu instid0(VALU_DEP_1)
	v_mov_b32_e32 v4, v3
	scratch_store_b64 off, v[3:4], off offset:40
	s_wait_loadcnt 0x0
	ds_store_b64 v137, v[1:2]
.LBB118_333:
	s_wait_alu 0xfffe
	s_or_b32 exec_lo, exec_lo, s0
	s_wait_storecnt_dscnt 0x0
	s_barrier_signal -1
	s_barrier_wait -1
	global_inv scope:SCOPE_SE
	s_clause 0x4
	scratch_load_b128 v[5:8], off, off offset:48
	scratch_load_b128 v[1:4], off, off offset:64
	scratch_load_b128 v[9:12], off, off offset:80
	scratch_load_b128 v[13:16], off, off offset:96
	scratch_load_b128 v[17:20], off, off offset:112
	v_mov_b32_e32 v135, 0
	ds_load_b128 v[21:24], v135 offset:496
	ds_load_b128 v[138:141], v135 offset:512
	;; [unrolled: 1-line block ×3, first 2 shown]
	scratch_load_b64 v[146:147], off, off offset:40
	s_mov_b32 s0, exec_lo
	s_wait_loadcnt_dscnt 0x502
	v_mul_f32_e32 v136, v22, v6
	v_dual_mul_f32 v148, v21, v6 :: v_dual_mul_f32 v149, v23, v8
	v_mul_f32_e32 v6, v24, v8
	s_wait_loadcnt_dscnt 0x300
	v_mul_f32_e32 v150, v144, v12
	v_fma_f32 v21, v21, v5, -v136
	v_dual_fmac_f32 v148, v22, v5 :: v_dual_fmac_f32 v149, v24, v7
	v_fma_f32 v22, v23, v7, -v6
	ds_load_b128 v[5:8], v135 offset:544
	v_dual_mul_f32 v23, v138, v2 :: v_dual_mul_f32 v24, v140, v4
	v_mul_f32_e32 v4, v141, v4
	v_mul_f32_e32 v136, v142, v10
	;; [unrolled: 1-line block ×5, first 2 shown]
	v_dual_fmac_f32 v23, v139, v1 :: v_dual_fmac_f32 v24, v141, v3
	v_fma_f32 v139, v140, v3, -v4
	v_fmac_f32_e32 v136, v143, v9
	v_fma_f32 v140, v142, v9, -v10
	v_fmac_f32_e32 v150, v145, v11
	v_fma_f32 v141, v144, v11, -v12
	ds_load_b128 v[9:12], v135 offset:560
	s_wait_loadcnt_dscnt 0x201
	v_dual_mul_f32 v143, v7, v16 :: v_dual_mul_f32 v142, v5, v14
	v_mul_f32_e32 v14, v6, v14
	v_mul_f32_e32 v16, v8, v16
	s_delay_alu instid0(VALU_DEP_3)
	v_fmac_f32_e32 v143, v8, v15
	v_fma_f32 v138, v138, v1, -v2
	scratch_load_b128 v[1:4], off, off offset:128
	v_fmac_f32_e32 v142, v6, v13
	v_fma_f32 v13, v5, v13, -v14
	v_fma_f32 v14, v7, v15, -v16
	ds_load_b128 v[5:8], v135 offset:576
	s_wait_loadcnt_dscnt 0x201
	v_mul_f32_e32 v15, v9, v18
	v_mul_f32_e32 v16, v10, v18
	;; [unrolled: 1-line block ×3, first 2 shown]
	s_delay_alu instid0(VALU_DEP_3) | instskip(NEXT) | instid1(VALU_DEP_3)
	v_dual_mul_f32 v20, v12, v20 :: v_dual_fmac_f32 v15, v10, v17
	v_fma_f32 v16, v9, v17, -v16
	s_delay_alu instid0(VALU_DEP_3) | instskip(NEXT) | instid1(VALU_DEP_3)
	v_fmac_f32_e32 v18, v12, v19
	v_fma_f32 v17, v11, v19, -v20
	scratch_load_b128 v[9:12], off, off offset:144
	s_wait_loadcnt_dscnt 0x100
	v_mul_f32_e32 v19, v5, v2
	v_mul_f32_e32 v2, v6, v2
	v_mul_f32_e32 v20, v7, v4
	s_delay_alu instid0(VALU_DEP_3) | instskip(NEXT) | instid1(VALU_DEP_3)
	v_dual_mul_f32 v4, v8, v4 :: v_dual_fmac_f32 v19, v6, v1
	v_fma_f32 v144, v5, v1, -v2
	s_delay_alu instid0(VALU_DEP_3) | instskip(NEXT) | instid1(VALU_DEP_3)
	v_fmac_f32_e32 v20, v8, v3
	v_fma_f32 v145, v7, v3, -v4
	ds_load_b128 v[1:4], v135 offset:592
	ds_load_b128 v[5:8], v135 offset:608
	s_wait_loadcnt_dscnt 0x1
	v_mul_f32_e32 v151, v1, v10
	v_mul_f32_e32 v10, v2, v10
	s_delay_alu instid0(VALU_DEP_2) | instskip(NEXT) | instid1(VALU_DEP_2)
	v_dual_mul_f32 v152, v3, v12 :: v_dual_fmac_f32 v151, v2, v9
	v_fma_f32 v153, v1, v9, -v10
	v_mul_f32_e32 v1, v4, v12
	s_delay_alu instid0(VALU_DEP_3) | instskip(NEXT) | instid1(VALU_DEP_2)
	v_fmac_f32_e32 v152, v4, v11
	v_fma_f32 v154, v3, v11, -v1
	s_clause 0x1
	scratch_load_b128 v[1:4], off, off offset:160
	scratch_load_b128 v[9:12], off, off offset:176
	s_wait_loadcnt_dscnt 0x100
	v_mul_f32_e32 v155, v5, v2
	v_dual_mul_f32 v2, v6, v2 :: v_dual_mul_f32 v157, v7, v4
	s_delay_alu instid0(VALU_DEP_2) | instskip(NEXT) | instid1(VALU_DEP_2)
	v_fmac_f32_e32 v155, v6, v1
	v_fma_f32 v156, v5, v1, -v2
	v_mul_f32_e32 v1, v8, v4
	s_delay_alu instid0(VALU_DEP_4) | instskip(NEXT) | instid1(VALU_DEP_2)
	v_fmac_f32_e32 v157, v8, v3
	v_fma_f32 v158, v7, v3, -v1
	ds_load_b128 v[1:4], v135 offset:624
	ds_load_b128 v[5:8], v135 offset:640
	s_wait_loadcnt_dscnt 0x1
	v_mul_f32_e32 v159, v1, v10
	v_mul_f32_e32 v161, v3, v12
	s_delay_alu instid0(VALU_DEP_2) | instskip(NEXT) | instid1(VALU_DEP_2)
	v_fmac_f32_e32 v159, v2, v9
	v_dual_mul_f32 v2, v2, v10 :: v_dual_fmac_f32 v161, v4, v11
	s_delay_alu instid0(VALU_DEP_1) | instskip(SKIP_1) | instid1(VALU_DEP_1)
	v_fma_f32 v160, v1, v9, -v2
	v_mul_f32_e32 v1, v4, v12
	v_fma_f32 v162, v3, v11, -v1
	s_clause 0x1
	scratch_load_b128 v[1:4], off, off offset:192
	scratch_load_b128 v[9:12], off, off offset:208
	s_wait_loadcnt_dscnt 0x100
	v_mul_f32_e32 v163, v5, v2
	v_dual_mul_f32 v2, v6, v2 :: v_dual_mul_f32 v165, v7, v4
	s_delay_alu instid0(VALU_DEP_2) | instskip(NEXT) | instid1(VALU_DEP_2)
	v_fmac_f32_e32 v163, v6, v1
	v_fma_f32 v164, v5, v1, -v2
	v_mul_f32_e32 v1, v8, v4
	s_delay_alu instid0(VALU_DEP_4) | instskip(NEXT) | instid1(VALU_DEP_2)
	v_fmac_f32_e32 v165, v8, v3
	v_fma_f32 v166, v7, v3, -v1
	ds_load_b128 v[1:4], v135 offset:656
	ds_load_b128 v[5:8], v135 offset:672
	s_wait_loadcnt_dscnt 0x1
	v_mul_f32_e32 v167, v1, v10
	v_mul_f32_e32 v169, v3, v12
	s_delay_alu instid0(VALU_DEP_2) | instskip(NEXT) | instid1(VALU_DEP_2)
	v_fmac_f32_e32 v167, v2, v9
	v_dual_mul_f32 v2, v2, v10 :: v_dual_fmac_f32 v169, v4, v11
	s_delay_alu instid0(VALU_DEP_1) | instskip(SKIP_1) | instid1(VALU_DEP_1)
	v_fma_f32 v168, v1, v9, -v2
	v_mul_f32_e32 v1, v4, v12
	;; [unrolled: 25-line block ×6, first 2 shown]
	v_fma_f32 v202, v3, v11, -v1
	s_clause 0x1
	scratch_load_b128 v[1:4], off, off offset:352
	scratch_load_b128 v[9:12], off, off offset:368
	s_wait_loadcnt_dscnt 0x100
	v_mul_f32_e32 v203, v5, v2
	v_mul_f32_e32 v2, v6, v2
	s_delay_alu instid0(VALU_DEP_2) | instskip(NEXT) | instid1(VALU_DEP_2)
	v_fmac_f32_e32 v203, v6, v1
	v_fma_f32 v204, v5, v1, -v2
	v_add_f32_e32 v2, 0, v148
	s_delay_alu instid0(VALU_DEP_1) | instskip(NEXT) | instid1(VALU_DEP_1)
	v_dual_mul_f32 v1, v8, v4 :: v_dual_add_f32 v2, v2, v149
	v_fma_f32 v206, v7, v3, -v1
	s_delay_alu instid0(VALU_DEP_2) | instskip(NEXT) | instid1(VALU_DEP_1)
	v_dual_add_f32 v1, 0, v21 :: v_dual_add_f32 v2, v2, v23
	v_dual_add_f32 v1, v1, v22 :: v_dual_add_f32 v2, v2, v24
	s_delay_alu instid0(VALU_DEP_1) | instskip(NEXT) | instid1(VALU_DEP_1)
	v_add_f32_e32 v2, v2, v136
	v_add_f32_e32 v2, v2, v150
	s_delay_alu instid0(VALU_DEP_1) | instskip(NEXT) | instid1(VALU_DEP_1)
	v_add_f32_e32 v2, v2, v142
	v_dual_add_f32 v1, v1, v138 :: v_dual_add_f32 v2, v2, v143
	s_delay_alu instid0(VALU_DEP_1) | instskip(SKIP_2) | instid1(VALU_DEP_1)
	v_add_f32_e32 v1, v1, v139
	scratch_load_b64 v[138:139], off, off offset:432
	v_dual_add_f32 v2, v2, v15 :: v_dual_add_f32 v1, v1, v140
	v_dual_add_f32 v2, v2, v18 :: v_dual_add_f32 v1, v1, v141
	s_delay_alu instid0(VALU_DEP_1) | instskip(NEXT) | instid1(VALU_DEP_1)
	v_dual_add_f32 v2, v2, v19 :: v_dual_add_f32 v1, v1, v13
	v_dual_add_f32 v2, v2, v20 :: v_dual_add_f32 v1, v1, v14
	s_delay_alu instid0(VALU_DEP_1) | instskip(NEXT) | instid1(VALU_DEP_1)
	v_dual_add_f32 v2, v2, v151 :: v_dual_add_f32 v1, v1, v16
	v_dual_add_f32 v2, v2, v152 :: v_dual_add_f32 v1, v1, v17
	s_delay_alu instid0(VALU_DEP_1) | instskip(NEXT) | instid1(VALU_DEP_1)
	v_dual_add_f32 v2, v2, v155 :: v_dual_add_f32 v1, v1, v144
	v_add_f32_e32 v2, v2, v157
	s_delay_alu instid0(VALU_DEP_1) | instskip(NEXT) | instid1(VALU_DEP_1)
	v_dual_add_f32 v1, v1, v145 :: v_dual_add_f32 v2, v2, v159
	v_add_f32_e32 v1, v1, v153
	s_delay_alu instid0(VALU_DEP_1) | instskip(NEXT) | instid1(VALU_DEP_1)
	v_dual_add_f32 v2, v2, v161 :: v_dual_add_f32 v1, v1, v154
	v_dual_add_f32 v2, v2, v163 :: v_dual_add_f32 v1, v1, v156
	s_delay_alu instid0(VALU_DEP_1) | instskip(NEXT) | instid1(VALU_DEP_1)
	v_dual_add_f32 v2, v2, v165 :: v_dual_add_f32 v1, v1, v158
	v_dual_add_f32 v2, v2, v167 :: v_dual_add_f32 v1, v1, v160
	s_delay_alu instid0(VALU_DEP_1) | instskip(NEXT) | instid1(VALU_DEP_1)
	v_dual_add_f32 v2, v2, v169 :: v_dual_add_f32 v1, v1, v162
	v_add_f32_e32 v1, v1, v164
	s_delay_alu instid0(VALU_DEP_1) | instskip(NEXT) | instid1(VALU_DEP_1)
	v_add_f32_e32 v1, v1, v166
	v_add_f32_e32 v1, v1, v168
	s_delay_alu instid0(VALU_DEP_1) | instskip(NEXT) | instid1(VALU_DEP_1)
	v_add_f32_e32 v1, v1, v170
	;; [unrolled: 3-line block ×3, first 2 shown]
	v_add_f32_e32 v1, v1, v176
	s_delay_alu instid0(VALU_DEP_1) | instskip(SKIP_1) | instid1(VALU_DEP_2)
	v_add_f32_e32 v6, v1, v178
	v_add_f32_e32 v2, v2, v171
	;; [unrolled: 1-line block ×3, first 2 shown]
	s_delay_alu instid0(VALU_DEP_2) | instskip(NEXT) | instid1(VALU_DEP_2)
	v_add_f32_e32 v2, v2, v173
	v_add_f32_e32 v13, v6, v182
	s_delay_alu instid0(VALU_DEP_2) | instskip(NEXT) | instid1(VALU_DEP_2)
	v_add_f32_e32 v5, v2, v175
	v_add_f32_e32 v13, v13, v184
	s_delay_alu instid0(VALU_DEP_2) | instskip(NEXT) | instid1(VALU_DEP_2)
	v_add_f32_e32 v5, v5, v177
	v_add_f32_e32 v13, v13, v186
	s_delay_alu instid0(VALU_DEP_2) | instskip(SKIP_1) | instid1(VALU_DEP_3)
	v_add_f32_e32 v5, v5, v179
	v_mul_f32_e32 v205, v7, v4
	v_add_f32_e32 v13, v13, v188
	s_delay_alu instid0(VALU_DEP_2) | instskip(SKIP_3) | instid1(VALU_DEP_1)
	v_dual_add_f32 v14, v5, v181 :: v_dual_fmac_f32 v205, v8, v3
	ds_load_b128 v[1:4], v135 offset:816
	ds_load_b128 v[5:8], v135 offset:832
	v_add_f32_e32 v18, v13, v190
	v_add_f32_e32 v18, v18, v192
	s_delay_alu instid0(VALU_DEP_1) | instskip(NEXT) | instid1(VALU_DEP_1)
	v_add_f32_e32 v18, v18, v194
	v_add_f32_e32 v18, v18, v196
	s_wait_loadcnt_dscnt 0x101
	v_mul_f32_e32 v136, v1, v10
	v_mul_f32_e32 v10, v2, v10
	;; [unrolled: 1-line block ×4, first 2 shown]
	v_add_f32_e32 v14, v14, v183
	v_fmac_f32_e32 v136, v2, v9
	v_fma_f32 v143, v1, v9, -v10
	v_fmac_f32_e32 v142, v4, v11
	v_fma_f32 v144, v3, v11, -v12
	s_clause 0x1
	scratch_load_b128 v[1:4], off, off offset:384
	scratch_load_b128 v[9:12], off, off offset:400
	v_add_f32_e32 v14, v14, v185
	v_add_f32_e32 v18, v18, v198
	s_delay_alu instid0(VALU_DEP_2) | instskip(SKIP_2) | instid1(VALU_DEP_1)
	v_add_f32_e32 v17, v14, v187
	scratch_load_b128 v[13:16], off, off offset:416
	v_dual_add_f32 v140, v18, v200 :: v_dual_add_f32 v17, v17, v189
	v_add_f32_e32 v145, v140, v202
	s_delay_alu instid0(VALU_DEP_2) | instskip(NEXT) | instid1(VALU_DEP_2)
	v_add_f32_e32 v17, v17, v191
	v_add_f32_e32 v145, v145, v204
	s_delay_alu instid0(VALU_DEP_2) | instskip(NEXT) | instid1(VALU_DEP_2)
	v_add_f32_e32 v17, v17, v193
	;; [unrolled: 3-line block ×3, first 2 shown]
	v_add_f32_e32 v143, v145, v143
	s_delay_alu instid0(VALU_DEP_2)
	v_add_f32_e32 v21, v17, v197
	ds_load_b128 v[17:20], v135 offset:848
	v_add_f32_e32 v143, v143, v144
	s_wait_loadcnt_dscnt 0x201
	v_dual_mul_f32 v150, v7, v4 :: v_dual_add_f32 v141, v21, v199
	v_mul_f32_e32 v4, v8, v4
	ds_load_b128 v[21:24], v135 offset:864
	v_mul_f32_e32 v149, v5, v2
	v_mul_f32_e32 v2, v6, v2
	v_add_f32_e32 v148, v141, v201
	ds_load_b64 v[140:141], v135 offset:880
	s_wait_loadcnt_dscnt 0x102
	v_mul_f32_e32 v145, v17, v10
	v_fmac_f32_e32 v149, v6, v1
	v_fma_f32 v2, v5, v1, -v2
	v_add_f32_e32 v148, v148, v203
	v_fmac_f32_e32 v150, v8, v3
	v_fma_f32 v1, v7, v3, -v4
	v_mul_f32_e32 v3, v18, v10
	v_add_f32_e32 v2, v143, v2
	v_add_f32_e32 v148, v148, v205
	v_mul_f32_e32 v5, v20, v12
	v_fmac_f32_e32 v145, v18, v9
	v_fma_f32 v3, v17, v9, -v3
	s_delay_alu instid0(VALU_DEP_4) | instskip(SKIP_3) | instid1(VALU_DEP_3)
	v_dual_add_f32 v1, v2, v1 :: v_dual_add_f32 v136, v148, v136
	s_wait_loadcnt_dscnt 0x1
	v_dual_mul_f32 v148, v19, v12 :: v_dual_mul_f32 v151, v21, v14
	v_fma_f32 v5, v19, v11, -v5
	v_dual_add_f32 v1, v1, v3 :: v_dual_add_f32 v136, v136, v142
	s_delay_alu instid0(VALU_DEP_3)
	v_fmac_f32_e32 v148, v20, v11
	v_mul_f32_e32 v144, v23, v16
	v_mul_f32_e32 v3, v24, v16
	v_fmac_f32_e32 v151, v22, v13
	v_add_f32_e32 v4, v136, v149
	s_wait_dscnt 0x0
	v_dual_add_f32 v1, v1, v5 :: v_dual_mul_f32 v142, v140, v139
	v_mul_f32_e32 v5, v141, v139
	v_fmac_f32_e32 v144, v24, v15
	v_add_f32_e32 v2, v4, v150
	v_mul_f32_e32 v4, v22, v14
	v_fma_f32 v3, v23, v15, -v3
	v_fmac_f32_e32 v142, v141, v138
	s_delay_alu instid0(VALU_DEP_4) | instskip(NEXT) | instid1(VALU_DEP_4)
	v_add_f32_e32 v2, v2, v145
	v_fma_f32 v4, v21, v13, -v4
	s_delay_alu instid0(VALU_DEP_2) | instskip(NEXT) | instid1(VALU_DEP_2)
	v_add_f32_e32 v2, v2, v148
	v_add_f32_e32 v1, v1, v4
	v_fma_f32 v4, v140, v138, -v5
	s_delay_alu instid0(VALU_DEP_3) | instskip(NEXT) | instid1(VALU_DEP_1)
	v_add_f32_e32 v2, v2, v151
	v_dual_add_f32 v1, v1, v3 :: v_dual_add_f32 v2, v2, v144
	s_delay_alu instid0(VALU_DEP_1) | instskip(NEXT) | instid1(VALU_DEP_1)
	v_dual_add_f32 v1, v1, v4 :: v_dual_add_f32 v2, v2, v142
	v_dual_sub_f32 v1, v146, v1 :: v_dual_sub_f32 v2, v147, v2
	scratch_store_b64 off, v[1:2], off offset:40
	v_cmpx_lt_u32_e32 4, v0
	s_cbranch_execz .LBB118_335
; %bb.334:
	scratch_load_b64 v[1:2], off, off offset:32
	v_mov_b32_e32 v136, v135
	scratch_store_b64 off, v[135:136], off offset:32
	s_wait_loadcnt 0x0
	ds_store_b64 v137, v[1:2]
.LBB118_335:
	s_wait_alu 0xfffe
	s_or_b32 exec_lo, exec_lo, s0
	s_wait_storecnt_dscnt 0x0
	s_barrier_signal -1
	s_barrier_wait -1
	global_inv scope:SCOPE_SE
	s_clause 0x4
	scratch_load_b128 v[5:8], off, off offset:40
	scratch_load_b128 v[1:4], off, off offset:56
	;; [unrolled: 1-line block ×5, first 2 shown]
	ds_load_2addr_b64 v[21:24], v135 offset0:61 offset1:62
	ds_load_2addr_b64 v[138:141], v135 offset0:63 offset1:64
	;; [unrolled: 1-line block ×3, first 2 shown]
	scratch_load_b64 v[146:147], off, off offset:32
	s_mov_b32 s0, exec_lo
	s_wait_loadcnt_dscnt 0x502
	v_mul_f32_e32 v136, v21, v6
	v_mul_f32_e32 v148, v23, v8
	s_wait_loadcnt_dscnt 0x300
	v_dual_mul_f32 v8, v24, v8 :: v_dual_mul_f32 v149, v142, v10
	v_mul_f32_e32 v6, v22, v6
	v_fmac_f32_e32 v136, v22, v5
	v_mul_f32_e32 v10, v143, v10
	s_delay_alu instid0(VALU_DEP_4)
	v_fma_f32 v22, v23, v7, -v8
	v_dual_mul_f32 v23, v138, v2 :: v_dual_fmac_f32 v148, v24, v7
	v_fmac_f32_e32 v149, v143, v9
	v_fma_f32 v21, v21, v5, -v6
	ds_load_2addr_b64 v[5:8], v135 offset0:67 offset1:68
	v_mul_f32_e32 v24, v140, v4
	v_mul_f32_e32 v4, v141, v4
	;; [unrolled: 1-line block ×5, first 2 shown]
	v_dual_fmac_f32 v23, v139, v1 :: v_dual_fmac_f32 v24, v141, v3
	v_fma_f32 v139, v140, v3, -v4
	v_fma_f32 v140, v142, v9, -v10
	v_fmac_f32_e32 v150, v145, v11
	v_fma_f32 v141, v144, v11, -v12
	ds_load_2addr_b64 v[9:12], v135 offset0:69 offset1:70
	s_wait_loadcnt_dscnt 0x201
	v_dual_mul_f32 v143, v7, v16 :: v_dual_mul_f32 v142, v5, v14
	v_mul_f32_e32 v14, v6, v14
	v_mul_f32_e32 v16, v8, v16
	s_delay_alu instid0(VALU_DEP_3)
	v_fmac_f32_e32 v143, v8, v15
	v_fma_f32 v138, v138, v1, -v2
	scratch_load_b128 v[1:4], off, off offset:120
	v_fmac_f32_e32 v142, v6, v13
	v_fma_f32 v13, v5, v13, -v14
	v_fma_f32 v14, v7, v15, -v16
	ds_load_2addr_b64 v[5:8], v135 offset0:71 offset1:72
	s_wait_loadcnt_dscnt 0x201
	v_mul_f32_e32 v15, v9, v18
	v_mul_f32_e32 v16, v10, v18
	;; [unrolled: 1-line block ×3, first 2 shown]
	s_delay_alu instid0(VALU_DEP_3) | instskip(NEXT) | instid1(VALU_DEP_3)
	v_dual_mul_f32 v20, v12, v20 :: v_dual_fmac_f32 v15, v10, v17
	v_fma_f32 v16, v9, v17, -v16
	s_delay_alu instid0(VALU_DEP_3) | instskip(NEXT) | instid1(VALU_DEP_3)
	v_fmac_f32_e32 v18, v12, v19
	v_fma_f32 v17, v11, v19, -v20
	scratch_load_b128 v[9:12], off, off offset:136
	s_wait_loadcnt_dscnt 0x100
	v_mul_f32_e32 v19, v5, v2
	v_mul_f32_e32 v2, v6, v2
	;; [unrolled: 1-line block ×3, first 2 shown]
	s_delay_alu instid0(VALU_DEP_3) | instskip(NEXT) | instid1(VALU_DEP_3)
	v_dual_mul_f32 v4, v8, v4 :: v_dual_fmac_f32 v19, v6, v1
	v_fma_f32 v144, v5, v1, -v2
	s_delay_alu instid0(VALU_DEP_3) | instskip(NEXT) | instid1(VALU_DEP_3)
	v_fmac_f32_e32 v20, v8, v3
	v_fma_f32 v145, v7, v3, -v4
	ds_load_2addr_b64 v[1:4], v135 offset0:73 offset1:74
	ds_load_2addr_b64 v[5:8], v135 offset0:75 offset1:76
	s_wait_loadcnt_dscnt 0x1
	v_mul_f32_e32 v151, v1, v10
	v_mul_f32_e32 v10, v2, v10
	s_delay_alu instid0(VALU_DEP_2) | instskip(NEXT) | instid1(VALU_DEP_2)
	v_dual_mul_f32 v152, v3, v12 :: v_dual_fmac_f32 v151, v2, v9
	v_fma_f32 v153, v1, v9, -v10
	v_mul_f32_e32 v1, v4, v12
	s_delay_alu instid0(VALU_DEP_3) | instskip(NEXT) | instid1(VALU_DEP_2)
	v_fmac_f32_e32 v152, v4, v11
	v_fma_f32 v154, v3, v11, -v1
	s_clause 0x1
	scratch_load_b128 v[1:4], off, off offset:152
	scratch_load_b128 v[9:12], off, off offset:168
	s_wait_loadcnt_dscnt 0x100
	v_mul_f32_e32 v155, v5, v2
	v_dual_mul_f32 v2, v6, v2 :: v_dual_mul_f32 v157, v7, v4
	s_delay_alu instid0(VALU_DEP_2) | instskip(NEXT) | instid1(VALU_DEP_2)
	v_fmac_f32_e32 v155, v6, v1
	v_fma_f32 v156, v5, v1, -v2
	v_mul_f32_e32 v1, v8, v4
	s_delay_alu instid0(VALU_DEP_4) | instskip(NEXT) | instid1(VALU_DEP_2)
	v_fmac_f32_e32 v157, v8, v3
	v_fma_f32 v158, v7, v3, -v1
	ds_load_2addr_b64 v[1:4], v135 offset0:77 offset1:78
	ds_load_2addr_b64 v[5:8], v135 offset0:79 offset1:80
	s_wait_loadcnt_dscnt 0x1
	v_mul_f32_e32 v159, v1, v10
	v_mul_f32_e32 v161, v3, v12
	s_delay_alu instid0(VALU_DEP_2) | instskip(NEXT) | instid1(VALU_DEP_2)
	v_fmac_f32_e32 v159, v2, v9
	v_dual_mul_f32 v2, v2, v10 :: v_dual_fmac_f32 v161, v4, v11
	s_delay_alu instid0(VALU_DEP_1) | instskip(SKIP_1) | instid1(VALU_DEP_1)
	v_fma_f32 v160, v1, v9, -v2
	v_mul_f32_e32 v1, v4, v12
	v_fma_f32 v162, v3, v11, -v1
	s_clause 0x1
	scratch_load_b128 v[1:4], off, off offset:184
	scratch_load_b128 v[9:12], off, off offset:200
	s_wait_loadcnt_dscnt 0x100
	v_mul_f32_e32 v163, v5, v2
	v_dual_mul_f32 v2, v6, v2 :: v_dual_mul_f32 v165, v7, v4
	s_delay_alu instid0(VALU_DEP_2) | instskip(NEXT) | instid1(VALU_DEP_2)
	v_fmac_f32_e32 v163, v6, v1
	v_fma_f32 v164, v5, v1, -v2
	v_mul_f32_e32 v1, v8, v4
	s_delay_alu instid0(VALU_DEP_4) | instskip(NEXT) | instid1(VALU_DEP_2)
	v_fmac_f32_e32 v165, v8, v3
	v_fma_f32 v166, v7, v3, -v1
	ds_load_2addr_b64 v[1:4], v135 offset0:81 offset1:82
	ds_load_2addr_b64 v[5:8], v135 offset0:83 offset1:84
	s_wait_loadcnt_dscnt 0x1
	v_mul_f32_e32 v167, v1, v10
	v_mul_f32_e32 v169, v3, v12
	s_delay_alu instid0(VALU_DEP_2) | instskip(NEXT) | instid1(VALU_DEP_2)
	v_fmac_f32_e32 v167, v2, v9
	v_dual_mul_f32 v2, v2, v10 :: v_dual_fmac_f32 v169, v4, v11
	s_delay_alu instid0(VALU_DEP_1) | instskip(SKIP_1) | instid1(VALU_DEP_1)
	v_fma_f32 v168, v1, v9, -v2
	v_mul_f32_e32 v1, v4, v12
	;; [unrolled: 25-line block ×6, first 2 shown]
	v_fma_f32 v202, v3, v11, -v1
	s_clause 0x1
	scratch_load_b128 v[1:4], off, off offset:344
	scratch_load_b128 v[9:12], off, off offset:360
	s_wait_loadcnt_dscnt 0x100
	v_mul_f32_e32 v203, v5, v2
	v_mul_f32_e32 v2, v6, v2
	s_delay_alu instid0(VALU_DEP_2) | instskip(NEXT) | instid1(VALU_DEP_2)
	v_fmac_f32_e32 v203, v6, v1
	v_fma_f32 v204, v5, v1, -v2
	v_add_f32_e32 v2, 0, v136
	s_delay_alu instid0(VALU_DEP_1) | instskip(NEXT) | instid1(VALU_DEP_1)
	v_add_f32_e32 v2, v2, v148
	v_add_f32_e32 v2, v2, v23
	s_delay_alu instid0(VALU_DEP_1) | instskip(NEXT) | instid1(VALU_DEP_1)
	v_add_f32_e32 v2, v2, v24
	v_add_f32_e32 v2, v2, v149
	s_delay_alu instid0(VALU_DEP_1) | instskip(NEXT) | instid1(VALU_DEP_1)
	v_dual_add_f32 v2, v2, v150 :: v_dual_mul_f32 v1, v8, v4
	v_add_f32_e32 v2, v2, v142
	s_delay_alu instid0(VALU_DEP_2) | instskip(NEXT) | instid1(VALU_DEP_2)
	v_fma_f32 v206, v7, v3, -v1
	v_dual_add_f32 v1, 0, v21 :: v_dual_add_f32 v2, v2, v143
	s_delay_alu instid0(VALU_DEP_1) | instskip(NEXT) | instid1(VALU_DEP_1)
	v_dual_add_f32 v1, v1, v22 :: v_dual_add_f32 v2, v2, v15
	v_add_f32_e32 v1, v1, v138
	s_delay_alu instid0(VALU_DEP_1) | instskip(NEXT) | instid1(VALU_DEP_1)
	v_dual_add_f32 v2, v2, v18 :: v_dual_add_f32 v1, v1, v139
	v_dual_add_f32 v2, v2, v19 :: v_dual_add_f32 v1, v1, v140
	s_delay_alu instid0(VALU_DEP_1) | instskip(NEXT) | instid1(VALU_DEP_1)
	v_dual_add_f32 v2, v2, v20 :: v_dual_add_f32 v1, v1, v141
	v_dual_add_f32 v2, v2, v151 :: v_dual_add_f32 v1, v1, v13
	s_delay_alu instid0(VALU_DEP_1) | instskip(NEXT) | instid1(VALU_DEP_1)
	v_add_f32_e32 v2, v2, v152
	v_add_f32_e32 v2, v2, v155
	s_delay_alu instid0(VALU_DEP_1) | instskip(NEXT) | instid1(VALU_DEP_1)
	v_add_f32_e32 v2, v2, v157
	v_add_f32_e32 v2, v2, v159
	;; [unrolled: 3-line block ×4, first 2 shown]
	s_delay_alu instid0(VALU_DEP_1) | instskip(NEXT) | instid1(VALU_DEP_1)
	v_dual_add_f32 v2, v2, v169 :: v_dual_add_f32 v1, v1, v14
	v_add_f32_e32 v1, v1, v16
	s_delay_alu instid0(VALU_DEP_1) | instskip(NEXT) | instid1(VALU_DEP_1)
	v_add_f32_e32 v1, v1, v17
	v_add_f32_e32 v1, v1, v144
	s_delay_alu instid0(VALU_DEP_1) | instskip(NEXT) | instid1(VALU_DEP_1)
	v_add_f32_e32 v1, v1, v145
	;; [unrolled: 3-line block ×9, first 2 shown]
	v_add_f32_e32 v6, v1, v180
	v_add_f32_e32 v2, v2, v171
	s_delay_alu instid0(VALU_DEP_2) | instskip(NEXT) | instid1(VALU_DEP_2)
	v_add_f32_e32 v14, v6, v182
	v_dual_add_f32 v2, v2, v173 :: v_dual_mul_f32 v205, v7, v4
	s_delay_alu instid0(VALU_DEP_2) | instskip(NEXT) | instid1(VALU_DEP_2)
	v_add_f32_e32 v14, v14, v184
	v_add_f32_e32 v2, v2, v175
	s_delay_alu instid0(VALU_DEP_3) | instskip(NEXT) | instid1(VALU_DEP_3)
	v_fmac_f32_e32 v205, v8, v3
	v_add_f32_e32 v17, v14, v186
	s_delay_alu instid0(VALU_DEP_3)
	v_add_f32_e32 v5, v2, v177
	ds_load_2addr_b64 v[1:4], v135 offset0:101 offset1:102
	v_add_f32_e32 v17, v17, v188
	v_add_f32_e32 v13, v5, v179
	scratch_load_b128 v[5:8], off, off offset:376
	v_add_f32_e32 v17, v17, v190
	v_add_f32_e32 v13, v13, v181
	s_delay_alu instid0(VALU_DEP_2) | instskip(NEXT) | instid1(VALU_DEP_2)
	v_add_f32_e32 v17, v17, v192
	v_add_f32_e32 v13, v13, v183
	s_delay_alu instid0(VALU_DEP_2) | instskip(NEXT) | instid1(VALU_DEP_2)
	v_add_f32_e32 v22, v17, v194
	v_add_f32_e32 v18, v13, v185
	ds_load_2addr_b64 v[13:16], v135 offset0:103 offset1:104
	s_wait_loadcnt_dscnt 0x101
	v_mul_f32_e32 v138, v3, v12
	v_mul_f32_e32 v136, v1, v10
	;; [unrolled: 1-line block ×4, first 2 shown]
	v_add_f32_e32 v22, v22, v196
	v_fmac_f32_e32 v138, v4, v11
	v_add_f32_e32 v18, v18, v187
	v_fmac_f32_e32 v136, v2, v9
	v_fma_f32 v139, v1, v9, -v10
	v_fma_f32 v140, v3, v11, -v12
	scratch_load_b128 v[1:4], off, off offset:392
	v_add_f32_e32 v18, v18, v189
	scratch_load_b128 v[9:12], off, off offset:408
	v_add_f32_e32 v22, v22, v198
	s_wait_loadcnt_dscnt 0x200
	v_mul_f32_e32 v141, v13, v6
	v_mul_f32_e32 v6, v14, v6
	;; [unrolled: 1-line block ×3, first 2 shown]
	s_delay_alu instid0(VALU_DEP_3) | instskip(NEXT) | instid1(VALU_DEP_3)
	v_dual_mul_f32 v8, v16, v8 :: v_dual_fmac_f32 v141, v14, v5
	v_fma_f32 v143, v13, v5, -v6
	s_delay_alu instid0(VALU_DEP_3) | instskip(NEXT) | instid1(VALU_DEP_3)
	v_fmac_f32_e32 v142, v16, v7
	v_fma_f32 v144, v15, v7, -v8
	ds_load_2addr_b64 v[5:8], v135 offset0:105 offset1:106
	v_add_f32_e32 v21, v18, v191
	scratch_load_b128 v[17:20], off, off offset:424
	v_add_f32_e32 v21, v21, v193
	s_delay_alu instid0(VALU_DEP_1) | instskip(NEXT) | instid1(VALU_DEP_1)
	v_add_f32_e32 v21, v21, v195
	v_add_f32_e32 v13, v21, v197
	s_delay_alu instid0(VALU_DEP_1) | instskip(NEXT) | instid1(VALU_DEP_1)
	v_dual_add_f32 v21, v22, v200 :: v_dual_add_f32 v22, v13, v199
	v_add_f32_e32 v145, v21, v202
	ds_load_2addr_b64 v[13:16], v135 offset0:107 offset1:108
	v_add_f32_e32 v148, v22, v201
	ds_load_2addr_b64 v[21:24], v135 offset0:109 offset1:110
	v_add_f32_e32 v135, v145, v204
	s_wait_loadcnt_dscnt 0x202
	v_dual_add_f32 v145, v148, v203 :: v_dual_mul_f32 v148, v5, v2
	s_delay_alu instid0(VALU_DEP_2) | instskip(NEXT) | instid1(VALU_DEP_2)
	v_add_f32_e32 v135, v135, v206
	v_dual_mul_f32 v2, v6, v2 :: v_dual_add_f32 v145, v145, v205
	s_delay_alu instid0(VALU_DEP_2) | instskip(SKIP_2) | instid1(VALU_DEP_4)
	v_dual_fmac_f32 v148, v6, v1 :: v_dual_add_f32 v135, v135, v139
	v_mul_f32_e32 v139, v7, v4
	v_mul_f32_e32 v4, v8, v4
	v_add_f32_e32 v136, v145, v136
	v_fma_f32 v2, v5, v1, -v2
	v_add_f32_e32 v135, v135, v140
	s_wait_loadcnt_dscnt 0x101
	v_mul_f32_e32 v145, v13, v10
	v_mul_f32_e32 v6, v14, v10
	v_add_f32_e32 v136, v136, v138
	v_fmac_f32_e32 v139, v8, v3
	v_add_f32_e32 v135, v135, v143
	v_fma_f32 v3, v7, v3, -v4
	v_mul_f32_e32 v149, v15, v12
	v_dual_mul_f32 v4, v16, v12 :: v_dual_fmac_f32 v145, v14, v9
	s_delay_alu instid0(VALU_DEP_4) | instskip(NEXT) | instid1(VALU_DEP_3)
	v_add_f32_e32 v1, v135, v144
	v_fmac_f32_e32 v149, v16, v11
	s_delay_alu instid0(VALU_DEP_3) | instskip(NEXT) | instid1(VALU_DEP_3)
	v_fma_f32 v4, v15, v11, -v4
	v_add_f32_e32 v1, v1, v2
	s_delay_alu instid0(VALU_DEP_1) | instskip(SKIP_4) | instid1(VALU_DEP_2)
	v_add_f32_e32 v1, v1, v3
	s_wait_loadcnt_dscnt 0x0
	v_mul_f32_e32 v138, v21, v18
	v_dual_add_f32 v136, v136, v141 :: v_dual_mul_f32 v3, v22, v18
	v_mul_f32_e32 v140, v23, v20
	v_dual_fmac_f32 v138, v22, v17 :: v_dual_add_f32 v5, v136, v142
	s_delay_alu instid0(VALU_DEP_3) | instskip(NEXT) | instid1(VALU_DEP_3)
	v_fma_f32 v3, v21, v17, -v3
	v_fmac_f32_e32 v140, v24, v19
	s_delay_alu instid0(VALU_DEP_3) | instskip(SKIP_1) | instid1(VALU_DEP_1)
	v_add_f32_e32 v2, v5, v148
	v_fma_f32 v5, v13, v9, -v6
	v_dual_add_f32 v2, v2, v139 :: v_dual_add_f32 v1, v1, v5
	s_delay_alu instid0(VALU_DEP_1) | instskip(NEXT) | instid1(VALU_DEP_2)
	v_dual_mul_f32 v5, v24, v20 :: v_dual_add_f32 v2, v2, v145
	v_add_f32_e32 v1, v1, v4
	s_delay_alu instid0(VALU_DEP_2) | instskip(NEXT) | instid1(VALU_DEP_2)
	v_fma_f32 v4, v23, v19, -v5
	v_dual_add_f32 v2, v2, v149 :: v_dual_add_f32 v1, v1, v3
	s_delay_alu instid0(VALU_DEP_1) | instskip(NEXT) | instid1(VALU_DEP_1)
	v_dual_add_f32 v2, v2, v138 :: v_dual_add_f32 v1, v1, v4
	v_add_f32_e32 v2, v2, v140
	s_delay_alu instid0(VALU_DEP_1)
	v_dual_sub_f32 v1, v146, v1 :: v_dual_sub_f32 v2, v147, v2
	scratch_store_b64 off, v[1:2], off offset:32
	v_cmpx_lt_u32_e32 3, v0
	s_cbranch_execz .LBB118_337
; %bb.336:
	scratch_load_b64 v[1:2], off, off offset:24
	v_mov_b32_e32 v3, 0
	s_delay_alu instid0(VALU_DEP_1)
	v_mov_b32_e32 v4, v3
	scratch_store_b64 off, v[3:4], off offset:24
	s_wait_loadcnt 0x0
	ds_store_b64 v137, v[1:2]
.LBB118_337:
	s_wait_alu 0xfffe
	s_or_b32 exec_lo, exec_lo, s0
	s_wait_storecnt_dscnt 0x0
	s_barrier_signal -1
	s_barrier_wait -1
	global_inv scope:SCOPE_SE
	s_clause 0x4
	scratch_load_b128 v[5:8], off, off offset:32
	scratch_load_b128 v[1:4], off, off offset:48
	;; [unrolled: 1-line block ×5, first 2 shown]
	v_mov_b32_e32 v135, 0
	ds_load_b128 v[21:24], v135 offset:480
	ds_load_b128 v[138:141], v135 offset:496
	;; [unrolled: 1-line block ×3, first 2 shown]
	scratch_load_b64 v[146:147], off, off offset:24
	s_mov_b32 s0, exec_lo
	s_wait_loadcnt_dscnt 0x502
	v_mul_f32_e32 v136, v21, v6
	v_mul_f32_e32 v148, v23, v8
	s_wait_loadcnt_dscnt 0x300
	v_dual_mul_f32 v8, v24, v8 :: v_dual_mul_f32 v149, v142, v10
	v_mul_f32_e32 v6, v22, v6
	v_fmac_f32_e32 v136, v22, v5
	v_mul_f32_e32 v10, v143, v10
	s_delay_alu instid0(VALU_DEP_4) | instskip(SKIP_2) | instid1(VALU_DEP_2)
	v_fma_f32 v22, v23, v7, -v8
	v_dual_mul_f32 v23, v138, v2 :: v_dual_fmac_f32 v148, v24, v7
	v_dual_fmac_f32 v149, v143, v9 :: v_dual_mul_f32 v24, v140, v4
	v_dual_mul_f32 v4, v141, v4 :: v_dual_fmac_f32 v23, v139, v1
	v_fma_f32 v21, v21, v5, -v6
	ds_load_b128 v[5:8], v135 offset:528
	v_mul_f32_e32 v150, v144, v12
	v_mul_f32_e32 v12, v145, v12
	;; [unrolled: 1-line block ×3, first 2 shown]
	v_fmac_f32_e32 v24, v141, v3
	v_fma_f32 v139, v140, v3, -v4
	v_fma_f32 v140, v142, v9, -v10
	v_fmac_f32_e32 v150, v145, v11
	v_fma_f32 v141, v144, v11, -v12
	ds_load_b128 v[9:12], v135 offset:544
	s_wait_loadcnt_dscnt 0x201
	v_dual_mul_f32 v143, v7, v16 :: v_dual_mul_f32 v142, v5, v14
	v_mul_f32_e32 v14, v6, v14
	v_mul_f32_e32 v16, v8, v16
	s_delay_alu instid0(VALU_DEP_3)
	v_fmac_f32_e32 v143, v8, v15
	v_fma_f32 v138, v138, v1, -v2
	scratch_load_b128 v[1:4], off, off offset:112
	v_fmac_f32_e32 v142, v6, v13
	v_fma_f32 v13, v5, v13, -v14
	v_fma_f32 v14, v7, v15, -v16
	s_wait_loadcnt_dscnt 0x200
	v_mul_f32_e32 v15, v9, v18
	v_mul_f32_e32 v16, v10, v18
	;; [unrolled: 1-line block ×4, first 2 shown]
	ds_load_b128 v[5:8], v135 offset:560
	v_fmac_f32_e32 v15, v10, v17
	v_fma_f32 v16, v9, v17, -v16
	v_fmac_f32_e32 v18, v12, v19
	v_fma_f32 v17, v11, v19, -v20
	scratch_load_b128 v[9:12], off, off offset:128
	s_wait_loadcnt_dscnt 0x100
	v_mul_f32_e32 v19, v5, v2
	v_mul_f32_e32 v2, v6, v2
	;; [unrolled: 1-line block ×3, first 2 shown]
	s_delay_alu instid0(VALU_DEP_3) | instskip(NEXT) | instid1(VALU_DEP_3)
	v_dual_mul_f32 v4, v8, v4 :: v_dual_fmac_f32 v19, v6, v1
	v_fma_f32 v144, v5, v1, -v2
	s_delay_alu instid0(VALU_DEP_3) | instskip(NEXT) | instid1(VALU_DEP_3)
	v_fmac_f32_e32 v20, v8, v3
	v_fma_f32 v145, v7, v3, -v4
	ds_load_b128 v[1:4], v135 offset:576
	ds_load_b128 v[5:8], v135 offset:592
	s_wait_loadcnt_dscnt 0x1
	v_mul_f32_e32 v151, v1, v10
	v_mul_f32_e32 v10, v2, v10
	s_delay_alu instid0(VALU_DEP_2) | instskip(NEXT) | instid1(VALU_DEP_2)
	v_dual_mul_f32 v152, v3, v12 :: v_dual_fmac_f32 v151, v2, v9
	v_fma_f32 v153, v1, v9, -v10
	v_mul_f32_e32 v1, v4, v12
	s_delay_alu instid0(VALU_DEP_3) | instskip(NEXT) | instid1(VALU_DEP_2)
	v_fmac_f32_e32 v152, v4, v11
	v_fma_f32 v154, v3, v11, -v1
	s_clause 0x1
	scratch_load_b128 v[1:4], off, off offset:144
	scratch_load_b128 v[9:12], off, off offset:160
	s_wait_loadcnt_dscnt 0x100
	v_mul_f32_e32 v155, v5, v2
	v_dual_mul_f32 v2, v6, v2 :: v_dual_mul_f32 v157, v7, v4
	s_delay_alu instid0(VALU_DEP_2) | instskip(NEXT) | instid1(VALU_DEP_2)
	v_fmac_f32_e32 v155, v6, v1
	v_fma_f32 v156, v5, v1, -v2
	v_mul_f32_e32 v1, v8, v4
	s_delay_alu instid0(VALU_DEP_4) | instskip(NEXT) | instid1(VALU_DEP_2)
	v_fmac_f32_e32 v157, v8, v3
	v_fma_f32 v158, v7, v3, -v1
	ds_load_b128 v[1:4], v135 offset:608
	ds_load_b128 v[5:8], v135 offset:624
	s_wait_loadcnt_dscnt 0x1
	v_mul_f32_e32 v159, v1, v10
	v_mul_f32_e32 v161, v3, v12
	s_delay_alu instid0(VALU_DEP_2) | instskip(NEXT) | instid1(VALU_DEP_2)
	v_fmac_f32_e32 v159, v2, v9
	v_dual_mul_f32 v2, v2, v10 :: v_dual_fmac_f32 v161, v4, v11
	s_delay_alu instid0(VALU_DEP_1) | instskip(SKIP_1) | instid1(VALU_DEP_1)
	v_fma_f32 v160, v1, v9, -v2
	v_mul_f32_e32 v1, v4, v12
	v_fma_f32 v162, v3, v11, -v1
	s_clause 0x1
	scratch_load_b128 v[1:4], off, off offset:176
	scratch_load_b128 v[9:12], off, off offset:192
	s_wait_loadcnt_dscnt 0x100
	v_mul_f32_e32 v163, v5, v2
	v_dual_mul_f32 v2, v6, v2 :: v_dual_mul_f32 v165, v7, v4
	s_delay_alu instid0(VALU_DEP_2) | instskip(NEXT) | instid1(VALU_DEP_2)
	v_fmac_f32_e32 v163, v6, v1
	v_fma_f32 v164, v5, v1, -v2
	v_mul_f32_e32 v1, v8, v4
	s_delay_alu instid0(VALU_DEP_4) | instskip(NEXT) | instid1(VALU_DEP_2)
	v_fmac_f32_e32 v165, v8, v3
	v_fma_f32 v166, v7, v3, -v1
	ds_load_b128 v[1:4], v135 offset:640
	ds_load_b128 v[5:8], v135 offset:656
	s_wait_loadcnt_dscnt 0x1
	v_mul_f32_e32 v167, v1, v10
	v_mul_f32_e32 v169, v3, v12
	s_delay_alu instid0(VALU_DEP_2) | instskip(NEXT) | instid1(VALU_DEP_2)
	v_fmac_f32_e32 v167, v2, v9
	v_dual_mul_f32 v2, v2, v10 :: v_dual_fmac_f32 v169, v4, v11
	s_delay_alu instid0(VALU_DEP_1) | instskip(SKIP_1) | instid1(VALU_DEP_1)
	v_fma_f32 v168, v1, v9, -v2
	v_mul_f32_e32 v1, v4, v12
	;; [unrolled: 25-line block ×6, first 2 shown]
	v_fma_f32 v202, v3, v11, -v1
	s_clause 0x1
	scratch_load_b128 v[1:4], off, off offset:336
	scratch_load_b128 v[9:12], off, off offset:352
	s_wait_loadcnt_dscnt 0x100
	v_mul_f32_e32 v203, v5, v2
	v_mul_f32_e32 v2, v6, v2
	s_delay_alu instid0(VALU_DEP_2) | instskip(NEXT) | instid1(VALU_DEP_2)
	v_fmac_f32_e32 v203, v6, v1
	v_fma_f32 v204, v5, v1, -v2
	v_add_f32_e32 v2, 0, v136
	s_delay_alu instid0(VALU_DEP_1) | instskip(NEXT) | instid1(VALU_DEP_1)
	v_add_f32_e32 v2, v2, v148
	v_add_f32_e32 v2, v2, v23
	s_delay_alu instid0(VALU_DEP_1) | instskip(NEXT) | instid1(VALU_DEP_1)
	v_add_f32_e32 v2, v2, v24
	;; [unrolled: 3-line block ×3, first 2 shown]
	v_dual_add_f32 v2, v2, v142 :: v_dual_mul_f32 v1, v8, v4
	s_delay_alu instid0(VALU_DEP_1) | instskip(NEXT) | instid1(VALU_DEP_2)
	v_add_f32_e32 v2, v2, v143
	v_fma_f32 v206, v7, v3, -v1
	s_delay_alu instid0(VALU_DEP_2) | instskip(NEXT) | instid1(VALU_DEP_1)
	v_dual_add_f32 v1, 0, v21 :: v_dual_add_f32 v2, v2, v15
	v_add_f32_e32 v1, v1, v22
	s_delay_alu instid0(VALU_DEP_2) | instskip(NEXT) | instid1(VALU_DEP_1)
	v_add_f32_e32 v2, v2, v18
	v_dual_add_f32 v1, v1, v138 :: v_dual_add_f32 v2, v2, v19
	s_delay_alu instid0(VALU_DEP_1) | instskip(SKIP_2) | instid1(VALU_DEP_1)
	v_dual_add_f32 v2, v2, v20 :: v_dual_add_f32 v1, v1, v139
	scratch_load_b64 v[138:139], off, off offset:432
	v_dual_add_f32 v2, v2, v151 :: v_dual_add_f32 v1, v1, v140
	v_dual_add_f32 v2, v2, v152 :: v_dual_add_f32 v1, v1, v141
	s_delay_alu instid0(VALU_DEP_1) | instskip(NEXT) | instid1(VALU_DEP_1)
	v_dual_add_f32 v2, v2, v155 :: v_dual_add_f32 v1, v1, v13
	v_dual_add_f32 v2, v2, v157 :: v_dual_add_f32 v1, v1, v14
	s_delay_alu instid0(VALU_DEP_1) | instskip(NEXT) | instid1(VALU_DEP_1)
	v_dual_add_f32 v2, v2, v159 :: v_dual_add_f32 v1, v1, v16
	v_add_f32_e32 v2, v2, v161
	s_delay_alu instid0(VALU_DEP_1) | instskip(NEXT) | instid1(VALU_DEP_1)
	v_dual_add_f32 v1, v1, v17 :: v_dual_add_f32 v2, v2, v163
	v_dual_add_f32 v1, v1, v144 :: v_dual_add_f32 v2, v2, v165
	s_delay_alu instid0(VALU_DEP_1) | instskip(NEXT) | instid1(VALU_DEP_1)
	v_dual_add_f32 v1, v1, v145 :: v_dual_add_f32 v2, v2, v167
	v_add_f32_e32 v1, v1, v153
	s_delay_alu instid0(VALU_DEP_1) | instskip(NEXT) | instid1(VALU_DEP_1)
	v_dual_add_f32 v2, v2, v169 :: v_dual_add_f32 v1, v1, v154
	v_add_f32_e32 v1, v1, v156
	s_delay_alu instid0(VALU_DEP_1) | instskip(NEXT) | instid1(VALU_DEP_1)
	v_add_f32_e32 v1, v1, v158
	v_add_f32_e32 v1, v1, v160
	s_delay_alu instid0(VALU_DEP_1) | instskip(NEXT) | instid1(VALU_DEP_1)
	v_add_f32_e32 v1, v1, v162
	;; [unrolled: 3-line block ×6, first 2 shown]
	v_add_f32_e32 v6, v1, v180
	v_dual_add_f32 v2, v2, v171 :: v_dual_mul_f32 v205, v7, v4
	s_delay_alu instid0(VALU_DEP_2) | instskip(NEXT) | instid1(VALU_DEP_2)
	v_add_f32_e32 v14, v6, v182
	v_dual_add_f32 v2, v2, v173 :: v_dual_fmac_f32 v205, v8, v3
	s_delay_alu instid0(VALU_DEP_2) | instskip(NEXT) | instid1(VALU_DEP_2)
	v_add_f32_e32 v14, v14, v184
	v_add_f32_e32 v2, v2, v175
	s_delay_alu instid0(VALU_DEP_2) | instskip(NEXT) | instid1(VALU_DEP_2)
	v_add_f32_e32 v17, v14, v186
	v_add_f32_e32 v5, v2, v177
	scratch_load_b128 v[1:4], off, off offset:368
	v_add_f32_e32 v17, v17, v188
	v_add_f32_e32 v13, v5, v179
	ds_load_b128 v[5:8], v135 offset:800
	v_add_f32_e32 v17, v17, v190
	v_add_f32_e32 v13, v13, v181
	s_delay_alu instid0(VALU_DEP_2) | instskip(NEXT) | instid1(VALU_DEP_2)
	v_add_f32_e32 v17, v17, v192
	v_add_f32_e32 v13, v13, v183
	s_delay_alu instid0(VALU_DEP_2) | instskip(NEXT) | instid1(VALU_DEP_2)
	v_add_f32_e32 v22, v17, v194
	v_add_f32_e32 v18, v13, v185
	ds_load_b128 v[13:16], v135 offset:816
	v_add_f32_e32 v22, v22, v196
	s_wait_loadcnt_dscnt 0x201
	v_mul_f32_e32 v136, v5, v10
	v_mul_f32_e32 v10, v6, v10
	;; [unrolled: 1-line block ×4, first 2 shown]
	v_add_f32_e32 v22, v22, v198
	v_fmac_f32_e32 v136, v6, v9
	v_fma_f32 v143, v5, v9, -v10
	v_fmac_f32_e32 v142, v8, v11
	v_fma_f32 v144, v7, v11, -v12
	scratch_load_b128 v[5:8], off, off offset:384
	v_add_f32_e32 v18, v18, v187
	scratch_load_b128 v[9:12], off, off offset:400
	v_add_f32_e32 v22, v22, v200
	v_add_f32_e32 v18, v18, v189
	s_delay_alu instid0(VALU_DEP_1) | instskip(SKIP_3) | instid1(VALU_DEP_1)
	v_add_f32_e32 v21, v18, v191
	scratch_load_b128 v[17:20], off, off offset:416
	s_wait_loadcnt_dscnt 0x300
	v_dual_add_f32 v21, v21, v193 :: v_dual_mul_f32 v148, v15, v4
	v_add_f32_e32 v21, v21, v195
	v_mul_f32_e32 v145, v13, v2
	v_mul_f32_e32 v2, v14, v2
	;; [unrolled: 1-line block ×3, first 2 shown]
	s_delay_alu instid0(VALU_DEP_4) | instskip(NEXT) | instid1(VALU_DEP_4)
	v_dual_fmac_f32 v148, v16, v3 :: v_dual_add_f32 v21, v21, v197
	v_fmac_f32_e32 v145, v14, v1
	s_delay_alu instid0(VALU_DEP_4)
	v_fma_f32 v149, v13, v1, -v2
	v_add_f32_e32 v14, v22, v202
	v_fma_f32 v150, v15, v3, -v4
	v_add_f32_e32 v13, v21, v199
	ds_load_b128 v[1:4], v135 offset:832
	v_dual_add_f32 v140, v14, v204 :: v_dual_add_f32 v21, v13, v201
	ds_load_b128 v[13:16], v135 offset:848
	v_add_f32_e32 v151, v140, v206
	v_add_f32_e32 v141, v21, v203
	ds_load_b128 v[21:24], v135 offset:864
	v_dual_add_f32 v143, v151, v143 :: v_dual_add_f32 v152, v141, v205
	ds_load_b64 v[140:141], v135 offset:880
	v_add_f32_e32 v143, v143, v144
	s_wait_loadcnt_dscnt 0x203
	v_dual_add_f32 v136, v152, v136 :: v_dual_mul_f32 v151, v1, v6
	v_mul_f32_e32 v6, v2, v6
	s_delay_alu instid0(VALU_DEP_2) | instskip(SKIP_2) | instid1(VALU_DEP_4)
	v_dual_add_f32 v136, v136, v142 :: v_dual_add_f32 v143, v143, v149
	v_mul_f32_e32 v142, v3, v8
	v_mul_f32_e32 v8, v4, v8
	v_fma_f32 v1, v1, v5, -v6
	s_delay_alu instid0(VALU_DEP_4) | instskip(SKIP_3) | instid1(VALU_DEP_3)
	v_dual_add_f32 v136, v136, v145 :: v_dual_add_f32 v143, v143, v150
	s_wait_loadcnt_dscnt 0x102
	v_dual_fmac_f32 v151, v2, v5 :: v_dual_mul_f32 v144, v13, v10
	v_fmac_f32_e32 v142, v4, v7
	v_add_f32_e32 v136, v136, v148
	v_fma_f32 v2, v3, v7, -v8
	v_mul_f32_e32 v3, v14, v10
	v_add_f32_e32 v1, v143, v1
	s_delay_alu instid0(VALU_DEP_4) | instskip(SKIP_1) | instid1(VALU_DEP_4)
	v_dual_mul_f32 v145, v15, v12 :: v_dual_add_f32 v4, v136, v151
	v_dual_mul_f32 v5, v16, v12 :: v_dual_fmac_f32 v144, v14, v9
	v_fma_f32 v3, v13, v9, -v3
	s_delay_alu instid0(VALU_DEP_4) | instskip(NEXT) | instid1(VALU_DEP_4)
	v_add_f32_e32 v1, v1, v2
	v_add_f32_e32 v2, v4, v142
	s_wait_loadcnt_dscnt 0x1
	v_mul_f32_e32 v149, v21, v18
	v_dual_mul_f32 v4, v22, v18 :: v_dual_fmac_f32 v145, v16, v11
	v_fma_f32 v5, v15, v11, -v5
	v_dual_add_f32 v1, v1, v3 :: v_dual_add_f32 v2, v2, v144
	v_mul_f32_e32 v150, v23, v20
	v_mul_f32_e32 v3, v24, v20
	v_fmac_f32_e32 v149, v22, v17
	v_fma_f32 v4, v21, v17, -v4
	v_add_f32_e32 v1, v1, v5
	v_add_f32_e32 v2, v2, v145
	s_wait_dscnt 0x0
	v_mul_f32_e32 v148, v140, v139
	v_mul_f32_e32 v5, v141, v139
	v_fmac_f32_e32 v150, v24, v19
	v_fma_f32 v3, v23, v19, -v3
	v_dual_add_f32 v1, v1, v4 :: v_dual_add_f32 v2, v2, v149
	v_fmac_f32_e32 v148, v141, v138
	v_fma_f32 v4, v140, v138, -v5
	s_delay_alu instid0(VALU_DEP_3) | instskip(NEXT) | instid1(VALU_DEP_1)
	v_dual_add_f32 v1, v1, v3 :: v_dual_add_f32 v2, v2, v150
	v_add_f32_e32 v1, v1, v4
	s_delay_alu instid0(VALU_DEP_2) | instskip(NEXT) | instid1(VALU_DEP_1)
	v_add_f32_e32 v2, v2, v148
	v_dual_sub_f32 v1, v146, v1 :: v_dual_sub_f32 v2, v147, v2
	scratch_store_b64 off, v[1:2], off offset:24
	v_cmpx_lt_u32_e32 2, v0
	s_cbranch_execz .LBB118_339
; %bb.338:
	scratch_load_b64 v[1:2], off, off offset:16
	v_mov_b32_e32 v136, v135
	scratch_store_b64 off, v[135:136], off offset:16
	s_wait_loadcnt 0x0
	ds_store_b64 v137, v[1:2]
.LBB118_339:
	s_wait_alu 0xfffe
	s_or_b32 exec_lo, exec_lo, s0
	s_wait_storecnt_dscnt 0x0
	s_barrier_signal -1
	s_barrier_wait -1
	global_inv scope:SCOPE_SE
	s_clause 0x4
	scratch_load_b128 v[5:8], off, off offset:24
	scratch_load_b128 v[1:4], off, off offset:40
	;; [unrolled: 1-line block ×5, first 2 shown]
	ds_load_2addr_b64 v[21:24], v135 offset0:59 offset1:60
	ds_load_2addr_b64 v[138:141], v135 offset0:61 offset1:62
	;; [unrolled: 1-line block ×3, first 2 shown]
	scratch_load_b64 v[146:147], off, off offset:16
	s_mov_b32 s0, exec_lo
	s_wait_loadcnt_dscnt 0x502
	v_mul_f32_e32 v136, v21, v6
	v_mul_f32_e32 v148, v23, v8
	s_wait_loadcnt_dscnt 0x300
	v_dual_mul_f32 v8, v24, v8 :: v_dual_mul_f32 v149, v142, v10
	v_mul_f32_e32 v6, v22, v6
	v_fmac_f32_e32 v136, v22, v5
	v_mul_f32_e32 v10, v143, v10
	s_delay_alu instid0(VALU_DEP_4)
	v_fma_f32 v22, v23, v7, -v8
	v_dual_mul_f32 v23, v138, v2 :: v_dual_fmac_f32 v148, v24, v7
	v_fmac_f32_e32 v149, v143, v9
	v_fma_f32 v21, v21, v5, -v6
	ds_load_2addr_b64 v[5:8], v135 offset0:65 offset1:66
	v_mul_f32_e32 v24, v140, v4
	v_mul_f32_e32 v4, v141, v4
	;; [unrolled: 1-line block ×5, first 2 shown]
	v_dual_fmac_f32 v23, v139, v1 :: v_dual_fmac_f32 v24, v141, v3
	v_fma_f32 v139, v140, v3, -v4
	v_fma_f32 v140, v142, v9, -v10
	v_fmac_f32_e32 v150, v145, v11
	v_fma_f32 v141, v144, v11, -v12
	ds_load_2addr_b64 v[9:12], v135 offset0:67 offset1:68
	s_wait_loadcnt_dscnt 0x201
	v_dual_mul_f32 v143, v7, v16 :: v_dual_mul_f32 v142, v5, v14
	v_mul_f32_e32 v14, v6, v14
	v_mul_f32_e32 v16, v8, v16
	s_delay_alu instid0(VALU_DEP_3)
	v_fmac_f32_e32 v143, v8, v15
	v_fma_f32 v138, v138, v1, -v2
	scratch_load_b128 v[1:4], off, off offset:104
	v_fmac_f32_e32 v142, v6, v13
	v_fma_f32 v13, v5, v13, -v14
	v_fma_f32 v14, v7, v15, -v16
	ds_load_2addr_b64 v[5:8], v135 offset0:69 offset1:70
	s_wait_loadcnt_dscnt 0x201
	v_mul_f32_e32 v15, v9, v18
	v_mul_f32_e32 v16, v10, v18
	v_mul_f32_e32 v18, v11, v20
	s_delay_alu instid0(VALU_DEP_3) | instskip(NEXT) | instid1(VALU_DEP_3)
	v_dual_mul_f32 v20, v12, v20 :: v_dual_fmac_f32 v15, v10, v17
	v_fma_f32 v16, v9, v17, -v16
	s_delay_alu instid0(VALU_DEP_3) | instskip(NEXT) | instid1(VALU_DEP_3)
	v_fmac_f32_e32 v18, v12, v19
	v_fma_f32 v17, v11, v19, -v20
	scratch_load_b128 v[9:12], off, off offset:120
	s_wait_loadcnt_dscnt 0x100
	v_mul_f32_e32 v19, v5, v2
	v_mul_f32_e32 v2, v6, v2
	;; [unrolled: 1-line block ×3, first 2 shown]
	s_delay_alu instid0(VALU_DEP_3) | instskip(NEXT) | instid1(VALU_DEP_3)
	v_dual_mul_f32 v4, v8, v4 :: v_dual_fmac_f32 v19, v6, v1
	v_fma_f32 v144, v5, v1, -v2
	s_delay_alu instid0(VALU_DEP_3) | instskip(NEXT) | instid1(VALU_DEP_3)
	v_fmac_f32_e32 v20, v8, v3
	v_fma_f32 v145, v7, v3, -v4
	ds_load_2addr_b64 v[1:4], v135 offset0:71 offset1:72
	ds_load_2addr_b64 v[5:8], v135 offset0:73 offset1:74
	s_wait_loadcnt_dscnt 0x1
	v_mul_f32_e32 v151, v1, v10
	v_mul_f32_e32 v10, v2, v10
	s_delay_alu instid0(VALU_DEP_2) | instskip(NEXT) | instid1(VALU_DEP_2)
	v_dual_mul_f32 v152, v3, v12 :: v_dual_fmac_f32 v151, v2, v9
	v_fma_f32 v153, v1, v9, -v10
	v_mul_f32_e32 v1, v4, v12
	s_delay_alu instid0(VALU_DEP_3) | instskip(NEXT) | instid1(VALU_DEP_2)
	v_fmac_f32_e32 v152, v4, v11
	v_fma_f32 v154, v3, v11, -v1
	s_clause 0x1
	scratch_load_b128 v[1:4], off, off offset:136
	scratch_load_b128 v[9:12], off, off offset:152
	s_wait_loadcnt_dscnt 0x100
	v_mul_f32_e32 v155, v5, v2
	v_dual_mul_f32 v2, v6, v2 :: v_dual_mul_f32 v157, v7, v4
	s_delay_alu instid0(VALU_DEP_2) | instskip(NEXT) | instid1(VALU_DEP_2)
	v_fmac_f32_e32 v155, v6, v1
	v_fma_f32 v156, v5, v1, -v2
	v_mul_f32_e32 v1, v8, v4
	s_delay_alu instid0(VALU_DEP_4) | instskip(NEXT) | instid1(VALU_DEP_2)
	v_fmac_f32_e32 v157, v8, v3
	v_fma_f32 v158, v7, v3, -v1
	ds_load_2addr_b64 v[1:4], v135 offset0:75 offset1:76
	ds_load_2addr_b64 v[5:8], v135 offset0:77 offset1:78
	s_wait_loadcnt_dscnt 0x1
	v_mul_f32_e32 v159, v1, v10
	v_mul_f32_e32 v161, v3, v12
	s_delay_alu instid0(VALU_DEP_2) | instskip(NEXT) | instid1(VALU_DEP_2)
	v_fmac_f32_e32 v159, v2, v9
	v_dual_mul_f32 v2, v2, v10 :: v_dual_fmac_f32 v161, v4, v11
	s_delay_alu instid0(VALU_DEP_1) | instskip(SKIP_1) | instid1(VALU_DEP_1)
	v_fma_f32 v160, v1, v9, -v2
	v_mul_f32_e32 v1, v4, v12
	v_fma_f32 v162, v3, v11, -v1
	s_clause 0x1
	scratch_load_b128 v[1:4], off, off offset:168
	scratch_load_b128 v[9:12], off, off offset:184
	s_wait_loadcnt_dscnt 0x100
	v_mul_f32_e32 v163, v5, v2
	v_dual_mul_f32 v2, v6, v2 :: v_dual_mul_f32 v165, v7, v4
	s_delay_alu instid0(VALU_DEP_2) | instskip(NEXT) | instid1(VALU_DEP_2)
	v_fmac_f32_e32 v163, v6, v1
	v_fma_f32 v164, v5, v1, -v2
	v_mul_f32_e32 v1, v8, v4
	s_delay_alu instid0(VALU_DEP_4) | instskip(NEXT) | instid1(VALU_DEP_2)
	v_fmac_f32_e32 v165, v8, v3
	v_fma_f32 v166, v7, v3, -v1
	ds_load_2addr_b64 v[1:4], v135 offset0:79 offset1:80
	ds_load_2addr_b64 v[5:8], v135 offset0:81 offset1:82
	s_wait_loadcnt_dscnt 0x1
	v_mul_f32_e32 v167, v1, v10
	v_mul_f32_e32 v169, v3, v12
	s_delay_alu instid0(VALU_DEP_2) | instskip(NEXT) | instid1(VALU_DEP_2)
	v_fmac_f32_e32 v167, v2, v9
	v_dual_mul_f32 v2, v2, v10 :: v_dual_fmac_f32 v169, v4, v11
	s_delay_alu instid0(VALU_DEP_1) | instskip(SKIP_1) | instid1(VALU_DEP_1)
	v_fma_f32 v168, v1, v9, -v2
	v_mul_f32_e32 v1, v4, v12
	;; [unrolled: 25-line block ×7, first 2 shown]
	v_fma_f32 v210, v3, v11, -v1
	s_clause 0x1
	scratch_load_b128 v[1:4], off, off offset:360
	scratch_load_b128 v[9:12], off, off offset:376
	s_wait_loadcnt_dscnt 0x100
	v_mul_f32_e32 v211, v5, v2
	v_mul_f32_e32 v2, v6, v2
	s_delay_alu instid0(VALU_DEP_2) | instskip(NEXT) | instid1(VALU_DEP_2)
	v_fmac_f32_e32 v211, v6, v1
	v_fma_f32 v212, v5, v1, -v2
	v_add_f32_e32 v2, 0, v136
	v_mul_f32_e32 v1, v8, v4
	s_delay_alu instid0(VALU_DEP_2) | instskip(NEXT) | instid1(VALU_DEP_2)
	v_add_f32_e32 v2, v2, v148
	v_fma_f32 v214, v7, v3, -v1
	s_delay_alu instid0(VALU_DEP_2) | instskip(NEXT) | instid1(VALU_DEP_1)
	v_dual_add_f32 v1, 0, v21 :: v_dual_add_f32 v2, v2, v23
	v_add_f32_e32 v2, v2, v24
	s_delay_alu instid0(VALU_DEP_1) | instskip(NEXT) | instid1(VALU_DEP_1)
	v_add_f32_e32 v2, v2, v149
	v_add_f32_e32 v2, v2, v150
	s_delay_alu instid0(VALU_DEP_1) | instskip(NEXT) | instid1(VALU_DEP_1)
	v_add_f32_e32 v2, v2, v142
	;; [unrolled: 3-line block ×4, first 2 shown]
	v_dual_add_f32 v2, v2, v20 :: v_dual_add_f32 v1, v1, v22
	s_delay_alu instid0(VALU_DEP_1) | instskip(NEXT) | instid1(VALU_DEP_1)
	v_dual_add_f32 v2, v2, v151 :: v_dual_add_f32 v1, v1, v138
	v_dual_add_f32 v2, v2, v152 :: v_dual_add_f32 v1, v1, v139
	s_delay_alu instid0(VALU_DEP_1) | instskip(NEXT) | instid1(VALU_DEP_1)
	v_dual_add_f32 v2, v2, v155 :: v_dual_add_f32 v1, v1, v140
	v_add_f32_e32 v2, v2, v157
	s_delay_alu instid0(VALU_DEP_1) | instskip(NEXT) | instid1(VALU_DEP_1)
	v_dual_add_f32 v1, v1, v141 :: v_dual_add_f32 v2, v2, v159
	v_add_f32_e32 v1, v1, v13
	s_delay_alu instid0(VALU_DEP_1) | instskip(NEXT) | instid1(VALU_DEP_1)
	v_dual_add_f32 v2, v2, v161 :: v_dual_add_f32 v1, v1, v14
	v_dual_add_f32 v2, v2, v163 :: v_dual_add_f32 v1, v1, v16
	s_delay_alu instid0(VALU_DEP_1) | instskip(NEXT) | instid1(VALU_DEP_1)
	v_add_f32_e32 v2, v2, v165
	v_dual_add_f32 v1, v1, v17 :: v_dual_add_f32 v2, v2, v167
	s_delay_alu instid0(VALU_DEP_1) | instskip(NEXT) | instid1(VALU_DEP_1)
	v_dual_add_f32 v1, v1, v144 :: v_dual_add_f32 v2, v2, v169
	v_add_f32_e32 v1, v1, v145
	s_delay_alu instid0(VALU_DEP_1) | instskip(NEXT) | instid1(VALU_DEP_1)
	v_add_f32_e32 v1, v1, v153
	v_add_f32_e32 v1, v1, v154
	s_delay_alu instid0(VALU_DEP_1) | instskip(NEXT) | instid1(VALU_DEP_1)
	v_add_f32_e32 v1, v1, v156
	;; [unrolled: 3-line block ×9, first 2 shown]
	v_add_f32_e32 v6, v1, v186
	v_add_f32_e32 v2, v2, v171
	s_delay_alu instid0(VALU_DEP_2) | instskip(NEXT) | instid1(VALU_DEP_2)
	v_add_f32_e32 v6, v6, v188
	v_add_f32_e32 v2, v2, v173
	s_delay_alu instid0(VALU_DEP_2) | instskip(NEXT) | instid1(VALU_DEP_1)
	v_add_f32_e32 v13, v6, v190
	v_dual_add_f32 v2, v2, v175 :: v_dual_add_f32 v13, v13, v192
	s_delay_alu instid0(VALU_DEP_1) | instskip(NEXT) | instid1(VALU_DEP_1)
	v_dual_add_f32 v2, v2, v177 :: v_dual_add_f32 v13, v13, v194
	v_dual_add_f32 v2, v2, v179 :: v_dual_add_f32 v13, v13, v196
	s_delay_alu instid0(VALU_DEP_1) | instskip(NEXT) | instid1(VALU_DEP_1)
	v_add_f32_e32 v2, v2, v181
	v_dual_add_f32 v18, v13, v198 :: v_dual_add_f32 v5, v2, v183
	s_delay_alu instid0(VALU_DEP_1) | instskip(NEXT) | instid1(VALU_DEP_1)
	v_dual_add_f32 v18, v18, v200 :: v_dual_add_f32 v5, v5, v185
	v_dual_add_f32 v18, v18, v202 :: v_dual_add_f32 v5, v5, v187
	s_delay_alu instid0(VALU_DEP_1) | instskip(SKIP_1) | instid1(VALU_DEP_2)
	v_dual_add_f32 v21, v18, v204 :: v_dual_add_f32 v14, v5, v189
	v_mul_f32_e32 v213, v7, v4
	v_dual_add_f32 v141, v21, v206 :: v_dual_add_f32 v14, v14, v191
	s_delay_alu instid0(VALU_DEP_2) | instskip(SKIP_3) | instid1(VALU_DEP_1)
	v_fmac_f32_e32 v213, v8, v3
	ds_load_2addr_b64 v[1:4], v135 offset0:103 offset1:104
	ds_load_2addr_b64 v[5:8], v135 offset0:105 offset1:106
	v_add_f32_e32 v14, v14, v193
	v_add_f32_e32 v17, v14, v195
	scratch_load_b128 v[13:16], off, off offset:424
	v_add_f32_e32 v17, v17, v197
	s_delay_alu instid0(VALU_DEP_1)
	v_add_f32_e32 v17, v17, v199
	s_wait_loadcnt_dscnt 0x101
	v_mul_f32_e32 v136, v1, v10
	v_mul_f32_e32 v138, v3, v12
	;; [unrolled: 1-line block ×3, first 2 shown]
	v_dual_mul_f32 v12, v4, v12 :: v_dual_add_f32 v17, v17, v201
	s_delay_alu instid0(VALU_DEP_4) | instskip(NEXT) | instid1(VALU_DEP_4)
	v_fmac_f32_e32 v136, v2, v9
	v_fmac_f32_e32 v138, v4, v11
	s_delay_alu instid0(VALU_DEP_4) | instskip(NEXT) | instid1(VALU_DEP_4)
	v_fma_f32 v139, v1, v9, -v10
	v_fma_f32 v140, v3, v11, -v12
	s_clause 0x1
	scratch_load_b128 v[1:4], off, off offset:392
	scratch_load_b128 v[9:12], off, off offset:408
	v_add_f32_e32 v22, v17, v203
	ds_load_2addr_b64 v[17:20], v135 offset0:107 offset1:108
	v_add_f32_e32 v142, v22, v205
	ds_load_2addr_b64 v[21:24], v135 offset0:109 offset1:110
	v_add_f32_e32 v135, v141, v208
	s_delay_alu instid0(VALU_DEP_1) | instskip(NEXT) | instid1(VALU_DEP_1)
	v_add_f32_e32 v135, v135, v210
	v_add_f32_e32 v135, v135, v212
	s_delay_alu instid0(VALU_DEP_1) | instskip(SKIP_1) | instid1(VALU_DEP_1)
	v_add_f32_e32 v135, v135, v214
	s_wait_loadcnt_dscnt 0x200
	v_dual_add_f32 v135, v135, v139 :: v_dual_mul_f32 v148, v21, v14
	v_add_f32_e32 v141, v142, v207
	s_delay_alu instid0(VALU_DEP_2) | instskip(NEXT) | instid1(VALU_DEP_2)
	v_dual_mul_f32 v139, v23, v16 :: v_dual_fmac_f32 v148, v22, v13
	v_add_f32_e32 v141, v141, v209
	s_delay_alu instid0(VALU_DEP_2) | instskip(SKIP_2) | instid1(VALU_DEP_3)
	v_fmac_f32_e32 v139, v24, v15
	s_wait_loadcnt 0x1
	v_mul_f32_e32 v143, v7, v4
	v_dual_mul_f32 v4, v8, v4 :: v_dual_add_f32 v141, v141, v211
	v_mul_f32_e32 v142, v5, v2
	v_mul_f32_e32 v2, v6, v2
	s_wait_loadcnt 0x0
	v_dual_mul_f32 v144, v17, v10 :: v_dual_fmac_f32 v143, v8, v3
	v_add_f32_e32 v141, v141, v213
	v_fmac_f32_e32 v142, v6, v1
	v_fma_f32 v2, v5, v1, -v2
	v_dual_add_f32 v1, v135, v140 :: v_dual_mul_f32 v6, v18, v10
	s_delay_alu instid0(VALU_DEP_4) | instskip(SKIP_2) | instid1(VALU_DEP_4)
	v_add_f32_e32 v136, v141, v136
	v_fma_f32 v3, v7, v3, -v4
	v_mul_f32_e32 v145, v19, v12
	v_dual_add_f32 v1, v1, v2 :: v_dual_mul_f32 v4, v20, v12
	s_delay_alu instid0(VALU_DEP_4) | instskip(NEXT) | instid1(VALU_DEP_3)
	v_dual_add_f32 v5, v136, v138 :: v_dual_fmac_f32 v144, v18, v9
	v_fmac_f32_e32 v145, v20, v11
	s_delay_alu instid0(VALU_DEP_3) | instskip(SKIP_1) | instid1(VALU_DEP_4)
	v_add_f32_e32 v1, v1, v3
	v_mul_f32_e32 v3, v22, v14
	v_add_f32_e32 v2, v5, v142
	v_fma_f32 v5, v17, v9, -v6
	v_fma_f32 v4, v19, v11, -v4
	s_delay_alu instid0(VALU_DEP_4) | instskip(NEXT) | instid1(VALU_DEP_3)
	v_fma_f32 v3, v21, v13, -v3
	v_dual_add_f32 v2, v2, v143 :: v_dual_add_f32 v1, v1, v5
	v_mul_f32_e32 v5, v24, v16
	s_delay_alu instid0(VALU_DEP_2) | instskip(NEXT) | instid1(VALU_DEP_3)
	v_add_f32_e32 v2, v2, v144
	v_add_f32_e32 v1, v1, v4
	s_delay_alu instid0(VALU_DEP_3) | instskip(NEXT) | instid1(VALU_DEP_2)
	v_fma_f32 v4, v23, v15, -v5
	v_dual_add_f32 v2, v2, v145 :: v_dual_add_f32 v1, v1, v3
	s_delay_alu instid0(VALU_DEP_1) | instskip(NEXT) | instid1(VALU_DEP_1)
	v_add_f32_e32 v2, v2, v148
	v_dual_add_f32 v1, v1, v4 :: v_dual_add_f32 v2, v2, v139
	s_delay_alu instid0(VALU_DEP_1)
	v_dual_sub_f32 v1, v146, v1 :: v_dual_sub_f32 v2, v147, v2
	scratch_store_b64 off, v[1:2], off offset:16
	v_cmpx_lt_u32_e32 1, v0
	s_cbranch_execz .LBB118_341
; %bb.340:
	scratch_load_b64 v[1:2], off, off offset:8
	v_mov_b32_e32 v3, 0
	s_delay_alu instid0(VALU_DEP_1)
	v_mov_b32_e32 v4, v3
	scratch_store_b64 off, v[3:4], off offset:8
	s_wait_loadcnt 0x0
	ds_store_b64 v137, v[1:2]
.LBB118_341:
	s_wait_alu 0xfffe
	s_or_b32 exec_lo, exec_lo, s0
	s_wait_storecnt_dscnt 0x0
	s_barrier_signal -1
	s_barrier_wait -1
	global_inv scope:SCOPE_SE
	s_clause 0x4
	scratch_load_b128 v[5:8], off, off offset:16
	scratch_load_b128 v[1:4], off, off offset:32
	;; [unrolled: 1-line block ×5, first 2 shown]
	v_mov_b32_e32 v135, 0
	ds_load_b128 v[21:24], v135 offset:464
	ds_load_b128 v[138:141], v135 offset:480
	;; [unrolled: 1-line block ×3, first 2 shown]
	scratch_load_b64 v[146:147], off, off offset:8
	s_mov_b32 s0, exec_lo
	s_wait_loadcnt_dscnt 0x502
	v_mul_f32_e32 v136, v21, v6
	v_mul_f32_e32 v148, v23, v8
	s_wait_loadcnt_dscnt 0x300
	v_dual_mul_f32 v8, v24, v8 :: v_dual_mul_f32 v149, v142, v10
	v_mul_f32_e32 v6, v22, v6
	v_fmac_f32_e32 v136, v22, v5
	v_mul_f32_e32 v150, v144, v12
	s_delay_alu instid0(VALU_DEP_4) | instskip(SKIP_2) | instid1(VALU_DEP_2)
	v_fma_f32 v22, v23, v7, -v8
	v_dual_mul_f32 v23, v138, v2 :: v_dual_fmac_f32 v148, v24, v7
	v_dual_fmac_f32 v149, v143, v9 :: v_dual_mul_f32 v24, v140, v4
	v_dual_mul_f32 v4, v141, v4 :: v_dual_fmac_f32 v23, v139, v1
	v_fma_f32 v21, v21, v5, -v6
	ds_load_b128 v[5:8], v135 offset:512
	v_mul_f32_e32 v10, v143, v10
	v_mul_f32_e32 v12, v145, v12
	;; [unrolled: 1-line block ×3, first 2 shown]
	v_fmac_f32_e32 v24, v141, v3
	v_fma_f32 v139, v140, v3, -v4
	v_fmac_f32_e32 v150, v145, v11
	v_fma_f32 v140, v142, v9, -v10
	v_fma_f32 v141, v144, v11, -v12
	ds_load_b128 v[9:12], v135 offset:528
	s_wait_loadcnt_dscnt 0x201
	v_dual_mul_f32 v143, v7, v16 :: v_dual_mul_f32 v142, v5, v14
	v_mul_f32_e32 v14, v6, v14
	v_mul_f32_e32 v16, v8, v16
	s_delay_alu instid0(VALU_DEP_3)
	v_fmac_f32_e32 v143, v8, v15
	v_fma_f32 v138, v138, v1, -v2
	scratch_load_b128 v[1:4], off, off offset:96
	v_fmac_f32_e32 v142, v6, v13
	v_fma_f32 v13, v5, v13, -v14
	v_fma_f32 v14, v7, v15, -v16
	s_wait_loadcnt_dscnt 0x200
	v_mul_f32_e32 v15, v9, v18
	v_mul_f32_e32 v16, v10, v18
	;; [unrolled: 1-line block ×4, first 2 shown]
	ds_load_b128 v[5:8], v135 offset:544
	v_fmac_f32_e32 v15, v10, v17
	v_fma_f32 v16, v9, v17, -v16
	v_fmac_f32_e32 v18, v12, v19
	v_fma_f32 v17, v11, v19, -v20
	scratch_load_b128 v[9:12], off, off offset:112
	s_wait_loadcnt_dscnt 0x100
	v_mul_f32_e32 v19, v5, v2
	v_mul_f32_e32 v2, v6, v2
	v_mul_f32_e32 v20, v7, v4
	s_delay_alu instid0(VALU_DEP_3) | instskip(NEXT) | instid1(VALU_DEP_3)
	v_dual_mul_f32 v4, v8, v4 :: v_dual_fmac_f32 v19, v6, v1
	v_fma_f32 v144, v5, v1, -v2
	s_delay_alu instid0(VALU_DEP_3) | instskip(NEXT) | instid1(VALU_DEP_3)
	v_fmac_f32_e32 v20, v8, v3
	v_fma_f32 v145, v7, v3, -v4
	ds_load_b128 v[1:4], v135 offset:560
	ds_load_b128 v[5:8], v135 offset:576
	s_wait_loadcnt_dscnt 0x1
	v_mul_f32_e32 v151, v1, v10
	v_mul_f32_e32 v10, v2, v10
	s_delay_alu instid0(VALU_DEP_2) | instskip(NEXT) | instid1(VALU_DEP_2)
	v_dual_mul_f32 v152, v3, v12 :: v_dual_fmac_f32 v151, v2, v9
	v_fma_f32 v153, v1, v9, -v10
	v_mul_f32_e32 v1, v4, v12
	s_delay_alu instid0(VALU_DEP_3) | instskip(NEXT) | instid1(VALU_DEP_2)
	v_fmac_f32_e32 v152, v4, v11
	v_fma_f32 v154, v3, v11, -v1
	s_clause 0x1
	scratch_load_b128 v[1:4], off, off offset:128
	scratch_load_b128 v[9:12], off, off offset:144
	s_wait_loadcnt_dscnt 0x100
	v_mul_f32_e32 v155, v5, v2
	v_dual_mul_f32 v2, v6, v2 :: v_dual_mul_f32 v157, v7, v4
	s_delay_alu instid0(VALU_DEP_2) | instskip(NEXT) | instid1(VALU_DEP_2)
	v_fmac_f32_e32 v155, v6, v1
	v_fma_f32 v156, v5, v1, -v2
	v_mul_f32_e32 v1, v8, v4
	s_delay_alu instid0(VALU_DEP_4) | instskip(NEXT) | instid1(VALU_DEP_2)
	v_fmac_f32_e32 v157, v8, v3
	v_fma_f32 v158, v7, v3, -v1
	ds_load_b128 v[1:4], v135 offset:592
	ds_load_b128 v[5:8], v135 offset:608
	s_wait_loadcnt_dscnt 0x1
	v_mul_f32_e32 v159, v1, v10
	v_mul_f32_e32 v161, v3, v12
	s_delay_alu instid0(VALU_DEP_2) | instskip(NEXT) | instid1(VALU_DEP_2)
	v_fmac_f32_e32 v159, v2, v9
	v_dual_mul_f32 v2, v2, v10 :: v_dual_fmac_f32 v161, v4, v11
	s_delay_alu instid0(VALU_DEP_1) | instskip(SKIP_1) | instid1(VALU_DEP_1)
	v_fma_f32 v160, v1, v9, -v2
	v_mul_f32_e32 v1, v4, v12
	v_fma_f32 v162, v3, v11, -v1
	s_clause 0x1
	scratch_load_b128 v[1:4], off, off offset:160
	scratch_load_b128 v[9:12], off, off offset:176
	s_wait_loadcnt_dscnt 0x100
	v_mul_f32_e32 v163, v5, v2
	v_dual_mul_f32 v2, v6, v2 :: v_dual_mul_f32 v165, v7, v4
	s_delay_alu instid0(VALU_DEP_2) | instskip(NEXT) | instid1(VALU_DEP_2)
	v_fmac_f32_e32 v163, v6, v1
	v_fma_f32 v164, v5, v1, -v2
	v_mul_f32_e32 v1, v8, v4
	s_delay_alu instid0(VALU_DEP_4) | instskip(NEXT) | instid1(VALU_DEP_2)
	v_fmac_f32_e32 v165, v8, v3
	v_fma_f32 v166, v7, v3, -v1
	ds_load_b128 v[1:4], v135 offset:624
	ds_load_b128 v[5:8], v135 offset:640
	s_wait_loadcnt_dscnt 0x1
	v_mul_f32_e32 v167, v1, v10
	v_mul_f32_e32 v169, v3, v12
	s_delay_alu instid0(VALU_DEP_2) | instskip(NEXT) | instid1(VALU_DEP_2)
	v_fmac_f32_e32 v167, v2, v9
	v_dual_mul_f32 v2, v2, v10 :: v_dual_fmac_f32 v169, v4, v11
	s_delay_alu instid0(VALU_DEP_1) | instskip(SKIP_1) | instid1(VALU_DEP_1)
	v_fma_f32 v168, v1, v9, -v2
	v_mul_f32_e32 v1, v4, v12
	;; [unrolled: 25-line block ×7, first 2 shown]
	v_fma_f32 v210, v3, v11, -v1
	s_clause 0x1
	scratch_load_b128 v[1:4], off, off offset:352
	scratch_load_b128 v[9:12], off, off offset:368
	s_wait_loadcnt_dscnt 0x100
	v_mul_f32_e32 v211, v5, v2
	v_dual_mul_f32 v2, v6, v2 :: v_dual_mul_f32 v213, v7, v4
	s_delay_alu instid0(VALU_DEP_2) | instskip(NEXT) | instid1(VALU_DEP_2)
	v_fmac_f32_e32 v211, v6, v1
	v_fma_f32 v212, v5, v1, -v2
	s_delay_alu instid0(VALU_DEP_3) | instskip(NEXT) | instid1(VALU_DEP_1)
	v_dual_add_f32 v2, 0, v136 :: v_dual_fmac_f32 v213, v8, v3
	v_add_f32_e32 v2, v2, v148
	s_delay_alu instid0(VALU_DEP_1) | instskip(NEXT) | instid1(VALU_DEP_1)
	v_add_f32_e32 v2, v2, v23
	v_add_f32_e32 v2, v2, v24
	s_delay_alu instid0(VALU_DEP_1) | instskip(NEXT) | instid1(VALU_DEP_1)
	v_add_f32_e32 v2, v2, v149
	;; [unrolled: 3-line block ×5, first 2 shown]
	v_add_f32_e32 v2, v2, v20
	s_delay_alu instid0(VALU_DEP_1) | instskip(NEXT) | instid1(VALU_DEP_1)
	v_dual_mul_f32 v1, v8, v4 :: v_dual_add_f32 v2, v2, v151
	v_fma_f32 v214, v7, v3, -v1
	s_delay_alu instid0(VALU_DEP_2) | instskip(NEXT) | instid1(VALU_DEP_1)
	v_dual_add_f32 v1, 0, v21 :: v_dual_add_f32 v2, v2, v152
	v_dual_add_f32 v1, v1, v22 :: v_dual_add_f32 v2, v2, v155
	s_delay_alu instid0(VALU_DEP_1) | instskip(NEXT) | instid1(VALU_DEP_1)
	v_dual_add_f32 v1, v1, v138 :: v_dual_add_f32 v2, v2, v157
	v_add_f32_e32 v1, v1, v139
	scratch_load_b64 v[138:139], off, off offset:432
	v_dual_add_f32 v2, v2, v159 :: v_dual_add_f32 v1, v1, v140
	s_delay_alu instid0(VALU_DEP_1) | instskip(NEXT) | instid1(VALU_DEP_1)
	v_add_f32_e32 v2, v2, v161
	v_dual_add_f32 v1, v1, v141 :: v_dual_add_f32 v2, v2, v163
	s_delay_alu instid0(VALU_DEP_1) | instskip(NEXT) | instid1(VALU_DEP_1)
	v_add_f32_e32 v1, v1, v13
	v_dual_add_f32 v2, v2, v165 :: v_dual_add_f32 v1, v1, v14
	s_delay_alu instid0(VALU_DEP_1) | instskip(NEXT) | instid1(VALU_DEP_1)
	v_dual_add_f32 v2, v2, v167 :: v_dual_add_f32 v1, v1, v16
	v_add_f32_e32 v2, v2, v169
	s_delay_alu instid0(VALU_DEP_2) | instskip(NEXT) | instid1(VALU_DEP_1)
	v_add_f32_e32 v1, v1, v17
	v_add_f32_e32 v1, v1, v144
	s_delay_alu instid0(VALU_DEP_1) | instskip(NEXT) | instid1(VALU_DEP_1)
	v_add_f32_e32 v1, v1, v145
	v_add_f32_e32 v1, v1, v153
	s_delay_alu instid0(VALU_DEP_1) | instskip(NEXT) | instid1(VALU_DEP_1)
	v_add_f32_e32 v1, v1, v154
	v_add_f32_e32 v1, v1, v156
	s_delay_alu instid0(VALU_DEP_1) | instskip(NEXT) | instid1(VALU_DEP_1)
	v_add_f32_e32 v1, v1, v158
	v_add_f32_e32 v1, v1, v160
	s_delay_alu instid0(VALU_DEP_1) | instskip(NEXT) | instid1(VALU_DEP_1)
	v_add_f32_e32 v1, v1, v162
	v_add_f32_e32 v1, v1, v164
	s_delay_alu instid0(VALU_DEP_1) | instskip(NEXT) | instid1(VALU_DEP_1)
	v_add_f32_e32 v1, v1, v166
	v_add_f32_e32 v1, v1, v168
	s_delay_alu instid0(VALU_DEP_1) | instskip(NEXT) | instid1(VALU_DEP_1)
	v_add_f32_e32 v1, v1, v170
	v_add_f32_e32 v1, v1, v172
	s_delay_alu instid0(VALU_DEP_1) | instskip(NEXT) | instid1(VALU_DEP_1)
	v_add_f32_e32 v1, v1, v174
	v_add_f32_e32 v1, v1, v176
	s_delay_alu instid0(VALU_DEP_1) | instskip(NEXT) | instid1(VALU_DEP_1)
	v_add_f32_e32 v1, v1, v178
	v_add_f32_e32 v1, v1, v180
	s_delay_alu instid0(VALU_DEP_1) | instskip(NEXT) | instid1(VALU_DEP_1)
	v_add_f32_e32 v1, v1, v182
	v_add_f32_e32 v1, v1, v184
	s_delay_alu instid0(VALU_DEP_1) | instskip(SKIP_1) | instid1(VALU_DEP_2)
	v_add_f32_e32 v6, v1, v186
	v_add_f32_e32 v2, v2, v171
	;; [unrolled: 1-line block ×3, first 2 shown]
	s_delay_alu instid0(VALU_DEP_2) | instskip(NEXT) | instid1(VALU_DEP_2)
	v_add_f32_e32 v2, v2, v173
	v_add_f32_e32 v13, v6, v190
	s_delay_alu instid0(VALU_DEP_1) | instskip(NEXT) | instid1(VALU_DEP_1)
	v_dual_add_f32 v2, v2, v175 :: v_dual_add_f32 v13, v13, v192
	v_dual_add_f32 v2, v2, v177 :: v_dual_add_f32 v13, v13, v194
	s_delay_alu instid0(VALU_DEP_1) | instskip(NEXT) | instid1(VALU_DEP_1)
	v_dual_add_f32 v2, v2, v179 :: v_dual_add_f32 v13, v13, v196
	v_add_f32_e32 v2, v2, v181
	s_delay_alu instid0(VALU_DEP_1) | instskip(SKIP_2) | instid1(VALU_DEP_1)
	v_dual_add_f32 v18, v13, v198 :: v_dual_add_f32 v5, v2, v183
	ds_load_b128 v[1:4], v135 offset:816
	v_dual_add_f32 v18, v18, v200 :: v_dual_add_f32 v5, v5, v185
	v_dual_add_f32 v18, v18, v202 :: v_dual_add_f32 v5, v5, v187
	s_delay_alu instid0(VALU_DEP_1) | instskip(NEXT) | instid1(VALU_DEP_2)
	v_add_f32_e32 v18, v18, v204
	v_add_f32_e32 v14, v5, v189
	ds_load_b128 v[5:8], v135 offset:832
	v_add_f32_e32 v18, v18, v206
	v_add_f32_e32 v14, v14, v191
	s_wait_loadcnt_dscnt 0x101
	v_mul_f32_e32 v136, v1, v10
	v_mul_f32_e32 v10, v2, v10
	;; [unrolled: 1-line block ×4, first 2 shown]
	v_add_f32_e32 v14, v14, v193
	v_fmac_f32_e32 v136, v2, v9
	v_fma_f32 v143, v1, v9, -v10
	v_fmac_f32_e32 v142, v4, v11
	v_fma_f32 v144, v3, v11, -v12
	s_clause 0x1
	scratch_load_b128 v[1:4], off, off offset:384
	scratch_load_b128 v[9:12], off, off offset:400
	v_add_f32_e32 v17, v14, v195
	scratch_load_b128 v[13:16], off, off offset:416
	v_dual_add_f32 v140, v18, v208 :: v_dual_add_f32 v17, v17, v197
	s_delay_alu instid0(VALU_DEP_1) | instskip(NEXT) | instid1(VALU_DEP_1)
	v_add_f32_e32 v145, v140, v210
	v_add_f32_e32 v145, v145, v212
	s_delay_alu instid0(VALU_DEP_1) | instskip(NEXT) | instid1(VALU_DEP_1)
	v_add_f32_e32 v145, v145, v214
	v_add_f32_e32 v143, v145, v143
	s_delay_alu instid0(VALU_DEP_1) | instskip(SKIP_4) | instid1(VALU_DEP_3)
	v_add_f32_e32 v143, v143, v144
	s_wait_loadcnt_dscnt 0x200
	v_dual_mul_f32 v150, v7, v4 :: v_dual_add_f32 v17, v17, v199
	v_dual_mul_f32 v4, v8, v4 :: v_dual_mul_f32 v149, v5, v2
	v_mul_f32_e32 v2, v6, v2
	v_dual_fmac_f32 v150, v8, v3 :: v_dual_add_f32 v17, v17, v201
	s_delay_alu instid0(VALU_DEP_3) | instskip(NEXT) | instid1(VALU_DEP_3)
	v_fmac_f32_e32 v149, v6, v1
	v_fma_f32 v2, v5, v1, -v2
	v_fma_f32 v1, v7, v3, -v4
	s_delay_alu instid0(VALU_DEP_2) | instskip(NEXT) | instid1(VALU_DEP_1)
	v_dual_add_f32 v17, v17, v203 :: v_dual_add_f32 v2, v143, v2
	v_add_f32_e32 v21, v17, v205
	ds_load_b128 v[17:20], v135 offset:848
	v_add_f32_e32 v1, v2, v1
	v_add_f32_e32 v141, v21, v207
	ds_load_b128 v[21:24], v135 offset:864
	v_add_f32_e32 v148, v141, v209
	ds_load_b64 v[140:141], v135 offset:880
	v_add_f32_e32 v148, v148, v211
	s_wait_loadcnt_dscnt 0x102
	s_delay_alu instid0(VALU_DEP_1) | instskip(SKIP_2) | instid1(VALU_DEP_3)
	v_dual_add_f32 v148, v148, v213 :: v_dual_mul_f32 v145, v17, v10
	v_mul_f32_e32 v3, v18, v10
	v_mul_f32_e32 v5, v20, v12
	v_add_f32_e32 v136, v148, v136
	s_delay_alu instid0(VALU_DEP_4) | instskip(NEXT) | instid1(VALU_DEP_4)
	v_dual_mul_f32 v148, v19, v12 :: v_dual_fmac_f32 v145, v18, v9
	v_fma_f32 v3, v17, v9, -v3
	s_wait_loadcnt_dscnt 0x1
	v_mul_f32_e32 v151, v21, v14
	v_add_f32_e32 v136, v136, v142
	v_fmac_f32_e32 v148, v20, v11
	v_fma_f32 v5, v19, v11, -v5
	v_dual_add_f32 v1, v1, v3 :: v_dual_mul_f32 v144, v23, v16
	s_delay_alu instid0(VALU_DEP_4)
	v_add_f32_e32 v4, v136, v149
	v_mul_f32_e32 v3, v24, v16
	v_fmac_f32_e32 v151, v22, v13
	s_wait_dscnt 0x0
	v_dual_add_f32 v1, v1, v5 :: v_dual_mul_f32 v142, v140, v139
	v_add_f32_e32 v2, v4, v150
	v_dual_mul_f32 v4, v22, v14 :: v_dual_mul_f32 v5, v141, v139
	v_fmac_f32_e32 v144, v24, v15
	v_fma_f32 v3, v23, v15, -v3
	s_delay_alu instid0(VALU_DEP_4) | instskip(NEXT) | instid1(VALU_DEP_4)
	v_add_f32_e32 v2, v2, v145
	v_fma_f32 v4, v21, v13, -v4
	v_fmac_f32_e32 v142, v141, v138
	s_delay_alu instid0(VALU_DEP_3) | instskip(NEXT) | instid1(VALU_DEP_3)
	v_add_f32_e32 v2, v2, v148
	v_add_f32_e32 v1, v1, v4
	v_fma_f32 v4, v140, v138, -v5
	s_delay_alu instid0(VALU_DEP_3) | instskip(NEXT) | instid1(VALU_DEP_1)
	v_add_f32_e32 v2, v2, v151
	v_dual_add_f32 v1, v1, v3 :: v_dual_add_f32 v2, v2, v144
	s_delay_alu instid0(VALU_DEP_1) | instskip(NEXT) | instid1(VALU_DEP_1)
	v_dual_add_f32 v1, v1, v4 :: v_dual_add_f32 v2, v2, v142
	v_dual_sub_f32 v1, v146, v1 :: v_dual_sub_f32 v2, v147, v2
	scratch_store_b64 off, v[1:2], off offset:8
	v_cmpx_ne_u32_e32 0, v0
	s_cbranch_execz .LBB118_343
; %bb.342:
	scratch_load_b64 v[0:1], off, off
	v_mov_b32_e32 v136, v135
	scratch_store_b64 off, v[135:136], off
	s_wait_loadcnt 0x0
	ds_store_b64 v137, v[0:1]
.LBB118_343:
	s_wait_alu 0xfffe
	s_or_b32 exec_lo, exec_lo, s0
	s_wait_storecnt_dscnt 0x0
	s_barrier_signal -1
	s_barrier_wait -1
	global_inv scope:SCOPE_SE
	s_clause 0x6
	scratch_load_b128 v[0:3], off, off offset:8
	scratch_load_b128 v[4:7], off, off offset:24
	;; [unrolled: 1-line block ×7, first 2 shown]
	ds_load_2addr_b64 v[140:143], v135 offset0:57 offset1:58
	ds_load_2addr_b64 v[144:147], v135 offset0:59 offset1:60
	scratch_load_b64 v[148:149], off, off
	s_and_b32 vcc_lo, exec_lo, s12
	s_wait_loadcnt_dscnt 0x701
	v_mul_f32_e32 v24, v140, v1
	v_dual_mul_f32 v150, v142, v3 :: v_dual_mul_f32 v1, v141, v1
	s_delay_alu instid0(VALU_DEP_2) | instskip(NEXT) | instid1(VALU_DEP_2)
	v_dual_mul_f32 v3, v143, v3 :: v_dual_fmac_f32 v24, v141, v0
	v_fmac_f32_e32 v150, v143, v2
	s_delay_alu instid0(VALU_DEP_3) | instskip(NEXT) | instid1(VALU_DEP_3)
	v_fma_f32 v140, v140, v0, -v1
	v_fma_f32 v141, v142, v2, -v3
	ds_load_2addr_b64 v[0:3], v135 offset0:61 offset1:62
	s_wait_loadcnt_dscnt 0x601
	v_dual_mul_f32 v142, v144, v5 :: v_dual_mul_f32 v143, v146, v7
	v_mul_f32_e32 v5, v145, v5
	s_delay_alu instid0(VALU_DEP_2) | instskip(NEXT) | instid1(VALU_DEP_3)
	v_dual_mul_f32 v7, v147, v7 :: v_dual_fmac_f32 v142, v145, v4
	v_fmac_f32_e32 v143, v147, v6
	s_delay_alu instid0(VALU_DEP_3) | instskip(NEXT) | instid1(VALU_DEP_3)
	v_fma_f32 v144, v144, v4, -v5
	v_fma_f32 v145, v146, v6, -v7
	ds_load_2addr_b64 v[4:7], v135 offset0:63 offset1:64
	s_wait_loadcnt_dscnt 0x501
	v_dual_mul_f32 v146, v0, v9 :: v_dual_mul_f32 v147, v2, v11
	v_mul_f32_e32 v9, v1, v9
	s_delay_alu instid0(VALU_DEP_2) | instskip(NEXT) | instid1(VALU_DEP_3)
	v_dual_mul_f32 v11, v3, v11 :: v_dual_fmac_f32 v146, v1, v8
	v_fmac_f32_e32 v147, v3, v10
	s_delay_alu instid0(VALU_DEP_3) | instskip(NEXT) | instid1(VALU_DEP_3)
	v_fma_f32 v151, v0, v8, -v9
	v_fma_f32 v152, v2, v10, -v11
	ds_load_2addr_b64 v[0:3], v135 offset0:65 offset1:66
	s_wait_loadcnt_dscnt 0x401
	v_mul_f32_e32 v153, v4, v13
	v_dual_mul_f32 v8, v5, v13 :: v_dual_mul_f32 v13, v6, v15
	v_mul_f32_e32 v9, v7, v15
	s_delay_alu instid0(VALU_DEP_3) | instskip(NEXT) | instid1(VALU_DEP_3)
	v_fmac_f32_e32 v153, v5, v12
	v_fma_f32 v12, v4, v12, -v8
	s_delay_alu instid0(VALU_DEP_4) | instskip(NEXT) | instid1(VALU_DEP_4)
	v_fmac_f32_e32 v13, v7, v14
	v_fma_f32 v14, v6, v14, -v9
	ds_load_2addr_b64 v[4:7], v135 offset0:67 offset1:68
	s_wait_loadcnt_dscnt 0x301
	v_mul_f32_e32 v15, v0, v17
	v_dual_mul_f32 v8, v1, v17 :: v_dual_mul_f32 v17, v2, v19
	v_mul_f32_e32 v9, v3, v19
	s_delay_alu instid0(VALU_DEP_3) | instskip(NEXT) | instid1(VALU_DEP_3)
	v_fmac_f32_e32 v15, v1, v16
	v_fma_f32 v16, v0, v16, -v8
	s_delay_alu instid0(VALU_DEP_4) | instskip(NEXT) | instid1(VALU_DEP_4)
	v_fmac_f32_e32 v17, v3, v18
	;; [unrolled: 11-line block ×4, first 2 shown]
	v_fma_f32 v138, v2, v138, -v9
	s_clause 0x1
	scratch_load_b128 v[0:3], off, off offset:120
	scratch_load_b128 v[8:11], off, off offset:136
	s_wait_loadcnt_dscnt 0x100
	v_mul_f32_e32 v139, v4, v1
	v_mul_f32_e32 v1, v5, v1
	;; [unrolled: 1-line block ×3, first 2 shown]
	s_delay_alu instid0(VALU_DEP_3) | instskip(NEXT) | instid1(VALU_DEP_3)
	v_fmac_f32_e32 v139, v5, v0
	v_fma_f32 v154, v4, v0, -v1
	v_mul_f32_e32 v0, v7, v3
	s_delay_alu instid0(VALU_DEP_4) | instskip(NEXT) | instid1(VALU_DEP_2)
	v_fmac_f32_e32 v155, v7, v2
	v_fma_f32 v156, v6, v2, -v0
	ds_load_2addr_b64 v[0:3], v135 offset0:73 offset1:74
	ds_load_2addr_b64 v[4:7], v135 offset0:75 offset1:76
	s_wait_loadcnt_dscnt 0x1
	v_mul_f32_e32 v157, v0, v9
	v_mul_f32_e32 v159, v2, v11
	s_delay_alu instid0(VALU_DEP_2) | instskip(SKIP_1) | instid1(VALU_DEP_3)
	v_fmac_f32_e32 v157, v1, v8
	v_mul_f32_e32 v1, v1, v9
	v_fmac_f32_e32 v159, v3, v10
	s_delay_alu instid0(VALU_DEP_2) | instskip(SKIP_1) | instid1(VALU_DEP_1)
	v_fma_f32 v158, v0, v8, -v1
	v_mul_f32_e32 v0, v3, v11
	v_fma_f32 v160, v2, v10, -v0
	s_clause 0x1
	scratch_load_b128 v[0:3], off, off offset:152
	scratch_load_b128 v[8:11], off, off offset:168
	s_wait_loadcnt_dscnt 0x100
	v_mul_f32_e32 v161, v4, v1
	v_mul_f32_e32 v1, v5, v1
	;; [unrolled: 1-line block ×3, first 2 shown]
	s_delay_alu instid0(VALU_DEP_3) | instskip(NEXT) | instid1(VALU_DEP_3)
	v_fmac_f32_e32 v161, v5, v0
	v_fma_f32 v162, v4, v0, -v1
	v_mul_f32_e32 v0, v7, v3
	s_delay_alu instid0(VALU_DEP_4) | instskip(NEXT) | instid1(VALU_DEP_2)
	v_fmac_f32_e32 v163, v7, v2
	v_fma_f32 v164, v6, v2, -v0
	ds_load_2addr_b64 v[0:3], v135 offset0:77 offset1:78
	ds_load_2addr_b64 v[4:7], v135 offset0:79 offset1:80
	s_wait_loadcnt_dscnt 0x1
	v_mul_f32_e32 v165, v0, v9
	v_mul_f32_e32 v167, v2, v11
	s_delay_alu instid0(VALU_DEP_2) | instskip(SKIP_1) | instid1(VALU_DEP_1)
	v_fmac_f32_e32 v165, v1, v8
	v_mul_f32_e32 v1, v1, v9
	v_fma_f32 v166, v0, v8, -v1
	v_mul_f32_e32 v0, v3, v11
	s_delay_alu instid0(VALU_DEP_1)
	v_fma_f32 v168, v2, v10, -v0
	v_fmac_f32_e32 v167, v3, v10
	s_clause 0x1
	scratch_load_b128 v[0:3], off, off offset:184
	scratch_load_b128 v[8:11], off, off offset:200
	s_wait_loadcnt_dscnt 0x100
	v_mul_f32_e32 v169, v4, v1
	v_mul_f32_e32 v1, v5, v1
	s_delay_alu instid0(VALU_DEP_2) | instskip(NEXT) | instid1(VALU_DEP_2)
	v_fmac_f32_e32 v169, v5, v0
	v_fma_f32 v170, v4, v0, -v1
	v_mul_f32_e32 v0, v7, v3
	s_delay_alu instid0(VALU_DEP_1) | instskip(SKIP_1) | instid1(VALU_DEP_1)
	v_fma_f32 v172, v6, v2, -v0
	v_mul_f32_e32 v171, v6, v3
	v_fmac_f32_e32 v171, v7, v2
	ds_load_2addr_b64 v[0:3], v135 offset0:81 offset1:82
	ds_load_2addr_b64 v[4:7], v135 offset0:83 offset1:84
	s_wait_loadcnt_dscnt 0x1
	v_mul_f32_e32 v173, v0, v9
	v_mul_f32_e32 v175, v2, v11
	s_delay_alu instid0(VALU_DEP_2) | instskip(SKIP_1) | instid1(VALU_DEP_3)
	v_fmac_f32_e32 v173, v1, v8
	v_mul_f32_e32 v1, v1, v9
	v_fmac_f32_e32 v175, v3, v10
	s_delay_alu instid0(VALU_DEP_2) | instskip(SKIP_1) | instid1(VALU_DEP_1)
	v_fma_f32 v174, v0, v8, -v1
	v_mul_f32_e32 v0, v3, v11
	v_fma_f32 v176, v2, v10, -v0
	s_clause 0x1
	scratch_load_b128 v[0:3], off, off offset:216
	scratch_load_b128 v[8:11], off, off offset:232
	s_wait_loadcnt_dscnt 0x100
	v_mul_f32_e32 v177, v4, v1
	v_mul_f32_e32 v1, v5, v1
	v_mul_f32_e32 v179, v6, v3
	s_delay_alu instid0(VALU_DEP_3) | instskip(NEXT) | instid1(VALU_DEP_3)
	v_fmac_f32_e32 v177, v5, v0
	v_fma_f32 v178, v4, v0, -v1
	v_mul_f32_e32 v0, v7, v3
	s_delay_alu instid0(VALU_DEP_4) | instskip(NEXT) | instid1(VALU_DEP_2)
	v_fmac_f32_e32 v179, v7, v2
	v_fma_f32 v180, v6, v2, -v0
	ds_load_2addr_b64 v[0:3], v135 offset0:85 offset1:86
	ds_load_2addr_b64 v[4:7], v135 offset0:87 offset1:88
	s_wait_loadcnt_dscnt 0x1
	v_mul_f32_e32 v181, v0, v9
	v_mul_f32_e32 v183, v2, v11
	s_delay_alu instid0(VALU_DEP_2) | instskip(SKIP_1) | instid1(VALU_DEP_3)
	v_fmac_f32_e32 v181, v1, v8
	v_mul_f32_e32 v1, v1, v9
	v_fmac_f32_e32 v183, v3, v10
	s_delay_alu instid0(VALU_DEP_2) | instskip(SKIP_1) | instid1(VALU_DEP_1)
	v_fma_f32 v182, v0, v8, -v1
	v_mul_f32_e32 v0, v3, v11
	v_fma_f32 v184, v2, v10, -v0
	s_clause 0x1
	scratch_load_b128 v[0:3], off, off offset:248
	scratch_load_b128 v[8:11], off, off offset:264
	s_wait_loadcnt_dscnt 0x100
	v_mul_f32_e32 v185, v4, v1
	v_mul_f32_e32 v1, v5, v1
	v_mul_f32_e32 v187, v6, v3
	s_delay_alu instid0(VALU_DEP_3) | instskip(NEXT) | instid1(VALU_DEP_3)
	v_fmac_f32_e32 v185, v5, v0
	v_fma_f32 v186, v4, v0, -v1
	v_mul_f32_e32 v0, v7, v3
	s_delay_alu instid0(VALU_DEP_4) | instskip(NEXT) | instid1(VALU_DEP_2)
	v_fmac_f32_e32 v187, v7, v2
	v_fma_f32 v188, v6, v2, -v0
	;; [unrolled: 27-line block ×4, first 2 shown]
	ds_load_2addr_b64 v[0:3], v135 offset0:97 offset1:98
	ds_load_2addr_b64 v[4:7], v135 offset0:99 offset1:100
	s_wait_loadcnt_dscnt 0x1
	v_mul_f32_e32 v205, v0, v9
	v_mul_f32_e32 v207, v2, v11
	s_delay_alu instid0(VALU_DEP_2) | instskip(SKIP_1) | instid1(VALU_DEP_3)
	v_fmac_f32_e32 v205, v1, v8
	v_mul_f32_e32 v1, v1, v9
	v_fmac_f32_e32 v207, v3, v10
	s_delay_alu instid0(VALU_DEP_2) | instskip(SKIP_1) | instid1(VALU_DEP_1)
	v_fma_f32 v206, v0, v8, -v1
	v_mul_f32_e32 v0, v3, v11
	v_fma_f32 v208, v2, v10, -v0
	s_clause 0x1
	scratch_load_b128 v[0:3], off, off offset:344
	scratch_load_b128 v[8:11], off, off offset:360
	s_wait_loadcnt_dscnt 0x100
	v_mul_f32_e32 v209, v4, v1
	v_mul_f32_e32 v1, v5, v1
	;; [unrolled: 1-line block ×3, first 2 shown]
	s_delay_alu instid0(VALU_DEP_3) | instskip(NEXT) | instid1(VALU_DEP_3)
	v_fmac_f32_e32 v209, v5, v0
	v_fma_f32 v210, v4, v0, -v1
	v_dual_mul_f32 v0, v7, v3 :: v_dual_add_f32 v1, 0, v24
	s_delay_alu instid0(VALU_DEP_4) | instskip(NEXT) | instid1(VALU_DEP_2)
	v_fmac_f32_e32 v211, v7, v2
	v_fma_f32 v212, v6, v2, -v0
	s_delay_alu instid0(VALU_DEP_3) | instskip(NEXT) | instid1(VALU_DEP_1)
	v_dual_add_f32 v0, 0, v140 :: v_dual_add_f32 v1, v1, v150
	v_dual_add_f32 v0, v0, v141 :: v_dual_add_f32 v1, v1, v142
	s_delay_alu instid0(VALU_DEP_1) | instskip(NEXT) | instid1(VALU_DEP_1)
	v_dual_add_f32 v0, v0, v144 :: v_dual_add_f32 v1, v1, v143
	v_dual_add_f32 v0, v0, v145 :: v_dual_add_f32 v1, v1, v146
	s_delay_alu instid0(VALU_DEP_1) | instskip(NEXT) | instid1(VALU_DEP_1)
	v_add_f32_e32 v0, v0, v151
	v_dual_add_f32 v1, v1, v147 :: v_dual_add_f32 v0, v0, v152
	s_delay_alu instid0(VALU_DEP_1) | instskip(NEXT) | instid1(VALU_DEP_1)
	v_dual_add_f32 v1, v1, v153 :: v_dual_add_f32 v0, v0, v12
	v_dual_add_f32 v1, v1, v13 :: v_dual_add_f32 v0, v0, v14
	s_delay_alu instid0(VALU_DEP_1) | instskip(NEXT) | instid1(VALU_DEP_1)
	v_dual_add_f32 v1, v1, v15 :: v_dual_add_f32 v0, v0, v16
	;; [unrolled: 3-line block ×9, first 2 shown]
	v_add_f32_e32 v0, v0, v172
	s_delay_alu instid0(VALU_DEP_1) | instskip(NEXT) | instid1(VALU_DEP_1)
	v_add_f32_e32 v0, v0, v174
	v_dual_add_f32 v0, v0, v176 :: v_dual_add_f32 v1, v1, v171
	s_delay_alu instid0(VALU_DEP_1) | instskip(NEXT) | instid1(VALU_DEP_1)
	v_dual_add_f32 v0, v0, v178 :: v_dual_add_f32 v1, v1, v173
	v_add_f32_e32 v0, v0, v180
	s_delay_alu instid0(VALU_DEP_1) | instskip(NEXT) | instid1(VALU_DEP_1)
	v_add_f32_e32 v4, v0, v182
	v_dual_add_f32 v4, v4, v184 :: v_dual_add_f32 v1, v1, v175
	s_delay_alu instid0(VALU_DEP_1) | instskip(NEXT) | instid1(VALU_DEP_1)
	v_dual_add_f32 v4, v4, v186 :: v_dual_add_f32 v1, v1, v177
	v_add_f32_e32 v13, v4, v188
	s_delay_alu instid0(VALU_DEP_2) | instskip(NEXT) | instid1(VALU_DEP_2)
	v_add_f32_e32 v1, v1, v179
	v_add_f32_e32 v13, v13, v190
	s_delay_alu instid0(VALU_DEP_2) | instskip(SKIP_3) | instid1(VALU_DEP_2)
	v_add_f32_e32 v5, v1, v181
	ds_load_2addr_b64 v[0:3], v135 offset0:101 offset1:102
	v_add_f32_e32 v13, v13, v192
	v_add_f32_e32 v5, v5, v183
	;; [unrolled: 1-line block ×3, first 2 shown]
	s_delay_alu instid0(VALU_DEP_1) | instskip(NEXT) | instid1(VALU_DEP_1)
	v_add_f32_e32 v16, v13, v196
	v_add_f32_e32 v20, v16, v198
	s_delay_alu instid0(VALU_DEP_4)
	v_add_f32_e32 v12, v5, v185
	ds_load_2addr_b64 v[4:7], v135 offset0:103 offset1:104
	s_wait_loadcnt_dscnt 0x1
	v_mul_f32_e32 v24, v0, v9
	v_dual_mul_f32 v9, v1, v9 :: v_dual_add_f32 v20, v20, v200
	v_mul_f32_e32 v144, v2, v11
	s_delay_alu instid0(VALU_DEP_3) | instskip(NEXT) | instid1(VALU_DEP_3)
	v_dual_mul_f32 v11, v3, v11 :: v_dual_fmac_f32 v24, v1, v8
	v_fma_f32 v145, v0, v8, -v9
	s_delay_alu instid0(VALU_DEP_4) | instskip(NEXT) | instid1(VALU_DEP_4)
	v_add_f32_e32 v20, v20, v202
	v_fmac_f32_e32 v144, v3, v10
	s_delay_alu instid0(VALU_DEP_4)
	v_fma_f32 v146, v2, v10, -v11
	s_clause 0x1
	scratch_load_b128 v[0:3], off, off offset:376
	scratch_load_b128 v[8:11], off, off offset:392
	v_add_f32_e32 v20, v20, v204
	v_add_f32_e32 v12, v12, v187
	s_delay_alu instid0(VALU_DEP_2) | instskip(NEXT) | instid1(VALU_DEP_2)
	v_add_f32_e32 v137, v20, v206
	v_add_f32_e32 v12, v12, v189
	s_delay_alu instid0(VALU_DEP_2) | instskip(NEXT) | instid1(VALU_DEP_2)
	;; [unrolled: 3-line block ×3, first 2 shown]
	v_add_f32_e32 v150, v140, v210
	v_add_f32_e32 v12, v12, v193
	ds_load_2addr_b64 v[140:143], v135 offset0:109 offset1:110
	v_dual_add_f32 v150, v150, v212 :: v_dual_add_f32 v17, v12, v195
	scratch_load_b128 v[12:15], off, off offset:408
	v_add_f32_e32 v145, v150, v145
	v_add_f32_e32 v21, v17, v197
	scratch_load_b128 v[16:19], off, off offset:424
	v_add_f32_e32 v21, v21, v199
	s_delay_alu instid0(VALU_DEP_1) | instskip(NEXT) | instid1(VALU_DEP_1)
	v_add_f32_e32 v21, v21, v201
	v_add_f32_e32 v136, v21, v203
	ds_load_2addr_b64 v[20:23], v135 offset0:105 offset1:106
	v_add_f32_e32 v136, v136, v205
	s_delay_alu instid0(VALU_DEP_1) | instskip(SKIP_2) | instid1(VALU_DEP_1)
	v_add_f32_e32 v147, v136, v207
	ds_load_2addr_b64 v[136:139], v135 offset0:107 offset1:108
	v_add_f32_e32 v135, v147, v209
	v_add_f32_e32 v135, v135, v211
	s_wait_loadcnt_dscnt 0x303
	s_delay_alu instid0(VALU_DEP_1)
	v_dual_add_f32 v24, v135, v24 :: v_dual_mul_f32 v147, v4, v1
	v_mul_f32_e32 v1, v5, v1
	v_mul_f32_e32 v151, v6, v3
	s_wait_loadcnt_dscnt 0x201
	v_dual_mul_f32 v3, v7, v3 :: v_dual_mul_f32 v150, v20, v9
	v_fmac_f32_e32 v147, v5, v0
	v_fma_f32 v0, v4, v0, -v1
	v_dual_add_f32 v4, v145, v146 :: v_dual_add_f32 v5, v24, v144
	v_fmac_f32_e32 v151, v7, v2
	v_fma_f32 v1, v6, v2, -v3
	s_delay_alu instid0(VALU_DEP_3) | instskip(NEXT) | instid1(VALU_DEP_4)
	v_dual_mul_f32 v7, v21, v9 :: v_dual_add_f32 v0, v4, v0
	v_add_f32_e32 v4, v5, v147
	v_mul_f32_e32 v135, v22, v11
	v_dual_mul_f32 v5, v23, v11 :: v_dual_fmac_f32 v150, v21, v8
	s_delay_alu instid0(VALU_DEP_4) | instskip(SKIP_4) | instid1(VALU_DEP_4)
	v_fma_f32 v7, v20, v8, -v7
	v_add_f32_e32 v0, v0, v1
	v_add_f32_e32 v1, v4, v151
	v_fmac_f32_e32 v135, v23, v10
	v_fma_f32 v5, v22, v10, -v5
	v_add_f32_e32 v0, v0, v7
	s_wait_loadcnt_dscnt 0x100
	v_mul_f32_e32 v2, v136, v13
	v_mul_f32_e32 v4, v137, v13
	v_add_f32_e32 v1, v1, v150
	v_mul_f32_e32 v3, v138, v15
	s_delay_alu instid0(VALU_DEP_4) | instskip(NEXT) | instid1(VALU_DEP_4)
	v_dual_mul_f32 v7, v139, v15 :: v_dual_fmac_f32 v2, v137, v12
	v_fma_f32 v4, v136, v12, -v4
	s_delay_alu instid0(VALU_DEP_4)
	v_dual_add_f32 v0, v0, v5 :: v_dual_add_f32 v1, v1, v135
	s_wait_loadcnt 0x0
	v_mul_f32_e32 v6, v140, v17
	v_mul_f32_e32 v5, v141, v17
	v_fmac_f32_e32 v3, v139, v14
	v_fma_f32 v7, v138, v14, -v7
	v_dual_add_f32 v0, v0, v4 :: v_dual_add_f32 v1, v1, v2
	v_mul_f32_e32 v9, v142, v19
	v_mul_f32_e32 v2, v143, v19
	v_fmac_f32_e32 v6, v141, v16
	v_fma_f32 v4, v140, v16, -v5
	v_add_f32_e32 v0, v0, v7
	v_add_f32_e32 v1, v1, v3
	v_fmac_f32_e32 v9, v143, v18
	v_fma_f32 v2, v142, v18, -v2
	s_delay_alu instid0(VALU_DEP_3) | instskip(NEXT) | instid1(VALU_DEP_1)
	v_dual_add_f32 v0, v0, v4 :: v_dual_add_f32 v1, v1, v6
	v_dual_add_f32 v0, v0, v2 :: v_dual_add_f32 v1, v1, v9
	s_delay_alu instid0(VALU_DEP_1)
	v_dual_sub_f32 v0, v148, v0 :: v_dual_sub_f32 v1, v149, v1
	scratch_store_b64 off, v[0:1], off
	s_wait_alu 0xfffe
	s_cbranch_vccz .LBB118_452
; %bb.344:
	v_mov_b32_e32 v0, 0
	global_load_b32 v1, v0, s[2:3] offset:212
	s_wait_loadcnt 0x0
	v_cmp_ne_u32_e32 vcc_lo, 54, v1
	s_cbranch_vccz .LBB118_346
; %bb.345:
	v_lshlrev_b32_e32 v1, 3, v1
	s_delay_alu instid0(VALU_DEP_1)
	v_mov_b32_e32 v5, v1
	scratch_load_b64 v[1:2], v5, off offset:-8
	scratch_load_b64 v[3:4], off, off offset:424
	s_wait_loadcnt 0x1
	scratch_store_b64 off, v[1:2], off offset:424
	s_wait_loadcnt 0x0
	scratch_store_b64 v5, v[3:4], off offset:-8
.LBB118_346:
	global_load_b32 v0, v0, s[2:3] offset:208
	s_wait_loadcnt 0x0
	v_cmp_eq_u32_e32 vcc_lo, 53, v0
	s_cbranch_vccnz .LBB118_348
; %bb.347:
	v_lshlrev_b32_e32 v0, 3, v0
	s_delay_alu instid0(VALU_DEP_1)
	v_mov_b32_e32 v4, v0
	scratch_load_b64 v[0:1], v4, off offset:-8
	scratch_load_b64 v[2:3], off, off offset:416
	s_wait_loadcnt 0x1
	scratch_store_b64 off, v[0:1], off offset:416
	s_wait_loadcnt 0x0
	scratch_store_b64 v4, v[2:3], off offset:-8
.LBB118_348:
	v_mov_b32_e32 v0, 0
	global_load_b32 v1, v0, s[2:3] offset:204
	s_wait_loadcnt 0x0
	v_cmp_eq_u32_e32 vcc_lo, 52, v1
	s_cbranch_vccnz .LBB118_350
; %bb.349:
	v_lshlrev_b32_e32 v1, 3, v1
	s_delay_alu instid0(VALU_DEP_1)
	v_mov_b32_e32 v5, v1
	scratch_load_b64 v[1:2], v5, off offset:-8
	scratch_load_b64 v[3:4], off, off offset:408
	s_wait_loadcnt 0x1
	scratch_store_b64 off, v[1:2], off offset:408
	s_wait_loadcnt 0x0
	scratch_store_b64 v5, v[3:4], off offset:-8
.LBB118_350:
	global_load_b32 v0, v0, s[2:3] offset:200
	s_wait_loadcnt 0x0
	v_cmp_eq_u32_e32 vcc_lo, 51, v0
	s_cbranch_vccnz .LBB118_352
; %bb.351:
	v_lshlrev_b32_e32 v0, 3, v0
	s_delay_alu instid0(VALU_DEP_1)
	v_mov_b32_e32 v4, v0
	scratch_load_b64 v[0:1], v4, off offset:-8
	scratch_load_b64 v[2:3], off, off offset:400
	s_wait_loadcnt 0x1
	scratch_store_b64 off, v[0:1], off offset:400
	s_wait_loadcnt 0x0
	scratch_store_b64 v4, v[2:3], off offset:-8
.LBB118_352:
	v_mov_b32_e32 v0, 0
	global_load_b32 v1, v0, s[2:3] offset:196
	s_wait_loadcnt 0x0
	v_cmp_eq_u32_e32 vcc_lo, 50, v1
	s_cbranch_vccnz .LBB118_354
; %bb.353:
	v_lshlrev_b32_e32 v1, 3, v1
	s_delay_alu instid0(VALU_DEP_1)
	v_mov_b32_e32 v5, v1
	scratch_load_b64 v[1:2], v5, off offset:-8
	scratch_load_b64 v[3:4], off, off offset:392
	s_wait_loadcnt 0x1
	scratch_store_b64 off, v[1:2], off offset:392
	s_wait_loadcnt 0x0
	scratch_store_b64 v5, v[3:4], off offset:-8
.LBB118_354:
	;; [unrolled: 31-line block ×26, first 2 shown]
	global_load_b32 v0, v0, s[2:3]
	s_wait_loadcnt 0x0
	v_cmp_eq_u32_e32 vcc_lo, 1, v0
	s_cbranch_vccnz .LBB118_452
; %bb.451:
	v_lshlrev_b32_e32 v0, 3, v0
	s_delay_alu instid0(VALU_DEP_1)
	v_mov_b32_e32 v4, v0
	scratch_load_b64 v[0:1], v4, off offset:-8
	scratch_load_b64 v[2:3], off, off
	s_wait_loadcnt 0x1
	scratch_store_b64 off, v[0:1], off
	s_wait_loadcnt 0x0
	scratch_store_b64 v4, v[2:3], off offset:-8
.LBB118_452:
	scratch_load_b64 v[0:1], off, off
	s_wait_loadcnt 0x0
	flat_store_b64 v[25:26], v[0:1]
	scratch_load_b64 v[0:1], off, off offset:8
	s_wait_loadcnt 0x0
	flat_store_b64 v[27:28], v[0:1]
	scratch_load_b64 v[0:1], off, off offset:16
	;; [unrolled: 3-line block ×54, first 2 shown]
	s_wait_loadcnt 0x0
	flat_store_b64 v[133:134], v[0:1]
	s_nop 0
	s_sendmsg sendmsg(MSG_DEALLOC_VGPRS)
	s_endpgm
	.section	.rodata,"a",@progbits
	.p2align	6, 0x0
	.amdhsa_kernel _ZN9rocsolver6v33100L18getri_kernel_smallILi55E19rocblas_complex_numIfEPKPS3_EEvT1_iilPiilS8_bb
		.amdhsa_group_segment_fixed_size 888
		.amdhsa_private_segment_fixed_size 448
		.amdhsa_kernarg_size 60
		.amdhsa_user_sgpr_count 2
		.amdhsa_user_sgpr_dispatch_ptr 0
		.amdhsa_user_sgpr_queue_ptr 0
		.amdhsa_user_sgpr_kernarg_segment_ptr 1
		.amdhsa_user_sgpr_dispatch_id 0
		.amdhsa_user_sgpr_private_segment_size 0
		.amdhsa_wavefront_size32 1
		.amdhsa_uses_dynamic_stack 0
		.amdhsa_enable_private_segment 1
		.amdhsa_system_sgpr_workgroup_id_x 1
		.amdhsa_system_sgpr_workgroup_id_y 0
		.amdhsa_system_sgpr_workgroup_id_z 0
		.amdhsa_system_sgpr_workgroup_info 0
		.amdhsa_system_vgpr_workitem_id 0
		.amdhsa_next_free_vgpr 254
		.amdhsa_next_free_sgpr 19
		.amdhsa_reserve_vcc 1
		.amdhsa_float_round_mode_32 0
		.amdhsa_float_round_mode_16_64 0
		.amdhsa_float_denorm_mode_32 3
		.amdhsa_float_denorm_mode_16_64 3
		.amdhsa_fp16_overflow 0
		.amdhsa_workgroup_processor_mode 1
		.amdhsa_memory_ordered 1
		.amdhsa_forward_progress 1
		.amdhsa_inst_pref_size 255
		.amdhsa_round_robin_scheduling 0
		.amdhsa_exception_fp_ieee_invalid_op 0
		.amdhsa_exception_fp_denorm_src 0
		.amdhsa_exception_fp_ieee_div_zero 0
		.amdhsa_exception_fp_ieee_overflow 0
		.amdhsa_exception_fp_ieee_underflow 0
		.amdhsa_exception_fp_ieee_inexact 0
		.amdhsa_exception_int_div_zero 0
	.end_amdhsa_kernel
	.section	.text._ZN9rocsolver6v33100L18getri_kernel_smallILi55E19rocblas_complex_numIfEPKPS3_EEvT1_iilPiilS8_bb,"axG",@progbits,_ZN9rocsolver6v33100L18getri_kernel_smallILi55E19rocblas_complex_numIfEPKPS3_EEvT1_iilPiilS8_bb,comdat
.Lfunc_end118:
	.size	_ZN9rocsolver6v33100L18getri_kernel_smallILi55E19rocblas_complex_numIfEPKPS3_EEvT1_iilPiilS8_bb, .Lfunc_end118-_ZN9rocsolver6v33100L18getri_kernel_smallILi55E19rocblas_complex_numIfEPKPS3_EEvT1_iilPiilS8_bb
                                        ; -- End function
	.set _ZN9rocsolver6v33100L18getri_kernel_smallILi55E19rocblas_complex_numIfEPKPS3_EEvT1_iilPiilS8_bb.num_vgpr, 254
	.set _ZN9rocsolver6v33100L18getri_kernel_smallILi55E19rocblas_complex_numIfEPKPS3_EEvT1_iilPiilS8_bb.num_agpr, 0
	.set _ZN9rocsolver6v33100L18getri_kernel_smallILi55E19rocblas_complex_numIfEPKPS3_EEvT1_iilPiilS8_bb.numbered_sgpr, 19
	.set _ZN9rocsolver6v33100L18getri_kernel_smallILi55E19rocblas_complex_numIfEPKPS3_EEvT1_iilPiilS8_bb.num_named_barrier, 0
	.set _ZN9rocsolver6v33100L18getri_kernel_smallILi55E19rocblas_complex_numIfEPKPS3_EEvT1_iilPiilS8_bb.private_seg_size, 448
	.set _ZN9rocsolver6v33100L18getri_kernel_smallILi55E19rocblas_complex_numIfEPKPS3_EEvT1_iilPiilS8_bb.uses_vcc, 1
	.set _ZN9rocsolver6v33100L18getri_kernel_smallILi55E19rocblas_complex_numIfEPKPS3_EEvT1_iilPiilS8_bb.uses_flat_scratch, 1
	.set _ZN9rocsolver6v33100L18getri_kernel_smallILi55E19rocblas_complex_numIfEPKPS3_EEvT1_iilPiilS8_bb.has_dyn_sized_stack, 0
	.set _ZN9rocsolver6v33100L18getri_kernel_smallILi55E19rocblas_complex_numIfEPKPS3_EEvT1_iilPiilS8_bb.has_recursion, 0
	.set _ZN9rocsolver6v33100L18getri_kernel_smallILi55E19rocblas_complex_numIfEPKPS3_EEvT1_iilPiilS8_bb.has_indirect_call, 0
	.section	.AMDGPU.csdata,"",@progbits
; Kernel info:
; codeLenInByte = 101396
; TotalNumSgprs: 21
; NumVgprs: 254
; ScratchSize: 448
; MemoryBound: 0
; FloatMode: 240
; IeeeMode: 1
; LDSByteSize: 888 bytes/workgroup (compile time only)
; SGPRBlocks: 0
; VGPRBlocks: 31
; NumSGPRsForWavesPerEU: 21
; NumVGPRsForWavesPerEU: 254
; Occupancy: 5
; WaveLimiterHint : 1
; COMPUTE_PGM_RSRC2:SCRATCH_EN: 1
; COMPUTE_PGM_RSRC2:USER_SGPR: 2
; COMPUTE_PGM_RSRC2:TRAP_HANDLER: 0
; COMPUTE_PGM_RSRC2:TGID_X_EN: 1
; COMPUTE_PGM_RSRC2:TGID_Y_EN: 0
; COMPUTE_PGM_RSRC2:TGID_Z_EN: 0
; COMPUTE_PGM_RSRC2:TIDIG_COMP_CNT: 0
	.section	.text._ZN9rocsolver6v33100L18getri_kernel_smallILi56E19rocblas_complex_numIfEPKPS3_EEvT1_iilPiilS8_bb,"axG",@progbits,_ZN9rocsolver6v33100L18getri_kernel_smallILi56E19rocblas_complex_numIfEPKPS3_EEvT1_iilPiilS8_bb,comdat
	.globl	_ZN9rocsolver6v33100L18getri_kernel_smallILi56E19rocblas_complex_numIfEPKPS3_EEvT1_iilPiilS8_bb ; -- Begin function _ZN9rocsolver6v33100L18getri_kernel_smallILi56E19rocblas_complex_numIfEPKPS3_EEvT1_iilPiilS8_bb
	.p2align	8
	.type	_ZN9rocsolver6v33100L18getri_kernel_smallILi56E19rocblas_complex_numIfEPKPS3_EEvT1_iilPiilS8_bb,@function
_ZN9rocsolver6v33100L18getri_kernel_smallILi56E19rocblas_complex_numIfEPKPS3_EEvT1_iilPiilS8_bb: ; @_ZN9rocsolver6v33100L18getri_kernel_smallILi56E19rocblas_complex_numIfEPKPS3_EEvT1_iilPiilS8_bb
; %bb.0:
	s_mov_b32 s2, exec_lo
	v_cmpx_gt_u32_e32 56, v0
	s_cbranch_execz .LBB119_238
; %bb.1:
	s_clause 0x1
	s_load_b32 s13, s[0:1], 0x38
	s_load_b64 s[2:3], s[0:1], 0x0
	s_mov_b32 s8, ttmp9
	s_load_b128 s[4:7], s[0:1], 0x28
	s_wait_kmcnt 0x0
	s_bitcmp1_b32 s13, 8
	s_cselect_b32 s12, -1, 0
	s_ashr_i32 s9, ttmp9, 31
	s_delay_alu instid0(SALU_CYCLE_1) | instskip(NEXT) | instid1(SALU_CYCLE_1)
	s_lshl_b64 s[10:11], s[8:9], 3
	s_add_nc_u64 s[2:3], s[2:3], s[10:11]
	s_load_b64 s[10:11], s[2:3], 0x0
	s_bfe_u32 s2, s13, 0x10008
	s_delay_alu instid0(SALU_CYCLE_1)
	s_cmp_eq_u32 s2, 0
                                        ; implicit-def: $sgpr2_sgpr3
	s_cbranch_scc1 .LBB119_3
; %bb.2:
	s_load_b96 s[16:18], s[0:1], 0x18
	s_mul_u64 s[2:3], s[4:5], s[8:9]
	s_delay_alu instid0(SALU_CYCLE_1)
	s_lshl_b64 s[2:3], s[2:3], 2
	s_wait_kmcnt 0x0
	s_ashr_i32 s5, s18, 31
	s_mov_b32 s4, s18
	s_add_nc_u64 s[2:3], s[16:17], s[2:3]
	s_lshl_b64 s[4:5], s[4:5], 2
	s_delay_alu instid0(SALU_CYCLE_1)
	s_add_nc_u64 s[2:3], s[2:3], s[4:5]
.LBB119_3:
	s_clause 0x1
	s_load_b64 s[4:5], s[0:1], 0x8
	s_load_b32 s13, s[0:1], 0x38
	v_lshlrev_b32_e32 v7, 3, v0
	s_wait_kmcnt 0x0
	s_ashr_i32 s1, s4, 31
	s_mov_b32 s0, s4
	v_add3_u32 v3, s5, s5, v0
	s_lshl_b64 s[0:1], s[0:1], 3
	s_delay_alu instid0(SALU_CYCLE_1)
	s_add_nc_u64 s[0:1], s[10:11], s[0:1]
	s_ashr_i32 s11, s5, 31
	v_add_co_u32 v32, s4, s0, v7
	s_wait_alu 0xf1ff
	v_add_co_ci_u32_e64 v33, null, s1, 0, s4
	s_mov_b32 s10, s5
	v_ashrrev_i32_e32 v4, 31, v3
	s_lshl_b64 s[10:11], s[10:11], 3
	flat_load_b64 v[1:2], v[32:33]
	v_add_co_u32 v34, vcc_lo, v32, s10
	s_delay_alu instid0(VALU_DEP_1) | instskip(SKIP_3) | instid1(VALU_DEP_2)
	v_add_co_ci_u32_e64 v35, null, s11, v33, vcc_lo
	v_lshlrev_b64_e32 v[4:5], 3, v[3:4]
	v_add_nc_u32_e32 v3, s5, v3
	s_bitcmp0_b32 s13, 0
	v_add_co_u32 v36, vcc_lo, s0, v4
	s_wait_alu 0xfffd
	s_delay_alu instid0(VALU_DEP_3) | instskip(SKIP_1) | instid1(VALU_DEP_1)
	v_add_co_ci_u32_e64 v37, null, s1, v5, vcc_lo
	v_ashrrev_i32_e32 v4, 31, v3
	v_lshlrev_b64_e32 v[4:5], 3, v[3:4]
	v_add_nc_u32_e32 v3, s5, v3
	s_delay_alu instid0(VALU_DEP_2) | instskip(SKIP_1) | instid1(VALU_DEP_3)
	v_add_co_u32 v38, vcc_lo, s0, v4
	s_wait_alu 0xfffd
	v_add_co_ci_u32_e64 v39, null, s1, v5, vcc_lo
	s_delay_alu instid0(VALU_DEP_3) | instskip(NEXT) | instid1(VALU_DEP_1)
	v_ashrrev_i32_e32 v4, 31, v3
	v_lshlrev_b64_e32 v[4:5], 3, v[3:4]
	v_add_nc_u32_e32 v3, s5, v3
	s_delay_alu instid0(VALU_DEP_2) | instskip(SKIP_1) | instid1(VALU_DEP_3)
	v_add_co_u32 v40, vcc_lo, s0, v4
	s_wait_alu 0xfffd
	v_add_co_ci_u32_e64 v41, null, s1, v5, vcc_lo
	s_delay_alu instid0(VALU_DEP_3) | instskip(NEXT) | instid1(VALU_DEP_1)
	;; [unrolled: 8-line block ×20, first 2 shown]
	v_ashrrev_i32_e32 v4, 31, v3
	v_lshlrev_b64_e32 v[4:5], 3, v[3:4]
	s_wait_loadcnt_dscnt 0x0
	scratch_store_b64 off, v[1:2], off
	flat_load_b64 v[1:2], v[34:35]
	v_add_nc_u32_e32 v3, s5, v3
	v_add_co_u32 v78, vcc_lo, s0, v4
	s_wait_alu 0xfffd
	v_add_co_ci_u32_e64 v79, null, s1, v5, vcc_lo
	s_delay_alu instid0(VALU_DEP_3) | instskip(NEXT) | instid1(VALU_DEP_1)
	v_ashrrev_i32_e32 v4, 31, v3
	v_lshlrev_b64_e32 v[4:5], 3, v[3:4]
	v_add_nc_u32_e32 v3, s5, v3
	s_delay_alu instid0(VALU_DEP_2) | instskip(SKIP_1) | instid1(VALU_DEP_3)
	v_add_co_u32 v80, vcc_lo, s0, v4
	s_wait_alu 0xfffd
	v_add_co_ci_u32_e64 v81, null, s1, v5, vcc_lo
	s_delay_alu instid0(VALU_DEP_3) | instskip(NEXT) | instid1(VALU_DEP_1)
	v_ashrrev_i32_e32 v4, 31, v3
	v_lshlrev_b64_e32 v[4:5], 3, v[3:4]
	v_add_nc_u32_e32 v3, s5, v3
	s_delay_alu instid0(VALU_DEP_2) | instskip(SKIP_1) | instid1(VALU_DEP_3)
	;; [unrolled: 8-line block ×20, first 2 shown]
	v_add_co_u32 v118, vcc_lo, s0, v4
	s_wait_alu 0xfffd
	v_add_co_ci_u32_e64 v119, null, s1, v5, vcc_lo
	s_delay_alu instid0(VALU_DEP_3) | instskip(NEXT) | instid1(VALU_DEP_1)
	v_ashrrev_i32_e32 v4, 31, v3
	v_lshlrev_b64_e32 v[4:5], 3, v[3:4]
	v_add_nc_u32_e32 v3, s5, v3
	s_delay_alu instid0(VALU_DEP_2)
	v_add_co_u32 v120, vcc_lo, s0, v4
	s_wait_loadcnt_dscnt 0x0
	scratch_store_b64 off, v[1:2], off offset:8
	flat_load_b64 v[1:2], v[36:37]
	s_wait_alu 0xfffd
	v_add_co_ci_u32_e64 v121, null, s1, v5, vcc_lo
	v_ashrrev_i32_e32 v4, 31, v3
	s_delay_alu instid0(VALU_DEP_1) | instskip(SKIP_1) | instid1(VALU_DEP_2)
	v_lshlrev_b64_e32 v[4:5], 3, v[3:4]
	v_add_nc_u32_e32 v3, s5, v3
	v_add_co_u32 v122, vcc_lo, s0, v4
	s_wait_alu 0xfffd
	s_delay_alu instid0(VALU_DEP_3) | instskip(NEXT) | instid1(VALU_DEP_3)
	v_add_co_ci_u32_e64 v123, null, s1, v5, vcc_lo
	v_ashrrev_i32_e32 v4, 31, v3
	s_delay_alu instid0(VALU_DEP_1) | instskip(SKIP_1) | instid1(VALU_DEP_2)
	v_lshlrev_b64_e32 v[4:5], 3, v[3:4]
	v_add_nc_u32_e32 v3, s5, v3
	v_add_co_u32 v124, vcc_lo, s0, v4
	s_wait_alu 0xfffd
	s_delay_alu instid0(VALU_DEP_3) | instskip(NEXT) | instid1(VALU_DEP_3)
	v_add_co_ci_u32_e64 v125, null, s1, v5, vcc_lo
	v_ashrrev_i32_e32 v4, 31, v3
	s_delay_alu instid0(VALU_DEP_1) | instskip(SKIP_1) | instid1(VALU_DEP_2)
	v_lshlrev_b64_e32 v[4:5], 3, v[3:4]
	v_add_nc_u32_e32 v3, s5, v3
	v_add_co_u32 v126, vcc_lo, s0, v4
	s_wait_alu 0xfffd
	s_delay_alu instid0(VALU_DEP_3) | instskip(NEXT) | instid1(VALU_DEP_3)
	v_add_co_ci_u32_e64 v127, null, s1, v5, vcc_lo
	v_ashrrev_i32_e32 v4, 31, v3
	s_delay_alu instid0(VALU_DEP_1) | instskip(SKIP_1) | instid1(VALU_DEP_2)
	v_lshlrev_b64_e32 v[4:5], 3, v[3:4]
	v_add_nc_u32_e32 v3, s5, v3
	v_add_co_u32 v128, vcc_lo, s0, v4
	s_wait_alu 0xfffd
	s_delay_alu instid0(VALU_DEP_3) | instskip(NEXT) | instid1(VALU_DEP_3)
	v_add_co_ci_u32_e64 v129, null, s1, v5, vcc_lo
	v_ashrrev_i32_e32 v4, 31, v3
	s_delay_alu instid0(VALU_DEP_1) | instskip(SKIP_1) | instid1(VALU_DEP_2)
	v_lshlrev_b64_e32 v[4:5], 3, v[3:4]
	v_add_nc_u32_e32 v3, s5, v3
	v_add_co_u32 v130, vcc_lo, s0, v4
	s_wait_alu 0xfffd
	s_delay_alu instid0(VALU_DEP_3) | instskip(NEXT) | instid1(VALU_DEP_3)
	v_add_co_ci_u32_e64 v131, null, s1, v5, vcc_lo
	v_ashrrev_i32_e32 v4, 31, v3
	s_delay_alu instid0(VALU_DEP_1) | instskip(SKIP_1) | instid1(VALU_DEP_2)
	v_lshlrev_b64_e32 v[4:5], 3, v[3:4]
	v_add_nc_u32_e32 v3, s5, v3
	v_add_co_u32 v132, vcc_lo, s0, v4
	s_wait_alu 0xfffd
	s_delay_alu instid0(VALU_DEP_3) | instskip(NEXT) | instid1(VALU_DEP_3)
	v_add_co_ci_u32_e64 v133, null, s1, v5, vcc_lo
	v_ashrrev_i32_e32 v4, 31, v3
	s_delay_alu instid0(VALU_DEP_1) | instskip(SKIP_1) | instid1(VALU_DEP_2)
	v_lshlrev_b64_e32 v[4:5], 3, v[3:4]
	v_add_nc_u32_e32 v3, s5, v3
	v_add_co_u32 v134, vcc_lo, s0, v4
	s_wait_alu 0xfffd
	s_delay_alu instid0(VALU_DEP_3) | instskip(NEXT) | instid1(VALU_DEP_3)
	v_add_co_ci_u32_e64 v135, null, s1, v5, vcc_lo
	v_ashrrev_i32_e32 v4, 31, v3
	s_delay_alu instid0(VALU_DEP_1) | instskip(SKIP_1) | instid1(VALU_DEP_2)
	v_lshlrev_b64_e32 v[4:5], 3, v[3:4]
	v_add_nc_u32_e32 v3, s5, v3
	v_add_co_u32 v136, vcc_lo, s0, v4
	s_wait_alu 0xfffd
	s_delay_alu instid0(VALU_DEP_3) | instskip(NEXT) | instid1(VALU_DEP_3)
	v_add_co_ci_u32_e64 v137, null, s1, v5, vcc_lo
	v_ashrrev_i32_e32 v4, 31, v3
	s_delay_alu instid0(VALU_DEP_1) | instskip(SKIP_1) | instid1(VALU_DEP_2)
	v_lshlrev_b64_e32 v[4:5], 3, v[3:4]
	v_add_nc_u32_e32 v3, s5, v3
	v_add_co_u32 v138, vcc_lo, s0, v4
	s_wait_alu 0xfffd
	s_delay_alu instid0(VALU_DEP_3) | instskip(NEXT) | instid1(VALU_DEP_3)
	v_add_co_ci_u32_e64 v139, null, s1, v5, vcc_lo
	v_ashrrev_i32_e32 v4, 31, v3
	s_delay_alu instid0(VALU_DEP_1) | instskip(SKIP_1) | instid1(VALU_DEP_2)
	v_lshlrev_b64_e32 v[4:5], 3, v[3:4]
	v_add_nc_u32_e32 v3, s5, v3
	v_add_co_u32 v140, vcc_lo, s0, v4
	s_wait_alu 0xfffd
	s_delay_alu instid0(VALU_DEP_3) | instskip(NEXT) | instid1(VALU_DEP_3)
	v_add_co_ci_u32_e64 v141, null, s1, v5, vcc_lo
	v_ashrrev_i32_e32 v4, 31, v3
	s_delay_alu instid0(VALU_DEP_1) | instskip(NEXT) | instid1(VALU_DEP_1)
	v_lshlrev_b64_e32 v[3:4], 3, v[3:4]
	v_add_co_u32 v142, vcc_lo, s0, v3
	s_wait_alu 0xfffd
	s_delay_alu instid0(VALU_DEP_2)
	v_add_co_ci_u32_e64 v143, null, s1, v4, vcc_lo
	s_mov_b32 s1, -1
	s_wait_loadcnt_dscnt 0x0
	scratch_store_b64 off, v[1:2], off offset:16
	flat_load_b64 v[1:2], v[38:39]
	s_wait_loadcnt_dscnt 0x0
	scratch_store_b64 off, v[1:2], off offset:24
	flat_load_b64 v[1:2], v[40:41]
	;; [unrolled: 3-line block ×53, first 2 shown]
	s_wait_loadcnt_dscnt 0x0
	scratch_store_b64 off, v[1:2], off offset:440
	s_cbranch_scc1 .LBB119_236
; %bb.4:
	v_cmp_eq_u32_e64 s0, 0, v0
	s_and_saveexec_b32 s1, s0
; %bb.5:
	v_mov_b32_e32 v1, 0
	ds_store_b32 v1, v1 offset:896
; %bb.6:
	s_wait_alu 0xfffe
	s_or_b32 exec_lo, exec_lo, s1
	s_wait_storecnt_dscnt 0x0
	s_barrier_signal -1
	s_barrier_wait -1
	global_inv scope:SCOPE_SE
	scratch_load_b64 v[1:2], v7, off
	s_wait_loadcnt 0x0
	v_cmp_eq_f32_e32 vcc_lo, 0, v1
	v_cmp_eq_f32_e64 s1, 0, v2
	s_and_b32 s1, vcc_lo, s1
	s_wait_alu 0xfffe
	s_and_saveexec_b32 s4, s1
	s_cbranch_execz .LBB119_10
; %bb.7:
	v_mov_b32_e32 v1, 0
	s_mov_b32 s5, 0
	ds_load_b32 v2, v1 offset:896
	s_wait_dscnt 0x0
	v_readfirstlane_b32 s1, v2
	v_add_nc_u32_e32 v2, 1, v0
	s_cmp_eq_u32 s1, 0
	s_delay_alu instid0(VALU_DEP_1)
	v_cmp_gt_i32_e32 vcc_lo, s1, v2
	s_cselect_b32 s10, -1, 0
	s_wait_alu 0xfffe
	s_or_b32 s10, s10, vcc_lo
	s_wait_alu 0xfffe
	s_and_b32 exec_lo, exec_lo, s10
	s_cbranch_execz .LBB119_10
; %bb.8:
	v_mov_b32_e32 v3, s1
.LBB119_9:                              ; =>This Inner Loop Header: Depth=1
	ds_cmpstore_rtn_b32 v3, v1, v2, v3 offset:896
	s_wait_dscnt 0x0
	v_cmp_ne_u32_e32 vcc_lo, 0, v3
	v_cmp_le_i32_e64 s1, v3, v2
	s_and_b32 s1, vcc_lo, s1
	s_wait_alu 0xfffe
	s_and_b32 s1, exec_lo, s1
	s_wait_alu 0xfffe
	s_or_b32 s5, s1, s5
	s_wait_alu 0xfffe
	s_and_not1_b32 exec_lo, exec_lo, s5
	s_cbranch_execnz .LBB119_9
.LBB119_10:
	s_wait_alu 0xfffe
	s_or_b32 exec_lo, exec_lo, s4
	v_mov_b32_e32 v1, 0
	s_barrier_signal -1
	s_barrier_wait -1
	global_inv scope:SCOPE_SE
	ds_load_b32 v2, v1 offset:896
	s_and_saveexec_b32 s1, s0
	s_cbranch_execz .LBB119_12
; %bb.11:
	s_lshl_b64 s[4:5], s[8:9], 2
	s_wait_alu 0xfffe
	s_add_nc_u64 s[4:5], s[6:7], s[4:5]
	s_wait_dscnt 0x0
	global_store_b32 v1, v2, s[4:5]
.LBB119_12:
	s_wait_alu 0xfffe
	s_or_b32 exec_lo, exec_lo, s1
	s_wait_dscnt 0x0
	v_cmp_ne_u32_e32 vcc_lo, 0, v2
	s_mov_b32 s1, 0
	s_cbranch_vccnz .LBB119_236
; %bb.13:
	v_mov_b32_e32 v8, v7
                                        ; implicit-def: $vgpr3
                                        ; implicit-def: $vgpr5
	scratch_load_b64 v[1:2], v8, off
	s_wait_loadcnt 0x0
	v_cmp_ngt_f32_e64 s1, |v1|, |v2|
	s_wait_alu 0xfffe
	s_and_saveexec_b32 s4, s1
	s_wait_alu 0xfffe
	s_xor_b32 s1, exec_lo, s4
	s_cbranch_execz .LBB119_15
; %bb.14:
	v_div_scale_f32 v3, null, v2, v2, v1
	v_div_scale_f32 v6, vcc_lo, v1, v2, v1
	s_delay_alu instid0(VALU_DEP_2) | instskip(NEXT) | instid1(TRANS32_DEP_1)
	v_rcp_f32_e32 v4, v3
	v_fma_f32 v5, -v3, v4, 1.0
	s_delay_alu instid0(VALU_DEP_1) | instskip(NEXT) | instid1(VALU_DEP_1)
	v_fmac_f32_e32 v4, v5, v4
	v_mul_f32_e32 v5, v6, v4
	s_delay_alu instid0(VALU_DEP_1) | instskip(NEXT) | instid1(VALU_DEP_1)
	v_fma_f32 v9, -v3, v5, v6
	v_fmac_f32_e32 v5, v9, v4
	s_delay_alu instid0(VALU_DEP_1) | instskip(SKIP_1) | instid1(VALU_DEP_1)
	v_fma_f32 v3, -v3, v5, v6
	s_wait_alu 0xfffd
	v_div_fmas_f32 v3, v3, v4, v5
	s_delay_alu instid0(VALU_DEP_1) | instskip(NEXT) | instid1(VALU_DEP_1)
	v_div_fixup_f32 v3, v3, v2, v1
	v_fmac_f32_e32 v2, v1, v3
	s_delay_alu instid0(VALU_DEP_1) | instskip(NEXT) | instid1(VALU_DEP_1)
	v_div_scale_f32 v1, null, v2, v2, 1.0
	v_rcp_f32_e32 v4, v1
	s_delay_alu instid0(TRANS32_DEP_1) | instskip(NEXT) | instid1(VALU_DEP_1)
	v_fma_f32 v5, -v1, v4, 1.0
	v_fmac_f32_e32 v4, v5, v4
	v_div_scale_f32 v5, vcc_lo, 1.0, v2, 1.0
	s_delay_alu instid0(VALU_DEP_1) | instskip(NEXT) | instid1(VALU_DEP_1)
	v_mul_f32_e32 v6, v5, v4
	v_fma_f32 v9, -v1, v6, v5
	s_delay_alu instid0(VALU_DEP_1) | instskip(NEXT) | instid1(VALU_DEP_1)
	v_fmac_f32_e32 v6, v9, v4
	v_fma_f32 v1, -v1, v6, v5
	s_wait_alu 0xfffd
	s_delay_alu instid0(VALU_DEP_1) | instskip(NEXT) | instid1(VALU_DEP_1)
	v_div_fmas_f32 v1, v1, v4, v6
	v_div_fixup_f32 v1, v1, v2, 1.0
	s_delay_alu instid0(VALU_DEP_1) | instskip(SKIP_1) | instid1(VALU_DEP_2)
	v_mul_f32_e32 v3, v3, v1
	v_xor_b32_e32 v4, 0x80000000, v1
                                        ; implicit-def: $vgpr1_vgpr2
	v_xor_b32_e32 v5, 0x80000000, v3
.LBB119_15:
	s_wait_alu 0xfffe
	s_and_not1_saveexec_b32 s1, s1
	s_cbranch_execz .LBB119_17
; %bb.16:
	v_div_scale_f32 v3, null, v1, v1, v2
	v_div_scale_f32 v6, vcc_lo, v2, v1, v2
	s_delay_alu instid0(VALU_DEP_2) | instskip(NEXT) | instid1(TRANS32_DEP_1)
	v_rcp_f32_e32 v4, v3
	v_fma_f32 v5, -v3, v4, 1.0
	s_delay_alu instid0(VALU_DEP_1) | instskip(NEXT) | instid1(VALU_DEP_1)
	v_fmac_f32_e32 v4, v5, v4
	v_mul_f32_e32 v5, v6, v4
	s_delay_alu instid0(VALU_DEP_1) | instskip(NEXT) | instid1(VALU_DEP_1)
	v_fma_f32 v9, -v3, v5, v6
	v_fmac_f32_e32 v5, v9, v4
	s_delay_alu instid0(VALU_DEP_1) | instskip(SKIP_1) | instid1(VALU_DEP_1)
	v_fma_f32 v3, -v3, v5, v6
	s_wait_alu 0xfffd
	v_div_fmas_f32 v3, v3, v4, v5
	s_delay_alu instid0(VALU_DEP_1) | instskip(NEXT) | instid1(VALU_DEP_1)
	v_div_fixup_f32 v4, v3, v1, v2
	v_fmac_f32_e32 v1, v2, v4
	s_delay_alu instid0(VALU_DEP_1) | instskip(SKIP_1) | instid1(VALU_DEP_2)
	v_div_scale_f32 v2, null, v1, v1, 1.0
	v_div_scale_f32 v6, vcc_lo, 1.0, v1, 1.0
	v_rcp_f32_e32 v3, v2
	s_delay_alu instid0(TRANS32_DEP_1) | instskip(NEXT) | instid1(VALU_DEP_1)
	v_fma_f32 v5, -v2, v3, 1.0
	v_fmac_f32_e32 v3, v5, v3
	s_delay_alu instid0(VALU_DEP_1) | instskip(NEXT) | instid1(VALU_DEP_1)
	v_mul_f32_e32 v5, v6, v3
	v_fma_f32 v9, -v2, v5, v6
	s_delay_alu instid0(VALU_DEP_1) | instskip(NEXT) | instid1(VALU_DEP_1)
	v_fmac_f32_e32 v5, v9, v3
	v_fma_f32 v2, -v2, v5, v6
	s_wait_alu 0xfffd
	s_delay_alu instid0(VALU_DEP_1) | instskip(NEXT) | instid1(VALU_DEP_1)
	v_div_fmas_f32 v2, v2, v3, v5
	v_div_fixup_f32 v3, v2, v1, 1.0
	s_delay_alu instid0(VALU_DEP_1)
	v_xor_b32_e32 v5, 0x80000000, v3
	v_mul_f32_e64 v4, v4, -v3
.LBB119_17:
	s_wait_alu 0xfffe
	s_or_b32 exec_lo, exec_lo, s1
	scratch_store_b64 v8, v[3:4], off
	scratch_load_b64 v[2:3], off, off offset:8
	v_xor_b32_e32 v6, 0x80000000, v4
	v_add_nc_u32_e32 v1, 0x1c0, v7
	s_wait_loadcnt 0x0
	ds_store_2addr_b64 v7, v[5:6], v[2:3] offset1:56
	s_wait_storecnt_dscnt 0x0
	s_barrier_signal -1
	s_barrier_wait -1
	global_inv scope:SCOPE_SE
	s_and_saveexec_b32 s1, s0
	s_cbranch_execz .LBB119_19
; %bb.18:
	scratch_load_b64 v[2:3], v8, off
	ds_load_b64 v[4:5], v1
	v_mov_b32_e32 v6, 0
	ds_load_b64 v[9:10], v6 offset:8
	s_wait_loadcnt_dscnt 0x1
	v_mul_f32_e32 v6, v4, v3
	v_mul_f32_e32 v3, v5, v3
	s_delay_alu instid0(VALU_DEP_2) | instskip(NEXT) | instid1(VALU_DEP_2)
	v_fmac_f32_e32 v6, v5, v2
	v_fma_f32 v2, v4, v2, -v3
	s_delay_alu instid0(VALU_DEP_2) | instskip(NEXT) | instid1(VALU_DEP_2)
	v_add_f32_e32 v4, 0, v6
	v_add_f32_e32 v2, 0, v2
	s_wait_dscnt 0x0
	s_delay_alu instid0(VALU_DEP_2) | instskip(NEXT) | instid1(VALU_DEP_2)
	v_mul_f32_e32 v5, v4, v10
	v_mul_f32_e32 v3, v2, v10
	s_delay_alu instid0(VALU_DEP_2) | instskip(NEXT) | instid1(VALU_DEP_2)
	v_fma_f32 v2, v2, v9, -v5
	v_fmac_f32_e32 v3, v4, v9
	scratch_store_b64 off, v[2:3], off offset:8
.LBB119_19:
	s_wait_alu 0xfffe
	s_or_b32 exec_lo, exec_lo, s1
	s_wait_loadcnt 0x0
	s_wait_storecnt 0x0
	s_barrier_signal -1
	s_barrier_wait -1
	global_inv scope:SCOPE_SE
	scratch_load_b64 v[2:3], off, off offset:16
	s_mov_b32 s1, exec_lo
	s_wait_loadcnt 0x0
	ds_store_b64 v1, v[2:3]
	s_wait_dscnt 0x0
	s_barrier_signal -1
	s_barrier_wait -1
	global_inv scope:SCOPE_SE
	v_cmpx_gt_u32_e32 2, v0
	s_cbranch_execz .LBB119_23
; %bb.20:
	scratch_load_b64 v[2:3], v8, off
	ds_load_b64 v[4:5], v1
	s_wait_loadcnt_dscnt 0x0
	v_mul_f32_e32 v6, v5, v3
	v_mul_f32_e32 v9, v4, v3
	s_delay_alu instid0(VALU_DEP_2) | instskip(NEXT) | instid1(VALU_DEP_2)
	v_fma_f32 v3, v4, v2, -v6
	v_fmac_f32_e32 v9, v5, v2
	s_delay_alu instid0(VALU_DEP_1)
	v_dual_add_f32 v3, 0, v3 :: v_dual_add_f32 v2, 0, v9
	s_and_saveexec_b32 s4, s0
	s_cbranch_execz .LBB119_22
; %bb.21:
	scratch_load_b64 v[4:5], off, off offset:8
	v_mov_b32_e32 v6, 0
	ds_load_b64 v[9:10], v6 offset:456
	s_wait_loadcnt_dscnt 0x0
	v_mul_f32_e32 v6, v9, v5
	v_mul_f32_e32 v5, v10, v5
	s_delay_alu instid0(VALU_DEP_2) | instskip(NEXT) | instid1(VALU_DEP_2)
	v_fmac_f32_e32 v6, v10, v4
	v_fma_f32 v4, v9, v4, -v5
	s_delay_alu instid0(VALU_DEP_1)
	v_dual_add_f32 v2, v2, v6 :: v_dual_add_f32 v3, v3, v4
.LBB119_22:
	s_wait_alu 0xfffe
	s_or_b32 exec_lo, exec_lo, s4
	v_mov_b32_e32 v4, 0
	ds_load_b64 v[4:5], v4 offset:16
	s_wait_dscnt 0x0
	v_mul_f32_e32 v9, v2, v5
	v_mul_f32_e32 v6, v3, v5
	s_delay_alu instid0(VALU_DEP_2) | instskip(NEXT) | instid1(VALU_DEP_2)
	v_fma_f32 v5, v3, v4, -v9
	v_fmac_f32_e32 v6, v2, v4
	scratch_store_b64 off, v[5:6], off offset:16
.LBB119_23:
	s_wait_alu 0xfffe
	s_or_b32 exec_lo, exec_lo, s1
	s_wait_loadcnt 0x0
	s_wait_storecnt 0x0
	s_barrier_signal -1
	s_barrier_wait -1
	global_inv scope:SCOPE_SE
	scratch_load_b64 v[3:4], off, off offset:24
	v_add_nc_u32_e32 v2, -1, v0
	s_mov_b32 s0, exec_lo
	s_wait_loadcnt 0x0
	ds_store_b64 v1, v[3:4]
	s_wait_dscnt 0x0
	s_barrier_signal -1
	s_barrier_wait -1
	global_inv scope:SCOPE_SE
	v_cmpx_gt_u32_e32 3, v0
	s_cbranch_execz .LBB119_27
; %bb.24:
	v_dual_mov_b32 v3, 0 :: v_dual_add_nc_u32 v4, -1, v0
	v_dual_mov_b32 v6, v7 :: v_dual_add_nc_u32 v5, 0x1c0, v7
	v_mov_b32_e32 v9, 0
	s_mov_b32 s1, 0
.LBB119_25:                             ; =>This Inner Loop Header: Depth=1
	scratch_load_b64 v[10:11], v6, off
	ds_load_b64 v[12:13], v5
	v_add_nc_u32_e32 v4, 1, v4
	v_add_nc_u32_e32 v5, 8, v5
	s_delay_alu instid0(VALU_DEP_2)
	v_cmp_lt_u32_e32 vcc_lo, 1, v4
	s_wait_alu 0xfffe
	s_or_b32 s1, vcc_lo, s1
	s_wait_loadcnt_dscnt 0x0
	v_mul_f32_e32 v14, v13, v11
	v_mul_f32_e32 v11, v12, v11
	s_delay_alu instid0(VALU_DEP_2) | instskip(NEXT) | instid1(VALU_DEP_2)
	v_fma_f32 v12, v12, v10, -v14
	v_fmac_f32_e32 v11, v13, v10
	s_delay_alu instid0(VALU_DEP_2) | instskip(NEXT) | instid1(VALU_DEP_2)
	v_dual_add_f32 v9, v9, v12 :: v_dual_add_nc_u32 v6, 8, v6
	v_add_f32_e32 v3, v3, v11
	s_wait_alu 0xfffe
	s_and_not1_b32 exec_lo, exec_lo, s1
	s_cbranch_execnz .LBB119_25
; %bb.26:
	s_or_b32 exec_lo, exec_lo, s1
	v_mov_b32_e32 v4, 0
	ds_load_b64 v[4:5], v4 offset:24
	s_wait_dscnt 0x0
	v_mul_f32_e32 v10, v3, v5
	v_mul_f32_e32 v6, v9, v5
	s_delay_alu instid0(VALU_DEP_2) | instskip(NEXT) | instid1(VALU_DEP_2)
	v_fma_f32 v5, v9, v4, -v10
	v_fmac_f32_e32 v6, v3, v4
	scratch_store_b64 off, v[5:6], off offset:24
.LBB119_27:
	s_wait_alu 0xfffe
	s_or_b32 exec_lo, exec_lo, s0
	s_wait_loadcnt 0x0
	s_wait_storecnt 0x0
	s_barrier_signal -1
	s_barrier_wait -1
	global_inv scope:SCOPE_SE
	scratch_load_b64 v[3:4], off, off offset:32
	s_mov_b32 s0, exec_lo
	s_wait_loadcnt 0x0
	ds_store_b64 v1, v[3:4]
	s_wait_dscnt 0x0
	s_barrier_signal -1
	s_barrier_wait -1
	global_inv scope:SCOPE_SE
	v_cmpx_gt_u32_e32 4, v0
	s_cbranch_execz .LBB119_31
; %bb.28:
	v_dual_mov_b32 v3, 0 :: v_dual_add_nc_u32 v4, -1, v0
	v_dual_mov_b32 v6, v7 :: v_dual_add_nc_u32 v5, 0x1c0, v7
	v_mov_b32_e32 v9, 0
	s_mov_b32 s1, 0
.LBB119_29:                             ; =>This Inner Loop Header: Depth=1
	scratch_load_b64 v[10:11], v6, off
	ds_load_b64 v[12:13], v5
	v_add_nc_u32_e32 v4, 1, v4
	v_add_nc_u32_e32 v5, 8, v5
	s_delay_alu instid0(VALU_DEP_2)
	v_cmp_lt_u32_e32 vcc_lo, 2, v4
	s_wait_alu 0xfffe
	s_or_b32 s1, vcc_lo, s1
	s_wait_loadcnt_dscnt 0x0
	v_mul_f32_e32 v14, v13, v11
	v_mul_f32_e32 v11, v12, v11
	s_delay_alu instid0(VALU_DEP_2) | instskip(NEXT) | instid1(VALU_DEP_2)
	v_fma_f32 v12, v12, v10, -v14
	v_fmac_f32_e32 v11, v13, v10
	s_delay_alu instid0(VALU_DEP_2) | instskip(NEXT) | instid1(VALU_DEP_2)
	v_dual_add_f32 v9, v9, v12 :: v_dual_add_nc_u32 v6, 8, v6
	v_add_f32_e32 v3, v3, v11
	s_wait_alu 0xfffe
	s_and_not1_b32 exec_lo, exec_lo, s1
	s_cbranch_execnz .LBB119_29
; %bb.30:
	s_or_b32 exec_lo, exec_lo, s1
	v_mov_b32_e32 v4, 0
	ds_load_b64 v[4:5], v4 offset:32
	s_wait_dscnt 0x0
	v_mul_f32_e32 v10, v3, v5
	v_mul_f32_e32 v6, v9, v5
	s_delay_alu instid0(VALU_DEP_2) | instskip(NEXT) | instid1(VALU_DEP_2)
	v_fma_f32 v5, v9, v4, -v10
	v_fmac_f32_e32 v6, v3, v4
	scratch_store_b64 off, v[5:6], off offset:32
.LBB119_31:
	s_wait_alu 0xfffe
	s_or_b32 exec_lo, exec_lo, s0
	s_wait_loadcnt 0x0
	s_wait_storecnt 0x0
	s_barrier_signal -1
	s_barrier_wait -1
	global_inv scope:SCOPE_SE
	scratch_load_b64 v[3:4], off, off offset:40
	;; [unrolled: 55-line block ×19, first 2 shown]
	s_mov_b32 s0, exec_lo
	s_wait_loadcnt 0x0
	ds_store_b64 v1, v[3:4]
	s_wait_dscnt 0x0
	s_barrier_signal -1
	s_barrier_wait -1
	global_inv scope:SCOPE_SE
	v_cmpx_gt_u32_e32 22, v0
	s_cbranch_execz .LBB119_103
; %bb.100:
	v_dual_mov_b32 v3, 0 :: v_dual_add_nc_u32 v4, -1, v0
	v_dual_mov_b32 v6, v7 :: v_dual_add_nc_u32 v5, 0x1c0, v7
	v_mov_b32_e32 v9, 0
	s_mov_b32 s1, 0
.LBB119_101:                            ; =>This Inner Loop Header: Depth=1
	scratch_load_b64 v[10:11], v6, off
	ds_load_b64 v[12:13], v5
	v_add_nc_u32_e32 v4, 1, v4
	v_add_nc_u32_e32 v5, 8, v5
	s_delay_alu instid0(VALU_DEP_2)
	v_cmp_lt_u32_e32 vcc_lo, 20, v4
	s_wait_alu 0xfffe
	s_or_b32 s1, vcc_lo, s1
	s_wait_loadcnt_dscnt 0x0
	v_mul_f32_e32 v14, v13, v11
	v_mul_f32_e32 v11, v12, v11
	s_delay_alu instid0(VALU_DEP_2) | instskip(NEXT) | instid1(VALU_DEP_2)
	v_fma_f32 v12, v12, v10, -v14
	v_fmac_f32_e32 v11, v13, v10
	s_delay_alu instid0(VALU_DEP_2) | instskip(NEXT) | instid1(VALU_DEP_2)
	v_dual_add_f32 v9, v9, v12 :: v_dual_add_nc_u32 v6, 8, v6
	v_add_f32_e32 v3, v3, v11
	s_wait_alu 0xfffe
	s_and_not1_b32 exec_lo, exec_lo, s1
	s_cbranch_execnz .LBB119_101
; %bb.102:
	s_or_b32 exec_lo, exec_lo, s1
	v_mov_b32_e32 v4, 0
	ds_load_b64 v[4:5], v4 offset:176
	s_wait_dscnt 0x0
	v_mul_f32_e32 v10, v3, v5
	v_mul_f32_e32 v6, v9, v5
	s_delay_alu instid0(VALU_DEP_2) | instskip(NEXT) | instid1(VALU_DEP_2)
	v_fma_f32 v5, v9, v4, -v10
	v_fmac_f32_e32 v6, v3, v4
	scratch_store_b64 off, v[5:6], off offset:176
.LBB119_103:
	s_wait_alu 0xfffe
	s_or_b32 exec_lo, exec_lo, s0
	s_wait_loadcnt 0x0
	s_wait_storecnt 0x0
	s_barrier_signal -1
	s_barrier_wait -1
	global_inv scope:SCOPE_SE
	scratch_load_b64 v[3:4], off, off offset:184
	s_mov_b32 s0, exec_lo
	s_wait_loadcnt 0x0
	ds_store_b64 v1, v[3:4]
	s_wait_dscnt 0x0
	s_barrier_signal -1
	s_barrier_wait -1
	global_inv scope:SCOPE_SE
	v_cmpx_gt_u32_e32 23, v0
	s_cbranch_execz .LBB119_107
; %bb.104:
	v_dual_mov_b32 v3, 0 :: v_dual_add_nc_u32 v4, -1, v0
	v_dual_mov_b32 v6, v7 :: v_dual_add_nc_u32 v5, 0x1c0, v7
	v_mov_b32_e32 v9, 0
	s_mov_b32 s1, 0
.LBB119_105:                            ; =>This Inner Loop Header: Depth=1
	scratch_load_b64 v[10:11], v6, off
	ds_load_b64 v[12:13], v5
	v_add_nc_u32_e32 v4, 1, v4
	v_add_nc_u32_e32 v5, 8, v5
	s_delay_alu instid0(VALU_DEP_2)
	v_cmp_lt_u32_e32 vcc_lo, 21, v4
	s_wait_alu 0xfffe
	s_or_b32 s1, vcc_lo, s1
	s_wait_loadcnt_dscnt 0x0
	v_mul_f32_e32 v14, v13, v11
	v_mul_f32_e32 v11, v12, v11
	s_delay_alu instid0(VALU_DEP_2) | instskip(NEXT) | instid1(VALU_DEP_2)
	v_fma_f32 v12, v12, v10, -v14
	v_fmac_f32_e32 v11, v13, v10
	s_delay_alu instid0(VALU_DEP_2) | instskip(NEXT) | instid1(VALU_DEP_2)
	v_dual_add_f32 v9, v9, v12 :: v_dual_add_nc_u32 v6, 8, v6
	v_add_f32_e32 v3, v3, v11
	s_wait_alu 0xfffe
	s_and_not1_b32 exec_lo, exec_lo, s1
	s_cbranch_execnz .LBB119_105
; %bb.106:
	s_or_b32 exec_lo, exec_lo, s1
	v_mov_b32_e32 v4, 0
	ds_load_b64 v[4:5], v4 offset:184
	s_wait_dscnt 0x0
	v_mul_f32_e32 v10, v3, v5
	v_mul_f32_e32 v6, v9, v5
	s_delay_alu instid0(VALU_DEP_2) | instskip(NEXT) | instid1(VALU_DEP_2)
	v_fma_f32 v5, v9, v4, -v10
	v_fmac_f32_e32 v6, v3, v4
	scratch_store_b64 off, v[5:6], off offset:184
.LBB119_107:
	s_wait_alu 0xfffe
	s_or_b32 exec_lo, exec_lo, s0
	s_wait_loadcnt 0x0
	s_wait_storecnt 0x0
	s_barrier_signal -1
	s_barrier_wait -1
	global_inv scope:SCOPE_SE
	scratch_load_b64 v[3:4], off, off offset:192
	;; [unrolled: 55-line block ×32, first 2 shown]
	s_mov_b32 s0, exec_lo
	s_wait_loadcnt 0x0
	ds_store_b64 v1, v[3:4]
	s_wait_dscnt 0x0
	s_barrier_signal -1
	s_barrier_wait -1
	global_inv scope:SCOPE_SE
	v_cmpx_gt_u32_e32 54, v0
	s_cbranch_execz .LBB119_231
; %bb.228:
	v_dual_mov_b32 v3, 0 :: v_dual_add_nc_u32 v4, -1, v0
	v_dual_mov_b32 v6, v7 :: v_dual_add_nc_u32 v5, 0x1c0, v7
	v_mov_b32_e32 v7, 0
	s_mov_b32 s1, 0
.LBB119_229:                            ; =>This Inner Loop Header: Depth=1
	scratch_load_b64 v[9:10], v6, off
	ds_load_b64 v[11:12], v5
	v_add_nc_u32_e32 v6, 8, v6
	v_add_nc_u32_e32 v4, 1, v4
	;; [unrolled: 1-line block ×3, first 2 shown]
	s_delay_alu instid0(VALU_DEP_2)
	v_cmp_lt_u32_e32 vcc_lo, 52, v4
	s_wait_alu 0xfffe
	s_or_b32 s1, vcc_lo, s1
	s_wait_loadcnt_dscnt 0x0
	v_mul_f32_e32 v13, v12, v10
	v_mul_f32_e32 v10, v11, v10
	s_delay_alu instid0(VALU_DEP_2) | instskip(NEXT) | instid1(VALU_DEP_1)
	v_fma_f32 v11, v11, v9, -v13
	v_dual_fmac_f32 v10, v12, v9 :: v_dual_add_f32 v7, v7, v11
	s_delay_alu instid0(VALU_DEP_1)
	v_add_f32_e32 v3, v3, v10
	s_wait_alu 0xfffe
	s_and_not1_b32 exec_lo, exec_lo, s1
	s_cbranch_execnz .LBB119_229
; %bb.230:
	s_or_b32 exec_lo, exec_lo, s1
	v_mov_b32_e32 v4, 0
	ds_load_b64 v[4:5], v4 offset:432
	s_wait_dscnt 0x0
	v_mul_f32_e32 v9, v3, v5
	v_mul_f32_e32 v6, v7, v5
	s_delay_alu instid0(VALU_DEP_2) | instskip(NEXT) | instid1(VALU_DEP_2)
	v_fma_f32 v5, v7, v4, -v9
	v_fmac_f32_e32 v6, v3, v4
	scratch_store_b64 off, v[5:6], off offset:432
.LBB119_231:
	s_wait_alu 0xfffe
	s_or_b32 exec_lo, exec_lo, s0
	s_wait_loadcnt 0x0
	s_wait_storecnt 0x0
	s_barrier_signal -1
	s_barrier_wait -1
	global_inv scope:SCOPE_SE
	scratch_load_b64 v[3:4], off, off offset:440
	s_mov_b32 s0, exec_lo
	s_wait_loadcnt 0x0
	ds_store_b64 v1, v[3:4]
	s_wait_dscnt 0x0
	s_barrier_signal -1
	s_barrier_wait -1
	global_inv scope:SCOPE_SE
	v_cmpx_ne_u32_e32 55, v0
	s_cbranch_execz .LBB119_235
; %bb.232:
	v_dual_mov_b32 v3, 0 :: v_dual_mov_b32 v4, 0
	s_mov_b32 s1, 0
.LBB119_233:                            ; =>This Inner Loop Header: Depth=1
	scratch_load_b64 v[5:6], v8, off
	ds_load_b64 v[9:10], v1
	v_add_nc_u32_e32 v2, 1, v2
	v_add_nc_u32_e32 v1, 8, v1
	;; [unrolled: 1-line block ×3, first 2 shown]
	s_delay_alu instid0(VALU_DEP_3)
	v_cmp_lt_u32_e32 vcc_lo, 53, v2
	s_wait_alu 0xfffe
	s_or_b32 s1, vcc_lo, s1
	s_wait_loadcnt_dscnt 0x0
	v_mul_f32_e32 v7, v10, v6
	v_mul_f32_e32 v6, v9, v6
	s_delay_alu instid0(VALU_DEP_2) | instskip(NEXT) | instid1(VALU_DEP_2)
	v_fma_f32 v7, v9, v5, -v7
	v_fmac_f32_e32 v6, v10, v5
	s_delay_alu instid0(VALU_DEP_1)
	v_dual_add_f32 v4, v4, v7 :: v_dual_add_f32 v3, v3, v6
	s_wait_alu 0xfffe
	s_and_not1_b32 exec_lo, exec_lo, s1
	s_cbranch_execnz .LBB119_233
; %bb.234:
	s_or_b32 exec_lo, exec_lo, s1
	v_mov_b32_e32 v1, 0
	ds_load_b64 v[1:2], v1 offset:440
	s_wait_dscnt 0x0
	v_mul_f32_e32 v6, v3, v2
	v_mul_f32_e32 v5, v4, v2
	s_delay_alu instid0(VALU_DEP_2) | instskip(NEXT) | instid1(VALU_DEP_2)
	v_fma_f32 v4, v4, v1, -v6
	v_fmac_f32_e32 v5, v3, v1
	scratch_store_b64 off, v[4:5], off offset:440
.LBB119_235:
	s_wait_alu 0xfffe
	s_or_b32 exec_lo, exec_lo, s0
	s_mov_b32 s1, -1
	s_wait_loadcnt 0x0
	s_wait_storecnt 0x0
	s_barrier_signal -1
	s_barrier_wait -1
	global_inv scope:SCOPE_SE
.LBB119_236:
	s_wait_alu 0xfffe
	s_and_b32 vcc_lo, exec_lo, s1
	s_wait_alu 0xfffe
	s_cbranch_vccz .LBB119_238
; %bb.237:
	v_mov_b32_e32 v1, 0
	s_lshl_b64 s[0:1], s[8:9], 2
	s_wait_alu 0xfffe
	s_add_nc_u64 s[0:1], s[6:7], s[0:1]
	global_load_b32 v1, v1, s[0:1]
	s_wait_loadcnt 0x0
	v_cmp_ne_u32_e32 vcc_lo, 0, v1
	s_cbranch_vccz .LBB119_239
.LBB119_238:
	s_nop 0
	s_sendmsg sendmsg(MSG_DEALLOC_VGPRS)
	s_endpgm
.LBB119_239:
	v_lshl_add_u32 v27, v0, 3, 0x1c0
	s_mov_b32 s0, exec_lo
	v_cmpx_eq_u32_e32 55, v0
	s_cbranch_execz .LBB119_241
; %bb.240:
	scratch_load_b64 v[1:2], off, off offset:432
	v_mov_b32_e32 v3, 0
	s_delay_alu instid0(VALU_DEP_1)
	v_mov_b32_e32 v4, v3
	scratch_store_b64 off, v[3:4], off offset:432
	s_wait_loadcnt 0x0
	ds_store_b64 v27, v[1:2]
.LBB119_241:
	s_wait_alu 0xfffe
	s_or_b32 exec_lo, exec_lo, s0
	s_wait_storecnt_dscnt 0x0
	s_barrier_signal -1
	s_barrier_wait -1
	global_inv scope:SCOPE_SE
	s_clause 0x1
	scratch_load_b64 v[2:3], off, off offset:440
	scratch_load_b64 v[4:5], off, off offset:432
	v_mov_b32_e32 v1, 0
	s_mov_b32 s0, exec_lo
	ds_load_b64 v[6:7], v1 offset:888
	s_wait_loadcnt_dscnt 0x100
	v_mul_f32_e32 v8, v7, v3
	v_mul_f32_e32 v3, v6, v3
	s_delay_alu instid0(VALU_DEP_2) | instskip(NEXT) | instid1(VALU_DEP_2)
	v_fma_f32 v6, v6, v2, -v8
	v_fmac_f32_e32 v3, v7, v2
	s_delay_alu instid0(VALU_DEP_1) | instskip(SKIP_1) | instid1(VALU_DEP_1)
	v_dual_add_f32 v2, 0, v6 :: v_dual_add_f32 v3, 0, v3
	s_wait_loadcnt 0x0
	v_dual_sub_f32 v2, v4, v2 :: v_dual_sub_f32 v3, v5, v3
	scratch_store_b64 off, v[2:3], off offset:432
	v_cmpx_lt_u32_e32 53, v0
	s_cbranch_execz .LBB119_243
; %bb.242:
	scratch_load_b64 v[3:4], off, off offset:424
	v_mov_b32_e32 v2, v1
	scratch_store_b64 off, v[1:2], off offset:424
	s_wait_loadcnt 0x0
	ds_store_b64 v27, v[3:4]
.LBB119_243:
	s_wait_alu 0xfffe
	s_or_b32 exec_lo, exec_lo, s0
	s_wait_storecnt_dscnt 0x0
	s_barrier_signal -1
	s_barrier_wait -1
	global_inv scope:SCOPE_SE
	s_clause 0x1
	scratch_load_b128 v[2:5], off, off offset:432
	scratch_load_b64 v[10:11], off, off offset:424
	ds_load_b128 v[6:9], v1 offset:880
	s_mov_b32 s0, exec_lo
	s_wait_loadcnt_dscnt 0x100
	v_dual_mul_f32 v1, v7, v3 :: v_dual_mul_f32 v12, v8, v5
	v_mul_f32_e32 v3, v6, v3
	s_delay_alu instid0(VALU_DEP_2) | instskip(NEXT) | instid1(VALU_DEP_2)
	v_fma_f32 v1, v6, v2, -v1
	v_dual_fmac_f32 v12, v9, v4 :: v_dual_fmac_f32 v3, v7, v2
	s_delay_alu instid0(VALU_DEP_2) | instskip(NEXT) | instid1(VALU_DEP_2)
	v_add_f32_e32 v1, 0, v1
	v_add_f32_e32 v3, 0, v3
	v_mul_f32_e32 v5, v9, v5
	s_delay_alu instid0(VALU_DEP_1) | instskip(NEXT) | instid1(VALU_DEP_1)
	v_fma_f32 v2, v8, v4, -v5
	v_dual_add_f32 v1, v1, v2 :: v_dual_add_f32 v2, v3, v12
	s_wait_loadcnt 0x0
	s_delay_alu instid0(VALU_DEP_1)
	v_dual_sub_f32 v1, v10, v1 :: v_dual_sub_f32 v2, v11, v2
	scratch_store_b64 off, v[1:2], off offset:424
	v_cmpx_lt_u32_e32 52, v0
	s_cbranch_execz .LBB119_245
; %bb.244:
	scratch_load_b64 v[1:2], off, off offset:416
	v_mov_b32_e32 v3, 0
	s_delay_alu instid0(VALU_DEP_1)
	v_mov_b32_e32 v4, v3
	scratch_store_b64 off, v[3:4], off offset:416
	s_wait_loadcnt 0x0
	ds_store_b64 v27, v[1:2]
.LBB119_245:
	s_wait_alu 0xfffe
	s_or_b32 exec_lo, exec_lo, s0
	s_wait_storecnt_dscnt 0x0
	s_barrier_signal -1
	s_barrier_wait -1
	global_inv scope:SCOPE_SE
	s_clause 0x2
	scratch_load_b128 v[2:5], off, off offset:424
	scratch_load_b64 v[10:11], off, off offset:440
	scratch_load_b64 v[12:13], off, off offset:416
	v_mov_b32_e32 v1, 0
	ds_load_2addr_b64 v[6:9], v1 offset0:109 offset1:110
	ds_load_b64 v[14:15], v1 offset:888
	s_mov_b32 s0, exec_lo
	s_wait_loadcnt_dscnt 0x201
	v_dual_mul_f32 v16, v7, v3 :: v_dual_mul_f32 v17, v8, v5
	s_wait_loadcnt_dscnt 0x100
	v_mul_f32_e32 v18, v14, v11
	v_mul_f32_e32 v3, v6, v3
	;; [unrolled: 1-line block ×3, first 2 shown]
	v_fma_f32 v6, v6, v2, -v16
	s_delay_alu instid0(VALU_DEP_4) | instskip(NEXT) | instid1(VALU_DEP_4)
	v_fmac_f32_e32 v18, v15, v10
	v_fmac_f32_e32 v3, v7, v2
	v_mul_f32_e32 v2, v15, v11
	s_delay_alu instid0(VALU_DEP_1) | instskip(SKIP_3) | instid1(VALU_DEP_1)
	v_fma_f32 v2, v14, v10, -v2
	v_fmac_f32_e32 v17, v9, v4
	v_fma_f32 v4, v8, v4, -v5
	v_add_f32_e32 v5, 0, v6
	v_add_f32_e32 v4, v5, v4
	s_delay_alu instid0(VALU_DEP_1) | instskip(SKIP_1) | instid1(VALU_DEP_1)
	v_dual_add_f32 v2, v4, v2 :: v_dual_add_f32 v3, 0, v3
	s_wait_loadcnt 0x0
	v_dual_sub_f32 v2, v12, v2 :: v_dual_add_f32 v3, v3, v17
	s_delay_alu instid0(VALU_DEP_1) | instskip(NEXT) | instid1(VALU_DEP_1)
	v_add_f32_e32 v3, v3, v18
	v_sub_f32_e32 v3, v13, v3
	scratch_store_b64 off, v[2:3], off offset:416
	v_cmpx_lt_u32_e32 51, v0
	s_cbranch_execz .LBB119_247
; %bb.246:
	scratch_load_b64 v[3:4], off, off offset:408
	v_mov_b32_e32 v2, v1
	scratch_store_b64 off, v[1:2], off offset:408
	s_wait_loadcnt 0x0
	ds_store_b64 v27, v[3:4]
.LBB119_247:
	s_wait_alu 0xfffe
	s_or_b32 exec_lo, exec_lo, s0
	s_wait_storecnt_dscnt 0x0
	s_barrier_signal -1
	s_barrier_wait -1
	global_inv scope:SCOPE_SE
	s_clause 0x2
	scratch_load_b128 v[2:5], off, off offset:416
	scratch_load_b128 v[6:9], off, off offset:432
	scratch_load_b64 v[18:19], off, off offset:408
	ds_load_b128 v[10:13], v1 offset:864
	ds_load_b128 v[14:17], v1 offset:880
	s_mov_b32 s0, exec_lo
	s_wait_loadcnt_dscnt 0x201
	v_dual_mul_f32 v1, v10, v3 :: v_dual_mul_f32 v20, v12, v5
	s_wait_loadcnt_dscnt 0x100
	v_dual_mul_f32 v3, v11, v3 :: v_dual_mul_f32 v22, v16, v9
	v_mul_f32_e32 v5, v13, v5
	s_delay_alu instid0(VALU_DEP_3) | instskip(NEXT) | instid1(VALU_DEP_3)
	v_dual_mul_f32 v21, v14, v7 :: v_dual_fmac_f32 v20, v13, v4
	v_fma_f32 v3, v10, v2, -v3
	s_delay_alu instid0(VALU_DEP_4) | instskip(SKIP_2) | instid1(VALU_DEP_4)
	v_dual_fmac_f32 v1, v11, v2 :: v_dual_fmac_f32 v22, v17, v8
	v_mul_f32_e32 v2, v15, v7
	v_fma_f32 v4, v12, v4, -v5
	v_add_f32_e32 v3, 0, v3
	v_fmac_f32_e32 v21, v15, v6
	s_delay_alu instid0(VALU_DEP_4) | instskip(NEXT) | instid1(VALU_DEP_3)
	v_fma_f32 v2, v14, v6, -v2
	v_add_f32_e32 v3, v3, v4
	s_delay_alu instid0(VALU_DEP_1) | instskip(NEXT) | instid1(VALU_DEP_1)
	v_dual_add_f32 v1, 0, v1 :: v_dual_add_f32 v2, v3, v2
	v_add_f32_e32 v1, v1, v20
	s_delay_alu instid0(VALU_DEP_1) | instskip(NEXT) | instid1(VALU_DEP_1)
	v_add_f32_e32 v1, v1, v21
	v_add_f32_e32 v3, v1, v22
	v_mul_f32_e32 v5, v17, v9
	s_delay_alu instid0(VALU_DEP_1) | instskip(NEXT) | instid1(VALU_DEP_1)
	v_fma_f32 v4, v16, v8, -v5
	v_add_f32_e32 v2, v2, v4
	s_wait_loadcnt 0x0
	s_delay_alu instid0(VALU_DEP_1)
	v_dual_sub_f32 v1, v18, v2 :: v_dual_sub_f32 v2, v19, v3
	scratch_store_b64 off, v[1:2], off offset:408
	v_cmpx_lt_u32_e32 50, v0
	s_cbranch_execz .LBB119_249
; %bb.248:
	scratch_load_b64 v[1:2], off, off offset:400
	v_mov_b32_e32 v3, 0
	s_delay_alu instid0(VALU_DEP_1)
	v_mov_b32_e32 v4, v3
	scratch_store_b64 off, v[3:4], off offset:400
	s_wait_loadcnt 0x0
	ds_store_b64 v27, v[1:2]
.LBB119_249:
	s_wait_alu 0xfffe
	s_or_b32 exec_lo, exec_lo, s0
	s_wait_storecnt_dscnt 0x0
	s_barrier_signal -1
	s_barrier_wait -1
	global_inv scope:SCOPE_SE
	s_clause 0x3
	scratch_load_b128 v[2:5], off, off offset:408
	scratch_load_b128 v[6:9], off, off offset:424
	scratch_load_b64 v[18:19], off, off offset:440
	scratch_load_b64 v[20:21], off, off offset:400
	v_mov_b32_e32 v1, 0
	ds_load_2addr_b64 v[10:13], v1 offset0:107 offset1:108
	ds_load_2addr_b64 v[14:17], v1 offset0:109 offset1:110
	ds_load_b64 v[22:23], v1 offset:888
	s_mov_b32 s0, exec_lo
	s_wait_loadcnt_dscnt 0x302
	v_mul_f32_e32 v24, v10, v3
	s_wait_loadcnt_dscnt 0x201
	v_dual_mul_f32 v3, v11, v3 :: v_dual_mul_f32 v28, v16, v9
	v_dual_mul_f32 v25, v12, v5 :: v_dual_mul_f32 v26, v14, v7
	s_wait_loadcnt_dscnt 0x100
	v_dual_mul_f32 v29, v22, v19 :: v_dual_fmac_f32 v24, v11, v2
	v_mul_f32_e32 v5, v13, v5
	v_fma_f32 v3, v10, v2, -v3
	v_dual_mul_f32 v2, v15, v7 :: v_dual_fmac_f32 v25, v13, v4
	v_fmac_f32_e32 v26, v15, v6
	s_delay_alu instid0(VALU_DEP_4) | instskip(SKIP_1) | instid1(VALU_DEP_4)
	v_fma_f32 v4, v12, v4, -v5
	v_fmac_f32_e32 v29, v23, v18
	v_fma_f32 v2, v14, v6, -v2
	v_add_f32_e32 v5, 0, v24
	v_dual_add_f32 v3, 0, v3 :: v_dual_fmac_f32 v28, v17, v8
	s_delay_alu instid0(VALU_DEP_1) | instskip(NEXT) | instid1(VALU_DEP_1)
	v_add_f32_e32 v3, v3, v4
	v_dual_add_f32 v2, v3, v2 :: v_dual_mul_f32 v7, v17, v9
	s_delay_alu instid0(VALU_DEP_4) | instskip(NEXT) | instid1(VALU_DEP_2)
	v_dual_add_f32 v4, v5, v25 :: v_dual_mul_f32 v5, v23, v19
	v_fma_f32 v6, v16, v8, -v7
	s_delay_alu instid0(VALU_DEP_1) | instskip(NEXT) | instid1(VALU_DEP_3)
	v_add_f32_e32 v2, v2, v6
	v_add_f32_e32 v3, v4, v26
	s_delay_alu instid0(VALU_DEP_4) | instskip(NEXT) | instid1(VALU_DEP_1)
	v_fma_f32 v4, v22, v18, -v5
	v_add_f32_e32 v2, v2, v4
	s_wait_loadcnt 0x0
	s_delay_alu instid0(VALU_DEP_1) | instskip(NEXT) | instid1(VALU_DEP_1)
	v_dual_add_f32 v3, v3, v28 :: v_dual_sub_f32 v2, v20, v2
	v_add_f32_e32 v3, v3, v29
	s_delay_alu instid0(VALU_DEP_1)
	v_sub_f32_e32 v3, v21, v3
	scratch_store_b64 off, v[2:3], off offset:400
	v_cmpx_lt_u32_e32 49, v0
	s_cbranch_execz .LBB119_251
; %bb.250:
	scratch_load_b64 v[3:4], off, off offset:392
	v_mov_b32_e32 v2, v1
	scratch_store_b64 off, v[1:2], off offset:392
	s_wait_loadcnt 0x0
	ds_store_b64 v27, v[3:4]
.LBB119_251:
	s_wait_alu 0xfffe
	s_or_b32 exec_lo, exec_lo, s0
	s_wait_storecnt_dscnt 0x0
	s_barrier_signal -1
	s_barrier_wait -1
	global_inv scope:SCOPE_SE
	s_clause 0x3
	scratch_load_b128 v[2:5], off, off offset:400
	scratch_load_b128 v[6:9], off, off offset:416
	;; [unrolled: 1-line block ×3, first 2 shown]
	scratch_load_b64 v[28:29], off, off offset:392
	ds_load_b128 v[14:17], v1 offset:848
	ds_load_b128 v[18:21], v1 offset:864
	ds_load_b128 v[22:25], v1 offset:880
	s_mov_b32 s0, exec_lo
	s_wait_loadcnt_dscnt 0x302
	v_dual_mul_f32 v1, v14, v3 :: v_dual_mul_f32 v26, v16, v5
	v_mul_f32_e32 v3, v15, v3
	s_wait_loadcnt_dscnt 0x201
	v_dual_mul_f32 v5, v17, v5 :: v_dual_mul_f32 v30, v18, v7
	s_delay_alu instid0(VALU_DEP_3) | instskip(NEXT) | instid1(VALU_DEP_3)
	v_dual_mul_f32 v31, v20, v9 :: v_dual_fmac_f32 v26, v17, v4
	v_fma_f32 v3, v14, v2, -v3
	v_fmac_f32_e32 v1, v15, v2
	v_mul_f32_e32 v2, v19, v7
	v_fma_f32 v4, v16, v4, -v5
	s_delay_alu instid0(VALU_DEP_4)
	v_dual_fmac_f32 v30, v19, v6 :: v_dual_add_f32 v3, 0, v3
	s_wait_loadcnt_dscnt 0x100
	v_dual_mul_f32 v144, v22, v11 :: v_dual_mul_f32 v145, v24, v13
	v_fma_f32 v2, v18, v6, -v2
	v_fmac_f32_e32 v31, v21, v8
	v_add_f32_e32 v3, v3, v4
	s_delay_alu instid0(VALU_DEP_4) | instskip(SKIP_1) | instid1(VALU_DEP_3)
	v_dual_mul_f32 v5, v21, v9 :: v_dual_fmac_f32 v144, v23, v10
	v_dual_fmac_f32 v145, v25, v12 :: v_dual_mul_f32 v4, v23, v11
	v_add_f32_e32 v2, v3, v2
	s_delay_alu instid0(VALU_DEP_3) | instskip(SKIP_1) | instid1(VALU_DEP_4)
	v_fma_f32 v5, v20, v8, -v5
	v_mul_f32_e32 v3, v25, v13
	v_fma_f32 v4, v22, v10, -v4
	s_delay_alu instid0(VALU_DEP_3) | instskip(SKIP_1) | instid1(VALU_DEP_4)
	v_add_f32_e32 v2, v2, v5
	v_add_f32_e32 v1, 0, v1
	v_fma_f32 v3, v24, v12, -v3
	s_delay_alu instid0(VALU_DEP_2) | instskip(NEXT) | instid1(VALU_DEP_1)
	v_dual_add_f32 v2, v2, v4 :: v_dual_add_f32 v1, v1, v26
	v_dual_add_f32 v2, v2, v3 :: v_dual_add_f32 v1, v1, v30
	s_delay_alu instid0(VALU_DEP_1) | instskip(NEXT) | instid1(VALU_DEP_1)
	v_add_f32_e32 v1, v1, v31
	v_add_f32_e32 v1, v1, v144
	s_delay_alu instid0(VALU_DEP_1) | instskip(SKIP_1) | instid1(VALU_DEP_1)
	v_add_f32_e32 v3, v1, v145
	s_wait_loadcnt 0x0
	v_dual_sub_f32 v1, v28, v2 :: v_dual_sub_f32 v2, v29, v3
	scratch_store_b64 off, v[1:2], off offset:392
	v_cmpx_lt_u32_e32 48, v0
	s_cbranch_execz .LBB119_253
; %bb.252:
	scratch_load_b64 v[1:2], off, off offset:384
	v_mov_b32_e32 v3, 0
	s_delay_alu instid0(VALU_DEP_1)
	v_mov_b32_e32 v4, v3
	scratch_store_b64 off, v[3:4], off offset:384
	s_wait_loadcnt 0x0
	ds_store_b64 v27, v[1:2]
.LBB119_253:
	s_wait_alu 0xfffe
	s_or_b32 exec_lo, exec_lo, s0
	s_wait_storecnt_dscnt 0x0
	s_barrier_signal -1
	s_barrier_wait -1
	global_inv scope:SCOPE_SE
	s_clause 0x4
	scratch_load_b128 v[2:5], off, off offset:392
	scratch_load_b128 v[6:9], off, off offset:408
	;; [unrolled: 1-line block ×3, first 2 shown]
	scratch_load_b64 v[28:29], off, off offset:440
	scratch_load_b64 v[30:31], off, off offset:384
	v_mov_b32_e32 v1, 0
	ds_load_2addr_b64 v[14:17], v1 offset0:105 offset1:106
	ds_load_2addr_b64 v[18:21], v1 offset0:107 offset1:108
	;; [unrolled: 1-line block ×3, first 2 shown]
	ds_load_b64 v[144:145], v1 offset:888
	s_mov_b32 s0, exec_lo
	s_wait_loadcnt_dscnt 0x403
	v_mul_f32_e32 v26, v14, v3
	s_wait_loadcnt_dscnt 0x302
	v_dual_mul_f32 v148, v20, v9 :: v_dual_mul_f32 v3, v15, v3
	v_dual_mul_f32 v146, v16, v5 :: v_dual_mul_f32 v147, v18, v7
	s_wait_loadcnt_dscnt 0x100
	v_dual_mul_f32 v151, v144, v29 :: v_dual_fmac_f32 v26, v15, v2
	v_mul_f32_e32 v5, v17, v5
	v_fma_f32 v3, v14, v2, -v3
	v_mul_f32_e32 v2, v19, v7
	v_dual_fmac_f32 v146, v17, v4 :: v_dual_fmac_f32 v147, v19, v6
	s_delay_alu instid0(VALU_DEP_4) | instskip(NEXT) | instid1(VALU_DEP_4)
	v_fma_f32 v4, v16, v4, -v5
	v_add_f32_e32 v3, 0, v3
	v_dual_add_f32 v5, 0, v26 :: v_dual_fmac_f32 v148, v21, v8
	v_fma_f32 v2, v18, v6, -v2
	v_dual_mul_f32 v149, v22, v11 :: v_dual_mul_f32 v150, v24, v13
	s_delay_alu instid0(VALU_DEP_3) | instskip(SKIP_1) | instid1(VALU_DEP_3)
	v_dual_add_f32 v3, v3, v4 :: v_dual_add_f32 v4, v5, v146
	v_mul_f32_e32 v7, v21, v9
	v_dual_fmac_f32 v149, v23, v10 :: v_dual_fmac_f32 v150, v25, v12
	s_delay_alu instid0(VALU_DEP_3) | instskip(NEXT) | instid1(VALU_DEP_3)
	v_dual_add_f32 v2, v3, v2 :: v_dual_add_f32 v3, v4, v147
	v_fma_f32 v6, v20, v8, -v7
	v_dual_mul_f32 v5, v23, v11 :: v_dual_mul_f32 v4, v25, v13
	s_delay_alu instid0(VALU_DEP_2) | instskip(NEXT) | instid1(VALU_DEP_2)
	v_add_f32_e32 v2, v2, v6
	v_fma_f32 v5, v22, v10, -v5
	v_dual_mul_f32 v6, v145, v29 :: v_dual_add_f32 v3, v3, v148
	s_delay_alu instid0(VALU_DEP_4) | instskip(NEXT) | instid1(VALU_DEP_3)
	v_fma_f32 v4, v24, v12, -v4
	v_add_f32_e32 v2, v2, v5
	s_delay_alu instid0(VALU_DEP_3) | instskip(NEXT) | instid1(VALU_DEP_2)
	v_fma_f32 v5, v144, v28, -v6
	v_dual_add_f32 v3, v3, v149 :: v_dual_add_f32 v2, v2, v4
	v_fmac_f32_e32 v151, v145, v28
	s_delay_alu instid0(VALU_DEP_2) | instskip(SKIP_1) | instid1(VALU_DEP_1)
	v_dual_add_f32 v3, v3, v150 :: v_dual_add_f32 v2, v2, v5
	s_wait_loadcnt 0x0
	v_dual_add_f32 v3, v3, v151 :: v_dual_sub_f32 v2, v30, v2
	s_delay_alu instid0(VALU_DEP_1)
	v_sub_f32_e32 v3, v31, v3
	scratch_store_b64 off, v[2:3], off offset:384
	v_cmpx_lt_u32_e32 47, v0
	s_cbranch_execz .LBB119_255
; %bb.254:
	scratch_load_b64 v[3:4], off, off offset:376
	v_mov_b32_e32 v2, v1
	scratch_store_b64 off, v[1:2], off offset:376
	s_wait_loadcnt 0x0
	ds_store_b64 v27, v[3:4]
.LBB119_255:
	s_wait_alu 0xfffe
	s_or_b32 exec_lo, exec_lo, s0
	s_wait_storecnt_dscnt 0x0
	s_barrier_signal -1
	s_barrier_wait -1
	global_inv scope:SCOPE_SE
	s_clause 0x4
	scratch_load_b128 v[2:5], off, off offset:384
	scratch_load_b128 v[6:9], off, off offset:400
	scratch_load_b128 v[10:13], off, off offset:416
	scratch_load_b128 v[14:17], off, off offset:432
	scratch_load_b64 v[148:149], off, off offset:376
	ds_load_b128 v[18:21], v1 offset:832
	ds_load_b128 v[22:25], v1 offset:848
	;; [unrolled: 1-line block ×4, first 2 shown]
	s_mov_b32 s0, exec_lo
	s_wait_loadcnt_dscnt 0x403
	v_dual_mul_f32 v1, v18, v3 :: v_dual_mul_f32 v26, v20, v5
	v_mul_f32_e32 v3, v19, v3
	s_wait_loadcnt_dscnt 0x302
	v_dual_mul_f32 v5, v21, v5 :: v_dual_mul_f32 v150, v22, v7
	s_delay_alu instid0(VALU_DEP_3) | instskip(NEXT) | instid1(VALU_DEP_3)
	v_dual_mul_f32 v151, v24, v9 :: v_dual_fmac_f32 v26, v21, v4
	v_fma_f32 v3, v18, v2, -v3
	v_fmac_f32_e32 v1, v19, v2
	v_mul_f32_e32 v2, v23, v7
	v_fma_f32 v4, v20, v4, -v5
	s_wait_loadcnt_dscnt 0x201
	v_dual_mul_f32 v152, v28, v11 :: v_dual_mul_f32 v153, v30, v13
	v_dual_add_f32 v3, 0, v3 :: v_dual_fmac_f32 v150, v23, v6
	v_fma_f32 v2, v22, v6, -v2
	s_delay_alu instid0(VALU_DEP_3)
	v_fmac_f32_e32 v152, v29, v10
	s_wait_loadcnt_dscnt 0x100
	v_dual_mul_f32 v154, v144, v15 :: v_dual_mul_f32 v155, v146, v17
	v_dual_add_f32 v3, v3, v4 :: v_dual_mul_f32 v4, v29, v11
	v_add_f32_e32 v1, 0, v1
	v_fmac_f32_e32 v151, v25, v8
	s_delay_alu instid0(VALU_DEP_4) | instskip(NEXT) | instid1(VALU_DEP_4)
	v_fmac_f32_e32 v154, v145, v14
	v_add_f32_e32 v2, v3, v2
	v_fma_f32 v4, v28, v10, -v4
	v_mul_f32_e32 v5, v25, v9
	v_mul_f32_e32 v3, v31, v13
	v_fmac_f32_e32 v155, v147, v16
	s_delay_alu instid0(VALU_DEP_3) | instskip(SKIP_1) | instid1(VALU_DEP_4)
	v_fma_f32 v5, v24, v8, -v5
	v_add_f32_e32 v1, v1, v26
	v_fma_f32 v3, v30, v12, -v3
	s_delay_alu instid0(VALU_DEP_3) | instskip(NEXT) | instid1(VALU_DEP_1)
	v_dual_add_f32 v2, v2, v5 :: v_dual_mul_f32 v5, v145, v15
	v_dual_add_f32 v2, v2, v4 :: v_dual_add_f32 v1, v1, v150
	v_mul_f32_e32 v4, v147, v17
	s_delay_alu instid0(VALU_DEP_3) | instskip(NEXT) | instid1(VALU_DEP_3)
	v_fma_f32 v5, v144, v14, -v5
	v_add_f32_e32 v2, v2, v3
	s_delay_alu instid0(VALU_DEP_4) | instskip(NEXT) | instid1(VALU_DEP_4)
	v_add_f32_e32 v1, v1, v151
	v_fma_f32 v3, v146, v16, -v4
	s_delay_alu instid0(VALU_DEP_3) | instskip(NEXT) | instid1(VALU_DEP_1)
	v_dual_add_f32 v2, v2, v5 :: v_dual_fmac_f32 v153, v31, v12
	v_dual_add_f32 v1, v1, v152 :: v_dual_add_f32 v2, v2, v3
	s_delay_alu instid0(VALU_DEP_1) | instskip(NEXT) | instid1(VALU_DEP_1)
	v_add_f32_e32 v1, v1, v153
	v_add_f32_e32 v1, v1, v154
	s_delay_alu instid0(VALU_DEP_1) | instskip(SKIP_1) | instid1(VALU_DEP_1)
	v_add_f32_e32 v3, v1, v155
	s_wait_loadcnt 0x0
	v_dual_sub_f32 v1, v148, v2 :: v_dual_sub_f32 v2, v149, v3
	scratch_store_b64 off, v[1:2], off offset:376
	v_cmpx_lt_u32_e32 46, v0
	s_cbranch_execz .LBB119_257
; %bb.256:
	scratch_load_b64 v[1:2], off, off offset:368
	v_mov_b32_e32 v3, 0
	s_delay_alu instid0(VALU_DEP_1)
	v_mov_b32_e32 v4, v3
	scratch_store_b64 off, v[3:4], off offset:368
	s_wait_loadcnt 0x0
	ds_store_b64 v27, v[1:2]
.LBB119_257:
	s_wait_alu 0xfffe
	s_or_b32 exec_lo, exec_lo, s0
	s_wait_storecnt_dscnt 0x0
	s_barrier_signal -1
	s_barrier_wait -1
	global_inv scope:SCOPE_SE
	s_clause 0x5
	scratch_load_b128 v[2:5], off, off offset:376
	scratch_load_b128 v[6:9], off, off offset:392
	;; [unrolled: 1-line block ×4, first 2 shown]
	scratch_load_b64 v[148:149], off, off offset:440
	scratch_load_b64 v[150:151], off, off offset:368
	v_mov_b32_e32 v1, 0
	ds_load_2addr_b64 v[18:21], v1 offset0:103 offset1:104
	ds_load_2addr_b64 v[22:25], v1 offset0:105 offset1:106
	;; [unrolled: 1-line block ×4, first 2 shown]
	ds_load_b64 v[152:153], v1 offset:888
	s_mov_b32 s0, exec_lo
	s_wait_loadcnt_dscnt 0x504
	v_mul_f32_e32 v26, v18, v3
	s_wait_loadcnt_dscnt 0x403
	v_dual_mul_f32 v156, v24, v9 :: v_dual_mul_f32 v3, v19, v3
	v_dual_mul_f32 v154, v20, v5 :: v_dual_mul_f32 v155, v22, v7
	s_wait_loadcnt_dscnt 0x100
	v_dual_mul_f32 v161, v152, v149 :: v_dual_fmac_f32 v26, v19, v2
	v_mul_f32_e32 v5, v21, v5
	v_fma_f32 v3, v18, v2, -v3
	v_mul_f32_e32 v2, v23, v7
	v_fmac_f32_e32 v154, v21, v4
	v_fmac_f32_e32 v156, v25, v8
	v_fma_f32 v4, v20, v4, -v5
	v_add_f32_e32 v3, 0, v3
	v_add_f32_e32 v5, 0, v26
	v_fma_f32 v2, v22, v6, -v2
	v_fmac_f32_e32 v155, v23, v6
	v_dual_mul_f32 v157, v28, v11 :: v_dual_mul_f32 v158, v30, v13
	s_delay_alu instid0(VALU_DEP_4) | instskip(SKIP_1) | instid1(VALU_DEP_3)
	v_dual_add_f32 v3, v3, v4 :: v_dual_add_f32 v4, v5, v154
	v_mul_f32_e32 v7, v25, v9
	v_dual_mul_f32 v5, v29, v11 :: v_dual_fmac_f32 v158, v31, v12
	s_delay_alu instid0(VALU_DEP_3) | instskip(SKIP_1) | instid1(VALU_DEP_4)
	v_dual_add_f32 v2, v3, v2 :: v_dual_mul_f32 v159, v144, v15
	v_mul_f32_e32 v160, v146, v17
	v_fma_f32 v6, v24, v8, -v7
	s_delay_alu instid0(VALU_DEP_2) | instskip(NEXT) | instid1(VALU_DEP_2)
	v_dual_fmac_f32 v159, v145, v14 :: v_dual_fmac_f32 v160, v147, v16
	v_add_f32_e32 v2, v2, v6
	v_mul_f32_e32 v6, v145, v15
	v_dual_add_f32 v3, v4, v155 :: v_dual_mul_f32 v4, v31, v13
	v_fma_f32 v5, v28, v10, -v5
	s_delay_alu instid0(VALU_DEP_3) | instskip(NEXT) | instid1(VALU_DEP_3)
	v_fma_f32 v6, v144, v14, -v6
	v_add_f32_e32 v3, v3, v156
	s_delay_alu instid0(VALU_DEP_3) | instskip(SKIP_1) | instid1(VALU_DEP_1)
	v_dual_fmac_f32 v157, v29, v10 :: v_dual_add_f32 v2, v2, v5
	v_fma_f32 v4, v30, v12, -v4
	v_dual_add_f32 v3, v3, v157 :: v_dual_add_f32 v2, v2, v4
	v_mul_f32_e32 v5, v147, v17
	s_delay_alu instid0(VALU_DEP_2) | instskip(NEXT) | instid1(VALU_DEP_3)
	v_dual_mul_f32 v4, v153, v149 :: v_dual_add_f32 v3, v3, v158
	v_add_f32_e32 v2, v2, v6
	s_delay_alu instid0(VALU_DEP_3) | instskip(NEXT) | instid1(VALU_DEP_3)
	v_fma_f32 v5, v146, v16, -v5
	v_fma_f32 v4, v152, v148, -v4
	s_delay_alu instid0(VALU_DEP_2) | instskip(NEXT) | instid1(VALU_DEP_1)
	v_dual_add_f32 v3, v3, v159 :: v_dual_add_f32 v2, v2, v5
	v_add_f32_e32 v3, v3, v160
	s_delay_alu instid0(VALU_DEP_2) | instskip(SKIP_1) | instid1(VALU_DEP_1)
	v_add_f32_e32 v2, v2, v4
	s_wait_loadcnt 0x0
	v_dual_fmac_f32 v161, v153, v148 :: v_dual_sub_f32 v2, v150, v2
	s_delay_alu instid0(VALU_DEP_1) | instskip(NEXT) | instid1(VALU_DEP_1)
	v_add_f32_e32 v3, v3, v161
	v_sub_f32_e32 v3, v151, v3
	scratch_store_b64 off, v[2:3], off offset:368
	v_cmpx_lt_u32_e32 45, v0
	s_cbranch_execz .LBB119_259
; %bb.258:
	scratch_load_b64 v[3:4], off, off offset:360
	v_mov_b32_e32 v2, v1
	scratch_store_b64 off, v[1:2], off offset:360
	s_wait_loadcnt 0x0
	ds_store_b64 v27, v[3:4]
.LBB119_259:
	s_wait_alu 0xfffe
	s_or_b32 exec_lo, exec_lo, s0
	s_wait_storecnt_dscnt 0x0
	s_barrier_signal -1
	s_barrier_wait -1
	global_inv scope:SCOPE_SE
	s_clause 0x5
	scratch_load_b128 v[2:5], off, off offset:368
	scratch_load_b128 v[6:9], off, off offset:384
	;; [unrolled: 1-line block ×5, first 2 shown]
	scratch_load_b64 v[156:157], off, off offset:360
	ds_load_b128 v[22:25], v1 offset:816
	ds_load_b128 v[28:31], v1 offset:832
	ds_load_b128 v[144:147], v1 offset:848
	ds_load_b128 v[148:151], v1 offset:864
	ds_load_b128 v[152:155], v1 offset:880
	s_mov_b32 s0, exec_lo
	s_wait_loadcnt_dscnt 0x504
	v_dual_mul_f32 v1, v22, v3 :: v_dual_mul_f32 v26, v24, v5
	v_mul_f32_e32 v3, v23, v3
	s_wait_loadcnt_dscnt 0x403
	v_dual_mul_f32 v158, v28, v7 :: v_dual_mul_f32 v159, v30, v9
	s_delay_alu instid0(VALU_DEP_3) | instskip(NEXT) | instid1(VALU_DEP_3)
	v_dual_fmac_f32 v1, v23, v2 :: v_dual_fmac_f32 v26, v25, v4
	v_fma_f32 v3, v22, v2, -v3
	v_mul_f32_e32 v2, v29, v7
	s_wait_loadcnt_dscnt 0x302
	v_dual_mul_f32 v160, v144, v11 :: v_dual_mul_f32 v161, v146, v13
	s_delay_alu instid0(VALU_DEP_3) | instskip(NEXT) | instid1(VALU_DEP_3)
	v_dual_fmac_f32 v158, v29, v6 :: v_dual_add_f32 v3, 0, v3
	v_fma_f32 v2, v28, v6, -v2
	v_mul_f32_e32 v5, v25, v5
	s_delay_alu instid0(VALU_DEP_4) | instskip(SKIP_2) | instid1(VALU_DEP_3)
	v_dual_fmac_f32 v160, v145, v10 :: v_dual_add_f32 v1, 0, v1
	s_wait_loadcnt_dscnt 0x100
	v_dual_mul_f32 v164, v152, v19 :: v_dual_mul_f32 v165, v154, v21
	v_fma_f32 v4, v24, v4, -v5
	v_dual_mul_f32 v5, v31, v9 :: v_dual_mul_f32 v162, v148, v15
	s_delay_alu instid0(VALU_DEP_3) | instskip(SKIP_1) | instid1(VALU_DEP_3)
	v_dual_mul_f32 v163, v150, v17 :: v_dual_fmac_f32 v164, v153, v18
	v_fmac_f32_e32 v159, v31, v8
	v_fma_f32 v5, v30, v8, -v5
	v_dual_add_f32 v3, v3, v4 :: v_dual_mul_f32 v4, v145, v11
	s_delay_alu instid0(VALU_DEP_4) | instskip(SKIP_1) | instid1(VALU_DEP_3)
	v_dual_fmac_f32 v162, v149, v14 :: v_dual_fmac_f32 v163, v151, v16
	v_fmac_f32_e32 v165, v155, v20
	v_add_f32_e32 v2, v3, v2
	s_delay_alu instid0(VALU_DEP_4) | instskip(SKIP_1) | instid1(VALU_DEP_3)
	v_fma_f32 v4, v144, v10, -v4
	v_mul_f32_e32 v3, v147, v13
	v_dual_add_f32 v2, v2, v5 :: v_dual_add_f32 v1, v1, v26
	s_delay_alu instid0(VALU_DEP_2) | instskip(NEXT) | instid1(VALU_DEP_2)
	v_fma_f32 v3, v146, v12, -v3
	v_dual_add_f32 v2, v2, v4 :: v_dual_add_f32 v1, v1, v158
	v_mul_f32_e32 v4, v151, v17
	s_delay_alu instid0(VALU_DEP_2) | instskip(SKIP_1) | instid1(VALU_DEP_3)
	v_dual_fmac_f32 v161, v147, v12 :: v_dual_add_f32 v2, v2, v3
	v_mul_f32_e32 v3, v153, v19
	v_fma_f32 v4, v150, v16, -v4
	v_mul_f32_e32 v5, v149, v15
	s_delay_alu instid0(VALU_DEP_3) | instskip(NEXT) | instid1(VALU_DEP_2)
	v_fma_f32 v3, v152, v18, -v3
	v_fma_f32 v5, v148, v14, -v5
	s_delay_alu instid0(VALU_DEP_1) | instskip(NEXT) | instid1(VALU_DEP_1)
	v_dual_add_f32 v1, v1, v159 :: v_dual_add_f32 v2, v2, v5
	v_dual_mul_f32 v5, v155, v21 :: v_dual_add_f32 v2, v2, v4
	s_delay_alu instid0(VALU_DEP_2) | instskip(NEXT) | instid1(VALU_DEP_2)
	v_add_f32_e32 v1, v1, v160
	v_fma_f32 v4, v154, v20, -v5
	s_delay_alu instid0(VALU_DEP_2) | instskip(NEXT) | instid1(VALU_DEP_1)
	v_dual_add_f32 v2, v2, v3 :: v_dual_add_f32 v1, v1, v161
	v_dual_add_f32 v2, v2, v4 :: v_dual_add_f32 v1, v1, v162
	s_delay_alu instid0(VALU_DEP_1) | instskip(NEXT) | instid1(VALU_DEP_1)
	v_add_f32_e32 v1, v1, v163
	v_add_f32_e32 v1, v1, v164
	s_delay_alu instid0(VALU_DEP_1) | instskip(SKIP_1) | instid1(VALU_DEP_1)
	v_add_f32_e32 v3, v1, v165
	s_wait_loadcnt 0x0
	v_dual_sub_f32 v1, v156, v2 :: v_dual_sub_f32 v2, v157, v3
	scratch_store_b64 off, v[1:2], off offset:360
	v_cmpx_lt_u32_e32 44, v0
	s_cbranch_execz .LBB119_261
; %bb.260:
	scratch_load_b64 v[1:2], off, off offset:352
	v_mov_b32_e32 v3, 0
	s_delay_alu instid0(VALU_DEP_1)
	v_mov_b32_e32 v4, v3
	scratch_store_b64 off, v[3:4], off offset:352
	s_wait_loadcnt 0x0
	ds_store_b64 v27, v[1:2]
.LBB119_261:
	s_wait_alu 0xfffe
	s_or_b32 exec_lo, exec_lo, s0
	s_wait_storecnt_dscnt 0x0
	s_barrier_signal -1
	s_barrier_wait -1
	global_inv scope:SCOPE_SE
	s_clause 0x6
	scratch_load_b128 v[2:5], off, off offset:360
	scratch_load_b128 v[6:9], off, off offset:376
	;; [unrolled: 1-line block ×5, first 2 shown]
	scratch_load_b64 v[156:157], off, off offset:440
	scratch_load_b64 v[158:159], off, off offset:352
	v_mov_b32_e32 v1, 0
	ds_load_2addr_b64 v[22:25], v1 offset0:101 offset1:102
	ds_load_2addr_b64 v[28:31], v1 offset0:103 offset1:104
	;; [unrolled: 1-line block ×5, first 2 shown]
	ds_load_b64 v[160:161], v1 offset:888
	s_mov_b32 s0, exec_lo
	s_wait_loadcnt_dscnt 0x605
	v_mul_f32_e32 v26, v22, v3
	v_dual_mul_f32 v162, v24, v5 :: v_dual_mul_f32 v3, v23, v3
	s_wait_loadcnt_dscnt 0x504
	v_dual_mul_f32 v163, v28, v7 :: v_dual_mul_f32 v164, v30, v9
	v_mul_f32_e32 v5, v25, v5
	s_wait_loadcnt_dscnt 0x100
	v_dual_mul_f32 v171, v160, v157 :: v_dual_fmac_f32 v26, v23, v2
	v_fma_f32 v3, v22, v2, -v3
	v_mul_f32_e32 v2, v29, v7
	v_fmac_f32_e32 v162, v25, v4
	v_fmac_f32_e32 v164, v31, v8
	v_fma_f32 v4, v24, v4, -v5
	v_add_f32_e32 v3, 0, v3
	v_add_f32_e32 v5, 0, v26
	v_mul_f32_e32 v7, v31, v9
	v_fma_f32 v2, v28, v6, -v2
	v_fmac_f32_e32 v163, v29, v6
	s_delay_alu instid0(VALU_DEP_4) | instskip(SKIP_3) | instid1(VALU_DEP_4)
	v_dual_add_f32 v3, v3, v4 :: v_dual_add_f32 v4, v5, v162
	v_mul_f32_e32 v5, v145, v11
	v_fma_f32 v6, v30, v8, -v7
	v_dual_mul_f32 v165, v144, v11 :: v_dual_mul_f32 v166, v146, v13
	v_dual_add_f32 v2, v3, v2 :: v_dual_add_f32 v3, v4, v163
	v_mul_f32_e32 v4, v147, v13
	v_fma_f32 v5, v144, v10, -v5
	s_delay_alu instid0(VALU_DEP_4) | instskip(NEXT) | instid1(VALU_DEP_4)
	v_fmac_f32_e32 v166, v147, v12
	v_add_f32_e32 v2, v2, v6
	v_fmac_f32_e32 v165, v145, v10
	v_dual_add_f32 v3, v3, v164 :: v_dual_mul_f32 v6, v149, v15
	v_fma_f32 v4, v146, v12, -v4
	s_delay_alu instid0(VALU_DEP_4) | instskip(SKIP_1) | instid1(VALU_DEP_4)
	v_dual_add_f32 v2, v2, v5 :: v_dual_mul_f32 v167, v148, v15
	v_mul_f32_e32 v168, v150, v17
	v_add_f32_e32 v3, v3, v165
	v_mul_f32_e32 v5, v151, v17
	v_fma_f32 v6, v148, v14, -v6
	v_dual_add_f32 v2, v2, v4 :: v_dual_fmac_f32 v167, v149, v14
	v_fmac_f32_e32 v168, v151, v16
	v_mul_f32_e32 v4, v153, v19
	v_fma_f32 v5, v150, v16, -v5
	s_delay_alu instid0(VALU_DEP_4) | instskip(SKIP_4) | instid1(VALU_DEP_4)
	v_add_f32_e32 v2, v2, v6
	v_add_f32_e32 v3, v3, v166
	v_dual_mul_f32 v169, v152, v19 :: v_dual_mul_f32 v170, v154, v21
	v_mul_f32_e32 v6, v155, v21
	v_fma_f32 v4, v152, v18, -v4
	v_dual_add_f32 v2, v2, v5 :: v_dual_add_f32 v3, v3, v167
	s_delay_alu instid0(VALU_DEP_4) | instskip(SKIP_2) | instid1(VALU_DEP_4)
	v_fmac_f32_e32 v169, v153, v18
	v_dual_mul_f32 v5, v161, v157 :: v_dual_fmac_f32 v170, v155, v20
	v_fma_f32 v6, v154, v20, -v6
	v_add_f32_e32 v2, v2, v4
	v_add_f32_e32 v3, v3, v168
	s_delay_alu instid0(VALU_DEP_4) | instskip(NEXT) | instid1(VALU_DEP_2)
	v_fma_f32 v4, v160, v156, -v5
	v_dual_add_f32 v2, v2, v6 :: v_dual_add_f32 v3, v3, v169
	s_delay_alu instid0(VALU_DEP_1) | instskip(SKIP_1) | instid1(VALU_DEP_1)
	v_dual_add_f32 v2, v2, v4 :: v_dual_add_f32 v3, v3, v170
	s_wait_loadcnt 0x0
	v_dual_fmac_f32 v171, v161, v156 :: v_dual_sub_f32 v2, v158, v2
	s_delay_alu instid0(VALU_DEP_1) | instskip(NEXT) | instid1(VALU_DEP_1)
	v_add_f32_e32 v3, v3, v171
	v_sub_f32_e32 v3, v159, v3
	scratch_store_b64 off, v[2:3], off offset:352
	v_cmpx_lt_u32_e32 43, v0
	s_cbranch_execz .LBB119_263
; %bb.262:
	scratch_load_b64 v[3:4], off, off offset:344
	v_mov_b32_e32 v2, v1
	scratch_store_b64 off, v[1:2], off offset:344
	s_wait_loadcnt 0x0
	ds_store_b64 v27, v[3:4]
.LBB119_263:
	s_wait_alu 0xfffe
	s_or_b32 exec_lo, exec_lo, s0
	s_wait_storecnt_dscnt 0x0
	s_barrier_signal -1
	s_barrier_wait -1
	global_inv scope:SCOPE_SE
	s_clause 0x6
	scratch_load_b128 v[2:5], off, off offset:352
	scratch_load_b128 v[6:9], off, off offset:368
	;; [unrolled: 1-line block ×6, first 2 shown]
	scratch_load_b64 v[164:165], off, off offset:344
	ds_load_b128 v[28:31], v1 offset:800
	ds_load_b128 v[144:147], v1 offset:816
	;; [unrolled: 1-line block ×6, first 2 shown]
	s_mov_b32 s0, exec_lo
	s_wait_loadcnt_dscnt 0x605
	v_dual_mul_f32 v1, v28, v3 :: v_dual_mul_f32 v26, v30, v5
	v_mul_f32_e32 v3, v29, v3
	s_wait_loadcnt_dscnt 0x504
	v_dual_mul_f32 v5, v31, v5 :: v_dual_mul_f32 v166, v144, v7
	s_delay_alu instid0(VALU_DEP_3) | instskip(NEXT) | instid1(VALU_DEP_3)
	v_dual_mul_f32 v167, v146, v9 :: v_dual_fmac_f32 v26, v31, v4
	v_fma_f32 v3, v28, v2, -v3
	v_fmac_f32_e32 v1, v29, v2
	v_mul_f32_e32 v2, v145, v7
	v_fma_f32 v4, v30, v4, -v5
	s_wait_loadcnt_dscnt 0x403
	v_dual_mul_f32 v168, v148, v11 :: v_dual_mul_f32 v169, v150, v13
	v_dual_add_f32 v3, 0, v3 :: v_dual_fmac_f32 v166, v145, v6
	s_wait_loadcnt_dscnt 0x302
	v_dual_mul_f32 v170, v152, v15 :: v_dual_mul_f32 v171, v154, v17
	s_delay_alu instid0(VALU_DEP_3) | instskip(SKIP_1) | instid1(VALU_DEP_3)
	v_dual_mul_f32 v5, v147, v9 :: v_dual_fmac_f32 v168, v149, v10
	v_fma_f32 v2, v144, v6, -v2
	v_dual_add_f32 v3, v3, v4 :: v_dual_fmac_f32 v170, v153, v14
	s_delay_alu instid0(VALU_DEP_3)
	v_fma_f32 v5, v146, v8, -v5
	v_mul_f32_e32 v4, v149, v11
	s_wait_loadcnt_dscnt 0x201
	v_dual_mul_f32 v172, v156, v19 :: v_dual_mul_f32 v173, v158, v21
	v_add_f32_e32 v2, v3, v2
	v_mul_f32_e32 v3, v151, v13
	v_fma_f32 v4, v148, v10, -v4
	s_delay_alu instid0(VALU_DEP_4)
	v_fmac_f32_e32 v172, v157, v18
	s_wait_loadcnt_dscnt 0x100
	v_dual_mul_f32 v174, v160, v23 :: v_dual_mul_f32 v175, v162, v25
	v_add_f32_e32 v2, v2, v5
	v_add_f32_e32 v1, 0, v1
	v_fma_f32 v3, v150, v12, -v3
	v_fmac_f32_e32 v171, v155, v16
	v_fmac_f32_e32 v173, v159, v20
	s_delay_alu instid0(VALU_DEP_4) | instskip(SKIP_2) | instid1(VALU_DEP_3)
	v_dual_add_f32 v2, v2, v4 :: v_dual_add_f32 v1, v1, v26
	v_mul_f32_e32 v4, v155, v17
	v_fmac_f32_e32 v167, v147, v8
	v_dual_fmac_f32 v175, v163, v24 :: v_dual_add_f32 v2, v2, v3
	s_delay_alu instid0(VALU_DEP_4) | instskip(NEXT) | instid1(VALU_DEP_4)
	v_add_f32_e32 v1, v1, v166
	v_fma_f32 v4, v154, v16, -v4
	v_mul_f32_e32 v5, v153, v15
	v_fmac_f32_e32 v174, v161, v22
	s_delay_alu instid0(VALU_DEP_4) | instskip(NEXT) | instid1(VALU_DEP_3)
	v_add_f32_e32 v1, v1, v167
	v_fma_f32 v5, v152, v14, -v5
	s_delay_alu instid0(VALU_DEP_1) | instskip(NEXT) | instid1(VALU_DEP_1)
	v_dual_fmac_f32 v169, v151, v12 :: v_dual_add_f32 v2, v2, v5
	v_dual_mul_f32 v5, v159, v21 :: v_dual_add_f32 v2, v2, v4
	s_delay_alu instid0(VALU_DEP_1) | instskip(SKIP_2) | instid1(VALU_DEP_2)
	v_fma_f32 v5, v158, v20, -v5
	v_mul_f32_e32 v3, v157, v19
	v_mul_f32_e32 v4, v161, v23
	v_fma_f32 v3, v156, v18, -v3
	v_add_f32_e32 v1, v1, v168
	s_delay_alu instid0(VALU_DEP_3) | instskip(NEXT) | instid1(VALU_DEP_3)
	v_fma_f32 v4, v160, v22, -v4
	v_dual_add_f32 v2, v2, v3 :: v_dual_mul_f32 v3, v163, v25
	s_delay_alu instid0(VALU_DEP_1) | instskip(NEXT) | instid1(VALU_DEP_4)
	v_add_f32_e32 v2, v2, v5
	v_add_f32_e32 v1, v1, v169
	s_delay_alu instid0(VALU_DEP_3) | instskip(NEXT) | instid1(VALU_DEP_2)
	v_fma_f32 v3, v162, v24, -v3
	v_dual_add_f32 v2, v2, v4 :: v_dual_add_f32 v1, v1, v170
	s_delay_alu instid0(VALU_DEP_1) | instskip(NEXT) | instid1(VALU_DEP_2)
	v_add_f32_e32 v2, v2, v3
	v_add_f32_e32 v1, v1, v171
	s_delay_alu instid0(VALU_DEP_1) | instskip(NEXT) | instid1(VALU_DEP_1)
	v_add_f32_e32 v1, v1, v172
	v_add_f32_e32 v1, v1, v173
	s_delay_alu instid0(VALU_DEP_1) | instskip(NEXT) | instid1(VALU_DEP_1)
	v_add_f32_e32 v1, v1, v174
	v_add_f32_e32 v3, v1, v175
	s_wait_loadcnt 0x0
	s_delay_alu instid0(VALU_DEP_1)
	v_dual_sub_f32 v1, v164, v2 :: v_dual_sub_f32 v2, v165, v3
	scratch_store_b64 off, v[1:2], off offset:344
	v_cmpx_lt_u32_e32 42, v0
	s_cbranch_execz .LBB119_265
; %bb.264:
	scratch_load_b64 v[1:2], off, off offset:336
	v_mov_b32_e32 v3, 0
	s_delay_alu instid0(VALU_DEP_1)
	v_mov_b32_e32 v4, v3
	scratch_store_b64 off, v[3:4], off offset:336
	s_wait_loadcnt 0x0
	ds_store_b64 v27, v[1:2]
.LBB119_265:
	s_wait_alu 0xfffe
	s_or_b32 exec_lo, exec_lo, s0
	s_wait_storecnt_dscnt 0x0
	s_barrier_signal -1
	s_barrier_wait -1
	global_inv scope:SCOPE_SE
	s_clause 0x7
	scratch_load_b128 v[2:5], off, off offset:344
	scratch_load_b128 v[6:9], off, off offset:360
	;; [unrolled: 1-line block ×6, first 2 shown]
	scratch_load_b64 v[164:165], off, off offset:440
	scratch_load_b64 v[166:167], off, off offset:336
	v_mov_b32_e32 v1, 0
	ds_load_2addr_b64 v[28:31], v1 offset0:99 offset1:100
	ds_load_2addr_b64 v[144:147], v1 offset0:101 offset1:102
	;; [unrolled: 1-line block ×6, first 2 shown]
	ds_load_b64 v[168:169], v1 offset:888
	s_mov_b32 s0, exec_lo
	s_wait_loadcnt_dscnt 0x706
	v_mul_f32_e32 v26, v28, v3
	v_dual_mul_f32 v3, v29, v3 :: v_dual_mul_f32 v170, v30, v5
	s_wait_loadcnt_dscnt 0x302
	v_dual_mul_f32 v171, v144, v7 :: v_dual_mul_f32 v178, v158, v21
	v_mul_f32_e32 v5, v31, v5
	s_delay_alu instid0(VALU_DEP_3)
	v_fma_f32 v3, v28, v2, -v3
	v_dual_mul_f32 v172, v146, v9 :: v_dual_mul_f32 v173, v148, v11
	s_wait_loadcnt_dscnt 0x100
	v_dual_mul_f32 v181, v168, v165 :: v_dual_fmac_f32 v26, v29, v2
	v_mul_f32_e32 v2, v145, v7
	v_dual_fmac_f32 v170, v31, v4 :: v_dual_add_f32 v3, 0, v3
	v_fma_f32 v4, v30, v4, -v5
	s_delay_alu instid0(VALU_DEP_4) | instskip(SKIP_2) | instid1(VALU_DEP_4)
	v_dual_add_f32 v5, 0, v26 :: v_dual_fmac_f32 v172, v147, v8
	v_mul_f32_e32 v7, v147, v9
	v_fma_f32 v2, v144, v6, -v2
	v_add_f32_e32 v3, v3, v4
	v_fmac_f32_e32 v171, v145, v6
	v_add_f32_e32 v4, v5, v170
	v_mul_f32_e32 v5, v149, v11
	v_fma_f32 v6, v146, v8, -v7
	v_add_f32_e32 v2, v3, v2
	v_dual_mul_f32 v174, v150, v13 :: v_dual_mul_f32 v175, v152, v15
	v_dual_add_f32 v3, v4, v171 :: v_dual_mul_f32 v4, v151, v13
	v_fma_f32 v5, v148, v10, -v5
	s_delay_alu instid0(VALU_DEP_4)
	v_add_f32_e32 v2, v2, v6
	v_fmac_f32_e32 v173, v149, v10
	v_mul_f32_e32 v6, v153, v15
	v_fmac_f32_e32 v174, v151, v12
	v_add_f32_e32 v3, v3, v172
	v_fma_f32 v4, v150, v12, -v4
	v_add_f32_e32 v2, v2, v5
	v_dual_mul_f32 v176, v154, v17 :: v_dual_mul_f32 v177, v156, v19
	s_delay_alu instid0(VALU_DEP_4)
	v_add_f32_e32 v3, v3, v173
	v_mul_f32_e32 v5, v155, v17
	v_fma_f32 v6, v152, v14, -v6
	v_dual_add_f32 v2, v2, v4 :: v_dual_fmac_f32 v175, v153, v14
	v_fmac_f32_e32 v176, v155, v16
	v_mul_f32_e32 v4, v157, v19
	v_fma_f32 v5, v154, v16, -v5
	s_delay_alu instid0(VALU_DEP_4) | instskip(SKIP_3) | instid1(VALU_DEP_3)
	v_add_f32_e32 v2, v2, v6
	v_add_f32_e32 v3, v3, v174
	v_dual_mul_f32 v6, v159, v21 :: v_dual_fmac_f32 v177, v157, v18
	v_fma_f32 v4, v156, v18, -v4
	v_dual_add_f32 v2, v2, v5 :: v_dual_add_f32 v3, v3, v175
	s_delay_alu instid0(VALU_DEP_3) | instskip(SKIP_1) | instid1(VALU_DEP_3)
	v_fma_f32 v6, v158, v20, -v6
	v_dual_mul_f32 v179, v160, v23 :: v_dual_mul_f32 v180, v162, v25
	v_add_f32_e32 v2, v2, v4
	s_delay_alu instid0(VALU_DEP_4) | instskip(SKIP_1) | instid1(VALU_DEP_4)
	v_add_f32_e32 v3, v3, v176
	v_dual_mul_f32 v5, v161, v23 :: v_dual_fmac_f32 v178, v159, v20
	v_dual_mul_f32 v4, v163, v25 :: v_dual_fmac_f32 v179, v161, v22
	s_delay_alu instid0(VALU_DEP_3) | instskip(NEXT) | instid1(VALU_DEP_3)
	v_dual_add_f32 v2, v2, v6 :: v_dual_add_f32 v3, v3, v177
	v_fma_f32 v5, v160, v22, -v5
	v_mul_f32_e32 v6, v169, v165
	v_fmac_f32_e32 v180, v163, v24
	v_fma_f32 v4, v162, v24, -v4
	s_delay_alu instid0(VALU_DEP_4) | instskip(NEXT) | instid1(VALU_DEP_4)
	v_dual_add_f32 v3, v3, v178 :: v_dual_add_f32 v2, v2, v5
	v_fma_f32 v5, v168, v164, -v6
	s_delay_alu instid0(VALU_DEP_2) | instskip(NEXT) | instid1(VALU_DEP_1)
	v_add_f32_e32 v3, v3, v179
	v_add_f32_e32 v3, v3, v180
	s_delay_alu instid0(VALU_DEP_4) | instskip(NEXT) | instid1(VALU_DEP_1)
	v_add_f32_e32 v2, v2, v4
	v_dual_fmac_f32 v181, v169, v164 :: v_dual_add_f32 v2, v2, v5
	s_wait_loadcnt 0x0
	s_delay_alu instid0(VALU_DEP_1) | instskip(NEXT) | instid1(VALU_DEP_1)
	v_dual_sub_f32 v2, v166, v2 :: v_dual_add_f32 v3, v3, v181
	v_sub_f32_e32 v3, v167, v3
	scratch_store_b64 off, v[2:3], off offset:336
	v_cmpx_lt_u32_e32 41, v0
	s_cbranch_execz .LBB119_267
; %bb.266:
	scratch_load_b64 v[3:4], off, off offset:328
	v_mov_b32_e32 v2, v1
	scratch_store_b64 off, v[1:2], off offset:328
	s_wait_loadcnt 0x0
	ds_store_b64 v27, v[3:4]
.LBB119_267:
	s_wait_alu 0xfffe
	s_or_b32 exec_lo, exec_lo, s0
	s_wait_storecnt_dscnt 0x0
	s_barrier_signal -1
	s_barrier_wait -1
	global_inv scope:SCOPE_SE
	s_clause 0x7
	scratch_load_b128 v[2:5], off, off offset:336
	scratch_load_b128 v[6:9], off, off offset:352
	;; [unrolled: 1-line block ×7, first 2 shown]
	scratch_load_b64 v[172:173], off, off offset:328
	ds_load_b128 v[144:147], v1 offset:784
	ds_load_b128 v[148:151], v1 offset:800
	;; [unrolled: 1-line block ×7, first 2 shown]
	s_mov_b32 s0, exec_lo
	s_wait_loadcnt_dscnt 0x706
	v_dual_mul_f32 v1, v144, v3 :: v_dual_mul_f32 v26, v146, v5
	v_mul_f32_e32 v3, v145, v3
	s_wait_loadcnt_dscnt 0x605
	v_dual_mul_f32 v5, v147, v5 :: v_dual_mul_f32 v174, v148, v7
	v_mul_f32_e32 v175, v150, v9
	s_wait_loadcnt_dscnt 0x100
	v_mul_f32_e32 v184, v168, v29
	v_fma_f32 v3, v144, v2, -v3
	v_dual_mul_f32 v185, v170, v31 :: v_dual_fmac_f32 v26, v147, v4
	v_fmac_f32_e32 v1, v145, v2
	v_mul_f32_e32 v2, v149, v7
	v_fma_f32 v4, v146, v4, -v5
	v_dual_add_f32 v3, 0, v3 :: v_dual_fmac_f32 v174, v149, v6
	v_dual_mul_f32 v176, v152, v11 :: v_dual_mul_f32 v177, v154, v13
	v_dual_mul_f32 v178, v156, v15 :: v_dual_mul_f32 v179, v158, v17
	s_delay_alu instid0(VALU_DEP_2) | instskip(SKIP_1) | instid1(VALU_DEP_3)
	v_dual_mul_f32 v5, v151, v9 :: v_dual_fmac_f32 v176, v153, v10
	v_fma_f32 v2, v148, v6, -v2
	v_dual_add_f32 v3, v3, v4 :: v_dual_fmac_f32 v178, v157, v14
	s_delay_alu instid0(VALU_DEP_3) | instskip(SKIP_2) | instid1(VALU_DEP_4)
	v_fma_f32 v5, v150, v8, -v5
	v_mul_f32_e32 v4, v153, v11
	v_dual_mul_f32 v180, v160, v19 :: v_dual_mul_f32 v181, v162, v21
	v_add_f32_e32 v2, v3, v2
	v_mul_f32_e32 v3, v155, v13
	s_delay_alu instid0(VALU_DEP_4) | instskip(NEXT) | instid1(VALU_DEP_4)
	v_fma_f32 v4, v152, v10, -v4
	v_fmac_f32_e32 v180, v161, v18
	v_dual_mul_f32 v182, v164, v23 :: v_dual_mul_f32 v183, v166, v25
	v_add_f32_e32 v2, v2, v5
	v_add_f32_e32 v1, 0, v1
	v_fma_f32 v3, v154, v12, -v3
	v_fmac_f32_e32 v179, v159, v16
	v_fmac_f32_e32 v183, v167, v24
	s_delay_alu instid0(VALU_DEP_4) | instskip(SKIP_2) | instid1(VALU_DEP_3)
	v_dual_add_f32 v2, v2, v4 :: v_dual_add_f32 v1, v1, v26
	v_mul_f32_e32 v4, v159, v17
	v_fmac_f32_e32 v175, v151, v8
	v_dual_fmac_f32 v185, v171, v30 :: v_dual_add_f32 v2, v2, v3
	s_delay_alu instid0(VALU_DEP_4) | instskip(NEXT) | instid1(VALU_DEP_4)
	v_add_f32_e32 v1, v1, v174
	v_fma_f32 v4, v158, v16, -v4
	v_mul_f32_e32 v5, v157, v15
	v_fmac_f32_e32 v182, v165, v22
	v_fmac_f32_e32 v184, v169, v28
	v_add_f32_e32 v1, v1, v175
	s_delay_alu instid0(VALU_DEP_4) | instskip(NEXT) | instid1(VALU_DEP_1)
	v_fma_f32 v5, v156, v14, -v5
	v_dual_fmac_f32 v177, v155, v12 :: v_dual_add_f32 v2, v2, v5
	s_delay_alu instid0(VALU_DEP_1) | instskip(NEXT) | instid1(VALU_DEP_1)
	v_dual_mul_f32 v5, v163, v21 :: v_dual_add_f32 v2, v2, v4
	v_fma_f32 v5, v162, v20, -v5
	v_mul_f32_e32 v3, v161, v19
	v_mul_f32_e32 v4, v165, v23
	s_delay_alu instid0(VALU_DEP_2) | instskip(SKIP_1) | instid1(VALU_DEP_3)
	v_fma_f32 v3, v160, v18, -v3
	v_add_f32_e32 v1, v1, v176
	v_fma_f32 v4, v164, v22, -v4
	s_delay_alu instid0(VALU_DEP_3) | instskip(NEXT) | instid1(VALU_DEP_1)
	v_dual_add_f32 v2, v2, v3 :: v_dual_mul_f32 v3, v167, v25
	v_add_f32_e32 v2, v2, v5
	s_delay_alu instid0(VALU_DEP_4) | instskip(SKIP_1) | instid1(VALU_DEP_4)
	v_add_f32_e32 v1, v1, v177
	v_mul_f32_e32 v5, v169, v29
	v_fma_f32 v3, v166, v24, -v3
	s_delay_alu instid0(VALU_DEP_3) | instskip(SKIP_3) | instid1(VALU_DEP_4)
	v_dual_add_f32 v2, v2, v4 :: v_dual_add_f32 v1, v1, v178
	v_mul_f32_e32 v4, v171, v31
	v_fmac_f32_e32 v181, v163, v20
	v_fma_f32 v5, v168, v28, -v5
	v_add_f32_e32 v2, v2, v3
	v_add_f32_e32 v1, v1, v179
	v_fma_f32 v3, v170, v30, -v4
	s_delay_alu instid0(VALU_DEP_2) | instskip(NEXT) | instid1(VALU_DEP_1)
	v_dual_add_f32 v2, v2, v5 :: v_dual_add_f32 v1, v1, v180
	v_dual_add_f32 v2, v2, v3 :: v_dual_add_f32 v1, v1, v181
	s_delay_alu instid0(VALU_DEP_1) | instskip(NEXT) | instid1(VALU_DEP_1)
	v_add_f32_e32 v1, v1, v182
	v_add_f32_e32 v1, v1, v183
	s_delay_alu instid0(VALU_DEP_1) | instskip(NEXT) | instid1(VALU_DEP_1)
	v_add_f32_e32 v1, v1, v184
	v_add_f32_e32 v3, v1, v185
	s_wait_loadcnt 0x0
	s_delay_alu instid0(VALU_DEP_1)
	v_dual_sub_f32 v1, v172, v2 :: v_dual_sub_f32 v2, v173, v3
	scratch_store_b64 off, v[1:2], off offset:328
	v_cmpx_lt_u32_e32 40, v0
	s_cbranch_execz .LBB119_269
; %bb.268:
	scratch_load_b64 v[1:2], off, off offset:320
	v_mov_b32_e32 v3, 0
	s_delay_alu instid0(VALU_DEP_1)
	v_mov_b32_e32 v4, v3
	scratch_store_b64 off, v[3:4], off offset:320
	s_wait_loadcnt 0x0
	ds_store_b64 v27, v[1:2]
.LBB119_269:
	s_wait_alu 0xfffe
	s_or_b32 exec_lo, exec_lo, s0
	s_wait_storecnt_dscnt 0x0
	s_barrier_signal -1
	s_barrier_wait -1
	global_inv scope:SCOPE_SE
	s_clause 0x8
	scratch_load_b128 v[2:5], off, off offset:328
	scratch_load_b128 v[6:9], off, off offset:344
	;; [unrolled: 1-line block ×7, first 2 shown]
	scratch_load_b64 v[172:173], off, off offset:440
	scratch_load_b64 v[174:175], off, off offset:320
	v_mov_b32_e32 v1, 0
	ds_load_2addr_b64 v[144:147], v1 offset0:97 offset1:98
	ds_load_2addr_b64 v[148:151], v1 offset0:99 offset1:100
	;; [unrolled: 1-line block ×7, first 2 shown]
	ds_load_b64 v[176:177], v1 offset:888
	s_mov_b32 s0, exec_lo
	s_wait_loadcnt_dscnt 0x807
	v_mul_f32_e32 v26, v144, v3
	v_dual_mul_f32 v3, v145, v3 :: v_dual_mul_f32 v178, v146, v5
	s_wait_loadcnt_dscnt 0x706
	v_mul_f32_e32 v179, v148, v7
	v_mul_f32_e32 v5, v147, v5
	s_wait_loadcnt_dscnt 0x302
	v_mul_f32_e32 v188, v166, v25
	v_fma_f32 v3, v144, v2, -v3
	v_dual_mul_f32 v180, v150, v9 :: v_dual_mul_f32 v181, v152, v11
	s_wait_loadcnt_dscnt 0x100
	v_dual_mul_f32 v191, v176, v173 :: v_dual_fmac_f32 v26, v145, v2
	v_mul_f32_e32 v2, v149, v7
	v_dual_fmac_f32 v178, v147, v4 :: v_dual_add_f32 v3, 0, v3
	v_fma_f32 v4, v146, v4, -v5
	s_delay_alu instid0(VALU_DEP_4) | instskip(SKIP_2) | instid1(VALU_DEP_4)
	v_dual_add_f32 v5, 0, v26 :: v_dual_fmac_f32 v180, v151, v8
	v_mul_f32_e32 v7, v151, v9
	v_fma_f32 v2, v148, v6, -v2
	v_add_f32_e32 v3, v3, v4
	v_fmac_f32_e32 v179, v149, v6
	v_add_f32_e32 v4, v5, v178
	v_mul_f32_e32 v5, v153, v11
	v_fma_f32 v6, v150, v8, -v7
	v_add_f32_e32 v2, v3, v2
	v_dual_mul_f32 v182, v154, v13 :: v_dual_mul_f32 v183, v156, v15
	v_dual_add_f32 v3, v4, v179 :: v_dual_mul_f32 v4, v155, v13
	v_fma_f32 v5, v152, v10, -v5
	s_delay_alu instid0(VALU_DEP_4)
	v_add_f32_e32 v2, v2, v6
	v_fmac_f32_e32 v181, v153, v10
	v_mul_f32_e32 v6, v157, v15
	v_fmac_f32_e32 v182, v155, v12
	v_add_f32_e32 v3, v3, v180
	v_fma_f32 v4, v154, v12, -v4
	v_add_f32_e32 v2, v2, v5
	v_dual_mul_f32 v184, v158, v17 :: v_dual_mul_f32 v185, v160, v19
	s_delay_alu instid0(VALU_DEP_4)
	v_add_f32_e32 v3, v3, v181
	v_mul_f32_e32 v5, v159, v17
	v_fma_f32 v6, v156, v14, -v6
	v_dual_add_f32 v2, v2, v4 :: v_dual_fmac_f32 v183, v157, v14
	v_fmac_f32_e32 v184, v159, v16
	v_mul_f32_e32 v4, v161, v19
	v_fma_f32 v5, v158, v16, -v5
	s_delay_alu instid0(VALU_DEP_4) | instskip(SKIP_3) | instid1(VALU_DEP_3)
	v_add_f32_e32 v2, v2, v6
	v_add_f32_e32 v3, v3, v182
	v_dual_mul_f32 v6, v163, v21 :: v_dual_fmac_f32 v185, v161, v18
	v_fma_f32 v4, v160, v18, -v4
	v_dual_add_f32 v2, v2, v5 :: v_dual_add_f32 v3, v3, v183
	v_dual_mul_f32 v186, v162, v21 :: v_dual_mul_f32 v187, v164, v23
	s_delay_alu instid0(VALU_DEP_4) | instskip(NEXT) | instid1(VALU_DEP_3)
	v_fma_f32 v6, v162, v20, -v6
	v_add_f32_e32 v2, v2, v4
	s_delay_alu instid0(VALU_DEP_4) | instskip(NEXT) | instid1(VALU_DEP_4)
	v_add_f32_e32 v3, v3, v184
	v_dual_mul_f32 v5, v165, v23 :: v_dual_fmac_f32 v186, v163, v20
	v_dual_mul_f32 v4, v167, v25 :: v_dual_fmac_f32 v187, v165, v22
	s_delay_alu instid0(VALU_DEP_3) | instskip(NEXT) | instid1(VALU_DEP_3)
	v_dual_add_f32 v2, v2, v6 :: v_dual_add_f32 v3, v3, v185
	v_fma_f32 v5, v164, v22, -v5
	v_dual_mul_f32 v189, v168, v29 :: v_dual_mul_f32 v190, v170, v31
	s_delay_alu instid0(VALU_DEP_3) | instskip(SKIP_2) | instid1(VALU_DEP_4)
	v_dual_mul_f32 v6, v169, v29 :: v_dual_add_f32 v3, v3, v186
	v_fmac_f32_e32 v188, v167, v24
	v_fma_f32 v4, v166, v24, -v4
	v_dual_add_f32 v2, v2, v5 :: v_dual_fmac_f32 v189, v169, v28
	v_fmac_f32_e32 v190, v171, v30
	v_add_f32_e32 v3, v3, v187
	s_delay_alu instid0(VALU_DEP_3) | instskip(SKIP_1) | instid1(VALU_DEP_3)
	v_dual_mul_f32 v5, v171, v31 :: v_dual_add_f32 v2, v2, v4
	v_fma_f32 v6, v168, v28, -v6
	v_dual_mul_f32 v4, v177, v173 :: v_dual_add_f32 v3, v3, v188
	s_delay_alu instid0(VALU_DEP_3) | instskip(NEXT) | instid1(VALU_DEP_3)
	v_fma_f32 v5, v170, v30, -v5
	v_add_f32_e32 v2, v2, v6
	s_delay_alu instid0(VALU_DEP_3) | instskip(NEXT) | instid1(VALU_DEP_4)
	v_fma_f32 v4, v176, v172, -v4
	v_add_f32_e32 v3, v3, v189
	s_delay_alu instid0(VALU_DEP_3) | instskip(NEXT) | instid1(VALU_DEP_1)
	v_dual_fmac_f32 v191, v177, v172 :: v_dual_add_f32 v2, v2, v5
	v_dual_add_f32 v3, v3, v190 :: v_dual_add_f32 v2, v2, v4
	s_wait_loadcnt 0x0
	s_delay_alu instid0(VALU_DEP_1) | instskip(NEXT) | instid1(VALU_DEP_1)
	v_dual_add_f32 v3, v3, v191 :: v_dual_sub_f32 v2, v174, v2
	v_sub_f32_e32 v3, v175, v3
	scratch_store_b64 off, v[2:3], off offset:320
	v_cmpx_lt_u32_e32 39, v0
	s_cbranch_execz .LBB119_271
; %bb.270:
	scratch_load_b64 v[3:4], off, off offset:312
	v_mov_b32_e32 v2, v1
	scratch_store_b64 off, v[1:2], off offset:312
	s_wait_loadcnt 0x0
	ds_store_b64 v27, v[3:4]
.LBB119_271:
	s_wait_alu 0xfffe
	s_or_b32 exec_lo, exec_lo, s0
	s_wait_storecnt_dscnt 0x0
	s_barrier_signal -1
	s_barrier_wait -1
	global_inv scope:SCOPE_SE
	s_clause 0x8
	scratch_load_b128 v[2:5], off, off offset:320
	scratch_load_b128 v[6:9], off, off offset:336
	;; [unrolled: 1-line block ×8, first 2 shown]
	scratch_load_b64 v[180:181], off, off offset:312
	ds_load_b128 v[148:151], v1 offset:768
	ds_load_b128 v[152:155], v1 offset:784
	;; [unrolled: 1-line block ×8, first 2 shown]
	s_mov_b32 s0, exec_lo
	s_wait_loadcnt_dscnt 0x807
	v_dual_mul_f32 v1, v148, v3 :: v_dual_mul_f32 v26, v150, v5
	v_mul_f32_e32 v3, v149, v3
	s_wait_loadcnt_dscnt 0x706
	v_dual_mul_f32 v5, v151, v5 :: v_dual_mul_f32 v182, v152, v7
	v_mul_f32_e32 v183, v154, v9
	s_wait_loadcnt_dscnt 0x201
	v_mul_f32_e32 v192, v172, v29
	v_fma_f32 v3, v148, v2, -v3
	s_wait_loadcnt_dscnt 0x100
	v_dual_mul_f32 v195, v178, v147 :: v_dual_fmac_f32 v26, v151, v4
	v_fmac_f32_e32 v1, v149, v2
	v_mul_f32_e32 v2, v153, v7
	v_fma_f32 v4, v150, v4, -v5
	v_dual_add_f32 v3, 0, v3 :: v_dual_fmac_f32 v182, v153, v6
	v_dual_mul_f32 v184, v156, v11 :: v_dual_mul_f32 v185, v158, v13
	v_dual_mul_f32 v186, v160, v15 :: v_dual_mul_f32 v187, v162, v17
	s_delay_alu instid0(VALU_DEP_2) | instskip(SKIP_1) | instid1(VALU_DEP_3)
	v_dual_mul_f32 v5, v155, v9 :: v_dual_fmac_f32 v184, v157, v10
	v_fma_f32 v2, v152, v6, -v2
	v_dual_add_f32 v3, v3, v4 :: v_dual_fmac_f32 v186, v161, v14
	s_delay_alu instid0(VALU_DEP_3) | instskip(SKIP_1) | instid1(VALU_DEP_3)
	v_fma_f32 v5, v154, v8, -v5
	v_dual_mul_f32 v188, v164, v19 :: v_dual_mul_f32 v189, v166, v21
	v_add_f32_e32 v2, v3, v2
	v_dual_mul_f32 v4, v157, v11 :: v_dual_mul_f32 v3, v159, v13
	s_delay_alu instid0(VALU_DEP_3) | instskip(SKIP_1) | instid1(VALU_DEP_4)
	v_fmac_f32_e32 v188, v165, v18
	v_dual_mul_f32 v190, v168, v23 :: v_dual_mul_f32 v191, v170, v25
	v_add_f32_e32 v2, v2, v5
	v_add_f32_e32 v1, 0, v1
	v_fma_f32 v4, v156, v10, -v4
	v_fma_f32 v3, v158, v12, -v3
	v_fmac_f32_e32 v187, v163, v16
	v_fmac_f32_e32 v191, v171, v24
	s_delay_alu instid0(VALU_DEP_4) | instskip(SKIP_3) | instid1(VALU_DEP_4)
	v_dual_add_f32 v1, v1, v26 :: v_dual_add_f32 v2, v2, v4
	v_mul_f32_e32 v4, v163, v17
	v_fmac_f32_e32 v183, v155, v8
	v_dual_mul_f32 v193, v174, v31 :: v_dual_mul_f32 v194, v176, v145
	v_add_f32_e32 v1, v1, v182
	s_delay_alu instid0(VALU_DEP_4) | instskip(SKIP_1) | instid1(VALU_DEP_4)
	v_fma_f32 v4, v162, v16, -v4
	v_mul_f32_e32 v5, v161, v15
	v_dual_add_f32 v2, v2, v3 :: v_dual_fmac_f32 v193, v175, v30
	v_fmac_f32_e32 v194, v177, v144
	v_add_f32_e32 v1, v1, v183
	s_delay_alu instid0(VALU_DEP_4) | instskip(SKIP_2) | instid1(VALU_DEP_3)
	v_fma_f32 v5, v160, v14, -v5
	v_dual_fmac_f32 v185, v159, v12 :: v_dual_fmac_f32 v190, v169, v22
	v_dual_fmac_f32 v195, v179, v146 :: v_dual_fmac_f32 v192, v173, v28
	v_add_f32_e32 v2, v2, v5
	s_delay_alu instid0(VALU_DEP_1) | instskip(NEXT) | instid1(VALU_DEP_1)
	v_dual_mul_f32 v5, v167, v21 :: v_dual_add_f32 v2, v2, v4
	v_fma_f32 v5, v166, v20, -v5
	v_mul_f32_e32 v3, v165, v19
	v_mul_f32_e32 v4, v169, v23
	s_delay_alu instid0(VALU_DEP_2) | instskip(SKIP_1) | instid1(VALU_DEP_3)
	v_fma_f32 v3, v164, v18, -v3
	v_add_f32_e32 v1, v1, v184
	v_fma_f32 v4, v168, v22, -v4
	s_delay_alu instid0(VALU_DEP_3) | instskip(NEXT) | instid1(VALU_DEP_1)
	v_dual_add_f32 v2, v2, v3 :: v_dual_mul_f32 v3, v171, v25
	v_add_f32_e32 v2, v2, v5
	s_delay_alu instid0(VALU_DEP_4) | instskip(NEXT) | instid1(VALU_DEP_3)
	v_add_f32_e32 v1, v1, v185
	v_fma_f32 v3, v170, v24, -v3
	s_delay_alu instid0(VALU_DEP_2) | instskip(SKIP_1) | instid1(VALU_DEP_2)
	v_dual_add_f32 v2, v2, v4 :: v_dual_add_f32 v1, v1, v186
	v_mul_f32_e32 v4, v175, v31
	v_dual_fmac_f32 v189, v167, v20 :: v_dual_add_f32 v2, v2, v3
	v_mul_f32_e32 v3, v177, v145
	s_delay_alu instid0(VALU_DEP_3) | instskip(SKIP_1) | instid1(VALU_DEP_3)
	v_fma_f32 v4, v174, v30, -v4
	v_mul_f32_e32 v5, v173, v29
	v_fma_f32 v3, v176, v144, -v3
	s_delay_alu instid0(VALU_DEP_2) | instskip(NEXT) | instid1(VALU_DEP_1)
	v_fma_f32 v5, v172, v28, -v5
	v_dual_add_f32 v1, v1, v187 :: v_dual_add_f32 v2, v2, v5
	s_delay_alu instid0(VALU_DEP_1) | instskip(NEXT) | instid1(VALU_DEP_2)
	v_dual_mul_f32 v5, v179, v147 :: v_dual_add_f32 v2, v2, v4
	v_add_f32_e32 v1, v1, v188
	s_delay_alu instid0(VALU_DEP_2) | instskip(NEXT) | instid1(VALU_DEP_2)
	v_fma_f32 v4, v178, v146, -v5
	v_dual_add_f32 v2, v2, v3 :: v_dual_add_f32 v1, v1, v189
	s_delay_alu instid0(VALU_DEP_1) | instskip(NEXT) | instid1(VALU_DEP_1)
	v_dual_add_f32 v2, v2, v4 :: v_dual_add_f32 v1, v1, v190
	v_add_f32_e32 v1, v1, v191
	s_delay_alu instid0(VALU_DEP_1) | instskip(NEXT) | instid1(VALU_DEP_1)
	v_add_f32_e32 v1, v1, v192
	v_add_f32_e32 v1, v1, v193
	s_delay_alu instid0(VALU_DEP_1) | instskip(NEXT) | instid1(VALU_DEP_1)
	v_add_f32_e32 v1, v1, v194
	v_add_f32_e32 v3, v1, v195
	s_wait_loadcnt 0x0
	s_delay_alu instid0(VALU_DEP_1)
	v_dual_sub_f32 v1, v180, v2 :: v_dual_sub_f32 v2, v181, v3
	scratch_store_b64 off, v[1:2], off offset:312
	v_cmpx_lt_u32_e32 38, v0
	s_cbranch_execz .LBB119_273
; %bb.272:
	scratch_load_b64 v[1:2], off, off offset:304
	v_mov_b32_e32 v3, 0
	s_delay_alu instid0(VALU_DEP_1)
	v_mov_b32_e32 v4, v3
	scratch_store_b64 off, v[3:4], off offset:304
	s_wait_loadcnt 0x0
	ds_store_b64 v27, v[1:2]
.LBB119_273:
	s_wait_alu 0xfffe
	s_or_b32 exec_lo, exec_lo, s0
	s_wait_storecnt_dscnt 0x0
	s_barrier_signal -1
	s_barrier_wait -1
	global_inv scope:SCOPE_SE
	s_clause 0x9
	scratch_load_b128 v[2:5], off, off offset:312
	scratch_load_b128 v[6:9], off, off offset:328
	;; [unrolled: 1-line block ×8, first 2 shown]
	scratch_load_b64 v[180:181], off, off offset:440
	scratch_load_b64 v[182:183], off, off offset:304
	v_mov_b32_e32 v1, 0
	ds_load_2addr_b64 v[148:151], v1 offset0:95 offset1:96
	ds_load_2addr_b64 v[152:155], v1 offset0:97 offset1:98
	;; [unrolled: 1-line block ×8, first 2 shown]
	ds_load_b64 v[184:185], v1 offset:888
	s_mov_b32 s0, exec_lo
	s_wait_loadcnt_dscnt 0x908
	v_mul_f32_e32 v26, v148, v3
	v_dual_mul_f32 v3, v149, v3 :: v_dual_mul_f32 v186, v150, v5
	s_wait_loadcnt_dscnt 0x807
	v_mul_f32_e32 v187, v152, v7
	v_mul_f32_e32 v5, v151, v5
	s_wait_loadcnt_dscnt 0x403
	v_mul_f32_e32 v196, v170, v25
	v_fma_f32 v3, v148, v2, -v3
	v_dual_mul_f32 v188, v154, v9 :: v_dual_mul_f32 v189, v156, v11
	s_wait_loadcnt_dscnt 0x100
	v_dual_mul_f32 v201, v184, v181 :: v_dual_fmac_f32 v26, v149, v2
	v_mul_f32_e32 v2, v153, v7
	v_dual_fmac_f32 v186, v151, v4 :: v_dual_add_f32 v3, 0, v3
	v_fma_f32 v4, v150, v4, -v5
	s_delay_alu instid0(VALU_DEP_4) | instskip(SKIP_2) | instid1(VALU_DEP_4)
	v_dual_add_f32 v5, 0, v26 :: v_dual_fmac_f32 v188, v155, v8
	v_mul_f32_e32 v7, v155, v9
	v_fma_f32 v2, v152, v6, -v2
	v_add_f32_e32 v3, v3, v4
	v_fmac_f32_e32 v187, v153, v6
	v_add_f32_e32 v4, v5, v186
	v_mul_f32_e32 v5, v157, v11
	v_fma_f32 v6, v154, v8, -v7
	v_add_f32_e32 v2, v3, v2
	v_dual_mul_f32 v190, v158, v13 :: v_dual_mul_f32 v191, v160, v15
	v_dual_add_f32 v3, v4, v187 :: v_dual_mul_f32 v4, v159, v13
	v_fma_f32 v5, v156, v10, -v5
	s_delay_alu instid0(VALU_DEP_4)
	v_add_f32_e32 v2, v2, v6
	v_fmac_f32_e32 v189, v157, v10
	v_mul_f32_e32 v6, v161, v15
	v_fmac_f32_e32 v190, v159, v12
	v_add_f32_e32 v3, v3, v188
	v_fma_f32 v4, v158, v12, -v4
	v_add_f32_e32 v2, v2, v5
	v_dual_mul_f32 v192, v162, v17 :: v_dual_mul_f32 v193, v164, v19
	s_delay_alu instid0(VALU_DEP_4)
	v_add_f32_e32 v3, v3, v189
	v_mul_f32_e32 v5, v163, v17
	v_fma_f32 v6, v160, v14, -v6
	v_dual_add_f32 v2, v2, v4 :: v_dual_fmac_f32 v191, v161, v14
	v_fmac_f32_e32 v192, v163, v16
	v_mul_f32_e32 v4, v165, v19
	v_fma_f32 v5, v162, v16, -v5
	s_delay_alu instid0(VALU_DEP_4) | instskip(SKIP_3) | instid1(VALU_DEP_3)
	v_add_f32_e32 v2, v2, v6
	v_add_f32_e32 v3, v3, v190
	v_dual_mul_f32 v6, v167, v21 :: v_dual_fmac_f32 v193, v165, v18
	v_fma_f32 v4, v164, v18, -v4
	v_dual_add_f32 v2, v2, v5 :: v_dual_add_f32 v3, v3, v191
	v_dual_mul_f32 v194, v166, v21 :: v_dual_mul_f32 v195, v168, v23
	v_mul_f32_e32 v5, v169, v23
	v_fma_f32 v6, v166, v20, -v6
	s_delay_alu instid0(VALU_DEP_4) | instskip(SKIP_4) | instid1(VALU_DEP_4)
	v_add_f32_e32 v2, v2, v4
	v_add_f32_e32 v3, v3, v192
	v_fmac_f32_e32 v194, v167, v20
	v_dual_mul_f32 v4, v171, v25 :: v_dual_fmac_f32 v195, v169, v22
	v_fma_f32 v5, v168, v22, -v5
	v_dual_add_f32 v2, v2, v6 :: v_dual_add_f32 v3, v3, v193
	v_mul_f32_e32 v6, v173, v29
	s_delay_alu instid0(VALU_DEP_4) | instskip(SKIP_1) | instid1(VALU_DEP_4)
	v_fma_f32 v4, v170, v24, -v4
	v_dual_mul_f32 v197, v172, v29 :: v_dual_mul_f32 v198, v174, v31
	v_dual_add_f32 v3, v3, v194 :: v_dual_add_f32 v2, v2, v5
	s_delay_alu instid0(VALU_DEP_4) | instskip(SKIP_1) | instid1(VALU_DEP_4)
	v_fma_f32 v6, v172, v28, -v6
	v_fmac_f32_e32 v196, v171, v24
	v_dual_fmac_f32 v197, v173, v28 :: v_dual_fmac_f32 v198, v175, v30
	s_delay_alu instid0(VALU_DEP_4) | instskip(SKIP_3) | instid1(VALU_DEP_3)
	v_add_f32_e32 v3, v3, v195
	v_dual_mul_f32 v5, v175, v31 :: v_dual_add_f32 v2, v2, v4
	v_dual_mul_f32 v199, v176, v145 :: v_dual_mul_f32 v200, v178, v147
	v_mul_f32_e32 v4, v177, v145
	v_fma_f32 v5, v174, v30, -v5
	s_delay_alu instid0(VALU_DEP_4) | instskip(NEXT) | instid1(VALU_DEP_4)
	v_add_f32_e32 v2, v2, v6
	v_dual_mul_f32 v6, v179, v147 :: v_dual_fmac_f32 v199, v177, v144
	s_delay_alu instid0(VALU_DEP_4) | instskip(SKIP_1) | instid1(VALU_DEP_4)
	v_fma_f32 v4, v176, v144, -v4
	v_dual_fmac_f32 v200, v179, v146 :: v_dual_fmac_f32 v201, v185, v180
	v_add_f32_e32 v2, v2, v5
	v_mul_f32_e32 v5, v185, v181
	v_add_f32_e32 v3, v3, v196
	v_fma_f32 v6, v178, v146, -v6
	s_delay_alu instid0(VALU_DEP_2) | instskip(NEXT) | instid1(VALU_DEP_1)
	v_add_f32_e32 v3, v3, v197
	v_dual_add_f32 v3, v3, v198 :: v_dual_add_f32 v2, v2, v4
	v_fma_f32 v4, v184, v180, -v5
	s_delay_alu instid0(VALU_DEP_2) | instskip(NEXT) | instid1(VALU_DEP_1)
	v_dual_add_f32 v3, v3, v199 :: v_dual_add_f32 v2, v2, v6
	v_add_f32_e32 v3, v3, v200
	s_delay_alu instid0(VALU_DEP_1) | instskip(SKIP_1) | instid1(VALU_DEP_1)
	v_dual_add_f32 v2, v2, v4 :: v_dual_add_f32 v3, v3, v201
	s_wait_loadcnt 0x0
	v_dual_sub_f32 v2, v182, v2 :: v_dual_sub_f32 v3, v183, v3
	scratch_store_b64 off, v[2:3], off offset:304
	v_cmpx_lt_u32_e32 37, v0
	s_cbranch_execz .LBB119_275
; %bb.274:
	scratch_load_b64 v[3:4], off, off offset:296
	v_mov_b32_e32 v2, v1
	scratch_store_b64 off, v[1:2], off offset:296
	s_wait_loadcnt 0x0
	ds_store_b64 v27, v[3:4]
.LBB119_275:
	s_wait_alu 0xfffe
	s_or_b32 exec_lo, exec_lo, s0
	s_wait_storecnt_dscnt 0x0
	s_barrier_signal -1
	s_barrier_wait -1
	global_inv scope:SCOPE_SE
	s_clause 0x9
	scratch_load_b128 v[2:5], off, off offset:304
	scratch_load_b128 v[6:9], off, off offset:320
	;; [unrolled: 1-line block ×9, first 2 shown]
	scratch_load_b64 v[188:189], off, off offset:296
	ds_load_b128 v[152:155], v1 offset:752
	ds_load_b128 v[156:159], v1 offset:768
	;; [unrolled: 1-line block ×9, first 2 shown]
	s_mov_b32 s0, exec_lo
	s_wait_loadcnt_dscnt 0x908
	v_dual_mul_f32 v1, v152, v3 :: v_dual_mul_f32 v26, v154, v5
	v_mul_f32_e32 v5, v155, v5
	v_mul_f32_e32 v3, v153, v3
	s_wait_loadcnt_dscnt 0x807
	v_dual_mul_f32 v190, v156, v7 :: v_dual_mul_f32 v191, v158, v9
	s_wait_loadcnt_dscnt 0x201
	v_dual_fmac_f32 v1, v153, v2 :: v_dual_mul_f32 v202, v180, v145
	v_fma_f32 v3, v152, v2, -v3
	s_wait_loadcnt_dscnt 0x100
	v_dual_mul_f32 v205, v186, v151 :: v_dual_fmac_f32 v26, v155, v4
	v_mul_f32_e32 v2, v157, v7
	v_fma_f32 v4, v154, v4, -v5
	v_dual_add_f32 v3, 0, v3 :: v_dual_fmac_f32 v190, v157, v6
	v_dual_mul_f32 v192, v160, v11 :: v_dual_mul_f32 v193, v162, v13
	v_dual_mul_f32 v194, v164, v15 :: v_dual_mul_f32 v195, v166, v17
	s_delay_alu instid0(VALU_DEP_2) | instskip(SKIP_1) | instid1(VALU_DEP_3)
	v_dual_mul_f32 v5, v159, v9 :: v_dual_fmac_f32 v192, v161, v10
	v_fma_f32 v2, v156, v6, -v2
	v_dual_add_f32 v3, v3, v4 :: v_dual_fmac_f32 v194, v165, v14
	s_delay_alu instid0(VALU_DEP_3) | instskip(SKIP_1) | instid1(VALU_DEP_3)
	v_fma_f32 v5, v158, v8, -v5
	v_dual_mul_f32 v196, v168, v19 :: v_dual_mul_f32 v197, v170, v21
	v_add_f32_e32 v2, v3, v2
	v_dual_mul_f32 v4, v161, v11 :: v_dual_mul_f32 v3, v163, v13
	s_delay_alu instid0(VALU_DEP_3) | instskip(SKIP_1) | instid1(VALU_DEP_4)
	v_fmac_f32_e32 v196, v169, v18
	v_dual_mul_f32 v198, v172, v23 :: v_dual_mul_f32 v199, v174, v25
	v_add_f32_e32 v2, v2, v5
	v_add_f32_e32 v1, 0, v1
	v_fma_f32 v4, v160, v10, -v4
	v_fma_f32 v3, v162, v12, -v3
	v_dual_fmac_f32 v195, v167, v16 :: v_dual_mul_f32 v200, v176, v29
	v_mul_f32_e32 v201, v178, v31
	s_delay_alu instid0(VALU_DEP_4) | instskip(SKIP_3) | instid1(VALU_DEP_4)
	v_dual_add_f32 v1, v1, v26 :: v_dual_add_f32 v2, v2, v4
	v_mul_f32_e32 v4, v167, v17
	v_fmac_f32_e32 v191, v159, v8
	v_dual_mul_f32 v203, v182, v147 :: v_dual_mul_f32 v204, v184, v149
	v_add_f32_e32 v1, v1, v190
	s_delay_alu instid0(VALU_DEP_4) | instskip(SKIP_2) | instid1(VALU_DEP_4)
	v_fma_f32 v4, v166, v16, -v4
	v_mul_f32_e32 v5, v165, v15
	v_dual_add_f32 v2, v2, v3 :: v_dual_fmac_f32 v199, v175, v24
	v_add_f32_e32 v1, v1, v191
	v_dual_fmac_f32 v201, v179, v30 :: v_dual_fmac_f32 v202, v181, v144
	s_delay_alu instid0(VALU_DEP_4) | instskip(SKIP_2) | instid1(VALU_DEP_3)
	v_fma_f32 v5, v164, v14, -v5
	v_dual_fmac_f32 v193, v163, v12 :: v_dual_fmac_f32 v198, v173, v22
	v_dual_fmac_f32 v205, v187, v150 :: v_dual_fmac_f32 v200, v177, v28
	v_add_f32_e32 v2, v2, v5
	v_dual_mul_f32 v5, v171, v21 :: v_dual_fmac_f32 v204, v185, v148
	s_delay_alu instid0(VALU_DEP_2) | instskip(NEXT) | instid1(VALU_DEP_2)
	v_add_f32_e32 v2, v2, v4
	v_fma_f32 v5, v170, v20, -v5
	v_mul_f32_e32 v3, v169, v19
	v_mul_f32_e32 v4, v173, v23
	s_delay_alu instid0(VALU_DEP_2) | instskip(SKIP_1) | instid1(VALU_DEP_3)
	v_fma_f32 v3, v168, v18, -v3
	v_add_f32_e32 v1, v1, v192
	v_fma_f32 v4, v172, v22, -v4
	s_delay_alu instid0(VALU_DEP_3) | instskip(NEXT) | instid1(VALU_DEP_1)
	v_dual_add_f32 v2, v2, v3 :: v_dual_mul_f32 v3, v175, v25
	v_add_f32_e32 v2, v2, v5
	s_delay_alu instid0(VALU_DEP_4) | instskip(NEXT) | instid1(VALU_DEP_3)
	v_add_f32_e32 v1, v1, v193
	v_fma_f32 v3, v174, v24, -v3
	s_delay_alu instid0(VALU_DEP_2) | instskip(SKIP_1) | instid1(VALU_DEP_2)
	v_dual_add_f32 v2, v2, v4 :: v_dual_add_f32 v1, v1, v194
	v_mul_f32_e32 v4, v179, v31
	v_dual_fmac_f32 v197, v171, v20 :: v_dual_add_f32 v2, v2, v3
	v_mul_f32_e32 v3, v181, v145
	s_delay_alu instid0(VALU_DEP_3) | instskip(SKIP_1) | instid1(VALU_DEP_3)
	v_fma_f32 v4, v178, v30, -v4
	v_mul_f32_e32 v5, v177, v29
	v_fma_f32 v3, v180, v144, -v3
	s_delay_alu instid0(VALU_DEP_2) | instskip(NEXT) | instid1(VALU_DEP_1)
	v_fma_f32 v5, v176, v28, -v5
	v_dual_add_f32 v1, v1, v195 :: v_dual_add_f32 v2, v2, v5
	s_delay_alu instid0(VALU_DEP_1) | instskip(NEXT) | instid1(VALU_DEP_2)
	v_dual_mul_f32 v5, v183, v147 :: v_dual_add_f32 v2, v2, v4
	v_add_f32_e32 v1, v1, v196
	v_mul_f32_e32 v4, v185, v149
	s_delay_alu instid0(VALU_DEP_3) | instskip(NEXT) | instid1(VALU_DEP_4)
	v_fma_f32 v5, v182, v146, -v5
	v_dual_add_f32 v2, v2, v3 :: v_dual_fmac_f32 v203, v183, v146
	v_mul_f32_e32 v3, v187, v151
	s_delay_alu instid0(VALU_DEP_4) | instskip(NEXT) | instid1(VALU_DEP_3)
	v_fma_f32 v4, v184, v148, -v4
	v_add_f32_e32 v2, v2, v5
	v_add_f32_e32 v1, v1, v197
	s_delay_alu instid0(VALU_DEP_4) | instskip(NEXT) | instid1(VALU_DEP_2)
	v_fma_f32 v3, v186, v150, -v3
	v_dual_add_f32 v2, v2, v4 :: v_dual_add_f32 v1, v1, v198
	s_delay_alu instid0(VALU_DEP_1) | instskip(NEXT) | instid1(VALU_DEP_2)
	v_add_f32_e32 v2, v2, v3
	v_add_f32_e32 v1, v1, v199
	s_delay_alu instid0(VALU_DEP_1) | instskip(NEXT) | instid1(VALU_DEP_1)
	v_add_f32_e32 v1, v1, v200
	v_add_f32_e32 v1, v1, v201
	s_delay_alu instid0(VALU_DEP_1) | instskip(NEXT) | instid1(VALU_DEP_1)
	;; [unrolled: 3-line block ×3, first 2 shown]
	v_add_f32_e32 v1, v1, v204
	v_add_f32_e32 v3, v1, v205
	s_wait_loadcnt 0x0
	s_delay_alu instid0(VALU_DEP_1)
	v_dual_sub_f32 v1, v188, v2 :: v_dual_sub_f32 v2, v189, v3
	scratch_store_b64 off, v[1:2], off offset:296
	v_cmpx_lt_u32_e32 36, v0
	s_cbranch_execz .LBB119_277
; %bb.276:
	scratch_load_b64 v[1:2], off, off offset:288
	v_mov_b32_e32 v3, 0
	s_delay_alu instid0(VALU_DEP_1)
	v_mov_b32_e32 v4, v3
	scratch_store_b64 off, v[3:4], off offset:288
	s_wait_loadcnt 0x0
	ds_store_b64 v27, v[1:2]
.LBB119_277:
	s_wait_alu 0xfffe
	s_or_b32 exec_lo, exec_lo, s0
	s_wait_storecnt_dscnt 0x0
	s_barrier_signal -1
	s_barrier_wait -1
	global_inv scope:SCOPE_SE
	s_clause 0xa
	scratch_load_b128 v[2:5], off, off offset:296
	scratch_load_b128 v[6:9], off, off offset:312
	;; [unrolled: 1-line block ×9, first 2 shown]
	scratch_load_b64 v[188:189], off, off offset:440
	scratch_load_b64 v[190:191], off, off offset:288
	v_mov_b32_e32 v1, 0
	ds_load_2addr_b64 v[152:155], v1 offset0:93 offset1:94
	ds_load_2addr_b64 v[156:159], v1 offset0:95 offset1:96
	;; [unrolled: 1-line block ×9, first 2 shown]
	ds_load_b64 v[192:193], v1 offset:888
	s_mov_b32 s0, exec_lo
	s_wait_loadcnt_dscnt 0xa09
	v_mul_f32_e32 v26, v152, v3
	v_dual_mul_f32 v3, v153, v3 :: v_dual_mul_f32 v194, v154, v5
	s_wait_loadcnt_dscnt 0x908
	v_mul_f32_e32 v195, v156, v7
	v_mul_f32_e32 v5, v155, v5
	s_wait_loadcnt_dscnt 0x504
	v_mul_f32_e32 v204, v174, v25
	v_fma_f32 v3, v152, v2, -v3
	v_dual_mul_f32 v196, v158, v9 :: v_dual_mul_f32 v197, v160, v11
	s_wait_loadcnt_dscnt 0x100
	v_dual_mul_f32 v211, v192, v189 :: v_dual_fmac_f32 v26, v153, v2
	v_mul_f32_e32 v2, v157, v7
	v_dual_fmac_f32 v194, v155, v4 :: v_dual_add_f32 v3, 0, v3
	v_fma_f32 v4, v154, v4, -v5
	s_delay_alu instid0(VALU_DEP_4) | instskip(SKIP_2) | instid1(VALU_DEP_4)
	v_dual_add_f32 v5, 0, v26 :: v_dual_fmac_f32 v196, v159, v8
	v_mul_f32_e32 v7, v159, v9
	v_fma_f32 v2, v156, v6, -v2
	v_add_f32_e32 v3, v3, v4
	v_fmac_f32_e32 v195, v157, v6
	v_add_f32_e32 v4, v5, v194
	v_mul_f32_e32 v5, v161, v11
	v_fma_f32 v6, v158, v8, -v7
	v_add_f32_e32 v2, v3, v2
	v_dual_mul_f32 v198, v162, v13 :: v_dual_mul_f32 v199, v164, v15
	v_dual_add_f32 v3, v4, v195 :: v_dual_mul_f32 v4, v163, v13
	v_fma_f32 v5, v160, v10, -v5
	s_delay_alu instid0(VALU_DEP_4)
	v_add_f32_e32 v2, v2, v6
	v_fmac_f32_e32 v197, v161, v10
	v_mul_f32_e32 v6, v165, v15
	v_fmac_f32_e32 v198, v163, v12
	v_add_f32_e32 v3, v3, v196
	v_fma_f32 v4, v162, v12, -v4
	v_add_f32_e32 v2, v2, v5
	v_dual_mul_f32 v200, v166, v17 :: v_dual_mul_f32 v201, v168, v19
	s_delay_alu instid0(VALU_DEP_4)
	v_add_f32_e32 v3, v3, v197
	v_mul_f32_e32 v5, v167, v17
	v_fma_f32 v6, v164, v14, -v6
	v_dual_add_f32 v2, v2, v4 :: v_dual_fmac_f32 v199, v165, v14
	v_fmac_f32_e32 v200, v167, v16
	v_mul_f32_e32 v4, v169, v19
	v_fma_f32 v5, v166, v16, -v5
	s_delay_alu instid0(VALU_DEP_4) | instskip(SKIP_3) | instid1(VALU_DEP_3)
	v_add_f32_e32 v2, v2, v6
	v_add_f32_e32 v3, v3, v198
	v_dual_mul_f32 v6, v171, v21 :: v_dual_fmac_f32 v201, v169, v18
	v_fma_f32 v4, v168, v18, -v4
	v_dual_add_f32 v2, v2, v5 :: v_dual_add_f32 v3, v3, v199
	v_dual_mul_f32 v202, v170, v21 :: v_dual_mul_f32 v203, v172, v23
	v_mul_f32_e32 v5, v173, v23
	v_fma_f32 v6, v170, v20, -v6
	s_delay_alu instid0(VALU_DEP_4) | instskip(SKIP_4) | instid1(VALU_DEP_4)
	v_add_f32_e32 v2, v2, v4
	v_add_f32_e32 v3, v3, v200
	v_fmac_f32_e32 v202, v171, v20
	v_dual_mul_f32 v4, v175, v25 :: v_dual_fmac_f32 v203, v173, v22
	v_fma_f32 v5, v172, v22, -v5
	v_dual_add_f32 v2, v2, v6 :: v_dual_add_f32 v3, v3, v201
	v_mul_f32_e32 v6, v177, v29
	s_delay_alu instid0(VALU_DEP_4) | instskip(SKIP_1) | instid1(VALU_DEP_4)
	v_fma_f32 v4, v174, v24, -v4
	v_dual_mul_f32 v205, v176, v29 :: v_dual_mul_f32 v206, v178, v31
	v_dual_add_f32 v3, v3, v202 :: v_dual_add_f32 v2, v2, v5
	s_delay_alu instid0(VALU_DEP_4) | instskip(SKIP_1) | instid1(VALU_DEP_4)
	v_fma_f32 v6, v176, v28, -v6
	v_fmac_f32_e32 v204, v175, v24
	v_dual_fmac_f32 v205, v177, v28 :: v_dual_fmac_f32 v206, v179, v30
	s_delay_alu instid0(VALU_DEP_4) | instskip(SKIP_3) | instid1(VALU_DEP_3)
	v_add_f32_e32 v3, v3, v203
	v_dual_mul_f32 v5, v179, v31 :: v_dual_add_f32 v2, v2, v4
	v_dual_mul_f32 v207, v180, v145 :: v_dual_mul_f32 v208, v182, v147
	v_mul_f32_e32 v4, v181, v145
	v_fma_f32 v5, v178, v30, -v5
	s_delay_alu instid0(VALU_DEP_4) | instskip(NEXT) | instid1(VALU_DEP_4)
	v_add_f32_e32 v2, v2, v6
	v_dual_mul_f32 v6, v183, v147 :: v_dual_fmac_f32 v207, v181, v144
	s_delay_alu instid0(VALU_DEP_4) | instskip(SKIP_1) | instid1(VALU_DEP_4)
	v_fma_f32 v4, v180, v144, -v4
	v_dual_mul_f32 v209, v184, v149 :: v_dual_mul_f32 v210, v186, v151
	v_add_f32_e32 v2, v2, v5
	v_mul_f32_e32 v5, v185, v149
	v_add_f32_e32 v3, v3, v204
	s_delay_alu instid0(VALU_DEP_4) | instskip(SKIP_1) | instid1(VALU_DEP_4)
	v_dual_fmac_f32 v208, v183, v146 :: v_dual_fmac_f32 v209, v185, v148
	v_fma_f32 v6, v182, v146, -v6
	v_fma_f32 v5, v184, v148, -v5
	s_delay_alu instid0(VALU_DEP_4) | instskip(SKIP_1) | instid1(VALU_DEP_2)
	v_add_f32_e32 v3, v3, v205
	v_dual_fmac_f32 v210, v187, v150 :: v_dual_fmac_f32 v211, v193, v188
	v_dual_add_f32 v3, v3, v206 :: v_dual_add_f32 v2, v2, v4
	v_mul_f32_e32 v4, v187, v151
	s_delay_alu instid0(VALU_DEP_2) | instskip(NEXT) | instid1(VALU_DEP_2)
	v_dual_add_f32 v3, v3, v207 :: v_dual_add_f32 v2, v2, v6
	v_fma_f32 v4, v186, v150, -v4
	s_delay_alu instid0(VALU_DEP_2) | instskip(NEXT) | instid1(VALU_DEP_1)
	v_add_f32_e32 v3, v3, v208
	v_add_f32_e32 v3, v3, v209
	s_delay_alu instid0(VALU_DEP_1) | instskip(SKIP_1) | instid1(VALU_DEP_2)
	v_dual_mul_f32 v6, v193, v189 :: v_dual_add_f32 v3, v3, v210
	v_add_f32_e32 v2, v2, v5
	v_fma_f32 v5, v192, v188, -v6
	s_delay_alu instid0(VALU_DEP_2) | instskip(SKIP_1) | instid1(VALU_DEP_1)
	v_dual_add_f32 v3, v3, v211 :: v_dual_add_f32 v2, v2, v4
	s_wait_loadcnt 0x0
	v_dual_sub_f32 v3, v191, v3 :: v_dual_add_f32 v2, v2, v5
	s_delay_alu instid0(VALU_DEP_1)
	v_sub_f32_e32 v2, v190, v2
	scratch_store_b64 off, v[2:3], off offset:288
	v_cmpx_lt_u32_e32 35, v0
	s_cbranch_execz .LBB119_279
; %bb.278:
	scratch_load_b64 v[3:4], off, off offset:280
	v_mov_b32_e32 v2, v1
	scratch_store_b64 off, v[1:2], off offset:280
	s_wait_loadcnt 0x0
	ds_store_b64 v27, v[3:4]
.LBB119_279:
	s_wait_alu 0xfffe
	s_or_b32 exec_lo, exec_lo, s0
	s_wait_storecnt_dscnt 0x0
	s_barrier_signal -1
	s_barrier_wait -1
	global_inv scope:SCOPE_SE
	s_clause 0xa
	scratch_load_b128 v[2:5], off, off offset:288
	scratch_load_b128 v[6:9], off, off offset:304
	;; [unrolled: 1-line block ×10, first 2 shown]
	scratch_load_b64 v[196:197], off, off offset:280
	ds_load_b128 v[156:159], v1 offset:736
	ds_load_b128 v[160:163], v1 offset:752
	;; [unrolled: 1-line block ×10, first 2 shown]
	s_mov_b32 s0, exec_lo
	s_wait_loadcnt_dscnt 0xa09
	v_dual_mul_f32 v1, v156, v3 :: v_dual_mul_f32 v26, v158, v5
	s_wait_loadcnt_dscnt 0x908
	v_dual_mul_f32 v5, v159, v5 :: v_dual_mul_f32 v198, v160, v7
	v_mul_f32_e32 v199, v162, v9
	v_mul_f32_e32 v3, v157, v3
	v_dual_fmac_f32 v1, v157, v2 :: v_dual_fmac_f32 v26, v159, v4
	s_wait_loadcnt_dscnt 0x100
	v_dual_mul_f32 v212, v188, v149 :: v_dual_mul_f32 v215, v194, v155
	s_delay_alu instid0(VALU_DEP_3) | instskip(SKIP_3) | instid1(VALU_DEP_4)
	v_fma_f32 v3, v156, v2, -v3
	v_mul_f32_e32 v2, v161, v7
	v_fma_f32 v4, v158, v4, -v5
	v_dual_mul_f32 v200, v164, v11 :: v_dual_mul_f32 v201, v166, v13
	v_dual_add_f32 v3, 0, v3 :: v_dual_fmac_f32 v198, v161, v6
	v_dual_mul_f32 v202, v168, v15 :: v_dual_mul_f32 v203, v170, v17
	s_delay_alu instid0(VALU_DEP_3) | instskip(SKIP_1) | instid1(VALU_DEP_3)
	v_dual_mul_f32 v5, v163, v9 :: v_dual_fmac_f32 v200, v165, v10
	v_fma_f32 v2, v160, v6, -v2
	v_dual_add_f32 v3, v3, v4 :: v_dual_fmac_f32 v202, v169, v14
	s_delay_alu instid0(VALU_DEP_3) | instskip(SKIP_1) | instid1(VALU_DEP_3)
	v_fma_f32 v5, v162, v8, -v5
	v_dual_mul_f32 v204, v172, v19 :: v_dual_mul_f32 v205, v174, v21
	v_add_f32_e32 v2, v3, v2
	v_dual_mul_f32 v3, v167, v13 :: v_dual_mul_f32 v4, v165, v11
	s_delay_alu instid0(VALU_DEP_3) | instskip(SKIP_1) | instid1(VALU_DEP_4)
	v_fmac_f32_e32 v204, v173, v18
	v_dual_mul_f32 v206, v176, v23 :: v_dual_mul_f32 v207, v178, v25
	v_add_f32_e32 v2, v2, v5
	v_add_f32_e32 v1, 0, v1
	v_fma_f32 v4, v164, v10, -v4
	v_fma_f32 v3, v166, v12, -v3
	v_dual_fmac_f32 v203, v171, v16 :: v_dual_mul_f32 v208, v180, v29
	v_mul_f32_e32 v209, v182, v31
	s_delay_alu instid0(VALU_DEP_4) | instskip(SKIP_3) | instid1(VALU_DEP_4)
	v_dual_add_f32 v1, v1, v26 :: v_dual_add_f32 v2, v2, v4
	v_mul_f32_e32 v4, v171, v17
	v_dual_fmac_f32 v199, v163, v8 :: v_dual_mul_f32 v210, v184, v145
	v_mul_f32_e32 v211, v186, v147
	v_add_f32_e32 v1, v1, v198
	s_delay_alu instid0(VALU_DEP_4) | instskip(SKIP_2) | instid1(VALU_DEP_4)
	v_fma_f32 v4, v170, v16, -v4
	v_mul_f32_e32 v5, v169, v15
	v_dual_add_f32 v2, v2, v3 :: v_dual_fmac_f32 v207, v179, v24
	v_add_f32_e32 v1, v1, v199
	v_dual_mul_f32 v213, v190, v151 :: v_dual_mul_f32 v214, v192, v153
	s_delay_alu instid0(VALU_DEP_4) | instskip(SKIP_2) | instid1(VALU_DEP_3)
	v_fma_f32 v5, v168, v14, -v5
	v_dual_fmac_f32 v201, v167, v12 :: v_dual_fmac_f32 v206, v177, v22
	v_dual_fmac_f32 v209, v183, v30 :: v_dual_fmac_f32 v210, v185, v144
	v_add_f32_e32 v2, v2, v5
	v_mul_f32_e32 v5, v175, v21
	v_fmac_f32_e32 v213, v191, v150
	v_dual_fmac_f32 v215, v195, v154 :: v_dual_fmac_f32 v208, v181, v28
	s_delay_alu instid0(VALU_DEP_4) | instskip(NEXT) | instid1(VALU_DEP_4)
	v_add_f32_e32 v2, v2, v4
	v_fma_f32 v5, v174, v20, -v5
	v_mul_f32_e32 v3, v173, v19
	v_mul_f32_e32 v4, v177, v23
	v_fmac_f32_e32 v212, v189, v148
	v_fmac_f32_e32 v214, v193, v152
	s_delay_alu instid0(VALU_DEP_4) | instskip(SKIP_2) | instid1(VALU_DEP_3)
	v_fma_f32 v3, v172, v18, -v3
	v_add_f32_e32 v1, v1, v200
	v_fma_f32 v4, v176, v22, -v4
	v_dual_add_f32 v2, v2, v3 :: v_dual_mul_f32 v3, v179, v25
	s_delay_alu instid0(VALU_DEP_1) | instskip(NEXT) | instid1(VALU_DEP_4)
	v_add_f32_e32 v2, v2, v5
	v_add_f32_e32 v1, v1, v201
	s_delay_alu instid0(VALU_DEP_3) | instskip(NEXT) | instid1(VALU_DEP_2)
	v_fma_f32 v3, v178, v24, -v3
	v_dual_add_f32 v2, v2, v4 :: v_dual_add_f32 v1, v1, v202
	v_mul_f32_e32 v4, v183, v31
	s_delay_alu instid0(VALU_DEP_2) | instskip(SKIP_1) | instid1(VALU_DEP_3)
	v_dual_fmac_f32 v205, v175, v20 :: v_dual_add_f32 v2, v2, v3
	v_mul_f32_e32 v3, v185, v145
	v_fma_f32 v4, v182, v30, -v4
	v_mul_f32_e32 v5, v181, v29
	s_delay_alu instid0(VALU_DEP_3) | instskip(NEXT) | instid1(VALU_DEP_2)
	v_fma_f32 v3, v184, v144, -v3
	v_fma_f32 v5, v180, v28, -v5
	s_delay_alu instid0(VALU_DEP_1) | instskip(NEXT) | instid1(VALU_DEP_1)
	v_dual_add_f32 v1, v1, v203 :: v_dual_add_f32 v2, v2, v5
	v_dual_mul_f32 v5, v187, v147 :: v_dual_add_f32 v2, v2, v4
	s_delay_alu instid0(VALU_DEP_2) | instskip(SKIP_1) | instid1(VALU_DEP_3)
	v_add_f32_e32 v1, v1, v204
	v_mul_f32_e32 v4, v189, v149
	v_fma_f32 v5, v186, v146, -v5
	s_delay_alu instid0(VALU_DEP_4) | instskip(SKIP_1) | instid1(VALU_DEP_4)
	v_dual_add_f32 v2, v2, v3 :: v_dual_fmac_f32 v211, v187, v146
	v_mul_f32_e32 v3, v191, v151
	v_fma_f32 v4, v188, v148, -v4
	s_delay_alu instid0(VALU_DEP_3) | instskip(SKIP_1) | instid1(VALU_DEP_4)
	v_add_f32_e32 v2, v2, v5
	v_add_f32_e32 v1, v1, v205
	v_fma_f32 v3, v190, v150, -v3
	s_delay_alu instid0(VALU_DEP_2) | instskip(SKIP_1) | instid1(VALU_DEP_2)
	v_dual_add_f32 v2, v2, v4 :: v_dual_add_f32 v1, v1, v206
	v_dual_mul_f32 v4, v195, v155 :: v_dual_mul_f32 v5, v193, v153
	v_add_f32_e32 v2, v2, v3
	s_delay_alu instid0(VALU_DEP_2) | instskip(NEXT) | instid1(VALU_DEP_3)
	v_fma_f32 v3, v194, v154, -v4
	v_fma_f32 v5, v192, v152, -v5
	s_delay_alu instid0(VALU_DEP_1) | instskip(NEXT) | instid1(VALU_DEP_1)
	v_dual_add_f32 v1, v1, v207 :: v_dual_add_f32 v2, v2, v5
	v_dual_add_f32 v1, v1, v208 :: v_dual_add_f32 v2, v2, v3
	s_delay_alu instid0(VALU_DEP_1) | instskip(NEXT) | instid1(VALU_DEP_1)
	v_add_f32_e32 v1, v1, v209
	v_add_f32_e32 v1, v1, v210
	s_delay_alu instid0(VALU_DEP_1) | instskip(NEXT) | instid1(VALU_DEP_1)
	v_add_f32_e32 v1, v1, v211
	v_add_f32_e32 v1, v1, v212
	;; [unrolled: 3-line block ×3, first 2 shown]
	s_delay_alu instid0(VALU_DEP_1) | instskip(SKIP_1) | instid1(VALU_DEP_1)
	v_add_f32_e32 v3, v1, v215
	s_wait_loadcnt 0x0
	v_dual_sub_f32 v1, v196, v2 :: v_dual_sub_f32 v2, v197, v3
	scratch_store_b64 off, v[1:2], off offset:280
	v_cmpx_lt_u32_e32 34, v0
	s_cbranch_execz .LBB119_281
; %bb.280:
	scratch_load_b64 v[1:2], off, off offset:272
	v_mov_b32_e32 v3, 0
	s_delay_alu instid0(VALU_DEP_1)
	v_mov_b32_e32 v4, v3
	scratch_store_b64 off, v[3:4], off offset:272
	s_wait_loadcnt 0x0
	ds_store_b64 v27, v[1:2]
.LBB119_281:
	s_wait_alu 0xfffe
	s_or_b32 exec_lo, exec_lo, s0
	s_wait_storecnt_dscnt 0x0
	s_barrier_signal -1
	s_barrier_wait -1
	global_inv scope:SCOPE_SE
	s_clause 0xb
	scratch_load_b128 v[2:5], off, off offset:280
	scratch_load_b128 v[6:9], off, off offset:296
	;; [unrolled: 1-line block ×10, first 2 shown]
	scratch_load_b64 v[196:197], off, off offset:440
	scratch_load_b64 v[198:199], off, off offset:272
	v_mov_b32_e32 v1, 0
	ds_load_2addr_b64 v[156:159], v1 offset0:91 offset1:92
	ds_load_2addr_b64 v[160:163], v1 offset0:93 offset1:94
	;; [unrolled: 1-line block ×10, first 2 shown]
	ds_load_b64 v[200:201], v1 offset:888
	s_mov_b32 s0, exec_lo
	s_wait_loadcnt_dscnt 0xb0a
	v_mul_f32_e32 v26, v156, v3
	v_dual_mul_f32 v3, v157, v3 :: v_dual_mul_f32 v202, v158, v5
	s_wait_loadcnt_dscnt 0xa09
	v_mul_f32_e32 v203, v160, v7
	v_mul_f32_e32 v5, v159, v5
	s_wait_loadcnt_dscnt 0x605
	v_mul_f32_e32 v212, v178, v25
	v_fma_f32 v3, v156, v2, -v3
	v_dual_mul_f32 v204, v162, v9 :: v_dual_mul_f32 v205, v164, v11
	s_wait_loadcnt_dscnt 0x100
	v_dual_fmac_f32 v26, v157, v2 :: v_dual_mul_f32 v221, v200, v197
	v_mul_f32_e32 v2, v161, v7
	v_dual_fmac_f32 v202, v159, v4 :: v_dual_add_f32 v3, 0, v3
	v_fma_f32 v4, v158, v4, -v5
	s_delay_alu instid0(VALU_DEP_4) | instskip(SKIP_2) | instid1(VALU_DEP_4)
	v_dual_add_f32 v5, 0, v26 :: v_dual_fmac_f32 v204, v163, v8
	v_mul_f32_e32 v7, v163, v9
	v_fma_f32 v2, v160, v6, -v2
	v_add_f32_e32 v3, v3, v4
	v_fmac_f32_e32 v203, v161, v6
	v_add_f32_e32 v4, v5, v202
	v_mul_f32_e32 v5, v165, v11
	v_fma_f32 v6, v162, v8, -v7
	v_add_f32_e32 v2, v3, v2
	v_dual_mul_f32 v206, v166, v13 :: v_dual_mul_f32 v207, v168, v15
	v_dual_add_f32 v3, v4, v203 :: v_dual_mul_f32 v4, v167, v13
	v_fma_f32 v5, v164, v10, -v5
	s_delay_alu instid0(VALU_DEP_4)
	v_add_f32_e32 v2, v2, v6
	v_fmac_f32_e32 v205, v165, v10
	v_mul_f32_e32 v6, v169, v15
	v_fmac_f32_e32 v206, v167, v12
	v_add_f32_e32 v3, v3, v204
	v_fma_f32 v4, v166, v12, -v4
	v_add_f32_e32 v2, v2, v5
	v_dual_mul_f32 v208, v170, v17 :: v_dual_mul_f32 v209, v172, v19
	s_delay_alu instid0(VALU_DEP_4)
	v_add_f32_e32 v3, v3, v205
	v_mul_f32_e32 v5, v171, v17
	v_fma_f32 v6, v168, v14, -v6
	v_dual_add_f32 v2, v2, v4 :: v_dual_fmac_f32 v207, v169, v14
	v_fmac_f32_e32 v208, v171, v16
	v_mul_f32_e32 v4, v173, v19
	v_fma_f32 v5, v170, v16, -v5
	s_delay_alu instid0(VALU_DEP_4) | instskip(SKIP_3) | instid1(VALU_DEP_3)
	v_add_f32_e32 v2, v2, v6
	v_add_f32_e32 v3, v3, v206
	v_dual_mul_f32 v6, v175, v21 :: v_dual_fmac_f32 v209, v173, v18
	v_fma_f32 v4, v172, v18, -v4
	v_dual_add_f32 v2, v2, v5 :: v_dual_add_f32 v3, v3, v207
	v_dual_mul_f32 v210, v174, v21 :: v_dual_mul_f32 v211, v176, v23
	v_mul_f32_e32 v5, v177, v23
	v_fma_f32 v6, v174, v20, -v6
	s_delay_alu instid0(VALU_DEP_4) | instskip(SKIP_4) | instid1(VALU_DEP_4)
	v_add_f32_e32 v2, v2, v4
	v_add_f32_e32 v3, v3, v208
	v_fmac_f32_e32 v210, v175, v20
	v_dual_mul_f32 v4, v179, v25 :: v_dual_fmac_f32 v211, v177, v22
	v_fma_f32 v5, v176, v22, -v5
	v_dual_add_f32 v2, v2, v6 :: v_dual_add_f32 v3, v3, v209
	v_mul_f32_e32 v6, v181, v29
	s_delay_alu instid0(VALU_DEP_4) | instskip(SKIP_1) | instid1(VALU_DEP_4)
	v_fma_f32 v4, v178, v24, -v4
	v_dual_mul_f32 v213, v180, v29 :: v_dual_mul_f32 v214, v182, v31
	v_dual_add_f32 v3, v3, v210 :: v_dual_add_f32 v2, v2, v5
	s_delay_alu instid0(VALU_DEP_4) | instskip(SKIP_1) | instid1(VALU_DEP_4)
	v_fma_f32 v6, v180, v28, -v6
	v_fmac_f32_e32 v212, v179, v24
	v_dual_fmac_f32 v213, v181, v28 :: v_dual_fmac_f32 v214, v183, v30
	s_delay_alu instid0(VALU_DEP_4) | instskip(SKIP_3) | instid1(VALU_DEP_3)
	v_add_f32_e32 v3, v3, v211
	v_dual_mul_f32 v5, v183, v31 :: v_dual_add_f32 v2, v2, v4
	v_dual_mul_f32 v215, v184, v145 :: v_dual_mul_f32 v216, v186, v147
	v_mul_f32_e32 v4, v185, v145
	v_fma_f32 v5, v182, v30, -v5
	s_delay_alu instid0(VALU_DEP_4) | instskip(NEXT) | instid1(VALU_DEP_4)
	v_add_f32_e32 v2, v2, v6
	v_dual_mul_f32 v6, v187, v147 :: v_dual_fmac_f32 v215, v185, v144
	s_delay_alu instid0(VALU_DEP_4) | instskip(SKIP_1) | instid1(VALU_DEP_4)
	v_fma_f32 v4, v184, v144, -v4
	v_dual_mul_f32 v217, v188, v149 :: v_dual_mul_f32 v218, v190, v151
	v_add_f32_e32 v2, v2, v5
	v_mul_f32_e32 v5, v189, v149
	v_add_f32_e32 v3, v3, v212
	s_delay_alu instid0(VALU_DEP_4) | instskip(SKIP_2) | instid1(VALU_DEP_4)
	v_dual_fmac_f32 v216, v187, v146 :: v_dual_fmac_f32 v217, v189, v148
	v_fma_f32 v6, v186, v146, -v6
	v_dual_mul_f32 v219, v192, v153 :: v_dual_mul_f32 v220, v194, v155
	v_add_f32_e32 v3, v3, v213
	v_fma_f32 v5, v188, v148, -v5
	v_dual_fmac_f32 v218, v191, v150 :: v_dual_fmac_f32 v221, v201, v196
	s_delay_alu instid0(VALU_DEP_4) | instskip(NEXT) | instid1(VALU_DEP_4)
	v_fmac_f32_e32 v219, v193, v152
	v_dual_add_f32 v3, v3, v214 :: v_dual_add_f32 v2, v2, v4
	v_mul_f32_e32 v4, v191, v151
	v_fmac_f32_e32 v220, v195, v154
	s_delay_alu instid0(VALU_DEP_3) | instskip(NEXT) | instid1(VALU_DEP_3)
	v_dual_add_f32 v3, v3, v215 :: v_dual_add_f32 v2, v2, v6
	v_fma_f32 v4, v190, v150, -v4
	s_delay_alu instid0(VALU_DEP_2) | instskip(NEXT) | instid1(VALU_DEP_1)
	v_dual_mul_f32 v6, v193, v153 :: v_dual_add_f32 v3, v3, v216
	v_add_f32_e32 v3, v3, v217
	s_delay_alu instid0(VALU_DEP_4) | instskip(NEXT) | instid1(VALU_DEP_3)
	v_dual_add_f32 v2, v2, v5 :: v_dual_mul_f32 v5, v195, v155
	v_fma_f32 v6, v192, v152, -v6
	s_delay_alu instid0(VALU_DEP_2) | instskip(SKIP_1) | instid1(VALU_DEP_4)
	v_dual_add_f32 v3, v3, v218 :: v_dual_add_f32 v2, v2, v4
	v_mul_f32_e32 v4, v201, v197
	v_fma_f32 v5, v194, v154, -v5
	s_delay_alu instid0(VALU_DEP_3) | instskip(NEXT) | instid1(VALU_DEP_3)
	v_dual_add_f32 v3, v3, v219 :: v_dual_add_f32 v2, v2, v6
	v_fma_f32 v4, v200, v196, -v4
	s_delay_alu instid0(VALU_DEP_2) | instskip(NEXT) | instid1(VALU_DEP_1)
	v_add_f32_e32 v3, v3, v220
	v_add_f32_e32 v3, v3, v221
	s_wait_loadcnt 0x0
	s_delay_alu instid0(VALU_DEP_1) | instskip(NEXT) | instid1(VALU_DEP_1)
	v_dual_add_f32 v2, v2, v5 :: v_dual_sub_f32 v3, v199, v3
	v_add_f32_e32 v2, v2, v4
	s_delay_alu instid0(VALU_DEP_1)
	v_sub_f32_e32 v2, v198, v2
	scratch_store_b64 off, v[2:3], off offset:272
	v_cmpx_lt_u32_e32 33, v0
	s_cbranch_execz .LBB119_283
; %bb.282:
	scratch_load_b64 v[3:4], off, off offset:264
	v_mov_b32_e32 v2, v1
	scratch_store_b64 off, v[1:2], off offset:264
	s_wait_loadcnt 0x0
	ds_store_b64 v27, v[3:4]
.LBB119_283:
	s_wait_alu 0xfffe
	s_or_b32 exec_lo, exec_lo, s0
	s_wait_storecnt_dscnt 0x0
	s_barrier_signal -1
	s_barrier_wait -1
	global_inv scope:SCOPE_SE
	s_clause 0xb
	scratch_load_b128 v[2:5], off, off offset:272
	scratch_load_b128 v[6:9], off, off offset:288
	;; [unrolled: 1-line block ×11, first 2 shown]
	scratch_load_b64 v[204:205], off, off offset:264
	ds_load_b128 v[160:163], v1 offset:720
	ds_load_b128 v[164:167], v1 offset:736
	ds_load_b128 v[168:171], v1 offset:752
	ds_load_b128 v[172:175], v1 offset:768
	ds_load_b128 v[176:179], v1 offset:784
	ds_load_b128 v[180:183], v1 offset:800
	ds_load_b128 v[184:187], v1 offset:816
	ds_load_b128 v[188:191], v1 offset:832
	ds_load_b128 v[192:195], v1 offset:848
	ds_load_b128 v[196:199], v1 offset:864
	ds_load_b128 v[200:203], v1 offset:880
	s_mov_b32 s0, exec_lo
	s_wait_loadcnt_dscnt 0xb0a
	v_dual_mul_f32 v1, v160, v3 :: v_dual_mul_f32 v26, v162, v5
	s_wait_loadcnt_dscnt 0xa09
	v_dual_mul_f32 v5, v163, v5 :: v_dual_mul_f32 v206, v164, v7
	v_mul_f32_e32 v207, v166, v9
	v_mul_f32_e32 v3, v161, v3
	v_dual_fmac_f32 v1, v161, v2 :: v_dual_fmac_f32 v26, v163, v4
	s_wait_loadcnt_dscnt 0x908
	v_dual_mul_f32 v208, v168, v11 :: v_dual_mul_f32 v209, v170, v13
	s_wait_loadcnt_dscnt 0x201
	v_mul_f32_e32 v222, v196, v153
	v_fma_f32 v3, v160, v2, -v3
	s_wait_loadcnt_dscnt 0x100
	v_mul_f32_e32 v225, v202, v159
	v_mul_f32_e32 v2, v165, v7
	v_fma_f32 v4, v162, v4, -v5
	v_dual_mul_f32 v210, v172, v15 :: v_dual_mul_f32 v211, v174, v17
	v_dual_add_f32 v3, 0, v3 :: v_dual_fmac_f32 v206, v165, v6
	v_dual_mul_f32 v5, v167, v9 :: v_dual_fmac_f32 v208, v169, v10
	v_fma_f32 v2, v164, v6, -v2
	s_delay_alu instid0(VALU_DEP_3) | instskip(NEXT) | instid1(VALU_DEP_3)
	v_dual_add_f32 v3, v3, v4 :: v_dual_fmac_f32 v210, v173, v14
	v_fma_f32 v5, v166, v8, -v5
	v_dual_mul_f32 v212, v176, v19 :: v_dual_mul_f32 v213, v178, v21
	s_delay_alu instid0(VALU_DEP_3) | instskip(SKIP_2) | instid1(VALU_DEP_3)
	v_add_f32_e32 v2, v3, v2
	v_dual_mul_f32 v3, v171, v13 :: v_dual_mul_f32 v214, v180, v23
	v_dual_mul_f32 v215, v182, v25 :: v_dual_mul_f32 v4, v169, v11
	v_add_f32_e32 v2, v2, v5
	v_dual_add_f32 v1, 0, v1 :: v_dual_fmac_f32 v212, v177, v18
	s_delay_alu instid0(VALU_DEP_4) | instskip(NEXT) | instid1(VALU_DEP_4)
	v_fma_f32 v3, v170, v12, -v3
	v_fma_f32 v4, v168, v10, -v4
	v_fmac_f32_e32 v211, v175, v16
	s_delay_alu instid0(VALU_DEP_4) | instskip(SKIP_1) | instid1(VALU_DEP_4)
	v_dual_add_f32 v1, v1, v26 :: v_dual_mul_f32 v216, v184, v29
	v_mul_f32_e32 v217, v186, v31
	v_add_f32_e32 v2, v2, v4
	s_delay_alu instid0(VALU_DEP_3) | instskip(SKIP_2) | instid1(VALU_DEP_3)
	v_dual_mul_f32 v4, v175, v17 :: v_dual_add_f32 v1, v1, v206
	v_dual_fmac_f32 v207, v167, v8 :: v_dual_mul_f32 v220, v192, v149
	v_mul_f32_e32 v221, v194, v151
	v_fma_f32 v4, v174, v16, -v4
	v_mul_f32_e32 v5, v173, v15
	v_add_f32_e32 v2, v2, v3
	v_dual_add_f32 v1, v1, v207 :: v_dual_mul_f32 v218, v188, v145
	v_mul_f32_e32 v219, v190, v147
	s_delay_alu instid0(VALU_DEP_4) | instskip(SKIP_3) | instid1(VALU_DEP_4)
	v_fma_f32 v5, v172, v14, -v5
	v_dual_fmac_f32 v209, v171, v12 :: v_dual_fmac_f32 v214, v181, v22
	v_fmac_f32_e32 v215, v183, v24
	v_dual_fmac_f32 v217, v187, v30 :: v_dual_fmac_f32 v218, v189, v144
	v_add_f32_e32 v2, v2, v5
	v_mul_f32_e32 v5, v179, v21
	v_dual_mul_f32 v223, v198, v155 :: v_dual_mul_f32 v224, v200, v157
	s_delay_alu instid0(VALU_DEP_3) | instskip(NEXT) | instid1(VALU_DEP_3)
	v_dual_fmac_f32 v221, v195, v150 :: v_dual_add_f32 v2, v2, v4
	v_fma_f32 v5, v178, v20, -v5
	v_mul_f32_e32 v3, v177, v19
	v_mul_f32_e32 v4, v181, v23
	v_dual_fmac_f32 v224, v201, v156 :: v_dual_fmac_f32 v223, v199, v154
	v_fmac_f32_e32 v216, v185, v28
	s_delay_alu instid0(VALU_DEP_4) | instskip(SKIP_3) | instid1(VALU_DEP_4)
	v_fma_f32 v3, v176, v18, -v3
	v_add_f32_e32 v1, v1, v208
	v_fma_f32 v4, v180, v22, -v4
	v_dual_fmac_f32 v225, v203, v158 :: v_dual_fmac_f32 v220, v193, v148
	v_dual_add_f32 v2, v2, v3 :: v_dual_mul_f32 v3, v183, v25
	v_fmac_f32_e32 v222, v197, v152
	s_delay_alu instid0(VALU_DEP_2) | instskip(SKIP_1) | instid1(VALU_DEP_4)
	v_add_f32_e32 v2, v2, v5
	v_add_f32_e32 v1, v1, v209
	v_fma_f32 v3, v182, v24, -v3
	s_delay_alu instid0(VALU_DEP_2) | instskip(SKIP_1) | instid1(VALU_DEP_2)
	v_dual_add_f32 v2, v2, v4 :: v_dual_add_f32 v1, v1, v210
	v_mul_f32_e32 v4, v187, v31
	v_dual_fmac_f32 v213, v179, v20 :: v_dual_add_f32 v2, v2, v3
	v_mul_f32_e32 v3, v189, v145
	s_delay_alu instid0(VALU_DEP_3) | instskip(SKIP_1) | instid1(VALU_DEP_3)
	v_fma_f32 v4, v186, v30, -v4
	v_mul_f32_e32 v5, v185, v29
	v_fma_f32 v3, v188, v144, -v3
	s_delay_alu instid0(VALU_DEP_2) | instskip(NEXT) | instid1(VALU_DEP_1)
	v_fma_f32 v5, v184, v28, -v5
	v_dual_add_f32 v1, v1, v211 :: v_dual_add_f32 v2, v2, v5
	s_delay_alu instid0(VALU_DEP_1) | instskip(NEXT) | instid1(VALU_DEP_2)
	v_dual_mul_f32 v5, v191, v147 :: v_dual_add_f32 v2, v2, v4
	v_add_f32_e32 v1, v1, v212
	v_mul_f32_e32 v4, v193, v149
	s_delay_alu instid0(VALU_DEP_3) | instskip(NEXT) | instid1(VALU_DEP_4)
	v_fma_f32 v5, v190, v146, -v5
	v_dual_add_f32 v2, v2, v3 :: v_dual_fmac_f32 v219, v191, v146
	v_mul_f32_e32 v3, v195, v151
	s_delay_alu instid0(VALU_DEP_4) | instskip(NEXT) | instid1(VALU_DEP_3)
	v_fma_f32 v4, v192, v148, -v4
	v_add_f32_e32 v2, v2, v5
	v_add_f32_e32 v1, v1, v213
	s_delay_alu instid0(VALU_DEP_4) | instskip(NEXT) | instid1(VALU_DEP_3)
	v_fma_f32 v3, v194, v150, -v3
	v_dual_add_f32 v2, v2, v4 :: v_dual_mul_f32 v5, v197, v153
	s_delay_alu instid0(VALU_DEP_3) | instskip(NEXT) | instid1(VALU_DEP_2)
	v_dual_add_f32 v1, v1, v214 :: v_dual_mul_f32 v4, v199, v155
	v_add_f32_e32 v2, v2, v3
	s_delay_alu instid0(VALU_DEP_3) | instskip(NEXT) | instid1(VALU_DEP_3)
	v_fma_f32 v5, v196, v152, -v5
	v_add_f32_e32 v1, v1, v215
	v_mul_f32_e32 v3, v201, v157
	v_fma_f32 v4, v198, v154, -v4
	s_delay_alu instid0(VALU_DEP_4) | instskip(NEXT) | instid1(VALU_DEP_3)
	v_dual_add_f32 v2, v2, v5 :: v_dual_mul_f32 v5, v203, v159
	v_fma_f32 v3, v200, v156, -v3
	s_delay_alu instid0(VALU_DEP_2) | instskip(SKIP_1) | instid1(VALU_DEP_4)
	v_add_f32_e32 v2, v2, v4
	v_add_f32_e32 v1, v1, v216
	v_fma_f32 v4, v202, v158, -v5
	s_delay_alu instid0(VALU_DEP_2) | instskip(NEXT) | instid1(VALU_DEP_1)
	v_dual_add_f32 v2, v2, v3 :: v_dual_add_f32 v1, v1, v217
	v_dual_add_f32 v2, v2, v4 :: v_dual_add_f32 v1, v1, v218
	s_delay_alu instid0(VALU_DEP_1) | instskip(NEXT) | instid1(VALU_DEP_1)
	v_add_f32_e32 v1, v1, v219
	v_add_f32_e32 v1, v1, v220
	s_delay_alu instid0(VALU_DEP_1) | instskip(NEXT) | instid1(VALU_DEP_1)
	v_add_f32_e32 v1, v1, v221
	v_add_f32_e32 v1, v1, v222
	;; [unrolled: 3-line block ×3, first 2 shown]
	s_delay_alu instid0(VALU_DEP_1) | instskip(SKIP_1) | instid1(VALU_DEP_1)
	v_add_f32_e32 v3, v1, v225
	s_wait_loadcnt 0x0
	v_dual_sub_f32 v1, v204, v2 :: v_dual_sub_f32 v2, v205, v3
	scratch_store_b64 off, v[1:2], off offset:264
	v_cmpx_lt_u32_e32 32, v0
	s_cbranch_execz .LBB119_285
; %bb.284:
	scratch_load_b64 v[1:2], off, off offset:256
	v_mov_b32_e32 v3, 0
	s_delay_alu instid0(VALU_DEP_1)
	v_mov_b32_e32 v4, v3
	scratch_store_b64 off, v[3:4], off offset:256
	s_wait_loadcnt 0x0
	ds_store_b64 v27, v[1:2]
.LBB119_285:
	s_wait_alu 0xfffe
	s_or_b32 exec_lo, exec_lo, s0
	s_wait_storecnt_dscnt 0x0
	s_barrier_signal -1
	s_barrier_wait -1
	global_inv scope:SCOPE_SE
	s_clause 0xc
	scratch_load_b128 v[2:5], off, off offset:264
	scratch_load_b128 v[6:9], off, off offset:280
	;; [unrolled: 1-line block ×11, first 2 shown]
	scratch_load_b64 v[204:205], off, off offset:440
	scratch_load_b64 v[206:207], off, off offset:256
	v_mov_b32_e32 v1, 0
	ds_load_2addr_b64 v[160:163], v1 offset0:89 offset1:90
	ds_load_2addr_b64 v[164:167], v1 offset0:91 offset1:92
	;; [unrolled: 1-line block ×11, first 2 shown]
	ds_load_b64 v[208:209], v1 offset:888
	s_mov_b32 s0, exec_lo
	s_wait_loadcnt_dscnt 0xc0b
	v_mul_f32_e32 v26, v160, v3
	v_dual_mul_f32 v3, v161, v3 :: v_dual_mul_f32 v210, v162, v5
	s_wait_loadcnt_dscnt 0xb0a
	v_mul_f32_e32 v211, v164, v7
	v_mul_f32_e32 v5, v163, v5
	s_wait_loadcnt_dscnt 0x706
	v_mul_f32_e32 v220, v182, v25
	v_fma_f32 v3, v160, v2, -v3
	v_dual_mul_f32 v212, v166, v9 :: v_dual_mul_f32 v213, v168, v11
	v_fmac_f32_e32 v26, v161, v2
	s_wait_loadcnt_dscnt 0x100
	v_dual_mul_f32 v2, v165, v7 :: v_dual_mul_f32 v231, v208, v205
	v_dual_fmac_f32 v210, v163, v4 :: v_dual_add_f32 v3, 0, v3
	v_fma_f32 v4, v162, v4, -v5
	v_dual_add_f32 v5, 0, v26 :: v_dual_fmac_f32 v212, v167, v8
	v_mul_f32_e32 v7, v167, v9
	v_fma_f32 v2, v164, v6, -v2
	s_delay_alu instid0(VALU_DEP_4)
	v_add_f32_e32 v3, v3, v4
	v_fmac_f32_e32 v211, v165, v6
	v_add_f32_e32 v4, v5, v210
	v_mul_f32_e32 v5, v169, v11
	v_fma_f32 v6, v166, v8, -v7
	v_add_f32_e32 v2, v3, v2
	v_dual_mul_f32 v214, v170, v13 :: v_dual_mul_f32 v215, v172, v15
	v_dual_add_f32 v3, v4, v211 :: v_dual_mul_f32 v4, v171, v13
	v_fma_f32 v5, v168, v10, -v5
	s_delay_alu instid0(VALU_DEP_4)
	v_add_f32_e32 v2, v2, v6
	v_fmac_f32_e32 v213, v169, v10
	v_mul_f32_e32 v6, v173, v15
	v_fmac_f32_e32 v214, v171, v12
	v_add_f32_e32 v3, v3, v212
	v_fma_f32 v4, v170, v12, -v4
	v_add_f32_e32 v2, v2, v5
	v_dual_mul_f32 v216, v174, v17 :: v_dual_mul_f32 v217, v176, v19
	s_delay_alu instid0(VALU_DEP_4)
	v_add_f32_e32 v3, v3, v213
	v_mul_f32_e32 v5, v175, v17
	v_fma_f32 v6, v172, v14, -v6
	v_dual_add_f32 v2, v2, v4 :: v_dual_fmac_f32 v215, v173, v14
	v_fmac_f32_e32 v216, v175, v16
	v_mul_f32_e32 v4, v177, v19
	v_fma_f32 v5, v174, v16, -v5
	s_delay_alu instid0(VALU_DEP_4) | instskip(SKIP_3) | instid1(VALU_DEP_3)
	v_add_f32_e32 v2, v2, v6
	v_add_f32_e32 v3, v3, v214
	v_dual_mul_f32 v6, v179, v21 :: v_dual_fmac_f32 v217, v177, v18
	v_fma_f32 v4, v176, v18, -v4
	v_dual_add_f32 v2, v2, v5 :: v_dual_add_f32 v3, v3, v215
	v_dual_mul_f32 v218, v178, v21 :: v_dual_mul_f32 v219, v180, v23
	v_mul_f32_e32 v5, v181, v23
	v_fma_f32 v6, v178, v20, -v6
	s_delay_alu instid0(VALU_DEP_4) | instskip(SKIP_4) | instid1(VALU_DEP_4)
	v_add_f32_e32 v2, v2, v4
	v_add_f32_e32 v3, v3, v216
	v_fmac_f32_e32 v218, v179, v20
	v_dual_mul_f32 v4, v183, v25 :: v_dual_fmac_f32 v219, v181, v22
	v_fma_f32 v5, v180, v22, -v5
	v_dual_add_f32 v2, v2, v6 :: v_dual_add_f32 v3, v3, v217
	v_mul_f32_e32 v6, v185, v29
	s_delay_alu instid0(VALU_DEP_4) | instskip(SKIP_1) | instid1(VALU_DEP_4)
	v_fma_f32 v4, v182, v24, -v4
	v_dual_mul_f32 v221, v184, v29 :: v_dual_mul_f32 v222, v186, v31
	v_dual_add_f32 v3, v3, v218 :: v_dual_add_f32 v2, v2, v5
	s_delay_alu instid0(VALU_DEP_4) | instskip(SKIP_1) | instid1(VALU_DEP_4)
	v_fma_f32 v6, v184, v28, -v6
	v_fmac_f32_e32 v220, v183, v24
	v_dual_fmac_f32 v221, v185, v28 :: v_dual_fmac_f32 v222, v187, v30
	s_delay_alu instid0(VALU_DEP_4) | instskip(SKIP_3) | instid1(VALU_DEP_3)
	v_add_f32_e32 v3, v3, v219
	v_dual_mul_f32 v5, v187, v31 :: v_dual_add_f32 v2, v2, v4
	v_dual_mul_f32 v223, v188, v145 :: v_dual_mul_f32 v224, v190, v147
	v_mul_f32_e32 v4, v189, v145
	v_fma_f32 v5, v186, v30, -v5
	s_delay_alu instid0(VALU_DEP_4) | instskip(NEXT) | instid1(VALU_DEP_4)
	v_add_f32_e32 v2, v2, v6
	v_dual_mul_f32 v6, v191, v147 :: v_dual_fmac_f32 v223, v189, v144
	s_delay_alu instid0(VALU_DEP_4) | instskip(SKIP_1) | instid1(VALU_DEP_4)
	v_fma_f32 v4, v188, v144, -v4
	v_dual_mul_f32 v225, v192, v149 :: v_dual_mul_f32 v226, v194, v151
	v_add_f32_e32 v2, v2, v5
	v_mul_f32_e32 v5, v193, v149
	v_add_f32_e32 v3, v3, v220
	s_delay_alu instid0(VALU_DEP_4) | instskip(SKIP_2) | instid1(VALU_DEP_4)
	v_dual_fmac_f32 v224, v191, v146 :: v_dual_fmac_f32 v225, v193, v148
	v_fma_f32 v6, v190, v146, -v6
	v_dual_mul_f32 v227, v196, v153 :: v_dual_mul_f32 v228, v198, v155
	v_add_f32_e32 v3, v3, v221
	v_dual_mul_f32 v229, v200, v157 :: v_dual_mul_f32 v230, v202, v159
	v_fma_f32 v5, v192, v148, -v5
	v_fmac_f32_e32 v226, v195, v150
	s_delay_alu instid0(VALU_DEP_4) | instskip(SKIP_2) | instid1(VALU_DEP_3)
	v_dual_add_f32 v3, v3, v222 :: v_dual_add_f32 v2, v2, v4
	v_dual_mul_f32 v4, v195, v151 :: v_dual_fmac_f32 v227, v197, v152
	v_fmac_f32_e32 v229, v201, v156
	v_dual_add_f32 v3, v3, v223 :: v_dual_add_f32 v2, v2, v6
	v_mul_f32_e32 v6, v197, v153
	s_delay_alu instid0(VALU_DEP_4) | instskip(SKIP_1) | instid1(VALU_DEP_4)
	v_fma_f32 v4, v194, v150, -v4
	v_fmac_f32_e32 v228, v199, v154
	v_add_f32_e32 v3, v3, v224
	v_dual_fmac_f32 v230, v203, v158 :: v_dual_fmac_f32 v231, v209, v204
	s_delay_alu instid0(VALU_DEP_2) | instskip(SKIP_2) | instid1(VALU_DEP_2)
	v_add_f32_e32 v3, v3, v225
	v_dual_add_f32 v2, v2, v5 :: v_dual_mul_f32 v5, v199, v155
	v_fma_f32 v6, v196, v152, -v6
	v_dual_add_f32 v3, v3, v226 :: v_dual_add_f32 v2, v2, v4
	v_mul_f32_e32 v4, v201, v157
	s_delay_alu instid0(VALU_DEP_4) | instskip(NEXT) | instid1(VALU_DEP_3)
	v_fma_f32 v5, v198, v154, -v5
	v_dual_add_f32 v3, v3, v227 :: v_dual_add_f32 v2, v2, v6
	v_mul_f32_e32 v6, v203, v159
	s_delay_alu instid0(VALU_DEP_4) | instskip(NEXT) | instid1(VALU_DEP_3)
	v_fma_f32 v4, v200, v156, -v4
	v_add_f32_e32 v2, v2, v5
	v_mul_f32_e32 v5, v209, v205
	v_add_f32_e32 v3, v3, v228
	v_fma_f32 v6, v202, v158, -v6
	s_delay_alu instid0(VALU_DEP_2) | instskip(NEXT) | instid1(VALU_DEP_1)
	v_add_f32_e32 v3, v3, v229
	v_dual_add_f32 v3, v3, v230 :: v_dual_add_f32 v2, v2, v4
	v_fma_f32 v4, v208, v204, -v5
	s_delay_alu instid0(VALU_DEP_2) | instskip(SKIP_1) | instid1(VALU_DEP_1)
	v_dual_add_f32 v3, v3, v231 :: v_dual_add_f32 v2, v2, v6
	s_wait_loadcnt 0x0
	v_dual_sub_f32 v3, v207, v3 :: v_dual_add_f32 v2, v2, v4
	s_delay_alu instid0(VALU_DEP_1)
	v_sub_f32_e32 v2, v206, v2
	scratch_store_b64 off, v[2:3], off offset:256
	v_cmpx_lt_u32_e32 31, v0
	s_cbranch_execz .LBB119_287
; %bb.286:
	scratch_load_b64 v[3:4], off, off offset:248
	v_mov_b32_e32 v2, v1
	scratch_store_b64 off, v[1:2], off offset:248
	s_wait_loadcnt 0x0
	ds_store_b64 v27, v[3:4]
.LBB119_287:
	s_wait_alu 0xfffe
	s_or_b32 exec_lo, exec_lo, s0
	s_wait_storecnt_dscnt 0x0
	s_barrier_signal -1
	s_barrier_wait -1
	global_inv scope:SCOPE_SE
	s_clause 0xc
	scratch_load_b128 v[2:5], off, off offset:256
	scratch_load_b128 v[6:9], off, off offset:272
	;; [unrolled: 1-line block ×12, first 2 shown]
	scratch_load_b64 v[212:213], off, off offset:248
	ds_load_b128 v[164:167], v1 offset:704
	ds_load_b128 v[168:171], v1 offset:720
	;; [unrolled: 1-line block ×12, first 2 shown]
	s_mov_b32 s0, exec_lo
	s_wait_loadcnt_dscnt 0xc0b
	v_dual_mul_f32 v1, v164, v3 :: v_dual_mul_f32 v26, v166, v5
	s_wait_loadcnt_dscnt 0xb0a
	v_dual_mul_f32 v5, v167, v5 :: v_dual_mul_f32 v214, v168, v7
	v_mul_f32_e32 v215, v170, v9
	s_delay_alu instid0(VALU_DEP_3)
	v_fmac_f32_e32 v1, v165, v2
	v_dual_mul_f32 v3, v165, v3 :: v_dual_fmac_f32 v26, v167, v4
	s_wait_loadcnt_dscnt 0xa09
	v_dual_mul_f32 v216, v172, v11 :: v_dual_mul_f32 v217, v174, v13
	s_wait_loadcnt_dscnt 0x201
	v_mul_f32_e32 v232, v204, v157
	v_fma_f32 v3, v164, v2, -v3
	s_wait_loadcnt_dscnt 0x100
	v_mul_f32_e32 v235, v210, v163
	v_mul_f32_e32 v2, v169, v7
	v_fma_f32 v4, v166, v4, -v5
	v_dual_mul_f32 v218, v176, v15 :: v_dual_mul_f32 v219, v178, v17
	v_dual_add_f32 v3, 0, v3 :: v_dual_fmac_f32 v214, v169, v6
	v_dual_mul_f32 v5, v171, v9 :: v_dual_fmac_f32 v216, v173, v10
	v_fma_f32 v2, v168, v6, -v2
	s_delay_alu instid0(VALU_DEP_3) | instskip(NEXT) | instid1(VALU_DEP_3)
	v_dual_add_f32 v3, v3, v4 :: v_dual_fmac_f32 v218, v177, v14
	v_fma_f32 v5, v170, v8, -v5
	v_dual_mul_f32 v220, v180, v19 :: v_dual_mul_f32 v221, v182, v21
	s_delay_alu instid0(VALU_DEP_3) | instskip(SKIP_2) | instid1(VALU_DEP_3)
	v_add_f32_e32 v2, v3, v2
	v_dual_mul_f32 v3, v175, v13 :: v_dual_mul_f32 v222, v184, v23
	v_dual_mul_f32 v223, v186, v25 :: v_dual_mul_f32 v4, v173, v11
	v_add_f32_e32 v2, v2, v5
	v_dual_add_f32 v1, 0, v1 :: v_dual_fmac_f32 v220, v181, v18
	s_delay_alu instid0(VALU_DEP_4) | instskip(NEXT) | instid1(VALU_DEP_4)
	v_fma_f32 v3, v174, v12, -v3
	v_fma_f32 v4, v172, v10, -v4
	v_fmac_f32_e32 v219, v179, v16
	s_delay_alu instid0(VALU_DEP_4) | instskip(SKIP_1) | instid1(VALU_DEP_4)
	v_dual_add_f32 v1, v1, v26 :: v_dual_mul_f32 v224, v188, v29
	v_mul_f32_e32 v225, v190, v31
	v_add_f32_e32 v2, v2, v4
	s_delay_alu instid0(VALU_DEP_3) | instskip(SKIP_2) | instid1(VALU_DEP_3)
	v_dual_mul_f32 v4, v179, v17 :: v_dual_add_f32 v1, v1, v214
	v_dual_fmac_f32 v215, v171, v8 :: v_dual_mul_f32 v228, v196, v149
	v_mul_f32_e32 v229, v198, v151
	v_fma_f32 v4, v178, v16, -v4
	v_mul_f32_e32 v5, v177, v15
	v_add_f32_e32 v2, v2, v3
	v_dual_add_f32 v1, v1, v215 :: v_dual_mul_f32 v226, v192, v145
	v_mul_f32_e32 v227, v194, v147
	s_delay_alu instid0(VALU_DEP_4) | instskip(SKIP_3) | instid1(VALU_DEP_4)
	v_fma_f32 v5, v176, v14, -v5
	v_fmac_f32_e32 v217, v175, v12
	v_dual_fmac_f32 v223, v187, v24 :: v_dual_fmac_f32 v222, v185, v22
	v_dual_mul_f32 v230, v200, v153 :: v_dual_mul_f32 v231, v202, v155
	v_add_f32_e32 v2, v2, v5
	v_mul_f32_e32 v5, v183, v21
	v_dual_mul_f32 v233, v206, v159 :: v_dual_mul_f32 v234, v208, v161
	v_dual_fmac_f32 v225, v191, v30 :: v_dual_fmac_f32 v226, v193, v144
	s_delay_alu instid0(VALU_DEP_3) | instskip(SKIP_3) | instid1(VALU_DEP_3)
	v_fma_f32 v5, v182, v20, -v5
	v_dual_mul_f32 v3, v181, v19 :: v_dual_add_f32 v2, v2, v4
	v_dual_mul_f32 v4, v185, v23 :: v_dual_fmac_f32 v231, v203, v154
	v_dual_fmac_f32 v229, v199, v150 :: v_dual_fmac_f32 v232, v205, v156
	v_fma_f32 v3, v180, v18, -v3
	v_add_f32_e32 v1, v1, v216
	s_delay_alu instid0(VALU_DEP_4) | instskip(SKIP_1) | instid1(VALU_DEP_4)
	v_fma_f32 v4, v184, v22, -v4
	v_dual_fmac_f32 v224, v189, v28 :: v_dual_fmac_f32 v235, v211, v162
	v_dual_add_f32 v2, v2, v3 :: v_dual_mul_f32 v3, v187, v25
	v_fmac_f32_e32 v228, v197, v148
	v_fmac_f32_e32 v230, v201, v152
	;; [unrolled: 1-line block ×3, first 2 shown]
	s_delay_alu instid0(VALU_DEP_4) | instskip(SKIP_2) | instid1(VALU_DEP_2)
	v_add_f32_e32 v2, v2, v5
	v_add_f32_e32 v1, v1, v217
	v_fma_f32 v3, v186, v24, -v3
	v_dual_add_f32 v2, v2, v4 :: v_dual_add_f32 v1, v1, v218
	v_mul_f32_e32 v4, v191, v31
	s_delay_alu instid0(VALU_DEP_2) | instskip(SKIP_1) | instid1(VALU_DEP_3)
	v_dual_fmac_f32 v221, v183, v20 :: v_dual_add_f32 v2, v2, v3
	v_mul_f32_e32 v3, v193, v145
	v_fma_f32 v4, v190, v30, -v4
	v_mul_f32_e32 v5, v189, v29
	s_delay_alu instid0(VALU_DEP_3) | instskip(NEXT) | instid1(VALU_DEP_2)
	v_fma_f32 v3, v192, v144, -v3
	v_fma_f32 v5, v188, v28, -v5
	s_delay_alu instid0(VALU_DEP_1) | instskip(NEXT) | instid1(VALU_DEP_1)
	v_dual_add_f32 v1, v1, v219 :: v_dual_add_f32 v2, v2, v5
	v_dual_mul_f32 v5, v195, v147 :: v_dual_add_f32 v2, v2, v4
	s_delay_alu instid0(VALU_DEP_2) | instskip(SKIP_1) | instid1(VALU_DEP_3)
	v_add_f32_e32 v1, v1, v220
	v_mul_f32_e32 v4, v197, v149
	v_fma_f32 v5, v194, v146, -v5
	s_delay_alu instid0(VALU_DEP_4) | instskip(SKIP_1) | instid1(VALU_DEP_4)
	v_dual_add_f32 v2, v2, v3 :: v_dual_fmac_f32 v227, v195, v146
	v_mul_f32_e32 v3, v199, v151
	v_fma_f32 v4, v196, v148, -v4
	s_delay_alu instid0(VALU_DEP_3) | instskip(SKIP_1) | instid1(VALU_DEP_4)
	v_add_f32_e32 v2, v2, v5
	v_add_f32_e32 v1, v1, v221
	v_fma_f32 v3, v198, v150, -v3
	s_delay_alu instid0(VALU_DEP_3) | instskip(NEXT) | instid1(VALU_DEP_3)
	v_dual_add_f32 v2, v2, v4 :: v_dual_mul_f32 v5, v201, v153
	v_dual_add_f32 v1, v1, v222 :: v_dual_mul_f32 v4, v203, v155
	s_delay_alu instid0(VALU_DEP_2) | instskip(NEXT) | instid1(VALU_DEP_3)
	v_add_f32_e32 v2, v2, v3
	v_fma_f32 v5, v200, v152, -v5
	s_delay_alu instid0(VALU_DEP_3) | instskip(SKIP_2) | instid1(VALU_DEP_4)
	v_add_f32_e32 v1, v1, v223
	v_mul_f32_e32 v3, v205, v157
	v_fma_f32 v4, v202, v154, -v4
	v_dual_add_f32 v2, v2, v5 :: v_dual_mul_f32 v5, v207, v159
	s_delay_alu instid0(VALU_DEP_3) | instskip(NEXT) | instid1(VALU_DEP_2)
	v_fma_f32 v3, v204, v156, -v3
	v_add_f32_e32 v2, v2, v4
	v_add_f32_e32 v1, v1, v224
	v_mul_f32_e32 v4, v209, v161
	v_fma_f32 v5, v206, v158, -v5
	s_delay_alu instid0(VALU_DEP_4) | instskip(SKIP_1) | instid1(VALU_DEP_4)
	v_dual_add_f32 v2, v2, v3 :: v_dual_fmac_f32 v233, v207, v158
	v_mul_f32_e32 v3, v211, v163
	v_fma_f32 v4, v208, v160, -v4
	s_delay_alu instid0(VALU_DEP_3) | instskip(SKIP_1) | instid1(VALU_DEP_4)
	v_add_f32_e32 v2, v2, v5
	v_add_f32_e32 v1, v1, v225
	v_fma_f32 v3, v210, v162, -v3
	s_delay_alu instid0(VALU_DEP_2) | instskip(NEXT) | instid1(VALU_DEP_1)
	v_dual_add_f32 v2, v2, v4 :: v_dual_add_f32 v1, v1, v226
	v_add_f32_e32 v2, v2, v3
	s_delay_alu instid0(VALU_DEP_2) | instskip(NEXT) | instid1(VALU_DEP_1)
	v_add_f32_e32 v1, v1, v227
	v_add_f32_e32 v1, v1, v228
	s_delay_alu instid0(VALU_DEP_1) | instskip(NEXT) | instid1(VALU_DEP_1)
	v_add_f32_e32 v1, v1, v229
	v_add_f32_e32 v1, v1, v230
	s_delay_alu instid0(VALU_DEP_1) | instskip(NEXT) | instid1(VALU_DEP_1)
	;; [unrolled: 3-line block ×3, first 2 shown]
	v_add_f32_e32 v1, v1, v233
	v_add_f32_e32 v1, v1, v234
	s_delay_alu instid0(VALU_DEP_1) | instskip(SKIP_1) | instid1(VALU_DEP_1)
	v_add_f32_e32 v3, v1, v235
	s_wait_loadcnt 0x0
	v_dual_sub_f32 v1, v212, v2 :: v_dual_sub_f32 v2, v213, v3
	scratch_store_b64 off, v[1:2], off offset:248
	v_cmpx_lt_u32_e32 30, v0
	s_cbranch_execz .LBB119_289
; %bb.288:
	scratch_load_b64 v[1:2], off, off offset:240
	v_mov_b32_e32 v3, 0
	s_delay_alu instid0(VALU_DEP_1)
	v_mov_b32_e32 v4, v3
	scratch_store_b64 off, v[3:4], off offset:240
	s_wait_loadcnt 0x0
	ds_store_b64 v27, v[1:2]
.LBB119_289:
	s_wait_alu 0xfffe
	s_or_b32 exec_lo, exec_lo, s0
	s_wait_storecnt_dscnt 0x0
	s_barrier_signal -1
	s_barrier_wait -1
	global_inv scope:SCOPE_SE
	s_clause 0xd
	scratch_load_b128 v[2:5], off, off offset:248
	scratch_load_b128 v[6:9], off, off offset:264
	scratch_load_b128 v[10:13], off, off offset:280
	scratch_load_b128 v[14:17], off, off offset:296
	scratch_load_b128 v[18:21], off, off offset:312
	scratch_load_b128 v[22:25], off, off offset:328
	scratch_load_b128 v[28:31], off, off offset:344
	scratch_load_b128 v[144:147], off, off offset:360
	scratch_load_b128 v[148:151], off, off offset:376
	scratch_load_b128 v[152:155], off, off offset:392
	scratch_load_b128 v[156:159], off, off offset:408
	scratch_load_b128 v[160:163], off, off offset:424
	scratch_load_b64 v[212:213], off, off offset:440
	scratch_load_b64 v[214:215], off, off offset:240
	v_mov_b32_e32 v1, 0
	ds_load_2addr_b64 v[164:167], v1 offset0:87 offset1:88
	ds_load_2addr_b64 v[168:171], v1 offset0:89 offset1:90
	;; [unrolled: 1-line block ×12, first 2 shown]
	ds_load_b64 v[216:217], v1 offset:888
	s_mov_b32 s0, exec_lo
	s_wait_loadcnt_dscnt 0xd0c
	v_mul_f32_e32 v26, v164, v3
	v_dual_mul_f32 v3, v165, v3 :: v_dual_mul_f32 v218, v166, v5
	s_wait_loadcnt_dscnt 0xc0b
	v_mul_f32_e32 v219, v168, v7
	v_mul_f32_e32 v5, v167, v5
	s_wait_loadcnt_dscnt 0x807
	v_mul_f32_e32 v228, v186, v25
	v_fma_f32 v3, v164, v2, -v3
	v_dual_mul_f32 v220, v170, v9 :: v_dual_mul_f32 v221, v172, v11
	v_fmac_f32_e32 v26, v165, v2
	v_mul_f32_e32 v2, v169, v7
	s_delay_alu instid0(VALU_DEP_4)
	v_dual_fmac_f32 v218, v167, v4 :: v_dual_add_f32 v3, 0, v3
	s_wait_loadcnt_dscnt 0x100
	v_mul_f32_e32 v241, v216, v213
	v_fma_f32 v4, v166, v4, -v5
	v_dual_add_f32 v5, 0, v26 :: v_dual_fmac_f32 v220, v171, v8
	v_mul_f32_e32 v7, v171, v9
	v_fma_f32 v2, v168, v6, -v2
	s_delay_alu instid0(VALU_DEP_4)
	v_add_f32_e32 v3, v3, v4
	v_fmac_f32_e32 v219, v169, v6
	v_add_f32_e32 v4, v5, v218
	v_mul_f32_e32 v5, v173, v11
	v_fma_f32 v6, v170, v8, -v7
	v_add_f32_e32 v2, v3, v2
	v_dual_mul_f32 v222, v174, v13 :: v_dual_mul_f32 v223, v176, v15
	v_dual_add_f32 v3, v4, v219 :: v_dual_mul_f32 v4, v175, v13
	v_fma_f32 v5, v172, v10, -v5
	s_delay_alu instid0(VALU_DEP_4)
	v_add_f32_e32 v2, v2, v6
	v_fmac_f32_e32 v221, v173, v10
	v_mul_f32_e32 v6, v177, v15
	v_fmac_f32_e32 v222, v175, v12
	v_add_f32_e32 v3, v3, v220
	v_fma_f32 v4, v174, v12, -v4
	v_add_f32_e32 v2, v2, v5
	v_dual_mul_f32 v224, v178, v17 :: v_dual_mul_f32 v225, v180, v19
	s_delay_alu instid0(VALU_DEP_4)
	v_add_f32_e32 v3, v3, v221
	v_mul_f32_e32 v5, v179, v17
	v_fma_f32 v6, v176, v14, -v6
	v_dual_add_f32 v2, v2, v4 :: v_dual_fmac_f32 v223, v177, v14
	v_fmac_f32_e32 v224, v179, v16
	v_mul_f32_e32 v4, v181, v19
	v_fma_f32 v5, v178, v16, -v5
	s_delay_alu instid0(VALU_DEP_4) | instskip(SKIP_3) | instid1(VALU_DEP_3)
	v_add_f32_e32 v2, v2, v6
	v_add_f32_e32 v3, v3, v222
	v_dual_mul_f32 v6, v183, v21 :: v_dual_fmac_f32 v225, v181, v18
	v_fma_f32 v4, v180, v18, -v4
	v_dual_add_f32 v2, v2, v5 :: v_dual_add_f32 v3, v3, v223
	v_dual_mul_f32 v226, v182, v21 :: v_dual_mul_f32 v227, v184, v23
	v_mul_f32_e32 v5, v185, v23
	v_fma_f32 v6, v182, v20, -v6
	s_delay_alu instid0(VALU_DEP_4) | instskip(SKIP_4) | instid1(VALU_DEP_4)
	v_add_f32_e32 v2, v2, v4
	v_add_f32_e32 v3, v3, v224
	v_fmac_f32_e32 v226, v183, v20
	v_dual_mul_f32 v4, v187, v25 :: v_dual_fmac_f32 v227, v185, v22
	v_fma_f32 v5, v184, v22, -v5
	v_dual_add_f32 v2, v2, v6 :: v_dual_add_f32 v3, v3, v225
	v_mul_f32_e32 v6, v189, v29
	s_delay_alu instid0(VALU_DEP_4) | instskip(SKIP_1) | instid1(VALU_DEP_4)
	v_fma_f32 v4, v186, v24, -v4
	v_dual_mul_f32 v229, v188, v29 :: v_dual_mul_f32 v230, v190, v31
	v_dual_add_f32 v3, v3, v226 :: v_dual_add_f32 v2, v2, v5
	s_delay_alu instid0(VALU_DEP_4) | instskip(SKIP_1) | instid1(VALU_DEP_4)
	v_fma_f32 v6, v188, v28, -v6
	v_fmac_f32_e32 v228, v187, v24
	v_dual_fmac_f32 v229, v189, v28 :: v_dual_fmac_f32 v230, v191, v30
	s_delay_alu instid0(VALU_DEP_4) | instskip(SKIP_3) | instid1(VALU_DEP_3)
	v_add_f32_e32 v3, v3, v227
	v_dual_mul_f32 v5, v191, v31 :: v_dual_add_f32 v2, v2, v4
	v_dual_mul_f32 v231, v192, v145 :: v_dual_mul_f32 v232, v194, v147
	v_mul_f32_e32 v4, v193, v145
	v_fma_f32 v5, v190, v30, -v5
	s_delay_alu instid0(VALU_DEP_4) | instskip(NEXT) | instid1(VALU_DEP_4)
	v_add_f32_e32 v2, v2, v6
	v_dual_mul_f32 v6, v195, v147 :: v_dual_fmac_f32 v231, v193, v144
	s_delay_alu instid0(VALU_DEP_4) | instskip(SKIP_1) | instid1(VALU_DEP_4)
	v_fma_f32 v4, v192, v144, -v4
	v_dual_mul_f32 v233, v196, v149 :: v_dual_mul_f32 v234, v198, v151
	v_add_f32_e32 v2, v2, v5
	v_mul_f32_e32 v5, v197, v149
	v_add_f32_e32 v3, v3, v228
	s_delay_alu instid0(VALU_DEP_4) | instskip(SKIP_2) | instid1(VALU_DEP_4)
	v_dual_fmac_f32 v232, v195, v146 :: v_dual_fmac_f32 v233, v197, v148
	v_fma_f32 v6, v194, v146, -v6
	v_dual_mul_f32 v235, v200, v153 :: v_dual_mul_f32 v236, v202, v155
	v_add_f32_e32 v3, v3, v229
	v_dual_mul_f32 v237, v204, v157 :: v_dual_mul_f32 v238, v206, v159
	v_fma_f32 v5, v196, v148, -v5
	v_fmac_f32_e32 v234, v199, v150
	s_delay_alu instid0(VALU_DEP_4) | instskip(SKIP_2) | instid1(VALU_DEP_3)
	v_dual_add_f32 v3, v3, v230 :: v_dual_add_f32 v2, v2, v4
	v_dual_mul_f32 v4, v199, v151 :: v_dual_fmac_f32 v235, v201, v152
	v_fmac_f32_e32 v237, v205, v156
	v_dual_add_f32 v3, v3, v231 :: v_dual_add_f32 v2, v2, v6
	v_mul_f32_e32 v6, v201, v153
	s_delay_alu instid0(VALU_DEP_4) | instskip(SKIP_1) | instid1(VALU_DEP_4)
	v_fma_f32 v4, v198, v150, -v4
	v_fmac_f32_e32 v236, v203, v154
	v_add_f32_e32 v3, v3, v232
	v_dual_mul_f32 v239, v208, v161 :: v_dual_mul_f32 v240, v210, v163
	v_dual_fmac_f32 v238, v207, v158 :: v_dual_fmac_f32 v241, v217, v212
	s_delay_alu instid0(VALU_DEP_3) | instskip(SKIP_3) | instid1(VALU_DEP_3)
	v_add_f32_e32 v3, v3, v233
	v_dual_add_f32 v2, v2, v5 :: v_dual_mul_f32 v5, v203, v155
	v_fma_f32 v6, v200, v152, -v6
	v_fmac_f32_e32 v239, v209, v160
	v_dual_add_f32 v3, v3, v234 :: v_dual_add_f32 v2, v2, v4
	v_mul_f32_e32 v4, v205, v157
	v_fma_f32 v5, v202, v154, -v5
	v_fmac_f32_e32 v240, v211, v162
	s_delay_alu instid0(VALU_DEP_4) | instskip(SKIP_2) | instid1(VALU_DEP_3)
	v_dual_add_f32 v3, v3, v235 :: v_dual_add_f32 v2, v2, v6
	v_mul_f32_e32 v6, v207, v159
	v_fma_f32 v4, v204, v156, -v4
	v_add_f32_e32 v2, v2, v5
	v_mul_f32_e32 v5, v209, v161
	v_add_f32_e32 v3, v3, v236
	v_fma_f32 v6, v206, v158, -v6
	s_delay_alu instid0(VALU_DEP_3) | instskip(NEXT) | instid1(VALU_DEP_3)
	v_fma_f32 v5, v208, v160, -v5
	v_add_f32_e32 v3, v3, v237
	s_delay_alu instid0(VALU_DEP_1) | instskip(SKIP_1) | instid1(VALU_DEP_2)
	v_dual_add_f32 v3, v3, v238 :: v_dual_add_f32 v2, v2, v4
	v_mul_f32_e32 v4, v211, v163
	v_dual_add_f32 v3, v3, v239 :: v_dual_add_f32 v2, v2, v6
	v_mul_f32_e32 v6, v217, v213
	s_delay_alu instid0(VALU_DEP_3) | instskip(NEXT) | instid1(VALU_DEP_3)
	v_fma_f32 v4, v210, v162, -v4
	v_add_f32_e32 v3, v3, v240
	s_delay_alu instid0(VALU_DEP_1) | instskip(SKIP_3) | instid1(VALU_DEP_2)
	v_add_f32_e32 v3, v3, v241
	v_add_f32_e32 v2, v2, v5
	v_fma_f32 v5, v216, v212, -v6
	s_wait_loadcnt 0x0
	v_dual_sub_f32 v3, v215, v3 :: v_dual_add_f32 v2, v2, v4
	s_delay_alu instid0(VALU_DEP_1) | instskip(NEXT) | instid1(VALU_DEP_1)
	v_add_f32_e32 v2, v2, v5
	v_sub_f32_e32 v2, v214, v2
	scratch_store_b64 off, v[2:3], off offset:240
	v_cmpx_lt_u32_e32 29, v0
	s_cbranch_execz .LBB119_291
; %bb.290:
	scratch_load_b64 v[3:4], off, off offset:232
	v_mov_b32_e32 v2, v1
	scratch_store_b64 off, v[1:2], off offset:232
	s_wait_loadcnt 0x0
	ds_store_b64 v27, v[3:4]
.LBB119_291:
	s_wait_alu 0xfffe
	s_or_b32 exec_lo, exec_lo, s0
	s_wait_storecnt_dscnt 0x0
	s_barrier_signal -1
	s_barrier_wait -1
	global_inv scope:SCOPE_SE
	s_clause 0xd
	scratch_load_b128 v[2:5], off, off offset:240
	scratch_load_b128 v[6:9], off, off offset:256
	;; [unrolled: 1-line block ×13, first 2 shown]
	scratch_load_b64 v[220:221], off, off offset:232
	ds_load_b128 v[168:171], v1 offset:688
	ds_load_b128 v[172:175], v1 offset:704
	;; [unrolled: 1-line block ×13, first 2 shown]
	s_mov_b32 s0, exec_lo
	s_wait_loadcnt_dscnt 0xd0c
	v_dual_mul_f32 v1, v168, v3 :: v_dual_mul_f32 v26, v170, v5
	s_wait_loadcnt_dscnt 0xc0b
	v_dual_mul_f32 v5, v171, v5 :: v_dual_mul_f32 v222, v172, v7
	v_mul_f32_e32 v223, v174, v9
	s_wait_loadcnt_dscnt 0xb0a
	v_dual_fmac_f32 v1, v169, v2 :: v_dual_mul_f32 v224, v176, v11
	v_mul_f32_e32 v225, v178, v13
	v_dual_mul_f32 v3, v169, v3 :: v_dual_fmac_f32 v26, v171, v4
	s_wait_loadcnt_dscnt 0xa09
	v_dual_mul_f32 v226, v180, v15 :: v_dual_mul_f32 v227, v182, v17
	s_wait_loadcnt_dscnt 0x201
	v_mul_f32_e32 v242, v212, v161
	v_fma_f32 v3, v168, v2, -v3
	s_wait_loadcnt_dscnt 0x100
	v_mul_f32_e32 v245, v218, v167
	v_mul_f32_e32 v2, v173, v7
	v_fma_f32 v4, v170, v4, -v5
	v_dual_mul_f32 v5, v175, v9 :: v_dual_fmac_f32 v224, v177, v10
	v_dual_add_f32 v3, 0, v3 :: v_dual_fmac_f32 v222, v173, v6
	s_delay_alu instid0(VALU_DEP_4) | instskip(NEXT) | instid1(VALU_DEP_3)
	v_fma_f32 v2, v172, v6, -v2
	v_fma_f32 v5, v174, v8, -v5
	s_delay_alu instid0(VALU_DEP_3) | instskip(SKIP_2) | instid1(VALU_DEP_3)
	v_dual_fmac_f32 v226, v181, v14 :: v_dual_add_f32 v3, v3, v4
	v_dual_mul_f32 v228, v184, v19 :: v_dual_mul_f32 v229, v186, v21
	v_dual_mul_f32 v230, v188, v23 :: v_dual_mul_f32 v231, v190, v25
	v_add_f32_e32 v2, v3, v2
	s_delay_alu instid0(VALU_DEP_3) | instskip(SKIP_1) | instid1(VALU_DEP_3)
	v_dual_mul_f32 v3, v179, v13 :: v_dual_fmac_f32 v228, v185, v18
	v_dual_mul_f32 v4, v177, v11 :: v_dual_fmac_f32 v227, v183, v16
	v_add_f32_e32 v2, v2, v5
	v_add_f32_e32 v1, 0, v1
	s_delay_alu instid0(VALU_DEP_4) | instskip(NEXT) | instid1(VALU_DEP_4)
	v_fma_f32 v3, v178, v12, -v3
	v_fma_f32 v4, v176, v10, -v4
	v_dual_mul_f32 v232, v192, v29 :: v_dual_mul_f32 v233, v194, v31
	s_delay_alu instid0(VALU_DEP_4) | instskip(SKIP_1) | instid1(VALU_DEP_4)
	v_dual_add_f32 v1, v1, v26 :: v_dual_mul_f32 v236, v200, v149
	v_mul_f32_e32 v237, v202, v151
	v_add_f32_e32 v2, v2, v4
	s_delay_alu instid0(VALU_DEP_3) | instskip(SKIP_2) | instid1(VALU_DEP_3)
	v_dual_mul_f32 v4, v183, v17 :: v_dual_add_f32 v1, v1, v222
	v_dual_fmac_f32 v223, v175, v8 :: v_dual_mul_f32 v234, v196, v145
	v_mul_f32_e32 v235, v198, v147
	v_fma_f32 v4, v182, v16, -v4
	v_mul_f32_e32 v5, v181, v15
	v_add_f32_e32 v2, v2, v3
	v_add_f32_e32 v1, v1, v223
	v_dual_fmac_f32 v231, v191, v24 :: v_dual_mul_f32 v238, v204, v153
	v_mul_f32_e32 v239, v206, v155
	v_fma_f32 v5, v180, v14, -v5
	v_dual_fmac_f32 v225, v179, v12 :: v_dual_fmac_f32 v230, v189, v22
	v_dual_mul_f32 v240, v208, v157 :: v_dual_mul_f32 v241, v210, v159
	s_delay_alu instid0(VALU_DEP_3) | instskip(SKIP_2) | instid1(VALU_DEP_3)
	v_add_f32_e32 v2, v2, v5
	v_mul_f32_e32 v5, v187, v21
	v_dual_fmac_f32 v233, v195, v30 :: v_dual_fmac_f32 v234, v197, v144
	v_dual_fmac_f32 v239, v207, v154 :: v_dual_add_f32 v2, v2, v4
	s_delay_alu instid0(VALU_DEP_3) | instskip(SKIP_4) | instid1(VALU_DEP_4)
	v_fma_f32 v5, v186, v20, -v5
	v_mul_f32_e32 v3, v185, v19
	v_mul_f32_e32 v4, v189, v23
	v_dual_mul_f32 v243, v214, v163 :: v_dual_mul_f32 v244, v216, v165
	v_fmac_f32_e32 v232, v193, v28
	v_fma_f32 v3, v184, v18, -v3
	v_add_f32_e32 v1, v1, v224
	v_fma_f32 v4, v188, v22, -v4
	v_dual_fmac_f32 v237, v203, v150 :: v_dual_fmac_f32 v240, v209, v156
	s_delay_alu instid0(VALU_DEP_4) | instskip(SKIP_2) | instid1(VALU_DEP_3)
	v_dual_add_f32 v2, v2, v3 :: v_dual_mul_f32 v3, v191, v25
	v_fmac_f32_e32 v243, v215, v162
	v_dual_fmac_f32 v245, v219, v166 :: v_dual_fmac_f32 v236, v201, v148
	v_add_f32_e32 v2, v2, v5
	v_add_f32_e32 v1, v1, v225
	v_fma_f32 v3, v190, v24, -v3
	v_fmac_f32_e32 v238, v205, v152
	v_fmac_f32_e32 v242, v213, v160
	s_delay_alu instid0(VALU_DEP_4) | instskip(SKIP_3) | instid1(VALU_DEP_4)
	v_dual_add_f32 v2, v2, v4 :: v_dual_add_f32 v1, v1, v226
	v_mul_f32_e32 v4, v195, v31
	v_fmac_f32_e32 v229, v187, v20
	v_fmac_f32_e32 v244, v217, v164
	v_dual_add_f32 v2, v2, v3 :: v_dual_mul_f32 v3, v197, v145
	s_delay_alu instid0(VALU_DEP_4) | instskip(SKIP_1) | instid1(VALU_DEP_3)
	v_fma_f32 v4, v194, v30, -v4
	v_mul_f32_e32 v5, v193, v29
	v_fma_f32 v3, v196, v144, -v3
	s_delay_alu instid0(VALU_DEP_2) | instskip(NEXT) | instid1(VALU_DEP_1)
	v_fma_f32 v5, v192, v28, -v5
	v_dual_add_f32 v1, v1, v227 :: v_dual_add_f32 v2, v2, v5
	s_delay_alu instid0(VALU_DEP_1) | instskip(NEXT) | instid1(VALU_DEP_2)
	v_dual_mul_f32 v5, v199, v147 :: v_dual_add_f32 v2, v2, v4
	v_add_f32_e32 v1, v1, v228
	v_mul_f32_e32 v4, v201, v149
	s_delay_alu instid0(VALU_DEP_3) | instskip(NEXT) | instid1(VALU_DEP_4)
	v_fma_f32 v5, v198, v146, -v5
	v_dual_add_f32 v2, v2, v3 :: v_dual_fmac_f32 v235, v199, v146
	v_mul_f32_e32 v3, v203, v151
	s_delay_alu instid0(VALU_DEP_4) | instskip(NEXT) | instid1(VALU_DEP_3)
	v_fma_f32 v4, v200, v148, -v4
	v_add_f32_e32 v2, v2, v5
	v_add_f32_e32 v1, v1, v229
	s_delay_alu instid0(VALU_DEP_4) | instskip(NEXT) | instid1(VALU_DEP_3)
	v_fma_f32 v3, v202, v150, -v3
	v_dual_add_f32 v2, v2, v4 :: v_dual_mul_f32 v5, v205, v153
	s_delay_alu instid0(VALU_DEP_3) | instskip(NEXT) | instid1(VALU_DEP_2)
	v_dual_add_f32 v1, v1, v230 :: v_dual_mul_f32 v4, v207, v155
	v_add_f32_e32 v2, v2, v3
	s_delay_alu instid0(VALU_DEP_3) | instskip(NEXT) | instid1(VALU_DEP_3)
	v_fma_f32 v5, v204, v152, -v5
	v_add_f32_e32 v1, v1, v231
	v_mul_f32_e32 v3, v209, v157
	v_fma_f32 v4, v206, v154, -v4
	s_delay_alu instid0(VALU_DEP_4) | instskip(NEXT) | instid1(VALU_DEP_3)
	v_dual_add_f32 v2, v2, v5 :: v_dual_mul_f32 v5, v211, v159
	v_fma_f32 v3, v208, v156, -v3
	s_delay_alu instid0(VALU_DEP_2) | instskip(SKIP_3) | instid1(VALU_DEP_4)
	v_add_f32_e32 v2, v2, v4
	v_add_f32_e32 v1, v1, v232
	v_mul_f32_e32 v4, v213, v161
	v_fma_f32 v5, v210, v158, -v5
	v_dual_add_f32 v2, v2, v3 :: v_dual_fmac_f32 v241, v211, v158
	v_mul_f32_e32 v3, v215, v163
	s_delay_alu instid0(VALU_DEP_4) | instskip(NEXT) | instid1(VALU_DEP_3)
	v_fma_f32 v4, v212, v160, -v4
	v_add_f32_e32 v2, v2, v5
	v_add_f32_e32 v1, v1, v233
	s_delay_alu instid0(VALU_DEP_4) | instskip(NEXT) | instid1(VALU_DEP_2)
	v_fma_f32 v3, v214, v162, -v3
	v_dual_add_f32 v2, v2, v4 :: v_dual_add_f32 v1, v1, v234
	v_dual_mul_f32 v4, v219, v167 :: v_dual_mul_f32 v5, v217, v165
	s_delay_alu instid0(VALU_DEP_2) | instskip(NEXT) | instid1(VALU_DEP_2)
	v_add_f32_e32 v2, v2, v3
	v_fma_f32 v3, v218, v166, -v4
	s_delay_alu instid0(VALU_DEP_3) | instskip(NEXT) | instid1(VALU_DEP_1)
	v_fma_f32 v5, v216, v164, -v5
	v_dual_add_f32 v1, v1, v235 :: v_dual_add_f32 v2, v2, v5
	s_delay_alu instid0(VALU_DEP_1) | instskip(NEXT) | instid1(VALU_DEP_1)
	v_dual_add_f32 v1, v1, v236 :: v_dual_add_f32 v2, v2, v3
	v_add_f32_e32 v1, v1, v237
	s_delay_alu instid0(VALU_DEP_1) | instskip(NEXT) | instid1(VALU_DEP_1)
	v_add_f32_e32 v1, v1, v238
	v_add_f32_e32 v1, v1, v239
	s_delay_alu instid0(VALU_DEP_1) | instskip(NEXT) | instid1(VALU_DEP_1)
	v_add_f32_e32 v1, v1, v240
	;; [unrolled: 3-line block ×4, first 2 shown]
	v_add_f32_e32 v3, v1, v245
	s_wait_loadcnt 0x0
	s_delay_alu instid0(VALU_DEP_1)
	v_dual_sub_f32 v1, v220, v2 :: v_dual_sub_f32 v2, v221, v3
	scratch_store_b64 off, v[1:2], off offset:232
	v_cmpx_lt_u32_e32 28, v0
	s_cbranch_execz .LBB119_293
; %bb.292:
	scratch_load_b64 v[1:2], off, off offset:224
	v_mov_b32_e32 v3, 0
	s_delay_alu instid0(VALU_DEP_1)
	v_mov_b32_e32 v4, v3
	scratch_store_b64 off, v[3:4], off offset:224
	s_wait_loadcnt 0x0
	ds_store_b64 v27, v[1:2]
.LBB119_293:
	s_wait_alu 0xfffe
	s_or_b32 exec_lo, exec_lo, s0
	s_wait_storecnt_dscnt 0x0
	s_barrier_signal -1
	s_barrier_wait -1
	global_inv scope:SCOPE_SE
	s_clause 0xe
	scratch_load_b128 v[2:5], off, off offset:232
	scratch_load_b128 v[6:9], off, off offset:248
	;; [unrolled: 1-line block ×13, first 2 shown]
	scratch_load_b64 v[220:221], off, off offset:440
	scratch_load_b64 v[222:223], off, off offset:224
	v_mov_b32_e32 v1, 0
	ds_load_2addr_b64 v[168:171], v1 offset0:85 offset1:86
	ds_load_2addr_b64 v[172:175], v1 offset0:87 offset1:88
	;; [unrolled: 1-line block ×13, first 2 shown]
	ds_load_b64 v[224:225], v1 offset:888
	s_mov_b32 s0, exec_lo
	s_wait_loadcnt_dscnt 0xe0d
	v_mul_f32_e32 v26, v168, v3
	v_dual_mul_f32 v3, v169, v3 :: v_dual_mul_f32 v226, v170, v5
	s_wait_loadcnt_dscnt 0xd0c
	v_mul_f32_e32 v227, v172, v7
	v_mul_f32_e32 v5, v171, v5
	s_wait_loadcnt_dscnt 0x908
	v_mul_f32_e32 v236, v190, v25
	v_fma_f32 v3, v168, v2, -v3
	v_dual_mul_f32 v228, v174, v9 :: v_dual_mul_f32 v229, v176, v11
	v_fmac_f32_e32 v26, v169, v2
	v_mul_f32_e32 v2, v173, v7
	s_delay_alu instid0(VALU_DEP_4)
	v_dual_fmac_f32 v226, v171, v4 :: v_dual_add_f32 v3, 0, v3
	s_wait_loadcnt_dscnt 0x100
	v_mul_f32_e32 v251, v224, v221
	v_fma_f32 v4, v170, v4, -v5
	v_dual_add_f32 v5, 0, v26 :: v_dual_fmac_f32 v228, v175, v8
	v_mul_f32_e32 v7, v175, v9
	v_fma_f32 v2, v172, v6, -v2
	s_delay_alu instid0(VALU_DEP_4)
	v_add_f32_e32 v3, v3, v4
	v_fmac_f32_e32 v227, v173, v6
	v_add_f32_e32 v4, v5, v226
	v_mul_f32_e32 v5, v177, v11
	v_fma_f32 v6, v174, v8, -v7
	v_add_f32_e32 v2, v3, v2
	v_dual_mul_f32 v230, v178, v13 :: v_dual_mul_f32 v231, v180, v15
	v_dual_add_f32 v3, v4, v227 :: v_dual_mul_f32 v4, v179, v13
	v_fma_f32 v5, v176, v10, -v5
	s_delay_alu instid0(VALU_DEP_4)
	v_add_f32_e32 v2, v2, v6
	v_fmac_f32_e32 v229, v177, v10
	v_mul_f32_e32 v6, v181, v15
	v_fmac_f32_e32 v230, v179, v12
	v_add_f32_e32 v3, v3, v228
	v_fma_f32 v4, v178, v12, -v4
	v_add_f32_e32 v2, v2, v5
	v_dual_mul_f32 v232, v182, v17 :: v_dual_mul_f32 v233, v184, v19
	s_delay_alu instid0(VALU_DEP_4)
	v_add_f32_e32 v3, v3, v229
	v_mul_f32_e32 v5, v183, v17
	v_fma_f32 v6, v180, v14, -v6
	v_dual_add_f32 v2, v2, v4 :: v_dual_fmac_f32 v231, v181, v14
	v_fmac_f32_e32 v232, v183, v16
	v_mul_f32_e32 v4, v185, v19
	v_fma_f32 v5, v182, v16, -v5
	s_delay_alu instid0(VALU_DEP_4) | instskip(SKIP_3) | instid1(VALU_DEP_3)
	v_add_f32_e32 v2, v2, v6
	v_add_f32_e32 v3, v3, v230
	v_dual_mul_f32 v6, v187, v21 :: v_dual_fmac_f32 v233, v185, v18
	v_fma_f32 v4, v184, v18, -v4
	v_dual_add_f32 v2, v2, v5 :: v_dual_add_f32 v3, v3, v231
	v_dual_mul_f32 v234, v186, v21 :: v_dual_mul_f32 v235, v188, v23
	v_mul_f32_e32 v5, v189, v23
	v_fma_f32 v6, v186, v20, -v6
	s_delay_alu instid0(VALU_DEP_4) | instskip(SKIP_4) | instid1(VALU_DEP_4)
	v_add_f32_e32 v2, v2, v4
	v_add_f32_e32 v3, v3, v232
	v_fmac_f32_e32 v234, v187, v20
	v_dual_mul_f32 v4, v191, v25 :: v_dual_fmac_f32 v235, v189, v22
	v_fma_f32 v5, v188, v22, -v5
	v_dual_add_f32 v2, v2, v6 :: v_dual_add_f32 v3, v3, v233
	v_mul_f32_e32 v6, v193, v29
	s_delay_alu instid0(VALU_DEP_4) | instskip(SKIP_1) | instid1(VALU_DEP_4)
	v_fma_f32 v4, v190, v24, -v4
	v_dual_mul_f32 v237, v192, v29 :: v_dual_mul_f32 v238, v194, v31
	v_dual_add_f32 v3, v3, v234 :: v_dual_add_f32 v2, v2, v5
	s_delay_alu instid0(VALU_DEP_4) | instskip(SKIP_1) | instid1(VALU_DEP_4)
	v_fma_f32 v6, v192, v28, -v6
	v_fmac_f32_e32 v236, v191, v24
	v_dual_fmac_f32 v237, v193, v28 :: v_dual_fmac_f32 v238, v195, v30
	s_delay_alu instid0(VALU_DEP_4) | instskip(SKIP_3) | instid1(VALU_DEP_3)
	v_add_f32_e32 v3, v3, v235
	v_dual_mul_f32 v5, v195, v31 :: v_dual_add_f32 v2, v2, v4
	v_dual_mul_f32 v239, v196, v145 :: v_dual_mul_f32 v240, v198, v147
	v_mul_f32_e32 v4, v197, v145
	v_fma_f32 v5, v194, v30, -v5
	s_delay_alu instid0(VALU_DEP_4) | instskip(NEXT) | instid1(VALU_DEP_4)
	v_add_f32_e32 v2, v2, v6
	v_dual_mul_f32 v6, v199, v147 :: v_dual_fmac_f32 v239, v197, v144
	s_delay_alu instid0(VALU_DEP_4) | instskip(SKIP_1) | instid1(VALU_DEP_4)
	v_fma_f32 v4, v196, v144, -v4
	v_dual_mul_f32 v241, v200, v149 :: v_dual_mul_f32 v242, v202, v151
	v_add_f32_e32 v2, v2, v5
	v_mul_f32_e32 v5, v201, v149
	v_add_f32_e32 v3, v3, v236
	s_delay_alu instid0(VALU_DEP_4) | instskip(SKIP_2) | instid1(VALU_DEP_4)
	v_dual_fmac_f32 v240, v199, v146 :: v_dual_fmac_f32 v241, v201, v148
	v_fma_f32 v6, v198, v146, -v6
	v_dual_mul_f32 v243, v204, v153 :: v_dual_mul_f32 v244, v206, v155
	v_add_f32_e32 v3, v3, v237
	v_dual_mul_f32 v245, v208, v157 :: v_dual_mul_f32 v246, v210, v159
	v_fma_f32 v5, v200, v148, -v5
	v_fmac_f32_e32 v242, v203, v150
	s_delay_alu instid0(VALU_DEP_4) | instskip(SKIP_2) | instid1(VALU_DEP_3)
	v_dual_add_f32 v3, v3, v238 :: v_dual_add_f32 v2, v2, v4
	v_dual_mul_f32 v4, v203, v151 :: v_dual_fmac_f32 v243, v205, v152
	v_fmac_f32_e32 v245, v209, v156
	v_dual_add_f32 v3, v3, v239 :: v_dual_add_f32 v2, v2, v6
	v_mul_f32_e32 v6, v205, v153
	s_delay_alu instid0(VALU_DEP_4) | instskip(SKIP_1) | instid1(VALU_DEP_4)
	v_fma_f32 v4, v202, v150, -v4
	v_dual_mul_f32 v249, v216, v165 :: v_dual_mul_f32 v250, v218, v167
	v_add_f32_e32 v3, v3, v240
	v_dual_fmac_f32 v244, v207, v154 :: v_dual_mul_f32 v247, v212, v161
	v_mul_f32_e32 v248, v214, v163
	s_delay_alu instid0(VALU_DEP_4) | instskip(NEXT) | instid1(VALU_DEP_4)
	v_dual_fmac_f32 v246, v211, v158 :: v_dual_fmac_f32 v249, v217, v164
	v_add_f32_e32 v3, v3, v241
	v_dual_add_f32 v2, v2, v5 :: v_dual_mul_f32 v5, v207, v155
	v_fma_f32 v6, v204, v152, -v6
	v_fmac_f32_e32 v247, v213, v160
	s_delay_alu instid0(VALU_DEP_3) | instskip(SKIP_3) | instid1(VALU_DEP_4)
	v_dual_add_f32 v3, v3, v242 :: v_dual_add_f32 v2, v2, v4
	v_mul_f32_e32 v4, v209, v157
	v_fma_f32 v5, v206, v154, -v5
	v_fmac_f32_e32 v248, v215, v162
	v_dual_add_f32 v3, v3, v243 :: v_dual_add_f32 v2, v2, v6
	v_mul_f32_e32 v6, v211, v159
	v_fma_f32 v4, v208, v156, -v4
	v_dual_fmac_f32 v251, v225, v220 :: v_dual_fmac_f32 v250, v219, v166
	s_delay_alu instid0(VALU_DEP_4) | instskip(SKIP_3) | instid1(VALU_DEP_3)
	v_add_f32_e32 v2, v2, v5
	v_mul_f32_e32 v5, v213, v161
	v_add_f32_e32 v3, v3, v244
	v_fma_f32 v6, v210, v158, -v6
	v_fma_f32 v5, v212, v160, -v5
	s_delay_alu instid0(VALU_DEP_3) | instskip(NEXT) | instid1(VALU_DEP_1)
	v_add_f32_e32 v3, v3, v245
	v_dual_add_f32 v3, v3, v246 :: v_dual_add_f32 v2, v2, v4
	v_mul_f32_e32 v4, v215, v163
	s_delay_alu instid0(VALU_DEP_2) | instskip(SKIP_1) | instid1(VALU_DEP_3)
	v_dual_add_f32 v3, v3, v247 :: v_dual_add_f32 v2, v2, v6
	v_mul_f32_e32 v6, v217, v165
	v_fma_f32 v4, v214, v162, -v4
	s_delay_alu instid0(VALU_DEP_3) | instskip(SKIP_1) | instid1(VALU_DEP_4)
	v_dual_add_f32 v3, v3, v248 :: v_dual_add_f32 v2, v2, v5
	v_mul_f32_e32 v5, v219, v167
	v_fma_f32 v6, v216, v164, -v6
	s_delay_alu instid0(VALU_DEP_3) | instskip(SKIP_1) | instid1(VALU_DEP_4)
	v_dual_add_f32 v3, v3, v249 :: v_dual_add_f32 v2, v2, v4
	v_mul_f32_e32 v4, v225, v221
	v_fma_f32 v5, v218, v166, -v5
	s_delay_alu instid0(VALU_DEP_3) | instskip(NEXT) | instid1(VALU_DEP_4)
	v_add_f32_e32 v3, v3, v250
	v_add_f32_e32 v2, v2, v6
	s_delay_alu instid0(VALU_DEP_4) | instskip(NEXT) | instid1(VALU_DEP_2)
	v_fma_f32 v4, v224, v220, -v4
	v_dual_add_f32 v3, v3, v251 :: v_dual_add_f32 v2, v2, v5
	s_wait_loadcnt 0x0
	s_delay_alu instid0(VALU_DEP_1) | instskip(NEXT) | instid1(VALU_DEP_1)
	v_dual_sub_f32 v3, v223, v3 :: v_dual_add_f32 v2, v2, v4
	v_sub_f32_e32 v2, v222, v2
	scratch_store_b64 off, v[2:3], off offset:224
	v_cmpx_lt_u32_e32 27, v0
	s_cbranch_execz .LBB119_295
; %bb.294:
	scratch_load_b64 v[3:4], off, off offset:216
	v_mov_b32_e32 v2, v1
	scratch_store_b64 off, v[1:2], off offset:216
	s_wait_loadcnt 0x0
	ds_store_b64 v27, v[3:4]
.LBB119_295:
	s_wait_alu 0xfffe
	s_or_b32 exec_lo, exec_lo, s0
	s_wait_storecnt_dscnt 0x0
	s_barrier_signal -1
	s_barrier_wait -1
	global_inv scope:SCOPE_SE
	s_clause 0x4
	scratch_load_b128 v[2:5], off, off offset:224
	scratch_load_b128 v[6:9], off, off offset:240
	;; [unrolled: 1-line block ×5, first 2 shown]
	ds_load_b128 v[22:25], v1 offset:672
	ds_load_b128 v[28:31], v1 offset:688
	ds_load_b128 v[144:147], v1 offset:704
	scratch_load_b64 v[148:149], off, off offset:216
	s_mov_b32 s0, exec_lo
	s_wait_loadcnt_dscnt 0x502
	v_dual_mul_f32 v26, v23, v3 :: v_dual_mul_f32 v151, v24, v5
	v_dual_mul_f32 v150, v22, v3 :: v_dual_mul_f32 v3, v25, v5
	s_wait_loadcnt_dscnt 0x300
	v_mul_f32_e32 v152, v146, v13
	s_delay_alu instid0(VALU_DEP_3) | instskip(NEXT) | instid1(VALU_DEP_3)
	v_fma_f32 v22, v22, v2, -v26
	v_dual_fmac_f32 v151, v25, v4 :: v_dual_fmac_f32 v150, v23, v2
	v_fma_f32 v23, v24, v4, -v3
	ds_load_b128 v[2:5], v1 offset:720
	v_dual_mul_f32 v24, v28, v7 :: v_dual_mul_f32 v25, v30, v9
	v_mul_f32_e32 v7, v29, v7
	v_dual_mul_f32 v9, v31, v9 :: v_dual_mul_f32 v26, v144, v11
	v_dual_mul_f32 v11, v145, v11 :: v_dual_fmac_f32 v152, v147, v12
	s_delay_alu instid0(VALU_DEP_4) | instskip(SKIP_1) | instid1(VALU_DEP_4)
	v_dual_mul_f32 v13, v147, v13 :: v_dual_fmac_f32 v24, v29, v6
	v_fmac_f32_e32 v25, v31, v8
	v_fma_f32 v29, v30, v8, -v9
	v_fmac_f32_e32 v26, v145, v10
	v_fma_f32 v30, v144, v10, -v11
	v_fma_f32 v31, v146, v12, -v13
	ds_load_b128 v[10:13], v1 offset:736
	v_fma_f32 v28, v28, v6, -v7
	scratch_load_b128 v[6:9], off, off offset:304
	s_wait_loadcnt_dscnt 0x301
	v_dual_mul_f32 v144, v2, v15 :: v_dual_mul_f32 v145, v4, v17
	v_mul_f32_e32 v15, v3, v15
	s_delay_alu instid0(VALU_DEP_2) | instskip(NEXT) | instid1(VALU_DEP_3)
	v_dual_mul_f32 v17, v5, v17 :: v_dual_fmac_f32 v144, v3, v14
	v_fmac_f32_e32 v145, v5, v16
	s_delay_alu instid0(VALU_DEP_3) | instskip(NEXT) | instid1(VALU_DEP_3)
	v_fma_f32 v14, v2, v14, -v15
	v_fma_f32 v15, v4, v16, -v17
	ds_load_b128 v[2:5], v1 offset:752
	s_wait_loadcnt_dscnt 0x201
	v_mul_f32_e32 v16, v10, v19
	v_mul_f32_e32 v17, v11, v19
	;; [unrolled: 1-line block ×3, first 2 shown]
	s_delay_alu instid0(VALU_DEP_3) | instskip(NEXT) | instid1(VALU_DEP_3)
	v_dual_mul_f32 v21, v13, v21 :: v_dual_fmac_f32 v16, v11, v18
	v_fma_f32 v17, v10, v18, -v17
	s_delay_alu instid0(VALU_DEP_3) | instskip(NEXT) | instid1(VALU_DEP_3)
	v_fmac_f32_e32 v19, v13, v20
	v_fma_f32 v18, v12, v20, -v21
	scratch_load_b128 v[10:13], off, off offset:320
	s_wait_loadcnt_dscnt 0x100
	v_mul_f32_e32 v20, v2, v7
	v_mul_f32_e32 v7, v3, v7
	v_mul_f32_e32 v21, v4, v9
	s_delay_alu instid0(VALU_DEP_3) | instskip(NEXT) | instid1(VALU_DEP_3)
	v_dual_mul_f32 v9, v5, v9 :: v_dual_fmac_f32 v20, v3, v6
	v_fma_f32 v146, v2, v6, -v7
	s_delay_alu instid0(VALU_DEP_3) | instskip(NEXT) | instid1(VALU_DEP_3)
	v_fmac_f32_e32 v21, v5, v8
	v_fma_f32 v147, v4, v8, -v9
	ds_load_b128 v[2:5], v1 offset:768
	ds_load_b128 v[6:9], v1 offset:784
	s_wait_loadcnt_dscnt 0x1
	v_mul_f32_e32 v153, v2, v11
	v_dual_mul_f32 v11, v3, v11 :: v_dual_mul_f32 v154, v4, v13
	s_delay_alu instid0(VALU_DEP_2) | instskip(NEXT) | instid1(VALU_DEP_2)
	v_fmac_f32_e32 v153, v3, v10
	v_fma_f32 v155, v2, v10, -v11
	v_mul_f32_e32 v2, v5, v13
	s_delay_alu instid0(VALU_DEP_4) | instskip(NEXT) | instid1(VALU_DEP_2)
	v_fmac_f32_e32 v154, v5, v12
	v_fma_f32 v156, v4, v12, -v2
	s_clause 0x1
	scratch_load_b128 v[2:5], off, off offset:336
	scratch_load_b128 v[10:13], off, off offset:352
	s_wait_loadcnt_dscnt 0x100
	v_mul_f32_e32 v157, v6, v3
	v_mul_f32_e32 v3, v7, v3
	;; [unrolled: 1-line block ×3, first 2 shown]
	s_delay_alu instid0(VALU_DEP_3) | instskip(NEXT) | instid1(VALU_DEP_3)
	v_fmac_f32_e32 v157, v7, v2
	v_fma_f32 v158, v6, v2, -v3
	v_mul_f32_e32 v2, v9, v5
	s_delay_alu instid0(VALU_DEP_4) | instskip(NEXT) | instid1(VALU_DEP_2)
	v_fmac_f32_e32 v159, v9, v4
	v_fma_f32 v160, v8, v4, -v2
	ds_load_b128 v[2:5], v1 offset:800
	ds_load_b128 v[6:9], v1 offset:816
	s_wait_loadcnt_dscnt 0x1
	v_mul_f32_e32 v161, v2, v11
	v_mul_f32_e32 v163, v4, v13
	s_delay_alu instid0(VALU_DEP_2) | instskip(SKIP_1) | instid1(VALU_DEP_3)
	v_fmac_f32_e32 v161, v3, v10
	v_mul_f32_e32 v3, v3, v11
	v_fmac_f32_e32 v163, v5, v12
	s_delay_alu instid0(VALU_DEP_2) | instskip(SKIP_1) | instid1(VALU_DEP_1)
	v_fma_f32 v162, v2, v10, -v3
	v_mul_f32_e32 v2, v5, v13
	v_fma_f32 v164, v4, v12, -v2
	s_clause 0x1
	scratch_load_b128 v[2:5], off, off offset:368
	scratch_load_b128 v[10:13], off, off offset:384
	s_wait_loadcnt_dscnt 0x100
	v_mul_f32_e32 v165, v6, v3
	v_mul_f32_e32 v3, v7, v3
	s_delay_alu instid0(VALU_DEP_2) | instskip(NEXT) | instid1(VALU_DEP_2)
	v_fmac_f32_e32 v165, v7, v2
	v_fma_f32 v166, v6, v2, -v3
	v_dual_mul_f32 v2, v9, v5 :: v_dual_add_f32 v3, 0, v150
	s_delay_alu instid0(VALU_DEP_1) | instskip(NEXT) | instid1(VALU_DEP_2)
	v_fma_f32 v168, v8, v4, -v2
	v_dual_add_f32 v2, 0, v22 :: v_dual_add_f32 v3, v3, v151
	s_delay_alu instid0(VALU_DEP_1) | instskip(NEXT) | instid1(VALU_DEP_1)
	v_dual_add_f32 v2, v2, v23 :: v_dual_add_f32 v3, v3, v24
	v_dual_add_f32 v2, v2, v28 :: v_dual_add_f32 v3, v3, v25
	s_delay_alu instid0(VALU_DEP_1) | instskip(NEXT) | instid1(VALU_DEP_2)
	v_add_f32_e32 v2, v2, v29
	v_add_f32_e32 v6, v3, v26
	s_delay_alu instid0(VALU_DEP_2) | instskip(NEXT) | instid1(VALU_DEP_2)
	v_add_f32_e32 v2, v2, v30
	v_add_f32_e32 v6, v6, v152
	s_delay_alu instid0(VALU_DEP_2) | instskip(NEXT) | instid1(VALU_DEP_1)
	v_add_f32_e32 v7, v2, v31
	v_dual_add_f32 v6, v6, v144 :: v_dual_add_f32 v7, v7, v14
	s_delay_alu instid0(VALU_DEP_1) | instskip(NEXT) | instid1(VALU_DEP_1)
	v_dual_add_f32 v14, v7, v15 :: v_dual_add_f32 v15, v6, v145
	v_dual_add_f32 v14, v14, v17 :: v_dual_add_f32 v15, v15, v16
	s_delay_alu instid0(VALU_DEP_1) | instskip(NEXT) | instid1(VALU_DEP_1)
	v_dual_add_f32 v14, v14, v18 :: v_dual_add_f32 v15, v15, v19
	v_dual_mul_f32 v167, v8, v5 :: v_dual_add_f32 v14, v14, v146
	s_delay_alu instid0(VALU_DEP_2) | instskip(NEXT) | instid1(VALU_DEP_2)
	v_add_f32_e32 v18, v15, v20
	v_fmac_f32_e32 v167, v9, v4
	ds_load_b128 v[2:5], v1 offset:832
	ds_load_b128 v[6:9], v1 offset:848
	v_add_f32_e32 v19, v14, v147
	scratch_load_b128 v[14:17], off, off offset:432
	v_dual_add_f32 v18, v18, v21 :: v_dual_add_f32 v19, v19, v155
	s_delay_alu instid0(VALU_DEP_1) | instskip(NEXT) | instid1(VALU_DEP_1)
	v_dual_add_f32 v18, v18, v153 :: v_dual_add_f32 v19, v19, v156
	v_add_f32_e32 v18, v18, v154
	s_delay_alu instid0(VALU_DEP_1)
	v_dual_add_f32 v22, v19, v158 :: v_dual_add_f32 v23, v18, v157
	ds_load_b128 v[18:21], v1 offset:864
	s_wait_loadcnt_dscnt 0x102
	v_dual_mul_f32 v28, v4, v13 :: v_dual_add_f32 v31, v22, v160
	v_mul_f32_e32 v26, v2, v11
	v_add_f32_e32 v144, v23, v159
	ds_load_b128 v[22:25], v1 offset:880
	v_dual_fmac_f32 v28, v5, v12 :: v_dual_add_f32 v1, v31, v162
	v_dual_fmac_f32 v26, v3, v10 :: v_dual_add_f32 v31, v144, v161
	s_wait_loadcnt_dscnt 0x0
	s_delay_alu instid0(VALU_DEP_2) | instskip(NEXT) | instid1(VALU_DEP_1)
	v_dual_mul_f32 v150, v22, v15 :: v_dual_add_f32 v1, v1, v164
	v_fmac_f32_e32 v150, v23, v14
	s_delay_alu instid0(VALU_DEP_3) | instskip(NEXT) | instid1(VALU_DEP_3)
	v_add_f32_e32 v31, v31, v163
	v_add_f32_e32 v1, v1, v166
	s_delay_alu instid0(VALU_DEP_2) | instskip(NEXT) | instid1(VALU_DEP_2)
	v_add_f32_e32 v31, v31, v165
	v_add_f32_e32 v1, v1, v168
	s_delay_alu instid0(VALU_DEP_2) | instskip(NEXT) | instid1(VALU_DEP_1)
	v_add_f32_e32 v31, v31, v167
	v_dual_mul_f32 v13, v5, v13 :: v_dual_add_f32 v26, v31, v26
	v_mul_f32_e32 v11, v3, v11
	s_delay_alu instid0(VALU_DEP_2) | instskip(NEXT) | instid1(VALU_DEP_2)
	v_fma_f32 v30, v4, v12, -v13
	v_fma_f32 v29, v2, v10, -v11
	s_clause 0x1
	scratch_load_b128 v[2:5], off, off offset:400
	scratch_load_b128 v[10:13], off, off offset:416
	v_add_f32_e32 v1, v1, v29
	v_mul_f32_e32 v29, v24, v17
	s_delay_alu instid0(VALU_DEP_2) | instskip(SKIP_1) | instid1(VALU_DEP_2)
	v_add_f32_e32 v1, v1, v30
	s_wait_loadcnt 0x1
	v_dual_fmac_f32 v29, v25, v16 :: v_dual_mul_f32 v144, v6, v3
	v_mul_f32_e32 v3, v7, v3
	v_mul_f32_e32 v145, v8, v5
	s_wait_loadcnt 0x0
	v_dual_mul_f32 v5, v9, v5 :: v_dual_mul_f32 v146, v18, v11
	v_fmac_f32_e32 v144, v7, v2
	v_fma_f32 v3, v6, v2, -v3
	v_add_f32_e32 v2, v26, v28
	v_dual_mul_f32 v6, v19, v11 :: v_dual_fmac_f32 v145, v9, v4
	v_fma_f32 v4, v8, v4, -v5
	s_delay_alu instid0(VALU_DEP_3) | instskip(SKIP_3) | instid1(VALU_DEP_4)
	v_dual_add_f32 v1, v1, v3 :: v_dual_add_f32 v2, v2, v144
	v_mul_f32_e32 v147, v20, v13
	v_dual_mul_f32 v3, v21, v13 :: v_dual_fmac_f32 v146, v19, v10
	v_fma_f32 v5, v18, v10, -v6
	v_dual_add_f32 v1, v1, v4 :: v_dual_add_f32 v2, v2, v145
	s_delay_alu instid0(VALU_DEP_4) | instskip(NEXT) | instid1(VALU_DEP_4)
	v_dual_mul_f32 v4, v23, v15 :: v_dual_fmac_f32 v147, v21, v12
	v_fma_f32 v3, v20, v12, -v3
	s_delay_alu instid0(VALU_DEP_3) | instskip(SKIP_1) | instid1(VALU_DEP_4)
	v_dual_add_f32 v1, v1, v5 :: v_dual_add_f32 v2, v2, v146
	v_mul_f32_e32 v5, v25, v17
	v_fma_f32 v4, v22, v14, -v4
	s_delay_alu instid0(VALU_DEP_3) | instskip(NEXT) | instid1(VALU_DEP_4)
	v_add_f32_e32 v1, v1, v3
	v_add_f32_e32 v2, v2, v147
	s_delay_alu instid0(VALU_DEP_4) | instskip(NEXT) | instid1(VALU_DEP_2)
	v_fma_f32 v3, v24, v16, -v5
	v_dual_add_f32 v1, v1, v4 :: v_dual_add_f32 v2, v2, v150
	s_delay_alu instid0(VALU_DEP_1) | instskip(NEXT) | instid1(VALU_DEP_1)
	v_dual_add_f32 v1, v1, v3 :: v_dual_add_f32 v2, v2, v29
	v_dual_sub_f32 v1, v148, v1 :: v_dual_sub_f32 v2, v149, v2
	scratch_store_b64 off, v[1:2], off offset:216
	v_cmpx_lt_u32_e32 26, v0
	s_cbranch_execz .LBB119_297
; %bb.296:
	scratch_load_b64 v[1:2], off, off offset:208
	v_mov_b32_e32 v3, 0
	s_delay_alu instid0(VALU_DEP_1)
	v_mov_b32_e32 v4, v3
	scratch_store_b64 off, v[3:4], off offset:208
	s_wait_loadcnt 0x0
	ds_store_b64 v27, v[1:2]
.LBB119_297:
	s_wait_alu 0xfffe
	s_or_b32 exec_lo, exec_lo, s0
	s_wait_storecnt_dscnt 0x0
	s_barrier_signal -1
	s_barrier_wait -1
	global_inv scope:SCOPE_SE
	s_clause 0x4
	scratch_load_b128 v[2:5], off, off offset:216
	scratch_load_b128 v[6:9], off, off offset:232
	;; [unrolled: 1-line block ×5, first 2 shown]
	v_mov_b32_e32 v1, 0
	ds_load_2addr_b64 v[22:25], v1 offset0:83 offset1:84
	ds_load_2addr_b64 v[28:31], v1 offset0:85 offset1:86
	;; [unrolled: 1-line block ×3, first 2 shown]
	scratch_load_b64 v[148:149], off, off offset:208
	s_mov_b32 s0, exec_lo
	s_wait_loadcnt_dscnt 0x502
	v_mul_f32_e32 v26, v23, v3
	v_dual_mul_f32 v150, v22, v3 :: v_dual_mul_f32 v151, v24, v5
	v_mul_f32_e32 v3, v25, v5
	s_wait_loadcnt_dscnt 0x300
	v_mul_f32_e32 v152, v146, v13
	v_fma_f32 v22, v22, v2, -v26
	v_dual_fmac_f32 v150, v23, v2 :: v_dual_fmac_f32 v151, v25, v4
	v_fma_f32 v23, v24, v4, -v3
	ds_load_2addr_b64 v[2:5], v1 offset0:89 offset1:90
	v_mul_f32_e32 v24, v28, v7
	v_mul_f32_e32 v7, v29, v7
	v_dual_mul_f32 v25, v30, v9 :: v_dual_mul_f32 v26, v144, v11
	s_delay_alu instid0(VALU_DEP_3) | instskip(SKIP_2) | instid1(VALU_DEP_4)
	v_dual_mul_f32 v9, v31, v9 :: v_dual_fmac_f32 v24, v29, v6
	v_dual_mul_f32 v11, v145, v11 :: v_dual_fmac_f32 v152, v147, v12
	v_mul_f32_e32 v13, v147, v13
	v_dual_fmac_f32 v25, v31, v8 :: v_dual_fmac_f32 v26, v145, v10
	s_delay_alu instid0(VALU_DEP_4) | instskip(NEXT) | instid1(VALU_DEP_4)
	v_fma_f32 v29, v30, v8, -v9
	v_fma_f32 v30, v144, v10, -v11
	s_delay_alu instid0(VALU_DEP_4)
	v_fma_f32 v31, v146, v12, -v13
	ds_load_2addr_b64 v[10:13], v1 offset0:91 offset1:92
	v_fma_f32 v28, v28, v6, -v7
	scratch_load_b128 v[6:9], off, off offset:296
	s_wait_loadcnt_dscnt 0x301
	v_mul_f32_e32 v144, v2, v15
	v_mul_f32_e32 v15, v3, v15
	;; [unrolled: 1-line block ×3, first 2 shown]
	s_delay_alu instid0(VALU_DEP_3) | instskip(NEXT) | instid1(VALU_DEP_3)
	v_dual_mul_f32 v17, v5, v17 :: v_dual_fmac_f32 v144, v3, v14
	v_fma_f32 v14, v2, v14, -v15
	s_delay_alu instid0(VALU_DEP_3) | instskip(NEXT) | instid1(VALU_DEP_3)
	v_fmac_f32_e32 v145, v5, v16
	v_fma_f32 v15, v4, v16, -v17
	ds_load_2addr_b64 v[2:5], v1 offset0:93 offset1:94
	s_wait_loadcnt_dscnt 0x201
	v_mul_f32_e32 v16, v10, v19
	v_mul_f32_e32 v17, v11, v19
	;; [unrolled: 1-line block ×3, first 2 shown]
	s_delay_alu instid0(VALU_DEP_3) | instskip(NEXT) | instid1(VALU_DEP_3)
	v_dual_mul_f32 v21, v13, v21 :: v_dual_fmac_f32 v16, v11, v18
	v_fma_f32 v17, v10, v18, -v17
	s_delay_alu instid0(VALU_DEP_3) | instskip(NEXT) | instid1(VALU_DEP_3)
	v_fmac_f32_e32 v19, v13, v20
	v_fma_f32 v18, v12, v20, -v21
	scratch_load_b128 v[10:13], off, off offset:312
	s_wait_loadcnt_dscnt 0x100
	v_mul_f32_e32 v20, v2, v7
	v_mul_f32_e32 v7, v3, v7
	;; [unrolled: 1-line block ×3, first 2 shown]
	s_delay_alu instid0(VALU_DEP_3) | instskip(NEXT) | instid1(VALU_DEP_3)
	v_dual_mul_f32 v9, v5, v9 :: v_dual_fmac_f32 v20, v3, v6
	v_fma_f32 v146, v2, v6, -v7
	s_delay_alu instid0(VALU_DEP_3) | instskip(NEXT) | instid1(VALU_DEP_3)
	v_fmac_f32_e32 v21, v5, v8
	v_fma_f32 v147, v4, v8, -v9
	ds_load_2addr_b64 v[2:5], v1 offset0:95 offset1:96
	ds_load_2addr_b64 v[6:9], v1 offset0:97 offset1:98
	s_wait_loadcnt_dscnt 0x1
	v_mul_f32_e32 v153, v2, v11
	v_dual_mul_f32 v11, v3, v11 :: v_dual_mul_f32 v154, v4, v13
	s_delay_alu instid0(VALU_DEP_2) | instskip(NEXT) | instid1(VALU_DEP_2)
	v_fmac_f32_e32 v153, v3, v10
	v_fma_f32 v155, v2, v10, -v11
	v_mul_f32_e32 v2, v5, v13
	s_delay_alu instid0(VALU_DEP_4) | instskip(NEXT) | instid1(VALU_DEP_2)
	v_fmac_f32_e32 v154, v5, v12
	v_fma_f32 v156, v4, v12, -v2
	s_clause 0x1
	scratch_load_b128 v[2:5], off, off offset:328
	scratch_load_b128 v[10:13], off, off offset:344
	s_wait_loadcnt_dscnt 0x100
	v_mul_f32_e32 v157, v6, v3
	v_mul_f32_e32 v3, v7, v3
	;; [unrolled: 1-line block ×3, first 2 shown]
	s_delay_alu instid0(VALU_DEP_3) | instskip(NEXT) | instid1(VALU_DEP_3)
	v_fmac_f32_e32 v157, v7, v2
	v_fma_f32 v158, v6, v2, -v3
	v_mul_f32_e32 v2, v9, v5
	s_delay_alu instid0(VALU_DEP_4) | instskip(NEXT) | instid1(VALU_DEP_2)
	v_fmac_f32_e32 v159, v9, v4
	v_fma_f32 v160, v8, v4, -v2
	ds_load_2addr_b64 v[2:5], v1 offset0:99 offset1:100
	ds_load_2addr_b64 v[6:9], v1 offset0:101 offset1:102
	s_wait_loadcnt_dscnt 0x1
	v_mul_f32_e32 v161, v2, v11
	v_mul_f32_e32 v163, v4, v13
	s_delay_alu instid0(VALU_DEP_2) | instskip(SKIP_1) | instid1(VALU_DEP_3)
	v_fmac_f32_e32 v161, v3, v10
	v_mul_f32_e32 v3, v3, v11
	v_fmac_f32_e32 v163, v5, v12
	s_delay_alu instid0(VALU_DEP_2) | instskip(SKIP_1) | instid1(VALU_DEP_1)
	v_fma_f32 v162, v2, v10, -v3
	v_mul_f32_e32 v2, v5, v13
	v_fma_f32 v164, v4, v12, -v2
	s_clause 0x1
	scratch_load_b128 v[2:5], off, off offset:360
	scratch_load_b128 v[10:13], off, off offset:376
	s_wait_loadcnt_dscnt 0x100
	v_mul_f32_e32 v165, v6, v3
	v_mul_f32_e32 v3, v7, v3
	s_delay_alu instid0(VALU_DEP_2) | instskip(NEXT) | instid1(VALU_DEP_2)
	v_fmac_f32_e32 v165, v7, v2
	v_fma_f32 v166, v6, v2, -v3
	v_dual_mul_f32 v2, v9, v5 :: v_dual_add_f32 v3, 0, v150
	s_delay_alu instid0(VALU_DEP_1) | instskip(NEXT) | instid1(VALU_DEP_2)
	v_fma_f32 v168, v8, v4, -v2
	v_dual_add_f32 v2, 0, v22 :: v_dual_add_f32 v3, v3, v151
	s_delay_alu instid0(VALU_DEP_1) | instskip(NEXT) | instid1(VALU_DEP_1)
	v_add_f32_e32 v2, v2, v23
	v_add_f32_e32 v2, v2, v28
	s_delay_alu instid0(VALU_DEP_1) | instskip(SKIP_2) | instid1(VALU_DEP_1)
	v_add_f32_e32 v2, v2, v29
	scratch_load_b64 v[28:29], off, off offset:440
	v_add_f32_e32 v2, v2, v30
	v_add_f32_e32 v7, v2, v31
	s_delay_alu instid0(VALU_DEP_1) | instskip(NEXT) | instid1(VALU_DEP_1)
	v_add_f32_e32 v7, v7, v14
	v_add_f32_e32 v14, v7, v15
	s_delay_alu instid0(VALU_DEP_1) | instskip(NEXT) | instid1(VALU_DEP_1)
	v_dual_add_f32 v3, v3, v24 :: v_dual_add_f32 v14, v14, v17
	v_dual_add_f32 v3, v3, v25 :: v_dual_add_f32 v14, v14, v18
	s_delay_alu instid0(VALU_DEP_1) | instskip(NEXT) | instid1(VALU_DEP_2)
	v_add_f32_e32 v6, v3, v26
	v_add_f32_e32 v14, v14, v146
	s_delay_alu instid0(VALU_DEP_2) | instskip(NEXT) | instid1(VALU_DEP_1)
	v_add_f32_e32 v6, v6, v152
	v_add_f32_e32 v6, v6, v144
	s_delay_alu instid0(VALU_DEP_1) | instskip(NEXT) | instid1(VALU_DEP_1)
	v_add_f32_e32 v15, v6, v145
	v_add_f32_e32 v15, v15, v16
	s_delay_alu instid0(VALU_DEP_1) | instskip(NEXT) | instid1(VALU_DEP_1)
	v_add_f32_e32 v15, v15, v19
	v_dual_mul_f32 v167, v8, v5 :: v_dual_add_f32 v18, v15, v20
	s_delay_alu instid0(VALU_DEP_1)
	v_dual_add_f32 v18, v18, v21 :: v_dual_fmac_f32 v167, v9, v4
	ds_load_2addr_b64 v[2:5], v1 offset0:103 offset1:104
	ds_load_2addr_b64 v[6:9], v1 offset0:105 offset1:106
	v_add_f32_e32 v19, v14, v147
	v_add_f32_e32 v18, v18, v153
	scratch_load_b128 v[14:17], off, off offset:424
	v_add_f32_e32 v18, v18, v154
	s_delay_alu instid0(VALU_DEP_1) | instskip(NEXT) | instid1(VALU_DEP_1)
	v_add_f32_e32 v18, v18, v157
	v_add_f32_e32 v22, v18, v159
	s_wait_loadcnt_dscnt 0x201
	v_mul_f32_e32 v26, v2, v11
	v_mul_f32_e32 v144, v4, v13
	s_delay_alu instid0(VALU_DEP_3) | instskip(SKIP_3) | instid1(VALU_DEP_1)
	v_add_f32_e32 v31, v22, v161
	ds_load_2addr_b64 v[22:25], v1 offset0:109 offset1:110
	v_fmac_f32_e32 v26, v3, v10
	v_dual_fmac_f32 v144, v5, v12 :: v_dual_add_f32 v147, v31, v163
	v_add_f32_e32 v147, v147, v165
	s_delay_alu instid0(VALU_DEP_1) | instskip(NEXT) | instid1(VALU_DEP_1)
	v_add_f32_e32 v147, v147, v167
	v_add_f32_e32 v26, v147, v26
	s_delay_alu instid0(VALU_DEP_1) | instskip(NEXT) | instid1(VALU_DEP_1)
	v_dual_add_f32 v19, v19, v155 :: v_dual_add_f32 v26, v26, v144
	v_add_f32_e32 v19, v19, v156
	s_delay_alu instid0(VALU_DEP_1) | instskip(NEXT) | instid1(VALU_DEP_1)
	v_add_f32_e32 v19, v19, v158
	v_add_f32_e32 v19, v19, v160
	s_delay_alu instid0(VALU_DEP_1) | instskip(SKIP_3) | instid1(VALU_DEP_2)
	v_add_f32_e32 v30, v19, v162
	ds_load_2addr_b64 v[18:21], v1 offset0:107 offset1:108
	v_dual_mul_f32 v13, v5, v13 :: v_dual_add_f32 v146, v30, v164
	v_mul_f32_e32 v11, v3, v11
	v_fma_f32 v150, v4, v12, -v13
	ds_load_b64 v[30:31], v1 offset:888
	v_add_f32_e32 v146, v146, v166
	v_fma_f32 v145, v2, v10, -v11
	s_clause 0x1
	scratch_load_b128 v[2:5], off, off offset:392
	scratch_load_b128 v[10:13], off, off offset:408
	v_add_f32_e32 v146, v146, v168
	s_wait_loadcnt_dscnt 0x300
	v_mul_f32_e32 v144, v30, v29
	s_delay_alu instid0(VALU_DEP_1) | instskip(SKIP_1) | instid1(VALU_DEP_1)
	v_dual_add_f32 v145, v146, v145 :: v_dual_fmac_f32 v144, v31, v28
	s_wait_loadcnt 0x2
	v_dual_add_f32 v145, v145, v150 :: v_dual_mul_f32 v150, v24, v17
	s_delay_alu instid0(VALU_DEP_1)
	v_dual_mul_f32 v153, v22, v15 :: v_dual_fmac_f32 v150, v25, v16
	s_wait_loadcnt 0x1
	v_mul_f32_e32 v152, v8, v5
	s_wait_loadcnt 0x0
	v_mul_f32_e32 v146, v18, v11
	v_mul_f32_e32 v151, v6, v3
	s_delay_alu instid0(VALU_DEP_3) | instskip(NEXT) | instid1(VALU_DEP_3)
	v_dual_mul_f32 v3, v7, v3 :: v_dual_fmac_f32 v152, v9, v4
	v_fmac_f32_e32 v146, v19, v10
	s_delay_alu instid0(VALU_DEP_3) | instskip(NEXT) | instid1(VALU_DEP_3)
	v_fmac_f32_e32 v151, v7, v2
	v_fma_f32 v3, v6, v2, -v3
	v_mul_f32_e32 v6, v21, v13
	s_delay_alu instid0(VALU_DEP_2) | instskip(SKIP_1) | instid1(VALU_DEP_3)
	v_add_f32_e32 v3, v145, v3
	v_mul_f32_e32 v5, v9, v5
	v_fma_f32 v6, v20, v12, -v6
	s_delay_alu instid0(VALU_DEP_2) | instskip(SKIP_1) | instid1(VALU_DEP_2)
	v_fma_f32 v2, v8, v4, -v5
	v_mul_f32_e32 v4, v19, v11
	v_dual_add_f32 v5, v26, v151 :: v_dual_add_f32 v2, v3, v2
	s_delay_alu instid0(VALU_DEP_2) | instskip(NEXT) | instid1(VALU_DEP_2)
	v_fma_f32 v4, v18, v10, -v4
	v_add_f32_e32 v3, v5, v152
	s_delay_alu instid0(VALU_DEP_2) | instskip(SKIP_1) | instid1(VALU_DEP_2)
	v_dual_mul_f32 v5, v23, v15 :: v_dual_add_f32 v2, v2, v4
	v_mul_f32_e32 v4, v25, v17
	v_fma_f32 v5, v22, v14, -v5
	s_delay_alu instid0(VALU_DEP_4) | instskip(NEXT) | instid1(VALU_DEP_4)
	v_add_f32_e32 v3, v3, v146
	v_add_f32_e32 v2, v2, v6
	s_delay_alu instid0(VALU_DEP_4) | instskip(SKIP_1) | instid1(VALU_DEP_3)
	v_fma_f32 v4, v24, v16, -v4
	v_mul_f32_e32 v6, v31, v29
	v_dual_fmac_f32 v153, v23, v14 :: v_dual_add_f32 v2, v2, v5
	v_mul_f32_e32 v147, v20, v13
	s_delay_alu instid0(VALU_DEP_3) | instskip(NEXT) | instid1(VALU_DEP_3)
	v_fma_f32 v5, v30, v28, -v6
	v_add_f32_e32 v2, v2, v4
	s_delay_alu instid0(VALU_DEP_1) | instskip(NEXT) | instid1(VALU_DEP_1)
	v_dual_fmac_f32 v147, v21, v12 :: v_dual_add_f32 v2, v2, v5
	v_dual_add_f32 v3, v3, v147 :: v_dual_sub_f32 v2, v148, v2
	s_delay_alu instid0(VALU_DEP_1) | instskip(NEXT) | instid1(VALU_DEP_1)
	v_add_f32_e32 v3, v3, v153
	v_add_f32_e32 v3, v3, v150
	s_delay_alu instid0(VALU_DEP_1) | instskip(NEXT) | instid1(VALU_DEP_1)
	v_add_f32_e32 v3, v3, v144
	v_sub_f32_e32 v3, v149, v3
	scratch_store_b64 off, v[2:3], off offset:208
	v_cmpx_lt_u32_e32 25, v0
	s_cbranch_execz .LBB119_299
; %bb.298:
	scratch_load_b64 v[3:4], off, off offset:200
	v_mov_b32_e32 v2, v1
	scratch_store_b64 off, v[1:2], off offset:200
	s_wait_loadcnt 0x0
	ds_store_b64 v27, v[3:4]
.LBB119_299:
	s_wait_alu 0xfffe
	s_or_b32 exec_lo, exec_lo, s0
	s_wait_storecnt_dscnt 0x0
	s_barrier_signal -1
	s_barrier_wait -1
	global_inv scope:SCOPE_SE
	s_clause 0x4
	scratch_load_b128 v[2:5], off, off offset:208
	scratch_load_b128 v[6:9], off, off offset:224
	;; [unrolled: 1-line block ×5, first 2 shown]
	ds_load_b128 v[22:25], v1 offset:656
	ds_load_b128 v[28:31], v1 offset:672
	;; [unrolled: 1-line block ×3, first 2 shown]
	scratch_load_b64 v[148:149], off, off offset:200
	s_mov_b32 s0, exec_lo
	s_wait_loadcnt_dscnt 0x502
	v_dual_mul_f32 v26, v23, v3 :: v_dual_mul_f32 v151, v24, v5
	v_dual_mul_f32 v150, v22, v3 :: v_dual_mul_f32 v3, v25, v5
	s_wait_loadcnt_dscnt 0x300
	v_mul_f32_e32 v152, v146, v13
	s_delay_alu instid0(VALU_DEP_3) | instskip(NEXT) | instid1(VALU_DEP_3)
	v_fma_f32 v22, v22, v2, -v26
	v_dual_fmac_f32 v151, v25, v4 :: v_dual_fmac_f32 v150, v23, v2
	v_fma_f32 v23, v24, v4, -v3
	ds_load_b128 v[2:5], v1 offset:704
	v_dual_mul_f32 v24, v28, v7 :: v_dual_mul_f32 v25, v30, v9
	v_mul_f32_e32 v7, v29, v7
	v_dual_mul_f32 v9, v31, v9 :: v_dual_mul_f32 v26, v144, v11
	v_dual_mul_f32 v11, v145, v11 :: v_dual_fmac_f32 v152, v147, v12
	s_delay_alu instid0(VALU_DEP_4) | instskip(SKIP_1) | instid1(VALU_DEP_4)
	v_dual_mul_f32 v13, v147, v13 :: v_dual_fmac_f32 v24, v29, v6
	v_fmac_f32_e32 v25, v31, v8
	v_fma_f32 v29, v30, v8, -v9
	v_fmac_f32_e32 v26, v145, v10
	v_fma_f32 v30, v144, v10, -v11
	v_fma_f32 v31, v146, v12, -v13
	ds_load_b128 v[10:13], v1 offset:720
	v_fma_f32 v28, v28, v6, -v7
	scratch_load_b128 v[6:9], off, off offset:288
	s_wait_loadcnt_dscnt 0x301
	v_dual_mul_f32 v144, v2, v15 :: v_dual_mul_f32 v145, v4, v17
	v_mul_f32_e32 v15, v3, v15
	s_delay_alu instid0(VALU_DEP_2) | instskip(NEXT) | instid1(VALU_DEP_3)
	v_dual_mul_f32 v17, v5, v17 :: v_dual_fmac_f32 v144, v3, v14
	v_fmac_f32_e32 v145, v5, v16
	s_delay_alu instid0(VALU_DEP_3) | instskip(NEXT) | instid1(VALU_DEP_3)
	v_fma_f32 v14, v2, v14, -v15
	v_fma_f32 v15, v4, v16, -v17
	ds_load_b128 v[2:5], v1 offset:736
	s_wait_loadcnt_dscnt 0x201
	v_mul_f32_e32 v16, v10, v19
	v_mul_f32_e32 v17, v11, v19
	;; [unrolled: 1-line block ×3, first 2 shown]
	s_delay_alu instid0(VALU_DEP_3) | instskip(NEXT) | instid1(VALU_DEP_3)
	v_dual_mul_f32 v21, v13, v21 :: v_dual_fmac_f32 v16, v11, v18
	v_fma_f32 v17, v10, v18, -v17
	s_delay_alu instid0(VALU_DEP_3) | instskip(NEXT) | instid1(VALU_DEP_3)
	v_fmac_f32_e32 v19, v13, v20
	v_fma_f32 v18, v12, v20, -v21
	scratch_load_b128 v[10:13], off, off offset:304
	s_wait_loadcnt_dscnt 0x100
	v_mul_f32_e32 v20, v2, v7
	v_mul_f32_e32 v7, v3, v7
	;; [unrolled: 1-line block ×3, first 2 shown]
	s_delay_alu instid0(VALU_DEP_3) | instskip(NEXT) | instid1(VALU_DEP_3)
	v_dual_mul_f32 v9, v5, v9 :: v_dual_fmac_f32 v20, v3, v6
	v_fma_f32 v146, v2, v6, -v7
	s_delay_alu instid0(VALU_DEP_3) | instskip(NEXT) | instid1(VALU_DEP_3)
	v_fmac_f32_e32 v21, v5, v8
	v_fma_f32 v147, v4, v8, -v9
	ds_load_b128 v[2:5], v1 offset:752
	ds_load_b128 v[6:9], v1 offset:768
	s_wait_loadcnt_dscnt 0x1
	v_mul_f32_e32 v153, v2, v11
	v_dual_mul_f32 v11, v3, v11 :: v_dual_mul_f32 v154, v4, v13
	s_delay_alu instid0(VALU_DEP_2) | instskip(NEXT) | instid1(VALU_DEP_2)
	v_fmac_f32_e32 v153, v3, v10
	v_fma_f32 v155, v2, v10, -v11
	v_mul_f32_e32 v2, v5, v13
	s_delay_alu instid0(VALU_DEP_4) | instskip(NEXT) | instid1(VALU_DEP_2)
	v_fmac_f32_e32 v154, v5, v12
	v_fma_f32 v156, v4, v12, -v2
	s_clause 0x1
	scratch_load_b128 v[2:5], off, off offset:320
	scratch_load_b128 v[10:13], off, off offset:336
	s_wait_loadcnt_dscnt 0x100
	v_mul_f32_e32 v157, v6, v3
	v_mul_f32_e32 v3, v7, v3
	;; [unrolled: 1-line block ×3, first 2 shown]
	s_delay_alu instid0(VALU_DEP_3) | instskip(NEXT) | instid1(VALU_DEP_3)
	v_fmac_f32_e32 v157, v7, v2
	v_fma_f32 v158, v6, v2, -v3
	v_mul_f32_e32 v2, v9, v5
	s_delay_alu instid0(VALU_DEP_4) | instskip(NEXT) | instid1(VALU_DEP_2)
	v_fmac_f32_e32 v159, v9, v4
	v_fma_f32 v160, v8, v4, -v2
	ds_load_b128 v[2:5], v1 offset:784
	ds_load_b128 v[6:9], v1 offset:800
	s_wait_loadcnt_dscnt 0x1
	v_mul_f32_e32 v161, v2, v11
	v_mul_f32_e32 v163, v4, v13
	s_delay_alu instid0(VALU_DEP_2) | instskip(SKIP_1) | instid1(VALU_DEP_3)
	v_fmac_f32_e32 v161, v3, v10
	v_mul_f32_e32 v3, v3, v11
	v_fmac_f32_e32 v163, v5, v12
	s_delay_alu instid0(VALU_DEP_2) | instskip(SKIP_1) | instid1(VALU_DEP_1)
	v_fma_f32 v162, v2, v10, -v3
	v_mul_f32_e32 v2, v5, v13
	v_fma_f32 v164, v4, v12, -v2
	s_clause 0x1
	scratch_load_b128 v[2:5], off, off offset:352
	scratch_load_b128 v[10:13], off, off offset:368
	s_wait_loadcnt_dscnt 0x100
	v_mul_f32_e32 v165, v6, v3
	v_mul_f32_e32 v3, v7, v3
	;; [unrolled: 1-line block ×3, first 2 shown]
	s_delay_alu instid0(VALU_DEP_3) | instskip(NEXT) | instid1(VALU_DEP_3)
	v_fmac_f32_e32 v165, v7, v2
	v_fma_f32 v166, v6, v2, -v3
	v_dual_mul_f32 v2, v9, v5 :: v_dual_add_f32 v3, 0, v150
	s_delay_alu instid0(VALU_DEP_1) | instskip(NEXT) | instid1(VALU_DEP_2)
	v_fma_f32 v168, v8, v4, -v2
	v_dual_add_f32 v2, 0, v22 :: v_dual_add_f32 v3, v3, v151
	s_delay_alu instid0(VALU_DEP_1) | instskip(NEXT) | instid1(VALU_DEP_1)
	v_add_f32_e32 v2, v2, v23
	v_add_f32_e32 v2, v2, v28
	s_delay_alu instid0(VALU_DEP_1) | instskip(NEXT) | instid1(VALU_DEP_1)
	v_dual_add_f32 v3, v3, v24 :: v_dual_add_f32 v2, v2, v29
	v_dual_add_f32 v3, v3, v25 :: v_dual_add_f32 v2, v2, v30
	s_delay_alu instid0(VALU_DEP_1) | instskip(NEXT) | instid1(VALU_DEP_1)
	v_dual_add_f32 v3, v3, v26 :: v_dual_add_f32 v2, v2, v31
	v_dual_add_f32 v6, v3, v152 :: v_dual_add_f32 v7, v2, v14
	s_delay_alu instid0(VALU_DEP_1) | instskip(NEXT) | instid1(VALU_DEP_1)
	v_dual_add_f32 v14, v6, v144 :: v_dual_add_f32 v15, v7, v15
	v_add_f32_e32 v14, v14, v145
	s_delay_alu instid0(VALU_DEP_1) | instskip(NEXT) | instid1(VALU_DEP_1)
	v_dual_add_f32 v15, v15, v17 :: v_dual_add_f32 v14, v14, v16
	v_add_f32_e32 v18, v15, v18
	s_delay_alu instid0(VALU_DEP_1) | instskip(NEXT) | instid1(VALU_DEP_1)
	v_add_f32_e32 v18, v18, v146
	v_dual_add_f32 v18, v18, v147 :: v_dual_fmac_f32 v167, v9, v4
	scratch_load_b128 v[6:9], off, off offset:384
	ds_load_b128 v[2:5], v1 offset:816
	v_add_f32_e32 v18, v18, v155
	s_delay_alu instid0(VALU_DEP_1) | instskip(NEXT) | instid1(VALU_DEP_1)
	v_add_f32_e32 v23, v18, v156
	v_add_f32_e32 v23, v23, v158
	s_delay_alu instid0(VALU_DEP_1)
	v_add_f32_e32 v23, v23, v160
	v_add_f32_e32 v19, v14, v19
	ds_load_b128 v[14:17], v1 offset:832
	s_wait_loadcnt_dscnt 0x101
	v_mul_f32_e32 v26, v2, v11
	v_dual_mul_f32 v11, v3, v11 :: v_dual_mul_f32 v28, v4, v13
	s_delay_alu instid0(VALU_DEP_2) | instskip(NEXT) | instid1(VALU_DEP_2)
	v_dual_mul_f32 v13, v5, v13 :: v_dual_fmac_f32 v26, v3, v10
	v_fma_f32 v29, v2, v10, -v11
	s_delay_alu instid0(VALU_DEP_3) | instskip(NEXT) | instid1(VALU_DEP_3)
	v_fmac_f32_e32 v28, v5, v12
	v_fma_f32 v30, v4, v12, -v13
	s_clause 0x1
	scratch_load_b128 v[10:13], off, off offset:416
	scratch_load_b128 v[2:5], off, off offset:400
	s_wait_loadcnt_dscnt 0x200
	v_dual_mul_f32 v31, v14, v7 :: v_dual_mul_f32 v144, v16, v9
	v_mul_f32_e32 v7, v15, v7
	s_delay_alu instid0(VALU_DEP_2) | instskip(SKIP_1) | instid1(VALU_DEP_4)
	v_fmac_f32_e32 v31, v15, v6
	v_add_f32_e32 v19, v19, v20
	v_fmac_f32_e32 v144, v17, v8
	s_delay_alu instid0(VALU_DEP_4) | instskip(NEXT) | instid1(VALU_DEP_3)
	v_fma_f32 v145, v14, v6, -v7
	v_add_f32_e32 v19, v19, v21
	s_delay_alu instid0(VALU_DEP_1) | instskip(SKIP_2) | instid1(VALU_DEP_1)
	v_add_f32_e32 v22, v19, v153
	scratch_load_b128 v[18:21], off, off offset:432
	v_dual_mul_f32 v9, v17, v9 :: v_dual_add_f32 v22, v22, v154
	v_fma_f32 v146, v16, v8, -v9
	ds_load_b128 v[6:9], v1 offset:848
	v_add_f32_e32 v22, v22, v157
	s_delay_alu instid0(VALU_DEP_1) | instskip(NEXT) | instid1(VALU_DEP_1)
	v_add_f32_e32 v14, v22, v159
	v_dual_add_f32 v22, v23, v162 :: v_dual_add_f32 v23, v14, v161
	ds_load_b128 v[14:17], v1 offset:864
	v_dual_add_f32 v147, v22, v164 :: v_dual_add_f32 v150, v23, v163
	ds_load_b128 v[22:25], v1 offset:880
	s_wait_loadcnt_dscnt 0x201
	v_mul_f32_e32 v151, v16, v13
	s_delay_alu instid0(VALU_DEP_1)
	v_fmac_f32_e32 v151, v17, v12
	v_add_f32_e32 v1, v147, v166
	v_add_f32_e32 v147, v150, v165
	s_wait_loadcnt 0x1
	v_mul_f32_e32 v150, v6, v3
	v_mul_f32_e32 v3, v7, v3
	v_add_f32_e32 v1, v1, v168
	v_add_f32_e32 v147, v147, v167
	s_delay_alu instid0(VALU_DEP_4) | instskip(NEXT) | instid1(VALU_DEP_4)
	v_fmac_f32_e32 v150, v7, v2
	v_fma_f32 v3, v6, v2, -v3
	s_delay_alu instid0(VALU_DEP_4) | instskip(NEXT) | instid1(VALU_DEP_4)
	v_dual_mul_f32 v6, v15, v11 :: v_dual_add_f32 v1, v1, v29
	v_dual_add_f32 v26, v147, v26 :: v_dual_mul_f32 v29, v8, v5
	v_mul_f32_e32 v5, v9, v5
	v_mul_f32_e32 v147, v14, v11
	s_delay_alu instid0(VALU_DEP_3) | instskip(NEXT) | instid1(VALU_DEP_4)
	v_dual_add_f32 v1, v1, v30 :: v_dual_add_f32 v26, v26, v28
	v_fmac_f32_e32 v29, v9, v4
	s_delay_alu instid0(VALU_DEP_4) | instskip(NEXT) | instid1(VALU_DEP_4)
	v_fma_f32 v4, v8, v4, -v5
	v_fmac_f32_e32 v147, v15, v10
	s_delay_alu instid0(VALU_DEP_4) | instskip(SKIP_1) | instid1(VALU_DEP_2)
	v_dual_add_f32 v1, v1, v145 :: v_dual_add_f32 v26, v26, v31
	v_fma_f32 v5, v14, v10, -v6
	v_dual_add_f32 v1, v1, v146 :: v_dual_add_f32 v2, v26, v144
	s_delay_alu instid0(VALU_DEP_1) | instskip(SKIP_1) | instid1(VALU_DEP_2)
	v_dual_add_f32 v1, v1, v3 :: v_dual_add_f32 v2, v2, v150
	v_mul_f32_e32 v3, v17, v13
	v_dual_add_f32 v1, v1, v4 :: v_dual_add_f32 v2, v2, v29
	s_delay_alu instid0(VALU_DEP_2) | instskip(NEXT) | instid1(VALU_DEP_2)
	v_fma_f32 v3, v16, v12, -v3
	v_dual_add_f32 v1, v1, v5 :: v_dual_add_f32 v2, v2, v147
	s_delay_alu instid0(VALU_DEP_1) | instskip(NEXT) | instid1(VALU_DEP_2)
	v_add_f32_e32 v1, v1, v3
	v_add_f32_e32 v2, v2, v151
	s_wait_loadcnt_dscnt 0x0
	v_mul_f32_e32 v28, v22, v19
	v_mul_f32_e32 v4, v23, v19
	;; [unrolled: 1-line block ×3, first 2 shown]
	s_delay_alu instid0(VALU_DEP_3) | instskip(NEXT) | instid1(VALU_DEP_3)
	v_dual_mul_f32 v5, v25, v21 :: v_dual_fmac_f32 v28, v23, v18
	v_fma_f32 v4, v22, v18, -v4
	s_delay_alu instid0(VALU_DEP_3) | instskip(NEXT) | instid1(VALU_DEP_3)
	v_fmac_f32_e32 v30, v25, v20
	v_fma_f32 v3, v24, v20, -v5
	s_delay_alu instid0(VALU_DEP_4) | instskip(NEXT) | instid1(VALU_DEP_1)
	v_add_f32_e32 v2, v2, v28
	v_dual_add_f32 v1, v1, v4 :: v_dual_add_f32 v2, v2, v30
	s_delay_alu instid0(VALU_DEP_1) | instskip(NEXT) | instid1(VALU_DEP_1)
	v_add_f32_e32 v1, v1, v3
	v_dual_sub_f32 v2, v149, v2 :: v_dual_sub_f32 v1, v148, v1
	scratch_store_b64 off, v[1:2], off offset:200
	v_cmpx_lt_u32_e32 24, v0
	s_cbranch_execz .LBB119_301
; %bb.300:
	scratch_load_b64 v[1:2], off, off offset:192
	v_mov_b32_e32 v3, 0
	s_delay_alu instid0(VALU_DEP_1)
	v_mov_b32_e32 v4, v3
	scratch_store_b64 off, v[3:4], off offset:192
	s_wait_loadcnt 0x0
	ds_store_b64 v27, v[1:2]
.LBB119_301:
	s_wait_alu 0xfffe
	s_or_b32 exec_lo, exec_lo, s0
	s_wait_storecnt_dscnt 0x0
	s_barrier_signal -1
	s_barrier_wait -1
	global_inv scope:SCOPE_SE
	s_clause 0x4
	scratch_load_b128 v[5:8], off, off offset:200
	scratch_load_b128 v[1:4], off, off offset:216
	;; [unrolled: 1-line block ×5, first 2 shown]
	v_mov_b32_e32 v21, 0
	ds_load_2addr_b64 v[22:25], v21 offset0:81 offset1:82
	ds_load_2addr_b64 v[28:31], v21 offset0:83 offset1:84
	;; [unrolled: 1-line block ×3, first 2 shown]
	scratch_load_b64 v[148:149], off, off offset:192
	s_mov_b32 s0, exec_lo
	s_wait_loadcnt_dscnt 0x502
	v_dual_mul_f32 v150, v22, v6 :: v_dual_mul_f32 v151, v24, v8
	v_mul_f32_e32 v26, v23, v6
	v_mul_f32_e32 v6, v25, v8
	s_wait_loadcnt_dscnt 0x300
	v_mul_f32_e32 v152, v146, v12
	v_dual_fmac_f32 v150, v23, v5 :: v_dual_fmac_f32 v151, v25, v7
	v_mul_f32_e32 v25, v30, v4
	v_fma_f32 v22, v22, v5, -v26
	v_mul_f32_e32 v26, v144, v10
	v_mul_f32_e32 v4, v31, v4
	s_delay_alu instid0(VALU_DEP_4)
	v_dual_mul_f32 v10, v145, v10 :: v_dual_fmac_f32 v25, v31, v3
	v_fma_f32 v23, v24, v7, -v6
	ds_load_2addr_b64 v[5:8], v21 offset0:87 offset1:88
	v_mul_f32_e32 v24, v28, v2
	v_mul_f32_e32 v12, v147, v12
	;; [unrolled: 1-line block ×3, first 2 shown]
	v_fmac_f32_e32 v26, v145, v9
	v_fmac_f32_e32 v152, v147, v11
	;; [unrolled: 1-line block ×3, first 2 shown]
	v_fma_f32 v29, v30, v3, -v4
	v_fma_f32 v30, v144, v9, -v10
	;; [unrolled: 1-line block ×3, first 2 shown]
	ds_load_2addr_b64 v[9:12], v21 offset0:89 offset1:90
	s_wait_loadcnt_dscnt 0x201
	v_dual_mul_f32 v145, v7, v16 :: v_dual_mul_f32 v144, v5, v14
	v_mul_f32_e32 v14, v6, v14
	v_mul_f32_e32 v16, v8, v16
	s_delay_alu instid0(VALU_DEP_3)
	v_fmac_f32_e32 v145, v8, v15
	v_fma_f32 v28, v28, v1, -v2
	scratch_load_b128 v[1:4], off, off offset:280
	v_fmac_f32_e32 v144, v6, v13
	v_fma_f32 v13, v5, v13, -v14
	v_fma_f32 v14, v7, v15, -v16
	s_wait_loadcnt_dscnt 0x200
	v_mul_f32_e32 v15, v9, v18
	v_mul_f32_e32 v16, v10, v18
	;; [unrolled: 1-line block ×4, first 2 shown]
	ds_load_2addr_b64 v[5:8], v21 offset0:91 offset1:92
	v_fmac_f32_e32 v15, v10, v17
	v_fma_f32 v16, v9, v17, -v16
	v_fmac_f32_e32 v18, v12, v19
	v_fma_f32 v17, v11, v19, -v20
	scratch_load_b128 v[9:12], off, off offset:296
	s_wait_loadcnt_dscnt 0x100
	v_mul_f32_e32 v19, v5, v2
	v_mul_f32_e32 v2, v6, v2
	;; [unrolled: 1-line block ×3, first 2 shown]
	s_delay_alu instid0(VALU_DEP_3) | instskip(NEXT) | instid1(VALU_DEP_3)
	v_dual_mul_f32 v4, v8, v4 :: v_dual_fmac_f32 v19, v6, v1
	v_fma_f32 v146, v5, v1, -v2
	s_delay_alu instid0(VALU_DEP_3) | instskip(NEXT) | instid1(VALU_DEP_3)
	v_fmac_f32_e32 v20, v8, v3
	v_fma_f32 v147, v7, v3, -v4
	ds_load_2addr_b64 v[1:4], v21 offset0:93 offset1:94
	ds_load_2addr_b64 v[5:8], v21 offset0:95 offset1:96
	s_wait_loadcnt_dscnt 0x1
	v_mul_f32_e32 v153, v1, v10
	v_mul_f32_e32 v10, v2, v10
	s_delay_alu instid0(VALU_DEP_2) | instskip(NEXT) | instid1(VALU_DEP_2)
	v_dual_mul_f32 v154, v3, v12 :: v_dual_fmac_f32 v153, v2, v9
	v_fma_f32 v155, v1, v9, -v10
	v_mul_f32_e32 v1, v4, v12
	s_delay_alu instid0(VALU_DEP_3) | instskip(NEXT) | instid1(VALU_DEP_2)
	v_fmac_f32_e32 v154, v4, v11
	v_fma_f32 v156, v3, v11, -v1
	s_clause 0x1
	scratch_load_b128 v[1:4], off, off offset:312
	scratch_load_b128 v[9:12], off, off offset:328
	s_wait_loadcnt_dscnt 0x100
	v_mul_f32_e32 v157, v5, v2
	v_dual_mul_f32 v2, v6, v2 :: v_dual_mul_f32 v159, v7, v4
	s_delay_alu instid0(VALU_DEP_2) | instskip(NEXT) | instid1(VALU_DEP_2)
	v_fmac_f32_e32 v157, v6, v1
	v_fma_f32 v158, v5, v1, -v2
	v_mul_f32_e32 v1, v8, v4
	s_delay_alu instid0(VALU_DEP_4) | instskip(NEXT) | instid1(VALU_DEP_2)
	v_fmac_f32_e32 v159, v8, v3
	v_fma_f32 v160, v7, v3, -v1
	ds_load_2addr_b64 v[1:4], v21 offset0:97 offset1:98
	ds_load_2addr_b64 v[5:8], v21 offset0:99 offset1:100
	s_wait_loadcnt_dscnt 0x1
	v_mul_f32_e32 v161, v1, v10
	v_mul_f32_e32 v163, v3, v12
	s_delay_alu instid0(VALU_DEP_2) | instskip(NEXT) | instid1(VALU_DEP_2)
	v_fmac_f32_e32 v161, v2, v9
	v_dual_mul_f32 v2, v2, v10 :: v_dual_fmac_f32 v163, v4, v11
	s_delay_alu instid0(VALU_DEP_1) | instskip(SKIP_1) | instid1(VALU_DEP_1)
	v_fma_f32 v162, v1, v9, -v2
	v_mul_f32_e32 v1, v4, v12
	v_fma_f32 v164, v3, v11, -v1
	s_clause 0x1
	scratch_load_b128 v[1:4], off, off offset:344
	scratch_load_b128 v[9:12], off, off offset:360
	s_wait_loadcnt_dscnt 0x100
	v_mul_f32_e32 v165, v5, v2
	v_dual_mul_f32 v2, v6, v2 :: v_dual_mul_f32 v167, v7, v4
	s_delay_alu instid0(VALU_DEP_2) | instskip(NEXT) | instid1(VALU_DEP_2)
	v_fmac_f32_e32 v165, v6, v1
	v_fma_f32 v166, v5, v1, -v2
	v_mul_f32_e32 v1, v8, v4
	s_delay_alu instid0(VALU_DEP_4) | instskip(NEXT) | instid1(VALU_DEP_2)
	v_fmac_f32_e32 v167, v8, v3
	v_fma_f32 v168, v7, v3, -v1
	v_add_f32_e32 v1, 0, v22
	s_delay_alu instid0(VALU_DEP_1) | instskip(NEXT) | instid1(VALU_DEP_1)
	v_add_f32_e32 v1, v1, v23
	v_dual_add_f32 v1, v1, v28 :: v_dual_add_f32 v2, 0, v150
	s_delay_alu instid0(VALU_DEP_1) | instskip(SKIP_2) | instid1(VALU_DEP_1)
	v_dual_add_f32 v1, v1, v29 :: v_dual_add_f32 v2, v2, v151
	scratch_load_b64 v[28:29], off, off offset:440
	v_dual_add_f32 v1, v1, v30 :: v_dual_add_f32 v2, v2, v24
	v_dual_add_f32 v1, v1, v31 :: v_dual_add_f32 v2, v2, v25
	s_delay_alu instid0(VALU_DEP_1) | instskip(NEXT) | instid1(VALU_DEP_2)
	v_add_f32_e32 v6, v1, v13
	v_add_f32_e32 v2, v2, v26
	s_delay_alu instid0(VALU_DEP_1) | instskip(SKIP_2) | instid1(VALU_DEP_1)
	v_add_f32_e32 v5, v2, v152
	scratch_load_b128 v[1:4], off, off offset:376
	v_add_f32_e32 v13, v5, v144
	v_dual_add_f32 v13, v13, v145 :: v_dual_add_f32 v14, v6, v14
	ds_load_2addr_b64 v[5:8], v21 offset0:101 offset1:102
	v_dual_add_f32 v13, v13, v15 :: v_dual_add_f32 v14, v14, v16
	s_delay_alu instid0(VALU_DEP_1) | instskip(SKIP_3) | instid1(VALU_DEP_1)
	v_dual_add_f32 v18, v13, v18 :: v_dual_add_f32 v17, v14, v17
	ds_load_2addr_b64 v[13:16], v21 offset0:103 offset1:104
	v_add_f32_e32 v17, v17, v146
	s_wait_loadcnt_dscnt 0x201
	v_dual_add_f32 v17, v17, v147 :: v_dual_mul_f32 v144, v7, v12
	s_delay_alu instid0(VALU_DEP_1) | instskip(SKIP_1) | instid1(VALU_DEP_2)
	v_dual_mul_f32 v12, v8, v12 :: v_dual_add_f32 v17, v17, v155
	v_add_f32_e32 v18, v18, v19
	v_fma_f32 v146, v7, v11, -v12
	s_delay_alu instid0(VALU_DEP_3) | instskip(NEXT) | instid1(VALU_DEP_1)
	v_dual_add_f32 v23, v17, v156 :: v_dual_fmac_f32 v144, v8, v11
	v_add_f32_e32 v23, v23, v158
	v_mul_f32_e32 v26, v5, v10
	s_delay_alu instid0(VALU_DEP_2) | instskip(NEXT) | instid1(VALU_DEP_2)
	v_dual_mul_f32 v10, v6, v10 :: v_dual_add_f32 v23, v23, v160
	v_fmac_f32_e32 v26, v6, v9
	s_delay_alu instid0(VALU_DEP_2)
	v_fma_f32 v145, v5, v9, -v10
	s_clause 0x1
	scratch_load_b128 v[5:8], off, off offset:392
	scratch_load_b128 v[9:12], off, off offset:408
	v_dual_add_f32 v18, v18, v20 :: v_dual_add_f32 v23, v23, v162
	s_wait_loadcnt_dscnt 0x200
	v_dual_mul_f32 v147, v13, v2 :: v_dual_mul_f32 v150, v15, v4
	s_delay_alu instid0(VALU_DEP_1) | instskip(NEXT) | instid1(VALU_DEP_2)
	v_dual_mul_f32 v4, v16, v4 :: v_dual_fmac_f32 v147, v14, v1
	v_fmac_f32_e32 v150, v16, v3
	s_delay_alu instid0(VALU_DEP_2) | instskip(SKIP_2) | instid1(VALU_DEP_2)
	v_fma_f32 v152, v15, v3, -v4
	v_mul_f32_e32 v2, v14, v2
	v_add_f32_e32 v14, v23, v164
	v_fma_f32 v151, v13, v1, -v2
	ds_load_2addr_b64 v[1:4], v21 offset0:105 offset1:106
	v_add_f32_e32 v22, v18, v153
	scratch_load_b128 v[17:20], off, off offset:424
	v_add_f32_e32 v30, v14, v166
	s_delay_alu instid0(VALU_DEP_1) | instskip(NEXT) | instid1(VALU_DEP_1)
	v_add_f32_e32 v153, v30, v168
	v_add_f32_e32 v145, v153, v145
	s_delay_alu instid0(VALU_DEP_1) | instskip(NEXT) | instid1(VALU_DEP_1)
	v_add_f32_e32 v145, v145, v146
	v_dual_add_f32 v22, v22, v154 :: v_dual_add_f32 v145, v145, v151
	s_delay_alu instid0(VALU_DEP_1) | instskip(NEXT) | instid1(VALU_DEP_1)
	v_dual_add_f32 v22, v22, v157 :: v_dual_add_f32 v145, v145, v152
	v_add_f32_e32 v22, v22, v159
	s_delay_alu instid0(VALU_DEP_1) | instskip(NEXT) | instid1(VALU_DEP_1)
	v_add_f32_e32 v13, v22, v161
	v_add_f32_e32 v22, v13, v163
	ds_load_2addr_b64 v[13:16], v21 offset0:107 offset1:108
	s_wait_loadcnt_dscnt 0x201
	v_mul_f32_e32 v153, v1, v6
	v_mul_f32_e32 v6, v2, v6
	s_delay_alu instid0(VALU_DEP_2)
	v_fmac_f32_e32 v153, v2, v5
	v_add_f32_e32 v31, v22, v165
	ds_load_2addr_b64 v[22:25], v21 offset0:109 offset1:110
	v_fma_f32 v1, v1, v5, -v6
	v_add_f32_e32 v154, v31, v167
	ds_load_b64 v[30:31], v21 offset:888
	v_dual_add_f32 v1, v145, v1 :: v_dual_add_f32 v26, v154, v26
	s_wait_loadcnt_dscnt 0x102
	v_mul_f32_e32 v5, v16, v12
	s_delay_alu instid0(VALU_DEP_2) | instskip(SKIP_2) | instid1(VALU_DEP_4)
	v_add_f32_e32 v26, v26, v144
	v_mul_f32_e32 v144, v3, v8
	v_mul_f32_e32 v8, v4, v8
	v_fma_f32 v5, v15, v11, -v5
	s_delay_alu instid0(VALU_DEP_2) | instskip(SKIP_1) | instid1(VALU_DEP_2)
	v_fma_f32 v2, v3, v7, -v8
	v_mul_f32_e32 v3, v14, v10
	v_dual_add_f32 v1, v1, v2 :: v_dual_add_f32 v26, v26, v147
	s_delay_alu instid0(VALU_DEP_2) | instskip(SKIP_1) | instid1(VALU_DEP_2)
	v_fma_f32 v3, v13, v9, -v3
	v_mul_f32_e32 v147, v15, v12
	v_add_f32_e32 v1, v1, v3
	s_delay_alu instid0(VALU_DEP_2) | instskip(NEXT) | instid1(VALU_DEP_2)
	v_fmac_f32_e32 v147, v16, v11
	v_add_f32_e32 v1, v1, v5
	s_wait_dscnt 0x0
	v_mul_f32_e32 v5, v31, v29
	s_wait_loadcnt 0x0
	v_dual_mul_f32 v3, v25, v20 :: v_dual_add_f32 v26, v26, v150
	v_mul_f32_e32 v151, v22, v18
	v_mul_f32_e32 v146, v13, v10
	v_mul_f32_e32 v152, v24, v20
	v_fmac_f32_e32 v144, v4, v7
	v_fma_f32 v3, v24, v19, -v3
	v_add_f32_e32 v4, v26, v153
	v_fmac_f32_e32 v151, v23, v17
	v_fmac_f32_e32 v146, v14, v9
	;; [unrolled: 1-line block ×3, first 2 shown]
	s_delay_alu instid0(VALU_DEP_4) | instskip(SKIP_1) | instid1(VALU_DEP_2)
	v_add_f32_e32 v2, v4, v144
	v_mul_f32_e32 v4, v23, v18
	v_add_f32_e32 v2, v2, v146
	s_delay_alu instid0(VALU_DEP_2) | instskip(SKIP_1) | instid1(VALU_DEP_2)
	v_fma_f32 v4, v22, v17, -v4
	v_mul_f32_e32 v150, v30, v29
	v_dual_add_f32 v2, v2, v147 :: v_dual_add_f32 v1, v1, v4
	s_delay_alu instid0(VALU_DEP_2) | instskip(SKIP_1) | instid1(VALU_DEP_3)
	v_fmac_f32_e32 v150, v31, v28
	v_fma_f32 v4, v30, v28, -v5
	v_add_f32_e32 v2, v2, v151
	s_delay_alu instid0(VALU_DEP_1) | instskip(NEXT) | instid1(VALU_DEP_1)
	v_dual_add_f32 v1, v1, v3 :: v_dual_add_f32 v2, v2, v152
	v_dual_add_f32 v1, v1, v4 :: v_dual_add_f32 v2, v2, v150
	s_delay_alu instid0(VALU_DEP_1)
	v_dual_sub_f32 v1, v148, v1 :: v_dual_sub_f32 v2, v149, v2
	scratch_store_b64 off, v[1:2], off offset:192
	v_cmpx_lt_u32_e32 23, v0
	s_cbranch_execz .LBB119_303
; %bb.302:
	scratch_load_b64 v[1:2], off, off offset:184
	v_mov_b32_e32 v22, v21
	scratch_store_b64 off, v[21:22], off offset:184
	s_wait_loadcnt 0x0
	ds_store_b64 v27, v[1:2]
.LBB119_303:
	s_wait_alu 0xfffe
	s_or_b32 exec_lo, exec_lo, s0
	s_wait_storecnt_dscnt 0x0
	s_barrier_signal -1
	s_barrier_wait -1
	global_inv scope:SCOPE_SE
	s_clause 0x4
	scratch_load_b128 v[5:8], off, off offset:192
	scratch_load_b128 v[1:4], off, off offset:208
	;; [unrolled: 1-line block ×5, first 2 shown]
	ds_load_b128 v[22:25], v21 offset:640
	ds_load_b128 v[28:31], v21 offset:656
	;; [unrolled: 1-line block ×3, first 2 shown]
	scratch_load_b64 v[148:149], off, off offset:184
	s_mov_b32 s0, exec_lo
	s_wait_loadcnt_dscnt 0x502
	v_dual_mul_f32 v26, v23, v6 :: v_dual_mul_f32 v151, v24, v8
	v_mul_f32_e32 v150, v22, v6
	v_mul_f32_e32 v6, v25, v8
	s_wait_loadcnt_dscnt 0x300
	v_mul_f32_e32 v152, v146, v12
	v_fma_f32 v22, v22, v5, -v26
	v_dual_fmac_f32 v151, v25, v7 :: v_dual_fmac_f32 v150, v23, v5
	v_mul_f32_e32 v25, v30, v4
	v_mul_f32_e32 v4, v31, v4
	;; [unrolled: 1-line block ×5, first 2 shown]
	v_fmac_f32_e32 v25, v31, v3
	v_fma_f32 v23, v24, v7, -v6
	ds_load_b128 v[5:8], v21 offset:688
	v_mul_f32_e32 v24, v28, v2
	v_mul_f32_e32 v2, v29, v2
	v_fmac_f32_e32 v26, v145, v9
	v_fmac_f32_e32 v152, v147, v11
	v_fma_f32 v31, v146, v11, -v12
	v_fmac_f32_e32 v24, v29, v1
	v_fma_f32 v29, v30, v3, -v4
	v_fma_f32 v30, v144, v9, -v10
	ds_load_b128 v[9:12], v21 offset:704
	s_wait_loadcnt_dscnt 0x201
	v_dual_mul_f32 v145, v7, v16 :: v_dual_mul_f32 v144, v5, v14
	v_mul_f32_e32 v14, v6, v14
	v_mul_f32_e32 v16, v8, v16
	s_delay_alu instid0(VALU_DEP_3)
	v_fmac_f32_e32 v145, v8, v15
	v_fma_f32 v28, v28, v1, -v2
	scratch_load_b128 v[1:4], off, off offset:272
	v_fmac_f32_e32 v144, v6, v13
	v_fma_f32 v13, v5, v13, -v14
	v_fma_f32 v14, v7, v15, -v16
	s_wait_loadcnt_dscnt 0x200
	v_mul_f32_e32 v15, v9, v18
	v_mul_f32_e32 v16, v10, v18
	;; [unrolled: 1-line block ×4, first 2 shown]
	ds_load_b128 v[5:8], v21 offset:720
	v_fmac_f32_e32 v15, v10, v17
	v_fma_f32 v16, v9, v17, -v16
	v_fmac_f32_e32 v18, v12, v19
	v_fma_f32 v17, v11, v19, -v20
	scratch_load_b128 v[9:12], off, off offset:288
	s_wait_loadcnt_dscnt 0x100
	v_mul_f32_e32 v19, v5, v2
	v_mul_f32_e32 v2, v6, v2
	;; [unrolled: 1-line block ×3, first 2 shown]
	s_delay_alu instid0(VALU_DEP_3) | instskip(NEXT) | instid1(VALU_DEP_3)
	v_dual_mul_f32 v4, v8, v4 :: v_dual_fmac_f32 v19, v6, v1
	v_fma_f32 v146, v5, v1, -v2
	s_delay_alu instid0(VALU_DEP_3) | instskip(NEXT) | instid1(VALU_DEP_3)
	v_fmac_f32_e32 v20, v8, v3
	v_fma_f32 v147, v7, v3, -v4
	ds_load_b128 v[1:4], v21 offset:736
	ds_load_b128 v[5:8], v21 offset:752
	s_wait_loadcnt_dscnt 0x1
	v_mul_f32_e32 v153, v1, v10
	v_mul_f32_e32 v10, v2, v10
	s_delay_alu instid0(VALU_DEP_2) | instskip(NEXT) | instid1(VALU_DEP_2)
	v_dual_mul_f32 v154, v3, v12 :: v_dual_fmac_f32 v153, v2, v9
	v_fma_f32 v155, v1, v9, -v10
	v_mul_f32_e32 v1, v4, v12
	s_delay_alu instid0(VALU_DEP_3) | instskip(NEXT) | instid1(VALU_DEP_2)
	v_fmac_f32_e32 v154, v4, v11
	v_fma_f32 v156, v3, v11, -v1
	s_clause 0x1
	scratch_load_b128 v[1:4], off, off offset:304
	scratch_load_b128 v[9:12], off, off offset:320
	s_wait_loadcnt_dscnt 0x100
	v_mul_f32_e32 v157, v5, v2
	v_dual_mul_f32 v2, v6, v2 :: v_dual_mul_f32 v159, v7, v4
	s_delay_alu instid0(VALU_DEP_2) | instskip(NEXT) | instid1(VALU_DEP_2)
	v_fmac_f32_e32 v157, v6, v1
	v_fma_f32 v158, v5, v1, -v2
	v_mul_f32_e32 v1, v8, v4
	s_delay_alu instid0(VALU_DEP_4) | instskip(NEXT) | instid1(VALU_DEP_2)
	v_fmac_f32_e32 v159, v8, v3
	v_fma_f32 v160, v7, v3, -v1
	ds_load_b128 v[1:4], v21 offset:768
	ds_load_b128 v[5:8], v21 offset:784
	s_wait_loadcnt_dscnt 0x1
	v_mul_f32_e32 v161, v1, v10
	v_mul_f32_e32 v163, v3, v12
	s_delay_alu instid0(VALU_DEP_2) | instskip(NEXT) | instid1(VALU_DEP_2)
	v_fmac_f32_e32 v161, v2, v9
	v_dual_mul_f32 v2, v2, v10 :: v_dual_fmac_f32 v163, v4, v11
	s_delay_alu instid0(VALU_DEP_1) | instskip(SKIP_1) | instid1(VALU_DEP_1)
	v_fma_f32 v162, v1, v9, -v2
	v_mul_f32_e32 v1, v4, v12
	v_fma_f32 v164, v3, v11, -v1
	s_clause 0x1
	scratch_load_b128 v[1:4], off, off offset:336
	scratch_load_b128 v[9:12], off, off offset:352
	s_wait_loadcnt_dscnt 0x100
	v_mul_f32_e32 v165, v5, v2
	v_dual_mul_f32 v2, v6, v2 :: v_dual_mul_f32 v167, v7, v4
	s_delay_alu instid0(VALU_DEP_2) | instskip(NEXT) | instid1(VALU_DEP_2)
	v_fmac_f32_e32 v165, v6, v1
	v_fma_f32 v166, v5, v1, -v2
	v_mul_f32_e32 v1, v8, v4
	s_delay_alu instid0(VALU_DEP_4) | instskip(NEXT) | instid1(VALU_DEP_2)
	v_fmac_f32_e32 v167, v8, v3
	v_fma_f32 v168, v7, v3, -v1
	ds_load_b128 v[1:4], v21 offset:800
	ds_load_b128 v[5:8], v21 offset:816
	s_wait_loadcnt_dscnt 0x1
	v_mul_f32_e32 v169, v1, v10
	v_mul_f32_e32 v171, v3, v12
	s_delay_alu instid0(VALU_DEP_2) | instskip(NEXT) | instid1(VALU_DEP_2)
	v_fmac_f32_e32 v169, v2, v9
	v_dual_mul_f32 v2, v2, v10 :: v_dual_fmac_f32 v171, v4, v11
	s_delay_alu instid0(VALU_DEP_1) | instskip(SKIP_1) | instid1(VALU_DEP_1)
	v_fma_f32 v170, v1, v9, -v2
	v_mul_f32_e32 v1, v4, v12
	v_fma_f32 v172, v3, v11, -v1
	s_clause 0x1
	scratch_load_b128 v[1:4], off, off offset:368
	scratch_load_b128 v[9:12], off, off offset:384
	s_wait_loadcnt_dscnt 0x100
	v_mul_f32_e32 v173, v5, v2
	v_dual_mul_f32 v2, v6, v2 :: v_dual_mul_f32 v175, v7, v4
	s_delay_alu instid0(VALU_DEP_1) | instskip(NEXT) | instid1(VALU_DEP_2)
	v_fma_f32 v174, v5, v1, -v2
	v_dual_fmac_f32 v175, v8, v3 :: v_dual_add_f32 v2, 0, v150
	s_delay_alu instid0(VALU_DEP_1) | instskip(NEXT) | instid1(VALU_DEP_1)
	v_add_f32_e32 v2, v2, v151
	v_add_f32_e32 v2, v2, v24
	s_delay_alu instid0(VALU_DEP_1) | instskip(NEXT) | instid1(VALU_DEP_1)
	v_add_f32_e32 v2, v2, v25
	v_add_f32_e32 v2, v2, v26
	;; [unrolled: 3-line block ×5, first 2 shown]
	v_fmac_f32_e32 v173, v6, v1
	v_mul_f32_e32 v1, v8, v4
	s_delay_alu instid0(VALU_DEP_1) | instskip(SKIP_1) | instid1(VALU_DEP_1)
	v_fma_f32 v176, v7, v3, -v1
	v_add_f32_e32 v1, 0, v22
	v_add_f32_e32 v1, v1, v23
	s_delay_alu instid0(VALU_DEP_1) | instskip(NEXT) | instid1(VALU_DEP_1)
	v_add_f32_e32 v1, v1, v28
	v_add_f32_e32 v1, v1, v29
	s_delay_alu instid0(VALU_DEP_1) | instskip(NEXT) | instid1(VALU_DEP_1)
	;; [unrolled: 3-line block ×3, first 2 shown]
	v_add_f32_e32 v1, v1, v13
	v_add_f32_e32 v1, v1, v14
	v_add_f32_e32 v14, v5, v20
	s_delay_alu instid0(VALU_DEP_1) | instskip(NEXT) | instid1(VALU_DEP_1)
	v_dual_add_f32 v1, v1, v16 :: v_dual_add_f32 v14, v14, v153
	v_add_f32_e32 v6, v1, v17
	ds_load_b128 v[1:4], v21 offset:832
	v_add_f32_e32 v14, v14, v154
	v_add_f32_e32 v6, v6, v146
	s_delay_alu instid0(VALU_DEP_2) | instskip(NEXT) | instid1(VALU_DEP_2)
	v_add_f32_e32 v17, v14, v157
	v_add_f32_e32 v13, v6, v147
	ds_load_b128 v[5:8], v21 offset:848
	s_wait_loadcnt_dscnt 0x1
	v_dual_mul_f32 v26, v3, v12 :: v_dual_mul_f32 v25, v1, v10
	v_mul_f32_e32 v10, v2, v10
	v_mul_f32_e32 v12, v4, v12
	s_delay_alu instid0(VALU_DEP_3) | instskip(NEXT) | instid1(VALU_DEP_3)
	v_dual_fmac_f32 v26, v4, v11 :: v_dual_fmac_f32 v25, v2, v9
	v_fma_f32 v28, v1, v9, -v10
	s_delay_alu instid0(VALU_DEP_3)
	v_fma_f32 v29, v3, v11, -v12
	s_clause 0x1
	scratch_load_b128 v[1:4], off, off offset:400
	scratch_load_b128 v[9:12], off, off offset:416
	s_wait_loadcnt_dscnt 0x100
	v_mul_f32_e32 v144, v5, v2
	v_add_f32_e32 v13, v13, v155
	v_dual_mul_f32 v145, v7, v4 :: v_dual_mul_f32 v2, v6, v2
	v_mul_f32_e32 v4, v8, v4
	s_delay_alu instid0(VALU_DEP_3) | instskip(NEXT) | instid1(VALU_DEP_3)
	v_dual_fmac_f32 v144, v6, v1 :: v_dual_add_f32 v13, v13, v156
	v_fma_f32 v2, v5, v1, -v2
	s_delay_alu instid0(VALU_DEP_2) | instskip(NEXT) | instid1(VALU_DEP_1)
	v_add_f32_e32 v13, v13, v158
	v_add_f32_e32 v18, v13, v160
	scratch_load_b128 v[13:16], off, off offset:432
	v_add_f32_e32 v18, v18, v162
	s_delay_alu instid0(VALU_DEP_1) | instskip(NEXT) | instid1(VALU_DEP_1)
	v_add_f32_e32 v18, v18, v164
	v_dual_add_f32 v22, v18, v166 :: v_dual_add_f32 v17, v17, v159
	s_delay_alu instid0(VALU_DEP_1) | instskip(NEXT) | instid1(VALU_DEP_1)
	v_dual_add_f32 v30, v22, v168 :: v_dual_add_f32 v17, v17, v161
	v_dual_add_f32 v30, v30, v170 :: v_dual_add_f32 v17, v17, v163
	s_delay_alu instid0(VALU_DEP_1) | instskip(SKIP_4) | instid1(VALU_DEP_1)
	v_dual_add_f32 v30, v30, v172 :: v_dual_add_f32 v23, v17, v165
	ds_load_b128 v[17:20], v21 offset:864
	v_dual_add_f32 v30, v30, v174 :: v_dual_add_f32 v31, v23, v167
	ds_load_b128 v[21:24], v21 offset:880
	v_add_f32_e32 v30, v30, v176
	v_add_f32_e32 v28, v30, v28
	s_wait_loadcnt_dscnt 0x101
	s_delay_alu instid0(VALU_DEP_1) | instskip(SKIP_4) | instid1(VALU_DEP_4)
	v_dual_add_f32 v1, v28, v29 :: v_dual_mul_f32 v146, v17, v10
	v_add_f32_e32 v31, v31, v169
	v_fmac_f32_e32 v145, v8, v3
	v_fma_f32 v3, v7, v3, -v4
	v_mul_f32_e32 v4, v20, v12
	v_dual_fmac_f32 v146, v18, v9 :: v_dual_add_f32 v31, v31, v171
	v_dual_mul_f32 v147, v19, v12 :: v_dual_mul_f32 v6, v18, v10
	s_delay_alu instid0(VALU_DEP_3) | instskip(SKIP_1) | instid1(VALU_DEP_4)
	v_fma_f32 v4, v19, v11, -v4
	v_add_f32_e32 v1, v1, v2
	v_add_f32_e32 v31, v31, v173
	s_delay_alu instid0(VALU_DEP_1) | instskip(NEXT) | instid1(VALU_DEP_1)
	v_add_f32_e32 v31, v31, v175
	v_add_f32_e32 v25, v31, v25
	s_delay_alu instid0(VALU_DEP_1) | instskip(NEXT) | instid1(VALU_DEP_1)
	v_add_f32_e32 v5, v25, v26
	v_add_f32_e32 v2, v5, v144
	v_fma_f32 v5, v17, v9, -v6
	s_delay_alu instid0(VALU_DEP_2) | instskip(NEXT) | instid1(VALU_DEP_1)
	v_dual_add_f32 v2, v2, v145 :: v_dual_add_f32 v1, v1, v3
	v_add_f32_e32 v2, v2, v146
	s_wait_loadcnt_dscnt 0x0
	v_mul_f32_e32 v30, v23, v16
	v_dual_mul_f32 v150, v21, v14 :: v_dual_fmac_f32 v147, v20, v11
	s_delay_alu instid0(VALU_DEP_2) | instskip(NEXT) | instid1(VALU_DEP_2)
	v_dual_mul_f32 v3, v22, v14 :: v_dual_fmac_f32 v30, v24, v15
	v_fmac_f32_e32 v150, v22, v13
	s_delay_alu instid0(VALU_DEP_3) | instskip(SKIP_1) | instid1(VALU_DEP_4)
	v_dual_add_f32 v1, v1, v5 :: v_dual_add_f32 v2, v2, v147
	v_mul_f32_e32 v5, v24, v16
	v_fma_f32 v3, v21, v13, -v3
	s_delay_alu instid0(VALU_DEP_3) | instskip(NEXT) | instid1(VALU_DEP_3)
	v_dual_add_f32 v2, v2, v150 :: v_dual_add_f32 v1, v1, v4
	v_fma_f32 v4, v23, v15, -v5
	s_delay_alu instid0(VALU_DEP_2) | instskip(NEXT) | instid1(VALU_DEP_1)
	v_dual_add_f32 v2, v2, v30 :: v_dual_add_f32 v1, v1, v3
	v_sub_f32_e32 v2, v149, v2
	s_delay_alu instid0(VALU_DEP_2) | instskip(NEXT) | instid1(VALU_DEP_1)
	v_add_f32_e32 v1, v1, v4
	v_sub_f32_e32 v1, v148, v1
	scratch_store_b64 off, v[1:2], off offset:184
	v_cmpx_lt_u32_e32 22, v0
	s_cbranch_execz .LBB119_305
; %bb.304:
	scratch_load_b64 v[1:2], off, off offset:176
	v_mov_b32_e32 v3, 0
	s_delay_alu instid0(VALU_DEP_1)
	v_mov_b32_e32 v4, v3
	scratch_store_b64 off, v[3:4], off offset:176
	s_wait_loadcnt 0x0
	ds_store_b64 v27, v[1:2]
.LBB119_305:
	s_wait_alu 0xfffe
	s_or_b32 exec_lo, exec_lo, s0
	s_wait_storecnt_dscnt 0x0
	s_barrier_signal -1
	s_barrier_wait -1
	global_inv scope:SCOPE_SE
	s_clause 0x4
	scratch_load_b128 v[5:8], off, off offset:184
	scratch_load_b128 v[1:4], off, off offset:200
	;; [unrolled: 1-line block ×5, first 2 shown]
	v_mov_b32_e32 v21, 0
	ds_load_2addr_b64 v[22:25], v21 offset0:79 offset1:80
	ds_load_2addr_b64 v[28:31], v21 offset0:81 offset1:82
	;; [unrolled: 1-line block ×3, first 2 shown]
	scratch_load_b64 v[148:149], off, off offset:176
	s_mov_b32 s0, exec_lo
	s_wait_loadcnt_dscnt 0x502
	v_dual_mul_f32 v150, v22, v6 :: v_dual_mul_f32 v151, v24, v8
	v_mul_f32_e32 v26, v23, v6
	v_mul_f32_e32 v6, v25, v8
	s_wait_loadcnt_dscnt 0x300
	v_mul_f32_e32 v152, v146, v12
	v_dual_fmac_f32 v150, v23, v5 :: v_dual_fmac_f32 v151, v25, v7
	v_mul_f32_e32 v25, v30, v4
	v_fma_f32 v22, v22, v5, -v26
	v_mul_f32_e32 v26, v144, v10
	v_mul_f32_e32 v4, v31, v4
	s_delay_alu instid0(VALU_DEP_4)
	v_dual_mul_f32 v10, v145, v10 :: v_dual_fmac_f32 v25, v31, v3
	v_fma_f32 v23, v24, v7, -v6
	ds_load_2addr_b64 v[5:8], v21 offset0:85 offset1:86
	v_mul_f32_e32 v24, v28, v2
	v_mul_f32_e32 v12, v147, v12
	;; [unrolled: 1-line block ×3, first 2 shown]
	v_fmac_f32_e32 v26, v145, v9
	v_fmac_f32_e32 v152, v147, v11
	;; [unrolled: 1-line block ×3, first 2 shown]
	v_fma_f32 v29, v30, v3, -v4
	v_fma_f32 v30, v144, v9, -v10
	;; [unrolled: 1-line block ×3, first 2 shown]
	ds_load_2addr_b64 v[9:12], v21 offset0:87 offset1:88
	s_wait_loadcnt_dscnt 0x201
	v_dual_mul_f32 v145, v7, v16 :: v_dual_mul_f32 v144, v5, v14
	v_mul_f32_e32 v14, v6, v14
	v_mul_f32_e32 v16, v8, v16
	s_delay_alu instid0(VALU_DEP_3)
	v_fmac_f32_e32 v145, v8, v15
	v_fma_f32 v28, v28, v1, -v2
	scratch_load_b128 v[1:4], off, off offset:264
	v_fmac_f32_e32 v144, v6, v13
	v_fma_f32 v13, v5, v13, -v14
	v_fma_f32 v14, v7, v15, -v16
	s_wait_loadcnt_dscnt 0x200
	v_mul_f32_e32 v15, v9, v18
	v_mul_f32_e32 v16, v10, v18
	v_mul_f32_e32 v18, v11, v20
	v_mul_f32_e32 v20, v12, v20
	ds_load_2addr_b64 v[5:8], v21 offset0:89 offset1:90
	v_fmac_f32_e32 v15, v10, v17
	v_fma_f32 v16, v9, v17, -v16
	v_fmac_f32_e32 v18, v12, v19
	v_fma_f32 v17, v11, v19, -v20
	scratch_load_b128 v[9:12], off, off offset:280
	s_wait_loadcnt_dscnt 0x100
	v_mul_f32_e32 v19, v5, v2
	v_mul_f32_e32 v2, v6, v2
	;; [unrolled: 1-line block ×3, first 2 shown]
	s_delay_alu instid0(VALU_DEP_3) | instskip(NEXT) | instid1(VALU_DEP_3)
	v_dual_mul_f32 v4, v8, v4 :: v_dual_fmac_f32 v19, v6, v1
	v_fma_f32 v146, v5, v1, -v2
	s_delay_alu instid0(VALU_DEP_3) | instskip(NEXT) | instid1(VALU_DEP_3)
	v_fmac_f32_e32 v20, v8, v3
	v_fma_f32 v147, v7, v3, -v4
	ds_load_2addr_b64 v[1:4], v21 offset0:91 offset1:92
	ds_load_2addr_b64 v[5:8], v21 offset0:93 offset1:94
	s_wait_loadcnt_dscnt 0x1
	v_mul_f32_e32 v153, v1, v10
	v_mul_f32_e32 v10, v2, v10
	s_delay_alu instid0(VALU_DEP_2) | instskip(NEXT) | instid1(VALU_DEP_2)
	v_dual_mul_f32 v154, v3, v12 :: v_dual_fmac_f32 v153, v2, v9
	v_fma_f32 v155, v1, v9, -v10
	v_mul_f32_e32 v1, v4, v12
	s_delay_alu instid0(VALU_DEP_3) | instskip(NEXT) | instid1(VALU_DEP_2)
	v_fmac_f32_e32 v154, v4, v11
	v_fma_f32 v156, v3, v11, -v1
	s_clause 0x1
	scratch_load_b128 v[1:4], off, off offset:296
	scratch_load_b128 v[9:12], off, off offset:312
	s_wait_loadcnt_dscnt 0x100
	v_mul_f32_e32 v157, v5, v2
	v_dual_mul_f32 v2, v6, v2 :: v_dual_mul_f32 v159, v7, v4
	s_delay_alu instid0(VALU_DEP_2) | instskip(NEXT) | instid1(VALU_DEP_2)
	v_fmac_f32_e32 v157, v6, v1
	v_fma_f32 v158, v5, v1, -v2
	v_mul_f32_e32 v1, v8, v4
	s_delay_alu instid0(VALU_DEP_4) | instskip(NEXT) | instid1(VALU_DEP_2)
	v_fmac_f32_e32 v159, v8, v3
	v_fma_f32 v160, v7, v3, -v1
	ds_load_2addr_b64 v[1:4], v21 offset0:95 offset1:96
	ds_load_2addr_b64 v[5:8], v21 offset0:97 offset1:98
	s_wait_loadcnt_dscnt 0x1
	v_mul_f32_e32 v161, v1, v10
	v_mul_f32_e32 v163, v3, v12
	s_delay_alu instid0(VALU_DEP_2) | instskip(NEXT) | instid1(VALU_DEP_2)
	v_fmac_f32_e32 v161, v2, v9
	v_dual_mul_f32 v2, v2, v10 :: v_dual_fmac_f32 v163, v4, v11
	s_delay_alu instid0(VALU_DEP_1) | instskip(SKIP_1) | instid1(VALU_DEP_1)
	v_fma_f32 v162, v1, v9, -v2
	v_mul_f32_e32 v1, v4, v12
	v_fma_f32 v164, v3, v11, -v1
	s_clause 0x1
	scratch_load_b128 v[1:4], off, off offset:328
	scratch_load_b128 v[9:12], off, off offset:344
	s_wait_loadcnt_dscnt 0x100
	v_mul_f32_e32 v165, v5, v2
	v_dual_mul_f32 v2, v6, v2 :: v_dual_mul_f32 v167, v7, v4
	s_delay_alu instid0(VALU_DEP_2) | instskip(NEXT) | instid1(VALU_DEP_2)
	v_fmac_f32_e32 v165, v6, v1
	v_fma_f32 v166, v5, v1, -v2
	v_mul_f32_e32 v1, v8, v4
	s_delay_alu instid0(VALU_DEP_4) | instskip(NEXT) | instid1(VALU_DEP_2)
	v_fmac_f32_e32 v167, v8, v3
	v_fma_f32 v168, v7, v3, -v1
	ds_load_2addr_b64 v[1:4], v21 offset0:99 offset1:100
	ds_load_2addr_b64 v[5:8], v21 offset0:101 offset1:102
	s_wait_loadcnt_dscnt 0x1
	v_mul_f32_e32 v169, v1, v10
	v_mul_f32_e32 v171, v3, v12
	s_delay_alu instid0(VALU_DEP_2) | instskip(NEXT) | instid1(VALU_DEP_2)
	v_fmac_f32_e32 v169, v2, v9
	v_dual_mul_f32 v2, v2, v10 :: v_dual_fmac_f32 v171, v4, v11
	s_delay_alu instid0(VALU_DEP_1) | instskip(SKIP_1) | instid1(VALU_DEP_1)
	v_fma_f32 v170, v1, v9, -v2
	v_mul_f32_e32 v1, v4, v12
	v_fma_f32 v172, v3, v11, -v1
	s_clause 0x1
	scratch_load_b128 v[1:4], off, off offset:360
	scratch_load_b128 v[9:12], off, off offset:376
	s_wait_loadcnt_dscnt 0x100
	v_mul_f32_e32 v173, v5, v2
	v_dual_mul_f32 v2, v6, v2 :: v_dual_mul_f32 v175, v7, v4
	s_delay_alu instid0(VALU_DEP_1) | instskip(SKIP_1) | instid1(VALU_DEP_1)
	v_fma_f32 v174, v5, v1, -v2
	v_add_f32_e32 v2, 0, v150
	v_add_f32_e32 v2, v2, v151
	s_delay_alu instid0(VALU_DEP_1) | instskip(NEXT) | instid1(VALU_DEP_1)
	v_dual_fmac_f32 v175, v8, v3 :: v_dual_add_f32 v2, v2, v24
	v_add_f32_e32 v2, v2, v25
	s_delay_alu instid0(VALU_DEP_1) | instskip(NEXT) | instid1(VALU_DEP_1)
	v_add_f32_e32 v2, v2, v26
	v_add_f32_e32 v2, v2, v152
	s_delay_alu instid0(VALU_DEP_1) | instskip(NEXT) | instid1(VALU_DEP_1)
	v_add_f32_e32 v2, v2, v144
	;; [unrolled: 3-line block ×3, first 2 shown]
	v_add_f32_e32 v5, v5, v18
	s_delay_alu instid0(VALU_DEP_1) | instskip(SKIP_2) | instid1(VALU_DEP_1)
	v_add_f32_e32 v5, v5, v19
	v_fmac_f32_e32 v173, v6, v1
	v_mul_f32_e32 v1, v8, v4
	v_fma_f32 v176, v7, v3, -v1
	v_add_f32_e32 v1, 0, v22
	s_delay_alu instid0(VALU_DEP_1) | instskip(NEXT) | instid1(VALU_DEP_1)
	v_add_f32_e32 v1, v1, v23
	v_add_f32_e32 v1, v1, v28
	s_delay_alu instid0(VALU_DEP_1) | instskip(SKIP_2) | instid1(VALU_DEP_1)
	v_add_f32_e32 v1, v1, v29
	scratch_load_b64 v[28:29], off, off offset:440
	v_add_f32_e32 v1, v1, v30
	v_add_f32_e32 v1, v1, v31
	s_delay_alu instid0(VALU_DEP_1) | instskip(NEXT) | instid1(VALU_DEP_1)
	v_add_f32_e32 v1, v1, v13
	v_add_f32_e32 v1, v1, v14
	;; [unrolled: 1-line block ×3, first 2 shown]
	s_delay_alu instid0(VALU_DEP_1) | instskip(NEXT) | instid1(VALU_DEP_1)
	v_dual_add_f32 v1, v1, v16 :: v_dual_add_f32 v14, v14, v153
	v_add_f32_e32 v6, v1, v17
	ds_load_2addr_b64 v[1:4], v21 offset0:103 offset1:104
	v_add_f32_e32 v14, v14, v154
	v_add_f32_e32 v6, v6, v146
	s_delay_alu instid0(VALU_DEP_1)
	v_add_f32_e32 v13, v6, v147
	ds_load_2addr_b64 v[5:8], v21 offset0:105 offset1:106
	s_wait_loadcnt_dscnt 0x101
	v_mul_f32_e32 v26, v1, v10
	v_dual_add_f32 v13, v13, v155 :: v_dual_mul_f32 v10, v2, v10
	v_mul_f32_e32 v144, v3, v12
	v_mul_f32_e32 v12, v4, v12
	s_delay_alu instid0(VALU_DEP_3) | instskip(NEXT) | instid1(VALU_DEP_4)
	v_dual_fmac_f32 v26, v2, v9 :: v_dual_add_f32 v13, v13, v156
	v_fma_f32 v145, v1, v9, -v10
	s_delay_alu instid0(VALU_DEP_4) | instskip(NEXT) | instid1(VALU_DEP_4)
	v_fmac_f32_e32 v144, v4, v11
	v_fma_f32 v146, v3, v11, -v12
	s_clause 0x1
	scratch_load_b128 v[1:4], off, off offset:392
	scratch_load_b128 v[9:12], off, off offset:408
	v_add_f32_e32 v13, v13, v158
	s_delay_alu instid0(VALU_DEP_1) | instskip(SKIP_2) | instid1(VALU_DEP_1)
	v_dual_add_f32 v17, v14, v157 :: v_dual_add_f32 v18, v13, v160
	scratch_load_b128 v[13:16], off, off offset:424
	v_add_f32_e32 v18, v18, v162
	v_dual_add_f32 v18, v18, v164 :: v_dual_add_f32 v17, v17, v159
	s_delay_alu instid0(VALU_DEP_1) | instskip(NEXT) | instid1(VALU_DEP_1)
	v_dual_add_f32 v18, v18, v166 :: v_dual_add_f32 v17, v17, v161
	v_dual_add_f32 v18, v18, v168 :: v_dual_add_f32 v17, v17, v163
	s_delay_alu instid0(VALU_DEP_1) | instskip(NEXT) | instid1(VALU_DEP_1)
	v_dual_add_f32 v30, v18, v170 :: v_dual_add_f32 v17, v17, v165
	v_dual_add_f32 v147, v30, v172 :: v_dual_add_f32 v22, v17, v167
	ds_load_2addr_b64 v[17:20], v21 offset0:107 offset1:108
	v_add_f32_e32 v31, v22, v169
	ds_load_2addr_b64 v[22:25], v21 offset0:109 offset1:110
	s_wait_loadcnt_dscnt 0x202
	v_mul_f32_e32 v152, v7, v4
	v_add_f32_e32 v150, v31, v171
	v_add_f32_e32 v147, v147, v174
	ds_load_b64 v[30:31], v21 offset:888
	v_fmac_f32_e32 v152, v8, v3
	v_dual_add_f32 v150, v150, v173 :: v_dual_mul_f32 v151, v5, v2
	v_dual_add_f32 v147, v147, v176 :: v_dual_mul_f32 v2, v6, v2
	v_mul_f32_e32 v4, v8, v4
	s_delay_alu instid0(VALU_DEP_3) | instskip(NEXT) | instid1(VALU_DEP_4)
	v_add_f32_e32 v150, v150, v175
	v_fmac_f32_e32 v151, v6, v1
	s_delay_alu instid0(VALU_DEP_4)
	v_add_f32_e32 v145, v147, v145
	v_fma_f32 v2, v5, v1, -v2
	s_wait_loadcnt_dscnt 0x102
	v_dual_mul_f32 v5, v20, v12 :: v_dual_add_f32 v26, v150, v26
	v_dual_mul_f32 v147, v17, v10 :: v_dual_mul_f32 v150, v19, v12
	v_add_f32_e32 v145, v145, v146
	v_fma_f32 v1, v7, v3, -v4
	s_delay_alu instid0(VALU_DEP_4) | instskip(NEXT) | instid1(VALU_DEP_4)
	v_add_f32_e32 v26, v26, v144
	v_fmac_f32_e32 v147, v18, v9
	v_fma_f32 v5, v19, v11, -v5
	v_add_f32_e32 v2, v145, v2
	s_wait_loadcnt_dscnt 0x1
	v_dual_mul_f32 v153, v22, v14 :: v_dual_mul_f32 v146, v24, v16
	v_add_f32_e32 v4, v26, v151
	v_mul_f32_e32 v3, v18, v10
	v_dual_add_f32 v1, v2, v1 :: v_dual_fmac_f32 v150, v20, v11
	s_delay_alu instid0(VALU_DEP_3) | instskip(NEXT) | instid1(VALU_DEP_3)
	v_dual_fmac_f32 v153, v23, v13 :: v_dual_add_f32 v2, v4, v152
	v_fma_f32 v3, v17, v9, -v3
	v_mul_f32_e32 v4, v23, v14
	s_wait_dscnt 0x0
	s_delay_alu instid0(VALU_DEP_2) | instskip(SKIP_1) | instid1(VALU_DEP_3)
	v_dual_mul_f32 v144, v30, v29 :: v_dual_add_f32 v1, v1, v3
	v_dual_add_f32 v2, v2, v147 :: v_dual_mul_f32 v3, v25, v16
	v_fma_f32 v4, v22, v13, -v4
	s_delay_alu instid0(VALU_DEP_2) | instskip(SKIP_1) | instid1(VALU_DEP_4)
	v_dual_add_f32 v1, v1, v5 :: v_dual_add_f32 v2, v2, v150
	v_mul_f32_e32 v5, v31, v29
	v_fma_f32 v3, v24, v15, -v3
	s_delay_alu instid0(VALU_DEP_3) | instskip(SKIP_1) | instid1(VALU_DEP_4)
	v_dual_add_f32 v1, v1, v4 :: v_dual_add_f32 v2, v2, v153
	v_fmac_f32_e32 v144, v31, v28
	v_fma_f32 v4, v30, v28, -v5
	s_delay_alu instid0(VALU_DEP_3) | instskip(NEXT) | instid1(VALU_DEP_1)
	v_add_f32_e32 v1, v1, v3
	v_add_f32_e32 v1, v1, v4
	s_delay_alu instid0(VALU_DEP_1) | instskip(NEXT) | instid1(VALU_DEP_1)
	v_dual_fmac_f32 v146, v25, v15 :: v_dual_sub_f32 v1, v148, v1
	v_add_f32_e32 v2, v2, v146
	s_delay_alu instid0(VALU_DEP_1) | instskip(NEXT) | instid1(VALU_DEP_1)
	v_add_f32_e32 v2, v2, v144
	v_sub_f32_e32 v2, v149, v2
	scratch_store_b64 off, v[1:2], off offset:176
	v_cmpx_lt_u32_e32 21, v0
	s_cbranch_execz .LBB119_307
; %bb.306:
	scratch_load_b64 v[1:2], off, off offset:168
	v_mov_b32_e32 v22, v21
	scratch_store_b64 off, v[21:22], off offset:168
	s_wait_loadcnt 0x0
	ds_store_b64 v27, v[1:2]
.LBB119_307:
	s_wait_alu 0xfffe
	s_or_b32 exec_lo, exec_lo, s0
	s_wait_storecnt_dscnt 0x0
	s_barrier_signal -1
	s_barrier_wait -1
	global_inv scope:SCOPE_SE
	s_clause 0x4
	scratch_load_b128 v[5:8], off, off offset:176
	scratch_load_b128 v[1:4], off, off offset:192
	;; [unrolled: 1-line block ×5, first 2 shown]
	ds_load_b128 v[22:25], v21 offset:624
	ds_load_b128 v[28:31], v21 offset:640
	;; [unrolled: 1-line block ×3, first 2 shown]
	scratch_load_b64 v[148:149], off, off offset:168
	s_mov_b32 s0, exec_lo
	s_wait_loadcnt_dscnt 0x502
	v_dual_mul_f32 v26, v23, v6 :: v_dual_mul_f32 v151, v24, v8
	v_mul_f32_e32 v150, v22, v6
	v_mul_f32_e32 v6, v25, v8
	s_wait_loadcnt_dscnt 0x300
	v_mul_f32_e32 v152, v146, v12
	v_fma_f32 v22, v22, v5, -v26
	v_dual_fmac_f32 v151, v25, v7 :: v_dual_fmac_f32 v150, v23, v5
	v_mul_f32_e32 v25, v30, v4
	v_mul_f32_e32 v4, v31, v4
	;; [unrolled: 1-line block ×5, first 2 shown]
	v_fmac_f32_e32 v25, v31, v3
	v_fma_f32 v23, v24, v7, -v6
	ds_load_b128 v[5:8], v21 offset:672
	v_mul_f32_e32 v24, v28, v2
	v_mul_f32_e32 v2, v29, v2
	v_fmac_f32_e32 v26, v145, v9
	v_fmac_f32_e32 v152, v147, v11
	v_fma_f32 v31, v146, v11, -v12
	v_fmac_f32_e32 v24, v29, v1
	v_fma_f32 v29, v30, v3, -v4
	v_fma_f32 v30, v144, v9, -v10
	ds_load_b128 v[9:12], v21 offset:688
	s_wait_loadcnt_dscnt 0x201
	v_dual_mul_f32 v145, v7, v16 :: v_dual_mul_f32 v144, v5, v14
	v_mul_f32_e32 v14, v6, v14
	v_mul_f32_e32 v16, v8, v16
	s_delay_alu instid0(VALU_DEP_3)
	v_fmac_f32_e32 v145, v8, v15
	v_fma_f32 v28, v28, v1, -v2
	scratch_load_b128 v[1:4], off, off offset:256
	v_fmac_f32_e32 v144, v6, v13
	v_fma_f32 v13, v5, v13, -v14
	v_fma_f32 v14, v7, v15, -v16
	s_wait_loadcnt_dscnt 0x200
	v_mul_f32_e32 v15, v9, v18
	v_mul_f32_e32 v16, v10, v18
	;; [unrolled: 1-line block ×4, first 2 shown]
	ds_load_b128 v[5:8], v21 offset:704
	v_fmac_f32_e32 v15, v10, v17
	v_fma_f32 v16, v9, v17, -v16
	v_fmac_f32_e32 v18, v12, v19
	v_fma_f32 v17, v11, v19, -v20
	scratch_load_b128 v[9:12], off, off offset:272
	s_wait_loadcnt_dscnt 0x100
	v_mul_f32_e32 v19, v5, v2
	v_mul_f32_e32 v2, v6, v2
	;; [unrolled: 1-line block ×3, first 2 shown]
	s_delay_alu instid0(VALU_DEP_3) | instskip(NEXT) | instid1(VALU_DEP_3)
	v_dual_mul_f32 v4, v8, v4 :: v_dual_fmac_f32 v19, v6, v1
	v_fma_f32 v146, v5, v1, -v2
	s_delay_alu instid0(VALU_DEP_3) | instskip(NEXT) | instid1(VALU_DEP_3)
	v_fmac_f32_e32 v20, v8, v3
	v_fma_f32 v147, v7, v3, -v4
	ds_load_b128 v[1:4], v21 offset:720
	ds_load_b128 v[5:8], v21 offset:736
	s_wait_loadcnt_dscnt 0x1
	v_mul_f32_e32 v153, v1, v10
	v_mul_f32_e32 v10, v2, v10
	s_delay_alu instid0(VALU_DEP_2) | instskip(NEXT) | instid1(VALU_DEP_2)
	v_dual_mul_f32 v154, v3, v12 :: v_dual_fmac_f32 v153, v2, v9
	v_fma_f32 v155, v1, v9, -v10
	v_mul_f32_e32 v1, v4, v12
	s_delay_alu instid0(VALU_DEP_3) | instskip(NEXT) | instid1(VALU_DEP_2)
	v_fmac_f32_e32 v154, v4, v11
	v_fma_f32 v156, v3, v11, -v1
	s_clause 0x1
	scratch_load_b128 v[1:4], off, off offset:288
	scratch_load_b128 v[9:12], off, off offset:304
	s_wait_loadcnt_dscnt 0x100
	v_mul_f32_e32 v157, v5, v2
	v_dual_mul_f32 v2, v6, v2 :: v_dual_mul_f32 v159, v7, v4
	s_delay_alu instid0(VALU_DEP_2) | instskip(NEXT) | instid1(VALU_DEP_2)
	v_fmac_f32_e32 v157, v6, v1
	v_fma_f32 v158, v5, v1, -v2
	v_mul_f32_e32 v1, v8, v4
	s_delay_alu instid0(VALU_DEP_4) | instskip(NEXT) | instid1(VALU_DEP_2)
	v_fmac_f32_e32 v159, v8, v3
	v_fma_f32 v160, v7, v3, -v1
	ds_load_b128 v[1:4], v21 offset:752
	ds_load_b128 v[5:8], v21 offset:768
	s_wait_loadcnt_dscnt 0x1
	v_mul_f32_e32 v161, v1, v10
	v_mul_f32_e32 v163, v3, v12
	s_delay_alu instid0(VALU_DEP_2) | instskip(NEXT) | instid1(VALU_DEP_2)
	v_fmac_f32_e32 v161, v2, v9
	v_dual_mul_f32 v2, v2, v10 :: v_dual_fmac_f32 v163, v4, v11
	s_delay_alu instid0(VALU_DEP_1) | instskip(SKIP_1) | instid1(VALU_DEP_1)
	v_fma_f32 v162, v1, v9, -v2
	v_mul_f32_e32 v1, v4, v12
	v_fma_f32 v164, v3, v11, -v1
	s_clause 0x1
	scratch_load_b128 v[1:4], off, off offset:320
	scratch_load_b128 v[9:12], off, off offset:336
	s_wait_loadcnt_dscnt 0x100
	v_mul_f32_e32 v165, v5, v2
	v_dual_mul_f32 v2, v6, v2 :: v_dual_mul_f32 v167, v7, v4
	s_delay_alu instid0(VALU_DEP_2) | instskip(NEXT) | instid1(VALU_DEP_2)
	v_fmac_f32_e32 v165, v6, v1
	v_fma_f32 v166, v5, v1, -v2
	v_mul_f32_e32 v1, v8, v4
	s_delay_alu instid0(VALU_DEP_4) | instskip(NEXT) | instid1(VALU_DEP_2)
	v_fmac_f32_e32 v167, v8, v3
	v_fma_f32 v168, v7, v3, -v1
	ds_load_b128 v[1:4], v21 offset:784
	ds_load_b128 v[5:8], v21 offset:800
	s_wait_loadcnt_dscnt 0x1
	v_mul_f32_e32 v169, v1, v10
	v_mul_f32_e32 v171, v3, v12
	s_delay_alu instid0(VALU_DEP_2) | instskip(NEXT) | instid1(VALU_DEP_2)
	v_fmac_f32_e32 v169, v2, v9
	v_dual_mul_f32 v2, v2, v10 :: v_dual_fmac_f32 v171, v4, v11
	s_delay_alu instid0(VALU_DEP_1) | instskip(SKIP_1) | instid1(VALU_DEP_1)
	v_fma_f32 v170, v1, v9, -v2
	v_mul_f32_e32 v1, v4, v12
	v_fma_f32 v172, v3, v11, -v1
	s_clause 0x1
	scratch_load_b128 v[1:4], off, off offset:352
	scratch_load_b128 v[9:12], off, off offset:368
	s_wait_loadcnt_dscnt 0x100
	v_mul_f32_e32 v173, v5, v2
	v_dual_mul_f32 v2, v6, v2 :: v_dual_mul_f32 v175, v7, v4
	s_delay_alu instid0(VALU_DEP_1) | instskip(NEXT) | instid1(VALU_DEP_2)
	v_fma_f32 v174, v5, v1, -v2
	v_dual_fmac_f32 v175, v8, v3 :: v_dual_add_f32 v2, 0, v150
	s_delay_alu instid0(VALU_DEP_1) | instskip(SKIP_1) | instid1(VALU_DEP_2)
	v_add_f32_e32 v2, v2, v151
	v_fmac_f32_e32 v173, v6, v1
	v_add_f32_e32 v2, v2, v24
	s_delay_alu instid0(VALU_DEP_1) | instskip(NEXT) | instid1(VALU_DEP_1)
	v_dual_mul_f32 v1, v8, v4 :: v_dual_add_f32 v2, v2, v25
	v_fma_f32 v176, v7, v3, -v1
	s_delay_alu instid0(VALU_DEP_2) | instskip(NEXT) | instid1(VALU_DEP_1)
	v_add_f32_e32 v2, v2, v26
	v_dual_add_f32 v1, 0, v22 :: v_dual_add_f32 v2, v2, v152
	s_delay_alu instid0(VALU_DEP_1) | instskip(NEXT) | instid1(VALU_DEP_1)
	v_dual_add_f32 v1, v1, v23 :: v_dual_add_f32 v2, v2, v144
	v_dual_add_f32 v1, v1, v28 :: v_dual_add_f32 v2, v2, v145
	s_delay_alu instid0(VALU_DEP_1) | instskip(NEXT) | instid1(VALU_DEP_1)
	v_dual_add_f32 v1, v1, v29 :: v_dual_add_f32 v2, v2, v15
	v_add_f32_e32 v1, v1, v30
	s_delay_alu instid0(VALU_DEP_2) | instskip(NEXT) | instid1(VALU_DEP_2)
	v_add_f32_e32 v5, v2, v18
	v_add_f32_e32 v1, v1, v31
	s_delay_alu instid0(VALU_DEP_1) | instskip(NEXT) | instid1(VALU_DEP_3)
	v_add_f32_e32 v1, v1, v13
	v_add_f32_e32 v13, v5, v19
	s_delay_alu instid0(VALU_DEP_2) | instskip(NEXT) | instid1(VALU_DEP_1)
	v_add_f32_e32 v1, v1, v14
	v_add_f32_e32 v1, v1, v16
	s_delay_alu instid0(VALU_DEP_1) | instskip(NEXT) | instid1(VALU_DEP_1)
	v_add_f32_e32 v1, v1, v17
	v_add_f32_e32 v6, v1, v146
	ds_load_b128 v[1:4], v21 offset:816
	v_dual_add_f32 v13, v13, v20 :: v_dual_add_f32 v14, v6, v147
	scratch_load_b128 v[5:8], off, off offset:384
	v_dual_add_f32 v13, v13, v153 :: v_dual_add_f32 v14, v14, v155
	s_delay_alu instid0(VALU_DEP_1) | instskip(SKIP_4) | instid1(VALU_DEP_2)
	v_dual_add_f32 v18, v13, v154 :: v_dual_add_f32 v17, v14, v156
	ds_load_b128 v[13:16], v21 offset:832
	v_add_f32_e32 v18, v18, v157
	s_wait_loadcnt_dscnt 0x101
	v_mul_f32_e32 v26, v3, v12
	v_dual_add_f32 v18, v18, v159 :: v_dual_add_f32 v17, v17, v158
	v_mul_f32_e32 v12, v4, v12
	s_delay_alu instid0(VALU_DEP_3) | instskip(NEXT) | instid1(VALU_DEP_3)
	v_fmac_f32_e32 v26, v4, v11
	v_dual_add_f32 v22, v18, v161 :: v_dual_mul_f32 v25, v1, v10
	v_mul_f32_e32 v10, v2, v10
	s_delay_alu instid0(VALU_DEP_4) | instskip(NEXT) | instid1(VALU_DEP_3)
	v_fma_f32 v29, v3, v11, -v12
	v_add_f32_e32 v22, v22, v163
	s_delay_alu instid0(VALU_DEP_4) | instskip(NEXT) | instid1(VALU_DEP_4)
	v_fmac_f32_e32 v25, v2, v9
	v_fma_f32 v28, v1, v9, -v10
	scratch_load_b128 v[1:4], off, off offset:400
	v_add_f32_e32 v17, v17, v160
	scratch_load_b128 v[9:12], off, off offset:416
	v_add_f32_e32 v22, v22, v165
	s_wait_loadcnt_dscnt 0x200
	v_mul_f32_e32 v30, v13, v6
	v_mul_f32_e32 v6, v14, v6
	v_add_f32_e32 v17, v17, v162
	v_mul_f32_e32 v31, v15, v8
	v_mul_f32_e32 v8, v16, v8
	v_fmac_f32_e32 v30, v14, v5
	v_fma_f32 v144, v13, v5, -v6
	v_add_f32_e32 v23, v17, v164
	scratch_load_b128 v[17:20], off, off offset:432
	v_fma_f32 v145, v15, v7, -v8
	v_add_f32_e32 v23, v23, v166
	s_delay_alu instid0(VALU_DEP_1) | instskip(NEXT) | instid1(VALU_DEP_1)
	v_add_f32_e32 v23, v23, v168
	v_dual_add_f32 v13, v22, v167 :: v_dual_add_f32 v22, v23, v170
	s_delay_alu instid0(VALU_DEP_1) | instskip(NEXT) | instid1(VALU_DEP_1)
	v_dual_add_f32 v23, v13, v169 :: v_dual_add_f32 v146, v22, v172
	v_dual_add_f32 v146, v146, v174 :: v_dual_fmac_f32 v31, v16, v7
	ds_load_b128 v[5:8], v21 offset:848
	ds_load_b128 v[13:16], v21 offset:864
	v_dual_add_f32 v146, v146, v176 :: v_dual_add_f32 v147, v23, v171
	ds_load_b128 v[21:24], v21 offset:880
	v_dual_add_f32 v28, v146, v28 :: v_dual_add_f32 v147, v147, v173
	s_delay_alu instid0(VALU_DEP_1) | instskip(SKIP_1) | instid1(VALU_DEP_1)
	v_dual_add_f32 v28, v28, v29 :: v_dual_add_f32 v147, v147, v175
	s_wait_loadcnt_dscnt 0x202
	v_dual_add_f32 v25, v147, v25 :: v_dual_mul_f32 v150, v5, v2
	v_mul_f32_e32 v2, v6, v2
	s_wait_loadcnt_dscnt 0x101
	v_dual_mul_f32 v146, v7, v4 :: v_dual_mul_f32 v147, v13, v10
	s_delay_alu instid0(VALU_DEP_3) | instskip(SKIP_2) | instid1(VALU_DEP_3)
	v_dual_add_f32 v25, v25, v26 :: v_dual_mul_f32 v4, v8, v4
	v_add_f32_e32 v28, v28, v144
	v_dual_mul_f32 v151, v15, v12 :: v_dual_fmac_f32 v150, v6, v1
	v_add_f32_e32 v25, v25, v30
	v_fma_f32 v2, v5, v1, -v2
	v_fmac_f32_e32 v146, v8, v3
	v_fma_f32 v3, v7, v3, -v4
	s_delay_alu instid0(VALU_DEP_4) | instskip(SKIP_3) | instid1(VALU_DEP_4)
	v_dual_mul_f32 v4, v16, v12 :: v_dual_add_f32 v5, v25, v31
	v_add_f32_e32 v1, v28, v145
	v_fmac_f32_e32 v147, v14, v9
	v_mul_f32_e32 v6, v14, v10
	v_fma_f32 v4, v15, v11, -v4
	s_delay_alu instid0(VALU_DEP_4) | instskip(SKIP_1) | instid1(VALU_DEP_4)
	v_add_f32_e32 v1, v1, v2
	v_add_f32_e32 v2, v5, v150
	v_fma_f32 v5, v13, v9, -v6
	s_delay_alu instid0(VALU_DEP_2) | instskip(NEXT) | instid1(VALU_DEP_1)
	v_dual_add_f32 v1, v1, v3 :: v_dual_add_f32 v2, v2, v146
	v_dual_add_f32 v1, v1, v5 :: v_dual_add_f32 v2, v2, v147
	s_wait_loadcnt_dscnt 0x0
	v_dual_mul_f32 v29, v23, v20 :: v_dual_mul_f32 v26, v21, v18
	v_mul_f32_e32 v3, v22, v18
	v_fmac_f32_e32 v151, v16, v11
	s_delay_alu instid0(VALU_DEP_3) | instskip(NEXT) | instid1(VALU_DEP_2)
	v_dual_fmac_f32 v29, v24, v19 :: v_dual_fmac_f32 v26, v22, v17
	v_dual_mul_f32 v5, v24, v20 :: v_dual_add_f32 v2, v2, v151
	s_delay_alu instid0(VALU_DEP_4) | instskip(SKIP_1) | instid1(VALU_DEP_3)
	v_fma_f32 v3, v21, v17, -v3
	v_add_f32_e32 v1, v1, v4
	v_fma_f32 v4, v23, v19, -v5
	s_delay_alu instid0(VALU_DEP_2) | instskip(NEXT) | instid1(VALU_DEP_1)
	v_dual_add_f32 v2, v2, v26 :: v_dual_add_f32 v1, v1, v3
	v_dual_add_f32 v2, v2, v29 :: v_dual_add_f32 v1, v1, v4
	s_delay_alu instid0(VALU_DEP_1)
	v_dual_sub_f32 v2, v149, v2 :: v_dual_sub_f32 v1, v148, v1
	scratch_store_b64 off, v[1:2], off offset:168
	v_cmpx_lt_u32_e32 20, v0
	s_cbranch_execz .LBB119_309
; %bb.308:
	scratch_load_b64 v[1:2], off, off offset:160
	v_mov_b32_e32 v3, 0
	s_delay_alu instid0(VALU_DEP_1)
	v_mov_b32_e32 v4, v3
	scratch_store_b64 off, v[3:4], off offset:160
	s_wait_loadcnt 0x0
	ds_store_b64 v27, v[1:2]
.LBB119_309:
	s_wait_alu 0xfffe
	s_or_b32 exec_lo, exec_lo, s0
	s_wait_storecnt_dscnt 0x0
	s_barrier_signal -1
	s_barrier_wait -1
	global_inv scope:SCOPE_SE
	s_clause 0x4
	scratch_load_b128 v[5:8], off, off offset:168
	scratch_load_b128 v[1:4], off, off offset:184
	;; [unrolled: 1-line block ×5, first 2 shown]
	v_mov_b32_e32 v21, 0
	ds_load_2addr_b64 v[22:25], v21 offset0:77 offset1:78
	ds_load_2addr_b64 v[28:31], v21 offset0:79 offset1:80
	;; [unrolled: 1-line block ×3, first 2 shown]
	scratch_load_b64 v[148:149], off, off offset:160
	s_mov_b32 s0, exec_lo
	s_wait_loadcnt_dscnt 0x502
	v_dual_mul_f32 v150, v22, v6 :: v_dual_mul_f32 v151, v24, v8
	v_mul_f32_e32 v26, v23, v6
	v_mul_f32_e32 v6, v25, v8
	s_wait_loadcnt_dscnt 0x300
	v_mul_f32_e32 v152, v146, v12
	v_dual_fmac_f32 v150, v23, v5 :: v_dual_fmac_f32 v151, v25, v7
	v_mul_f32_e32 v25, v30, v4
	v_fma_f32 v22, v22, v5, -v26
	v_mul_f32_e32 v26, v144, v10
	v_mul_f32_e32 v4, v31, v4
	s_delay_alu instid0(VALU_DEP_4)
	v_dual_mul_f32 v10, v145, v10 :: v_dual_fmac_f32 v25, v31, v3
	v_fma_f32 v23, v24, v7, -v6
	ds_load_2addr_b64 v[5:8], v21 offset0:83 offset1:84
	v_mul_f32_e32 v24, v28, v2
	v_mul_f32_e32 v12, v147, v12
	;; [unrolled: 1-line block ×3, first 2 shown]
	v_fmac_f32_e32 v26, v145, v9
	v_fmac_f32_e32 v152, v147, v11
	;; [unrolled: 1-line block ×3, first 2 shown]
	v_fma_f32 v29, v30, v3, -v4
	v_fma_f32 v30, v144, v9, -v10
	;; [unrolled: 1-line block ×3, first 2 shown]
	ds_load_2addr_b64 v[9:12], v21 offset0:85 offset1:86
	s_wait_loadcnt_dscnt 0x201
	v_dual_mul_f32 v145, v7, v16 :: v_dual_mul_f32 v144, v5, v14
	v_mul_f32_e32 v14, v6, v14
	v_mul_f32_e32 v16, v8, v16
	s_delay_alu instid0(VALU_DEP_3)
	v_fmac_f32_e32 v145, v8, v15
	v_fma_f32 v28, v28, v1, -v2
	scratch_load_b128 v[1:4], off, off offset:248
	v_fmac_f32_e32 v144, v6, v13
	v_fma_f32 v13, v5, v13, -v14
	v_fma_f32 v14, v7, v15, -v16
	s_wait_loadcnt_dscnt 0x200
	v_mul_f32_e32 v15, v9, v18
	v_mul_f32_e32 v16, v10, v18
	;; [unrolled: 1-line block ×4, first 2 shown]
	ds_load_2addr_b64 v[5:8], v21 offset0:87 offset1:88
	v_fmac_f32_e32 v15, v10, v17
	v_fma_f32 v16, v9, v17, -v16
	v_fmac_f32_e32 v18, v12, v19
	v_fma_f32 v17, v11, v19, -v20
	scratch_load_b128 v[9:12], off, off offset:264
	s_wait_loadcnt_dscnt 0x100
	v_mul_f32_e32 v19, v5, v2
	v_mul_f32_e32 v2, v6, v2
	;; [unrolled: 1-line block ×3, first 2 shown]
	s_delay_alu instid0(VALU_DEP_3) | instskip(NEXT) | instid1(VALU_DEP_3)
	v_dual_mul_f32 v4, v8, v4 :: v_dual_fmac_f32 v19, v6, v1
	v_fma_f32 v146, v5, v1, -v2
	s_delay_alu instid0(VALU_DEP_3) | instskip(NEXT) | instid1(VALU_DEP_3)
	v_fmac_f32_e32 v20, v8, v3
	v_fma_f32 v147, v7, v3, -v4
	ds_load_2addr_b64 v[1:4], v21 offset0:89 offset1:90
	ds_load_2addr_b64 v[5:8], v21 offset0:91 offset1:92
	s_wait_loadcnt_dscnt 0x1
	v_mul_f32_e32 v153, v1, v10
	v_mul_f32_e32 v10, v2, v10
	s_delay_alu instid0(VALU_DEP_2) | instskip(NEXT) | instid1(VALU_DEP_2)
	v_dual_mul_f32 v154, v3, v12 :: v_dual_fmac_f32 v153, v2, v9
	v_fma_f32 v155, v1, v9, -v10
	v_mul_f32_e32 v1, v4, v12
	s_delay_alu instid0(VALU_DEP_3) | instskip(NEXT) | instid1(VALU_DEP_2)
	v_fmac_f32_e32 v154, v4, v11
	v_fma_f32 v156, v3, v11, -v1
	s_clause 0x1
	scratch_load_b128 v[1:4], off, off offset:280
	scratch_load_b128 v[9:12], off, off offset:296
	s_wait_loadcnt_dscnt 0x100
	v_mul_f32_e32 v157, v5, v2
	v_dual_mul_f32 v2, v6, v2 :: v_dual_mul_f32 v159, v7, v4
	s_delay_alu instid0(VALU_DEP_2) | instskip(NEXT) | instid1(VALU_DEP_2)
	v_fmac_f32_e32 v157, v6, v1
	v_fma_f32 v158, v5, v1, -v2
	v_mul_f32_e32 v1, v8, v4
	s_delay_alu instid0(VALU_DEP_4) | instskip(NEXT) | instid1(VALU_DEP_2)
	v_fmac_f32_e32 v159, v8, v3
	v_fma_f32 v160, v7, v3, -v1
	ds_load_2addr_b64 v[1:4], v21 offset0:93 offset1:94
	ds_load_2addr_b64 v[5:8], v21 offset0:95 offset1:96
	s_wait_loadcnt_dscnt 0x1
	v_mul_f32_e32 v161, v1, v10
	v_mul_f32_e32 v163, v3, v12
	s_delay_alu instid0(VALU_DEP_2) | instskip(NEXT) | instid1(VALU_DEP_2)
	v_fmac_f32_e32 v161, v2, v9
	v_dual_mul_f32 v2, v2, v10 :: v_dual_fmac_f32 v163, v4, v11
	s_delay_alu instid0(VALU_DEP_1) | instskip(SKIP_1) | instid1(VALU_DEP_1)
	v_fma_f32 v162, v1, v9, -v2
	v_mul_f32_e32 v1, v4, v12
	v_fma_f32 v164, v3, v11, -v1
	s_clause 0x1
	scratch_load_b128 v[1:4], off, off offset:312
	scratch_load_b128 v[9:12], off, off offset:328
	s_wait_loadcnt_dscnt 0x100
	v_mul_f32_e32 v165, v5, v2
	v_dual_mul_f32 v2, v6, v2 :: v_dual_mul_f32 v167, v7, v4
	s_delay_alu instid0(VALU_DEP_2) | instskip(NEXT) | instid1(VALU_DEP_2)
	v_fmac_f32_e32 v165, v6, v1
	v_fma_f32 v166, v5, v1, -v2
	v_mul_f32_e32 v1, v8, v4
	s_delay_alu instid0(VALU_DEP_4) | instskip(NEXT) | instid1(VALU_DEP_2)
	v_fmac_f32_e32 v167, v8, v3
	v_fma_f32 v168, v7, v3, -v1
	ds_load_2addr_b64 v[1:4], v21 offset0:97 offset1:98
	ds_load_2addr_b64 v[5:8], v21 offset0:99 offset1:100
	s_wait_loadcnt_dscnt 0x1
	v_mul_f32_e32 v169, v1, v10
	v_mul_f32_e32 v171, v3, v12
	s_delay_alu instid0(VALU_DEP_2) | instskip(NEXT) | instid1(VALU_DEP_2)
	v_fmac_f32_e32 v169, v2, v9
	v_dual_mul_f32 v2, v2, v10 :: v_dual_fmac_f32 v171, v4, v11
	s_delay_alu instid0(VALU_DEP_1) | instskip(SKIP_1) | instid1(VALU_DEP_1)
	v_fma_f32 v170, v1, v9, -v2
	v_mul_f32_e32 v1, v4, v12
	v_fma_f32 v172, v3, v11, -v1
	s_clause 0x1
	scratch_load_b128 v[1:4], off, off offset:344
	scratch_load_b128 v[9:12], off, off offset:360
	s_wait_loadcnt_dscnt 0x100
	v_mul_f32_e32 v173, v5, v2
	v_dual_mul_f32 v2, v6, v2 :: v_dual_mul_f32 v175, v7, v4
	s_delay_alu instid0(VALU_DEP_1) | instskip(SKIP_1) | instid1(VALU_DEP_1)
	v_fma_f32 v174, v5, v1, -v2
	v_add_f32_e32 v2, 0, v150
	v_add_f32_e32 v2, v2, v151
	s_delay_alu instid0(VALU_DEP_4) | instskip(SKIP_1) | instid1(VALU_DEP_3)
	v_fmac_f32_e32 v175, v8, v3
	v_fmac_f32_e32 v173, v6, v1
	v_add_f32_e32 v2, v2, v24
	s_delay_alu instid0(VALU_DEP_1) | instskip(NEXT) | instid1(VALU_DEP_1)
	v_dual_mul_f32 v1, v8, v4 :: v_dual_add_f32 v2, v2, v25
	v_fma_f32 v176, v7, v3, -v1
	s_delay_alu instid0(VALU_DEP_2) | instskip(NEXT) | instid1(VALU_DEP_1)
	v_add_f32_e32 v2, v2, v26
	v_dual_add_f32 v1, 0, v22 :: v_dual_add_f32 v2, v2, v152
	s_delay_alu instid0(VALU_DEP_1) | instskip(NEXT) | instid1(VALU_DEP_1)
	v_dual_add_f32 v1, v1, v23 :: v_dual_add_f32 v2, v2, v144
	v_dual_add_f32 v1, v1, v28 :: v_dual_add_f32 v2, v2, v145
	s_delay_alu instid0(VALU_DEP_1) | instskip(SKIP_2) | instid1(VALU_DEP_1)
	v_add_f32_e32 v1, v1, v29
	scratch_load_b64 v[28:29], off, off offset:440
	v_dual_add_f32 v2, v2, v15 :: v_dual_add_f32 v1, v1, v30
	v_add_f32_e32 v5, v2, v18
	s_delay_alu instid0(VALU_DEP_2) | instskip(NEXT) | instid1(VALU_DEP_1)
	v_add_f32_e32 v1, v1, v31
	v_add_f32_e32 v1, v1, v13
	s_delay_alu instid0(VALU_DEP_3) | instskip(NEXT) | instid1(VALU_DEP_1)
	v_add_f32_e32 v13, v5, v19
	v_add_f32_e32 v13, v13, v20
	s_delay_alu instid0(VALU_DEP_1) | instskip(NEXT) | instid1(VALU_DEP_1)
	v_add_f32_e32 v13, v13, v153
	v_add_f32_e32 v18, v13, v154
	s_delay_alu instid0(VALU_DEP_1) | instskip(NEXT) | instid1(VALU_DEP_1)
	v_dual_add_f32 v1, v1, v14 :: v_dual_add_f32 v18, v18, v157
	v_dual_add_f32 v1, v1, v16 :: v_dual_add_f32 v18, v18, v159
	s_delay_alu instid0(VALU_DEP_1) | instskip(NEXT) | instid1(VALU_DEP_2)
	v_add_f32_e32 v1, v1, v17
	v_add_f32_e32 v22, v18, v161
	s_delay_alu instid0(VALU_DEP_2)
	v_add_f32_e32 v6, v1, v146
	scratch_load_b128 v[1:4], off, off offset:376
	v_add_f32_e32 v22, v22, v163
	v_add_f32_e32 v14, v6, v147
	ds_load_2addr_b64 v[5:8], v21 offset0:101 offset1:102
	v_add_f32_e32 v22, v22, v165
	v_add_f32_e32 v14, v14, v155
	s_delay_alu instid0(VALU_DEP_2) | instskip(NEXT) | instid1(VALU_DEP_2)
	v_add_f32_e32 v22, v22, v167
	v_add_f32_e32 v17, v14, v156
	ds_load_2addr_b64 v[13:16], v21 offset0:103 offset1:104
	s_wait_loadcnt_dscnt 0x201
	v_mul_f32_e32 v26, v5, v10
	v_mul_f32_e32 v10, v6, v10
	;; [unrolled: 1-line block ×3, first 2 shown]
	v_dual_mul_f32 v12, v8, v12 :: v_dual_add_f32 v17, v17, v158
	s_delay_alu instid0(VALU_DEP_4) | instskip(NEXT) | instid1(VALU_DEP_4)
	v_fmac_f32_e32 v26, v6, v9
	v_fma_f32 v145, v5, v9, -v10
	s_delay_alu instid0(VALU_DEP_4) | instskip(NEXT) | instid1(VALU_DEP_4)
	v_fmac_f32_e32 v144, v8, v11
	v_fma_f32 v146, v7, v11, -v12
	scratch_load_b128 v[5:8], off, off offset:392
	v_add_f32_e32 v17, v17, v160
	scratch_load_b128 v[9:12], off, off offset:408
	v_add_f32_e32 v17, v17, v162
	s_delay_alu instid0(VALU_DEP_1)
	v_add_f32_e32 v23, v17, v164
	scratch_load_b128 v[17:20], off, off offset:424
	s_wait_loadcnt_dscnt 0x300
	v_dual_mul_f32 v147, v13, v2 :: v_dual_mul_f32 v150, v15, v4
	v_mul_f32_e32 v2, v14, v2
	v_dual_add_f32 v23, v23, v166 :: v_dual_mul_f32 v4, v16, v4
	s_delay_alu instid0(VALU_DEP_3) | instskip(NEXT) | instid1(VALU_DEP_3)
	v_dual_fmac_f32 v147, v14, v1 :: v_dual_fmac_f32 v150, v16, v3
	v_fma_f32 v151, v13, v1, -v2
	s_delay_alu instid0(VALU_DEP_3) | instskip(NEXT) | instid1(VALU_DEP_4)
	v_add_f32_e32 v23, v23, v168
	v_fma_f32 v152, v15, v3, -v4
	ds_load_2addr_b64 v[1:4], v21 offset0:105 offset1:106
	v_add_f32_e32 v23, v23, v170
	s_delay_alu instid0(VALU_DEP_1) | instskip(NEXT) | instid1(VALU_DEP_1)
	v_dual_add_f32 v13, v22, v169 :: v_dual_add_f32 v14, v23, v172
	v_add_f32_e32 v30, v14, v174
	s_delay_alu instid0(VALU_DEP_2)
	v_add_f32_e32 v22, v13, v171
	ds_load_2addr_b64 v[13:16], v21 offset0:107 offset1:108
	v_add_f32_e32 v153, v30, v176
	v_add_f32_e32 v31, v22, v173
	ds_load_2addr_b64 v[22:25], v21 offset0:109 offset1:110
	v_dual_add_f32 v145, v153, v145 :: v_dual_add_f32 v154, v31, v175
	s_wait_loadcnt_dscnt 0x202
	v_mul_f32_e32 v153, v1, v6
	ds_load_b64 v[30:31], v21 offset:888
	v_mul_f32_e32 v6, v2, v6
	v_add_f32_e32 v145, v145, v146
	v_add_f32_e32 v26, v154, v26
	v_fmac_f32_e32 v153, v2, v5
	s_delay_alu instid0(VALU_DEP_2)
	v_dual_add_f32 v145, v145, v151 :: v_dual_add_f32 v26, v26, v144
	v_mul_f32_e32 v144, v3, v8
	v_mul_f32_e32 v8, v4, v8
	s_wait_loadcnt_dscnt 0x102
	v_mul_f32_e32 v146, v13, v10
	v_dual_add_f32 v145, v145, v152 :: v_dual_add_f32 v26, v26, v147
	v_mul_f32_e32 v147, v15, v12
	v_fma_f32 v1, v1, v5, -v6
	s_wait_loadcnt_dscnt 0x1
	v_dual_mul_f32 v151, v22, v18 :: v_dual_mul_f32 v152, v24, v20
	v_add_f32_e32 v26, v26, v150
	v_fma_f32 v2, v3, v7, -v8
	v_mul_f32_e32 v3, v14, v10
	v_add_f32_e32 v1, v145, v1
	s_wait_dscnt 0x0
	v_dual_mul_f32 v150, v30, v29 :: v_dual_mul_f32 v5, v16, v12
	v_fmac_f32_e32 v144, v4, v7
	v_dual_add_f32 v4, v26, v153 :: v_dual_fmac_f32 v147, v16, v11
	v_fma_f32 v3, v13, v9, -v3
	v_dual_add_f32 v1, v1, v2 :: v_dual_fmac_f32 v146, v14, v9
	s_delay_alu instid0(VALU_DEP_3) | instskip(SKIP_2) | instid1(VALU_DEP_3)
	v_dual_add_f32 v2, v4, v144 :: v_dual_fmac_f32 v151, v23, v17
	v_mul_f32_e32 v4, v23, v18
	v_fma_f32 v5, v15, v11, -v5
	v_dual_add_f32 v1, v1, v3 :: v_dual_add_f32 v2, v2, v146
	v_mul_f32_e32 v3, v25, v20
	s_delay_alu instid0(VALU_DEP_4) | instskip(NEXT) | instid1(VALU_DEP_3)
	v_fma_f32 v4, v22, v17, -v4
	v_dual_add_f32 v1, v1, v5 :: v_dual_add_f32 v2, v2, v147
	v_mul_f32_e32 v5, v31, v29
	s_delay_alu instid0(VALU_DEP_4) | instskip(NEXT) | instid1(VALU_DEP_3)
	v_fma_f32 v3, v24, v19, -v3
	v_dual_add_f32 v1, v1, v4 :: v_dual_add_f32 v2, v2, v151
	v_fmac_f32_e32 v150, v31, v28
	s_delay_alu instid0(VALU_DEP_4) | instskip(NEXT) | instid1(VALU_DEP_3)
	v_fma_f32 v4, v30, v28, -v5
	v_add_f32_e32 v1, v1, v3
	s_delay_alu instid0(VALU_DEP_1) | instskip(NEXT) | instid1(VALU_DEP_1)
	v_add_f32_e32 v1, v1, v4
	v_dual_fmac_f32 v152, v25, v19 :: v_dual_sub_f32 v1, v148, v1
	s_delay_alu instid0(VALU_DEP_1) | instskip(NEXT) | instid1(VALU_DEP_1)
	v_add_f32_e32 v2, v2, v152
	v_add_f32_e32 v2, v2, v150
	s_delay_alu instid0(VALU_DEP_1)
	v_sub_f32_e32 v2, v149, v2
	scratch_store_b64 off, v[1:2], off offset:160
	v_cmpx_lt_u32_e32 19, v0
	s_cbranch_execz .LBB119_311
; %bb.310:
	scratch_load_b64 v[1:2], off, off offset:152
	v_mov_b32_e32 v22, v21
	scratch_store_b64 off, v[21:22], off offset:152
	s_wait_loadcnt 0x0
	ds_store_b64 v27, v[1:2]
.LBB119_311:
	s_wait_alu 0xfffe
	s_or_b32 exec_lo, exec_lo, s0
	s_wait_storecnt_dscnt 0x0
	s_barrier_signal -1
	s_barrier_wait -1
	global_inv scope:SCOPE_SE
	s_clause 0x4
	scratch_load_b128 v[5:8], off, off offset:160
	scratch_load_b128 v[1:4], off, off offset:176
	;; [unrolled: 1-line block ×5, first 2 shown]
	ds_load_b128 v[22:25], v21 offset:608
	ds_load_b128 v[28:31], v21 offset:624
	;; [unrolled: 1-line block ×3, first 2 shown]
	scratch_load_b64 v[148:149], off, off offset:152
	s_mov_b32 s0, exec_lo
	s_wait_loadcnt_dscnt 0x502
	v_dual_mul_f32 v26, v23, v6 :: v_dual_mul_f32 v151, v24, v8
	v_mul_f32_e32 v150, v22, v6
	v_mul_f32_e32 v6, v25, v8
	s_wait_loadcnt_dscnt 0x300
	v_mul_f32_e32 v152, v146, v12
	v_fma_f32 v22, v22, v5, -v26
	v_dual_fmac_f32 v151, v25, v7 :: v_dual_fmac_f32 v150, v23, v5
	v_mul_f32_e32 v25, v30, v4
	v_mul_f32_e32 v4, v31, v4
	;; [unrolled: 1-line block ×5, first 2 shown]
	v_fmac_f32_e32 v25, v31, v3
	v_fma_f32 v23, v24, v7, -v6
	ds_load_b128 v[5:8], v21 offset:656
	v_mul_f32_e32 v24, v28, v2
	v_mul_f32_e32 v2, v29, v2
	v_fmac_f32_e32 v26, v145, v9
	v_fmac_f32_e32 v152, v147, v11
	v_fma_f32 v31, v146, v11, -v12
	v_fmac_f32_e32 v24, v29, v1
	v_fma_f32 v29, v30, v3, -v4
	v_fma_f32 v30, v144, v9, -v10
	ds_load_b128 v[9:12], v21 offset:672
	s_wait_loadcnt_dscnt 0x201
	v_dual_mul_f32 v145, v7, v16 :: v_dual_mul_f32 v144, v5, v14
	v_mul_f32_e32 v14, v6, v14
	v_mul_f32_e32 v16, v8, v16
	s_delay_alu instid0(VALU_DEP_3)
	v_fmac_f32_e32 v145, v8, v15
	v_fma_f32 v28, v28, v1, -v2
	scratch_load_b128 v[1:4], off, off offset:240
	v_fmac_f32_e32 v144, v6, v13
	v_fma_f32 v13, v5, v13, -v14
	v_fma_f32 v14, v7, v15, -v16
	s_wait_loadcnt_dscnt 0x200
	v_mul_f32_e32 v15, v9, v18
	v_mul_f32_e32 v16, v10, v18
	;; [unrolled: 1-line block ×4, first 2 shown]
	ds_load_b128 v[5:8], v21 offset:688
	v_fmac_f32_e32 v15, v10, v17
	v_fma_f32 v16, v9, v17, -v16
	v_fmac_f32_e32 v18, v12, v19
	v_fma_f32 v17, v11, v19, -v20
	scratch_load_b128 v[9:12], off, off offset:256
	s_wait_loadcnt_dscnt 0x100
	v_mul_f32_e32 v19, v5, v2
	v_mul_f32_e32 v2, v6, v2
	v_mul_f32_e32 v20, v7, v4
	s_delay_alu instid0(VALU_DEP_3) | instskip(NEXT) | instid1(VALU_DEP_3)
	v_dual_mul_f32 v4, v8, v4 :: v_dual_fmac_f32 v19, v6, v1
	v_fma_f32 v146, v5, v1, -v2
	s_delay_alu instid0(VALU_DEP_3) | instskip(NEXT) | instid1(VALU_DEP_3)
	v_fmac_f32_e32 v20, v8, v3
	v_fma_f32 v147, v7, v3, -v4
	ds_load_b128 v[1:4], v21 offset:704
	ds_load_b128 v[5:8], v21 offset:720
	s_wait_loadcnt_dscnt 0x1
	v_mul_f32_e32 v153, v1, v10
	v_mul_f32_e32 v10, v2, v10
	s_delay_alu instid0(VALU_DEP_2) | instskip(NEXT) | instid1(VALU_DEP_2)
	v_dual_mul_f32 v154, v3, v12 :: v_dual_fmac_f32 v153, v2, v9
	v_fma_f32 v155, v1, v9, -v10
	v_mul_f32_e32 v1, v4, v12
	s_delay_alu instid0(VALU_DEP_3) | instskip(NEXT) | instid1(VALU_DEP_2)
	v_fmac_f32_e32 v154, v4, v11
	v_fma_f32 v156, v3, v11, -v1
	s_clause 0x1
	scratch_load_b128 v[1:4], off, off offset:272
	scratch_load_b128 v[9:12], off, off offset:288
	s_wait_loadcnt_dscnt 0x100
	v_mul_f32_e32 v157, v5, v2
	v_dual_mul_f32 v2, v6, v2 :: v_dual_mul_f32 v159, v7, v4
	s_delay_alu instid0(VALU_DEP_2) | instskip(NEXT) | instid1(VALU_DEP_2)
	v_fmac_f32_e32 v157, v6, v1
	v_fma_f32 v158, v5, v1, -v2
	v_mul_f32_e32 v1, v8, v4
	s_delay_alu instid0(VALU_DEP_4) | instskip(NEXT) | instid1(VALU_DEP_2)
	v_fmac_f32_e32 v159, v8, v3
	v_fma_f32 v160, v7, v3, -v1
	ds_load_b128 v[1:4], v21 offset:736
	ds_load_b128 v[5:8], v21 offset:752
	s_wait_loadcnt_dscnt 0x1
	v_mul_f32_e32 v161, v1, v10
	v_mul_f32_e32 v163, v3, v12
	s_delay_alu instid0(VALU_DEP_2) | instskip(NEXT) | instid1(VALU_DEP_2)
	v_fmac_f32_e32 v161, v2, v9
	v_dual_mul_f32 v2, v2, v10 :: v_dual_fmac_f32 v163, v4, v11
	s_delay_alu instid0(VALU_DEP_1) | instskip(SKIP_1) | instid1(VALU_DEP_1)
	v_fma_f32 v162, v1, v9, -v2
	v_mul_f32_e32 v1, v4, v12
	v_fma_f32 v164, v3, v11, -v1
	s_clause 0x1
	scratch_load_b128 v[1:4], off, off offset:304
	scratch_load_b128 v[9:12], off, off offset:320
	s_wait_loadcnt_dscnt 0x100
	v_mul_f32_e32 v165, v5, v2
	v_dual_mul_f32 v2, v6, v2 :: v_dual_mul_f32 v167, v7, v4
	s_delay_alu instid0(VALU_DEP_2) | instskip(NEXT) | instid1(VALU_DEP_2)
	v_fmac_f32_e32 v165, v6, v1
	v_fma_f32 v166, v5, v1, -v2
	v_mul_f32_e32 v1, v8, v4
	s_delay_alu instid0(VALU_DEP_4) | instskip(NEXT) | instid1(VALU_DEP_2)
	v_fmac_f32_e32 v167, v8, v3
	v_fma_f32 v168, v7, v3, -v1
	ds_load_b128 v[1:4], v21 offset:768
	ds_load_b128 v[5:8], v21 offset:784
	s_wait_loadcnt_dscnt 0x1
	v_mul_f32_e32 v169, v1, v10
	v_mul_f32_e32 v171, v3, v12
	s_delay_alu instid0(VALU_DEP_2) | instskip(NEXT) | instid1(VALU_DEP_2)
	v_fmac_f32_e32 v169, v2, v9
	v_dual_mul_f32 v2, v2, v10 :: v_dual_fmac_f32 v171, v4, v11
	s_delay_alu instid0(VALU_DEP_1) | instskip(SKIP_1) | instid1(VALU_DEP_1)
	v_fma_f32 v170, v1, v9, -v2
	v_mul_f32_e32 v1, v4, v12
	;; [unrolled: 25-line block ×3, first 2 shown]
	v_fma_f32 v180, v3, v11, -v1
	s_clause 0x1
	scratch_load_b128 v[1:4], off, off offset:368
	scratch_load_b128 v[9:12], off, off offset:384
	s_wait_loadcnt_dscnt 0x100
	v_mul_f32_e32 v181, v5, v2
	v_mul_f32_e32 v2, v6, v2
	s_delay_alu instid0(VALU_DEP_1) | instskip(SKIP_1) | instid1(VALU_DEP_1)
	v_fma_f32 v182, v5, v1, -v2
	v_add_f32_e32 v2, 0, v150
	v_add_f32_e32 v2, v2, v151
	s_delay_alu instid0(VALU_DEP_1) | instskip(NEXT) | instid1(VALU_DEP_1)
	v_add_f32_e32 v2, v2, v24
	v_add_f32_e32 v2, v2, v25
	s_delay_alu instid0(VALU_DEP_1) | instskip(NEXT) | instid1(VALU_DEP_1)
	;; [unrolled: 3-line block ×3, first 2 shown]
	v_add_f32_e32 v2, v2, v144
	v_dual_add_f32 v2, v2, v145 :: v_dual_mul_f32 v183, v7, v4
	s_delay_alu instid0(VALU_DEP_1) | instskip(NEXT) | instid1(VALU_DEP_1)
	v_add_f32_e32 v2, v2, v15
	v_dual_fmac_f32 v183, v8, v3 :: v_dual_add_f32 v2, v2, v18
	s_delay_alu instid0(VALU_DEP_1) | instskip(NEXT) | instid1(VALU_DEP_1)
	v_add_f32_e32 v2, v2, v19
	v_add_f32_e32 v2, v2, v20
	s_delay_alu instid0(VALU_DEP_1) | instskip(NEXT) | instid1(VALU_DEP_1)
	v_add_f32_e32 v5, v2, v153
	v_add_f32_e32 v5, v5, v154
	s_delay_alu instid0(VALU_DEP_1) | instskip(SKIP_2) | instid1(VALU_DEP_1)
	v_add_f32_e32 v5, v5, v157
	v_fmac_f32_e32 v181, v6, v1
	v_mul_f32_e32 v1, v8, v4
	v_fma_f32 v184, v7, v3, -v1
	v_add_f32_e32 v1, 0, v22
	s_delay_alu instid0(VALU_DEP_1) | instskip(NEXT) | instid1(VALU_DEP_1)
	v_add_f32_e32 v1, v1, v23
	v_add_f32_e32 v1, v1, v28
	s_delay_alu instid0(VALU_DEP_1) | instskip(NEXT) | instid1(VALU_DEP_1)
	v_add_f32_e32 v1, v1, v29
	;; [unrolled: 3-line block ×6, first 2 shown]
	v_add_f32_e32 v1, v1, v155
	s_delay_alu instid0(VALU_DEP_1) | instskip(SKIP_2) | instid1(VALU_DEP_1)
	v_add_f32_e32 v6, v1, v156
	ds_load_b128 v[1:4], v21 offset:832
	v_add_f32_e32 v6, v6, v158
	v_add_f32_e32 v13, v6, v160
	s_delay_alu instid0(VALU_DEP_1) | instskip(NEXT) | instid1(VALU_DEP_1)
	v_add_f32_e32 v13, v13, v162
	v_add_f32_e32 v13, v13, v164
	s_delay_alu instid0(VALU_DEP_1) | instskip(NEXT) | instid1(VALU_DEP_1)
	;; [unrolled: 3-line block ×5, first 2 shown]
	v_add_f32_e32 v30, v30, v178
	v_add_f32_e32 v30, v30, v180
	;; [unrolled: 1-line block ×3, first 2 shown]
	ds_load_b128 v[5:8], v21 offset:848
	s_wait_loadcnt_dscnt 0x1
	v_dual_mul_f32 v25, v1, v10 :: v_dual_mul_f32 v26, v3, v12
	v_mul_f32_e32 v10, v2, v10
	v_add_f32_e32 v14, v14, v161
	v_mul_f32_e32 v12, v4, v12
	v_add_f32_e32 v30, v30, v182
	v_fmac_f32_e32 v26, v4, v11
	v_fma_f32 v28, v1, v9, -v10
	v_add_f32_e32 v14, v14, v163
	v_fma_f32 v29, v3, v11, -v12
	v_add_f32_e32 v30, v30, v184
	s_delay_alu instid0(VALU_DEP_3) | instskip(SKIP_2) | instid1(VALU_DEP_1)
	v_add_f32_e32 v17, v14, v165
	scratch_load_b128 v[13:16], off, off offset:432
	v_dual_add_f32 v28, v30, v28 :: v_dual_add_f32 v17, v17, v167
	v_add_f32_e32 v17, v17, v169
	s_delay_alu instid0(VALU_DEP_1) | instskip(NEXT) | instid1(VALU_DEP_1)
	v_add_f32_e32 v17, v17, v171
	v_add_f32_e32 v23, v17, v173
	ds_load_b128 v[17:20], v21 offset:864
	v_fmac_f32_e32 v25, v2, v9
	s_clause 0x1
	scratch_load_b128 v[1:4], off, off offset:400
	scratch_load_b128 v[9:12], off, off offset:416
	s_wait_loadcnt_dscnt 0x101
	v_mul_f32_e32 v144, v5, v2
	v_mul_f32_e32 v2, v6, v2
	s_wait_loadcnt_dscnt 0x0
	v_mul_f32_e32 v146, v17, v10
	s_delay_alu instid0(VALU_DEP_3)
	v_fmac_f32_e32 v144, v6, v1
	v_dual_mul_f32 v6, v18, v10 :: v_dual_add_f32 v31, v23, v175
	ds_load_b128 v[21:24], v21 offset:880
	v_fmac_f32_e32 v146, v18, v9
	v_fma_f32 v2, v5, v1, -v2
	s_wait_dscnt 0x0
	v_dual_add_f32 v31, v31, v177 :: v_dual_mul_f32 v150, v21, v14
	v_mul_f32_e32 v145, v7, v4
	v_mul_f32_e32 v4, v8, v4
	;; [unrolled: 1-line block ×3, first 2 shown]
	s_delay_alu instid0(VALU_DEP_3) | instskip(NEXT) | instid1(VALU_DEP_3)
	v_dual_fmac_f32 v150, v22, v13 :: v_dual_fmac_f32 v145, v8, v3
	v_fma_f32 v3, v7, v3, -v4
	v_dual_mul_f32 v4, v20, v12 :: v_dual_add_f32 v31, v31, v179
	s_delay_alu instid0(VALU_DEP_4) | instskip(SKIP_1) | instid1(VALU_DEP_3)
	v_fmac_f32_e32 v30, v24, v15
	v_add_f32_e32 v1, v28, v29
	v_fma_f32 v4, v19, v11, -v4
	s_delay_alu instid0(VALU_DEP_4) | instskip(NEXT) | instid1(VALU_DEP_3)
	v_add_f32_e32 v31, v31, v181
	v_add_f32_e32 v1, v1, v2
	s_delay_alu instid0(VALU_DEP_2) | instskip(NEXT) | instid1(VALU_DEP_2)
	v_add_f32_e32 v31, v31, v183
	v_add_f32_e32 v1, v1, v3
	v_mul_f32_e32 v3, v22, v14
	s_delay_alu instid0(VALU_DEP_3) | instskip(NEXT) | instid1(VALU_DEP_2)
	v_add_f32_e32 v25, v31, v25
	v_fma_f32 v3, v21, v13, -v3
	s_delay_alu instid0(VALU_DEP_2) | instskip(NEXT) | instid1(VALU_DEP_1)
	v_add_f32_e32 v5, v25, v26
	v_add_f32_e32 v2, v5, v144
	v_mul_f32_e32 v147, v19, v12
	v_fma_f32 v5, v17, v9, -v6
	s_delay_alu instid0(VALU_DEP_2) | instskip(NEXT) | instid1(VALU_DEP_2)
	v_dual_add_f32 v2, v2, v145 :: v_dual_fmac_f32 v147, v20, v11
	v_add_f32_e32 v1, v1, v5
	s_delay_alu instid0(VALU_DEP_2) | instskip(NEXT) | instid1(VALU_DEP_2)
	v_dual_mul_f32 v5, v24, v16 :: v_dual_add_f32 v2, v2, v146
	v_add_f32_e32 v1, v1, v4
	s_delay_alu instid0(VALU_DEP_2) | instskip(NEXT) | instid1(VALU_DEP_3)
	v_fma_f32 v4, v23, v15, -v5
	v_add_f32_e32 v2, v2, v147
	s_delay_alu instid0(VALU_DEP_1) | instskip(NEXT) | instid1(VALU_DEP_1)
	v_dual_add_f32 v1, v1, v3 :: v_dual_add_f32 v2, v2, v150
	v_dual_add_f32 v1, v1, v4 :: v_dual_add_f32 v2, v2, v30
	s_delay_alu instid0(VALU_DEP_1)
	v_dual_sub_f32 v1, v148, v1 :: v_dual_sub_f32 v2, v149, v2
	scratch_store_b64 off, v[1:2], off offset:152
	v_cmpx_lt_u32_e32 18, v0
	s_cbranch_execz .LBB119_313
; %bb.312:
	scratch_load_b64 v[1:2], off, off offset:144
	v_mov_b32_e32 v3, 0
	s_delay_alu instid0(VALU_DEP_1)
	v_mov_b32_e32 v4, v3
	scratch_store_b64 off, v[3:4], off offset:144
	s_wait_loadcnt 0x0
	ds_store_b64 v27, v[1:2]
.LBB119_313:
	s_wait_alu 0xfffe
	s_or_b32 exec_lo, exec_lo, s0
	s_wait_storecnt_dscnt 0x0
	s_barrier_signal -1
	s_barrier_wait -1
	global_inv scope:SCOPE_SE
	s_clause 0x4
	scratch_load_b128 v[5:8], off, off offset:152
	scratch_load_b128 v[1:4], off, off offset:168
	;; [unrolled: 1-line block ×5, first 2 shown]
	v_mov_b32_e32 v21, 0
	ds_load_2addr_b64 v[22:25], v21 offset0:75 offset1:76
	ds_load_2addr_b64 v[28:31], v21 offset0:77 offset1:78
	;; [unrolled: 1-line block ×3, first 2 shown]
	scratch_load_b64 v[148:149], off, off offset:144
	s_mov_b32 s0, exec_lo
	s_wait_loadcnt_dscnt 0x502
	v_dual_mul_f32 v150, v22, v6 :: v_dual_mul_f32 v151, v24, v8
	v_mul_f32_e32 v26, v23, v6
	v_mul_f32_e32 v6, v25, v8
	s_wait_loadcnt_dscnt 0x300
	v_mul_f32_e32 v152, v146, v12
	v_dual_fmac_f32 v150, v23, v5 :: v_dual_fmac_f32 v151, v25, v7
	v_mul_f32_e32 v25, v30, v4
	v_fma_f32 v22, v22, v5, -v26
	v_mul_f32_e32 v26, v144, v10
	v_mul_f32_e32 v4, v31, v4
	s_delay_alu instid0(VALU_DEP_4)
	v_dual_mul_f32 v10, v145, v10 :: v_dual_fmac_f32 v25, v31, v3
	v_fma_f32 v23, v24, v7, -v6
	ds_load_2addr_b64 v[5:8], v21 offset0:81 offset1:82
	v_mul_f32_e32 v24, v28, v2
	v_mul_f32_e32 v12, v147, v12
	;; [unrolled: 1-line block ×3, first 2 shown]
	v_fmac_f32_e32 v26, v145, v9
	v_fmac_f32_e32 v152, v147, v11
	;; [unrolled: 1-line block ×3, first 2 shown]
	v_fma_f32 v29, v30, v3, -v4
	v_fma_f32 v30, v144, v9, -v10
	v_fma_f32 v31, v146, v11, -v12
	ds_load_2addr_b64 v[9:12], v21 offset0:83 offset1:84
	s_wait_loadcnt_dscnt 0x201
	v_dual_mul_f32 v145, v7, v16 :: v_dual_mul_f32 v144, v5, v14
	v_mul_f32_e32 v14, v6, v14
	v_mul_f32_e32 v16, v8, v16
	s_delay_alu instid0(VALU_DEP_3)
	v_fmac_f32_e32 v145, v8, v15
	v_fma_f32 v28, v28, v1, -v2
	scratch_load_b128 v[1:4], off, off offset:232
	v_fmac_f32_e32 v144, v6, v13
	v_fma_f32 v13, v5, v13, -v14
	v_fma_f32 v14, v7, v15, -v16
	s_wait_loadcnt_dscnt 0x200
	v_mul_f32_e32 v15, v9, v18
	v_mul_f32_e32 v16, v10, v18
	;; [unrolled: 1-line block ×4, first 2 shown]
	ds_load_2addr_b64 v[5:8], v21 offset0:85 offset1:86
	v_fmac_f32_e32 v15, v10, v17
	v_fma_f32 v16, v9, v17, -v16
	v_fmac_f32_e32 v18, v12, v19
	v_fma_f32 v17, v11, v19, -v20
	scratch_load_b128 v[9:12], off, off offset:248
	s_wait_loadcnt_dscnt 0x100
	v_mul_f32_e32 v19, v5, v2
	v_mul_f32_e32 v2, v6, v2
	;; [unrolled: 1-line block ×3, first 2 shown]
	s_delay_alu instid0(VALU_DEP_3) | instskip(NEXT) | instid1(VALU_DEP_3)
	v_dual_mul_f32 v4, v8, v4 :: v_dual_fmac_f32 v19, v6, v1
	v_fma_f32 v146, v5, v1, -v2
	s_delay_alu instid0(VALU_DEP_3) | instskip(NEXT) | instid1(VALU_DEP_3)
	v_fmac_f32_e32 v20, v8, v3
	v_fma_f32 v147, v7, v3, -v4
	ds_load_2addr_b64 v[1:4], v21 offset0:87 offset1:88
	ds_load_2addr_b64 v[5:8], v21 offset0:89 offset1:90
	s_wait_loadcnt_dscnt 0x1
	v_mul_f32_e32 v153, v1, v10
	v_mul_f32_e32 v10, v2, v10
	s_delay_alu instid0(VALU_DEP_2) | instskip(NEXT) | instid1(VALU_DEP_2)
	v_dual_mul_f32 v154, v3, v12 :: v_dual_fmac_f32 v153, v2, v9
	v_fma_f32 v155, v1, v9, -v10
	v_mul_f32_e32 v1, v4, v12
	s_delay_alu instid0(VALU_DEP_3) | instskip(NEXT) | instid1(VALU_DEP_2)
	v_fmac_f32_e32 v154, v4, v11
	v_fma_f32 v156, v3, v11, -v1
	s_clause 0x1
	scratch_load_b128 v[1:4], off, off offset:264
	scratch_load_b128 v[9:12], off, off offset:280
	s_wait_loadcnt_dscnt 0x100
	v_mul_f32_e32 v157, v5, v2
	v_dual_mul_f32 v2, v6, v2 :: v_dual_mul_f32 v159, v7, v4
	s_delay_alu instid0(VALU_DEP_2) | instskip(NEXT) | instid1(VALU_DEP_2)
	v_fmac_f32_e32 v157, v6, v1
	v_fma_f32 v158, v5, v1, -v2
	v_mul_f32_e32 v1, v8, v4
	s_delay_alu instid0(VALU_DEP_4) | instskip(NEXT) | instid1(VALU_DEP_2)
	v_fmac_f32_e32 v159, v8, v3
	v_fma_f32 v160, v7, v3, -v1
	ds_load_2addr_b64 v[1:4], v21 offset0:91 offset1:92
	ds_load_2addr_b64 v[5:8], v21 offset0:93 offset1:94
	s_wait_loadcnt_dscnt 0x1
	v_mul_f32_e32 v161, v1, v10
	v_mul_f32_e32 v163, v3, v12
	s_delay_alu instid0(VALU_DEP_2) | instskip(NEXT) | instid1(VALU_DEP_2)
	v_fmac_f32_e32 v161, v2, v9
	v_dual_mul_f32 v2, v2, v10 :: v_dual_fmac_f32 v163, v4, v11
	s_delay_alu instid0(VALU_DEP_1) | instskip(SKIP_1) | instid1(VALU_DEP_1)
	v_fma_f32 v162, v1, v9, -v2
	v_mul_f32_e32 v1, v4, v12
	v_fma_f32 v164, v3, v11, -v1
	s_clause 0x1
	scratch_load_b128 v[1:4], off, off offset:296
	scratch_load_b128 v[9:12], off, off offset:312
	s_wait_loadcnt_dscnt 0x100
	v_mul_f32_e32 v165, v5, v2
	v_dual_mul_f32 v2, v6, v2 :: v_dual_mul_f32 v167, v7, v4
	s_delay_alu instid0(VALU_DEP_2) | instskip(NEXT) | instid1(VALU_DEP_2)
	v_fmac_f32_e32 v165, v6, v1
	v_fma_f32 v166, v5, v1, -v2
	v_mul_f32_e32 v1, v8, v4
	s_delay_alu instid0(VALU_DEP_4) | instskip(NEXT) | instid1(VALU_DEP_2)
	v_fmac_f32_e32 v167, v8, v3
	v_fma_f32 v168, v7, v3, -v1
	ds_load_2addr_b64 v[1:4], v21 offset0:95 offset1:96
	ds_load_2addr_b64 v[5:8], v21 offset0:97 offset1:98
	s_wait_loadcnt_dscnt 0x1
	v_mul_f32_e32 v169, v1, v10
	v_mul_f32_e32 v171, v3, v12
	s_delay_alu instid0(VALU_DEP_2) | instskip(NEXT) | instid1(VALU_DEP_2)
	v_fmac_f32_e32 v169, v2, v9
	v_dual_mul_f32 v2, v2, v10 :: v_dual_fmac_f32 v171, v4, v11
	s_delay_alu instid0(VALU_DEP_1) | instskip(SKIP_1) | instid1(VALU_DEP_1)
	v_fma_f32 v170, v1, v9, -v2
	v_mul_f32_e32 v1, v4, v12
	;; [unrolled: 25-line block ×3, first 2 shown]
	v_fma_f32 v180, v3, v11, -v1
	s_clause 0x1
	scratch_load_b128 v[1:4], off, off offset:360
	scratch_load_b128 v[9:12], off, off offset:376
	s_wait_loadcnt_dscnt 0x100
	v_mul_f32_e32 v181, v5, v2
	v_mul_f32_e32 v2, v6, v2
	s_delay_alu instid0(VALU_DEP_1) | instskip(SKIP_1) | instid1(VALU_DEP_1)
	v_fma_f32 v182, v5, v1, -v2
	v_add_f32_e32 v2, 0, v150
	v_add_f32_e32 v2, v2, v151
	s_delay_alu instid0(VALU_DEP_1) | instskip(NEXT) | instid1(VALU_DEP_1)
	v_add_f32_e32 v2, v2, v24
	v_add_f32_e32 v2, v2, v25
	s_delay_alu instid0(VALU_DEP_1) | instskip(NEXT) | instid1(VALU_DEP_1)
	v_add_f32_e32 v2, v2, v26
	v_add_f32_e32 v2, v2, v152
	v_fmac_f32_e32 v181, v6, v1
	s_delay_alu instid0(VALU_DEP_2) | instskip(NEXT) | instid1(VALU_DEP_1)
	v_add_f32_e32 v2, v2, v144
	v_dual_add_f32 v2, v2, v145 :: v_dual_mul_f32 v183, v7, v4
	s_delay_alu instid0(VALU_DEP_1) | instskip(NEXT) | instid1(VALU_DEP_1)
	v_add_f32_e32 v2, v2, v15
	v_dual_fmac_f32 v183, v8, v3 :: v_dual_add_f32 v2, v2, v18
	s_delay_alu instid0(VALU_DEP_1) | instskip(NEXT) | instid1(VALU_DEP_1)
	v_dual_mul_f32 v1, v8, v4 :: v_dual_add_f32 v2, v2, v19
	v_fma_f32 v184, v7, v3, -v1
	s_delay_alu instid0(VALU_DEP_2) | instskip(NEXT) | instid1(VALU_DEP_1)
	v_dual_add_f32 v1, 0, v22 :: v_dual_add_f32 v2, v2, v20
	v_add_f32_e32 v1, v1, v23
	s_delay_alu instid0(VALU_DEP_2) | instskip(NEXT) | instid1(VALU_DEP_2)
	v_add_f32_e32 v5, v2, v153
	v_add_f32_e32 v1, v1, v28
	s_delay_alu instid0(VALU_DEP_2) | instskip(NEXT) | instid1(VALU_DEP_2)
	v_add_f32_e32 v5, v5, v154
	v_add_f32_e32 v1, v1, v29
	scratch_load_b64 v[28:29], off, off offset:440
	v_add_f32_e32 v5, v5, v157
	v_add_f32_e32 v1, v1, v30
	s_delay_alu instid0(VALU_DEP_1) | instskip(NEXT) | instid1(VALU_DEP_1)
	v_add_f32_e32 v1, v1, v31
	v_add_f32_e32 v1, v1, v13
	s_delay_alu instid0(VALU_DEP_1) | instskip(SKIP_1) | instid1(VALU_DEP_1)
	v_add_f32_e32 v1, v1, v14
	v_add_f32_e32 v14, v5, v159
	v_dual_add_f32 v1, v1, v16 :: v_dual_add_f32 v14, v14, v161
	s_delay_alu instid0(VALU_DEP_1) | instskip(NEXT) | instid1(VALU_DEP_1)
	v_dual_add_f32 v1, v1, v17 :: v_dual_add_f32 v14, v14, v163
	v_add_f32_e32 v1, v1, v146
	s_delay_alu instid0(VALU_DEP_2) | instskip(NEXT) | instid1(VALU_DEP_2)
	v_add_f32_e32 v17, v14, v165
	v_add_f32_e32 v1, v1, v147
	s_delay_alu instid0(VALU_DEP_2) | instskip(NEXT) | instid1(VALU_DEP_2)
	v_add_f32_e32 v17, v17, v167
	;; [unrolled: 3-line block ×3, first 2 shown]
	v_add_f32_e32 v6, v1, v156
	ds_load_2addr_b64 v[1:4], v21 offset0:103 offset1:104
	v_dual_add_f32 v17, v17, v171 :: v_dual_add_f32 v6, v6, v158
	s_delay_alu instid0(VALU_DEP_1) | instskip(NEXT) | instid1(VALU_DEP_2)
	v_add_f32_e32 v17, v17, v173
	v_add_f32_e32 v13, v6, v160
	ds_load_2addr_b64 v[5:8], v21 offset0:105 offset1:106
	v_add_f32_e32 v22, v17, v175
	s_delay_alu instid0(VALU_DEP_1)
	v_add_f32_e32 v31, v22, v177
	v_add_f32_e32 v13, v13, v162
	ds_load_2addr_b64 v[22:25], v21 offset0:109 offset1:110
	s_wait_loadcnt_dscnt 0x102
	v_mul_f32_e32 v26, v1, v10
	v_mul_f32_e32 v10, v2, v10
	;; [unrolled: 1-line block ×4, first 2 shown]
	v_add_f32_e32 v150, v31, v179
	v_fmac_f32_e32 v26, v2, v9
	v_fma_f32 v145, v1, v9, -v10
	v_fmac_f32_e32 v144, v4, v11
	v_fma_f32 v146, v3, v11, -v12
	s_clause 0x1
	scratch_load_b128 v[1:4], off, off offset:392
	scratch_load_b128 v[9:12], off, off offset:408
	v_dual_add_f32 v13, v13, v164 :: v_dual_add_f32 v150, v150, v181
	s_delay_alu instid0(VALU_DEP_1) | instskip(NEXT) | instid1(VALU_DEP_1)
	v_dual_add_f32 v13, v13, v166 :: v_dual_add_f32 v150, v150, v183
	v_add_f32_e32 v18, v13, v168
	scratch_load_b128 v[13:16], off, off offset:424
	v_add_f32_e32 v26, v150, v26
	v_add_f32_e32 v18, v18, v170
	s_delay_alu instid0(VALU_DEP_2) | instskip(NEXT) | instid1(VALU_DEP_2)
	v_add_f32_e32 v26, v26, v144
	v_add_f32_e32 v18, v18, v172
	s_delay_alu instid0(VALU_DEP_1) | instskip(NEXT) | instid1(VALU_DEP_1)
	v_add_f32_e32 v18, v18, v174
	v_add_f32_e32 v18, v18, v176
	s_delay_alu instid0(VALU_DEP_1)
	v_add_f32_e32 v30, v18, v178
	ds_load_2addr_b64 v[17:20], v21 offset0:107 offset1:108
	s_wait_loadcnt_dscnt 0x202
	v_mul_f32_e32 v152, v7, v4
	v_add_f32_e32 v147, v30, v180
	ds_load_b64 v[30:31], v21 offset:888
	v_mul_f32_e32 v151, v5, v2
	v_mul_f32_e32 v2, v6, v2
	v_dual_fmac_f32 v152, v8, v3 :: v_dual_add_f32 v147, v147, v182
	v_mul_f32_e32 v4, v8, v4
	s_wait_loadcnt_dscnt 0x101
	v_mul_f32_e32 v150, v19, v12
	v_fma_f32 v2, v5, v1, -v2
	v_add_f32_e32 v147, v147, v184
	s_wait_loadcnt 0x0
	s_delay_alu instid0(VALU_DEP_3)
	v_dual_mul_f32 v153, v22, v14 :: v_dual_fmac_f32 v150, v20, v11
	s_wait_dscnt 0x0
	v_mul_f32_e32 v144, v30, v29
	v_fmac_f32_e32 v151, v6, v1
	v_add_f32_e32 v145, v147, v145
	v_fma_f32 v1, v7, v3, -v4
	s_delay_alu instid0(VALU_DEP_4) | instskip(NEXT) | instid1(VALU_DEP_3)
	v_fmac_f32_e32 v144, v31, v28
	v_dual_add_f32 v4, v26, v151 :: v_dual_add_f32 v145, v145, v146
	v_dual_mul_f32 v147, v17, v10 :: v_dual_mul_f32 v146, v24, v16
	v_mul_f32_e32 v3, v18, v10
	s_delay_alu instid0(VALU_DEP_3) | instskip(NEXT) | instid1(VALU_DEP_3)
	v_add_f32_e32 v2, v145, v2
	v_dual_fmac_f32 v146, v25, v15 :: v_dual_fmac_f32 v153, v23, v13
	s_delay_alu instid0(VALU_DEP_3) | instskip(NEXT) | instid1(VALU_DEP_3)
	v_fma_f32 v3, v17, v9, -v3
	v_dual_add_f32 v1, v2, v1 :: v_dual_add_f32 v2, v4, v152
	v_dual_fmac_f32 v147, v18, v9 :: v_dual_mul_f32 v4, v23, v14
	s_delay_alu instid0(VALU_DEP_1) | instskip(NEXT) | instid1(VALU_DEP_2)
	v_dual_add_f32 v2, v2, v147 :: v_dual_mul_f32 v5, v20, v12
	v_fma_f32 v4, v22, v13, -v4
	s_delay_alu instid0(VALU_DEP_2) | instskip(NEXT) | instid1(VALU_DEP_3)
	v_add_f32_e32 v2, v2, v150
	v_fma_f32 v5, v19, v11, -v5
	s_delay_alu instid0(VALU_DEP_2) | instskip(NEXT) | instid1(VALU_DEP_1)
	v_add_f32_e32 v2, v2, v153
	v_add_f32_e32 v2, v2, v146
	s_delay_alu instid0(VALU_DEP_1) | instskip(NEXT) | instid1(VALU_DEP_1)
	v_add_f32_e32 v2, v2, v144
	v_sub_f32_e32 v2, v149, v2
	v_add_f32_e32 v1, v1, v3
	v_mul_f32_e32 v3, v25, v16
	s_delay_alu instid0(VALU_DEP_2) | instskip(SKIP_1) | instid1(VALU_DEP_3)
	v_add_f32_e32 v1, v1, v5
	v_mul_f32_e32 v5, v31, v29
	v_fma_f32 v3, v24, v15, -v3
	s_delay_alu instid0(VALU_DEP_3) | instskip(NEXT) | instid1(VALU_DEP_3)
	v_add_f32_e32 v1, v1, v4
	v_fma_f32 v4, v30, v28, -v5
	s_delay_alu instid0(VALU_DEP_2) | instskip(NEXT) | instid1(VALU_DEP_1)
	v_add_f32_e32 v1, v1, v3
	v_add_f32_e32 v1, v1, v4
	s_delay_alu instid0(VALU_DEP_1)
	v_sub_f32_e32 v1, v148, v1
	scratch_store_b64 off, v[1:2], off offset:144
	v_cmpx_lt_u32_e32 17, v0
	s_cbranch_execz .LBB119_315
; %bb.314:
	scratch_load_b64 v[1:2], off, off offset:136
	v_mov_b32_e32 v22, v21
	scratch_store_b64 off, v[21:22], off offset:136
	s_wait_loadcnt 0x0
	ds_store_b64 v27, v[1:2]
.LBB119_315:
	s_wait_alu 0xfffe
	s_or_b32 exec_lo, exec_lo, s0
	s_wait_storecnt_dscnt 0x0
	s_barrier_signal -1
	s_barrier_wait -1
	global_inv scope:SCOPE_SE
	s_clause 0x4
	scratch_load_b128 v[5:8], off, off offset:144
	scratch_load_b128 v[1:4], off, off offset:160
	scratch_load_b128 v[9:12], off, off offset:176
	scratch_load_b128 v[13:16], off, off offset:192
	scratch_load_b128 v[17:20], off, off offset:208
	ds_load_b128 v[22:25], v21 offset:592
	ds_load_b128 v[28:31], v21 offset:608
	;; [unrolled: 1-line block ×3, first 2 shown]
	scratch_load_b64 v[148:149], off, off offset:136
	s_mov_b32 s0, exec_lo
	s_wait_loadcnt_dscnt 0x502
	v_dual_mul_f32 v26, v23, v6 :: v_dual_mul_f32 v151, v24, v8
	v_mul_f32_e32 v150, v22, v6
	v_mul_f32_e32 v6, v25, v8
	s_wait_loadcnt_dscnt 0x300
	v_mul_f32_e32 v152, v146, v12
	v_fma_f32 v22, v22, v5, -v26
	v_dual_fmac_f32 v151, v25, v7 :: v_dual_fmac_f32 v150, v23, v5
	v_mul_f32_e32 v25, v30, v4
	v_mul_f32_e32 v4, v31, v4
	;; [unrolled: 1-line block ×5, first 2 shown]
	v_fmac_f32_e32 v25, v31, v3
	v_fma_f32 v23, v24, v7, -v6
	ds_load_b128 v[5:8], v21 offset:640
	v_mul_f32_e32 v24, v28, v2
	v_mul_f32_e32 v2, v29, v2
	v_fmac_f32_e32 v26, v145, v9
	v_fmac_f32_e32 v152, v147, v11
	v_fma_f32 v31, v146, v11, -v12
	v_fmac_f32_e32 v24, v29, v1
	v_fma_f32 v29, v30, v3, -v4
	v_fma_f32 v30, v144, v9, -v10
	ds_load_b128 v[9:12], v21 offset:656
	s_wait_loadcnt_dscnt 0x201
	v_dual_mul_f32 v145, v7, v16 :: v_dual_mul_f32 v144, v5, v14
	v_mul_f32_e32 v14, v6, v14
	v_mul_f32_e32 v16, v8, v16
	s_delay_alu instid0(VALU_DEP_3)
	v_fmac_f32_e32 v145, v8, v15
	v_fma_f32 v28, v28, v1, -v2
	scratch_load_b128 v[1:4], off, off offset:224
	v_fmac_f32_e32 v144, v6, v13
	v_fma_f32 v13, v5, v13, -v14
	v_fma_f32 v14, v7, v15, -v16
	s_wait_loadcnt_dscnt 0x200
	v_mul_f32_e32 v15, v9, v18
	v_mul_f32_e32 v16, v10, v18
	;; [unrolled: 1-line block ×4, first 2 shown]
	ds_load_b128 v[5:8], v21 offset:672
	v_fmac_f32_e32 v15, v10, v17
	v_fma_f32 v16, v9, v17, -v16
	v_fmac_f32_e32 v18, v12, v19
	v_fma_f32 v17, v11, v19, -v20
	scratch_load_b128 v[9:12], off, off offset:240
	s_wait_loadcnt_dscnt 0x100
	v_mul_f32_e32 v19, v5, v2
	v_mul_f32_e32 v2, v6, v2
	;; [unrolled: 1-line block ×3, first 2 shown]
	s_delay_alu instid0(VALU_DEP_3) | instskip(NEXT) | instid1(VALU_DEP_3)
	v_dual_mul_f32 v4, v8, v4 :: v_dual_fmac_f32 v19, v6, v1
	v_fma_f32 v146, v5, v1, -v2
	s_delay_alu instid0(VALU_DEP_3) | instskip(NEXT) | instid1(VALU_DEP_3)
	v_fmac_f32_e32 v20, v8, v3
	v_fma_f32 v147, v7, v3, -v4
	ds_load_b128 v[1:4], v21 offset:688
	ds_load_b128 v[5:8], v21 offset:704
	s_wait_loadcnt_dscnt 0x1
	v_mul_f32_e32 v153, v1, v10
	v_mul_f32_e32 v10, v2, v10
	s_delay_alu instid0(VALU_DEP_2) | instskip(NEXT) | instid1(VALU_DEP_2)
	v_dual_mul_f32 v154, v3, v12 :: v_dual_fmac_f32 v153, v2, v9
	v_fma_f32 v155, v1, v9, -v10
	v_mul_f32_e32 v1, v4, v12
	s_delay_alu instid0(VALU_DEP_3) | instskip(NEXT) | instid1(VALU_DEP_2)
	v_fmac_f32_e32 v154, v4, v11
	v_fma_f32 v156, v3, v11, -v1
	s_clause 0x1
	scratch_load_b128 v[1:4], off, off offset:256
	scratch_load_b128 v[9:12], off, off offset:272
	s_wait_loadcnt_dscnt 0x100
	v_mul_f32_e32 v157, v5, v2
	v_dual_mul_f32 v2, v6, v2 :: v_dual_mul_f32 v159, v7, v4
	s_delay_alu instid0(VALU_DEP_2) | instskip(NEXT) | instid1(VALU_DEP_2)
	v_fmac_f32_e32 v157, v6, v1
	v_fma_f32 v158, v5, v1, -v2
	v_mul_f32_e32 v1, v8, v4
	s_delay_alu instid0(VALU_DEP_4) | instskip(NEXT) | instid1(VALU_DEP_2)
	v_fmac_f32_e32 v159, v8, v3
	v_fma_f32 v160, v7, v3, -v1
	ds_load_b128 v[1:4], v21 offset:720
	ds_load_b128 v[5:8], v21 offset:736
	s_wait_loadcnt_dscnt 0x1
	v_mul_f32_e32 v161, v1, v10
	v_mul_f32_e32 v163, v3, v12
	s_delay_alu instid0(VALU_DEP_2) | instskip(NEXT) | instid1(VALU_DEP_2)
	v_fmac_f32_e32 v161, v2, v9
	v_dual_mul_f32 v2, v2, v10 :: v_dual_fmac_f32 v163, v4, v11
	s_delay_alu instid0(VALU_DEP_1) | instskip(SKIP_1) | instid1(VALU_DEP_1)
	v_fma_f32 v162, v1, v9, -v2
	v_mul_f32_e32 v1, v4, v12
	v_fma_f32 v164, v3, v11, -v1
	s_clause 0x1
	scratch_load_b128 v[1:4], off, off offset:288
	scratch_load_b128 v[9:12], off, off offset:304
	s_wait_loadcnt_dscnt 0x100
	v_mul_f32_e32 v165, v5, v2
	v_dual_mul_f32 v2, v6, v2 :: v_dual_mul_f32 v167, v7, v4
	s_delay_alu instid0(VALU_DEP_2) | instskip(NEXT) | instid1(VALU_DEP_2)
	v_fmac_f32_e32 v165, v6, v1
	v_fma_f32 v166, v5, v1, -v2
	v_mul_f32_e32 v1, v8, v4
	s_delay_alu instid0(VALU_DEP_4) | instskip(NEXT) | instid1(VALU_DEP_2)
	v_fmac_f32_e32 v167, v8, v3
	v_fma_f32 v168, v7, v3, -v1
	ds_load_b128 v[1:4], v21 offset:752
	ds_load_b128 v[5:8], v21 offset:768
	s_wait_loadcnt_dscnt 0x1
	v_mul_f32_e32 v169, v1, v10
	v_mul_f32_e32 v171, v3, v12
	s_delay_alu instid0(VALU_DEP_2) | instskip(NEXT) | instid1(VALU_DEP_2)
	v_fmac_f32_e32 v169, v2, v9
	v_dual_mul_f32 v2, v2, v10 :: v_dual_fmac_f32 v171, v4, v11
	s_delay_alu instid0(VALU_DEP_1) | instskip(SKIP_1) | instid1(VALU_DEP_1)
	v_fma_f32 v170, v1, v9, -v2
	v_mul_f32_e32 v1, v4, v12
	;; [unrolled: 25-line block ×3, first 2 shown]
	v_fma_f32 v180, v3, v11, -v1
	s_clause 0x1
	scratch_load_b128 v[1:4], off, off offset:352
	scratch_load_b128 v[9:12], off, off offset:368
	s_wait_loadcnt_dscnt 0x100
	v_mul_f32_e32 v181, v5, v2
	v_mul_f32_e32 v2, v6, v2
	s_delay_alu instid0(VALU_DEP_1) | instskip(SKIP_1) | instid1(VALU_DEP_1)
	v_fma_f32 v182, v5, v1, -v2
	v_add_f32_e32 v2, 0, v150
	v_add_f32_e32 v2, v2, v151
	s_delay_alu instid0(VALU_DEP_1) | instskip(NEXT) | instid1(VALU_DEP_1)
	v_add_f32_e32 v2, v2, v24
	v_add_f32_e32 v2, v2, v25
	s_delay_alu instid0(VALU_DEP_1) | instskip(NEXT) | instid1(VALU_DEP_1)
	v_add_f32_e32 v2, v2, v26
	v_add_f32_e32 v2, v2, v152
	v_fmac_f32_e32 v181, v6, v1
	s_delay_alu instid0(VALU_DEP_2) | instskip(NEXT) | instid1(VALU_DEP_1)
	v_add_f32_e32 v2, v2, v144
	v_dual_add_f32 v2, v2, v145 :: v_dual_mul_f32 v183, v7, v4
	s_delay_alu instid0(VALU_DEP_1) | instskip(NEXT) | instid1(VALU_DEP_1)
	v_add_f32_e32 v2, v2, v15
	v_dual_fmac_f32 v183, v8, v3 :: v_dual_add_f32 v2, v2, v18
	s_delay_alu instid0(VALU_DEP_1) | instskip(NEXT) | instid1(VALU_DEP_1)
	v_dual_mul_f32 v1, v8, v4 :: v_dual_add_f32 v2, v2, v19
	v_fma_f32 v184, v7, v3, -v1
	s_delay_alu instid0(VALU_DEP_2) | instskip(NEXT) | instid1(VALU_DEP_1)
	v_dual_add_f32 v1, 0, v22 :: v_dual_add_f32 v2, v2, v20
	v_dual_add_f32 v1, v1, v23 :: v_dual_add_f32 v2, v2, v153
	s_delay_alu instid0(VALU_DEP_1) | instskip(NEXT) | instid1(VALU_DEP_2)
	v_add_f32_e32 v1, v1, v28
	v_add_f32_e32 v5, v2, v154
	s_delay_alu instid0(VALU_DEP_2) | instskip(NEXT) | instid1(VALU_DEP_1)
	v_add_f32_e32 v1, v1, v29
	v_add_f32_e32 v1, v1, v30
	s_delay_alu instid0(VALU_DEP_1) | instskip(NEXT) | instid1(VALU_DEP_1)
	v_add_f32_e32 v1, v1, v31
	v_add_f32_e32 v1, v1, v13
	;; [unrolled: 1-line block ×3, first 2 shown]
	s_delay_alu instid0(VALU_DEP_2) | instskip(NEXT) | instid1(VALU_DEP_2)
	v_add_f32_e32 v1, v1, v14
	v_add_f32_e32 v13, v13, v159
	s_delay_alu instid0(VALU_DEP_2) | instskip(NEXT) | instid1(VALU_DEP_2)
	v_add_f32_e32 v1, v1, v16
	v_add_f32_e32 v13, v13, v161
	;; [unrolled: 3-line block ×3, first 2 shown]
	s_delay_alu instid0(VALU_DEP_1) | instskip(NEXT) | instid1(VALU_DEP_1)
	v_dual_add_f32 v18, v18, v165 :: v_dual_add_f32 v1, v1, v146
	v_add_f32_e32 v18, v18, v167
	s_delay_alu instid0(VALU_DEP_1) | instskip(NEXT) | instid1(VALU_DEP_1)
	v_dual_add_f32 v1, v1, v147 :: v_dual_add_f32 v22, v18, v169
	v_add_f32_e32 v1, v1, v155
	;; [unrolled: 3-line block ×3, first 2 shown]
	s_delay_alu instid0(VALU_DEP_2) | instskip(SKIP_4) | instid1(VALU_DEP_1)
	v_add_f32_e32 v6, v1, v158
	ds_load_b128 v[1:4], v21 offset:816
	v_add_f32_e32 v14, v6, v160
	scratch_load_b128 v[5:8], off, off offset:384
	v_add_f32_e32 v14, v14, v162
	v_add_f32_e32 v17, v14, v164
	ds_load_b128 v[13:16], v21 offset:832
	s_wait_loadcnt_dscnt 0x101
	v_mul_f32_e32 v25, v1, v10
	v_mul_f32_e32 v10, v2, v10
	;; [unrolled: 1-line block ×3, first 2 shown]
	s_delay_alu instid0(VALU_DEP_3) | instskip(NEXT) | instid1(VALU_DEP_3)
	v_dual_mul_f32 v12, v4, v12 :: v_dual_fmac_f32 v25, v2, v9
	v_fma_f32 v28, v1, v9, -v10
	s_delay_alu instid0(VALU_DEP_3) | instskip(NEXT) | instid1(VALU_DEP_3)
	v_fmac_f32_e32 v26, v4, v11
	v_fma_f32 v29, v3, v11, -v12
	s_clause 0x1
	scratch_load_b128 v[1:4], off, off offset:400
	scratch_load_b128 v[9:12], off, off offset:416
	s_wait_loadcnt_dscnt 0x200
	v_mul_f32_e32 v30, v13, v6
	v_add_f32_e32 v17, v17, v166
	v_mul_f32_e32 v6, v14, v6
	s_delay_alu instid0(VALU_DEP_2) | instskip(NEXT) | instid1(VALU_DEP_2)
	v_dual_fmac_f32 v30, v14, v5 :: v_dual_add_f32 v17, v17, v168
	v_fma_f32 v144, v13, v5, -v6
	s_delay_alu instid0(VALU_DEP_2) | instskip(NEXT) | instid1(VALU_DEP_1)
	v_add_f32_e32 v17, v17, v170
	v_add_f32_e32 v23, v17, v172
	scratch_load_b128 v[17:20], off, off offset:432
	v_mul_f32_e32 v31, v15, v8
	v_mul_f32_e32 v8, v16, v8
	s_delay_alu instid0(VALU_DEP_2) | instskip(NEXT) | instid1(VALU_DEP_2)
	v_fmac_f32_e32 v31, v16, v7
	v_fma_f32 v145, v15, v7, -v8
	ds_load_b128 v[5:8], v21 offset:848
	v_add_f32_e32 v23, v23, v174
	v_add_f32_e32 v13, v22, v175
	s_delay_alu instid0(VALU_DEP_2) | instskip(NEXT) | instid1(VALU_DEP_1)
	v_add_f32_e32 v23, v23, v176
	v_add_f32_e32 v22, v23, v178
	s_delay_alu instid0(VALU_DEP_1) | instskip(NEXT) | instid1(VALU_DEP_1)
	v_add_f32_e32 v146, v22, v180
	v_add_f32_e32 v146, v146, v182
	s_delay_alu instid0(VALU_DEP_1) | instskip(NEXT) | instid1(VALU_DEP_1)
	v_add_f32_e32 v146, v146, v184
	v_add_f32_e32 v28, v146, v28
	s_delay_alu instid0(VALU_DEP_1)
	v_add_f32_e32 v28, v28, v29
	v_add_f32_e32 v23, v13, v177
	ds_load_b128 v[13:16], v21 offset:864
	s_wait_loadcnt_dscnt 0x201
	v_mul_f32_e32 v150, v5, v2
	v_mul_f32_e32 v146, v7, v4
	v_dual_add_f32 v28, v28, v144 :: v_dual_add_f32 v147, v23, v179
	v_mul_f32_e32 v2, v6, v2
	s_delay_alu instid0(VALU_DEP_4) | instskip(NEXT) | instid1(VALU_DEP_4)
	v_fmac_f32_e32 v150, v6, v1
	v_fmac_f32_e32 v146, v8, v3
	ds_load_b128 v[21:24], v21 offset:880
	v_mul_f32_e32 v4, v8, v4
	v_fma_f32 v2, v5, v1, -v2
	v_add_f32_e32 v1, v28, v145
	s_delay_alu instid0(VALU_DEP_3) | instskip(NEXT) | instid1(VALU_DEP_2)
	v_fma_f32 v3, v7, v3, -v4
	v_add_f32_e32 v1, v1, v2
	s_wait_loadcnt_dscnt 0x101
	v_dual_mul_f32 v6, v14, v10 :: v_dual_add_f32 v147, v147, v181
	s_delay_alu instid0(VALU_DEP_2) | instskip(NEXT) | instid1(VALU_DEP_2)
	v_dual_mul_f32 v4, v16, v12 :: v_dual_add_f32 v1, v1, v3
	v_add_f32_e32 v147, v147, v183
	s_delay_alu instid0(VALU_DEP_2) | instskip(NEXT) | instid1(VALU_DEP_2)
	v_fma_f32 v4, v15, v11, -v4
	v_add_f32_e32 v25, v147, v25
	s_delay_alu instid0(VALU_DEP_1) | instskip(NEXT) | instid1(VALU_DEP_1)
	v_add_f32_e32 v25, v25, v26
	v_add_f32_e32 v25, v25, v30
	s_delay_alu instid0(VALU_DEP_1) | instskip(NEXT) | instid1(VALU_DEP_1)
	v_add_f32_e32 v5, v25, v31
	v_dual_add_f32 v2, v5, v150 :: v_dual_mul_f32 v151, v15, v12
	v_fma_f32 v5, v13, v9, -v6
	s_delay_alu instid0(VALU_DEP_2) | instskip(NEXT) | instid1(VALU_DEP_2)
	v_dual_add_f32 v2, v2, v146 :: v_dual_fmac_f32 v151, v16, v11
	v_add_f32_e32 v1, v1, v5
	s_delay_alu instid0(VALU_DEP_1) | instskip(SKIP_4) | instid1(VALU_DEP_3)
	v_add_f32_e32 v1, v1, v4
	s_wait_loadcnt_dscnt 0x0
	v_mul_f32_e32 v26, v21, v18
	v_mul_f32_e32 v147, v13, v10
	;; [unrolled: 1-line block ×3, first 2 shown]
	v_dual_mul_f32 v5, v24, v20 :: v_dual_fmac_f32 v26, v22, v17
	s_delay_alu instid0(VALU_DEP_3) | instskip(NEXT) | instid1(VALU_DEP_3)
	v_fmac_f32_e32 v147, v14, v9
	v_fma_f32 v3, v21, v17, -v3
	s_delay_alu instid0(VALU_DEP_3) | instskip(NEXT) | instid1(VALU_DEP_3)
	v_fma_f32 v4, v23, v19, -v5
	v_add_f32_e32 v2, v2, v147
	s_delay_alu instid0(VALU_DEP_3) | instskip(NEXT) | instid1(VALU_DEP_2)
	v_add_f32_e32 v1, v1, v3
	v_dual_add_f32 v2, v2, v151 :: v_dual_mul_f32 v29, v23, v20
	s_delay_alu instid0(VALU_DEP_1) | instskip(NEXT) | instid1(VALU_DEP_2)
	v_dual_add_f32 v1, v1, v4 :: v_dual_add_f32 v2, v2, v26
	v_fmac_f32_e32 v29, v24, v19
	s_delay_alu instid0(VALU_DEP_2) | instskip(NEXT) | instid1(VALU_DEP_2)
	v_sub_f32_e32 v1, v148, v1
	v_add_f32_e32 v2, v2, v29
	s_delay_alu instid0(VALU_DEP_1)
	v_sub_f32_e32 v2, v149, v2
	scratch_store_b64 off, v[1:2], off offset:136
	v_cmpx_lt_u32_e32 16, v0
	s_cbranch_execz .LBB119_317
; %bb.316:
	scratch_load_b64 v[1:2], off, off offset:128
	v_mov_b32_e32 v3, 0
	s_delay_alu instid0(VALU_DEP_1)
	v_mov_b32_e32 v4, v3
	scratch_store_b64 off, v[3:4], off offset:128
	s_wait_loadcnt 0x0
	ds_store_b64 v27, v[1:2]
.LBB119_317:
	s_wait_alu 0xfffe
	s_or_b32 exec_lo, exec_lo, s0
	s_wait_storecnt_dscnt 0x0
	s_barrier_signal -1
	s_barrier_wait -1
	global_inv scope:SCOPE_SE
	s_clause 0x4
	scratch_load_b128 v[5:8], off, off offset:136
	scratch_load_b128 v[1:4], off, off offset:152
	scratch_load_b128 v[9:12], off, off offset:168
	scratch_load_b128 v[13:16], off, off offset:184
	scratch_load_b128 v[17:20], off, off offset:200
	v_mov_b32_e32 v21, 0
	ds_load_2addr_b64 v[22:25], v21 offset0:73 offset1:74
	ds_load_2addr_b64 v[28:31], v21 offset0:75 offset1:76
	;; [unrolled: 1-line block ×3, first 2 shown]
	scratch_load_b64 v[148:149], off, off offset:128
	s_mov_b32 s0, exec_lo
	s_wait_loadcnt_dscnt 0x502
	v_dual_mul_f32 v150, v22, v6 :: v_dual_mul_f32 v151, v24, v8
	v_mul_f32_e32 v26, v23, v6
	v_mul_f32_e32 v6, v25, v8
	s_wait_loadcnt_dscnt 0x300
	v_mul_f32_e32 v152, v146, v12
	v_dual_fmac_f32 v150, v23, v5 :: v_dual_fmac_f32 v151, v25, v7
	v_mul_f32_e32 v25, v30, v4
	v_fma_f32 v22, v22, v5, -v26
	v_mul_f32_e32 v26, v144, v10
	v_mul_f32_e32 v4, v31, v4
	s_delay_alu instid0(VALU_DEP_4)
	v_dual_mul_f32 v10, v145, v10 :: v_dual_fmac_f32 v25, v31, v3
	v_fma_f32 v23, v24, v7, -v6
	ds_load_2addr_b64 v[5:8], v21 offset0:79 offset1:80
	v_mul_f32_e32 v24, v28, v2
	v_mul_f32_e32 v12, v147, v12
	;; [unrolled: 1-line block ×3, first 2 shown]
	v_fmac_f32_e32 v26, v145, v9
	v_fmac_f32_e32 v152, v147, v11
	v_fmac_f32_e32 v24, v29, v1
	v_fma_f32 v29, v30, v3, -v4
	v_fma_f32 v30, v144, v9, -v10
	;; [unrolled: 1-line block ×3, first 2 shown]
	ds_load_2addr_b64 v[9:12], v21 offset0:81 offset1:82
	s_wait_loadcnt_dscnt 0x201
	v_dual_mul_f32 v145, v7, v16 :: v_dual_mul_f32 v144, v5, v14
	v_mul_f32_e32 v14, v6, v14
	v_mul_f32_e32 v16, v8, v16
	s_delay_alu instid0(VALU_DEP_3)
	v_fmac_f32_e32 v145, v8, v15
	v_fma_f32 v28, v28, v1, -v2
	scratch_load_b128 v[1:4], off, off offset:216
	v_fmac_f32_e32 v144, v6, v13
	v_fma_f32 v13, v5, v13, -v14
	v_fma_f32 v14, v7, v15, -v16
	s_wait_loadcnt_dscnt 0x200
	v_mul_f32_e32 v15, v9, v18
	v_mul_f32_e32 v16, v10, v18
	;; [unrolled: 1-line block ×4, first 2 shown]
	ds_load_2addr_b64 v[5:8], v21 offset0:83 offset1:84
	v_fmac_f32_e32 v15, v10, v17
	v_fma_f32 v16, v9, v17, -v16
	v_fmac_f32_e32 v18, v12, v19
	v_fma_f32 v17, v11, v19, -v20
	scratch_load_b128 v[9:12], off, off offset:232
	s_wait_loadcnt_dscnt 0x100
	v_mul_f32_e32 v19, v5, v2
	v_mul_f32_e32 v2, v6, v2
	;; [unrolled: 1-line block ×3, first 2 shown]
	s_delay_alu instid0(VALU_DEP_3) | instskip(NEXT) | instid1(VALU_DEP_3)
	v_dual_mul_f32 v4, v8, v4 :: v_dual_fmac_f32 v19, v6, v1
	v_fma_f32 v146, v5, v1, -v2
	s_delay_alu instid0(VALU_DEP_3) | instskip(NEXT) | instid1(VALU_DEP_3)
	v_fmac_f32_e32 v20, v8, v3
	v_fma_f32 v147, v7, v3, -v4
	ds_load_2addr_b64 v[1:4], v21 offset0:85 offset1:86
	ds_load_2addr_b64 v[5:8], v21 offset0:87 offset1:88
	s_wait_loadcnt_dscnt 0x1
	v_mul_f32_e32 v153, v1, v10
	v_mul_f32_e32 v10, v2, v10
	s_delay_alu instid0(VALU_DEP_2) | instskip(NEXT) | instid1(VALU_DEP_2)
	v_dual_mul_f32 v154, v3, v12 :: v_dual_fmac_f32 v153, v2, v9
	v_fma_f32 v155, v1, v9, -v10
	v_mul_f32_e32 v1, v4, v12
	s_delay_alu instid0(VALU_DEP_3) | instskip(NEXT) | instid1(VALU_DEP_2)
	v_fmac_f32_e32 v154, v4, v11
	v_fma_f32 v156, v3, v11, -v1
	s_clause 0x1
	scratch_load_b128 v[1:4], off, off offset:248
	scratch_load_b128 v[9:12], off, off offset:264
	s_wait_loadcnt_dscnt 0x100
	v_mul_f32_e32 v157, v5, v2
	v_dual_mul_f32 v2, v6, v2 :: v_dual_mul_f32 v159, v7, v4
	s_delay_alu instid0(VALU_DEP_2) | instskip(NEXT) | instid1(VALU_DEP_2)
	v_fmac_f32_e32 v157, v6, v1
	v_fma_f32 v158, v5, v1, -v2
	v_mul_f32_e32 v1, v8, v4
	s_delay_alu instid0(VALU_DEP_4) | instskip(NEXT) | instid1(VALU_DEP_2)
	v_fmac_f32_e32 v159, v8, v3
	v_fma_f32 v160, v7, v3, -v1
	ds_load_2addr_b64 v[1:4], v21 offset0:89 offset1:90
	ds_load_2addr_b64 v[5:8], v21 offset0:91 offset1:92
	s_wait_loadcnt_dscnt 0x1
	v_mul_f32_e32 v161, v1, v10
	v_mul_f32_e32 v163, v3, v12
	s_delay_alu instid0(VALU_DEP_2) | instskip(NEXT) | instid1(VALU_DEP_2)
	v_fmac_f32_e32 v161, v2, v9
	v_dual_mul_f32 v2, v2, v10 :: v_dual_fmac_f32 v163, v4, v11
	s_delay_alu instid0(VALU_DEP_1) | instskip(SKIP_1) | instid1(VALU_DEP_1)
	v_fma_f32 v162, v1, v9, -v2
	v_mul_f32_e32 v1, v4, v12
	v_fma_f32 v164, v3, v11, -v1
	s_clause 0x1
	scratch_load_b128 v[1:4], off, off offset:280
	scratch_load_b128 v[9:12], off, off offset:296
	s_wait_loadcnt_dscnt 0x100
	v_mul_f32_e32 v165, v5, v2
	v_dual_mul_f32 v2, v6, v2 :: v_dual_mul_f32 v167, v7, v4
	s_delay_alu instid0(VALU_DEP_2) | instskip(NEXT) | instid1(VALU_DEP_2)
	v_fmac_f32_e32 v165, v6, v1
	v_fma_f32 v166, v5, v1, -v2
	v_mul_f32_e32 v1, v8, v4
	s_delay_alu instid0(VALU_DEP_4) | instskip(NEXT) | instid1(VALU_DEP_2)
	v_fmac_f32_e32 v167, v8, v3
	v_fma_f32 v168, v7, v3, -v1
	ds_load_2addr_b64 v[1:4], v21 offset0:93 offset1:94
	ds_load_2addr_b64 v[5:8], v21 offset0:95 offset1:96
	s_wait_loadcnt_dscnt 0x1
	v_mul_f32_e32 v169, v1, v10
	v_mul_f32_e32 v171, v3, v12
	s_delay_alu instid0(VALU_DEP_2) | instskip(NEXT) | instid1(VALU_DEP_2)
	v_fmac_f32_e32 v169, v2, v9
	v_dual_mul_f32 v2, v2, v10 :: v_dual_fmac_f32 v171, v4, v11
	s_delay_alu instid0(VALU_DEP_1) | instskip(SKIP_1) | instid1(VALU_DEP_1)
	v_fma_f32 v170, v1, v9, -v2
	v_mul_f32_e32 v1, v4, v12
	;; [unrolled: 25-line block ×3, first 2 shown]
	v_fma_f32 v180, v3, v11, -v1
	s_clause 0x1
	scratch_load_b128 v[1:4], off, off offset:344
	scratch_load_b128 v[9:12], off, off offset:360
	s_wait_loadcnt_dscnt 0x100
	v_mul_f32_e32 v181, v5, v2
	v_mul_f32_e32 v2, v6, v2
	s_delay_alu instid0(VALU_DEP_1) | instskip(SKIP_1) | instid1(VALU_DEP_1)
	v_fma_f32 v182, v5, v1, -v2
	v_add_f32_e32 v2, 0, v150
	v_add_f32_e32 v2, v2, v151
	s_delay_alu instid0(VALU_DEP_1) | instskip(NEXT) | instid1(VALU_DEP_1)
	v_add_f32_e32 v2, v2, v24
	v_add_f32_e32 v2, v2, v25
	s_delay_alu instid0(VALU_DEP_1) | instskip(NEXT) | instid1(VALU_DEP_1)
	v_add_f32_e32 v2, v2, v26
	v_add_f32_e32 v2, v2, v152
	v_fmac_f32_e32 v181, v6, v1
	s_delay_alu instid0(VALU_DEP_2) | instskip(NEXT) | instid1(VALU_DEP_1)
	v_add_f32_e32 v2, v2, v144
	v_dual_add_f32 v2, v2, v145 :: v_dual_mul_f32 v183, v7, v4
	s_delay_alu instid0(VALU_DEP_1) | instskip(NEXT) | instid1(VALU_DEP_1)
	v_add_f32_e32 v2, v2, v15
	v_dual_fmac_f32 v183, v8, v3 :: v_dual_add_f32 v2, v2, v18
	s_delay_alu instid0(VALU_DEP_1) | instskip(NEXT) | instid1(VALU_DEP_1)
	v_dual_mul_f32 v1, v8, v4 :: v_dual_add_f32 v2, v2, v19
	v_fma_f32 v184, v7, v3, -v1
	s_delay_alu instid0(VALU_DEP_2) | instskip(NEXT) | instid1(VALU_DEP_1)
	v_dual_add_f32 v1, 0, v22 :: v_dual_add_f32 v2, v2, v20
	v_dual_add_f32 v1, v1, v23 :: v_dual_add_f32 v2, v2, v153
	s_delay_alu instid0(VALU_DEP_1) | instskip(NEXT) | instid1(VALU_DEP_2)
	v_add_f32_e32 v1, v1, v28
	v_add_f32_e32 v5, v2, v154
	s_delay_alu instid0(VALU_DEP_2) | instskip(SKIP_2) | instid1(VALU_DEP_1)
	v_add_f32_e32 v1, v1, v29
	scratch_load_b64 v[28:29], off, off offset:440
	v_add_f32_e32 v1, v1, v30
	v_add_f32_e32 v1, v1, v31
	s_delay_alu instid0(VALU_DEP_1) | instskip(SKIP_1) | instid1(VALU_DEP_2)
	v_add_f32_e32 v1, v1, v13
	v_add_f32_e32 v13, v5, v157
	;; [unrolled: 1-line block ×3, first 2 shown]
	s_delay_alu instid0(VALU_DEP_2) | instskip(NEXT) | instid1(VALU_DEP_2)
	v_add_f32_e32 v13, v13, v159
	v_add_f32_e32 v1, v1, v16
	s_delay_alu instid0(VALU_DEP_2) | instskip(NEXT) | instid1(VALU_DEP_2)
	v_add_f32_e32 v13, v13, v161
	v_add_f32_e32 v1, v1, v17
	s_delay_alu instid0(VALU_DEP_2) | instskip(NEXT) | instid1(VALU_DEP_1)
	v_add_f32_e32 v18, v13, v163
	v_dual_add_f32 v1, v1, v146 :: v_dual_add_f32 v18, v18, v165
	s_delay_alu instid0(VALU_DEP_1) | instskip(NEXT) | instid1(VALU_DEP_1)
	v_add_f32_e32 v18, v18, v167
	v_dual_add_f32 v1, v1, v147 :: v_dual_add_f32 v22, v18, v169
	s_delay_alu instid0(VALU_DEP_1) | instskip(NEXT) | instid1(VALU_DEP_2)
	v_add_f32_e32 v22, v22, v171
	v_add_f32_e32 v1, v1, v155
	s_delay_alu instid0(VALU_DEP_1) | instskip(NEXT) | instid1(VALU_DEP_1)
	v_add_f32_e32 v1, v1, v156
	v_add_f32_e32 v6, v1, v158
	scratch_load_b128 v[1:4], off, off offset:376
	v_add_f32_e32 v22, v22, v173
	v_add_f32_e32 v14, v6, v160
	ds_load_2addr_b64 v[5:8], v21 offset0:101 offset1:102
	v_add_f32_e32 v22, v22, v175
	v_add_f32_e32 v14, v14, v162
	s_delay_alu instid0(VALU_DEP_1)
	v_add_f32_e32 v17, v14, v164
	ds_load_2addr_b64 v[13:16], v21 offset0:103 offset1:104
	s_wait_loadcnt_dscnt 0x201
	v_mul_f32_e32 v26, v5, v10
	v_mul_f32_e32 v10, v6, v10
	;; [unrolled: 1-line block ×4, first 2 shown]
	s_delay_alu instid0(VALU_DEP_4) | instskip(NEXT) | instid1(VALU_DEP_4)
	v_fmac_f32_e32 v26, v6, v9
	v_fma_f32 v145, v5, v9, -v10
	s_delay_alu instid0(VALU_DEP_4) | instskip(NEXT) | instid1(VALU_DEP_4)
	v_fmac_f32_e32 v144, v8, v11
	v_fma_f32 v146, v7, v11, -v12
	s_clause 0x1
	scratch_load_b128 v[5:8], off, off offset:392
	scratch_load_b128 v[9:12], off, off offset:408
	s_wait_loadcnt_dscnt 0x200
	v_dual_mul_f32 v150, v15, v4 :: v_dual_mul_f32 v147, v13, v2
	v_mul_f32_e32 v2, v14, v2
	v_mul_f32_e32 v4, v16, v4
	s_delay_alu instid0(VALU_DEP_3) | instskip(NEXT) | instid1(VALU_DEP_3)
	v_dual_fmac_f32 v150, v16, v3 :: v_dual_add_f32 v17, v17, v166
	v_fma_f32 v151, v13, v1, -v2
	v_add_f32_e32 v13, v22, v177
	v_fmac_f32_e32 v147, v14, v1
	v_fma_f32 v152, v15, v3, -v4
	v_add_f32_e32 v17, v17, v168
	ds_load_2addr_b64 v[1:4], v21 offset0:105 offset1:106
	v_add_f32_e32 v22, v13, v179
	v_add_f32_e32 v17, v17, v170
	s_delay_alu instid0(VALU_DEP_2) | instskip(NEXT) | instid1(VALU_DEP_2)
	v_add_f32_e32 v31, v22, v181
	v_add_f32_e32 v23, v17, v172
	scratch_load_b128 v[17:20], off, off offset:424
	v_add_f32_e32 v154, v31, v183
	s_delay_alu instid0(VALU_DEP_1) | instskip(NEXT) | instid1(VALU_DEP_1)
	v_add_f32_e32 v26, v154, v26
	v_dual_add_f32 v23, v23, v174 :: v_dual_add_f32 v26, v26, v144
	s_delay_alu instid0(VALU_DEP_1) | instskip(NEXT) | instid1(VALU_DEP_1)
	v_dual_add_f32 v23, v23, v176 :: v_dual_add_f32 v26, v26, v147
	v_add_f32_e32 v23, v23, v178
	s_delay_alu instid0(VALU_DEP_2) | instskip(NEXT) | instid1(VALU_DEP_2)
	v_add_f32_e32 v26, v26, v150
	v_add_f32_e32 v14, v23, v180
	ds_load_2addr_b64 v[22:25], v21 offset0:109 offset1:110
	v_add_f32_e32 v30, v14, v182
	ds_load_2addr_b64 v[13:16], v21 offset0:107 offset1:108
	s_wait_loadcnt_dscnt 0x202
	v_mul_f32_e32 v144, v3, v8
	v_mul_f32_e32 v8, v4, v8
	v_add_f32_e32 v153, v30, v184
	ds_load_b64 v[30:31], v21 offset:888
	v_dual_fmac_f32 v144, v4, v7 :: v_dual_add_f32 v145, v153, v145
	v_mul_f32_e32 v153, v1, v6
	v_mul_f32_e32 v6, v2, v6
	s_delay_alu instid0(VALU_DEP_1)
	v_fma_f32 v1, v1, v5, -v6
	s_wait_loadcnt_dscnt 0x100
	v_dual_mul_f32 v147, v15, v12 :: v_dual_mul_f32 v150, v30, v29
	v_fmac_f32_e32 v153, v2, v5
	v_add_f32_e32 v145, v145, v146
	v_mul_f32_e32 v146, v13, v10
	v_fma_f32 v2, v3, v7, -v8
	v_dual_fmac_f32 v147, v16, v11 :: v_dual_fmac_f32 v150, v31, v28
	s_delay_alu instid0(VALU_DEP_4) | instskip(NEXT) | instid1(VALU_DEP_1)
	v_dual_add_f32 v4, v26, v153 :: v_dual_add_f32 v145, v145, v151
	v_dual_fmac_f32 v146, v14, v9 :: v_dual_add_f32 v145, v145, v152
	s_delay_alu instid0(VALU_DEP_1) | instskip(NEXT) | instid1(VALU_DEP_1)
	v_add_f32_e32 v1, v145, v1
	v_dual_add_f32 v1, v1, v2 :: v_dual_add_f32 v2, v4, v144
	s_delay_alu instid0(VALU_DEP_1) | instskip(NEXT) | instid1(VALU_DEP_1)
	v_dual_add_f32 v2, v2, v146 :: v_dual_mul_f32 v5, v16, v12
	v_add_f32_e32 v2, v2, v147
	s_delay_alu instid0(VALU_DEP_2) | instskip(SKIP_4) | instid1(VALU_DEP_3)
	v_fma_f32 v5, v15, v11, -v5
	s_wait_loadcnt 0x0
	v_dual_mul_f32 v151, v22, v18 :: v_dual_mul_f32 v152, v24, v20
	v_mul_f32_e32 v3, v14, v10
	v_mul_f32_e32 v4, v23, v18
	v_dual_fmac_f32 v151, v23, v17 :: v_dual_fmac_f32 v152, v25, v19
	s_delay_alu instid0(VALU_DEP_3) | instskip(NEXT) | instid1(VALU_DEP_3)
	v_fma_f32 v3, v13, v9, -v3
	v_fma_f32 v4, v22, v17, -v4
	s_delay_alu instid0(VALU_DEP_3) | instskip(NEXT) | instid1(VALU_DEP_1)
	v_add_f32_e32 v2, v2, v151
	v_dual_add_f32 v1, v1, v3 :: v_dual_add_f32 v2, v2, v152
	v_mul_f32_e32 v3, v25, v20
	s_delay_alu instid0(VALU_DEP_2) | instskip(NEXT) | instid1(VALU_DEP_3)
	v_add_f32_e32 v1, v1, v5
	v_dual_mul_f32 v5, v31, v29 :: v_dual_add_f32 v2, v2, v150
	s_delay_alu instid0(VALU_DEP_3) | instskip(NEXT) | instid1(VALU_DEP_3)
	v_fma_f32 v3, v24, v19, -v3
	v_add_f32_e32 v1, v1, v4
	s_delay_alu instid0(VALU_DEP_3) | instskip(NEXT) | instid1(VALU_DEP_4)
	v_fma_f32 v4, v30, v28, -v5
	v_sub_f32_e32 v2, v149, v2
	s_delay_alu instid0(VALU_DEP_3) | instskip(NEXT) | instid1(VALU_DEP_1)
	v_add_f32_e32 v1, v1, v3
	v_add_f32_e32 v1, v1, v4
	s_delay_alu instid0(VALU_DEP_1)
	v_sub_f32_e32 v1, v148, v1
	scratch_store_b64 off, v[1:2], off offset:128
	v_cmpx_lt_u32_e32 15, v0
	s_cbranch_execz .LBB119_319
; %bb.318:
	scratch_load_b64 v[1:2], off, off offset:120
	v_mov_b32_e32 v22, v21
	scratch_store_b64 off, v[21:22], off offset:120
	s_wait_loadcnt 0x0
	ds_store_b64 v27, v[1:2]
.LBB119_319:
	s_wait_alu 0xfffe
	s_or_b32 exec_lo, exec_lo, s0
	s_wait_storecnt_dscnt 0x0
	s_barrier_signal -1
	s_barrier_wait -1
	global_inv scope:SCOPE_SE
	s_clause 0x4
	scratch_load_b128 v[5:8], off, off offset:128
	scratch_load_b128 v[1:4], off, off offset:144
	;; [unrolled: 1-line block ×5, first 2 shown]
	ds_load_b128 v[22:25], v21 offset:576
	ds_load_b128 v[28:31], v21 offset:592
	;; [unrolled: 1-line block ×3, first 2 shown]
	scratch_load_b64 v[148:149], off, off offset:120
	s_mov_b32 s0, exec_lo
	s_wait_loadcnt_dscnt 0x502
	v_dual_mul_f32 v26, v23, v6 :: v_dual_mul_f32 v151, v24, v8
	v_mul_f32_e32 v150, v22, v6
	v_mul_f32_e32 v6, v25, v8
	s_wait_loadcnt_dscnt 0x300
	v_mul_f32_e32 v152, v146, v12
	v_fma_f32 v22, v22, v5, -v26
	v_dual_fmac_f32 v151, v25, v7 :: v_dual_fmac_f32 v150, v23, v5
	v_mul_f32_e32 v25, v30, v4
	v_mul_f32_e32 v4, v31, v4
	;; [unrolled: 1-line block ×5, first 2 shown]
	v_fmac_f32_e32 v25, v31, v3
	v_fma_f32 v23, v24, v7, -v6
	ds_load_b128 v[5:8], v21 offset:624
	v_mul_f32_e32 v24, v28, v2
	v_mul_f32_e32 v2, v29, v2
	v_fmac_f32_e32 v26, v145, v9
	v_fmac_f32_e32 v152, v147, v11
	v_fma_f32 v31, v146, v11, -v12
	v_fmac_f32_e32 v24, v29, v1
	v_fma_f32 v29, v30, v3, -v4
	v_fma_f32 v30, v144, v9, -v10
	ds_load_b128 v[9:12], v21 offset:640
	s_wait_loadcnt_dscnt 0x201
	v_dual_mul_f32 v145, v7, v16 :: v_dual_mul_f32 v144, v5, v14
	v_mul_f32_e32 v14, v6, v14
	v_mul_f32_e32 v16, v8, v16
	s_delay_alu instid0(VALU_DEP_3)
	v_fmac_f32_e32 v145, v8, v15
	v_fma_f32 v28, v28, v1, -v2
	scratch_load_b128 v[1:4], off, off offset:208
	v_fmac_f32_e32 v144, v6, v13
	v_fma_f32 v13, v5, v13, -v14
	v_fma_f32 v14, v7, v15, -v16
	s_wait_loadcnt_dscnt 0x200
	v_mul_f32_e32 v15, v9, v18
	v_mul_f32_e32 v16, v10, v18
	;; [unrolled: 1-line block ×4, first 2 shown]
	ds_load_b128 v[5:8], v21 offset:656
	v_fmac_f32_e32 v15, v10, v17
	v_fma_f32 v16, v9, v17, -v16
	v_fmac_f32_e32 v18, v12, v19
	v_fma_f32 v17, v11, v19, -v20
	scratch_load_b128 v[9:12], off, off offset:224
	s_wait_loadcnt_dscnt 0x100
	v_mul_f32_e32 v19, v5, v2
	v_mul_f32_e32 v2, v6, v2
	;; [unrolled: 1-line block ×3, first 2 shown]
	s_delay_alu instid0(VALU_DEP_3) | instskip(NEXT) | instid1(VALU_DEP_3)
	v_dual_mul_f32 v4, v8, v4 :: v_dual_fmac_f32 v19, v6, v1
	v_fma_f32 v146, v5, v1, -v2
	s_delay_alu instid0(VALU_DEP_3) | instskip(NEXT) | instid1(VALU_DEP_3)
	v_fmac_f32_e32 v20, v8, v3
	v_fma_f32 v147, v7, v3, -v4
	ds_load_b128 v[1:4], v21 offset:672
	ds_load_b128 v[5:8], v21 offset:688
	s_wait_loadcnt_dscnt 0x1
	v_mul_f32_e32 v153, v1, v10
	v_mul_f32_e32 v10, v2, v10
	s_delay_alu instid0(VALU_DEP_2) | instskip(NEXT) | instid1(VALU_DEP_2)
	v_dual_mul_f32 v154, v3, v12 :: v_dual_fmac_f32 v153, v2, v9
	v_fma_f32 v155, v1, v9, -v10
	v_mul_f32_e32 v1, v4, v12
	s_delay_alu instid0(VALU_DEP_3) | instskip(NEXT) | instid1(VALU_DEP_2)
	v_fmac_f32_e32 v154, v4, v11
	v_fma_f32 v156, v3, v11, -v1
	s_clause 0x1
	scratch_load_b128 v[1:4], off, off offset:240
	scratch_load_b128 v[9:12], off, off offset:256
	s_wait_loadcnt_dscnt 0x100
	v_mul_f32_e32 v157, v5, v2
	v_dual_mul_f32 v2, v6, v2 :: v_dual_mul_f32 v159, v7, v4
	s_delay_alu instid0(VALU_DEP_2) | instskip(NEXT) | instid1(VALU_DEP_2)
	v_fmac_f32_e32 v157, v6, v1
	v_fma_f32 v158, v5, v1, -v2
	v_mul_f32_e32 v1, v8, v4
	s_delay_alu instid0(VALU_DEP_4) | instskip(NEXT) | instid1(VALU_DEP_2)
	v_fmac_f32_e32 v159, v8, v3
	v_fma_f32 v160, v7, v3, -v1
	ds_load_b128 v[1:4], v21 offset:704
	ds_load_b128 v[5:8], v21 offset:720
	s_wait_loadcnt_dscnt 0x1
	v_mul_f32_e32 v161, v1, v10
	v_mul_f32_e32 v163, v3, v12
	s_delay_alu instid0(VALU_DEP_2) | instskip(NEXT) | instid1(VALU_DEP_2)
	v_fmac_f32_e32 v161, v2, v9
	v_dual_mul_f32 v2, v2, v10 :: v_dual_fmac_f32 v163, v4, v11
	s_delay_alu instid0(VALU_DEP_1) | instskip(SKIP_1) | instid1(VALU_DEP_1)
	v_fma_f32 v162, v1, v9, -v2
	v_mul_f32_e32 v1, v4, v12
	v_fma_f32 v164, v3, v11, -v1
	s_clause 0x1
	scratch_load_b128 v[1:4], off, off offset:272
	scratch_load_b128 v[9:12], off, off offset:288
	s_wait_loadcnt_dscnt 0x100
	v_mul_f32_e32 v165, v5, v2
	v_dual_mul_f32 v2, v6, v2 :: v_dual_mul_f32 v167, v7, v4
	s_delay_alu instid0(VALU_DEP_2) | instskip(NEXT) | instid1(VALU_DEP_2)
	v_fmac_f32_e32 v165, v6, v1
	v_fma_f32 v166, v5, v1, -v2
	v_mul_f32_e32 v1, v8, v4
	s_delay_alu instid0(VALU_DEP_4) | instskip(NEXT) | instid1(VALU_DEP_2)
	v_fmac_f32_e32 v167, v8, v3
	v_fma_f32 v168, v7, v3, -v1
	ds_load_b128 v[1:4], v21 offset:736
	ds_load_b128 v[5:8], v21 offset:752
	s_wait_loadcnt_dscnt 0x1
	v_mul_f32_e32 v169, v1, v10
	v_mul_f32_e32 v171, v3, v12
	s_delay_alu instid0(VALU_DEP_2) | instskip(NEXT) | instid1(VALU_DEP_2)
	v_fmac_f32_e32 v169, v2, v9
	v_dual_mul_f32 v2, v2, v10 :: v_dual_fmac_f32 v171, v4, v11
	s_delay_alu instid0(VALU_DEP_1) | instskip(SKIP_1) | instid1(VALU_DEP_1)
	v_fma_f32 v170, v1, v9, -v2
	v_mul_f32_e32 v1, v4, v12
	;; [unrolled: 25-line block ×4, first 2 shown]
	v_fma_f32 v188, v3, v11, -v1
	s_clause 0x1
	scratch_load_b128 v[1:4], off, off offset:368
	scratch_load_b128 v[9:12], off, off offset:384
	s_wait_loadcnt_dscnt 0x100
	v_mul_f32_e32 v189, v5, v2
	v_mul_f32_e32 v2, v6, v2
	s_delay_alu instid0(VALU_DEP_1) | instskip(SKIP_1) | instid1(VALU_DEP_1)
	v_fma_f32 v190, v5, v1, -v2
	v_add_f32_e32 v2, 0, v150
	v_add_f32_e32 v2, v2, v151
	s_delay_alu instid0(VALU_DEP_1) | instskip(NEXT) | instid1(VALU_DEP_1)
	v_add_f32_e32 v2, v2, v24
	v_add_f32_e32 v2, v2, v25
	s_delay_alu instid0(VALU_DEP_1) | instskip(NEXT) | instid1(VALU_DEP_1)
	;; [unrolled: 3-line block ×5, first 2 shown]
	v_add_f32_e32 v2, v2, v19
	v_add_f32_e32 v2, v2, v20
	s_delay_alu instid0(VALU_DEP_1) | instskip(SKIP_1) | instid1(VALU_DEP_2)
	v_dual_add_f32 v2, v2, v153 :: v_dual_mul_f32 v191, v7, v4
	v_fmac_f32_e32 v189, v6, v1
	v_dual_add_f32 v2, v2, v154 :: v_dual_fmac_f32 v191, v8, v3
	s_delay_alu instid0(VALU_DEP_1) | instskip(NEXT) | instid1(VALU_DEP_1)
	v_dual_add_f32 v2, v2, v157 :: v_dual_mul_f32 v1, v8, v4
	v_add_f32_e32 v2, v2, v159
	s_delay_alu instid0(VALU_DEP_2) | instskip(SKIP_1) | instid1(VALU_DEP_1)
	v_fma_f32 v192, v7, v3, -v1
	v_add_f32_e32 v1, 0, v22
	v_add_f32_e32 v1, v1, v23
	s_delay_alu instid0(VALU_DEP_1) | instskip(NEXT) | instid1(VALU_DEP_1)
	v_add_f32_e32 v1, v1, v28
	v_add_f32_e32 v1, v1, v29
	s_delay_alu instid0(VALU_DEP_1) | instskip(NEXT) | instid1(VALU_DEP_1)
	;; [unrolled: 3-line block ×10, first 2 shown]
	v_add_f32_e32 v13, v13, v170
	v_add_f32_e32 v13, v13, v172
	s_delay_alu instid0(VALU_DEP_1) | instskip(SKIP_3) | instid1(VALU_DEP_1)
	v_add_f32_e32 v13, v13, v174
	v_add_f32_e32 v5, v2, v161
	ds_load_b128 v[1:4], v21 offset:832
	v_add_f32_e32 v18, v13, v176
	v_dual_add_f32 v5, v5, v163 :: v_dual_add_f32 v18, v18, v178
	s_delay_alu instid0(VALU_DEP_1) | instskip(NEXT) | instid1(VALU_DEP_1)
	v_dual_add_f32 v5, v5, v165 :: v_dual_add_f32 v18, v18, v180
	v_add_f32_e32 v14, v5, v167
	ds_load_b128 v[5:8], v21 offset:848
	v_add_f32_e32 v22, v18, v182
	v_add_f32_e32 v14, v14, v169
	s_wait_loadcnt_dscnt 0x1
	v_mul_f32_e32 v26, v3, v12
	v_mul_f32_e32 v12, v4, v12
	v_add_f32_e32 v30, v22, v184
	v_add_f32_e32 v14, v14, v171
	s_delay_alu instid0(VALU_DEP_4) | instskip(NEXT) | instid1(VALU_DEP_4)
	v_fmac_f32_e32 v26, v4, v11
	v_fma_f32 v29, v3, v11, -v12
	s_delay_alu instid0(VALU_DEP_4) | instskip(NEXT) | instid1(VALU_DEP_4)
	v_add_f32_e32 v30, v30, v186
	v_add_f32_e32 v17, v14, v173
	scratch_load_b128 v[13:16], off, off offset:432
	v_dual_add_f32 v30, v30, v188 :: v_dual_add_f32 v17, v17, v175
	s_delay_alu instid0(VALU_DEP_1) | instskip(NEXT) | instid1(VALU_DEP_1)
	v_dual_add_f32 v30, v30, v190 :: v_dual_add_f32 v17, v17, v177
	v_dual_add_f32 v30, v30, v192 :: v_dual_add_f32 v17, v17, v179
	s_delay_alu instid0(VALU_DEP_1) | instskip(SKIP_3) | instid1(VALU_DEP_2)
	v_add_f32_e32 v23, v17, v181
	ds_load_b128 v[17:20], v21 offset:864
	v_mul_f32_e32 v25, v1, v10
	v_mul_f32_e32 v10, v2, v10
	v_fmac_f32_e32 v25, v2, v9
	s_delay_alu instid0(VALU_DEP_2)
	v_fma_f32 v28, v1, v9, -v10
	s_clause 0x1
	scratch_load_b128 v[1:4], off, off offset:400
	scratch_load_b128 v[9:12], off, off offset:416
	v_add_f32_e32 v28, v30, v28
	s_wait_loadcnt_dscnt 0x101
	v_mul_f32_e32 v144, v5, v2
	s_wait_loadcnt_dscnt 0x0
	v_mul_f32_e32 v146, v17, v10
	v_dual_mul_f32 v2, v6, v2 :: v_dual_mul_f32 v145, v7, v4
	v_mul_f32_e32 v4, v8, v4
	v_dual_fmac_f32 v144, v6, v1 :: v_dual_add_f32 v31, v23, v183
	ds_load_b128 v[21:24], v21 offset:880
	v_fma_f32 v2, v5, v1, -v2
	v_dual_add_f32 v1, v28, v29 :: v_dual_mul_f32 v6, v18, v10
	v_fmac_f32_e32 v145, v8, v3
	v_fma_f32 v3, v7, v3, -v4
	v_mul_f32_e32 v147, v19, v12
	s_delay_alu instid0(VALU_DEP_4) | instskip(NEXT) | instid1(VALU_DEP_2)
	v_dual_add_f32 v1, v1, v2 :: v_dual_mul_f32 v4, v20, v12
	v_dual_fmac_f32 v146, v18, v9 :: v_dual_fmac_f32 v147, v20, v11
	s_delay_alu instid0(VALU_DEP_2) | instskip(NEXT) | instid1(VALU_DEP_3)
	v_add_f32_e32 v1, v1, v3
	v_fma_f32 v4, v19, v11, -v4
	s_wait_dscnt 0x0
	v_mul_f32_e32 v30, v23, v16
	v_mul_f32_e32 v150, v21, v14
	s_delay_alu instid0(VALU_DEP_2) | instskip(SKIP_1) | instid1(VALU_DEP_3)
	v_dual_mul_f32 v3, v22, v14 :: v_dual_fmac_f32 v30, v24, v15
	v_add_f32_e32 v31, v31, v185
	v_fmac_f32_e32 v150, v22, v13
	s_delay_alu instid0(VALU_DEP_3) | instskip(NEXT) | instid1(VALU_DEP_3)
	v_fma_f32 v3, v21, v13, -v3
	v_add_f32_e32 v31, v31, v187
	s_delay_alu instid0(VALU_DEP_1) | instskip(NEXT) | instid1(VALU_DEP_1)
	v_add_f32_e32 v31, v31, v189
	v_add_f32_e32 v31, v31, v191
	s_delay_alu instid0(VALU_DEP_1) | instskip(NEXT) | instid1(VALU_DEP_1)
	v_add_f32_e32 v25, v31, v25
	v_add_f32_e32 v5, v25, v26
	s_delay_alu instid0(VALU_DEP_1) | instskip(SKIP_1) | instid1(VALU_DEP_2)
	v_add_f32_e32 v2, v5, v144
	v_fma_f32 v5, v17, v9, -v6
	v_add_f32_e32 v2, v2, v145
	s_delay_alu instid0(VALU_DEP_2) | instskip(NEXT) | instid1(VALU_DEP_2)
	v_add_f32_e32 v1, v1, v5
	v_dual_mul_f32 v5, v24, v16 :: v_dual_add_f32 v2, v2, v146
	s_delay_alu instid0(VALU_DEP_2) | instskip(NEXT) | instid1(VALU_DEP_2)
	v_add_f32_e32 v1, v1, v4
	v_fma_f32 v4, v23, v15, -v5
	s_delay_alu instid0(VALU_DEP_3) | instskip(NEXT) | instid1(VALU_DEP_1)
	v_add_f32_e32 v2, v2, v147
	v_dual_add_f32 v1, v1, v3 :: v_dual_add_f32 v2, v2, v150
	s_delay_alu instid0(VALU_DEP_1) | instskip(NEXT) | instid1(VALU_DEP_1)
	v_dual_add_f32 v1, v1, v4 :: v_dual_add_f32 v2, v2, v30
	v_dual_sub_f32 v1, v148, v1 :: v_dual_sub_f32 v2, v149, v2
	scratch_store_b64 off, v[1:2], off offset:120
	v_cmpx_lt_u32_e32 14, v0
	s_cbranch_execz .LBB119_321
; %bb.320:
	scratch_load_b64 v[1:2], off, off offset:112
	v_mov_b32_e32 v3, 0
	s_delay_alu instid0(VALU_DEP_1)
	v_mov_b32_e32 v4, v3
	scratch_store_b64 off, v[3:4], off offset:112
	s_wait_loadcnt 0x0
	ds_store_b64 v27, v[1:2]
.LBB119_321:
	s_wait_alu 0xfffe
	s_or_b32 exec_lo, exec_lo, s0
	s_wait_storecnt_dscnt 0x0
	s_barrier_signal -1
	s_barrier_wait -1
	global_inv scope:SCOPE_SE
	s_clause 0x4
	scratch_load_b128 v[5:8], off, off offset:120
	scratch_load_b128 v[1:4], off, off offset:136
	;; [unrolled: 1-line block ×5, first 2 shown]
	v_mov_b32_e32 v21, 0
	ds_load_2addr_b64 v[22:25], v21 offset0:71 offset1:72
	ds_load_2addr_b64 v[28:31], v21 offset0:73 offset1:74
	;; [unrolled: 1-line block ×3, first 2 shown]
	scratch_load_b64 v[148:149], off, off offset:112
	s_mov_b32 s0, exec_lo
	s_wait_loadcnt_dscnt 0x502
	v_dual_mul_f32 v150, v22, v6 :: v_dual_mul_f32 v151, v24, v8
	v_mul_f32_e32 v26, v23, v6
	v_mul_f32_e32 v6, v25, v8
	s_wait_loadcnt_dscnt 0x300
	v_mul_f32_e32 v152, v146, v12
	v_dual_fmac_f32 v150, v23, v5 :: v_dual_fmac_f32 v151, v25, v7
	v_mul_f32_e32 v25, v30, v4
	v_fma_f32 v22, v22, v5, -v26
	v_mul_f32_e32 v26, v144, v10
	v_mul_f32_e32 v4, v31, v4
	s_delay_alu instid0(VALU_DEP_4)
	v_dual_mul_f32 v10, v145, v10 :: v_dual_fmac_f32 v25, v31, v3
	v_fma_f32 v23, v24, v7, -v6
	ds_load_2addr_b64 v[5:8], v21 offset0:77 offset1:78
	v_mul_f32_e32 v24, v28, v2
	v_mul_f32_e32 v12, v147, v12
	;; [unrolled: 1-line block ×3, first 2 shown]
	v_fmac_f32_e32 v26, v145, v9
	v_fmac_f32_e32 v152, v147, v11
	;; [unrolled: 1-line block ×3, first 2 shown]
	v_fma_f32 v29, v30, v3, -v4
	v_fma_f32 v30, v144, v9, -v10
	;; [unrolled: 1-line block ×3, first 2 shown]
	ds_load_2addr_b64 v[9:12], v21 offset0:79 offset1:80
	s_wait_loadcnt_dscnt 0x201
	v_dual_mul_f32 v145, v7, v16 :: v_dual_mul_f32 v144, v5, v14
	v_mul_f32_e32 v14, v6, v14
	v_mul_f32_e32 v16, v8, v16
	s_delay_alu instid0(VALU_DEP_3)
	v_fmac_f32_e32 v145, v8, v15
	v_fma_f32 v28, v28, v1, -v2
	scratch_load_b128 v[1:4], off, off offset:200
	v_fmac_f32_e32 v144, v6, v13
	v_fma_f32 v13, v5, v13, -v14
	v_fma_f32 v14, v7, v15, -v16
	s_wait_loadcnt_dscnt 0x200
	v_mul_f32_e32 v15, v9, v18
	v_mul_f32_e32 v16, v10, v18
	;; [unrolled: 1-line block ×4, first 2 shown]
	ds_load_2addr_b64 v[5:8], v21 offset0:81 offset1:82
	v_fmac_f32_e32 v15, v10, v17
	v_fma_f32 v16, v9, v17, -v16
	v_fmac_f32_e32 v18, v12, v19
	v_fma_f32 v17, v11, v19, -v20
	scratch_load_b128 v[9:12], off, off offset:216
	s_wait_loadcnt_dscnt 0x100
	v_mul_f32_e32 v19, v5, v2
	v_mul_f32_e32 v2, v6, v2
	v_mul_f32_e32 v20, v7, v4
	s_delay_alu instid0(VALU_DEP_3) | instskip(NEXT) | instid1(VALU_DEP_3)
	v_dual_mul_f32 v4, v8, v4 :: v_dual_fmac_f32 v19, v6, v1
	v_fma_f32 v146, v5, v1, -v2
	s_delay_alu instid0(VALU_DEP_3) | instskip(NEXT) | instid1(VALU_DEP_3)
	v_fmac_f32_e32 v20, v8, v3
	v_fma_f32 v147, v7, v3, -v4
	ds_load_2addr_b64 v[1:4], v21 offset0:83 offset1:84
	ds_load_2addr_b64 v[5:8], v21 offset0:85 offset1:86
	s_wait_loadcnt_dscnt 0x1
	v_mul_f32_e32 v153, v1, v10
	v_mul_f32_e32 v10, v2, v10
	s_delay_alu instid0(VALU_DEP_2) | instskip(NEXT) | instid1(VALU_DEP_2)
	v_dual_mul_f32 v154, v3, v12 :: v_dual_fmac_f32 v153, v2, v9
	v_fma_f32 v155, v1, v9, -v10
	v_mul_f32_e32 v1, v4, v12
	s_delay_alu instid0(VALU_DEP_3) | instskip(NEXT) | instid1(VALU_DEP_2)
	v_fmac_f32_e32 v154, v4, v11
	v_fma_f32 v156, v3, v11, -v1
	s_clause 0x1
	scratch_load_b128 v[1:4], off, off offset:232
	scratch_load_b128 v[9:12], off, off offset:248
	s_wait_loadcnt_dscnt 0x100
	v_mul_f32_e32 v157, v5, v2
	v_dual_mul_f32 v2, v6, v2 :: v_dual_mul_f32 v159, v7, v4
	s_delay_alu instid0(VALU_DEP_2) | instskip(NEXT) | instid1(VALU_DEP_2)
	v_fmac_f32_e32 v157, v6, v1
	v_fma_f32 v158, v5, v1, -v2
	v_mul_f32_e32 v1, v8, v4
	s_delay_alu instid0(VALU_DEP_4) | instskip(NEXT) | instid1(VALU_DEP_2)
	v_fmac_f32_e32 v159, v8, v3
	v_fma_f32 v160, v7, v3, -v1
	ds_load_2addr_b64 v[1:4], v21 offset0:87 offset1:88
	ds_load_2addr_b64 v[5:8], v21 offset0:89 offset1:90
	s_wait_loadcnt_dscnt 0x1
	v_mul_f32_e32 v161, v1, v10
	v_mul_f32_e32 v163, v3, v12
	s_delay_alu instid0(VALU_DEP_2) | instskip(NEXT) | instid1(VALU_DEP_2)
	v_fmac_f32_e32 v161, v2, v9
	v_dual_mul_f32 v2, v2, v10 :: v_dual_fmac_f32 v163, v4, v11
	s_delay_alu instid0(VALU_DEP_1) | instskip(SKIP_1) | instid1(VALU_DEP_1)
	v_fma_f32 v162, v1, v9, -v2
	v_mul_f32_e32 v1, v4, v12
	v_fma_f32 v164, v3, v11, -v1
	s_clause 0x1
	scratch_load_b128 v[1:4], off, off offset:264
	scratch_load_b128 v[9:12], off, off offset:280
	s_wait_loadcnt_dscnt 0x100
	v_mul_f32_e32 v165, v5, v2
	v_dual_mul_f32 v2, v6, v2 :: v_dual_mul_f32 v167, v7, v4
	s_delay_alu instid0(VALU_DEP_2) | instskip(NEXT) | instid1(VALU_DEP_2)
	v_fmac_f32_e32 v165, v6, v1
	v_fma_f32 v166, v5, v1, -v2
	v_mul_f32_e32 v1, v8, v4
	s_delay_alu instid0(VALU_DEP_4) | instskip(NEXT) | instid1(VALU_DEP_2)
	v_fmac_f32_e32 v167, v8, v3
	v_fma_f32 v168, v7, v3, -v1
	ds_load_2addr_b64 v[1:4], v21 offset0:91 offset1:92
	ds_load_2addr_b64 v[5:8], v21 offset0:93 offset1:94
	s_wait_loadcnt_dscnt 0x1
	v_mul_f32_e32 v169, v1, v10
	v_mul_f32_e32 v171, v3, v12
	s_delay_alu instid0(VALU_DEP_2) | instskip(NEXT) | instid1(VALU_DEP_2)
	v_fmac_f32_e32 v169, v2, v9
	v_dual_mul_f32 v2, v2, v10 :: v_dual_fmac_f32 v171, v4, v11
	s_delay_alu instid0(VALU_DEP_1) | instskip(SKIP_1) | instid1(VALU_DEP_1)
	v_fma_f32 v170, v1, v9, -v2
	v_mul_f32_e32 v1, v4, v12
	;; [unrolled: 25-line block ×4, first 2 shown]
	v_fma_f32 v188, v3, v11, -v1
	s_clause 0x1
	scratch_load_b128 v[1:4], off, off offset:360
	scratch_load_b128 v[9:12], off, off offset:376
	s_wait_loadcnt_dscnt 0x100
	v_mul_f32_e32 v189, v5, v2
	v_mul_f32_e32 v2, v6, v2
	s_delay_alu instid0(VALU_DEP_1) | instskip(SKIP_1) | instid1(VALU_DEP_1)
	v_fma_f32 v190, v5, v1, -v2
	v_add_f32_e32 v2, 0, v150
	v_add_f32_e32 v2, v2, v151
	s_delay_alu instid0(VALU_DEP_1) | instskip(NEXT) | instid1(VALU_DEP_1)
	v_add_f32_e32 v2, v2, v24
	v_add_f32_e32 v2, v2, v25
	s_delay_alu instid0(VALU_DEP_1) | instskip(NEXT) | instid1(VALU_DEP_1)
	v_add_f32_e32 v2, v2, v26
	v_add_f32_e32 v2, v2, v152
	s_delay_alu instid0(VALU_DEP_1) | instskip(NEXT) | instid1(VALU_DEP_1)
	v_add_f32_e32 v2, v2, v144
	v_add_f32_e32 v2, v2, v145
	s_delay_alu instid0(VALU_DEP_1) | instskip(NEXT) | instid1(VALU_DEP_1)
	v_add_f32_e32 v2, v2, v15
	v_add_f32_e32 v2, v2, v18
	s_delay_alu instid0(VALU_DEP_1) | instskip(NEXT) | instid1(VALU_DEP_1)
	v_add_f32_e32 v2, v2, v19
	v_add_f32_e32 v2, v2, v20
	s_delay_alu instid0(VALU_DEP_1) | instskip(SKIP_1) | instid1(VALU_DEP_2)
	v_dual_add_f32 v2, v2, v153 :: v_dual_mul_f32 v191, v7, v4
	v_fmac_f32_e32 v189, v6, v1
	v_dual_add_f32 v2, v2, v154 :: v_dual_fmac_f32 v191, v8, v3
	s_delay_alu instid0(VALU_DEP_1) | instskip(NEXT) | instid1(VALU_DEP_1)
	v_dual_add_f32 v2, v2, v157 :: v_dual_mul_f32 v1, v8, v4
	v_add_f32_e32 v2, v2, v159
	s_delay_alu instid0(VALU_DEP_2) | instskip(SKIP_1) | instid1(VALU_DEP_1)
	v_fma_f32 v192, v7, v3, -v1
	v_add_f32_e32 v1, 0, v22
	v_add_f32_e32 v1, v1, v23
	s_delay_alu instid0(VALU_DEP_1) | instskip(NEXT) | instid1(VALU_DEP_1)
	v_add_f32_e32 v1, v1, v28
	v_add_f32_e32 v1, v1, v29
	scratch_load_b64 v[28:29], off, off offset:440
	v_add_f32_e32 v1, v1, v30
	s_delay_alu instid0(VALU_DEP_1) | instskip(NEXT) | instid1(VALU_DEP_1)
	v_add_f32_e32 v1, v1, v31
	v_add_f32_e32 v1, v1, v13
	s_delay_alu instid0(VALU_DEP_1) | instskip(NEXT) | instid1(VALU_DEP_1)
	v_add_f32_e32 v1, v1, v14
	;; [unrolled: 3-line block ×9, first 2 shown]
	v_add_f32_e32 v13, v13, v174
	v_add_f32_e32 v5, v2, v161
	ds_load_2addr_b64 v[1:4], v21 offset0:103 offset1:104
	v_add_f32_e32 v18, v13, v176
	s_delay_alu instid0(VALU_DEP_1) | instskip(NEXT) | instid1(VALU_DEP_1)
	v_dual_add_f32 v5, v5, v163 :: v_dual_add_f32 v18, v18, v178
	v_dual_add_f32 v5, v5, v165 :: v_dual_add_f32 v18, v18, v180
	s_delay_alu instid0(VALU_DEP_1)
	v_add_f32_e32 v14, v5, v167
	ds_load_2addr_b64 v[5:8], v21 offset0:105 offset1:106
	v_add_f32_e32 v18, v18, v182
	v_add_f32_e32 v14, v14, v169
	s_wait_loadcnt_dscnt 0x101
	v_mul_f32_e32 v26, v1, v10
	v_mul_f32_e32 v10, v2, v10
	;; [unrolled: 1-line block ×4, first 2 shown]
	v_add_f32_e32 v14, v14, v171
	v_fmac_f32_e32 v26, v2, v9
	v_fma_f32 v145, v1, v9, -v10
	v_fmac_f32_e32 v144, v4, v11
	v_fma_f32 v146, v3, v11, -v12
	s_clause 0x1
	scratch_load_b128 v[1:4], off, off offset:392
	scratch_load_b128 v[9:12], off, off offset:408
	v_add_f32_e32 v18, v18, v184
	s_delay_alu instid0(VALU_DEP_1)
	v_add_f32_e32 v30, v18, v186
	s_wait_loadcnt_dscnt 0x100
	v_dual_mul_f32 v152, v7, v4 :: v_dual_add_f32 v17, v14, v173
	scratch_load_b128 v[13:16], off, off offset:424
	v_mul_f32_e32 v151, v5, v2
	v_dual_add_f32 v147, v30, v188 :: v_dual_fmac_f32 v152, v8, v3
	v_dual_add_f32 v17, v17, v175 :: v_dual_mul_f32 v2, v6, v2
	s_delay_alu instid0(VALU_DEP_3) | instskip(NEXT) | instid1(VALU_DEP_3)
	v_fmac_f32_e32 v151, v6, v1
	v_dual_add_f32 v147, v147, v190 :: v_dual_mul_f32 v4, v8, v4
	s_delay_alu instid0(VALU_DEP_3) | instskip(NEXT) | instid1(VALU_DEP_4)
	v_add_f32_e32 v17, v17, v177
	v_fma_f32 v2, v5, v1, -v2
	s_delay_alu instid0(VALU_DEP_3) | instskip(NEXT) | instid1(VALU_DEP_4)
	v_add_f32_e32 v147, v147, v192
	v_fma_f32 v1, v7, v3, -v4
	s_delay_alu instid0(VALU_DEP_4) | instskip(NEXT) | instid1(VALU_DEP_3)
	v_add_f32_e32 v17, v17, v179
	v_add_f32_e32 v145, v147, v145
	s_delay_alu instid0(VALU_DEP_2) | instskip(NEXT) | instid1(VALU_DEP_2)
	v_add_f32_e32 v17, v17, v181
	v_add_f32_e32 v145, v145, v146
	s_delay_alu instid0(VALU_DEP_2)
	v_add_f32_e32 v22, v17, v183
	ds_load_2addr_b64 v[17:20], v21 offset0:107 offset1:108
	v_dual_add_f32 v2, v145, v2 :: v_dual_add_f32 v31, v22, v185
	ds_load_2addr_b64 v[22:25], v21 offset0:109 offset1:110
	v_dual_add_f32 v1, v2, v1 :: v_dual_add_f32 v150, v31, v187
	ds_load_b64 v[30:31], v21 offset:888
	v_add_f32_e32 v150, v150, v189
	s_delay_alu instid0(VALU_DEP_1) | instskip(SKIP_2) | instid1(VALU_DEP_2)
	v_add_f32_e32 v150, v150, v191
	s_wait_loadcnt_dscnt 0x102
	v_mul_f32_e32 v3, v18, v10
	v_dual_mul_f32 v5, v20, v12 :: v_dual_add_f32 v26, v150, v26
	v_mul_f32_e32 v150, v19, v12
	s_delay_alu instid0(VALU_DEP_3) | instskip(NEXT) | instid1(VALU_DEP_3)
	v_fma_f32 v3, v17, v9, -v3
	v_fma_f32 v5, v19, v11, -v5
	s_delay_alu instid0(VALU_DEP_4) | instskip(NEXT) | instid1(VALU_DEP_4)
	v_add_f32_e32 v26, v26, v144
	v_fmac_f32_e32 v150, v20, v11
	s_wait_dscnt 0x0
	v_dual_add_f32 v1, v1, v3 :: v_dual_mul_f32 v144, v30, v29
	s_delay_alu instid0(VALU_DEP_3) | instskip(NEXT) | instid1(VALU_DEP_2)
	v_dual_mul_f32 v147, v17, v10 :: v_dual_add_f32 v4, v26, v151
	v_add_f32_e32 v1, v1, v5
	v_mul_f32_e32 v5, v31, v29
	s_delay_alu instid0(VALU_DEP_3) | instskip(NEXT) | instid1(VALU_DEP_4)
	v_dual_fmac_f32 v144, v31, v28 :: v_dual_fmac_f32 v147, v18, v9
	v_add_f32_e32 v2, v4, v152
	s_delay_alu instid0(VALU_DEP_1) | instskip(NEXT) | instid1(VALU_DEP_1)
	v_add_f32_e32 v2, v2, v147
	v_add_f32_e32 v2, v2, v150
	s_wait_loadcnt 0x0
	v_mul_f32_e32 v153, v22, v14
	v_mul_f32_e32 v4, v23, v14
	;; [unrolled: 1-line block ×4, first 2 shown]
	s_delay_alu instid0(VALU_DEP_4) | instskip(NEXT) | instid1(VALU_DEP_4)
	v_fmac_f32_e32 v153, v23, v13
	v_fma_f32 v4, v22, v13, -v4
	s_delay_alu instid0(VALU_DEP_4) | instskip(NEXT) | instid1(VALU_DEP_4)
	v_fmac_f32_e32 v146, v25, v15
	v_fma_f32 v3, v24, v15, -v3
	s_delay_alu instid0(VALU_DEP_3) | instskip(SKIP_1) | instid1(VALU_DEP_2)
	v_dual_add_f32 v2, v2, v153 :: v_dual_add_f32 v1, v1, v4
	v_fma_f32 v4, v30, v28, -v5
	v_dual_add_f32 v2, v2, v146 :: v_dual_add_f32 v1, v1, v3
	s_delay_alu instid0(VALU_DEP_1) | instskip(NEXT) | instid1(VALU_DEP_2)
	v_add_f32_e32 v2, v2, v144
	v_add_f32_e32 v1, v1, v4
	s_delay_alu instid0(VALU_DEP_1)
	v_dual_sub_f32 v2, v149, v2 :: v_dual_sub_f32 v1, v148, v1
	scratch_store_b64 off, v[1:2], off offset:112
	v_cmpx_lt_u32_e32 13, v0
	s_cbranch_execz .LBB119_323
; %bb.322:
	scratch_load_b64 v[1:2], off, off offset:104
	v_mov_b32_e32 v22, v21
	scratch_store_b64 off, v[21:22], off offset:104
	s_wait_loadcnt 0x0
	ds_store_b64 v27, v[1:2]
.LBB119_323:
	s_wait_alu 0xfffe
	s_or_b32 exec_lo, exec_lo, s0
	s_wait_storecnt_dscnt 0x0
	s_barrier_signal -1
	s_barrier_wait -1
	global_inv scope:SCOPE_SE
	s_clause 0x4
	scratch_load_b128 v[5:8], off, off offset:112
	scratch_load_b128 v[1:4], off, off offset:128
	;; [unrolled: 1-line block ×5, first 2 shown]
	ds_load_b128 v[22:25], v21 offset:560
	ds_load_b128 v[28:31], v21 offset:576
	;; [unrolled: 1-line block ×3, first 2 shown]
	scratch_load_b64 v[148:149], off, off offset:104
	s_mov_b32 s0, exec_lo
	s_wait_loadcnt_dscnt 0x502
	v_dual_mul_f32 v26, v23, v6 :: v_dual_mul_f32 v151, v24, v8
	v_mul_f32_e32 v150, v22, v6
	v_mul_f32_e32 v6, v25, v8
	s_wait_loadcnt_dscnt 0x300
	v_mul_f32_e32 v152, v146, v12
	v_fma_f32 v22, v22, v5, -v26
	v_dual_fmac_f32 v151, v25, v7 :: v_dual_fmac_f32 v150, v23, v5
	v_mul_f32_e32 v25, v30, v4
	v_mul_f32_e32 v4, v31, v4
	;; [unrolled: 1-line block ×5, first 2 shown]
	v_fmac_f32_e32 v25, v31, v3
	v_fma_f32 v23, v24, v7, -v6
	ds_load_b128 v[5:8], v21 offset:608
	v_mul_f32_e32 v24, v28, v2
	v_mul_f32_e32 v2, v29, v2
	v_fmac_f32_e32 v26, v145, v9
	v_fmac_f32_e32 v152, v147, v11
	v_fma_f32 v31, v146, v11, -v12
	v_fmac_f32_e32 v24, v29, v1
	v_fma_f32 v29, v30, v3, -v4
	v_fma_f32 v30, v144, v9, -v10
	ds_load_b128 v[9:12], v21 offset:624
	s_wait_loadcnt_dscnt 0x201
	v_dual_mul_f32 v145, v7, v16 :: v_dual_mul_f32 v144, v5, v14
	v_mul_f32_e32 v14, v6, v14
	v_mul_f32_e32 v16, v8, v16
	s_delay_alu instid0(VALU_DEP_3)
	v_fmac_f32_e32 v145, v8, v15
	v_fma_f32 v28, v28, v1, -v2
	scratch_load_b128 v[1:4], off, off offset:192
	v_fmac_f32_e32 v144, v6, v13
	v_fma_f32 v13, v5, v13, -v14
	v_fma_f32 v14, v7, v15, -v16
	s_wait_loadcnt_dscnt 0x200
	v_mul_f32_e32 v15, v9, v18
	v_mul_f32_e32 v16, v10, v18
	;; [unrolled: 1-line block ×4, first 2 shown]
	ds_load_b128 v[5:8], v21 offset:640
	v_fmac_f32_e32 v15, v10, v17
	v_fma_f32 v16, v9, v17, -v16
	v_fmac_f32_e32 v18, v12, v19
	v_fma_f32 v17, v11, v19, -v20
	scratch_load_b128 v[9:12], off, off offset:208
	s_wait_loadcnt_dscnt 0x100
	v_mul_f32_e32 v19, v5, v2
	v_mul_f32_e32 v2, v6, v2
	;; [unrolled: 1-line block ×3, first 2 shown]
	s_delay_alu instid0(VALU_DEP_3) | instskip(NEXT) | instid1(VALU_DEP_3)
	v_dual_mul_f32 v4, v8, v4 :: v_dual_fmac_f32 v19, v6, v1
	v_fma_f32 v146, v5, v1, -v2
	s_delay_alu instid0(VALU_DEP_3) | instskip(NEXT) | instid1(VALU_DEP_3)
	v_fmac_f32_e32 v20, v8, v3
	v_fma_f32 v147, v7, v3, -v4
	ds_load_b128 v[1:4], v21 offset:656
	ds_load_b128 v[5:8], v21 offset:672
	s_wait_loadcnt_dscnt 0x1
	v_mul_f32_e32 v153, v1, v10
	v_mul_f32_e32 v10, v2, v10
	s_delay_alu instid0(VALU_DEP_2) | instskip(NEXT) | instid1(VALU_DEP_2)
	v_dual_mul_f32 v154, v3, v12 :: v_dual_fmac_f32 v153, v2, v9
	v_fma_f32 v155, v1, v9, -v10
	v_mul_f32_e32 v1, v4, v12
	s_delay_alu instid0(VALU_DEP_3) | instskip(NEXT) | instid1(VALU_DEP_2)
	v_fmac_f32_e32 v154, v4, v11
	v_fma_f32 v156, v3, v11, -v1
	s_clause 0x1
	scratch_load_b128 v[1:4], off, off offset:224
	scratch_load_b128 v[9:12], off, off offset:240
	s_wait_loadcnt_dscnt 0x100
	v_mul_f32_e32 v157, v5, v2
	v_dual_mul_f32 v2, v6, v2 :: v_dual_mul_f32 v159, v7, v4
	s_delay_alu instid0(VALU_DEP_2) | instskip(NEXT) | instid1(VALU_DEP_2)
	v_fmac_f32_e32 v157, v6, v1
	v_fma_f32 v158, v5, v1, -v2
	v_mul_f32_e32 v1, v8, v4
	s_delay_alu instid0(VALU_DEP_4) | instskip(NEXT) | instid1(VALU_DEP_2)
	v_fmac_f32_e32 v159, v8, v3
	v_fma_f32 v160, v7, v3, -v1
	ds_load_b128 v[1:4], v21 offset:688
	ds_load_b128 v[5:8], v21 offset:704
	s_wait_loadcnt_dscnt 0x1
	v_mul_f32_e32 v161, v1, v10
	v_mul_f32_e32 v163, v3, v12
	s_delay_alu instid0(VALU_DEP_2) | instskip(NEXT) | instid1(VALU_DEP_2)
	v_fmac_f32_e32 v161, v2, v9
	v_dual_mul_f32 v2, v2, v10 :: v_dual_fmac_f32 v163, v4, v11
	s_delay_alu instid0(VALU_DEP_1) | instskip(SKIP_1) | instid1(VALU_DEP_1)
	v_fma_f32 v162, v1, v9, -v2
	v_mul_f32_e32 v1, v4, v12
	v_fma_f32 v164, v3, v11, -v1
	s_clause 0x1
	scratch_load_b128 v[1:4], off, off offset:256
	scratch_load_b128 v[9:12], off, off offset:272
	s_wait_loadcnt_dscnt 0x100
	v_mul_f32_e32 v165, v5, v2
	v_dual_mul_f32 v2, v6, v2 :: v_dual_mul_f32 v167, v7, v4
	s_delay_alu instid0(VALU_DEP_2) | instskip(NEXT) | instid1(VALU_DEP_2)
	v_fmac_f32_e32 v165, v6, v1
	v_fma_f32 v166, v5, v1, -v2
	v_mul_f32_e32 v1, v8, v4
	s_delay_alu instid0(VALU_DEP_4) | instskip(NEXT) | instid1(VALU_DEP_2)
	v_fmac_f32_e32 v167, v8, v3
	v_fma_f32 v168, v7, v3, -v1
	ds_load_b128 v[1:4], v21 offset:720
	ds_load_b128 v[5:8], v21 offset:736
	s_wait_loadcnt_dscnt 0x1
	v_mul_f32_e32 v169, v1, v10
	v_mul_f32_e32 v171, v3, v12
	s_delay_alu instid0(VALU_DEP_2) | instskip(NEXT) | instid1(VALU_DEP_2)
	v_fmac_f32_e32 v169, v2, v9
	v_dual_mul_f32 v2, v2, v10 :: v_dual_fmac_f32 v171, v4, v11
	s_delay_alu instid0(VALU_DEP_1) | instskip(SKIP_1) | instid1(VALU_DEP_1)
	v_fma_f32 v170, v1, v9, -v2
	v_mul_f32_e32 v1, v4, v12
	;; [unrolled: 25-line block ×4, first 2 shown]
	v_fma_f32 v188, v3, v11, -v1
	s_clause 0x1
	scratch_load_b128 v[1:4], off, off offset:352
	scratch_load_b128 v[9:12], off, off offset:368
	s_wait_loadcnt_dscnt 0x100
	v_mul_f32_e32 v189, v5, v2
	v_mul_f32_e32 v2, v6, v2
	s_delay_alu instid0(VALU_DEP_1) | instskip(SKIP_1) | instid1(VALU_DEP_1)
	v_fma_f32 v190, v5, v1, -v2
	v_add_f32_e32 v2, 0, v150
	v_add_f32_e32 v2, v2, v151
	s_delay_alu instid0(VALU_DEP_1) | instskip(NEXT) | instid1(VALU_DEP_1)
	v_add_f32_e32 v2, v2, v24
	v_add_f32_e32 v2, v2, v25
	s_delay_alu instid0(VALU_DEP_1) | instskip(NEXT) | instid1(VALU_DEP_1)
	;; [unrolled: 3-line block ×5, first 2 shown]
	v_add_f32_e32 v2, v2, v19
	v_add_f32_e32 v2, v2, v20
	s_delay_alu instid0(VALU_DEP_1) | instskip(SKIP_1) | instid1(VALU_DEP_2)
	v_dual_add_f32 v2, v2, v153 :: v_dual_mul_f32 v191, v7, v4
	v_fmac_f32_e32 v189, v6, v1
	v_dual_add_f32 v2, v2, v154 :: v_dual_fmac_f32 v191, v8, v3
	s_delay_alu instid0(VALU_DEP_1) | instskip(NEXT) | instid1(VALU_DEP_1)
	v_dual_add_f32 v2, v2, v157 :: v_dual_mul_f32 v1, v8, v4
	v_add_f32_e32 v2, v2, v159
	s_delay_alu instid0(VALU_DEP_2) | instskip(NEXT) | instid1(VALU_DEP_2)
	v_fma_f32 v192, v7, v3, -v1
	v_dual_add_f32 v1, 0, v22 :: v_dual_add_f32 v2, v2, v161
	s_delay_alu instid0(VALU_DEP_1) | instskip(NEXT) | instid1(VALU_DEP_2)
	v_add_f32_e32 v1, v1, v23
	v_add_f32_e32 v5, v2, v163
	s_delay_alu instid0(VALU_DEP_2) | instskip(NEXT) | instid1(VALU_DEP_1)
	v_add_f32_e32 v1, v1, v28
	v_add_f32_e32 v1, v1, v29
	s_delay_alu instid0(VALU_DEP_1) | instskip(NEXT) | instid1(VALU_DEP_1)
	v_add_f32_e32 v1, v1, v30
	v_add_f32_e32 v1, v1, v31
	s_delay_alu instid0(VALU_DEP_1) | instskip(SKIP_1) | instid1(VALU_DEP_1)
	v_add_f32_e32 v1, v1, v13
	v_add_f32_e32 v13, v5, v165
	;; [unrolled: 1-line block ×3, first 2 shown]
	s_delay_alu instid0(VALU_DEP_1) | instskip(NEXT) | instid1(VALU_DEP_1)
	v_add_f32_e32 v13, v13, v169
	v_add_f32_e32 v18, v13, v171
	s_delay_alu instid0(VALU_DEP_1) | instskip(NEXT) | instid1(VALU_DEP_1)
	v_dual_add_f32 v18, v18, v173 :: v_dual_add_f32 v1, v1, v14
	v_dual_add_f32 v18, v18, v175 :: v_dual_add_f32 v1, v1, v16
	s_delay_alu instid0(VALU_DEP_1) | instskip(NEXT) | instid1(VALU_DEP_1)
	v_add_f32_e32 v1, v1, v17
	v_add_f32_e32 v1, v1, v146
	s_delay_alu instid0(VALU_DEP_1) | instskip(NEXT) | instid1(VALU_DEP_1)
	v_add_f32_e32 v1, v1, v147
	v_add_f32_e32 v1, v1, v155
	;; [unrolled: 3-line block ×5, first 2 shown]
	ds_load_b128 v[1:4], v21 offset:816
	v_add_f32_e32 v22, v18, v177
	v_add_f32_e32 v14, v6, v168
	scratch_load_b128 v[5:8], off, off offset:384
	v_add_f32_e32 v22, v22, v179
	v_add_f32_e32 v14, v14, v170
	s_delay_alu instid0(VALU_DEP_2) | instskip(NEXT) | instid1(VALU_DEP_2)
	v_add_f32_e32 v22, v22, v181
	v_add_f32_e32 v17, v14, v172
	ds_load_b128 v[13:16], v21 offset:832
	s_wait_loadcnt_dscnt 0x101
	v_mul_f32_e32 v25, v1, v10
	v_mul_f32_e32 v10, v2, v10
	;; [unrolled: 1-line block ×3, first 2 shown]
	s_delay_alu instid0(VALU_DEP_3) | instskip(NEXT) | instid1(VALU_DEP_3)
	v_dual_mul_f32 v12, v4, v12 :: v_dual_fmac_f32 v25, v2, v9
	v_fma_f32 v28, v1, v9, -v10
	s_delay_alu instid0(VALU_DEP_3) | instskip(NEXT) | instid1(VALU_DEP_3)
	v_fmac_f32_e32 v26, v4, v11
	v_fma_f32 v29, v3, v11, -v12
	s_clause 0x1
	scratch_load_b128 v[1:4], off, off offset:400
	scratch_load_b128 v[9:12], off, off offset:416
	s_wait_loadcnt_dscnt 0x200
	v_mul_f32_e32 v30, v13, v6
	v_dual_mul_f32 v6, v14, v6 :: v_dual_mul_f32 v31, v15, v8
	v_mul_f32_e32 v8, v16, v8
	s_delay_alu instid0(VALU_DEP_3) | instskip(NEXT) | instid1(VALU_DEP_3)
	v_fmac_f32_e32 v30, v14, v5
	v_fma_f32 v144, v13, v5, -v6
	s_delay_alu instid0(VALU_DEP_4) | instskip(NEXT) | instid1(VALU_DEP_4)
	v_fmac_f32_e32 v31, v16, v7
	v_fma_f32 v145, v15, v7, -v8
	ds_load_b128 v[5:8], v21 offset:848
	v_add_f32_e32 v17, v17, v174
	v_add_f32_e32 v13, v22, v183
	s_delay_alu instid0(VALU_DEP_2) | instskip(NEXT) | instid1(VALU_DEP_1)
	v_add_f32_e32 v17, v17, v176
	v_add_f32_e32 v17, v17, v178
	s_delay_alu instid0(VALU_DEP_1) | instskip(SKIP_2) | instid1(VALU_DEP_1)
	v_add_f32_e32 v23, v17, v180
	scratch_load_b128 v[17:20], off, off offset:432
	v_add_f32_e32 v23, v23, v182
	v_add_f32_e32 v23, v23, v184
	s_delay_alu instid0(VALU_DEP_1)
	v_dual_add_f32 v22, v23, v186 :: v_dual_add_f32 v23, v13, v185
	ds_load_b128 v[13:16], v21 offset:864
	s_wait_loadcnt_dscnt 0x201
	v_mul_f32_e32 v150, v5, v2
	v_mul_f32_e32 v2, v6, v2
	v_dual_add_f32 v146, v22, v188 :: v_dual_add_f32 v147, v23, v187
	ds_load_b128 v[21:24], v21 offset:880
	v_fmac_f32_e32 v150, v6, v1
	v_fma_f32 v2, v5, v1, -v2
	v_add_f32_e32 v146, v146, v190
	s_delay_alu instid0(VALU_DEP_1) | instskip(NEXT) | instid1(VALU_DEP_1)
	v_add_f32_e32 v146, v146, v192
	v_add_f32_e32 v28, v146, v28
	v_mul_f32_e32 v146, v7, v4
	s_wait_loadcnt_dscnt 0x101
	v_mul_f32_e32 v151, v15, v12
	v_mul_f32_e32 v4, v8, v4
	;; [unrolled: 1-line block ×3, first 2 shown]
	v_add_f32_e32 v28, v28, v29
	v_fmac_f32_e32 v146, v8, v3
	v_fmac_f32_e32 v151, v16, v11
	v_add_f32_e32 v147, v147, v189
	v_fma_f32 v3, v7, v3, -v4
	v_add_f32_e32 v28, v28, v144
	v_mul_f32_e32 v4, v16, v12
	s_delay_alu instid0(VALU_DEP_2) | instskip(NEXT) | instid1(VALU_DEP_2)
	v_add_f32_e32 v1, v28, v145
	v_fma_f32 v4, v15, v11, -v4
	s_delay_alu instid0(VALU_DEP_2) | instskip(NEXT) | instid1(VALU_DEP_1)
	v_add_f32_e32 v1, v1, v2
	v_add_f32_e32 v1, v1, v3
	s_wait_loadcnt_dscnt 0x0
	v_mul_f32_e32 v29, v23, v20
	v_mul_f32_e32 v3, v22, v18
	s_delay_alu instid0(VALU_DEP_2) | instskip(SKIP_1) | instid1(VALU_DEP_3)
	v_fmac_f32_e32 v29, v24, v19
	v_add_f32_e32 v147, v147, v191
	v_fma_f32 v3, v21, v17, -v3
	s_delay_alu instid0(VALU_DEP_2) | instskip(SKIP_1) | instid1(VALU_DEP_2)
	v_add_f32_e32 v25, v147, v25
	v_mul_f32_e32 v147, v13, v10
	v_add_f32_e32 v25, v25, v26
	s_delay_alu instid0(VALU_DEP_2) | instskip(NEXT) | instid1(VALU_DEP_1)
	v_dual_mul_f32 v26, v21, v18 :: v_dual_fmac_f32 v147, v14, v9
	v_dual_add_f32 v25, v25, v30 :: v_dual_fmac_f32 v26, v22, v17
	s_delay_alu instid0(VALU_DEP_1) | instskip(NEXT) | instid1(VALU_DEP_1)
	v_add_f32_e32 v5, v25, v31
	v_add_f32_e32 v2, v5, v150
	v_fma_f32 v5, v13, v9, -v6
	s_delay_alu instid0(VALU_DEP_1) | instskip(NEXT) | instid1(VALU_DEP_1)
	v_dual_add_f32 v2, v2, v146 :: v_dual_add_f32 v1, v1, v5
	v_dual_mul_f32 v5, v24, v20 :: v_dual_add_f32 v2, v2, v147
	s_delay_alu instid0(VALU_DEP_2) | instskip(NEXT) | instid1(VALU_DEP_2)
	v_add_f32_e32 v1, v1, v4
	v_fma_f32 v4, v23, v19, -v5
	s_delay_alu instid0(VALU_DEP_3) | instskip(NEXT) | instid1(VALU_DEP_1)
	v_add_f32_e32 v2, v2, v151
	v_dual_add_f32 v1, v1, v3 :: v_dual_add_f32 v2, v2, v26
	s_delay_alu instid0(VALU_DEP_1) | instskip(NEXT) | instid1(VALU_DEP_1)
	v_dual_add_f32 v1, v1, v4 :: v_dual_add_f32 v2, v2, v29
	v_dual_sub_f32 v1, v148, v1 :: v_dual_sub_f32 v2, v149, v2
	scratch_store_b64 off, v[1:2], off offset:104
	v_cmpx_lt_u32_e32 12, v0
	s_cbranch_execz .LBB119_325
; %bb.324:
	scratch_load_b64 v[1:2], off, off offset:96
	v_mov_b32_e32 v3, 0
	s_delay_alu instid0(VALU_DEP_1)
	v_mov_b32_e32 v4, v3
	scratch_store_b64 off, v[3:4], off offset:96
	s_wait_loadcnt 0x0
	ds_store_b64 v27, v[1:2]
.LBB119_325:
	s_wait_alu 0xfffe
	s_or_b32 exec_lo, exec_lo, s0
	s_wait_storecnt_dscnt 0x0
	s_barrier_signal -1
	s_barrier_wait -1
	global_inv scope:SCOPE_SE
	s_clause 0x4
	scratch_load_b128 v[5:8], off, off offset:104
	scratch_load_b128 v[1:4], off, off offset:120
	;; [unrolled: 1-line block ×5, first 2 shown]
	v_mov_b32_e32 v21, 0
	ds_load_2addr_b64 v[22:25], v21 offset0:69 offset1:70
	ds_load_2addr_b64 v[28:31], v21 offset0:71 offset1:72
	ds_load_2addr_b64 v[144:147], v21 offset0:73 offset1:74
	scratch_load_b64 v[148:149], off, off offset:96
	s_mov_b32 s0, exec_lo
	s_wait_loadcnt_dscnt 0x502
	v_dual_mul_f32 v150, v22, v6 :: v_dual_mul_f32 v151, v24, v8
	v_mul_f32_e32 v26, v23, v6
	v_mul_f32_e32 v6, v25, v8
	s_wait_loadcnt_dscnt 0x300
	v_mul_f32_e32 v152, v146, v12
	v_dual_fmac_f32 v150, v23, v5 :: v_dual_fmac_f32 v151, v25, v7
	v_mul_f32_e32 v25, v30, v4
	v_fma_f32 v22, v22, v5, -v26
	v_mul_f32_e32 v26, v144, v10
	v_mul_f32_e32 v4, v31, v4
	s_delay_alu instid0(VALU_DEP_4)
	v_dual_mul_f32 v10, v145, v10 :: v_dual_fmac_f32 v25, v31, v3
	v_fma_f32 v23, v24, v7, -v6
	ds_load_2addr_b64 v[5:8], v21 offset0:75 offset1:76
	v_mul_f32_e32 v24, v28, v2
	v_mul_f32_e32 v12, v147, v12
	;; [unrolled: 1-line block ×3, first 2 shown]
	v_fmac_f32_e32 v26, v145, v9
	v_fmac_f32_e32 v152, v147, v11
	;; [unrolled: 1-line block ×3, first 2 shown]
	v_fma_f32 v29, v30, v3, -v4
	v_fma_f32 v30, v144, v9, -v10
	;; [unrolled: 1-line block ×3, first 2 shown]
	ds_load_2addr_b64 v[9:12], v21 offset0:77 offset1:78
	s_wait_loadcnt_dscnt 0x201
	v_dual_mul_f32 v145, v7, v16 :: v_dual_mul_f32 v144, v5, v14
	v_mul_f32_e32 v14, v6, v14
	v_mul_f32_e32 v16, v8, v16
	s_delay_alu instid0(VALU_DEP_3)
	v_fmac_f32_e32 v145, v8, v15
	v_fma_f32 v28, v28, v1, -v2
	scratch_load_b128 v[1:4], off, off offset:184
	v_fmac_f32_e32 v144, v6, v13
	v_fma_f32 v13, v5, v13, -v14
	v_fma_f32 v14, v7, v15, -v16
	s_wait_loadcnt_dscnt 0x200
	v_mul_f32_e32 v15, v9, v18
	v_mul_f32_e32 v16, v10, v18
	;; [unrolled: 1-line block ×4, first 2 shown]
	ds_load_2addr_b64 v[5:8], v21 offset0:79 offset1:80
	v_fmac_f32_e32 v15, v10, v17
	v_fma_f32 v16, v9, v17, -v16
	v_fmac_f32_e32 v18, v12, v19
	v_fma_f32 v17, v11, v19, -v20
	scratch_load_b128 v[9:12], off, off offset:200
	s_wait_loadcnt_dscnt 0x100
	v_mul_f32_e32 v19, v5, v2
	v_mul_f32_e32 v2, v6, v2
	;; [unrolled: 1-line block ×3, first 2 shown]
	s_delay_alu instid0(VALU_DEP_3) | instskip(NEXT) | instid1(VALU_DEP_3)
	v_dual_mul_f32 v4, v8, v4 :: v_dual_fmac_f32 v19, v6, v1
	v_fma_f32 v146, v5, v1, -v2
	s_delay_alu instid0(VALU_DEP_3) | instskip(NEXT) | instid1(VALU_DEP_3)
	v_fmac_f32_e32 v20, v8, v3
	v_fma_f32 v147, v7, v3, -v4
	ds_load_2addr_b64 v[1:4], v21 offset0:81 offset1:82
	ds_load_2addr_b64 v[5:8], v21 offset0:83 offset1:84
	s_wait_loadcnt_dscnt 0x1
	v_mul_f32_e32 v153, v1, v10
	v_mul_f32_e32 v10, v2, v10
	s_delay_alu instid0(VALU_DEP_2) | instskip(NEXT) | instid1(VALU_DEP_2)
	v_dual_mul_f32 v154, v3, v12 :: v_dual_fmac_f32 v153, v2, v9
	v_fma_f32 v155, v1, v9, -v10
	v_mul_f32_e32 v1, v4, v12
	s_delay_alu instid0(VALU_DEP_3) | instskip(NEXT) | instid1(VALU_DEP_2)
	v_fmac_f32_e32 v154, v4, v11
	v_fma_f32 v156, v3, v11, -v1
	s_clause 0x1
	scratch_load_b128 v[1:4], off, off offset:216
	scratch_load_b128 v[9:12], off, off offset:232
	s_wait_loadcnt_dscnt 0x100
	v_mul_f32_e32 v157, v5, v2
	v_dual_mul_f32 v2, v6, v2 :: v_dual_mul_f32 v159, v7, v4
	s_delay_alu instid0(VALU_DEP_2) | instskip(NEXT) | instid1(VALU_DEP_2)
	v_fmac_f32_e32 v157, v6, v1
	v_fma_f32 v158, v5, v1, -v2
	v_mul_f32_e32 v1, v8, v4
	s_delay_alu instid0(VALU_DEP_4) | instskip(NEXT) | instid1(VALU_DEP_2)
	v_fmac_f32_e32 v159, v8, v3
	v_fma_f32 v160, v7, v3, -v1
	ds_load_2addr_b64 v[1:4], v21 offset0:85 offset1:86
	ds_load_2addr_b64 v[5:8], v21 offset0:87 offset1:88
	s_wait_loadcnt_dscnt 0x1
	v_mul_f32_e32 v161, v1, v10
	v_mul_f32_e32 v163, v3, v12
	s_delay_alu instid0(VALU_DEP_2) | instskip(NEXT) | instid1(VALU_DEP_2)
	v_fmac_f32_e32 v161, v2, v9
	v_dual_mul_f32 v2, v2, v10 :: v_dual_fmac_f32 v163, v4, v11
	s_delay_alu instid0(VALU_DEP_1) | instskip(SKIP_1) | instid1(VALU_DEP_1)
	v_fma_f32 v162, v1, v9, -v2
	v_mul_f32_e32 v1, v4, v12
	v_fma_f32 v164, v3, v11, -v1
	s_clause 0x1
	scratch_load_b128 v[1:4], off, off offset:248
	scratch_load_b128 v[9:12], off, off offset:264
	s_wait_loadcnt_dscnt 0x100
	v_mul_f32_e32 v165, v5, v2
	v_dual_mul_f32 v2, v6, v2 :: v_dual_mul_f32 v167, v7, v4
	s_delay_alu instid0(VALU_DEP_2) | instskip(NEXT) | instid1(VALU_DEP_2)
	v_fmac_f32_e32 v165, v6, v1
	v_fma_f32 v166, v5, v1, -v2
	v_mul_f32_e32 v1, v8, v4
	s_delay_alu instid0(VALU_DEP_4) | instskip(NEXT) | instid1(VALU_DEP_2)
	v_fmac_f32_e32 v167, v8, v3
	v_fma_f32 v168, v7, v3, -v1
	ds_load_2addr_b64 v[1:4], v21 offset0:89 offset1:90
	ds_load_2addr_b64 v[5:8], v21 offset0:91 offset1:92
	s_wait_loadcnt_dscnt 0x1
	v_mul_f32_e32 v169, v1, v10
	v_mul_f32_e32 v171, v3, v12
	s_delay_alu instid0(VALU_DEP_2) | instskip(NEXT) | instid1(VALU_DEP_2)
	v_fmac_f32_e32 v169, v2, v9
	v_dual_mul_f32 v2, v2, v10 :: v_dual_fmac_f32 v171, v4, v11
	s_delay_alu instid0(VALU_DEP_1) | instskip(SKIP_1) | instid1(VALU_DEP_1)
	v_fma_f32 v170, v1, v9, -v2
	v_mul_f32_e32 v1, v4, v12
	;; [unrolled: 25-line block ×4, first 2 shown]
	v_fma_f32 v188, v3, v11, -v1
	s_clause 0x1
	scratch_load_b128 v[1:4], off, off offset:344
	scratch_load_b128 v[9:12], off, off offset:360
	s_wait_loadcnt_dscnt 0x100
	v_mul_f32_e32 v189, v5, v2
	v_mul_f32_e32 v2, v6, v2
	s_delay_alu instid0(VALU_DEP_1) | instskip(SKIP_1) | instid1(VALU_DEP_1)
	v_fma_f32 v190, v5, v1, -v2
	v_add_f32_e32 v2, 0, v150
	v_add_f32_e32 v2, v2, v151
	s_delay_alu instid0(VALU_DEP_1) | instskip(NEXT) | instid1(VALU_DEP_1)
	v_add_f32_e32 v2, v2, v24
	v_add_f32_e32 v2, v2, v25
	s_delay_alu instid0(VALU_DEP_1) | instskip(NEXT) | instid1(VALU_DEP_1)
	v_add_f32_e32 v2, v2, v26
	v_add_f32_e32 v2, v2, v152
	s_delay_alu instid0(VALU_DEP_1) | instskip(NEXT) | instid1(VALU_DEP_1)
	v_add_f32_e32 v2, v2, v144
	v_add_f32_e32 v2, v2, v145
	s_delay_alu instid0(VALU_DEP_1) | instskip(NEXT) | instid1(VALU_DEP_1)
	v_add_f32_e32 v2, v2, v15
	v_add_f32_e32 v2, v2, v18
	s_delay_alu instid0(VALU_DEP_1) | instskip(NEXT) | instid1(VALU_DEP_1)
	v_add_f32_e32 v2, v2, v19
	v_add_f32_e32 v2, v2, v20
	s_delay_alu instid0(VALU_DEP_1) | instskip(SKIP_1) | instid1(VALU_DEP_2)
	v_dual_add_f32 v2, v2, v153 :: v_dual_mul_f32 v191, v7, v4
	v_fmac_f32_e32 v189, v6, v1
	v_dual_add_f32 v2, v2, v154 :: v_dual_fmac_f32 v191, v8, v3
	s_delay_alu instid0(VALU_DEP_1) | instskip(NEXT) | instid1(VALU_DEP_1)
	v_dual_add_f32 v2, v2, v157 :: v_dual_mul_f32 v1, v8, v4
	v_add_f32_e32 v2, v2, v159
	s_delay_alu instid0(VALU_DEP_2) | instskip(NEXT) | instid1(VALU_DEP_2)
	v_fma_f32 v192, v7, v3, -v1
	v_dual_add_f32 v1, 0, v22 :: v_dual_add_f32 v2, v2, v161
	s_delay_alu instid0(VALU_DEP_1) | instskip(NEXT) | instid1(VALU_DEP_2)
	v_add_f32_e32 v1, v1, v23
	v_add_f32_e32 v5, v2, v163
	s_delay_alu instid0(VALU_DEP_2) | instskip(NEXT) | instid1(VALU_DEP_1)
	v_add_f32_e32 v1, v1, v28
	v_add_f32_e32 v1, v1, v29
	scratch_load_b64 v[28:29], off, off offset:440
	v_add_f32_e32 v1, v1, v30
	s_delay_alu instid0(VALU_DEP_1) | instskip(NEXT) | instid1(VALU_DEP_1)
	v_add_f32_e32 v1, v1, v31
	v_add_f32_e32 v1, v1, v13
	;; [unrolled: 1-line block ×3, first 2 shown]
	s_delay_alu instid0(VALU_DEP_2) | instskip(NEXT) | instid1(VALU_DEP_2)
	v_add_f32_e32 v1, v1, v14
	v_add_f32_e32 v13, v13, v167
	s_delay_alu instid0(VALU_DEP_1) | instskip(NEXT) | instid1(VALU_DEP_1)
	v_add_f32_e32 v13, v13, v169
	v_add_f32_e32 v18, v13, v171
	s_delay_alu instid0(VALU_DEP_4) | instskip(NEXT) | instid1(VALU_DEP_1)
	v_add_f32_e32 v1, v1, v16
	v_add_f32_e32 v1, v1, v17
	s_delay_alu instid0(VALU_DEP_1) | instskip(NEXT) | instid1(VALU_DEP_1)
	v_add_f32_e32 v1, v1, v146
	v_add_f32_e32 v1, v1, v147
	s_delay_alu instid0(VALU_DEP_1) | instskip(NEXT) | instid1(VALU_DEP_1)
	;; [unrolled: 3-line block ×4, first 2 shown]
	v_add_f32_e32 v1, v1, v162
	v_add_f32_e32 v1, v1, v164
	s_delay_alu instid0(VALU_DEP_1)
	v_add_f32_e32 v6, v1, v166
	scratch_load_b128 v[1:4], off, off offset:376
	v_add_f32_e32 v18, v18, v173
	v_add_f32_e32 v14, v6, v168
	ds_load_2addr_b64 v[5:8], v21 offset0:101 offset1:102
	v_add_f32_e32 v18, v18, v175
	v_add_f32_e32 v14, v14, v170
	s_delay_alu instid0(VALU_DEP_2) | instskip(NEXT) | instid1(VALU_DEP_2)
	v_add_f32_e32 v22, v18, v177
	v_add_f32_e32 v17, v14, v172
	ds_load_2addr_b64 v[13:16], v21 offset0:103 offset1:104
	v_add_f32_e32 v22, v22, v179
	s_wait_loadcnt_dscnt 0x201
	v_mul_f32_e32 v26, v5, v10
	v_mul_f32_e32 v10, v6, v10
	;; [unrolled: 1-line block ×4, first 2 shown]
	v_add_f32_e32 v22, v22, v181
	v_fmac_f32_e32 v26, v6, v9
	v_fma_f32 v145, v5, v9, -v10
	v_fmac_f32_e32 v144, v8, v11
	v_fma_f32 v146, v7, v11, -v12
	scratch_load_b128 v[5:8], off, off offset:392
	v_add_f32_e32 v22, v22, v183
	scratch_load_b128 v[9:12], off, off offset:408
	s_wait_loadcnt_dscnt 0x200
	v_mul_f32_e32 v147, v13, v2
	v_mul_f32_e32 v2, v14, v2
	;; [unrolled: 1-line block ×3, first 2 shown]
	s_delay_alu instid0(VALU_DEP_3) | instskip(NEXT) | instid1(VALU_DEP_3)
	v_dual_mul_f32 v4, v16, v4 :: v_dual_fmac_f32 v147, v14, v1
	v_fma_f32 v151, v13, v1, -v2
	s_delay_alu instid0(VALU_DEP_3) | instskip(NEXT) | instid1(VALU_DEP_3)
	v_dual_add_f32 v13, v22, v185 :: v_dual_fmac_f32 v150, v16, v3
	v_fma_f32 v152, v15, v3, -v4
	ds_load_2addr_b64 v[1:4], v21 offset0:105 offset1:106
	v_add_f32_e32 v22, v13, v187
	s_delay_alu instid0(VALU_DEP_1) | instskip(NEXT) | instid1(VALU_DEP_1)
	v_add_f32_e32 v31, v22, v189
	v_add_f32_e32 v154, v31, v191
	s_delay_alu instid0(VALU_DEP_1) | instskip(NEXT) | instid1(VALU_DEP_1)
	v_add_f32_e32 v26, v154, v26
	v_dual_add_f32 v17, v17, v174 :: v_dual_add_f32 v26, v26, v144
	s_delay_alu instid0(VALU_DEP_1) | instskip(NEXT) | instid1(VALU_DEP_1)
	v_dual_add_f32 v17, v17, v176 :: v_dual_add_f32 v26, v26, v147
	v_add_f32_e32 v17, v17, v178
	s_delay_alu instid0(VALU_DEP_1) | instskip(SKIP_2) | instid1(VALU_DEP_1)
	v_dual_add_f32 v26, v26, v150 :: v_dual_add_f32 v23, v17, v180
	scratch_load_b128 v[17:20], off, off offset:424
	v_add_f32_e32 v23, v23, v182
	v_add_f32_e32 v23, v23, v184
	s_delay_alu instid0(VALU_DEP_1) | instskip(NEXT) | instid1(VALU_DEP_1)
	v_add_f32_e32 v23, v23, v186
	v_add_f32_e32 v14, v23, v188
	ds_load_2addr_b64 v[22:25], v21 offset0:109 offset1:110
	v_add_f32_e32 v30, v14, v190
	ds_load_2addr_b64 v[13:16], v21 offset0:107 offset1:108
	s_wait_loadcnt_dscnt 0x202
	v_mul_f32_e32 v144, v3, v8
	v_mul_f32_e32 v8, v4, v8
	v_add_f32_e32 v153, v30, v192
	ds_load_b64 v[30:31], v21 offset:888
	v_dual_fmac_f32 v144, v4, v7 :: v_dual_add_f32 v145, v153, v145
	s_delay_alu instid0(VALU_DEP_1) | instskip(SKIP_4) | instid1(VALU_DEP_3)
	v_add_f32_e32 v145, v145, v146
	s_wait_loadcnt_dscnt 0x101
	v_mul_f32_e32 v146, v13, v10
	v_mul_f32_e32 v153, v1, v6
	v_mul_f32_e32 v6, v2, v6
	v_fmac_f32_e32 v146, v14, v9
	s_delay_alu instid0(VALU_DEP_3)
	v_fmac_f32_e32 v153, v2, v5
	s_wait_dscnt 0x0
	v_mul_f32_e32 v150, v30, v29
	v_fma_f32 v1, v1, v5, -v6
	v_fma_f32 v2, v3, v7, -v8
	v_mul_f32_e32 v3, v14, v10
	v_dual_add_f32 v4, v26, v153 :: v_dual_add_f32 v145, v145, v151
	v_fmac_f32_e32 v150, v31, v28
	s_delay_alu instid0(VALU_DEP_3) | instskip(SKIP_2) | instid1(VALU_DEP_1)
	v_fma_f32 v3, v13, v9, -v3
	s_wait_loadcnt 0x0
	v_mul_f32_e32 v151, v22, v18
	v_fmac_f32_e32 v151, v23, v17
	v_mul_f32_e32 v147, v15, v12
	s_delay_alu instid0(VALU_DEP_1) | instskip(SKIP_2) | instid1(VALU_DEP_1)
	v_fmac_f32_e32 v147, v16, v11
	v_add_f32_e32 v145, v145, v152
	v_mul_f32_e32 v152, v24, v20
	v_fmac_f32_e32 v152, v25, v19
	s_delay_alu instid0(VALU_DEP_3) | instskip(NEXT) | instid1(VALU_DEP_1)
	v_add_f32_e32 v1, v145, v1
	v_dual_add_f32 v1, v1, v2 :: v_dual_add_f32 v2, v4, v144
	s_delay_alu instid0(VALU_DEP_1) | instskip(NEXT) | instid1(VALU_DEP_2)
	v_dual_mul_f32 v4, v23, v18 :: v_dual_add_f32 v1, v1, v3
	v_dual_add_f32 v2, v2, v146 :: v_dual_mul_f32 v3, v25, v20
	s_delay_alu instid0(VALU_DEP_2) | instskip(NEXT) | instid1(VALU_DEP_2)
	v_fma_f32 v4, v22, v17, -v4
	v_add_f32_e32 v2, v2, v147
	s_delay_alu instid0(VALU_DEP_3) | instskip(NEXT) | instid1(VALU_DEP_2)
	v_fma_f32 v3, v24, v19, -v3
	v_add_f32_e32 v2, v2, v151
	s_delay_alu instid0(VALU_DEP_1) | instskip(NEXT) | instid1(VALU_DEP_1)
	v_add_f32_e32 v2, v2, v152
	v_dual_mul_f32 v5, v16, v12 :: v_dual_add_f32 v2, v2, v150
	s_delay_alu instid0(VALU_DEP_1) | instskip(NEXT) | instid1(VALU_DEP_2)
	v_fma_f32 v5, v15, v11, -v5
	v_sub_f32_e32 v2, v149, v2
	s_delay_alu instid0(VALU_DEP_2) | instskip(SKIP_1) | instid1(VALU_DEP_2)
	v_add_f32_e32 v1, v1, v5
	v_mul_f32_e32 v5, v31, v29
	v_add_f32_e32 v1, v1, v4
	s_delay_alu instid0(VALU_DEP_2) | instskip(NEXT) | instid1(VALU_DEP_2)
	v_fma_f32 v4, v30, v28, -v5
	v_add_f32_e32 v1, v1, v3
	s_delay_alu instid0(VALU_DEP_1) | instskip(NEXT) | instid1(VALU_DEP_1)
	v_add_f32_e32 v1, v1, v4
	v_sub_f32_e32 v1, v148, v1
	scratch_store_b64 off, v[1:2], off offset:96
	v_cmpx_lt_u32_e32 11, v0
	s_cbranch_execz .LBB119_327
; %bb.326:
	scratch_load_b64 v[1:2], off, off offset:88
	v_mov_b32_e32 v22, v21
	scratch_store_b64 off, v[21:22], off offset:88
	s_wait_loadcnt 0x0
	ds_store_b64 v27, v[1:2]
.LBB119_327:
	s_wait_alu 0xfffe
	s_or_b32 exec_lo, exec_lo, s0
	s_wait_storecnt_dscnt 0x0
	s_barrier_signal -1
	s_barrier_wait -1
	global_inv scope:SCOPE_SE
	s_clause 0x4
	scratch_load_b128 v[5:8], off, off offset:96
	scratch_load_b128 v[1:4], off, off offset:112
	;; [unrolled: 1-line block ×5, first 2 shown]
	ds_load_b128 v[22:25], v21 offset:544
	ds_load_b128 v[28:31], v21 offset:560
	;; [unrolled: 1-line block ×3, first 2 shown]
	scratch_load_b64 v[148:149], off, off offset:88
	s_mov_b32 s0, exec_lo
	s_wait_loadcnt_dscnt 0x502
	v_dual_mul_f32 v26, v23, v6 :: v_dual_mul_f32 v151, v24, v8
	v_mul_f32_e32 v150, v22, v6
	v_mul_f32_e32 v6, v25, v8
	s_wait_loadcnt_dscnt 0x300
	v_mul_f32_e32 v152, v146, v12
	v_fma_f32 v22, v22, v5, -v26
	v_dual_fmac_f32 v151, v25, v7 :: v_dual_fmac_f32 v150, v23, v5
	v_mul_f32_e32 v25, v30, v4
	v_mul_f32_e32 v4, v31, v4
	;; [unrolled: 1-line block ×5, first 2 shown]
	v_fmac_f32_e32 v25, v31, v3
	v_fma_f32 v23, v24, v7, -v6
	ds_load_b128 v[5:8], v21 offset:592
	v_mul_f32_e32 v24, v28, v2
	v_mul_f32_e32 v2, v29, v2
	v_fmac_f32_e32 v26, v145, v9
	v_fmac_f32_e32 v152, v147, v11
	v_fma_f32 v31, v146, v11, -v12
	v_fmac_f32_e32 v24, v29, v1
	v_fma_f32 v29, v30, v3, -v4
	v_fma_f32 v30, v144, v9, -v10
	ds_load_b128 v[9:12], v21 offset:608
	s_wait_loadcnt_dscnt 0x201
	v_dual_mul_f32 v145, v7, v16 :: v_dual_mul_f32 v144, v5, v14
	v_mul_f32_e32 v14, v6, v14
	v_mul_f32_e32 v16, v8, v16
	s_delay_alu instid0(VALU_DEP_3)
	v_fmac_f32_e32 v145, v8, v15
	v_fma_f32 v28, v28, v1, -v2
	scratch_load_b128 v[1:4], off, off offset:176
	v_fmac_f32_e32 v144, v6, v13
	v_fma_f32 v13, v5, v13, -v14
	v_fma_f32 v14, v7, v15, -v16
	s_wait_loadcnt_dscnt 0x200
	v_mul_f32_e32 v15, v9, v18
	v_mul_f32_e32 v16, v10, v18
	;; [unrolled: 1-line block ×4, first 2 shown]
	ds_load_b128 v[5:8], v21 offset:624
	v_fmac_f32_e32 v15, v10, v17
	v_fma_f32 v16, v9, v17, -v16
	v_fmac_f32_e32 v18, v12, v19
	v_fma_f32 v17, v11, v19, -v20
	scratch_load_b128 v[9:12], off, off offset:192
	s_wait_loadcnt_dscnt 0x100
	v_mul_f32_e32 v19, v5, v2
	v_mul_f32_e32 v2, v6, v2
	;; [unrolled: 1-line block ×3, first 2 shown]
	s_delay_alu instid0(VALU_DEP_3) | instskip(NEXT) | instid1(VALU_DEP_3)
	v_dual_mul_f32 v4, v8, v4 :: v_dual_fmac_f32 v19, v6, v1
	v_fma_f32 v146, v5, v1, -v2
	s_delay_alu instid0(VALU_DEP_3) | instskip(NEXT) | instid1(VALU_DEP_3)
	v_fmac_f32_e32 v20, v8, v3
	v_fma_f32 v147, v7, v3, -v4
	ds_load_b128 v[1:4], v21 offset:640
	ds_load_b128 v[5:8], v21 offset:656
	s_wait_loadcnt_dscnt 0x1
	v_mul_f32_e32 v153, v1, v10
	v_mul_f32_e32 v10, v2, v10
	s_delay_alu instid0(VALU_DEP_2) | instskip(NEXT) | instid1(VALU_DEP_2)
	v_dual_mul_f32 v154, v3, v12 :: v_dual_fmac_f32 v153, v2, v9
	v_fma_f32 v155, v1, v9, -v10
	v_mul_f32_e32 v1, v4, v12
	s_delay_alu instid0(VALU_DEP_3) | instskip(NEXT) | instid1(VALU_DEP_2)
	v_fmac_f32_e32 v154, v4, v11
	v_fma_f32 v156, v3, v11, -v1
	s_clause 0x1
	scratch_load_b128 v[1:4], off, off offset:208
	scratch_load_b128 v[9:12], off, off offset:224
	s_wait_loadcnt_dscnt 0x100
	v_mul_f32_e32 v157, v5, v2
	v_dual_mul_f32 v2, v6, v2 :: v_dual_mul_f32 v159, v7, v4
	s_delay_alu instid0(VALU_DEP_2) | instskip(NEXT) | instid1(VALU_DEP_2)
	v_fmac_f32_e32 v157, v6, v1
	v_fma_f32 v158, v5, v1, -v2
	v_mul_f32_e32 v1, v8, v4
	s_delay_alu instid0(VALU_DEP_4) | instskip(NEXT) | instid1(VALU_DEP_2)
	v_fmac_f32_e32 v159, v8, v3
	v_fma_f32 v160, v7, v3, -v1
	ds_load_b128 v[1:4], v21 offset:672
	ds_load_b128 v[5:8], v21 offset:688
	s_wait_loadcnt_dscnt 0x1
	v_mul_f32_e32 v161, v1, v10
	v_mul_f32_e32 v163, v3, v12
	s_delay_alu instid0(VALU_DEP_2) | instskip(NEXT) | instid1(VALU_DEP_2)
	v_fmac_f32_e32 v161, v2, v9
	v_dual_mul_f32 v2, v2, v10 :: v_dual_fmac_f32 v163, v4, v11
	s_delay_alu instid0(VALU_DEP_1) | instskip(SKIP_1) | instid1(VALU_DEP_1)
	v_fma_f32 v162, v1, v9, -v2
	v_mul_f32_e32 v1, v4, v12
	v_fma_f32 v164, v3, v11, -v1
	s_clause 0x1
	scratch_load_b128 v[1:4], off, off offset:240
	scratch_load_b128 v[9:12], off, off offset:256
	s_wait_loadcnt_dscnt 0x100
	v_mul_f32_e32 v165, v5, v2
	v_dual_mul_f32 v2, v6, v2 :: v_dual_mul_f32 v167, v7, v4
	s_delay_alu instid0(VALU_DEP_2) | instskip(NEXT) | instid1(VALU_DEP_2)
	v_fmac_f32_e32 v165, v6, v1
	v_fma_f32 v166, v5, v1, -v2
	v_mul_f32_e32 v1, v8, v4
	s_delay_alu instid0(VALU_DEP_4) | instskip(NEXT) | instid1(VALU_DEP_2)
	v_fmac_f32_e32 v167, v8, v3
	v_fma_f32 v168, v7, v3, -v1
	ds_load_b128 v[1:4], v21 offset:704
	ds_load_b128 v[5:8], v21 offset:720
	s_wait_loadcnt_dscnt 0x1
	v_mul_f32_e32 v169, v1, v10
	v_mul_f32_e32 v171, v3, v12
	s_delay_alu instid0(VALU_DEP_2) | instskip(NEXT) | instid1(VALU_DEP_2)
	v_fmac_f32_e32 v169, v2, v9
	v_dual_mul_f32 v2, v2, v10 :: v_dual_fmac_f32 v171, v4, v11
	s_delay_alu instid0(VALU_DEP_1) | instskip(SKIP_1) | instid1(VALU_DEP_1)
	v_fma_f32 v170, v1, v9, -v2
	v_mul_f32_e32 v1, v4, v12
	;; [unrolled: 25-line block ×5, first 2 shown]
	v_fma_f32 v196, v3, v11, -v1
	s_clause 0x1
	scratch_load_b128 v[1:4], off, off offset:368
	scratch_load_b128 v[9:12], off, off offset:384
	s_wait_loadcnt_dscnt 0x100
	v_mul_f32_e32 v197, v5, v2
	v_mul_f32_e32 v2, v6, v2
	s_delay_alu instid0(VALU_DEP_1) | instskip(SKIP_1) | instid1(VALU_DEP_1)
	v_fma_f32 v198, v5, v1, -v2
	v_add_f32_e32 v2, 0, v150
	v_add_f32_e32 v2, v2, v151
	s_delay_alu instid0(VALU_DEP_1) | instskip(NEXT) | instid1(VALU_DEP_1)
	v_add_f32_e32 v2, v2, v24
	v_add_f32_e32 v2, v2, v25
	s_delay_alu instid0(VALU_DEP_1) | instskip(NEXT) | instid1(VALU_DEP_1)
	;; [unrolled: 3-line block ×8, first 2 shown]
	v_add_f32_e32 v2, v2, v161
	v_add_f32_e32 v2, v2, v163
	s_delay_alu instid0(VALU_DEP_1) | instskip(SKIP_2) | instid1(VALU_DEP_3)
	v_add_f32_e32 v2, v2, v165
	v_fmac_f32_e32 v197, v6, v1
	v_mul_f32_e32 v1, v8, v4
	v_dual_mul_f32 v199, v7, v4 :: v_dual_add_f32 v2, v2, v167
	s_delay_alu instid0(VALU_DEP_2) | instskip(SKIP_1) | instid1(VALU_DEP_3)
	v_fma_f32 v200, v7, v3, -v1
	v_add_f32_e32 v1, 0, v22
	v_add_f32_e32 v5, v2, v169
	s_delay_alu instid0(VALU_DEP_2) | instskip(NEXT) | instid1(VALU_DEP_2)
	v_add_f32_e32 v1, v1, v23
	v_add_f32_e32 v5, v5, v171
	s_delay_alu instid0(VALU_DEP_2) | instskip(NEXT) | instid1(VALU_DEP_2)
	v_add_f32_e32 v1, v1, v28
	v_add_f32_e32 v5, v5, v173
	s_delay_alu instid0(VALU_DEP_2) | instskip(NEXT) | instid1(VALU_DEP_1)
	v_add_f32_e32 v1, v1, v29
	v_add_f32_e32 v1, v1, v30
	s_delay_alu instid0(VALU_DEP_1) | instskip(NEXT) | instid1(VALU_DEP_1)
	v_add_f32_e32 v1, v1, v31
	v_add_f32_e32 v1, v1, v13
	s_delay_alu instid0(VALU_DEP_1) | instskip(SKIP_1) | instid1(VALU_DEP_2)
	v_add_f32_e32 v1, v1, v14
	v_add_f32_e32 v14, v5, v175
	v_add_f32_e32 v1, v1, v16
	s_delay_alu instid0(VALU_DEP_1) | instskip(NEXT) | instid1(VALU_DEP_1)
	v_add_f32_e32 v1, v1, v17
	v_add_f32_e32 v1, v1, v146
	s_delay_alu instid0(VALU_DEP_1) | instskip(NEXT) | instid1(VALU_DEP_1)
	v_add_f32_e32 v1, v1, v147
	v_add_f32_e32 v1, v1, v155
	;; [unrolled: 3-line block ×6, first 2 shown]
	s_delay_alu instid0(VALU_DEP_1) | instskip(SKIP_3) | instid1(VALU_DEP_2)
	v_dual_add_f32 v6, v1, v172 :: v_dual_fmac_f32 v199, v8, v3
	ds_load_b128 v[1:4], v21 offset:832
	v_add_f32_e32 v14, v14, v177
	v_add_f32_e32 v6, v6, v174
	;; [unrolled: 1-line block ×3, first 2 shown]
	s_delay_alu instid0(VALU_DEP_2) | instskip(SKIP_4) | instid1(VALU_DEP_2)
	v_add_f32_e32 v13, v6, v176
	ds_load_b128 v[5:8], v21 offset:848
	s_wait_loadcnt_dscnt 0x1
	v_dual_mul_f32 v25, v1, v10 :: v_dual_mul_f32 v26, v3, v12
	v_mul_f32_e32 v10, v2, v10
	v_dual_mul_f32 v12, v4, v12 :: v_dual_fmac_f32 v25, v2, v9
	s_delay_alu instid0(VALU_DEP_3) | instskip(NEXT) | instid1(VALU_DEP_3)
	v_fmac_f32_e32 v26, v4, v11
	v_fma_f32 v28, v1, v9, -v10
	s_delay_alu instid0(VALU_DEP_3)
	v_fma_f32 v29, v3, v11, -v12
	s_clause 0x1
	scratch_load_b128 v[1:4], off, off offset:400
	scratch_load_b128 v[9:12], off, off offset:416
	s_wait_loadcnt_dscnt 0x100
	v_mul_f32_e32 v144, v5, v2
	v_add_f32_e32 v13, v13, v178
	v_dual_mul_f32 v2, v6, v2 :: v_dual_mul_f32 v145, v7, v4
	v_mul_f32_e32 v4, v8, v4
	s_delay_alu instid0(VALU_DEP_3) | instskip(SKIP_1) | instid1(VALU_DEP_4)
	v_dual_fmac_f32 v144, v6, v1 :: v_dual_add_f32 v13, v13, v180
	v_add_f32_e32 v17, v14, v181
	v_fma_f32 v2, v5, v1, -v2
	v_fmac_f32_e32 v145, v8, v3
	v_fma_f32 v3, v7, v3, -v4
	v_add_f32_e32 v13, v13, v182
	v_add_f32_e32 v17, v17, v183
	s_delay_alu instid0(VALU_DEP_2) | instskip(SKIP_2) | instid1(VALU_DEP_1)
	v_add_f32_e32 v18, v13, v184
	scratch_load_b128 v[13:16], off, off offset:432
	v_dual_add_f32 v17, v17, v185 :: v_dual_add_f32 v18, v18, v186
	v_dual_add_f32 v17, v17, v187 :: v_dual_add_f32 v18, v18, v188
	s_delay_alu instid0(VALU_DEP_1) | instskip(SKIP_4) | instid1(VALU_DEP_1)
	v_dual_add_f32 v23, v17, v189 :: v_dual_add_f32 v22, v18, v190
	ds_load_b128 v[17:20], v21 offset:864
	v_dual_add_f32 v31, v23, v191 :: v_dual_add_f32 v30, v22, v192
	ds_load_b128 v[21:24], v21 offset:880
	v_dual_add_f32 v31, v31, v193 :: v_dual_add_f32 v30, v30, v194
	v_dual_add_f32 v31, v31, v195 :: v_dual_add_f32 v30, v30, v196
	s_delay_alu instid0(VALU_DEP_1) | instskip(SKIP_1) | instid1(VALU_DEP_1)
	v_dual_add_f32 v31, v31, v197 :: v_dual_add_f32 v30, v30, v198
	s_wait_loadcnt_dscnt 0x101
	v_dual_mul_f32 v146, v17, v10 :: v_dual_add_f32 v31, v31, v199
	v_dual_mul_f32 v6, v18, v10 :: v_dual_mul_f32 v147, v19, v12
	s_delay_alu instid0(VALU_DEP_3) | instskip(SKIP_1) | instid1(VALU_DEP_3)
	v_add_f32_e32 v30, v30, v200
	v_mul_f32_e32 v4, v20, v12
	v_dual_fmac_f32 v146, v18, v9 :: v_dual_fmac_f32 v147, v20, v11
	s_delay_alu instid0(VALU_DEP_3) | instskip(NEXT) | instid1(VALU_DEP_3)
	v_add_f32_e32 v28, v30, v28
	v_fma_f32 v4, v19, v11, -v4
	s_delay_alu instid0(VALU_DEP_2) | instskip(NEXT) | instid1(VALU_DEP_1)
	v_add_f32_e32 v1, v28, v29
	v_add_f32_e32 v1, v1, v2
	s_delay_alu instid0(VALU_DEP_1) | instskip(SKIP_3) | instid1(VALU_DEP_2)
	v_add_f32_e32 v1, v1, v3
	s_wait_loadcnt_dscnt 0x0
	v_dual_mul_f32 v150, v21, v14 :: v_dual_add_f32 v25, v31, v25
	v_dual_mul_f32 v3, v22, v14 :: v_dual_mul_f32 v30, v23, v16
	v_dual_fmac_f32 v150, v22, v13 :: v_dual_add_f32 v5, v25, v26
	s_delay_alu instid0(VALU_DEP_2) | instskip(NEXT) | instid1(VALU_DEP_3)
	v_fma_f32 v3, v21, v13, -v3
	v_fmac_f32_e32 v30, v24, v15
	s_delay_alu instid0(VALU_DEP_3) | instskip(SKIP_1) | instid1(VALU_DEP_2)
	v_add_f32_e32 v2, v5, v144
	v_fma_f32 v5, v17, v9, -v6
	v_add_f32_e32 v2, v2, v145
	s_delay_alu instid0(VALU_DEP_2) | instskip(NEXT) | instid1(VALU_DEP_2)
	v_add_f32_e32 v1, v1, v5
	v_dual_mul_f32 v5, v24, v16 :: v_dual_add_f32 v2, v2, v146
	s_delay_alu instid0(VALU_DEP_2) | instskip(NEXT) | instid1(VALU_DEP_2)
	v_add_f32_e32 v1, v1, v4
	v_fma_f32 v4, v23, v15, -v5
	s_delay_alu instid0(VALU_DEP_3) | instskip(NEXT) | instid1(VALU_DEP_1)
	v_add_f32_e32 v2, v2, v147
	v_dual_add_f32 v1, v1, v3 :: v_dual_add_f32 v2, v2, v150
	s_delay_alu instid0(VALU_DEP_1) | instskip(NEXT) | instid1(VALU_DEP_1)
	v_dual_add_f32 v1, v1, v4 :: v_dual_add_f32 v2, v2, v30
	v_dual_sub_f32 v1, v148, v1 :: v_dual_sub_f32 v2, v149, v2
	scratch_store_b64 off, v[1:2], off offset:88
	v_cmpx_lt_u32_e32 10, v0
	s_cbranch_execz .LBB119_329
; %bb.328:
	scratch_load_b64 v[1:2], off, off offset:80
	v_mov_b32_e32 v3, 0
	s_delay_alu instid0(VALU_DEP_1)
	v_mov_b32_e32 v4, v3
	scratch_store_b64 off, v[3:4], off offset:80
	s_wait_loadcnt 0x0
	ds_store_b64 v27, v[1:2]
.LBB119_329:
	s_wait_alu 0xfffe
	s_or_b32 exec_lo, exec_lo, s0
	s_wait_storecnt_dscnt 0x0
	s_barrier_signal -1
	s_barrier_wait -1
	global_inv scope:SCOPE_SE
	s_clause 0x4
	scratch_load_b128 v[5:8], off, off offset:88
	scratch_load_b128 v[1:4], off, off offset:104
	;; [unrolled: 1-line block ×5, first 2 shown]
	v_mov_b32_e32 v21, 0
	ds_load_2addr_b64 v[22:25], v21 offset0:67 offset1:68
	ds_load_2addr_b64 v[28:31], v21 offset0:69 offset1:70
	;; [unrolled: 1-line block ×3, first 2 shown]
	scratch_load_b64 v[148:149], off, off offset:80
	s_mov_b32 s0, exec_lo
	s_wait_loadcnt_dscnt 0x502
	v_dual_mul_f32 v150, v22, v6 :: v_dual_mul_f32 v151, v24, v8
	v_mul_f32_e32 v26, v23, v6
	v_mul_f32_e32 v6, v25, v8
	s_wait_loadcnt_dscnt 0x300
	v_mul_f32_e32 v152, v146, v12
	v_dual_fmac_f32 v150, v23, v5 :: v_dual_fmac_f32 v151, v25, v7
	v_mul_f32_e32 v25, v30, v4
	v_fma_f32 v22, v22, v5, -v26
	v_mul_f32_e32 v26, v144, v10
	v_mul_f32_e32 v4, v31, v4
	s_delay_alu instid0(VALU_DEP_4)
	v_dual_mul_f32 v10, v145, v10 :: v_dual_fmac_f32 v25, v31, v3
	v_fma_f32 v23, v24, v7, -v6
	ds_load_2addr_b64 v[5:8], v21 offset0:73 offset1:74
	v_mul_f32_e32 v24, v28, v2
	v_mul_f32_e32 v12, v147, v12
	;; [unrolled: 1-line block ×3, first 2 shown]
	v_fmac_f32_e32 v26, v145, v9
	v_fmac_f32_e32 v152, v147, v11
	;; [unrolled: 1-line block ×3, first 2 shown]
	v_fma_f32 v29, v30, v3, -v4
	v_fma_f32 v30, v144, v9, -v10
	;; [unrolled: 1-line block ×3, first 2 shown]
	ds_load_2addr_b64 v[9:12], v21 offset0:75 offset1:76
	s_wait_loadcnt_dscnt 0x201
	v_dual_mul_f32 v145, v7, v16 :: v_dual_mul_f32 v144, v5, v14
	v_mul_f32_e32 v14, v6, v14
	v_mul_f32_e32 v16, v8, v16
	s_delay_alu instid0(VALU_DEP_3)
	v_fmac_f32_e32 v145, v8, v15
	v_fma_f32 v28, v28, v1, -v2
	scratch_load_b128 v[1:4], off, off offset:168
	v_fmac_f32_e32 v144, v6, v13
	v_fma_f32 v13, v5, v13, -v14
	v_fma_f32 v14, v7, v15, -v16
	s_wait_loadcnt_dscnt 0x200
	v_mul_f32_e32 v15, v9, v18
	v_mul_f32_e32 v16, v10, v18
	;; [unrolled: 1-line block ×4, first 2 shown]
	ds_load_2addr_b64 v[5:8], v21 offset0:77 offset1:78
	v_fmac_f32_e32 v15, v10, v17
	v_fma_f32 v16, v9, v17, -v16
	v_fmac_f32_e32 v18, v12, v19
	v_fma_f32 v17, v11, v19, -v20
	scratch_load_b128 v[9:12], off, off offset:184
	s_wait_loadcnt_dscnt 0x100
	v_mul_f32_e32 v19, v5, v2
	v_mul_f32_e32 v2, v6, v2
	;; [unrolled: 1-line block ×3, first 2 shown]
	s_delay_alu instid0(VALU_DEP_3) | instskip(NEXT) | instid1(VALU_DEP_3)
	v_dual_mul_f32 v4, v8, v4 :: v_dual_fmac_f32 v19, v6, v1
	v_fma_f32 v146, v5, v1, -v2
	s_delay_alu instid0(VALU_DEP_3) | instskip(NEXT) | instid1(VALU_DEP_3)
	v_fmac_f32_e32 v20, v8, v3
	v_fma_f32 v147, v7, v3, -v4
	ds_load_2addr_b64 v[1:4], v21 offset0:79 offset1:80
	ds_load_2addr_b64 v[5:8], v21 offset0:81 offset1:82
	s_wait_loadcnt_dscnt 0x1
	v_mul_f32_e32 v153, v1, v10
	v_mul_f32_e32 v10, v2, v10
	s_delay_alu instid0(VALU_DEP_2) | instskip(NEXT) | instid1(VALU_DEP_2)
	v_dual_mul_f32 v154, v3, v12 :: v_dual_fmac_f32 v153, v2, v9
	v_fma_f32 v155, v1, v9, -v10
	v_mul_f32_e32 v1, v4, v12
	s_delay_alu instid0(VALU_DEP_3) | instskip(NEXT) | instid1(VALU_DEP_2)
	v_fmac_f32_e32 v154, v4, v11
	v_fma_f32 v156, v3, v11, -v1
	s_clause 0x1
	scratch_load_b128 v[1:4], off, off offset:200
	scratch_load_b128 v[9:12], off, off offset:216
	s_wait_loadcnt_dscnt 0x100
	v_mul_f32_e32 v157, v5, v2
	v_dual_mul_f32 v2, v6, v2 :: v_dual_mul_f32 v159, v7, v4
	s_delay_alu instid0(VALU_DEP_2) | instskip(NEXT) | instid1(VALU_DEP_2)
	v_fmac_f32_e32 v157, v6, v1
	v_fma_f32 v158, v5, v1, -v2
	v_mul_f32_e32 v1, v8, v4
	s_delay_alu instid0(VALU_DEP_4) | instskip(NEXT) | instid1(VALU_DEP_2)
	v_fmac_f32_e32 v159, v8, v3
	v_fma_f32 v160, v7, v3, -v1
	ds_load_2addr_b64 v[1:4], v21 offset0:83 offset1:84
	ds_load_2addr_b64 v[5:8], v21 offset0:85 offset1:86
	s_wait_loadcnt_dscnt 0x1
	v_mul_f32_e32 v161, v1, v10
	v_mul_f32_e32 v163, v3, v12
	s_delay_alu instid0(VALU_DEP_2) | instskip(NEXT) | instid1(VALU_DEP_2)
	v_fmac_f32_e32 v161, v2, v9
	v_dual_mul_f32 v2, v2, v10 :: v_dual_fmac_f32 v163, v4, v11
	s_delay_alu instid0(VALU_DEP_1) | instskip(SKIP_1) | instid1(VALU_DEP_1)
	v_fma_f32 v162, v1, v9, -v2
	v_mul_f32_e32 v1, v4, v12
	v_fma_f32 v164, v3, v11, -v1
	s_clause 0x1
	scratch_load_b128 v[1:4], off, off offset:232
	scratch_load_b128 v[9:12], off, off offset:248
	s_wait_loadcnt_dscnt 0x100
	v_mul_f32_e32 v165, v5, v2
	v_dual_mul_f32 v2, v6, v2 :: v_dual_mul_f32 v167, v7, v4
	s_delay_alu instid0(VALU_DEP_2) | instskip(NEXT) | instid1(VALU_DEP_2)
	v_fmac_f32_e32 v165, v6, v1
	v_fma_f32 v166, v5, v1, -v2
	v_mul_f32_e32 v1, v8, v4
	s_delay_alu instid0(VALU_DEP_4) | instskip(NEXT) | instid1(VALU_DEP_2)
	v_fmac_f32_e32 v167, v8, v3
	v_fma_f32 v168, v7, v3, -v1
	ds_load_2addr_b64 v[1:4], v21 offset0:87 offset1:88
	ds_load_2addr_b64 v[5:8], v21 offset0:89 offset1:90
	s_wait_loadcnt_dscnt 0x1
	v_mul_f32_e32 v169, v1, v10
	v_mul_f32_e32 v171, v3, v12
	s_delay_alu instid0(VALU_DEP_2) | instskip(NEXT) | instid1(VALU_DEP_2)
	v_fmac_f32_e32 v169, v2, v9
	v_dual_mul_f32 v2, v2, v10 :: v_dual_fmac_f32 v171, v4, v11
	s_delay_alu instid0(VALU_DEP_1) | instskip(SKIP_1) | instid1(VALU_DEP_1)
	v_fma_f32 v170, v1, v9, -v2
	v_mul_f32_e32 v1, v4, v12
	;; [unrolled: 25-line block ×5, first 2 shown]
	v_fma_f32 v196, v3, v11, -v1
	s_clause 0x1
	scratch_load_b128 v[1:4], off, off offset:360
	scratch_load_b128 v[9:12], off, off offset:376
	s_wait_loadcnt_dscnt 0x100
	v_mul_f32_e32 v197, v5, v2
	v_mul_f32_e32 v2, v6, v2
	s_delay_alu instid0(VALU_DEP_1) | instskip(SKIP_1) | instid1(VALU_DEP_1)
	v_fma_f32 v198, v5, v1, -v2
	v_add_f32_e32 v2, 0, v150
	v_add_f32_e32 v2, v2, v151
	s_delay_alu instid0(VALU_DEP_1) | instskip(NEXT) | instid1(VALU_DEP_1)
	v_add_f32_e32 v2, v2, v24
	v_add_f32_e32 v2, v2, v25
	s_delay_alu instid0(VALU_DEP_1) | instskip(NEXT) | instid1(VALU_DEP_1)
	;; [unrolled: 3-line block ×8, first 2 shown]
	v_add_f32_e32 v2, v2, v161
	v_add_f32_e32 v2, v2, v163
	s_delay_alu instid0(VALU_DEP_1) | instskip(SKIP_2) | instid1(VALU_DEP_3)
	v_add_f32_e32 v2, v2, v165
	v_fmac_f32_e32 v197, v6, v1
	v_mul_f32_e32 v1, v8, v4
	v_dual_mul_f32 v199, v7, v4 :: v_dual_add_f32 v2, v2, v167
	s_delay_alu instid0(VALU_DEP_2) | instskip(SKIP_1) | instid1(VALU_DEP_3)
	v_fma_f32 v200, v7, v3, -v1
	v_add_f32_e32 v1, 0, v22
	v_add_f32_e32 v5, v2, v169
	s_delay_alu instid0(VALU_DEP_2) | instskip(NEXT) | instid1(VALU_DEP_2)
	v_add_f32_e32 v1, v1, v23
	v_add_f32_e32 v5, v5, v171
	s_delay_alu instid0(VALU_DEP_2) | instskip(NEXT) | instid1(VALU_DEP_1)
	v_add_f32_e32 v1, v1, v28
	v_add_f32_e32 v1, v1, v29
	scratch_load_b64 v[28:29], off, off offset:440
	v_add_f32_e32 v1, v1, v30
	s_delay_alu instid0(VALU_DEP_1) | instskip(NEXT) | instid1(VALU_DEP_1)
	v_add_f32_e32 v1, v1, v31
	v_add_f32_e32 v1, v1, v13
	s_delay_alu instid0(VALU_DEP_1) | instskip(NEXT) | instid1(VALU_DEP_1)
	v_add_f32_e32 v1, v1, v14
	;; [unrolled: 3-line block ×8, first 2 shown]
	v_add_f32_e32 v1, v1, v170
	s_delay_alu instid0(VALU_DEP_1) | instskip(SKIP_2) | instid1(VALU_DEP_1)
	v_dual_add_f32 v6, v1, v172 :: v_dual_fmac_f32 v199, v8, v3
	ds_load_2addr_b64 v[1:4], v21 offset0:103 offset1:104
	v_dual_add_f32 v5, v5, v173 :: v_dual_add_f32 v6, v6, v174
	v_dual_add_f32 v14, v5, v175 :: v_dual_add_f32 v13, v6, v176
	ds_load_2addr_b64 v[5:8], v21 offset0:105 offset1:106
	v_add_f32_e32 v14, v14, v177
	s_delay_alu instid0(VALU_DEP_1)
	v_add_f32_e32 v14, v14, v179
	s_wait_loadcnt_dscnt 0x101
	v_mul_f32_e32 v26, v1, v10
	v_mul_f32_e32 v10, v2, v10
	;; [unrolled: 1-line block ×3, first 2 shown]
	v_dual_mul_f32 v12, v4, v12 :: v_dual_add_f32 v17, v14, v181
	s_delay_alu instid0(VALU_DEP_4) | instskip(NEXT) | instid1(VALU_DEP_4)
	v_fmac_f32_e32 v26, v2, v9
	v_fma_f32 v145, v1, v9, -v10
	s_delay_alu instid0(VALU_DEP_4) | instskip(NEXT) | instid1(VALU_DEP_4)
	v_fmac_f32_e32 v144, v4, v11
	v_fma_f32 v146, v3, v11, -v12
	s_clause 0x1
	scratch_load_b128 v[1:4], off, off offset:392
	scratch_load_b128 v[9:12], off, off offset:408
	v_add_f32_e32 v13, v13, v178
	v_add_f32_e32 v17, v17, v183
	s_delay_alu instid0(VALU_DEP_2) | instskip(NEXT) | instid1(VALU_DEP_2)
	v_add_f32_e32 v13, v13, v180
	v_add_f32_e32 v17, v17, v185
	s_delay_alu instid0(VALU_DEP_2) | instskip(NEXT) | instid1(VALU_DEP_2)
	v_add_f32_e32 v13, v13, v182
	v_add_f32_e32 v17, v17, v187
	s_delay_alu instid0(VALU_DEP_2) | instskip(SKIP_2) | instid1(VALU_DEP_1)
	v_add_f32_e32 v18, v13, v184
	scratch_load_b128 v[13:16], off, off offset:424
	v_dual_add_f32 v17, v17, v189 :: v_dual_add_f32 v18, v18, v186
	v_add_f32_e32 v22, v17, v191
	s_delay_alu instid0(VALU_DEP_2) | instskip(NEXT) | instid1(VALU_DEP_2)
	v_add_f32_e32 v18, v18, v188
	v_add_f32_e32 v31, v22, v193
	ds_load_2addr_b64 v[22:25], v21 offset0:109 offset1:110
	v_add_f32_e32 v18, v18, v190
	v_add_f32_e32 v150, v31, v195
	s_delay_alu instid0(VALU_DEP_2) | instskip(NEXT) | instid1(VALU_DEP_2)
	v_add_f32_e32 v18, v18, v192
	v_add_f32_e32 v150, v150, v197
	s_delay_alu instid0(VALU_DEP_2)
	v_add_f32_e32 v30, v18, v194
	ds_load_2addr_b64 v[17:20], v21 offset0:107 offset1:108
	v_add_f32_e32 v150, v150, v199
	v_add_f32_e32 v147, v30, v196
	ds_load_b64 v[30:31], v21 offset:888
	v_add_f32_e32 v26, v150, v26
	s_delay_alu instid0(VALU_DEP_1) | instskip(NEXT) | instid1(VALU_DEP_1)
	v_dual_add_f32 v147, v147, v198 :: v_dual_add_f32 v26, v26, v144
	v_add_f32_e32 v147, v147, v200
	s_delay_alu instid0(VALU_DEP_1) | instskip(SKIP_1) | instid1(VALU_DEP_1)
	v_add_f32_e32 v145, v147, v145
	s_wait_loadcnt_dscnt 0x300
	v_dual_add_f32 v145, v145, v146 :: v_dual_mul_f32 v144, v30, v29
	s_wait_loadcnt 0x2
	s_delay_alu instid0(VALU_DEP_1)
	v_dual_fmac_f32 v144, v31, v28 :: v_dual_mul_f32 v151, v5, v2
	v_mul_f32_e32 v2, v6, v2
	v_mul_f32_e32 v152, v7, v4
	s_wait_loadcnt 0x1
	v_dual_mul_f32 v4, v8, v4 :: v_dual_mul_f32 v147, v17, v10
	v_fmac_f32_e32 v151, v6, v1
	v_fma_f32 v2, v5, v1, -v2
	v_fmac_f32_e32 v152, v8, v3
	s_delay_alu instid0(VALU_DEP_4)
	v_fma_f32 v1, v7, v3, -v4
	v_mul_f32_e32 v3, v18, v10
	v_add_f32_e32 v4, v26, v151
	v_add_f32_e32 v2, v145, v2
	v_mul_f32_e32 v150, v19, v12
	v_mul_f32_e32 v5, v20, v12
	v_fmac_f32_e32 v147, v18, v9
	v_fma_f32 v3, v17, v9, -v3
	v_dual_add_f32 v1, v2, v1 :: v_dual_add_f32 v2, v4, v152
	s_wait_loadcnt 0x0
	v_mul_f32_e32 v153, v22, v14
	v_mul_f32_e32 v4, v23, v14
	v_fmac_f32_e32 v150, v20, v11
	v_fma_f32 v5, v19, v11, -v5
	v_add_f32_e32 v1, v1, v3
	v_add_f32_e32 v2, v2, v147
	v_mul_f32_e32 v146, v24, v16
	v_mul_f32_e32 v3, v25, v16
	v_fmac_f32_e32 v153, v23, v13
	v_fma_f32 v4, v22, v13, -v4
	v_dual_add_f32 v1, v1, v5 :: v_dual_add_f32 v2, v2, v150
	v_dual_mul_f32 v5, v31, v29 :: v_dual_fmac_f32 v146, v25, v15
	v_fma_f32 v3, v24, v15, -v3
	s_delay_alu instid0(VALU_DEP_3) | instskip(NEXT) | instid1(VALU_DEP_3)
	v_dual_add_f32 v1, v1, v4 :: v_dual_add_f32 v2, v2, v153
	v_fma_f32 v4, v30, v28, -v5
	s_delay_alu instid0(VALU_DEP_2) | instskip(NEXT) | instid1(VALU_DEP_1)
	v_dual_add_f32 v1, v1, v3 :: v_dual_add_f32 v2, v2, v146
	v_add_f32_e32 v1, v1, v4
	s_delay_alu instid0(VALU_DEP_1) | instskip(NEXT) | instid1(VALU_DEP_1)
	v_dual_add_f32 v2, v2, v144 :: v_dual_sub_f32 v1, v148, v1
	v_sub_f32_e32 v2, v149, v2
	scratch_store_b64 off, v[1:2], off offset:80
	v_cmpx_lt_u32_e32 9, v0
	s_cbranch_execz .LBB119_331
; %bb.330:
	scratch_load_b64 v[1:2], off, off offset:72
	v_mov_b32_e32 v22, v21
	scratch_store_b64 off, v[21:22], off offset:72
	s_wait_loadcnt 0x0
	ds_store_b64 v27, v[1:2]
.LBB119_331:
	s_wait_alu 0xfffe
	s_or_b32 exec_lo, exec_lo, s0
	s_wait_storecnt_dscnt 0x0
	s_barrier_signal -1
	s_barrier_wait -1
	global_inv scope:SCOPE_SE
	s_clause 0x4
	scratch_load_b128 v[5:8], off, off offset:80
	scratch_load_b128 v[1:4], off, off offset:96
	;; [unrolled: 1-line block ×5, first 2 shown]
	ds_load_b128 v[22:25], v21 offset:528
	ds_load_b128 v[28:31], v21 offset:544
	;; [unrolled: 1-line block ×3, first 2 shown]
	scratch_load_b64 v[148:149], off, off offset:72
	s_mov_b32 s0, exec_lo
	s_wait_loadcnt_dscnt 0x502
	v_dual_mul_f32 v26, v23, v6 :: v_dual_mul_f32 v151, v24, v8
	v_mul_f32_e32 v150, v22, v6
	v_mul_f32_e32 v6, v25, v8
	s_wait_loadcnt_dscnt 0x300
	v_mul_f32_e32 v152, v146, v12
	v_fma_f32 v22, v22, v5, -v26
	v_dual_fmac_f32 v151, v25, v7 :: v_dual_fmac_f32 v150, v23, v5
	v_mul_f32_e32 v25, v30, v4
	v_mul_f32_e32 v4, v31, v4
	;; [unrolled: 1-line block ×5, first 2 shown]
	v_fmac_f32_e32 v25, v31, v3
	v_fma_f32 v23, v24, v7, -v6
	ds_load_b128 v[5:8], v21 offset:576
	v_mul_f32_e32 v24, v28, v2
	v_mul_f32_e32 v2, v29, v2
	v_fmac_f32_e32 v26, v145, v9
	v_fmac_f32_e32 v152, v147, v11
	v_fma_f32 v31, v146, v11, -v12
	v_fmac_f32_e32 v24, v29, v1
	v_fma_f32 v29, v30, v3, -v4
	v_fma_f32 v30, v144, v9, -v10
	ds_load_b128 v[9:12], v21 offset:592
	s_wait_loadcnt_dscnt 0x201
	v_dual_mul_f32 v145, v7, v16 :: v_dual_mul_f32 v144, v5, v14
	v_mul_f32_e32 v14, v6, v14
	v_mul_f32_e32 v16, v8, v16
	s_delay_alu instid0(VALU_DEP_3)
	v_fmac_f32_e32 v145, v8, v15
	v_fma_f32 v28, v28, v1, -v2
	scratch_load_b128 v[1:4], off, off offset:160
	v_fmac_f32_e32 v144, v6, v13
	v_fma_f32 v13, v5, v13, -v14
	v_fma_f32 v14, v7, v15, -v16
	s_wait_loadcnt_dscnt 0x200
	v_mul_f32_e32 v15, v9, v18
	v_mul_f32_e32 v16, v10, v18
	;; [unrolled: 1-line block ×4, first 2 shown]
	ds_load_b128 v[5:8], v21 offset:608
	v_fmac_f32_e32 v15, v10, v17
	v_fma_f32 v16, v9, v17, -v16
	v_fmac_f32_e32 v18, v12, v19
	v_fma_f32 v17, v11, v19, -v20
	scratch_load_b128 v[9:12], off, off offset:176
	s_wait_loadcnt_dscnt 0x100
	v_mul_f32_e32 v19, v5, v2
	v_mul_f32_e32 v2, v6, v2
	;; [unrolled: 1-line block ×3, first 2 shown]
	s_delay_alu instid0(VALU_DEP_3) | instskip(NEXT) | instid1(VALU_DEP_3)
	v_dual_mul_f32 v4, v8, v4 :: v_dual_fmac_f32 v19, v6, v1
	v_fma_f32 v146, v5, v1, -v2
	s_delay_alu instid0(VALU_DEP_3) | instskip(NEXT) | instid1(VALU_DEP_3)
	v_fmac_f32_e32 v20, v8, v3
	v_fma_f32 v147, v7, v3, -v4
	ds_load_b128 v[1:4], v21 offset:624
	ds_load_b128 v[5:8], v21 offset:640
	s_wait_loadcnt_dscnt 0x1
	v_mul_f32_e32 v153, v1, v10
	v_mul_f32_e32 v10, v2, v10
	s_delay_alu instid0(VALU_DEP_2) | instskip(NEXT) | instid1(VALU_DEP_2)
	v_dual_mul_f32 v154, v3, v12 :: v_dual_fmac_f32 v153, v2, v9
	v_fma_f32 v155, v1, v9, -v10
	v_mul_f32_e32 v1, v4, v12
	s_delay_alu instid0(VALU_DEP_3) | instskip(NEXT) | instid1(VALU_DEP_2)
	v_fmac_f32_e32 v154, v4, v11
	v_fma_f32 v156, v3, v11, -v1
	s_clause 0x1
	scratch_load_b128 v[1:4], off, off offset:192
	scratch_load_b128 v[9:12], off, off offset:208
	s_wait_loadcnt_dscnt 0x100
	v_mul_f32_e32 v157, v5, v2
	v_dual_mul_f32 v2, v6, v2 :: v_dual_mul_f32 v159, v7, v4
	s_delay_alu instid0(VALU_DEP_2) | instskip(NEXT) | instid1(VALU_DEP_2)
	v_fmac_f32_e32 v157, v6, v1
	v_fma_f32 v158, v5, v1, -v2
	v_mul_f32_e32 v1, v8, v4
	s_delay_alu instid0(VALU_DEP_4) | instskip(NEXT) | instid1(VALU_DEP_2)
	v_fmac_f32_e32 v159, v8, v3
	v_fma_f32 v160, v7, v3, -v1
	ds_load_b128 v[1:4], v21 offset:656
	ds_load_b128 v[5:8], v21 offset:672
	s_wait_loadcnt_dscnt 0x1
	v_mul_f32_e32 v161, v1, v10
	v_mul_f32_e32 v163, v3, v12
	s_delay_alu instid0(VALU_DEP_2) | instskip(NEXT) | instid1(VALU_DEP_2)
	v_fmac_f32_e32 v161, v2, v9
	v_dual_mul_f32 v2, v2, v10 :: v_dual_fmac_f32 v163, v4, v11
	s_delay_alu instid0(VALU_DEP_1) | instskip(SKIP_1) | instid1(VALU_DEP_1)
	v_fma_f32 v162, v1, v9, -v2
	v_mul_f32_e32 v1, v4, v12
	v_fma_f32 v164, v3, v11, -v1
	s_clause 0x1
	scratch_load_b128 v[1:4], off, off offset:224
	scratch_load_b128 v[9:12], off, off offset:240
	s_wait_loadcnt_dscnt 0x100
	v_mul_f32_e32 v165, v5, v2
	v_dual_mul_f32 v2, v6, v2 :: v_dual_mul_f32 v167, v7, v4
	s_delay_alu instid0(VALU_DEP_2) | instskip(NEXT) | instid1(VALU_DEP_2)
	v_fmac_f32_e32 v165, v6, v1
	v_fma_f32 v166, v5, v1, -v2
	v_mul_f32_e32 v1, v8, v4
	s_delay_alu instid0(VALU_DEP_4) | instskip(NEXT) | instid1(VALU_DEP_2)
	v_fmac_f32_e32 v167, v8, v3
	v_fma_f32 v168, v7, v3, -v1
	ds_load_b128 v[1:4], v21 offset:688
	ds_load_b128 v[5:8], v21 offset:704
	s_wait_loadcnt_dscnt 0x1
	v_mul_f32_e32 v169, v1, v10
	v_mul_f32_e32 v171, v3, v12
	s_delay_alu instid0(VALU_DEP_2) | instskip(NEXT) | instid1(VALU_DEP_2)
	v_fmac_f32_e32 v169, v2, v9
	v_dual_mul_f32 v2, v2, v10 :: v_dual_fmac_f32 v171, v4, v11
	s_delay_alu instid0(VALU_DEP_1) | instskip(SKIP_1) | instid1(VALU_DEP_1)
	v_fma_f32 v170, v1, v9, -v2
	v_mul_f32_e32 v1, v4, v12
	;; [unrolled: 25-line block ×5, first 2 shown]
	v_fma_f32 v196, v3, v11, -v1
	s_clause 0x1
	scratch_load_b128 v[1:4], off, off offset:352
	scratch_load_b128 v[9:12], off, off offset:368
	s_wait_loadcnt_dscnt 0x100
	v_mul_f32_e32 v197, v5, v2
	v_mul_f32_e32 v2, v6, v2
	s_delay_alu instid0(VALU_DEP_1) | instskip(SKIP_1) | instid1(VALU_DEP_1)
	v_fma_f32 v198, v5, v1, -v2
	v_add_f32_e32 v2, 0, v150
	v_add_f32_e32 v2, v2, v151
	s_delay_alu instid0(VALU_DEP_1) | instskip(NEXT) | instid1(VALU_DEP_1)
	v_add_f32_e32 v2, v2, v24
	v_add_f32_e32 v2, v2, v25
	s_delay_alu instid0(VALU_DEP_1) | instskip(NEXT) | instid1(VALU_DEP_1)
	;; [unrolled: 3-line block ×8, first 2 shown]
	v_add_f32_e32 v2, v2, v161
	v_add_f32_e32 v2, v2, v163
	s_delay_alu instid0(VALU_DEP_1) | instskip(SKIP_2) | instid1(VALU_DEP_3)
	v_add_f32_e32 v2, v2, v165
	v_fmac_f32_e32 v197, v6, v1
	v_mul_f32_e32 v1, v8, v4
	v_dual_mul_f32 v199, v7, v4 :: v_dual_add_f32 v2, v2, v167
	s_delay_alu instid0(VALU_DEP_2) | instskip(SKIP_1) | instid1(VALU_DEP_3)
	v_fma_f32 v200, v7, v3, -v1
	v_add_f32_e32 v1, 0, v22
	v_dual_fmac_f32 v199, v8, v3 :: v_dual_add_f32 v2, v2, v169
	s_delay_alu instid0(VALU_DEP_2) | instskip(NEXT) | instid1(VALU_DEP_2)
	v_add_f32_e32 v1, v1, v23
	v_add_f32_e32 v5, v2, v171
	s_delay_alu instid0(VALU_DEP_2) | instskip(NEXT) | instid1(VALU_DEP_1)
	v_add_f32_e32 v1, v1, v28
	v_add_f32_e32 v1, v1, v29
	s_delay_alu instid0(VALU_DEP_1) | instskip(NEXT) | instid1(VALU_DEP_1)
	v_add_f32_e32 v1, v1, v30
	v_add_f32_e32 v1, v1, v31
	s_delay_alu instid0(VALU_DEP_1) | instskip(SKIP_1) | instid1(VALU_DEP_2)
	v_add_f32_e32 v1, v1, v13
	v_add_f32_e32 v13, v5, v173
	;; [unrolled: 1-line block ×3, first 2 shown]
	s_delay_alu instid0(VALU_DEP_2) | instskip(NEXT) | instid1(VALU_DEP_2)
	v_add_f32_e32 v13, v13, v175
	v_add_f32_e32 v1, v1, v16
	s_delay_alu instid0(VALU_DEP_1) | instskip(NEXT) | instid1(VALU_DEP_1)
	v_add_f32_e32 v1, v1, v17
	v_add_f32_e32 v1, v1, v146
	s_delay_alu instid0(VALU_DEP_1) | instskip(NEXT) | instid1(VALU_DEP_1)
	v_add_f32_e32 v1, v1, v147
	v_add_f32_e32 v1, v1, v155
	s_delay_alu instid0(VALU_DEP_1) | instskip(NEXT) | instid1(VALU_DEP_1)
	v_add_f32_e32 v1, v1, v156
	v_add_f32_e32 v1, v1, v158
	s_delay_alu instid0(VALU_DEP_1) | instskip(NEXT) | instid1(VALU_DEP_1)
	v_add_f32_e32 v1, v1, v160
	v_add_f32_e32 v1, v1, v162
	s_delay_alu instid0(VALU_DEP_1) | instskip(NEXT) | instid1(VALU_DEP_1)
	v_add_f32_e32 v1, v1, v164
	v_add_f32_e32 v1, v1, v166
	s_delay_alu instid0(VALU_DEP_1) | instskip(NEXT) | instid1(VALU_DEP_1)
	v_add_f32_e32 v1, v1, v168
	v_add_f32_e32 v1, v1, v170
	s_delay_alu instid0(VALU_DEP_1) | instskip(NEXT) | instid1(VALU_DEP_1)
	v_add_f32_e32 v1, v1, v172
	v_add_f32_e32 v6, v1, v174
	ds_load_b128 v[1:4], v21 offset:816
	v_dual_add_f32 v13, v13, v177 :: v_dual_add_f32 v14, v6, v176
	scratch_load_b128 v[5:8], off, off offset:384
	v_add_f32_e32 v18, v13, v179
	v_add_f32_e32 v14, v14, v178
	s_delay_alu instid0(VALU_DEP_2) | instskip(NEXT) | instid1(VALU_DEP_2)
	v_add_f32_e32 v18, v18, v181
	v_add_f32_e32 v17, v14, v180
	ds_load_b128 v[13:16], v21 offset:832
	v_dual_add_f32 v18, v18, v183 :: v_dual_add_f32 v17, v17, v182
	s_wait_loadcnt_dscnt 0x101
	v_mul_f32_e32 v25, v1, v10
	v_mul_f32_e32 v10, v2, v10
	;; [unrolled: 1-line block ×4, first 2 shown]
	v_add_f32_e32 v17, v17, v184
	v_fmac_f32_e32 v25, v2, v9
	v_fma_f32 v28, v1, v9, -v10
	v_fmac_f32_e32 v26, v4, v11
	v_fma_f32 v29, v3, v11, -v12
	s_clause 0x1
	scratch_load_b128 v[1:4], off, off offset:400
	scratch_load_b128 v[9:12], off, off offset:416
	v_dual_add_f32 v17, v17, v186 :: v_dual_add_f32 v22, v18, v185
	s_delay_alu instid0(VALU_DEP_1) | instskip(SKIP_2) | instid1(VALU_DEP_1)
	v_add_f32_e32 v23, v17, v188
	scratch_load_b128 v[17:20], off, off offset:432
	v_dual_add_f32 v22, v22, v187 :: v_dual_add_f32 v23, v23, v190
	v_dual_add_f32 v22, v22, v189 :: v_dual_add_f32 v23, v23, v192
	s_wait_loadcnt_dscnt 0x300
	v_mul_f32_e32 v30, v13, v6
	v_dual_mul_f32 v6, v14, v6 :: v_dual_mul_f32 v31, v15, v8
	v_mul_f32_e32 v8, v16, v8
	s_delay_alu instid0(VALU_DEP_3) | instskip(NEXT) | instid1(VALU_DEP_3)
	v_fmac_f32_e32 v30, v14, v5
	v_fma_f32 v144, v13, v5, -v6
	v_dual_add_f32 v13, v22, v191 :: v_dual_add_f32 v22, v23, v194
	v_fmac_f32_e32 v31, v16, v7
	v_fma_f32 v145, v15, v7, -v8
	ds_load_b128 v[5:8], v21 offset:848
	v_dual_add_f32 v23, v13, v193 :: v_dual_add_f32 v146, v22, v196
	ds_load_b128 v[13:16], v21 offset:864
	v_dual_add_f32 v147, v23, v195 :: v_dual_add_f32 v146, v146, v198
	;; [unrolled: 2-line block ×3, first 2 shown]
	s_delay_alu instid0(VALU_DEP_1) | instskip(SKIP_1) | instid1(VALU_DEP_1)
	v_dual_add_f32 v147, v147, v199 :: v_dual_add_f32 v28, v146, v28
	s_wait_loadcnt_dscnt 0x202
	v_dual_mul_f32 v150, v5, v2 :: v_dual_add_f32 v25, v147, v25
	s_delay_alu instid0(VALU_DEP_2) | instskip(SKIP_2) | instid1(VALU_DEP_4)
	v_add_f32_e32 v28, v28, v29
	v_mul_f32_e32 v2, v6, v2
	v_mul_f32_e32 v146, v7, v4
	v_dual_mul_f32 v4, v8, v4 :: v_dual_add_f32 v25, v25, v26
	s_delay_alu instid0(VALU_DEP_4) | instskip(NEXT) | instid1(VALU_DEP_4)
	v_add_f32_e32 v28, v28, v144
	v_fma_f32 v2, v5, v1, -v2
	s_wait_loadcnt_dscnt 0x101
	v_dual_fmac_f32 v150, v6, v1 :: v_dual_mul_f32 v147, v13, v10
	v_add_f32_e32 v25, v25, v30
	v_dual_add_f32 v1, v28, v145 :: v_dual_mul_f32 v6, v14, v10
	v_fmac_f32_e32 v146, v8, v3
	v_fma_f32 v3, v7, v3, -v4
	s_delay_alu instid0(VALU_DEP_4) | instskip(NEXT) | instid1(VALU_DEP_4)
	v_add_f32_e32 v5, v25, v31
	v_add_f32_e32 v1, v1, v2
	v_mul_f32_e32 v151, v15, v12
	v_dual_mul_f32 v4, v16, v12 :: v_dual_fmac_f32 v147, v14, v9
	s_delay_alu instid0(VALU_DEP_4)
	v_add_f32_e32 v2, v5, v150
	v_fma_f32 v5, v13, v9, -v6
	v_add_f32_e32 v1, v1, v3
	s_wait_loadcnt_dscnt 0x0
	v_mul_f32_e32 v26, v21, v18
	v_mul_f32_e32 v3, v22, v18
	v_dual_add_f32 v2, v2, v146 :: v_dual_fmac_f32 v151, v16, v11
	v_fma_f32 v4, v15, v11, -v4
	v_add_f32_e32 v1, v1, v5
	s_delay_alu instid0(VALU_DEP_3) | instskip(SKIP_2) | instid1(VALU_DEP_3)
	v_dual_mul_f32 v29, v23, v20 :: v_dual_add_f32 v2, v2, v147
	v_dual_mul_f32 v5, v24, v20 :: v_dual_fmac_f32 v26, v22, v17
	v_fma_f32 v3, v21, v17, -v3
	v_dual_add_f32 v1, v1, v4 :: v_dual_add_f32 v2, v2, v151
	s_delay_alu instid0(VALU_DEP_4) | instskip(NEXT) | instid1(VALU_DEP_4)
	v_fmac_f32_e32 v29, v24, v19
	v_fma_f32 v4, v23, v19, -v5
	s_delay_alu instid0(VALU_DEP_3) | instskip(NEXT) | instid1(VALU_DEP_1)
	v_dual_add_f32 v1, v1, v3 :: v_dual_add_f32 v2, v2, v26
	v_dual_add_f32 v1, v1, v4 :: v_dual_add_f32 v2, v2, v29
	s_delay_alu instid0(VALU_DEP_1)
	v_dual_sub_f32 v1, v148, v1 :: v_dual_sub_f32 v2, v149, v2
	scratch_store_b64 off, v[1:2], off offset:72
	v_cmpx_lt_u32_e32 8, v0
	s_cbranch_execz .LBB119_333
; %bb.332:
	scratch_load_b64 v[1:2], off, off offset:64
	v_mov_b32_e32 v3, 0
	s_delay_alu instid0(VALU_DEP_1)
	v_mov_b32_e32 v4, v3
	scratch_store_b64 off, v[3:4], off offset:64
	s_wait_loadcnt 0x0
	ds_store_b64 v27, v[1:2]
.LBB119_333:
	s_wait_alu 0xfffe
	s_or_b32 exec_lo, exec_lo, s0
	s_wait_storecnt_dscnt 0x0
	s_barrier_signal -1
	s_barrier_wait -1
	global_inv scope:SCOPE_SE
	s_clause 0x4
	scratch_load_b128 v[5:8], off, off offset:72
	scratch_load_b128 v[1:4], off, off offset:88
	;; [unrolled: 1-line block ×5, first 2 shown]
	v_mov_b32_e32 v21, 0
	ds_load_2addr_b64 v[22:25], v21 offset0:65 offset1:66
	ds_load_2addr_b64 v[28:31], v21 offset0:67 offset1:68
	;; [unrolled: 1-line block ×3, first 2 shown]
	scratch_load_b64 v[148:149], off, off offset:64
	s_mov_b32 s0, exec_lo
	s_wait_loadcnt_dscnt 0x502
	v_dual_mul_f32 v150, v22, v6 :: v_dual_mul_f32 v151, v24, v8
	v_mul_f32_e32 v26, v23, v6
	v_mul_f32_e32 v6, v25, v8
	s_wait_loadcnt_dscnt 0x300
	v_mul_f32_e32 v152, v146, v12
	v_dual_fmac_f32 v150, v23, v5 :: v_dual_fmac_f32 v151, v25, v7
	v_mul_f32_e32 v25, v30, v4
	v_fma_f32 v22, v22, v5, -v26
	v_mul_f32_e32 v26, v144, v10
	v_mul_f32_e32 v4, v31, v4
	s_delay_alu instid0(VALU_DEP_4)
	v_dual_mul_f32 v10, v145, v10 :: v_dual_fmac_f32 v25, v31, v3
	v_fma_f32 v23, v24, v7, -v6
	ds_load_2addr_b64 v[5:8], v21 offset0:71 offset1:72
	v_mul_f32_e32 v24, v28, v2
	v_mul_f32_e32 v12, v147, v12
	;; [unrolled: 1-line block ×3, first 2 shown]
	v_fmac_f32_e32 v26, v145, v9
	v_fmac_f32_e32 v152, v147, v11
	;; [unrolled: 1-line block ×3, first 2 shown]
	v_fma_f32 v29, v30, v3, -v4
	v_fma_f32 v30, v144, v9, -v10
	;; [unrolled: 1-line block ×3, first 2 shown]
	ds_load_2addr_b64 v[9:12], v21 offset0:73 offset1:74
	s_wait_loadcnt_dscnt 0x201
	v_dual_mul_f32 v145, v7, v16 :: v_dual_mul_f32 v144, v5, v14
	v_mul_f32_e32 v14, v6, v14
	v_mul_f32_e32 v16, v8, v16
	s_delay_alu instid0(VALU_DEP_3)
	v_fmac_f32_e32 v145, v8, v15
	v_fma_f32 v28, v28, v1, -v2
	scratch_load_b128 v[1:4], off, off offset:152
	v_fmac_f32_e32 v144, v6, v13
	v_fma_f32 v13, v5, v13, -v14
	v_fma_f32 v14, v7, v15, -v16
	s_wait_loadcnt_dscnt 0x200
	v_mul_f32_e32 v15, v9, v18
	v_mul_f32_e32 v16, v10, v18
	;; [unrolled: 1-line block ×4, first 2 shown]
	ds_load_2addr_b64 v[5:8], v21 offset0:75 offset1:76
	v_fmac_f32_e32 v15, v10, v17
	v_fma_f32 v16, v9, v17, -v16
	v_fmac_f32_e32 v18, v12, v19
	v_fma_f32 v17, v11, v19, -v20
	scratch_load_b128 v[9:12], off, off offset:168
	s_wait_loadcnt_dscnt 0x100
	v_mul_f32_e32 v19, v5, v2
	v_mul_f32_e32 v2, v6, v2
	;; [unrolled: 1-line block ×3, first 2 shown]
	s_delay_alu instid0(VALU_DEP_3) | instskip(NEXT) | instid1(VALU_DEP_3)
	v_dual_mul_f32 v4, v8, v4 :: v_dual_fmac_f32 v19, v6, v1
	v_fma_f32 v146, v5, v1, -v2
	s_delay_alu instid0(VALU_DEP_3) | instskip(NEXT) | instid1(VALU_DEP_3)
	v_fmac_f32_e32 v20, v8, v3
	v_fma_f32 v147, v7, v3, -v4
	ds_load_2addr_b64 v[1:4], v21 offset0:77 offset1:78
	ds_load_2addr_b64 v[5:8], v21 offset0:79 offset1:80
	s_wait_loadcnt_dscnt 0x1
	v_mul_f32_e32 v153, v1, v10
	v_mul_f32_e32 v10, v2, v10
	s_delay_alu instid0(VALU_DEP_2) | instskip(NEXT) | instid1(VALU_DEP_2)
	v_dual_mul_f32 v154, v3, v12 :: v_dual_fmac_f32 v153, v2, v9
	v_fma_f32 v155, v1, v9, -v10
	v_mul_f32_e32 v1, v4, v12
	s_delay_alu instid0(VALU_DEP_3) | instskip(NEXT) | instid1(VALU_DEP_2)
	v_fmac_f32_e32 v154, v4, v11
	v_fma_f32 v156, v3, v11, -v1
	s_clause 0x1
	scratch_load_b128 v[1:4], off, off offset:184
	scratch_load_b128 v[9:12], off, off offset:200
	s_wait_loadcnt_dscnt 0x100
	v_mul_f32_e32 v157, v5, v2
	v_dual_mul_f32 v2, v6, v2 :: v_dual_mul_f32 v159, v7, v4
	s_delay_alu instid0(VALU_DEP_2) | instskip(NEXT) | instid1(VALU_DEP_2)
	v_fmac_f32_e32 v157, v6, v1
	v_fma_f32 v158, v5, v1, -v2
	v_mul_f32_e32 v1, v8, v4
	s_delay_alu instid0(VALU_DEP_4) | instskip(NEXT) | instid1(VALU_DEP_2)
	v_fmac_f32_e32 v159, v8, v3
	v_fma_f32 v160, v7, v3, -v1
	ds_load_2addr_b64 v[1:4], v21 offset0:81 offset1:82
	ds_load_2addr_b64 v[5:8], v21 offset0:83 offset1:84
	s_wait_loadcnt_dscnt 0x1
	v_mul_f32_e32 v161, v1, v10
	v_mul_f32_e32 v163, v3, v12
	s_delay_alu instid0(VALU_DEP_2) | instskip(NEXT) | instid1(VALU_DEP_2)
	v_fmac_f32_e32 v161, v2, v9
	v_dual_mul_f32 v2, v2, v10 :: v_dual_fmac_f32 v163, v4, v11
	s_delay_alu instid0(VALU_DEP_1) | instskip(SKIP_1) | instid1(VALU_DEP_1)
	v_fma_f32 v162, v1, v9, -v2
	v_mul_f32_e32 v1, v4, v12
	v_fma_f32 v164, v3, v11, -v1
	s_clause 0x1
	scratch_load_b128 v[1:4], off, off offset:216
	scratch_load_b128 v[9:12], off, off offset:232
	s_wait_loadcnt_dscnt 0x100
	v_mul_f32_e32 v165, v5, v2
	v_dual_mul_f32 v2, v6, v2 :: v_dual_mul_f32 v167, v7, v4
	s_delay_alu instid0(VALU_DEP_2) | instskip(NEXT) | instid1(VALU_DEP_2)
	v_fmac_f32_e32 v165, v6, v1
	v_fma_f32 v166, v5, v1, -v2
	v_mul_f32_e32 v1, v8, v4
	s_delay_alu instid0(VALU_DEP_4) | instskip(NEXT) | instid1(VALU_DEP_2)
	v_fmac_f32_e32 v167, v8, v3
	v_fma_f32 v168, v7, v3, -v1
	ds_load_2addr_b64 v[1:4], v21 offset0:85 offset1:86
	ds_load_2addr_b64 v[5:8], v21 offset0:87 offset1:88
	s_wait_loadcnt_dscnt 0x1
	v_mul_f32_e32 v169, v1, v10
	v_mul_f32_e32 v171, v3, v12
	s_delay_alu instid0(VALU_DEP_2) | instskip(NEXT) | instid1(VALU_DEP_2)
	v_fmac_f32_e32 v169, v2, v9
	v_dual_mul_f32 v2, v2, v10 :: v_dual_fmac_f32 v171, v4, v11
	s_delay_alu instid0(VALU_DEP_1) | instskip(SKIP_1) | instid1(VALU_DEP_1)
	v_fma_f32 v170, v1, v9, -v2
	v_mul_f32_e32 v1, v4, v12
	v_fma_f32 v172, v3, v11, -v1
	s_clause 0x1
	scratch_load_b128 v[1:4], off, off offset:248
	scratch_load_b128 v[9:12], off, off offset:264
	s_wait_loadcnt_dscnt 0x100
	v_mul_f32_e32 v173, v5, v2
	v_dual_mul_f32 v2, v6, v2 :: v_dual_mul_f32 v175, v7, v4
	s_delay_alu instid0(VALU_DEP_1) | instskip(NEXT) | instid1(VALU_DEP_3)
	v_fma_f32 v174, v5, v1, -v2
	v_fmac_f32_e32 v173, v6, v1
	v_mul_f32_e32 v1, v8, v4
	s_delay_alu instid0(VALU_DEP_4) | instskip(NEXT) | instid1(VALU_DEP_2)
	v_fmac_f32_e32 v175, v8, v3
	v_fma_f32 v176, v7, v3, -v1
	ds_load_2addr_b64 v[1:4], v21 offset0:89 offset1:90
	ds_load_2addr_b64 v[5:8], v21 offset0:91 offset1:92
	s_wait_loadcnt_dscnt 0x1
	v_mul_f32_e32 v177, v1, v10
	v_mul_f32_e32 v179, v3, v12
	s_delay_alu instid0(VALU_DEP_1) | instskip(NEXT) | instid1(VALU_DEP_3)
	v_fmac_f32_e32 v179, v4, v11
	v_fmac_f32_e32 v177, v2, v9
	v_mul_f32_e32 v2, v2, v10
	s_delay_alu instid0(VALU_DEP_1) | instskip(SKIP_1) | instid1(VALU_DEP_1)
	v_fma_f32 v178, v1, v9, -v2
	v_mul_f32_e32 v1, v4, v12
	v_fma_f32 v180, v3, v11, -v1
	s_clause 0x1
	scratch_load_b128 v[1:4], off, off offset:280
	scratch_load_b128 v[9:12], off, off offset:296
	s_wait_loadcnt_dscnt 0x100
	v_mul_f32_e32 v181, v5, v2
	v_dual_mul_f32 v2, v6, v2 :: v_dual_mul_f32 v183, v7, v4
	s_delay_alu instid0(VALU_DEP_2) | instskip(NEXT) | instid1(VALU_DEP_2)
	v_fmac_f32_e32 v181, v6, v1
	v_fma_f32 v182, v5, v1, -v2
	v_mul_f32_e32 v1, v8, v4
	s_delay_alu instid0(VALU_DEP_4) | instskip(NEXT) | instid1(VALU_DEP_2)
	v_fmac_f32_e32 v183, v8, v3
	v_fma_f32 v184, v7, v3, -v1
	ds_load_2addr_b64 v[1:4], v21 offset0:93 offset1:94
	ds_load_2addr_b64 v[5:8], v21 offset0:95 offset1:96
	s_wait_loadcnt_dscnt 0x1
	v_mul_f32_e32 v185, v1, v10
	v_mul_f32_e32 v187, v3, v12
	s_delay_alu instid0(VALU_DEP_2) | instskip(NEXT) | instid1(VALU_DEP_2)
	v_fmac_f32_e32 v185, v2, v9
	v_dual_mul_f32 v2, v2, v10 :: v_dual_fmac_f32 v187, v4, v11
	s_delay_alu instid0(VALU_DEP_1) | instskip(SKIP_1) | instid1(VALU_DEP_1)
	v_fma_f32 v186, v1, v9, -v2
	v_mul_f32_e32 v1, v4, v12
	v_fma_f32 v188, v3, v11, -v1
	s_clause 0x1
	scratch_load_b128 v[1:4], off, off offset:312
	scratch_load_b128 v[9:12], off, off offset:328
	s_wait_loadcnt_dscnt 0x100
	v_mul_f32_e32 v189, v5, v2
	v_dual_mul_f32 v2, v6, v2 :: v_dual_mul_f32 v191, v7, v4
	s_delay_alu instid0(VALU_DEP_2) | instskip(NEXT) | instid1(VALU_DEP_2)
	v_fmac_f32_e32 v189, v6, v1
	v_fma_f32 v190, v5, v1, -v2
	v_mul_f32_e32 v1, v8, v4
	s_delay_alu instid0(VALU_DEP_4) | instskip(NEXT) | instid1(VALU_DEP_2)
	v_fmac_f32_e32 v191, v8, v3
	v_fma_f32 v192, v7, v3, -v1
	ds_load_2addr_b64 v[1:4], v21 offset0:97 offset1:98
	ds_load_2addr_b64 v[5:8], v21 offset0:99 offset1:100
	s_wait_loadcnt_dscnt 0x1
	v_mul_f32_e32 v193, v1, v10
	v_mul_f32_e32 v195, v3, v12
	s_delay_alu instid0(VALU_DEP_2) | instskip(NEXT) | instid1(VALU_DEP_2)
	v_fmac_f32_e32 v193, v2, v9
	v_dual_mul_f32 v2, v2, v10 :: v_dual_fmac_f32 v195, v4, v11
	s_delay_alu instid0(VALU_DEP_1) | instskip(SKIP_1) | instid1(VALU_DEP_1)
	v_fma_f32 v194, v1, v9, -v2
	v_mul_f32_e32 v1, v4, v12
	v_fma_f32 v196, v3, v11, -v1
	s_clause 0x1
	scratch_load_b128 v[1:4], off, off offset:344
	scratch_load_b128 v[9:12], off, off offset:360
	s_wait_loadcnt_dscnt 0x100
	v_mul_f32_e32 v197, v5, v2
	v_mul_f32_e32 v2, v6, v2
	s_delay_alu instid0(VALU_DEP_1) | instskip(SKIP_1) | instid1(VALU_DEP_1)
	v_fma_f32 v198, v5, v1, -v2
	v_add_f32_e32 v2, 0, v150
	v_add_f32_e32 v2, v2, v151
	s_delay_alu instid0(VALU_DEP_1) | instskip(NEXT) | instid1(VALU_DEP_1)
	v_add_f32_e32 v2, v2, v24
	v_add_f32_e32 v2, v2, v25
	s_delay_alu instid0(VALU_DEP_1) | instskip(NEXT) | instid1(VALU_DEP_1)
	;; [unrolled: 3-line block ×8, first 2 shown]
	v_add_f32_e32 v2, v2, v161
	v_add_f32_e32 v2, v2, v163
	s_delay_alu instid0(VALU_DEP_1) | instskip(SKIP_2) | instid1(VALU_DEP_3)
	v_add_f32_e32 v2, v2, v165
	v_fmac_f32_e32 v197, v6, v1
	v_mul_f32_e32 v1, v8, v4
	v_dual_mul_f32 v199, v7, v4 :: v_dual_add_f32 v2, v2, v167
	s_delay_alu instid0(VALU_DEP_2) | instskip(SKIP_1) | instid1(VALU_DEP_3)
	v_fma_f32 v200, v7, v3, -v1
	v_add_f32_e32 v1, 0, v22
	v_dual_fmac_f32 v199, v8, v3 :: v_dual_add_f32 v2, v2, v169
	s_delay_alu instid0(VALU_DEP_2) | instskip(NEXT) | instid1(VALU_DEP_2)
	v_add_f32_e32 v1, v1, v23
	v_add_f32_e32 v5, v2, v171
	s_delay_alu instid0(VALU_DEP_2) | instskip(NEXT) | instid1(VALU_DEP_1)
	v_add_f32_e32 v1, v1, v28
	v_add_f32_e32 v1, v1, v29
	scratch_load_b64 v[28:29], off, off offset:440
	v_add_f32_e32 v1, v1, v30
	s_delay_alu instid0(VALU_DEP_1) | instskip(NEXT) | instid1(VALU_DEP_1)
	v_add_f32_e32 v1, v1, v31
	v_add_f32_e32 v1, v1, v13
	s_delay_alu instid0(VALU_DEP_1) | instskip(NEXT) | instid1(VALU_DEP_1)
	v_add_f32_e32 v1, v1, v14
	;; [unrolled: 3-line block ×9, first 2 shown]
	v_add_f32_e32 v6, v1, v174
	scratch_load_b128 v[1:4], off, off offset:376
	v_dual_add_f32 v13, v5, v173 :: v_dual_add_f32 v14, v6, v176
	ds_load_2addr_b64 v[5:8], v21 offset0:101 offset1:102
	v_dual_add_f32 v13, v13, v175 :: v_dual_add_f32 v14, v14, v178
	s_delay_alu instid0(VALU_DEP_1) | instskip(NEXT) | instid1(VALU_DEP_1)
	v_add_f32_e32 v13, v13, v177
	v_dual_add_f32 v17, v14, v180 :: v_dual_add_f32 v18, v13, v179
	ds_load_2addr_b64 v[13:16], v21 offset0:103 offset1:104
	s_wait_loadcnt_dscnt 0x201
	v_mul_f32_e32 v26, v5, v10
	v_add_f32_e32 v18, v18, v181
	v_mul_f32_e32 v144, v7, v12
	v_mul_f32_e32 v10, v6, v10
	;; [unrolled: 1-line block ×3, first 2 shown]
	v_fmac_f32_e32 v26, v6, v9
	v_add_f32_e32 v18, v18, v183
	v_fmac_f32_e32 v144, v8, v11
	v_fma_f32 v145, v5, v9, -v10
	v_fma_f32 v146, v7, v11, -v12
	scratch_load_b128 v[5:8], off, off offset:392
	v_add_f32_e32 v22, v18, v185
	scratch_load_b128 v[9:12], off, off offset:408
	v_add_f32_e32 v22, v22, v187
	s_delay_alu instid0(VALU_DEP_1) | instskip(SKIP_1) | instid1(VALU_DEP_1)
	v_add_f32_e32 v22, v22, v189
	s_wait_loadcnt_dscnt 0x200
	v_dual_add_f32 v22, v22, v191 :: v_dual_mul_f32 v147, v13, v2
	v_mul_f32_e32 v2, v14, v2
	v_mul_f32_e32 v150, v15, v4
	s_delay_alu instid0(VALU_DEP_3) | instskip(NEXT) | instid1(VALU_DEP_3)
	v_dual_mul_f32 v4, v16, v4 :: v_dual_fmac_f32 v147, v14, v1
	v_fma_f32 v151, v13, v1, -v2
	s_delay_alu instid0(VALU_DEP_3) | instskip(NEXT) | instid1(VALU_DEP_3)
	v_dual_add_f32 v13, v22, v193 :: v_dual_fmac_f32 v150, v16, v3
	v_fma_f32 v152, v15, v3, -v4
	ds_load_2addr_b64 v[1:4], v21 offset0:105 offset1:106
	v_add_f32_e32 v22, v13, v195
	s_delay_alu instid0(VALU_DEP_1) | instskip(NEXT) | instid1(VALU_DEP_1)
	v_add_f32_e32 v31, v22, v197
	v_add_f32_e32 v154, v31, v199
	s_delay_alu instid0(VALU_DEP_1) | instskip(NEXT) | instid1(VALU_DEP_1)
	v_add_f32_e32 v26, v154, v26
	;; [unrolled: 3-line block ×3, first 2 shown]
	v_add_f32_e32 v26, v26, v150
	v_add_f32_e32 v17, v17, v182
	s_delay_alu instid0(VALU_DEP_1) | instskip(NEXT) | instid1(VALU_DEP_1)
	v_add_f32_e32 v17, v17, v184
	v_add_f32_e32 v17, v17, v186
	s_delay_alu instid0(VALU_DEP_1) | instskip(SKIP_2) | instid1(VALU_DEP_1)
	v_add_f32_e32 v23, v17, v188
	scratch_load_b128 v[17:20], off, off offset:424
	v_add_f32_e32 v23, v23, v190
	v_add_f32_e32 v23, v23, v192
	s_delay_alu instid0(VALU_DEP_1) | instskip(NEXT) | instid1(VALU_DEP_1)
	v_add_f32_e32 v23, v23, v194
	v_add_f32_e32 v14, v23, v196
	ds_load_2addr_b64 v[22:25], v21 offset0:109 offset1:110
	v_add_f32_e32 v30, v14, v198
	ds_load_2addr_b64 v[13:16], v21 offset0:107 offset1:108
	s_wait_loadcnt_dscnt 0x202
	v_mul_f32_e32 v144, v3, v8
	v_mul_f32_e32 v8, v4, v8
	v_add_f32_e32 v153, v30, v200
	ds_load_b64 v[30:31], v21 offset:888
	s_wait_loadcnt_dscnt 0x101
	v_dual_fmac_f32 v144, v4, v7 :: v_dual_mul_f32 v147, v15, v12
	s_wait_dscnt 0x0
	s_delay_alu instid0(VALU_DEP_1) | instskip(NEXT) | instid1(VALU_DEP_1)
	v_dual_mul_f32 v150, v30, v29 :: v_dual_fmac_f32 v147, v16, v11
	v_dual_fmac_f32 v150, v31, v28 :: v_dual_add_f32 v145, v153, v145
	v_mul_f32_e32 v153, v1, v6
	v_mul_f32_e32 v6, v2, v6
	s_delay_alu instid0(VALU_DEP_3) | instskip(NEXT) | instid1(VALU_DEP_3)
	v_add_f32_e32 v145, v145, v146
	v_fmac_f32_e32 v153, v2, v5
	s_delay_alu instid0(VALU_DEP_3)
	v_fma_f32 v1, v1, v5, -v6
	v_mul_f32_e32 v146, v13, v10
	v_fma_f32 v2, v3, v7, -v8
	v_add_f32_e32 v145, v145, v151
	v_mul_f32_e32 v3, v14, v10
	v_dual_add_f32 v4, v26, v153 :: v_dual_mul_f32 v5, v16, v12
	s_delay_alu instid0(VALU_DEP_3) | instskip(NEXT) | instid1(VALU_DEP_3)
	v_dual_fmac_f32 v146, v14, v9 :: v_dual_add_f32 v145, v145, v152
	v_fma_f32 v3, v13, v9, -v3
	s_delay_alu instid0(VALU_DEP_3) | instskip(NEXT) | instid1(VALU_DEP_3)
	v_fma_f32 v5, v15, v11, -v5
	v_add_f32_e32 v1, v145, v1
	s_delay_alu instid0(VALU_DEP_1) | instskip(NEXT) | instid1(VALU_DEP_1)
	v_dual_add_f32 v1, v1, v2 :: v_dual_add_f32 v2, v4, v144
	v_dual_add_f32 v1, v1, v3 :: v_dual_add_f32 v2, v2, v146
	s_delay_alu instid0(VALU_DEP_1)
	v_dual_add_f32 v1, v1, v5 :: v_dual_add_f32 v2, v2, v147
	v_mul_f32_e32 v5, v31, v29
	s_wait_loadcnt 0x0
	v_mul_f32_e32 v151, v22, v18
	v_mul_f32_e32 v4, v23, v18
	;; [unrolled: 1-line block ×4, first 2 shown]
	s_delay_alu instid0(VALU_DEP_4) | instskip(NEXT) | instid1(VALU_DEP_4)
	v_fmac_f32_e32 v151, v23, v17
	v_fma_f32 v4, v22, v17, -v4
	s_delay_alu instid0(VALU_DEP_4) | instskip(NEXT) | instid1(VALU_DEP_4)
	v_fmac_f32_e32 v152, v25, v19
	v_fma_f32 v3, v24, v19, -v3
	s_delay_alu instid0(VALU_DEP_3) | instskip(SKIP_1) | instid1(VALU_DEP_2)
	v_dual_add_f32 v2, v2, v151 :: v_dual_add_f32 v1, v1, v4
	v_fma_f32 v4, v30, v28, -v5
	v_dual_add_f32 v2, v2, v152 :: v_dual_add_f32 v1, v1, v3
	s_delay_alu instid0(VALU_DEP_1) | instskip(NEXT) | instid1(VALU_DEP_1)
	v_dual_add_f32 v2, v2, v150 :: v_dual_add_f32 v1, v1, v4
	v_dual_sub_f32 v2, v149, v2 :: v_dual_sub_f32 v1, v148, v1
	scratch_store_b64 off, v[1:2], off offset:64
	v_cmpx_lt_u32_e32 7, v0
	s_cbranch_execz .LBB119_335
; %bb.334:
	scratch_load_b64 v[1:2], off, off offset:56
	v_mov_b32_e32 v22, v21
	scratch_store_b64 off, v[21:22], off offset:56
	s_wait_loadcnt 0x0
	ds_store_b64 v27, v[1:2]
.LBB119_335:
	s_wait_alu 0xfffe
	s_or_b32 exec_lo, exec_lo, s0
	s_wait_storecnt_dscnt 0x0
	s_barrier_signal -1
	s_barrier_wait -1
	global_inv scope:SCOPE_SE
	s_clause 0x4
	scratch_load_b128 v[5:8], off, off offset:64
	scratch_load_b128 v[1:4], off, off offset:80
	;; [unrolled: 1-line block ×5, first 2 shown]
	ds_load_b128 v[22:25], v21 offset:512
	ds_load_b128 v[28:31], v21 offset:528
	;; [unrolled: 1-line block ×3, first 2 shown]
	scratch_load_b64 v[148:149], off, off offset:56
	s_mov_b32 s0, exec_lo
	s_wait_loadcnt_dscnt 0x502
	v_dual_mul_f32 v26, v23, v6 :: v_dual_mul_f32 v151, v24, v8
	v_mul_f32_e32 v150, v22, v6
	v_mul_f32_e32 v6, v25, v8
	s_wait_loadcnt_dscnt 0x300
	v_mul_f32_e32 v152, v146, v12
	v_fma_f32 v22, v22, v5, -v26
	v_dual_fmac_f32 v151, v25, v7 :: v_dual_fmac_f32 v150, v23, v5
	v_mul_f32_e32 v25, v30, v4
	v_mul_f32_e32 v4, v31, v4
	;; [unrolled: 1-line block ×5, first 2 shown]
	v_fmac_f32_e32 v25, v31, v3
	v_fma_f32 v23, v24, v7, -v6
	ds_load_b128 v[5:8], v21 offset:560
	v_mul_f32_e32 v24, v28, v2
	v_mul_f32_e32 v2, v29, v2
	v_fmac_f32_e32 v26, v145, v9
	v_fmac_f32_e32 v152, v147, v11
	v_fma_f32 v31, v146, v11, -v12
	v_fmac_f32_e32 v24, v29, v1
	v_fma_f32 v29, v30, v3, -v4
	v_fma_f32 v30, v144, v9, -v10
	ds_load_b128 v[9:12], v21 offset:576
	s_wait_loadcnt_dscnt 0x201
	v_dual_mul_f32 v145, v7, v16 :: v_dual_mul_f32 v144, v5, v14
	v_mul_f32_e32 v14, v6, v14
	v_mul_f32_e32 v16, v8, v16
	s_delay_alu instid0(VALU_DEP_3)
	v_fmac_f32_e32 v145, v8, v15
	v_fma_f32 v28, v28, v1, -v2
	scratch_load_b128 v[1:4], off, off offset:144
	v_fmac_f32_e32 v144, v6, v13
	v_fma_f32 v13, v5, v13, -v14
	v_fma_f32 v14, v7, v15, -v16
	s_wait_loadcnt_dscnt 0x200
	v_mul_f32_e32 v15, v9, v18
	v_mul_f32_e32 v16, v10, v18
	;; [unrolled: 1-line block ×4, first 2 shown]
	ds_load_b128 v[5:8], v21 offset:592
	v_fmac_f32_e32 v15, v10, v17
	v_fma_f32 v16, v9, v17, -v16
	v_fmac_f32_e32 v18, v12, v19
	v_fma_f32 v17, v11, v19, -v20
	scratch_load_b128 v[9:12], off, off offset:160
	s_wait_loadcnt_dscnt 0x100
	v_mul_f32_e32 v19, v5, v2
	v_mul_f32_e32 v2, v6, v2
	;; [unrolled: 1-line block ×3, first 2 shown]
	s_delay_alu instid0(VALU_DEP_3) | instskip(NEXT) | instid1(VALU_DEP_3)
	v_dual_mul_f32 v4, v8, v4 :: v_dual_fmac_f32 v19, v6, v1
	v_fma_f32 v146, v5, v1, -v2
	s_delay_alu instid0(VALU_DEP_3) | instskip(NEXT) | instid1(VALU_DEP_3)
	v_fmac_f32_e32 v20, v8, v3
	v_fma_f32 v147, v7, v3, -v4
	ds_load_b128 v[1:4], v21 offset:608
	ds_load_b128 v[5:8], v21 offset:624
	s_wait_loadcnt_dscnt 0x1
	v_mul_f32_e32 v153, v1, v10
	v_mul_f32_e32 v10, v2, v10
	s_delay_alu instid0(VALU_DEP_2) | instskip(NEXT) | instid1(VALU_DEP_2)
	v_dual_mul_f32 v154, v3, v12 :: v_dual_fmac_f32 v153, v2, v9
	v_fma_f32 v155, v1, v9, -v10
	v_mul_f32_e32 v1, v4, v12
	s_delay_alu instid0(VALU_DEP_3) | instskip(NEXT) | instid1(VALU_DEP_2)
	v_fmac_f32_e32 v154, v4, v11
	v_fma_f32 v156, v3, v11, -v1
	s_clause 0x1
	scratch_load_b128 v[1:4], off, off offset:176
	scratch_load_b128 v[9:12], off, off offset:192
	s_wait_loadcnt_dscnt 0x100
	v_mul_f32_e32 v157, v5, v2
	v_dual_mul_f32 v2, v6, v2 :: v_dual_mul_f32 v159, v7, v4
	s_delay_alu instid0(VALU_DEP_2) | instskip(NEXT) | instid1(VALU_DEP_2)
	v_fmac_f32_e32 v157, v6, v1
	v_fma_f32 v158, v5, v1, -v2
	v_mul_f32_e32 v1, v8, v4
	s_delay_alu instid0(VALU_DEP_4) | instskip(NEXT) | instid1(VALU_DEP_2)
	v_fmac_f32_e32 v159, v8, v3
	v_fma_f32 v160, v7, v3, -v1
	ds_load_b128 v[1:4], v21 offset:640
	ds_load_b128 v[5:8], v21 offset:656
	s_wait_loadcnt_dscnt 0x1
	v_mul_f32_e32 v161, v1, v10
	v_mul_f32_e32 v163, v3, v12
	s_delay_alu instid0(VALU_DEP_2) | instskip(NEXT) | instid1(VALU_DEP_2)
	v_fmac_f32_e32 v161, v2, v9
	v_dual_mul_f32 v2, v2, v10 :: v_dual_fmac_f32 v163, v4, v11
	s_delay_alu instid0(VALU_DEP_1) | instskip(SKIP_1) | instid1(VALU_DEP_1)
	v_fma_f32 v162, v1, v9, -v2
	v_mul_f32_e32 v1, v4, v12
	v_fma_f32 v164, v3, v11, -v1
	s_clause 0x1
	scratch_load_b128 v[1:4], off, off offset:208
	scratch_load_b128 v[9:12], off, off offset:224
	s_wait_loadcnt_dscnt 0x100
	v_mul_f32_e32 v165, v5, v2
	v_dual_mul_f32 v2, v6, v2 :: v_dual_mul_f32 v167, v7, v4
	s_delay_alu instid0(VALU_DEP_2) | instskip(NEXT) | instid1(VALU_DEP_2)
	v_fmac_f32_e32 v165, v6, v1
	v_fma_f32 v166, v5, v1, -v2
	v_mul_f32_e32 v1, v8, v4
	s_delay_alu instid0(VALU_DEP_4) | instskip(NEXT) | instid1(VALU_DEP_2)
	v_fmac_f32_e32 v167, v8, v3
	v_fma_f32 v168, v7, v3, -v1
	ds_load_b128 v[1:4], v21 offset:672
	ds_load_b128 v[5:8], v21 offset:688
	s_wait_loadcnt_dscnt 0x1
	v_mul_f32_e32 v169, v1, v10
	v_mul_f32_e32 v171, v3, v12
	s_delay_alu instid0(VALU_DEP_2) | instskip(NEXT) | instid1(VALU_DEP_2)
	v_fmac_f32_e32 v169, v2, v9
	v_dual_mul_f32 v2, v2, v10 :: v_dual_fmac_f32 v171, v4, v11
	s_delay_alu instid0(VALU_DEP_1) | instskip(SKIP_1) | instid1(VALU_DEP_1)
	v_fma_f32 v170, v1, v9, -v2
	v_mul_f32_e32 v1, v4, v12
	;; [unrolled: 25-line block ×3, first 2 shown]
	v_fma_f32 v180, v3, v11, -v1
	s_clause 0x1
	scratch_load_b128 v[1:4], off, off offset:272
	scratch_load_b128 v[9:12], off, off offset:288
	s_wait_loadcnt_dscnt 0x100
	v_mul_f32_e32 v181, v5, v2
	v_dual_mul_f32 v2, v6, v2 :: v_dual_mul_f32 v183, v7, v4
	s_delay_alu instid0(VALU_DEP_1) | instskip(NEXT) | instid1(VALU_DEP_2)
	v_fma_f32 v182, v5, v1, -v2
	v_fmac_f32_e32 v183, v8, v3
	s_delay_alu instid0(VALU_DEP_4) | instskip(SKIP_1) | instid1(VALU_DEP_1)
	v_fmac_f32_e32 v181, v6, v1
	v_mul_f32_e32 v1, v8, v4
	v_fma_f32 v184, v7, v3, -v1
	ds_load_b128 v[1:4], v21 offset:736
	ds_load_b128 v[5:8], v21 offset:752
	s_wait_loadcnt_dscnt 0x1
	v_mul_f32_e32 v185, v1, v10
	v_mul_f32_e32 v187, v3, v12
	s_delay_alu instid0(VALU_DEP_2) | instskip(NEXT) | instid1(VALU_DEP_2)
	v_fmac_f32_e32 v185, v2, v9
	v_dual_mul_f32 v2, v2, v10 :: v_dual_fmac_f32 v187, v4, v11
	s_delay_alu instid0(VALU_DEP_1) | instskip(SKIP_1) | instid1(VALU_DEP_1)
	v_fma_f32 v186, v1, v9, -v2
	v_mul_f32_e32 v1, v4, v12
	v_fma_f32 v188, v3, v11, -v1
	s_clause 0x1
	scratch_load_b128 v[1:4], off, off offset:304
	scratch_load_b128 v[9:12], off, off offset:320
	s_wait_loadcnt_dscnt 0x100
	v_mul_f32_e32 v189, v5, v2
	v_dual_mul_f32 v2, v6, v2 :: v_dual_mul_f32 v191, v7, v4
	s_delay_alu instid0(VALU_DEP_2) | instskip(NEXT) | instid1(VALU_DEP_2)
	v_fmac_f32_e32 v189, v6, v1
	v_fma_f32 v190, v5, v1, -v2
	v_mul_f32_e32 v1, v8, v4
	s_delay_alu instid0(VALU_DEP_4) | instskip(NEXT) | instid1(VALU_DEP_2)
	v_fmac_f32_e32 v191, v8, v3
	v_fma_f32 v192, v7, v3, -v1
	ds_load_b128 v[1:4], v21 offset:768
	ds_load_b128 v[5:8], v21 offset:784
	s_wait_loadcnt_dscnt 0x1
	v_mul_f32_e32 v193, v1, v10
	v_mul_f32_e32 v195, v3, v12
	s_delay_alu instid0(VALU_DEP_2) | instskip(NEXT) | instid1(VALU_DEP_2)
	v_fmac_f32_e32 v193, v2, v9
	v_dual_mul_f32 v2, v2, v10 :: v_dual_fmac_f32 v195, v4, v11
	s_delay_alu instid0(VALU_DEP_1) | instskip(SKIP_1) | instid1(VALU_DEP_1)
	v_fma_f32 v194, v1, v9, -v2
	v_mul_f32_e32 v1, v4, v12
	v_fma_f32 v196, v3, v11, -v1
	s_clause 0x1
	scratch_load_b128 v[1:4], off, off offset:336
	scratch_load_b128 v[9:12], off, off offset:352
	s_wait_loadcnt_dscnt 0x100
	v_mul_f32_e32 v197, v5, v2
	v_dual_mul_f32 v2, v6, v2 :: v_dual_mul_f32 v199, v7, v4
	s_delay_alu instid0(VALU_DEP_2) | instskip(NEXT) | instid1(VALU_DEP_2)
	v_fmac_f32_e32 v197, v6, v1
	v_fma_f32 v198, v5, v1, -v2
	v_mul_f32_e32 v1, v8, v4
	s_delay_alu instid0(VALU_DEP_4) | instskip(NEXT) | instid1(VALU_DEP_2)
	v_fmac_f32_e32 v199, v8, v3
	v_fma_f32 v200, v7, v3, -v1
	ds_load_b128 v[1:4], v21 offset:800
	ds_load_b128 v[5:8], v21 offset:816
	s_wait_loadcnt_dscnt 0x1
	v_mul_f32_e32 v201, v1, v10
	v_mul_f32_e32 v203, v3, v12
	s_delay_alu instid0(VALU_DEP_2) | instskip(NEXT) | instid1(VALU_DEP_2)
	v_fmac_f32_e32 v201, v2, v9
	v_dual_mul_f32 v2, v2, v10 :: v_dual_fmac_f32 v203, v4, v11
	s_delay_alu instid0(VALU_DEP_1) | instskip(SKIP_1) | instid1(VALU_DEP_1)
	v_fma_f32 v202, v1, v9, -v2
	v_mul_f32_e32 v1, v4, v12
	v_fma_f32 v204, v3, v11, -v1
	s_clause 0x1
	scratch_load_b128 v[1:4], off, off offset:368
	scratch_load_b128 v[9:12], off, off offset:384
	s_wait_loadcnt_dscnt 0x100
	v_mul_f32_e32 v205, v5, v2
	v_mul_f32_e32 v2, v6, v2
	s_delay_alu instid0(VALU_DEP_2) | instskip(NEXT) | instid1(VALU_DEP_2)
	v_fmac_f32_e32 v205, v6, v1
	v_fma_f32 v206, v5, v1, -v2
	v_add_f32_e32 v2, 0, v150
	s_delay_alu instid0(VALU_DEP_1) | instskip(NEXT) | instid1(VALU_DEP_1)
	v_add_f32_e32 v2, v2, v151
	v_add_f32_e32 v2, v2, v24
	s_delay_alu instid0(VALU_DEP_1) | instskip(NEXT) | instid1(VALU_DEP_1)
	v_add_f32_e32 v2, v2, v25
	;; [unrolled: 3-line block ×3, first 2 shown]
	v_add_f32_e32 v2, v2, v144
	s_delay_alu instid0(VALU_DEP_1) | instskip(NEXT) | instid1(VALU_DEP_1)
	v_dual_mul_f32 v1, v8, v4 :: v_dual_add_f32 v2, v2, v145
	v_fma_f32 v208, v7, v3, -v1
	s_delay_alu instid0(VALU_DEP_2) | instskip(NEXT) | instid1(VALU_DEP_1)
	v_dual_add_f32 v1, 0, v22 :: v_dual_add_f32 v2, v2, v15
	v_dual_add_f32 v1, v1, v23 :: v_dual_add_f32 v2, v2, v18
	s_delay_alu instid0(VALU_DEP_1) | instskip(NEXT) | instid1(VALU_DEP_1)
	v_dual_add_f32 v1, v1, v28 :: v_dual_add_f32 v2, v2, v19
	v_dual_add_f32 v1, v1, v29 :: v_dual_add_f32 v2, v2, v20
	s_delay_alu instid0(VALU_DEP_1) | instskip(NEXT) | instid1(VALU_DEP_1)
	;; [unrolled: 3-line block ×3, first 2 shown]
	v_add_f32_e32 v1, v1, v13
	v_dual_add_f32 v2, v2, v157 :: v_dual_add_f32 v1, v1, v14
	s_delay_alu instid0(VALU_DEP_1) | instskip(NEXT) | instid1(VALU_DEP_1)
	v_dual_add_f32 v2, v2, v159 :: v_dual_add_f32 v1, v1, v16
	v_add_f32_e32 v2, v2, v161
	s_delay_alu instid0(VALU_DEP_1) | instskip(NEXT) | instid1(VALU_DEP_1)
	v_dual_add_f32 v1, v1, v17 :: v_dual_add_f32 v2, v2, v163
	v_dual_add_f32 v1, v1, v146 :: v_dual_add_f32 v2, v2, v165
	s_delay_alu instid0(VALU_DEP_1) | instskip(NEXT) | instid1(VALU_DEP_2)
	v_add_f32_e32 v1, v1, v147
	v_add_f32_e32 v2, v2, v167
	s_delay_alu instid0(VALU_DEP_1) | instskip(NEXT) | instid1(VALU_DEP_1)
	v_dual_add_f32 v1, v1, v155 :: v_dual_add_f32 v2, v2, v169
	v_dual_add_f32 v1, v1, v156 :: v_dual_add_f32 v2, v2, v171
	s_delay_alu instid0(VALU_DEP_1) | instskip(NEXT) | instid1(VALU_DEP_1)
	v_dual_add_f32 v1, v1, v158 :: v_dual_add_f32 v2, v2, v173
	v_dual_add_f32 v1, v1, v160 :: v_dual_add_f32 v2, v2, v175
	s_delay_alu instid0(VALU_DEP_1) | instskip(NEXT) | instid1(VALU_DEP_1)
	v_add_f32_e32 v1, v1, v162
	v_add_f32_e32 v1, v1, v164
	s_delay_alu instid0(VALU_DEP_1) | instskip(NEXT) | instid1(VALU_DEP_1)
	v_add_f32_e32 v1, v1, v166
	v_add_f32_e32 v1, v1, v168
	;; [unrolled: 3-line block ×5, first 2 shown]
	v_mul_f32_e32 v207, v7, v4
	v_add_f32_e32 v5, v2, v177
	s_delay_alu instid0(VALU_DEP_2) | instskip(SKIP_3) | instid1(VALU_DEP_2)
	v_dual_add_f32 v6, v6, v182 :: v_dual_fmac_f32 v207, v8, v3
	ds_load_b128 v[1:4], v21 offset:832
	v_add_f32_e32 v5, v5, v179
	v_add_f32_e32 v13, v6, v184
	;; [unrolled: 1-line block ×3, first 2 shown]
	s_delay_alu instid0(VALU_DEP_2) | instskip(NEXT) | instid1(VALU_DEP_2)
	v_add_f32_e32 v13, v13, v186
	v_add_f32_e32 v14, v5, v183
	ds_load_b128 v[5:8], v21 offset:848
	v_add_f32_e32 v13, v13, v188
	s_delay_alu instid0(VALU_DEP_1)
	v_add_f32_e32 v13, v13, v190
	s_wait_loadcnt_dscnt 0x1
	v_dual_mul_f32 v25, v1, v10 :: v_dual_mul_f32 v26, v3, v12
	v_mul_f32_e32 v10, v2, v10
	v_mul_f32_e32 v12, v4, v12
	v_add_f32_e32 v14, v14, v185
	s_delay_alu instid0(VALU_DEP_4) | instskip(NEXT) | instid1(VALU_DEP_4)
	v_dual_fmac_f32 v25, v2, v9 :: v_dual_fmac_f32 v26, v4, v11
	v_fma_f32 v28, v1, v9, -v10
	s_delay_alu instid0(VALU_DEP_4) | instskip(SKIP_4) | instid1(VALU_DEP_1)
	v_fma_f32 v29, v3, v11, -v12
	s_clause 0x1
	scratch_load_b128 v[1:4], off, off offset:400
	scratch_load_b128 v[9:12], off, off offset:416
	v_add_f32_e32 v14, v14, v187
	v_dual_add_f32 v18, v13, v192 :: v_dual_add_f32 v17, v14, v189
	scratch_load_b128 v[13:16], off, off offset:432
	v_dual_add_f32 v18, v18, v194 :: v_dual_add_f32 v17, v17, v191
	s_delay_alu instid0(VALU_DEP_1) | instskip(NEXT) | instid1(VALU_DEP_1)
	v_dual_add_f32 v18, v18, v196 :: v_dual_add_f32 v17, v17, v193
	v_dual_add_f32 v22, v18, v198 :: v_dual_add_f32 v17, v17, v195
	s_delay_alu instid0(VALU_DEP_1) | instskip(SKIP_4) | instid1(VALU_DEP_1)
	v_dual_add_f32 v30, v22, v200 :: v_dual_add_f32 v23, v17, v197
	ds_load_b128 v[17:20], v21 offset:864
	v_dual_add_f32 v30, v30, v202 :: v_dual_add_f32 v31, v23, v199
	ds_load_b128 v[21:24], v21 offset:880
	v_add_f32_e32 v30, v30, v204
	v_add_f32_e32 v30, v30, v206
	s_delay_alu instid0(VALU_DEP_1) | instskip(NEXT) | instid1(VALU_DEP_1)
	v_add_f32_e32 v30, v30, v208
	v_add_f32_e32 v28, v30, v28
	s_wait_loadcnt_dscnt 0x202
	v_dual_mul_f32 v144, v5, v2 :: v_dual_add_f32 v31, v31, v201
	s_wait_loadcnt_dscnt 0x101
	v_mul_f32_e32 v146, v17, v10
	v_dual_mul_f32 v2, v6, v2 :: v_dual_mul_f32 v145, v7, v4
	s_delay_alu instid0(VALU_DEP_3) | instskip(SKIP_1) | instid1(VALU_DEP_3)
	v_dual_mul_f32 v4, v8, v4 :: v_dual_add_f32 v31, v31, v203
	v_fmac_f32_e32 v144, v6, v1
	v_fma_f32 v2, v5, v1, -v2
	v_dual_add_f32 v1, v28, v29 :: v_dual_mul_f32 v6, v18, v10
	s_delay_alu instid0(VALU_DEP_4) | instskip(SKIP_2) | instid1(VALU_DEP_4)
	v_add_f32_e32 v31, v31, v205
	v_fmac_f32_e32 v145, v8, v3
	v_fma_f32 v3, v7, v3, -v4
	v_add_f32_e32 v1, v1, v2
	v_mul_f32_e32 v147, v19, v12
	v_dual_add_f32 v31, v31, v207 :: v_dual_mul_f32 v4, v20, v12
	s_delay_alu instid0(VALU_DEP_3) | instskip(SKIP_1) | instid1(VALU_DEP_2)
	v_dual_fmac_f32 v146, v18, v9 :: v_dual_add_f32 v1, v1, v3
	s_wait_loadcnt_dscnt 0x0
	v_dual_mul_f32 v150, v21, v14 :: v_dual_add_f32 v25, v31, v25
	v_mul_f32_e32 v3, v22, v14
	v_fmac_f32_e32 v147, v20, v11
	v_fma_f32 v4, v19, v11, -v4
	s_delay_alu instid0(VALU_DEP_4) | instskip(SKIP_2) | instid1(VALU_DEP_3)
	v_dual_mul_f32 v30, v23, v16 :: v_dual_add_f32 v5, v25, v26
	v_fmac_f32_e32 v150, v22, v13
	v_fma_f32 v3, v21, v13, -v3
	v_fmac_f32_e32 v30, v24, v15
	s_delay_alu instid0(VALU_DEP_4) | instskip(SKIP_1) | instid1(VALU_DEP_2)
	v_add_f32_e32 v2, v5, v144
	v_fma_f32 v5, v17, v9, -v6
	v_add_f32_e32 v2, v2, v145
	s_delay_alu instid0(VALU_DEP_2) | instskip(NEXT) | instid1(VALU_DEP_2)
	v_add_f32_e32 v1, v1, v5
	v_dual_mul_f32 v5, v24, v16 :: v_dual_add_f32 v2, v2, v146
	s_delay_alu instid0(VALU_DEP_2) | instskip(NEXT) | instid1(VALU_DEP_2)
	v_add_f32_e32 v1, v1, v4
	v_fma_f32 v4, v23, v15, -v5
	s_delay_alu instid0(VALU_DEP_3) | instskip(NEXT) | instid1(VALU_DEP_1)
	v_add_f32_e32 v2, v2, v147
	v_dual_add_f32 v1, v1, v3 :: v_dual_add_f32 v2, v2, v150
	s_delay_alu instid0(VALU_DEP_1) | instskip(NEXT) | instid1(VALU_DEP_1)
	v_dual_add_f32 v1, v1, v4 :: v_dual_add_f32 v2, v2, v30
	v_dual_sub_f32 v1, v148, v1 :: v_dual_sub_f32 v2, v149, v2
	scratch_store_b64 off, v[1:2], off offset:56
	v_cmpx_lt_u32_e32 6, v0
	s_cbranch_execz .LBB119_337
; %bb.336:
	scratch_load_b64 v[1:2], off, off offset:48
	v_mov_b32_e32 v3, 0
	s_delay_alu instid0(VALU_DEP_1)
	v_mov_b32_e32 v4, v3
	scratch_store_b64 off, v[3:4], off offset:48
	s_wait_loadcnt 0x0
	ds_store_b64 v27, v[1:2]
.LBB119_337:
	s_wait_alu 0xfffe
	s_or_b32 exec_lo, exec_lo, s0
	s_wait_storecnt_dscnt 0x0
	s_barrier_signal -1
	s_barrier_wait -1
	global_inv scope:SCOPE_SE
	s_clause 0x4
	scratch_load_b128 v[5:8], off, off offset:56
	scratch_load_b128 v[1:4], off, off offset:72
	;; [unrolled: 1-line block ×5, first 2 shown]
	v_mov_b32_e32 v25, 0
	ds_load_2addr_b64 v[21:24], v25 offset0:63 offset1:64
	ds_load_2addr_b64 v[28:31], v25 offset0:65 offset1:66
	;; [unrolled: 1-line block ×3, first 2 shown]
	scratch_load_b64 v[148:149], off, off offset:48
	s_mov_b32 s0, exec_lo
	s_wait_loadcnt_dscnt 0x502
	v_mul_f32_e32 v26, v22, v6
	v_dual_mul_f32 v150, v21, v6 :: v_dual_mul_f32 v151, v23, v8
	v_mul_f32_e32 v6, v24, v8
	s_wait_loadcnt_dscnt 0x300
	v_mul_f32_e32 v152, v146, v12
	v_fma_f32 v21, v21, v5, -v26
	v_dual_fmac_f32 v150, v22, v5 :: v_dual_fmac_f32 v151, v24, v7
	v_fma_f32 v22, v23, v7, -v6
	ds_load_2addr_b64 v[5:8], v25 offset0:69 offset1:70
	v_dual_mul_f32 v23, v28, v2 :: v_dual_mul_f32 v24, v30, v4
	v_mul_f32_e32 v4, v31, v4
	v_mul_f32_e32 v26, v144, v10
	;; [unrolled: 1-line block ×5, first 2 shown]
	v_dual_fmac_f32 v23, v29, v1 :: v_dual_fmac_f32 v24, v31, v3
	v_fma_f32 v29, v30, v3, -v4
	v_fmac_f32_e32 v26, v145, v9
	v_fma_f32 v30, v144, v9, -v10
	v_fmac_f32_e32 v152, v147, v11
	v_fma_f32 v31, v146, v11, -v12
	ds_load_2addr_b64 v[9:12], v25 offset0:71 offset1:72
	s_wait_loadcnt_dscnt 0x201
	v_mul_f32_e32 v145, v7, v16
	v_fma_f32 v28, v28, v1, -v2
	scratch_load_b128 v[1:4], off, off offset:136
	v_mul_f32_e32 v144, v5, v14
	v_mul_f32_e32 v14, v6, v14
	;; [unrolled: 1-line block ×3, first 2 shown]
	s_delay_alu instid0(VALU_DEP_3) | instskip(NEXT) | instid1(VALU_DEP_3)
	v_dual_fmac_f32 v145, v8, v15 :: v_dual_fmac_f32 v144, v6, v13
	v_fma_f32 v13, v5, v13, -v14
	s_delay_alu instid0(VALU_DEP_3)
	v_fma_f32 v14, v7, v15, -v16
	ds_load_2addr_b64 v[5:8], v25 offset0:73 offset1:74
	s_wait_loadcnt_dscnt 0x201
	v_mul_f32_e32 v15, v9, v18
	v_mul_f32_e32 v16, v10, v18
	;; [unrolled: 1-line block ×3, first 2 shown]
	s_delay_alu instid0(VALU_DEP_3) | instskip(NEXT) | instid1(VALU_DEP_3)
	v_dual_mul_f32 v20, v12, v20 :: v_dual_fmac_f32 v15, v10, v17
	v_fma_f32 v16, v9, v17, -v16
	s_delay_alu instid0(VALU_DEP_3) | instskip(NEXT) | instid1(VALU_DEP_3)
	v_fmac_f32_e32 v18, v12, v19
	v_fma_f32 v17, v11, v19, -v20
	scratch_load_b128 v[9:12], off, off offset:152
	s_wait_loadcnt_dscnt 0x100
	v_mul_f32_e32 v19, v5, v2
	v_mul_f32_e32 v2, v6, v2
	;; [unrolled: 1-line block ×3, first 2 shown]
	s_delay_alu instid0(VALU_DEP_3) | instskip(NEXT) | instid1(VALU_DEP_3)
	v_dual_mul_f32 v4, v8, v4 :: v_dual_fmac_f32 v19, v6, v1
	v_fma_f32 v146, v5, v1, -v2
	s_delay_alu instid0(VALU_DEP_3) | instskip(NEXT) | instid1(VALU_DEP_3)
	v_fmac_f32_e32 v20, v8, v3
	v_fma_f32 v147, v7, v3, -v4
	ds_load_2addr_b64 v[1:4], v25 offset0:75 offset1:76
	ds_load_2addr_b64 v[5:8], v25 offset0:77 offset1:78
	s_wait_loadcnt_dscnt 0x1
	v_mul_f32_e32 v153, v1, v10
	v_mul_f32_e32 v10, v2, v10
	s_delay_alu instid0(VALU_DEP_2) | instskip(NEXT) | instid1(VALU_DEP_2)
	v_dual_mul_f32 v154, v3, v12 :: v_dual_fmac_f32 v153, v2, v9
	v_fma_f32 v155, v1, v9, -v10
	v_mul_f32_e32 v1, v4, v12
	s_delay_alu instid0(VALU_DEP_3) | instskip(NEXT) | instid1(VALU_DEP_2)
	v_fmac_f32_e32 v154, v4, v11
	v_fma_f32 v156, v3, v11, -v1
	s_clause 0x1
	scratch_load_b128 v[1:4], off, off offset:168
	scratch_load_b128 v[9:12], off, off offset:184
	s_wait_loadcnt_dscnt 0x100
	v_mul_f32_e32 v157, v5, v2
	v_dual_mul_f32 v2, v6, v2 :: v_dual_mul_f32 v159, v7, v4
	s_delay_alu instid0(VALU_DEP_2) | instskip(NEXT) | instid1(VALU_DEP_2)
	v_fmac_f32_e32 v157, v6, v1
	v_fma_f32 v158, v5, v1, -v2
	v_mul_f32_e32 v1, v8, v4
	s_delay_alu instid0(VALU_DEP_4) | instskip(NEXT) | instid1(VALU_DEP_2)
	v_fmac_f32_e32 v159, v8, v3
	v_fma_f32 v160, v7, v3, -v1
	ds_load_2addr_b64 v[1:4], v25 offset0:79 offset1:80
	ds_load_2addr_b64 v[5:8], v25 offset0:81 offset1:82
	s_wait_loadcnt_dscnt 0x1
	v_mul_f32_e32 v161, v1, v10
	v_mul_f32_e32 v163, v3, v12
	s_delay_alu instid0(VALU_DEP_2) | instskip(NEXT) | instid1(VALU_DEP_2)
	v_fmac_f32_e32 v161, v2, v9
	v_dual_mul_f32 v2, v2, v10 :: v_dual_fmac_f32 v163, v4, v11
	s_delay_alu instid0(VALU_DEP_1) | instskip(SKIP_1) | instid1(VALU_DEP_1)
	v_fma_f32 v162, v1, v9, -v2
	v_mul_f32_e32 v1, v4, v12
	v_fma_f32 v164, v3, v11, -v1
	s_clause 0x1
	scratch_load_b128 v[1:4], off, off offset:200
	scratch_load_b128 v[9:12], off, off offset:216
	s_wait_loadcnt_dscnt 0x100
	v_mul_f32_e32 v165, v5, v2
	v_dual_mul_f32 v2, v6, v2 :: v_dual_mul_f32 v167, v7, v4
	s_delay_alu instid0(VALU_DEP_2) | instskip(NEXT) | instid1(VALU_DEP_2)
	v_fmac_f32_e32 v165, v6, v1
	v_fma_f32 v166, v5, v1, -v2
	v_mul_f32_e32 v1, v8, v4
	s_delay_alu instid0(VALU_DEP_4) | instskip(NEXT) | instid1(VALU_DEP_2)
	v_fmac_f32_e32 v167, v8, v3
	v_fma_f32 v168, v7, v3, -v1
	ds_load_2addr_b64 v[1:4], v25 offset0:83 offset1:84
	ds_load_2addr_b64 v[5:8], v25 offset0:85 offset1:86
	s_wait_loadcnt_dscnt 0x1
	v_mul_f32_e32 v169, v1, v10
	v_mul_f32_e32 v171, v3, v12
	s_delay_alu instid0(VALU_DEP_2) | instskip(NEXT) | instid1(VALU_DEP_2)
	v_fmac_f32_e32 v169, v2, v9
	v_dual_mul_f32 v2, v2, v10 :: v_dual_fmac_f32 v171, v4, v11
	s_delay_alu instid0(VALU_DEP_1) | instskip(SKIP_1) | instid1(VALU_DEP_1)
	v_fma_f32 v170, v1, v9, -v2
	v_mul_f32_e32 v1, v4, v12
	v_fma_f32 v172, v3, v11, -v1
	s_clause 0x1
	scratch_load_b128 v[1:4], off, off offset:232
	scratch_load_b128 v[9:12], off, off offset:248
	s_wait_loadcnt_dscnt 0x100
	v_mul_f32_e32 v173, v5, v2
	v_dual_mul_f32 v2, v6, v2 :: v_dual_mul_f32 v175, v7, v4
	s_delay_alu instid0(VALU_DEP_2) | instskip(NEXT) | instid1(VALU_DEP_2)
	v_fmac_f32_e32 v173, v6, v1
	v_fma_f32 v174, v5, v1, -v2
	v_mul_f32_e32 v1, v8, v4
	s_delay_alu instid0(VALU_DEP_4) | instskip(NEXT) | instid1(VALU_DEP_2)
	v_fmac_f32_e32 v175, v8, v3
	v_fma_f32 v176, v7, v3, -v1
	ds_load_2addr_b64 v[1:4], v25 offset0:87 offset1:88
	ds_load_2addr_b64 v[5:8], v25 offset0:89 offset1:90
	s_wait_loadcnt_dscnt 0x1
	v_mul_f32_e32 v177, v1, v10
	v_mul_f32_e32 v179, v3, v12
	s_delay_alu instid0(VALU_DEP_2) | instskip(NEXT) | instid1(VALU_DEP_2)
	v_fmac_f32_e32 v177, v2, v9
	v_dual_mul_f32 v2, v2, v10 :: v_dual_fmac_f32 v179, v4, v11
	s_delay_alu instid0(VALU_DEP_1) | instskip(SKIP_1) | instid1(VALU_DEP_1)
	v_fma_f32 v178, v1, v9, -v2
	v_mul_f32_e32 v1, v4, v12
	v_fma_f32 v180, v3, v11, -v1
	s_clause 0x1
	scratch_load_b128 v[1:4], off, off offset:264
	scratch_load_b128 v[9:12], off, off offset:280
	s_wait_loadcnt_dscnt 0x100
	v_mul_f32_e32 v181, v5, v2
	v_dual_mul_f32 v2, v6, v2 :: v_dual_mul_f32 v183, v7, v4
	s_delay_alu instid0(VALU_DEP_2) | instskip(NEXT) | instid1(VALU_DEP_2)
	v_fmac_f32_e32 v181, v6, v1
	v_fma_f32 v182, v5, v1, -v2
	v_mul_f32_e32 v1, v8, v4
	s_delay_alu instid0(VALU_DEP_4) | instskip(NEXT) | instid1(VALU_DEP_2)
	v_fmac_f32_e32 v183, v8, v3
	v_fma_f32 v184, v7, v3, -v1
	ds_load_2addr_b64 v[1:4], v25 offset0:91 offset1:92
	ds_load_2addr_b64 v[5:8], v25 offset0:93 offset1:94
	s_wait_loadcnt_dscnt 0x1
	v_mul_f32_e32 v185, v1, v10
	v_mul_f32_e32 v187, v3, v12
	s_delay_alu instid0(VALU_DEP_2) | instskip(NEXT) | instid1(VALU_DEP_2)
	v_fmac_f32_e32 v185, v2, v9
	v_dual_mul_f32 v2, v2, v10 :: v_dual_fmac_f32 v187, v4, v11
	s_delay_alu instid0(VALU_DEP_1) | instskip(SKIP_1) | instid1(VALU_DEP_1)
	v_fma_f32 v186, v1, v9, -v2
	v_mul_f32_e32 v1, v4, v12
	v_fma_f32 v188, v3, v11, -v1
	s_clause 0x1
	scratch_load_b128 v[1:4], off, off offset:296
	scratch_load_b128 v[9:12], off, off offset:312
	s_wait_loadcnt_dscnt 0x100
	v_mul_f32_e32 v189, v5, v2
	v_dual_mul_f32 v2, v6, v2 :: v_dual_mul_f32 v191, v7, v4
	s_delay_alu instid0(VALU_DEP_2) | instskip(NEXT) | instid1(VALU_DEP_2)
	v_fmac_f32_e32 v189, v6, v1
	v_fma_f32 v190, v5, v1, -v2
	v_mul_f32_e32 v1, v8, v4
	s_delay_alu instid0(VALU_DEP_4) | instskip(NEXT) | instid1(VALU_DEP_2)
	v_fmac_f32_e32 v191, v8, v3
	v_fma_f32 v192, v7, v3, -v1
	ds_load_2addr_b64 v[1:4], v25 offset0:95 offset1:96
	ds_load_2addr_b64 v[5:8], v25 offset0:97 offset1:98
	s_wait_loadcnt_dscnt 0x1
	v_mul_f32_e32 v193, v1, v10
	v_mul_f32_e32 v195, v3, v12
	s_delay_alu instid0(VALU_DEP_2) | instskip(NEXT) | instid1(VALU_DEP_2)
	v_fmac_f32_e32 v193, v2, v9
	v_dual_mul_f32 v2, v2, v10 :: v_dual_fmac_f32 v195, v4, v11
	s_delay_alu instid0(VALU_DEP_1) | instskip(SKIP_1) | instid1(VALU_DEP_1)
	v_fma_f32 v194, v1, v9, -v2
	v_mul_f32_e32 v1, v4, v12
	v_fma_f32 v196, v3, v11, -v1
	s_clause 0x1
	scratch_load_b128 v[1:4], off, off offset:328
	scratch_load_b128 v[9:12], off, off offset:344
	s_wait_loadcnt_dscnt 0x100
	v_mul_f32_e32 v197, v5, v2
	v_dual_mul_f32 v2, v6, v2 :: v_dual_mul_f32 v199, v7, v4
	s_delay_alu instid0(VALU_DEP_2) | instskip(NEXT) | instid1(VALU_DEP_2)
	v_fmac_f32_e32 v197, v6, v1
	v_fma_f32 v198, v5, v1, -v2
	v_mul_f32_e32 v1, v8, v4
	s_delay_alu instid0(VALU_DEP_4) | instskip(NEXT) | instid1(VALU_DEP_2)
	v_fmac_f32_e32 v199, v8, v3
	v_fma_f32 v200, v7, v3, -v1
	ds_load_2addr_b64 v[1:4], v25 offset0:99 offset1:100
	ds_load_2addr_b64 v[5:8], v25 offset0:101 offset1:102
	s_wait_loadcnt_dscnt 0x1
	v_mul_f32_e32 v201, v1, v10
	v_mul_f32_e32 v203, v3, v12
	s_delay_alu instid0(VALU_DEP_1) | instskip(NEXT) | instid1(VALU_DEP_3)
	v_fmac_f32_e32 v203, v4, v11
	v_fmac_f32_e32 v201, v2, v9
	v_mul_f32_e32 v2, v2, v10
	s_delay_alu instid0(VALU_DEP_1) | instskip(SKIP_1) | instid1(VALU_DEP_1)
	v_fma_f32 v202, v1, v9, -v2
	v_mul_f32_e32 v1, v4, v12
	v_fma_f32 v204, v3, v11, -v1
	s_clause 0x1
	scratch_load_b128 v[1:4], off, off offset:360
	scratch_load_b128 v[9:12], off, off offset:376
	s_wait_loadcnt_dscnt 0x100
	v_mul_f32_e32 v205, v5, v2
	v_mul_f32_e32 v2, v6, v2
	s_delay_alu instid0(VALU_DEP_2) | instskip(NEXT) | instid1(VALU_DEP_2)
	v_fmac_f32_e32 v205, v6, v1
	v_fma_f32 v206, v5, v1, -v2
	v_dual_add_f32 v2, 0, v150 :: v_dual_mul_f32 v1, v8, v4
	s_delay_alu instid0(VALU_DEP_1) | instskip(NEXT) | instid1(VALU_DEP_2)
	v_add_f32_e32 v2, v2, v151
	v_fma_f32 v208, v7, v3, -v1
	s_delay_alu instid0(VALU_DEP_2) | instskip(NEXT) | instid1(VALU_DEP_1)
	v_add_f32_e32 v2, v2, v23
	v_add_f32_e32 v2, v2, v24
	s_delay_alu instid0(VALU_DEP_1) | instskip(NEXT) | instid1(VALU_DEP_1)
	v_add_f32_e32 v2, v2, v26
	v_add_f32_e32 v2, v2, v152
	s_delay_alu instid0(VALU_DEP_1) | instskip(NEXT) | instid1(VALU_DEP_1)
	v_dual_add_f32 v2, v2, v144 :: v_dual_add_f32 v1, 0, v21
	v_dual_add_f32 v2, v2, v145 :: v_dual_add_f32 v1, v1, v22
	s_delay_alu instid0(VALU_DEP_1) | instskip(NEXT) | instid1(VALU_DEP_1)
	v_dual_add_f32 v2, v2, v15 :: v_dual_add_f32 v1, v1, v28
	v_dual_add_f32 v2, v2, v18 :: v_dual_add_f32 v1, v1, v29
	scratch_load_b64 v[28:29], off, off offset:440
	v_dual_add_f32 v2, v2, v19 :: v_dual_add_f32 v1, v1, v30
	s_delay_alu instid0(VALU_DEP_1) | instskip(NEXT) | instid1(VALU_DEP_1)
	v_dual_add_f32 v2, v2, v20 :: v_dual_add_f32 v1, v1, v31
	v_add_f32_e32 v2, v2, v153
	s_delay_alu instid0(VALU_DEP_1) | instskip(NEXT) | instid1(VALU_DEP_1)
	v_dual_add_f32 v1, v1, v13 :: v_dual_add_f32 v2, v2, v154
	v_dual_add_f32 v1, v1, v14 :: v_dual_add_f32 v2, v2, v157
	s_delay_alu instid0(VALU_DEP_1) | instskip(NEXT) | instid1(VALU_DEP_1)
	v_dual_add_f32 v1, v1, v16 :: v_dual_add_f32 v2, v2, v159
	v_add_f32_e32 v1, v1, v17
	s_delay_alu instid0(VALU_DEP_1) | instskip(NEXT) | instid1(VALU_DEP_1)
	v_dual_add_f32 v2, v2, v161 :: v_dual_add_f32 v1, v1, v146
	v_add_f32_e32 v2, v2, v163
	;; [unrolled: 3-line block ×3, first 2 shown]
	s_delay_alu instid0(VALU_DEP_1) | instskip(NEXT) | instid1(VALU_DEP_1)
	v_dual_add_f32 v2, v2, v167 :: v_dual_add_f32 v1, v1, v156
	v_dual_add_f32 v2, v2, v169 :: v_dual_add_f32 v1, v1, v158
	s_delay_alu instid0(VALU_DEP_1) | instskip(NEXT) | instid1(VALU_DEP_1)
	v_dual_add_f32 v2, v2, v171 :: v_dual_add_f32 v1, v1, v160
	v_add_f32_e32 v1, v1, v162
	s_delay_alu instid0(VALU_DEP_1) | instskip(NEXT) | instid1(VALU_DEP_1)
	v_add_f32_e32 v1, v1, v164
	v_add_f32_e32 v1, v1, v166
	s_delay_alu instid0(VALU_DEP_1) | instskip(NEXT) | instid1(VALU_DEP_1)
	v_add_f32_e32 v1, v1, v168
	;; [unrolled: 3-line block ×4, first 2 shown]
	v_add_f32_e32 v1, v1, v178
	s_delay_alu instid0(VALU_DEP_1) | instskip(SKIP_1) | instid1(VALU_DEP_2)
	v_add_f32_e32 v6, v1, v180
	v_dual_add_f32 v2, v2, v173 :: v_dual_mul_f32 v207, v7, v4
	v_add_f32_e32 v6, v6, v182
	s_delay_alu instid0(VALU_DEP_2) | instskip(NEXT) | instid1(VALU_DEP_3)
	v_add_f32_e32 v2, v2, v175
	v_fmac_f32_e32 v207, v8, v3
	s_delay_alu instid0(VALU_DEP_3) | instskip(NEXT) | instid1(VALU_DEP_3)
	v_add_f32_e32 v13, v6, v184
	v_add_f32_e32 v5, v2, v177
	ds_load_2addr_b64 v[1:4], v25 offset0:103 offset1:104
	v_add_f32_e32 v13, v13, v186
	v_add_f32_e32 v5, v5, v179
	s_delay_alu instid0(VALU_DEP_2) | instskip(NEXT) | instid1(VALU_DEP_2)
	v_add_f32_e32 v13, v13, v188
	v_add_f32_e32 v5, v5, v181
	s_delay_alu instid0(VALU_DEP_2) | instskip(NEXT) | instid1(VALU_DEP_2)
	v_add_f32_e32 v13, v13, v190
	v_add_f32_e32 v14, v5, v183
	ds_load_2addr_b64 v[5:8], v25 offset0:105 offset1:106
	v_add_f32_e32 v18, v13, v192
	s_wait_loadcnt_dscnt 0x101
	v_mul_f32_e32 v26, v1, v10
	v_mul_f32_e32 v10, v2, v10
	;; [unrolled: 1-line block ×4, first 2 shown]
	v_add_f32_e32 v14, v14, v185
	v_fmac_f32_e32 v26, v2, v9
	v_fma_f32 v145, v1, v9, -v10
	v_fmac_f32_e32 v144, v4, v11
	v_fma_f32 v146, v3, v11, -v12
	s_clause 0x1
	scratch_load_b128 v[1:4], off, off offset:392
	scratch_load_b128 v[9:12], off, off offset:408
	v_add_f32_e32 v14, v14, v187
	v_add_f32_e32 v18, v18, v194
	s_delay_alu instid0(VALU_DEP_2) | instskip(SKIP_2) | instid1(VALU_DEP_1)
	v_add_f32_e32 v17, v14, v189
	scratch_load_b128 v[13:16], off, off offset:424
	v_dual_add_f32 v18, v18, v196 :: v_dual_add_f32 v17, v17, v191
	v_dual_add_f32 v18, v18, v198 :: v_dual_add_f32 v17, v17, v193
	s_delay_alu instid0(VALU_DEP_1) | instskip(NEXT) | instid1(VALU_DEP_1)
	v_dual_add_f32 v18, v18, v200 :: v_dual_add_f32 v17, v17, v195
	v_dual_add_f32 v30, v18, v202 :: v_dual_add_f32 v17, v17, v197
	s_delay_alu instid0(VALU_DEP_1) | instskip(NEXT) | instid1(VALU_DEP_2)
	v_add_f32_e32 v147, v30, v204
	v_add_f32_e32 v21, v17, v199
	ds_load_2addr_b64 v[17:20], v25 offset0:107 offset1:108
	v_add_f32_e32 v147, v147, v206
	v_add_f32_e32 v31, v21, v201
	ds_load_2addr_b64 v[21:24], v25 offset0:109 offset1:110
	v_add_f32_e32 v147, v147, v208
	v_add_f32_e32 v150, v31, v203
	ds_load_b64 v[30:31], v25 offset:888
	v_add_f32_e32 v145, v147, v145
	s_wait_loadcnt_dscnt 0x203
	s_delay_alu instid0(VALU_DEP_1) | instskip(SKIP_4) | instid1(VALU_DEP_3)
	v_dual_add_f32 v145, v145, v146 :: v_dual_mul_f32 v152, v7, v4
	v_dual_add_f32 v150, v150, v205 :: v_dual_mul_f32 v151, v5, v2
	v_mul_f32_e32 v2, v6, v2
	s_wait_loadcnt_dscnt 0x102
	v_dual_mul_f32 v4, v8, v4 :: v_dual_mul_f32 v147, v17, v10
	v_add_f32_e32 v150, v150, v207
	v_fmac_f32_e32 v151, v6, v1
	v_fma_f32 v2, v5, v1, -v2
	v_fmac_f32_e32 v152, v8, v3
	v_fma_f32 v1, v7, v3, -v4
	v_add_f32_e32 v26, v150, v26
	v_mul_f32_e32 v3, v18, v10
	v_add_f32_e32 v2, v145, v2
	v_mul_f32_e32 v150, v19, v12
	v_mul_f32_e32 v5, v20, v12
	v_add_f32_e32 v26, v26, v144
	v_fmac_f32_e32 v147, v18, v9
	v_fma_f32 v3, v17, v9, -v3
	v_add_f32_e32 v1, v2, v1
	s_wait_loadcnt_dscnt 0x1
	v_dual_mul_f32 v153, v21, v14 :: v_dual_add_f32 v4, v26, v151
	v_fmac_f32_e32 v150, v20, v11
	v_fma_f32 v5, v19, v11, -v5
	v_dual_add_f32 v1, v1, v3 :: v_dual_mul_f32 v146, v23, v16
	s_delay_alu instid0(VALU_DEP_4) | instskip(SKIP_2) | instid1(VALU_DEP_3)
	v_add_f32_e32 v2, v4, v152
	v_dual_mul_f32 v4, v22, v14 :: v_dual_mul_f32 v3, v24, v16
	v_fmac_f32_e32 v153, v22, v13
	v_dual_add_f32 v1, v1, v5 :: v_dual_add_f32 v2, v2, v147
	s_delay_alu instid0(VALU_DEP_3)
	v_fma_f32 v4, v21, v13, -v4
	s_wait_dscnt 0x0
	v_mul_f32_e32 v144, v30, v29
	v_dual_mul_f32 v5, v31, v29 :: v_dual_fmac_f32 v146, v24, v15
	v_add_f32_e32 v2, v2, v150
	v_fma_f32 v3, v23, v15, -v3
	v_add_f32_e32 v1, v1, v4
	v_fmac_f32_e32 v144, v31, v28
	v_fma_f32 v4, v30, v28, -v5
	s_delay_alu instid0(VALU_DEP_3) | instskip(NEXT) | instid1(VALU_DEP_1)
	v_dual_add_f32 v2, v2, v153 :: v_dual_add_f32 v1, v1, v3
	v_dual_add_f32 v2, v2, v146 :: v_dual_add_f32 v1, v1, v4
	s_delay_alu instid0(VALU_DEP_1) | instskip(NEXT) | instid1(VALU_DEP_1)
	v_dual_add_f32 v2, v2, v144 :: v_dual_sub_f32 v1, v148, v1
	v_sub_f32_e32 v2, v149, v2
	scratch_store_b64 off, v[1:2], off offset:48
	v_cmpx_lt_u32_e32 5, v0
	s_cbranch_execz .LBB119_339
; %bb.338:
	scratch_load_b64 v[1:2], off, off offset:40
	v_mov_b32_e32 v26, v25
	scratch_store_b64 off, v[25:26], off offset:40
	s_wait_loadcnt 0x0
	ds_store_b64 v27, v[1:2]
.LBB119_339:
	s_wait_alu 0xfffe
	s_or_b32 exec_lo, exec_lo, s0
	s_wait_storecnt_dscnt 0x0
	s_barrier_signal -1
	s_barrier_wait -1
	global_inv scope:SCOPE_SE
	s_clause 0x4
	scratch_load_b128 v[5:8], off, off offset:48
	scratch_load_b128 v[1:4], off, off offset:64
	;; [unrolled: 1-line block ×5, first 2 shown]
	ds_load_b128 v[21:24], v25 offset:496
	ds_load_b128 v[28:31], v25 offset:512
	;; [unrolled: 1-line block ×3, first 2 shown]
	scratch_load_b64 v[148:149], off, off offset:40
	s_mov_b32 s0, exec_lo
	s_wait_loadcnt_dscnt 0x502
	v_mul_f32_e32 v26, v21, v6
	s_wait_loadcnt_dscnt 0x300
	v_dual_mul_f32 v150, v23, v8 :: v_dual_mul_f32 v151, v144, v10
	v_mul_f32_e32 v8, v24, v8
	v_mul_f32_e32 v6, v22, v6
	v_fmac_f32_e32 v26, v22, v5
	v_mul_f32_e32 v10, v145, v10
	v_fmac_f32_e32 v151, v145, v9
	v_fma_f32 v22, v23, v7, -v8
	v_mul_f32_e32 v23, v28, v2
	v_fmac_f32_e32 v150, v24, v7
	v_mul_f32_e32 v24, v30, v4
	v_mul_f32_e32 v4, v31, v4
	s_delay_alu instid0(VALU_DEP_4)
	v_dual_mul_f32 v152, v146, v12 :: v_dual_fmac_f32 v23, v29, v1
	v_fma_f32 v21, v21, v5, -v6
	ds_load_b128 v[5:8], v25 offset:544
	v_mul_f32_e32 v12, v147, v12
	v_mul_f32_e32 v2, v29, v2
	v_fmac_f32_e32 v24, v31, v3
	v_fma_f32 v29, v30, v3, -v4
	v_fma_f32 v30, v144, v9, -v10
	v_fmac_f32_e32 v152, v147, v11
	v_fma_f32 v31, v146, v11, -v12
	ds_load_b128 v[9:12], v25 offset:560
	s_wait_loadcnt_dscnt 0x201
	v_dual_mul_f32 v145, v7, v16 :: v_dual_mul_f32 v144, v5, v14
	v_mul_f32_e32 v14, v6, v14
	v_mul_f32_e32 v16, v8, v16
	s_delay_alu instid0(VALU_DEP_3)
	v_fmac_f32_e32 v145, v8, v15
	v_fma_f32 v28, v28, v1, -v2
	scratch_load_b128 v[1:4], off, off offset:128
	v_fmac_f32_e32 v144, v6, v13
	v_fma_f32 v13, v5, v13, -v14
	v_fma_f32 v14, v7, v15, -v16
	s_wait_loadcnt_dscnt 0x200
	v_mul_f32_e32 v15, v9, v18
	v_mul_f32_e32 v16, v10, v18
	;; [unrolled: 1-line block ×4, first 2 shown]
	ds_load_b128 v[5:8], v25 offset:576
	v_fmac_f32_e32 v15, v10, v17
	v_fma_f32 v16, v9, v17, -v16
	v_fmac_f32_e32 v18, v12, v19
	v_fma_f32 v17, v11, v19, -v20
	scratch_load_b128 v[9:12], off, off offset:144
	s_wait_loadcnt_dscnt 0x100
	v_mul_f32_e32 v19, v5, v2
	v_mul_f32_e32 v2, v6, v2
	;; [unrolled: 1-line block ×3, first 2 shown]
	s_delay_alu instid0(VALU_DEP_3) | instskip(NEXT) | instid1(VALU_DEP_3)
	v_dual_mul_f32 v4, v8, v4 :: v_dual_fmac_f32 v19, v6, v1
	v_fma_f32 v146, v5, v1, -v2
	s_delay_alu instid0(VALU_DEP_3) | instskip(NEXT) | instid1(VALU_DEP_3)
	v_fmac_f32_e32 v20, v8, v3
	v_fma_f32 v147, v7, v3, -v4
	ds_load_b128 v[1:4], v25 offset:592
	ds_load_b128 v[5:8], v25 offset:608
	s_wait_loadcnt_dscnt 0x1
	v_mul_f32_e32 v153, v1, v10
	v_mul_f32_e32 v10, v2, v10
	s_delay_alu instid0(VALU_DEP_2) | instskip(NEXT) | instid1(VALU_DEP_2)
	v_dual_mul_f32 v154, v3, v12 :: v_dual_fmac_f32 v153, v2, v9
	v_fma_f32 v155, v1, v9, -v10
	v_mul_f32_e32 v1, v4, v12
	s_delay_alu instid0(VALU_DEP_3) | instskip(NEXT) | instid1(VALU_DEP_2)
	v_fmac_f32_e32 v154, v4, v11
	v_fma_f32 v156, v3, v11, -v1
	s_clause 0x1
	scratch_load_b128 v[1:4], off, off offset:160
	scratch_load_b128 v[9:12], off, off offset:176
	s_wait_loadcnt_dscnt 0x100
	v_mul_f32_e32 v157, v5, v2
	v_dual_mul_f32 v2, v6, v2 :: v_dual_mul_f32 v159, v7, v4
	s_delay_alu instid0(VALU_DEP_2) | instskip(NEXT) | instid1(VALU_DEP_2)
	v_fmac_f32_e32 v157, v6, v1
	v_fma_f32 v158, v5, v1, -v2
	v_mul_f32_e32 v1, v8, v4
	s_delay_alu instid0(VALU_DEP_4) | instskip(NEXT) | instid1(VALU_DEP_2)
	v_fmac_f32_e32 v159, v8, v3
	v_fma_f32 v160, v7, v3, -v1
	ds_load_b128 v[1:4], v25 offset:624
	ds_load_b128 v[5:8], v25 offset:640
	s_wait_loadcnt_dscnt 0x1
	v_mul_f32_e32 v161, v1, v10
	v_mul_f32_e32 v163, v3, v12
	s_delay_alu instid0(VALU_DEP_2) | instskip(NEXT) | instid1(VALU_DEP_2)
	v_fmac_f32_e32 v161, v2, v9
	v_dual_mul_f32 v2, v2, v10 :: v_dual_fmac_f32 v163, v4, v11
	s_delay_alu instid0(VALU_DEP_1) | instskip(SKIP_1) | instid1(VALU_DEP_1)
	v_fma_f32 v162, v1, v9, -v2
	v_mul_f32_e32 v1, v4, v12
	v_fma_f32 v164, v3, v11, -v1
	s_clause 0x1
	scratch_load_b128 v[1:4], off, off offset:192
	scratch_load_b128 v[9:12], off, off offset:208
	s_wait_loadcnt_dscnt 0x100
	v_mul_f32_e32 v165, v5, v2
	v_dual_mul_f32 v2, v6, v2 :: v_dual_mul_f32 v167, v7, v4
	s_delay_alu instid0(VALU_DEP_2) | instskip(NEXT) | instid1(VALU_DEP_2)
	v_fmac_f32_e32 v165, v6, v1
	v_fma_f32 v166, v5, v1, -v2
	v_mul_f32_e32 v1, v8, v4
	s_delay_alu instid0(VALU_DEP_4) | instskip(NEXT) | instid1(VALU_DEP_2)
	v_fmac_f32_e32 v167, v8, v3
	v_fma_f32 v168, v7, v3, -v1
	ds_load_b128 v[1:4], v25 offset:656
	ds_load_b128 v[5:8], v25 offset:672
	s_wait_loadcnt_dscnt 0x1
	v_mul_f32_e32 v169, v1, v10
	v_mul_f32_e32 v171, v3, v12
	s_delay_alu instid0(VALU_DEP_2) | instskip(NEXT) | instid1(VALU_DEP_2)
	v_fmac_f32_e32 v169, v2, v9
	v_dual_mul_f32 v2, v2, v10 :: v_dual_fmac_f32 v171, v4, v11
	s_delay_alu instid0(VALU_DEP_1) | instskip(SKIP_1) | instid1(VALU_DEP_1)
	v_fma_f32 v170, v1, v9, -v2
	v_mul_f32_e32 v1, v4, v12
	;; [unrolled: 25-line block ×6, first 2 shown]
	v_fma_f32 v204, v3, v11, -v1
	s_clause 0x1
	scratch_load_b128 v[1:4], off, off offset:352
	scratch_load_b128 v[9:12], off, off offset:368
	s_wait_loadcnt_dscnt 0x100
	v_mul_f32_e32 v205, v5, v2
	v_mul_f32_e32 v2, v6, v2
	s_delay_alu instid0(VALU_DEP_2) | instskip(NEXT) | instid1(VALU_DEP_2)
	v_fmac_f32_e32 v205, v6, v1
	v_fma_f32 v206, v5, v1, -v2
	v_dual_add_f32 v2, 0, v26 :: v_dual_mul_f32 v1, v8, v4
	s_delay_alu instid0(VALU_DEP_1) | instskip(NEXT) | instid1(VALU_DEP_2)
	v_add_f32_e32 v2, v2, v150
	v_fma_f32 v208, v7, v3, -v1
	s_delay_alu instid0(VALU_DEP_2) | instskip(NEXT) | instid1(VALU_DEP_1)
	v_dual_add_f32 v1, 0, v21 :: v_dual_add_f32 v2, v2, v23
	v_dual_add_f32 v1, v1, v22 :: v_dual_add_f32 v2, v2, v24
	s_delay_alu instid0(VALU_DEP_1) | instskip(NEXT) | instid1(VALU_DEP_1)
	v_add_f32_e32 v2, v2, v151
	v_add_f32_e32 v2, v2, v152
	s_delay_alu instid0(VALU_DEP_1) | instskip(NEXT) | instid1(VALU_DEP_1)
	v_add_f32_e32 v2, v2, v144
	v_add_f32_e32 v2, v2, v145
	;; [unrolled: 3-line block ×4, first 2 shown]
	s_delay_alu instid0(VALU_DEP_1) | instskip(NEXT) | instid1(VALU_DEP_1)
	v_dual_add_f32 v1, v1, v28 :: v_dual_add_f32 v2, v2, v153
	v_dual_add_f32 v1, v1, v29 :: v_dual_add_f32 v2, v2, v154
	s_delay_alu instid0(VALU_DEP_1) | instskip(NEXT) | instid1(VALU_DEP_1)
	v_dual_add_f32 v1, v1, v30 :: v_dual_add_f32 v2, v2, v157
	v_add_f32_e32 v1, v1, v31
	s_delay_alu instid0(VALU_DEP_1) | instskip(NEXT) | instid1(VALU_DEP_1)
	v_dual_add_f32 v2, v2, v159 :: v_dual_add_f32 v1, v1, v13
	v_dual_add_f32 v2, v2, v161 :: v_dual_add_f32 v1, v1, v14
	s_delay_alu instid0(VALU_DEP_1) | instskip(NEXT) | instid1(VALU_DEP_1)
	v_add_f32_e32 v2, v2, v163
	v_add_f32_e32 v2, v2, v165
	s_delay_alu instid0(VALU_DEP_1) | instskip(NEXT) | instid1(VALU_DEP_1)
	v_add_f32_e32 v2, v2, v167
	v_add_f32_e32 v2, v2, v169
	s_delay_alu instid0(VALU_DEP_1) | instskip(NEXT) | instid1(VALU_DEP_1)
	v_add_f32_e32 v2, v2, v171
	v_dual_add_f32 v2, v2, v173 :: v_dual_add_f32 v1, v1, v16
	s_delay_alu instid0(VALU_DEP_1) | instskip(NEXT) | instid1(VALU_DEP_1)
	v_dual_add_f32 v2, v2, v175 :: v_dual_add_f32 v1, v1, v17
	v_add_f32_e32 v1, v1, v146
	s_delay_alu instid0(VALU_DEP_1) | instskip(NEXT) | instid1(VALU_DEP_1)
	v_add_f32_e32 v1, v1, v147
	v_add_f32_e32 v1, v1, v155
	s_delay_alu instid0(VALU_DEP_1) | instskip(NEXT) | instid1(VALU_DEP_1)
	v_add_f32_e32 v1, v1, v156
	;; [unrolled: 3-line block ×8, first 2 shown]
	v_add_f32_e32 v6, v1, v182
	v_add_f32_e32 v2, v2, v177
	s_delay_alu instid0(VALU_DEP_2) | instskip(NEXT) | instid1(VALU_DEP_1)
	v_add_f32_e32 v14, v6, v184
	v_dual_mul_f32 v207, v7, v4 :: v_dual_add_f32 v14, v14, v186
	s_delay_alu instid0(VALU_DEP_1) | instskip(NEXT) | instid1(VALU_DEP_2)
	v_fmac_f32_e32 v207, v8, v3
	v_add_f32_e32 v17, v14, v188
	s_delay_alu instid0(VALU_DEP_1) | instskip(NEXT) | instid1(VALU_DEP_1)
	v_add_f32_e32 v17, v17, v190
	v_add_f32_e32 v17, v17, v192
	s_delay_alu instid0(VALU_DEP_1) | instskip(NEXT) | instid1(VALU_DEP_1)
	v_add_f32_e32 v17, v17, v194
	v_dual_add_f32 v22, v17, v196 :: v_dual_add_f32 v5, v2, v179
	ds_load_b128 v[1:4], v25 offset:816
	v_dual_add_f32 v22, v22, v198 :: v_dual_add_f32 v13, v5, v181
	scratch_load_b128 v[5:8], off, off offset:384
	v_dual_add_f32 v22, v22, v200 :: v_dual_add_f32 v13, v13, v183
	s_delay_alu instid0(VALU_DEP_1) | instskip(NEXT) | instid1(VALU_DEP_1)
	v_add_f32_e32 v13, v13, v185
	v_add_f32_e32 v18, v13, v187
	ds_load_b128 v[13:16], v25 offset:832
	s_wait_loadcnt_dscnt 0x101
	v_mul_f32_e32 v28, v3, v12
	v_mul_f32_e32 v26, v1, v10
	;; [unrolled: 1-line block ×3, first 2 shown]
	v_add_f32_e32 v18, v18, v189
	v_mul_f32_e32 v12, v4, v12
	v_fmac_f32_e32 v28, v4, v11
	v_fmac_f32_e32 v26, v2, v9
	v_fma_f32 v29, v1, v9, -v10
	v_add_f32_e32 v18, v18, v191
	v_fma_f32 v30, v3, v11, -v12
	s_clause 0x1
	scratch_load_b128 v[1:4], off, off offset:400
	scratch_load_b128 v[9:12], off, off offset:416
	v_add_f32_e32 v21, v18, v193
	scratch_load_b128 v[17:20], off, off offset:432
	v_add_f32_e32 v21, v21, v195
	s_delay_alu instid0(VALU_DEP_1)
	v_add_f32_e32 v21, v21, v197
	s_wait_loadcnt_dscnt 0x300
	v_mul_f32_e32 v31, v13, v6
	v_mul_f32_e32 v6, v14, v6
	;; [unrolled: 1-line block ×4, first 2 shown]
	s_delay_alu instid0(VALU_DEP_3) | instskip(SKIP_1) | instid1(VALU_DEP_4)
	v_fma_f32 v145, v13, v5, -v6
	v_add_f32_e32 v13, v21, v199
	v_dual_add_f32 v21, v22, v202 :: v_dual_fmac_f32 v144, v16, v7
	s_delay_alu instid0(VALU_DEP_4) | instskip(NEXT) | instid1(VALU_DEP_3)
	v_fma_f32 v146, v15, v7, -v8
	v_add_f32_e32 v22, v13, v201
	s_delay_alu instid0(VALU_DEP_1)
	v_dual_add_f32 v147, v21, v204 :: v_dual_add_f32 v150, v22, v203
	ds_load_b128 v[21:24], v25 offset:880
	v_fmac_f32_e32 v31, v14, v5
	ds_load_b128 v[5:8], v25 offset:848
	ds_load_b128 v[13:16], v25 offset:864
	v_add_f32_e32 v25, v147, v206
	v_add_f32_e32 v147, v150, v205
	s_delay_alu instid0(VALU_DEP_2) | instskip(NEXT) | instid1(VALU_DEP_2)
	v_add_f32_e32 v25, v25, v208
	v_add_f32_e32 v147, v147, v207
	s_delay_alu instid0(VALU_DEP_1) | instskip(NEXT) | instid1(VALU_DEP_1)
	v_dual_add_f32 v25, v25, v29 :: v_dual_add_f32 v26, v147, v26
	v_dual_add_f32 v25, v25, v30 :: v_dual_add_f32 v26, v26, v28
	s_wait_loadcnt_dscnt 0x2
	v_mul_f32_e32 v28, v21, v18
	s_wait_dscnt 0x1
	v_mul_f32_e32 v150, v5, v2
	v_dual_mul_f32 v2, v6, v2 :: v_dual_add_f32 v25, v25, v145
	v_dual_add_f32 v26, v26, v31 :: v_dual_mul_f32 v29, v7, v4
	v_mul_f32_e32 v4, v8, v4
	s_delay_alu instid0(VALU_DEP_3) | instskip(NEXT) | instid1(VALU_DEP_4)
	v_fma_f32 v2, v5, v1, -v2
	v_dual_fmac_f32 v150, v6, v1 :: v_dual_add_f32 v1, v25, v146
	s_delay_alu instid0(VALU_DEP_4)
	v_add_f32_e32 v5, v26, v144
	s_wait_dscnt 0x0
	v_mul_f32_e32 v147, v13, v10
	v_dual_mul_f32 v6, v14, v10 :: v_dual_fmac_f32 v29, v8, v3
	v_fma_f32 v3, v7, v3, -v4
	v_add_f32_e32 v1, v1, v2
	v_dual_add_f32 v2, v5, v150 :: v_dual_mul_f32 v151, v15, v12
	v_dual_mul_f32 v4, v16, v12 :: v_dual_fmac_f32 v147, v14, v9
	v_fma_f32 v5, v13, v9, -v6
	s_delay_alu instid0(VALU_DEP_3) | instskip(SKIP_3) | instid1(VALU_DEP_4)
	v_dual_add_f32 v1, v1, v3 :: v_dual_add_f32 v2, v2, v29
	v_mul_f32_e32 v3, v22, v18
	v_fmac_f32_e32 v151, v16, v11
	v_fma_f32 v4, v15, v11, -v4
	v_dual_add_f32 v1, v1, v5 :: v_dual_add_f32 v2, v2, v147
	v_mul_f32_e32 v30, v23, v20
	v_dual_mul_f32 v5, v24, v20 :: v_dual_fmac_f32 v28, v22, v17
	v_fma_f32 v3, v21, v17, -v3
	s_delay_alu instid0(VALU_DEP_4) | instskip(NEXT) | instid1(VALU_DEP_4)
	v_dual_add_f32 v1, v1, v4 :: v_dual_add_f32 v2, v2, v151
	v_fmac_f32_e32 v30, v24, v19
	s_delay_alu instid0(VALU_DEP_4) | instskip(NEXT) | instid1(VALU_DEP_3)
	v_fma_f32 v4, v23, v19, -v5
	v_dual_add_f32 v1, v1, v3 :: v_dual_add_f32 v2, v2, v28
	s_delay_alu instid0(VALU_DEP_1) | instskip(NEXT) | instid1(VALU_DEP_1)
	v_dual_add_f32 v1, v1, v4 :: v_dual_add_f32 v2, v2, v30
	v_dual_sub_f32 v1, v148, v1 :: v_dual_sub_f32 v2, v149, v2
	scratch_store_b64 off, v[1:2], off offset:40
	v_cmpx_lt_u32_e32 4, v0
	s_cbranch_execz .LBB119_341
; %bb.340:
	scratch_load_b64 v[1:2], off, off offset:32
	v_mov_b32_e32 v3, 0
	s_delay_alu instid0(VALU_DEP_1)
	v_mov_b32_e32 v4, v3
	scratch_store_b64 off, v[3:4], off offset:32
	s_wait_loadcnt 0x0
	ds_store_b64 v27, v[1:2]
.LBB119_341:
	s_wait_alu 0xfffe
	s_or_b32 exec_lo, exec_lo, s0
	s_wait_storecnt_dscnt 0x0
	s_barrier_signal -1
	s_barrier_wait -1
	global_inv scope:SCOPE_SE
	s_clause 0x4
	scratch_load_b128 v[5:8], off, off offset:40
	scratch_load_b128 v[1:4], off, off offset:56
	;; [unrolled: 1-line block ×5, first 2 shown]
	v_mov_b32_e32 v25, 0
	ds_load_2addr_b64 v[21:24], v25 offset0:61 offset1:62
	ds_load_2addr_b64 v[28:31], v25 offset0:63 offset1:64
	;; [unrolled: 1-line block ×3, first 2 shown]
	scratch_load_b64 v[148:149], off, off offset:32
	s_mov_b32 s0, exec_lo
	s_wait_loadcnt_dscnt 0x502
	v_mul_f32_e32 v26, v21, v6
	s_wait_loadcnt_dscnt 0x300
	v_dual_mul_f32 v150, v23, v8 :: v_dual_mul_f32 v151, v144, v10
	v_mul_f32_e32 v8, v24, v8
	v_mul_f32_e32 v6, v22, v6
	v_fmac_f32_e32 v26, v22, v5
	v_mul_f32_e32 v10, v145, v10
	v_fmac_f32_e32 v151, v145, v9
	v_fma_f32 v22, v23, v7, -v8
	v_mul_f32_e32 v23, v28, v2
	v_fmac_f32_e32 v150, v24, v7
	v_mul_f32_e32 v152, v146, v12
	v_mul_f32_e32 v12, v147, v12
	;; [unrolled: 1-line block ×3, first 2 shown]
	v_fmac_f32_e32 v23, v29, v1
	v_fma_f32 v21, v21, v5, -v6
	ds_load_2addr_b64 v[5:8], v25 offset0:67 offset1:68
	v_mul_f32_e32 v24, v30, v4
	v_mul_f32_e32 v4, v31, v4
	v_fmac_f32_e32 v152, v147, v11
	s_delay_alu instid0(VALU_DEP_3) | instskip(NEXT) | instid1(VALU_DEP_3)
	v_fmac_f32_e32 v24, v31, v3
	v_fma_f32 v29, v30, v3, -v4
	v_fma_f32 v30, v144, v9, -v10
	;; [unrolled: 1-line block ×3, first 2 shown]
	ds_load_2addr_b64 v[9:12], v25 offset0:69 offset1:70
	s_wait_loadcnt_dscnt 0x201
	v_mul_f32_e32 v144, v5, v14
	v_dual_mul_f32 v14, v6, v14 :: v_dual_mul_f32 v145, v7, v16
	v_mul_f32_e32 v16, v8, v16
	s_delay_alu instid0(VALU_DEP_3) | instskip(NEXT) | instid1(VALU_DEP_3)
	v_fmac_f32_e32 v144, v6, v13
	v_fma_f32 v13, v5, v13, -v14
	s_delay_alu instid0(VALU_DEP_4) | instskip(NEXT) | instid1(VALU_DEP_4)
	v_fmac_f32_e32 v145, v8, v15
	v_fma_f32 v14, v7, v15, -v16
	ds_load_2addr_b64 v[5:8], v25 offset0:71 offset1:72
	s_wait_loadcnt_dscnt 0x101
	v_mul_f32_e32 v15, v9, v18
	v_mul_f32_e32 v16, v10, v18
	;; [unrolled: 1-line block ×3, first 2 shown]
	s_delay_alu instid0(VALU_DEP_3)
	v_dual_mul_f32 v20, v12, v20 :: v_dual_fmac_f32 v15, v10, v17
	v_fma_f32 v28, v28, v1, -v2
	scratch_load_b128 v[1:4], off, off offset:120
	v_fma_f32 v16, v9, v17, -v16
	v_fmac_f32_e32 v18, v12, v19
	v_fma_f32 v17, v11, v19, -v20
	scratch_load_b128 v[9:12], off, off offset:136
	s_wait_loadcnt_dscnt 0x100
	v_mul_f32_e32 v19, v5, v2
	v_mul_f32_e32 v2, v6, v2
	;; [unrolled: 1-line block ×3, first 2 shown]
	s_delay_alu instid0(VALU_DEP_3) | instskip(NEXT) | instid1(VALU_DEP_3)
	v_dual_mul_f32 v4, v8, v4 :: v_dual_fmac_f32 v19, v6, v1
	v_fma_f32 v146, v5, v1, -v2
	s_delay_alu instid0(VALU_DEP_3) | instskip(NEXT) | instid1(VALU_DEP_3)
	v_fmac_f32_e32 v20, v8, v3
	v_fma_f32 v147, v7, v3, -v4
	ds_load_2addr_b64 v[1:4], v25 offset0:73 offset1:74
	ds_load_2addr_b64 v[5:8], v25 offset0:75 offset1:76
	s_wait_loadcnt_dscnt 0x1
	v_mul_f32_e32 v153, v1, v10
	v_mul_f32_e32 v10, v2, v10
	s_delay_alu instid0(VALU_DEP_2) | instskip(NEXT) | instid1(VALU_DEP_2)
	v_dual_mul_f32 v154, v3, v12 :: v_dual_fmac_f32 v153, v2, v9
	v_fma_f32 v155, v1, v9, -v10
	v_mul_f32_e32 v1, v4, v12
	s_delay_alu instid0(VALU_DEP_3) | instskip(NEXT) | instid1(VALU_DEP_2)
	v_fmac_f32_e32 v154, v4, v11
	v_fma_f32 v156, v3, v11, -v1
	s_clause 0x1
	scratch_load_b128 v[1:4], off, off offset:152
	scratch_load_b128 v[9:12], off, off offset:168
	s_wait_loadcnt_dscnt 0x100
	v_mul_f32_e32 v157, v5, v2
	v_dual_mul_f32 v2, v6, v2 :: v_dual_mul_f32 v159, v7, v4
	s_delay_alu instid0(VALU_DEP_2) | instskip(NEXT) | instid1(VALU_DEP_2)
	v_fmac_f32_e32 v157, v6, v1
	v_fma_f32 v158, v5, v1, -v2
	v_mul_f32_e32 v1, v8, v4
	s_delay_alu instid0(VALU_DEP_4) | instskip(NEXT) | instid1(VALU_DEP_2)
	v_fmac_f32_e32 v159, v8, v3
	v_fma_f32 v160, v7, v3, -v1
	ds_load_2addr_b64 v[1:4], v25 offset0:77 offset1:78
	ds_load_2addr_b64 v[5:8], v25 offset0:79 offset1:80
	s_wait_loadcnt_dscnt 0x1
	v_mul_f32_e32 v161, v1, v10
	v_mul_f32_e32 v163, v3, v12
	s_delay_alu instid0(VALU_DEP_2) | instskip(NEXT) | instid1(VALU_DEP_2)
	v_fmac_f32_e32 v161, v2, v9
	v_dual_mul_f32 v2, v2, v10 :: v_dual_fmac_f32 v163, v4, v11
	s_delay_alu instid0(VALU_DEP_1) | instskip(SKIP_1) | instid1(VALU_DEP_1)
	v_fma_f32 v162, v1, v9, -v2
	v_mul_f32_e32 v1, v4, v12
	v_fma_f32 v164, v3, v11, -v1
	s_clause 0x1
	scratch_load_b128 v[1:4], off, off offset:184
	scratch_load_b128 v[9:12], off, off offset:200
	s_wait_loadcnt_dscnt 0x100
	v_mul_f32_e32 v165, v5, v2
	v_dual_mul_f32 v2, v6, v2 :: v_dual_mul_f32 v167, v7, v4
	s_delay_alu instid0(VALU_DEP_2) | instskip(NEXT) | instid1(VALU_DEP_2)
	v_fmac_f32_e32 v165, v6, v1
	v_fma_f32 v166, v5, v1, -v2
	v_mul_f32_e32 v1, v8, v4
	s_delay_alu instid0(VALU_DEP_4) | instskip(NEXT) | instid1(VALU_DEP_2)
	v_fmac_f32_e32 v167, v8, v3
	v_fma_f32 v168, v7, v3, -v1
	ds_load_2addr_b64 v[1:4], v25 offset0:81 offset1:82
	ds_load_2addr_b64 v[5:8], v25 offset0:83 offset1:84
	s_wait_loadcnt_dscnt 0x1
	v_mul_f32_e32 v169, v1, v10
	v_mul_f32_e32 v171, v3, v12
	s_delay_alu instid0(VALU_DEP_2) | instskip(NEXT) | instid1(VALU_DEP_2)
	v_fmac_f32_e32 v169, v2, v9
	v_dual_mul_f32 v2, v2, v10 :: v_dual_fmac_f32 v171, v4, v11
	s_delay_alu instid0(VALU_DEP_1) | instskip(SKIP_1) | instid1(VALU_DEP_1)
	v_fma_f32 v170, v1, v9, -v2
	v_mul_f32_e32 v1, v4, v12
	;; [unrolled: 25-line block ×6, first 2 shown]
	v_fma_f32 v204, v3, v11, -v1
	s_clause 0x1
	scratch_load_b128 v[1:4], off, off offset:344
	scratch_load_b128 v[9:12], off, off offset:360
	s_wait_loadcnt_dscnt 0x100
	v_mul_f32_e32 v205, v5, v2
	v_mul_f32_e32 v2, v6, v2
	s_delay_alu instid0(VALU_DEP_2) | instskip(NEXT) | instid1(VALU_DEP_2)
	v_fmac_f32_e32 v205, v6, v1
	v_fma_f32 v206, v5, v1, -v2
	v_dual_add_f32 v2, 0, v26 :: v_dual_mul_f32 v1, v8, v4
	s_delay_alu instid0(VALU_DEP_1) | instskip(NEXT) | instid1(VALU_DEP_2)
	v_add_f32_e32 v2, v2, v150
	v_fma_f32 v208, v7, v3, -v1
	s_delay_alu instid0(VALU_DEP_2) | instskip(NEXT) | instid1(VALU_DEP_1)
	v_dual_add_f32 v1, 0, v21 :: v_dual_add_f32 v2, v2, v23
	v_dual_add_f32 v1, v1, v22 :: v_dual_add_f32 v2, v2, v24
	s_delay_alu instid0(VALU_DEP_1) | instskip(NEXT) | instid1(VALU_DEP_1)
	v_add_f32_e32 v2, v2, v151
	v_add_f32_e32 v2, v2, v152
	s_delay_alu instid0(VALU_DEP_1) | instskip(NEXT) | instid1(VALU_DEP_1)
	v_add_f32_e32 v2, v2, v144
	v_add_f32_e32 v2, v2, v145
	;; [unrolled: 3-line block ×4, first 2 shown]
	s_delay_alu instid0(VALU_DEP_1) | instskip(NEXT) | instid1(VALU_DEP_1)
	v_dual_add_f32 v1, v1, v28 :: v_dual_add_f32 v2, v2, v153
	v_add_f32_e32 v1, v1, v29
	scratch_load_b64 v[28:29], off, off offset:440
	v_add_f32_e32 v2, v2, v154
	s_delay_alu instid0(VALU_DEP_1) | instskip(NEXT) | instid1(VALU_DEP_1)
	v_dual_add_f32 v1, v1, v30 :: v_dual_add_f32 v2, v2, v157
	v_add_f32_e32 v1, v1, v31
	s_delay_alu instid0(VALU_DEP_1) | instskip(NEXT) | instid1(VALU_DEP_1)
	v_dual_add_f32 v2, v2, v159 :: v_dual_add_f32 v1, v1, v13
	v_dual_add_f32 v2, v2, v161 :: v_dual_add_f32 v1, v1, v14
	s_delay_alu instid0(VALU_DEP_1) | instskip(NEXT) | instid1(VALU_DEP_1)
	v_dual_add_f32 v2, v2, v163 :: v_dual_add_f32 v1, v1, v16
	v_add_f32_e32 v2, v2, v165
	s_delay_alu instid0(VALU_DEP_1) | instskip(NEXT) | instid1(VALU_DEP_1)
	v_dual_add_f32 v1, v1, v17 :: v_dual_add_f32 v2, v2, v167
	v_dual_add_f32 v1, v1, v146 :: v_dual_add_f32 v2, v2, v169
	s_delay_alu instid0(VALU_DEP_1) | instskip(NEXT) | instid1(VALU_DEP_2)
	v_add_f32_e32 v1, v1, v147
	v_add_f32_e32 v2, v2, v171
	s_delay_alu instid0(VALU_DEP_2) | instskip(NEXT) | instid1(VALU_DEP_1)
	v_add_f32_e32 v1, v1, v155
	v_add_f32_e32 v1, v1, v156
	s_delay_alu instid0(VALU_DEP_1) | instskip(NEXT) | instid1(VALU_DEP_1)
	v_add_f32_e32 v1, v1, v158
	v_add_f32_e32 v1, v1, v160
	s_delay_alu instid0(VALU_DEP_1) | instskip(NEXT) | instid1(VALU_DEP_1)
	;; [unrolled: 3-line block ×6, first 2 shown]
	v_add_f32_e32 v1, v1, v178
	v_add_f32_e32 v1, v1, v180
	s_delay_alu instid0(VALU_DEP_1) | instskip(SKIP_1) | instid1(VALU_DEP_2)
	v_add_f32_e32 v6, v1, v182
	v_add_f32_e32 v2, v2, v173
	;; [unrolled: 1-line block ×3, first 2 shown]
	s_delay_alu instid0(VALU_DEP_2) | instskip(NEXT) | instid1(VALU_DEP_2)
	v_dual_add_f32 v2, v2, v175 :: v_dual_mul_f32 v207, v7, v4
	v_add_f32_e32 v14, v14, v186
	s_delay_alu instid0(VALU_DEP_2) | instskip(NEXT) | instid1(VALU_DEP_2)
	v_dual_add_f32 v2, v2, v177 :: v_dual_fmac_f32 v207, v8, v3
	v_add_f32_e32 v17, v14, v188
	s_delay_alu instid0(VALU_DEP_2)
	v_add_f32_e32 v5, v2, v179
	scratch_load_b128 v[1:4], off, off offset:376
	v_add_f32_e32 v17, v17, v190
	v_add_f32_e32 v13, v5, v181
	ds_load_2addr_b64 v[5:8], v25 offset0:101 offset1:102
	v_add_f32_e32 v17, v17, v192
	v_add_f32_e32 v13, v13, v183
	s_delay_alu instid0(VALU_DEP_2) | instskip(NEXT) | instid1(VALU_DEP_2)
	v_add_f32_e32 v17, v17, v194
	v_add_f32_e32 v13, v13, v185
	s_delay_alu instid0(VALU_DEP_2) | instskip(NEXT) | instid1(VALU_DEP_2)
	v_add_f32_e32 v22, v17, v196
	v_add_f32_e32 v18, v13, v187
	ds_load_2addr_b64 v[13:16], v25 offset0:103 offset1:104
	v_add_f32_e32 v22, v22, v198
	s_wait_loadcnt_dscnt 0x201
	v_mul_f32_e32 v26, v5, v10
	v_mul_f32_e32 v10, v6, v10
	;; [unrolled: 1-line block ×4, first 2 shown]
	v_add_f32_e32 v18, v18, v189
	v_fmac_f32_e32 v26, v6, v9
	v_fma_f32 v145, v5, v9, -v10
	v_fmac_f32_e32 v144, v8, v11
	v_fma_f32 v146, v7, v11, -v12
	s_clause 0x1
	scratch_load_b128 v[5:8], off, off offset:392
	scratch_load_b128 v[9:12], off, off offset:408
	v_add_f32_e32 v18, v18, v191
	v_add_f32_e32 v22, v22, v200
	s_delay_alu instid0(VALU_DEP_2) | instskip(SKIP_2) | instid1(VALU_DEP_1)
	v_add_f32_e32 v21, v18, v193
	scratch_load_b128 v[17:20], off, off offset:424
	v_dual_add_f32 v22, v22, v202 :: v_dual_add_f32 v21, v21, v195
	v_add_f32_e32 v21, v21, v197
	s_delay_alu instid0(VALU_DEP_1) | instskip(SKIP_4) | instid1(VALU_DEP_3)
	v_add_f32_e32 v21, v21, v199
	s_wait_loadcnt_dscnt 0x300
	v_mul_f32_e32 v147, v13, v2
	v_mul_f32_e32 v2, v14, v2
	;; [unrolled: 1-line block ×3, first 2 shown]
	v_dual_mul_f32 v4, v16, v4 :: v_dual_fmac_f32 v147, v14, v1
	s_delay_alu instid0(VALU_DEP_3) | instskip(SKIP_1) | instid1(VALU_DEP_4)
	v_fma_f32 v151, v13, v1, -v2
	v_dual_add_f32 v13, v21, v201 :: v_dual_add_f32 v14, v22, v204
	v_fmac_f32_e32 v150, v16, v3
	s_delay_alu instid0(VALU_DEP_4)
	v_fma_f32 v152, v15, v3, -v4
	ds_load_2addr_b64 v[1:4], v25 offset0:105 offset1:106
	v_dual_add_f32 v21, v13, v203 :: v_dual_add_f32 v30, v14, v206
	ds_load_2addr_b64 v[13:16], v25 offset0:107 offset1:108
	v_add_f32_e32 v31, v21, v205
	v_add_f32_e32 v153, v30, v208
	ds_load_2addr_b64 v[21:24], v25 offset0:109 offset1:110
	v_dual_add_f32 v154, v31, v207 :: v_dual_add_f32 v145, v153, v145
	ds_load_b64 v[30:31], v25 offset:888
	v_add_f32_e32 v26, v154, v26
	s_delay_alu instid0(VALU_DEP_1) | instskip(NEXT) | instid1(VALU_DEP_1)
	v_dual_add_f32 v145, v145, v146 :: v_dual_add_f32 v26, v26, v144
	v_add_f32_e32 v145, v145, v151
	s_wait_loadcnt_dscnt 0x203
	v_mul_f32_e32 v153, v1, v6
	v_mul_f32_e32 v6, v2, v6
	;; [unrolled: 1-line block ×3, first 2 shown]
	v_add_f32_e32 v26, v26, v147
	v_mul_f32_e32 v8, v4, v8
	v_add_f32_e32 v145, v145, v152
	v_fma_f32 v1, v1, v5, -v6
	v_fmac_f32_e32 v153, v2, v5
	v_add_f32_e32 v26, v26, v150
	s_wait_loadcnt_dscnt 0x102
	v_mul_f32_e32 v146, v13, v10
	v_fmac_f32_e32 v144, v4, v7
	v_fma_f32 v2, v3, v7, -v8
	v_mul_f32_e32 v3, v14, v10
	v_add_f32_e32 v1, v145, v1
	v_dual_add_f32 v4, v26, v153 :: v_dual_mul_f32 v147, v15, v12
	v_dual_mul_f32 v5, v16, v12 :: v_dual_fmac_f32 v146, v14, v9
	s_delay_alu instid0(VALU_DEP_4) | instskip(NEXT) | instid1(VALU_DEP_3)
	v_fma_f32 v3, v13, v9, -v3
	v_dual_add_f32 v1, v1, v2 :: v_dual_add_f32 v2, v4, v144
	s_wait_loadcnt_dscnt 0x1
	v_mul_f32_e32 v151, v21, v18
	v_dual_mul_f32 v4, v22, v18 :: v_dual_fmac_f32 v147, v16, v11
	v_fma_f32 v5, v15, v11, -v5
	v_dual_add_f32 v1, v1, v3 :: v_dual_add_f32 v2, v2, v146
	v_mul_f32_e32 v152, v23, v20
	v_mul_f32_e32 v3, v24, v20
	v_fmac_f32_e32 v151, v22, v17
	v_fma_f32 v4, v21, v17, -v4
	v_dual_add_f32 v1, v1, v5 :: v_dual_add_f32 v2, v2, v147
	s_wait_dscnt 0x0
	v_mul_f32_e32 v150, v30, v29
	v_dual_mul_f32 v5, v31, v29 :: v_dual_fmac_f32 v152, v24, v19
	v_fma_f32 v3, v23, v19, -v3
	v_dual_add_f32 v1, v1, v4 :: v_dual_add_f32 v2, v2, v151
	s_delay_alu instid0(VALU_DEP_4) | instskip(NEXT) | instid1(VALU_DEP_4)
	v_fmac_f32_e32 v150, v31, v28
	v_fma_f32 v4, v30, v28, -v5
	s_delay_alu instid0(VALU_DEP_3) | instskip(NEXT) | instid1(VALU_DEP_1)
	v_dual_add_f32 v1, v1, v3 :: v_dual_add_f32 v2, v2, v152
	v_dual_add_f32 v1, v1, v4 :: v_dual_add_f32 v2, v2, v150
	s_delay_alu instid0(VALU_DEP_1)
	v_dual_sub_f32 v1, v148, v1 :: v_dual_sub_f32 v2, v149, v2
	scratch_store_b64 off, v[1:2], off offset:32
	v_cmpx_lt_u32_e32 3, v0
	s_cbranch_execz .LBB119_343
; %bb.342:
	scratch_load_b64 v[1:2], off, off offset:24
	v_mov_b32_e32 v26, v25
	scratch_store_b64 off, v[25:26], off offset:24
	s_wait_loadcnt 0x0
	ds_store_b64 v27, v[1:2]
.LBB119_343:
	s_wait_alu 0xfffe
	s_or_b32 exec_lo, exec_lo, s0
	s_wait_storecnt_dscnt 0x0
	s_barrier_signal -1
	s_barrier_wait -1
	global_inv scope:SCOPE_SE
	s_clause 0x4
	scratch_load_b128 v[5:8], off, off offset:32
	scratch_load_b128 v[1:4], off, off offset:48
	;; [unrolled: 1-line block ×5, first 2 shown]
	ds_load_b128 v[21:24], v25 offset:480
	ds_load_b128 v[28:31], v25 offset:496
	;; [unrolled: 1-line block ×3, first 2 shown]
	scratch_load_b64 v[148:149], off, off offset:24
	s_mov_b32 s0, exec_lo
	s_wait_loadcnt_dscnt 0x502
	v_mul_f32_e32 v26, v21, v6
	s_wait_loadcnt_dscnt 0x300
	v_dual_mul_f32 v150, v23, v8 :: v_dual_mul_f32 v151, v144, v10
	v_mul_f32_e32 v8, v24, v8
	v_mul_f32_e32 v6, v22, v6
	v_fmac_f32_e32 v26, v22, v5
	v_mul_f32_e32 v10, v145, v10
	v_fmac_f32_e32 v151, v145, v9
	v_fma_f32 v22, v23, v7, -v8
	v_mul_f32_e32 v23, v28, v2
	v_fmac_f32_e32 v150, v24, v7
	v_mul_f32_e32 v152, v146, v12
	v_mul_f32_e32 v12, v147, v12
	v_mul_f32_e32 v2, v29, v2
	v_fmac_f32_e32 v23, v29, v1
	v_fma_f32 v21, v21, v5, -v6
	ds_load_b128 v[5:8], v25 offset:528
	v_mul_f32_e32 v24, v30, v4
	v_mul_f32_e32 v4, v31, v4
	v_fmac_f32_e32 v152, v147, v11
	s_delay_alu instid0(VALU_DEP_3) | instskip(NEXT) | instid1(VALU_DEP_3)
	v_fmac_f32_e32 v24, v31, v3
	v_fma_f32 v29, v30, v3, -v4
	v_fma_f32 v30, v144, v9, -v10
	v_fma_f32 v31, v146, v11, -v12
	ds_load_b128 v[9:12], v25 offset:544
	s_wait_loadcnt_dscnt 0x201
	v_mul_f32_e32 v144, v5, v14
	v_dual_mul_f32 v14, v6, v14 :: v_dual_mul_f32 v145, v7, v16
	v_mul_f32_e32 v16, v8, v16
	s_delay_alu instid0(VALU_DEP_3) | instskip(NEXT) | instid1(VALU_DEP_3)
	v_fmac_f32_e32 v144, v6, v13
	v_fma_f32 v13, v5, v13, -v14
	s_delay_alu instid0(VALU_DEP_4) | instskip(NEXT) | instid1(VALU_DEP_4)
	v_fmac_f32_e32 v145, v8, v15
	v_fma_f32 v14, v7, v15, -v16
	ds_load_b128 v[5:8], v25 offset:560
	s_wait_loadcnt_dscnt 0x101
	v_mul_f32_e32 v15, v9, v18
	v_mul_f32_e32 v16, v10, v18
	;; [unrolled: 1-line block ×3, first 2 shown]
	s_delay_alu instid0(VALU_DEP_3)
	v_dual_mul_f32 v20, v12, v20 :: v_dual_fmac_f32 v15, v10, v17
	v_fma_f32 v28, v28, v1, -v2
	scratch_load_b128 v[1:4], off, off offset:112
	v_fma_f32 v16, v9, v17, -v16
	v_fmac_f32_e32 v18, v12, v19
	v_fma_f32 v17, v11, v19, -v20
	scratch_load_b128 v[9:12], off, off offset:128
	s_wait_loadcnt_dscnt 0x100
	v_mul_f32_e32 v19, v5, v2
	v_mul_f32_e32 v2, v6, v2
	;; [unrolled: 1-line block ×3, first 2 shown]
	s_delay_alu instid0(VALU_DEP_3) | instskip(NEXT) | instid1(VALU_DEP_3)
	v_dual_mul_f32 v4, v8, v4 :: v_dual_fmac_f32 v19, v6, v1
	v_fma_f32 v146, v5, v1, -v2
	s_delay_alu instid0(VALU_DEP_3) | instskip(NEXT) | instid1(VALU_DEP_3)
	v_fmac_f32_e32 v20, v8, v3
	v_fma_f32 v147, v7, v3, -v4
	ds_load_b128 v[1:4], v25 offset:576
	ds_load_b128 v[5:8], v25 offset:592
	s_wait_loadcnt_dscnt 0x1
	v_mul_f32_e32 v153, v1, v10
	v_mul_f32_e32 v10, v2, v10
	s_delay_alu instid0(VALU_DEP_2) | instskip(NEXT) | instid1(VALU_DEP_2)
	v_dual_mul_f32 v154, v3, v12 :: v_dual_fmac_f32 v153, v2, v9
	v_fma_f32 v155, v1, v9, -v10
	v_mul_f32_e32 v1, v4, v12
	s_delay_alu instid0(VALU_DEP_3) | instskip(NEXT) | instid1(VALU_DEP_2)
	v_fmac_f32_e32 v154, v4, v11
	v_fma_f32 v156, v3, v11, -v1
	s_clause 0x1
	scratch_load_b128 v[1:4], off, off offset:144
	scratch_load_b128 v[9:12], off, off offset:160
	s_wait_loadcnt_dscnt 0x100
	v_mul_f32_e32 v157, v5, v2
	v_dual_mul_f32 v2, v6, v2 :: v_dual_mul_f32 v159, v7, v4
	s_delay_alu instid0(VALU_DEP_2) | instskip(NEXT) | instid1(VALU_DEP_2)
	v_fmac_f32_e32 v157, v6, v1
	v_fma_f32 v158, v5, v1, -v2
	v_mul_f32_e32 v1, v8, v4
	s_delay_alu instid0(VALU_DEP_4) | instskip(NEXT) | instid1(VALU_DEP_2)
	v_fmac_f32_e32 v159, v8, v3
	v_fma_f32 v160, v7, v3, -v1
	ds_load_b128 v[1:4], v25 offset:608
	ds_load_b128 v[5:8], v25 offset:624
	s_wait_loadcnt_dscnt 0x1
	v_mul_f32_e32 v161, v1, v10
	v_mul_f32_e32 v163, v3, v12
	s_delay_alu instid0(VALU_DEP_2) | instskip(NEXT) | instid1(VALU_DEP_2)
	v_fmac_f32_e32 v161, v2, v9
	v_dual_mul_f32 v2, v2, v10 :: v_dual_fmac_f32 v163, v4, v11
	s_delay_alu instid0(VALU_DEP_1) | instskip(SKIP_1) | instid1(VALU_DEP_1)
	v_fma_f32 v162, v1, v9, -v2
	v_mul_f32_e32 v1, v4, v12
	v_fma_f32 v164, v3, v11, -v1
	s_clause 0x1
	scratch_load_b128 v[1:4], off, off offset:176
	scratch_load_b128 v[9:12], off, off offset:192
	s_wait_loadcnt_dscnt 0x100
	v_mul_f32_e32 v165, v5, v2
	v_dual_mul_f32 v2, v6, v2 :: v_dual_mul_f32 v167, v7, v4
	s_delay_alu instid0(VALU_DEP_2) | instskip(NEXT) | instid1(VALU_DEP_2)
	v_fmac_f32_e32 v165, v6, v1
	v_fma_f32 v166, v5, v1, -v2
	v_mul_f32_e32 v1, v8, v4
	s_delay_alu instid0(VALU_DEP_4) | instskip(NEXT) | instid1(VALU_DEP_2)
	v_fmac_f32_e32 v167, v8, v3
	v_fma_f32 v168, v7, v3, -v1
	ds_load_b128 v[1:4], v25 offset:640
	ds_load_b128 v[5:8], v25 offset:656
	s_wait_loadcnt_dscnt 0x1
	v_mul_f32_e32 v169, v1, v10
	v_mul_f32_e32 v171, v3, v12
	s_delay_alu instid0(VALU_DEP_2) | instskip(NEXT) | instid1(VALU_DEP_2)
	v_fmac_f32_e32 v169, v2, v9
	v_dual_mul_f32 v2, v2, v10 :: v_dual_fmac_f32 v171, v4, v11
	s_delay_alu instid0(VALU_DEP_1) | instskip(SKIP_1) | instid1(VALU_DEP_1)
	v_fma_f32 v170, v1, v9, -v2
	v_mul_f32_e32 v1, v4, v12
	;; [unrolled: 25-line block ×7, first 2 shown]
	v_fma_f32 v212, v3, v11, -v1
	s_clause 0x1
	scratch_load_b128 v[1:4], off, off offset:368
	scratch_load_b128 v[9:12], off, off offset:384
	s_wait_loadcnt_dscnt 0x100
	v_mul_f32_e32 v213, v5, v2
	v_dual_mul_f32 v2, v6, v2 :: v_dual_mul_f32 v215, v7, v4
	s_delay_alu instid0(VALU_DEP_2) | instskip(NEXT) | instid1(VALU_DEP_2)
	v_fmac_f32_e32 v213, v6, v1
	v_fma_f32 v214, v5, v1, -v2
	v_add_f32_e32 v2, 0, v26
	s_delay_alu instid0(VALU_DEP_1) | instskip(NEXT) | instid1(VALU_DEP_1)
	v_add_f32_e32 v2, v2, v150
	v_add_f32_e32 v2, v2, v23
	s_delay_alu instid0(VALU_DEP_1) | instskip(NEXT) | instid1(VALU_DEP_1)
	v_add_f32_e32 v2, v2, v24
	;; [unrolled: 3-line block ×6, first 2 shown]
	v_dual_mul_f32 v1, v8, v4 :: v_dual_add_f32 v2, v2, v153
	s_delay_alu instid0(VALU_DEP_1) | instskip(NEXT) | instid1(VALU_DEP_2)
	v_fma_f32 v216, v7, v3, -v1
	v_dual_add_f32 v1, 0, v21 :: v_dual_add_f32 v2, v2, v154
	s_delay_alu instid0(VALU_DEP_1) | instskip(NEXT) | instid1(VALU_DEP_1)
	v_dual_add_f32 v1, v1, v22 :: v_dual_add_f32 v2, v2, v157
	v_dual_add_f32 v1, v1, v28 :: v_dual_add_f32 v2, v2, v159
	s_delay_alu instid0(VALU_DEP_1) | instskip(NEXT) | instid1(VALU_DEP_1)
	v_add_f32_e32 v1, v1, v29
	v_dual_add_f32 v2, v2, v161 :: v_dual_add_f32 v1, v1, v30
	s_delay_alu instid0(VALU_DEP_1) | instskip(NEXT) | instid1(VALU_DEP_1)
	v_add_f32_e32 v2, v2, v163
	v_dual_add_f32 v1, v1, v31 :: v_dual_add_f32 v2, v2, v165
	s_delay_alu instid0(VALU_DEP_1) | instskip(NEXT) | instid1(VALU_DEP_1)
	v_dual_add_f32 v1, v1, v13 :: v_dual_add_f32 v2, v2, v167
	v_dual_add_f32 v1, v1, v14 :: v_dual_add_f32 v2, v2, v169
	s_delay_alu instid0(VALU_DEP_1) | instskip(NEXT) | instid1(VALU_DEP_1)
	v_dual_add_f32 v1, v1, v16 :: v_dual_add_f32 v2, v2, v171
	v_add_f32_e32 v1, v1, v17
	s_delay_alu instid0(VALU_DEP_1) | instskip(NEXT) | instid1(VALU_DEP_1)
	v_dual_add_f32 v2, v2, v173 :: v_dual_add_f32 v1, v1, v146
	v_add_f32_e32 v2, v2, v175
	s_delay_alu instid0(VALU_DEP_2) | instskip(NEXT) | instid1(VALU_DEP_1)
	v_add_f32_e32 v1, v1, v147
	v_add_f32_e32 v1, v1, v155
	s_delay_alu instid0(VALU_DEP_1) | instskip(NEXT) | instid1(VALU_DEP_1)
	v_add_f32_e32 v1, v1, v156
	v_add_f32_e32 v1, v1, v158
	s_delay_alu instid0(VALU_DEP_1) | instskip(NEXT) | instid1(VALU_DEP_1)
	;; [unrolled: 3-line block ×8, first 2 shown]
	v_add_f32_e32 v1, v1, v184
	v_add_f32_e32 v1, v1, v186
	s_delay_alu instid0(VALU_DEP_1) | instskip(SKIP_1) | instid1(VALU_DEP_2)
	v_add_f32_e32 v6, v1, v188
	v_add_f32_e32 v2, v2, v177
	v_add_f32_e32 v6, v6, v190
	s_delay_alu instid0(VALU_DEP_2) | instskip(NEXT) | instid1(VALU_DEP_2)
	v_add_f32_e32 v2, v2, v179
	v_add_f32_e32 v13, v6, v192
	s_delay_alu instid0(VALU_DEP_1) | instskip(NEXT) | instid1(VALU_DEP_1)
	v_dual_add_f32 v2, v2, v181 :: v_dual_add_f32 v13, v13, v194
	v_dual_add_f32 v2, v2, v183 :: v_dual_add_f32 v13, v13, v196
	s_delay_alu instid0(VALU_DEP_1) | instskip(NEXT) | instid1(VALU_DEP_2)
	v_add_f32_e32 v5, v2, v185
	v_add_f32_e32 v13, v13, v198
	s_delay_alu instid0(VALU_DEP_2) | instskip(NEXT) | instid1(VALU_DEP_2)
	v_add_f32_e32 v5, v5, v187
	v_dual_add_f32 v18, v13, v200 :: v_dual_fmac_f32 v215, v8, v3
	ds_load_b128 v[1:4], v25 offset:832
	v_dual_add_f32 v5, v5, v189 :: v_dual_add_f32 v18, v18, v202
	s_delay_alu instid0(VALU_DEP_1) | instskip(SKIP_2) | instid1(VALU_DEP_1)
	v_add_f32_e32 v14, v5, v191
	ds_load_b128 v[5:8], v25 offset:848
	v_add_f32_e32 v18, v18, v204
	v_add_f32_e32 v21, v18, v206
	s_delay_alu instid0(VALU_DEP_1)
	v_add_f32_e32 v31, v21, v208
	s_wait_loadcnt_dscnt 0x1
	v_mul_f32_e32 v26, v1, v10
	v_mul_f32_e32 v28, v3, v12
	;; [unrolled: 1-line block ×4, first 2 shown]
	v_add_f32_e32 v14, v14, v193
	v_fmac_f32_e32 v26, v2, v9
	v_fmac_f32_e32 v28, v4, v11
	v_fma_f32 v29, v1, v9, -v10
	v_fma_f32 v30, v3, v11, -v12
	s_clause 0x1
	scratch_load_b128 v[1:4], off, off offset:400
	scratch_load_b128 v[9:12], off, off offset:416
	v_add_f32_e32 v14, v14, v195
	s_delay_alu instid0(VALU_DEP_1) | instskip(SKIP_2) | instid1(VALU_DEP_1)
	v_add_f32_e32 v17, v14, v197
	scratch_load_b128 v[13:16], off, off offset:432
	v_add_f32_e32 v17, v17, v199
	v_add_f32_e32 v17, v17, v201
	s_delay_alu instid0(VALU_DEP_1) | instskip(NEXT) | instid1(VALU_DEP_1)
	v_add_f32_e32 v17, v17, v203
	v_add_f32_e32 v22, v17, v205
	ds_load_b128 v[17:20], v25 offset:864
	v_add_f32_e32 v144, v22, v207
	ds_load_b128 v[21:24], v25 offset:880
	v_add_f32_e32 v25, v31, v210
	s_delay_alu instid0(VALU_DEP_1) | instskip(NEXT) | instid1(VALU_DEP_1)
	v_add_f32_e32 v25, v25, v212
	v_add_f32_e32 v25, v25, v214
	s_delay_alu instid0(VALU_DEP_1) | instskip(NEXT) | instid1(VALU_DEP_1)
	v_add_f32_e32 v25, v25, v216
	v_add_f32_e32 v25, v25, v29
	s_wait_loadcnt_dscnt 0x101
	v_dual_mul_f32 v145, v7, v4 :: v_dual_mul_f32 v146, v17, v10
	v_dual_add_f32 v31, v144, v209 :: v_dual_mul_f32 v144, v5, v2
	v_mul_f32_e32 v2, v6, v2
	v_mul_f32_e32 v4, v8, v4
	s_delay_alu instid0(VALU_DEP_4) | instskip(SKIP_4) | instid1(VALU_DEP_3)
	v_fmac_f32_e32 v145, v8, v3
	s_wait_loadcnt_dscnt 0x0
	v_dual_add_f32 v31, v31, v211 :: v_dual_mul_f32 v150, v21, v14
	v_fma_f32 v2, v5, v1, -v2
	v_dual_fmac_f32 v144, v6, v1 :: v_dual_add_f32 v1, v25, v30
	v_dual_add_f32 v31, v31, v213 :: v_dual_mul_f32 v6, v18, v10
	v_fma_f32 v3, v7, v3, -v4
	v_mul_f32_e32 v147, v19, v12
	s_delay_alu instid0(VALU_DEP_4) | instskip(NEXT) | instid1(VALU_DEP_4)
	v_add_f32_e32 v1, v1, v2
	v_dual_add_f32 v31, v31, v215 :: v_dual_mul_f32 v4, v20, v12
	s_delay_alu instid0(VALU_DEP_3) | instskip(NEXT) | instid1(VALU_DEP_2)
	v_dual_fmac_f32 v146, v18, v9 :: v_dual_fmac_f32 v147, v20, v11
	v_dual_add_f32 v1, v1, v3 :: v_dual_add_f32 v26, v31, v26
	v_mul_f32_e32 v3, v22, v14
	s_delay_alu instid0(VALU_DEP_4) | instskip(SKIP_1) | instid1(VALU_DEP_4)
	v_fma_f32 v4, v19, v11, -v4
	v_dual_mul_f32 v29, v23, v16 :: v_dual_fmac_f32 v150, v22, v13
	v_add_f32_e32 v5, v26, v28
	s_delay_alu instid0(VALU_DEP_4) | instskip(NEXT) | instid1(VALU_DEP_2)
	v_fma_f32 v3, v21, v13, -v3
	v_dual_fmac_f32 v29, v24, v15 :: v_dual_add_f32 v2, v5, v144
	v_fma_f32 v5, v17, v9, -v6
	s_delay_alu instid0(VALU_DEP_2) | instskip(NEXT) | instid1(VALU_DEP_2)
	v_add_f32_e32 v2, v2, v145
	v_add_f32_e32 v1, v1, v5
	s_delay_alu instid0(VALU_DEP_2) | instskip(NEXT) | instid1(VALU_DEP_2)
	v_dual_mul_f32 v5, v24, v16 :: v_dual_add_f32 v2, v2, v146
	v_add_f32_e32 v1, v1, v4
	s_delay_alu instid0(VALU_DEP_2) | instskip(NEXT) | instid1(VALU_DEP_3)
	v_fma_f32 v4, v23, v15, -v5
	v_add_f32_e32 v2, v2, v147
	s_delay_alu instid0(VALU_DEP_1) | instskip(NEXT) | instid1(VALU_DEP_1)
	v_dual_add_f32 v1, v1, v3 :: v_dual_add_f32 v2, v2, v150
	v_dual_add_f32 v1, v1, v4 :: v_dual_add_f32 v2, v2, v29
	s_delay_alu instid0(VALU_DEP_1)
	v_dual_sub_f32 v1, v148, v1 :: v_dual_sub_f32 v2, v149, v2
	scratch_store_b64 off, v[1:2], off offset:24
	v_cmpx_lt_u32_e32 2, v0
	s_cbranch_execz .LBB119_345
; %bb.344:
	scratch_load_b64 v[1:2], off, off offset:16
	v_mov_b32_e32 v3, 0
	s_delay_alu instid0(VALU_DEP_1)
	v_mov_b32_e32 v4, v3
	scratch_store_b64 off, v[3:4], off offset:16
	s_wait_loadcnt 0x0
	ds_store_b64 v27, v[1:2]
.LBB119_345:
	s_wait_alu 0xfffe
	s_or_b32 exec_lo, exec_lo, s0
	s_wait_storecnt_dscnt 0x0
	s_barrier_signal -1
	s_barrier_wait -1
	global_inv scope:SCOPE_SE
	s_clause 0x4
	scratch_load_b128 v[5:8], off, off offset:24
	scratch_load_b128 v[1:4], off, off offset:40
	;; [unrolled: 1-line block ×5, first 2 shown]
	v_mov_b32_e32 v25, 0
	ds_load_2addr_b64 v[21:24], v25 offset0:59 offset1:60
	ds_load_2addr_b64 v[28:31], v25 offset0:61 offset1:62
	;; [unrolled: 1-line block ×3, first 2 shown]
	scratch_load_b64 v[148:149], off, off offset:16
	s_mov_b32 s0, exec_lo
	s_wait_loadcnt_dscnt 0x502
	v_mul_f32_e32 v26, v21, v6
	s_wait_loadcnt_dscnt 0x300
	v_dual_mul_f32 v150, v23, v8 :: v_dual_mul_f32 v151, v144, v10
	v_mul_f32_e32 v8, v24, v8
	v_mul_f32_e32 v6, v22, v6
	v_fmac_f32_e32 v26, v22, v5
	s_delay_alu instid0(VALU_DEP_4) | instskip(NEXT) | instid1(VALU_DEP_4)
	v_dual_mul_f32 v152, v146, v12 :: v_dual_fmac_f32 v151, v145, v9
	v_fma_f32 v22, v23, v7, -v8
	v_mul_f32_e32 v23, v28, v2
	v_fmac_f32_e32 v150, v24, v7
	v_mul_f32_e32 v10, v145, v10
	v_mul_f32_e32 v12, v147, v12
	;; [unrolled: 1-line block ×3, first 2 shown]
	v_fmac_f32_e32 v23, v29, v1
	v_fma_f32 v21, v21, v5, -v6
	ds_load_2addr_b64 v[5:8], v25 offset0:65 offset1:66
	v_mul_f32_e32 v24, v30, v4
	v_mul_f32_e32 v4, v31, v4
	v_fmac_f32_e32 v152, v147, v11
	s_delay_alu instid0(VALU_DEP_3) | instskip(NEXT) | instid1(VALU_DEP_3)
	v_fmac_f32_e32 v24, v31, v3
	v_fma_f32 v29, v30, v3, -v4
	v_fma_f32 v30, v144, v9, -v10
	;; [unrolled: 1-line block ×3, first 2 shown]
	ds_load_2addr_b64 v[9:12], v25 offset0:67 offset1:68
	s_wait_loadcnt_dscnt 0x201
	v_mul_f32_e32 v144, v5, v14
	v_dual_mul_f32 v14, v6, v14 :: v_dual_mul_f32 v145, v7, v16
	v_mul_f32_e32 v16, v8, v16
	s_delay_alu instid0(VALU_DEP_3) | instskip(NEXT) | instid1(VALU_DEP_3)
	v_fmac_f32_e32 v144, v6, v13
	v_fma_f32 v13, v5, v13, -v14
	s_delay_alu instid0(VALU_DEP_4) | instskip(NEXT) | instid1(VALU_DEP_4)
	v_fmac_f32_e32 v145, v8, v15
	v_fma_f32 v14, v7, v15, -v16
	ds_load_2addr_b64 v[5:8], v25 offset0:69 offset1:70
	s_wait_loadcnt_dscnt 0x101
	v_mul_f32_e32 v15, v9, v18
	v_mul_f32_e32 v16, v10, v18
	v_mul_f32_e32 v18, v11, v20
	s_delay_alu instid0(VALU_DEP_3)
	v_dual_mul_f32 v20, v12, v20 :: v_dual_fmac_f32 v15, v10, v17
	v_fma_f32 v28, v28, v1, -v2
	scratch_load_b128 v[1:4], off, off offset:104
	v_fma_f32 v16, v9, v17, -v16
	v_fmac_f32_e32 v18, v12, v19
	v_fma_f32 v17, v11, v19, -v20
	scratch_load_b128 v[9:12], off, off offset:120
	s_wait_loadcnt_dscnt 0x100
	v_mul_f32_e32 v19, v5, v2
	v_mul_f32_e32 v2, v6, v2
	;; [unrolled: 1-line block ×3, first 2 shown]
	s_delay_alu instid0(VALU_DEP_3) | instskip(NEXT) | instid1(VALU_DEP_3)
	v_dual_mul_f32 v4, v8, v4 :: v_dual_fmac_f32 v19, v6, v1
	v_fma_f32 v146, v5, v1, -v2
	s_delay_alu instid0(VALU_DEP_3) | instskip(NEXT) | instid1(VALU_DEP_3)
	v_fmac_f32_e32 v20, v8, v3
	v_fma_f32 v147, v7, v3, -v4
	ds_load_2addr_b64 v[1:4], v25 offset0:71 offset1:72
	ds_load_2addr_b64 v[5:8], v25 offset0:73 offset1:74
	s_wait_loadcnt_dscnt 0x1
	v_mul_f32_e32 v153, v1, v10
	v_mul_f32_e32 v10, v2, v10
	s_delay_alu instid0(VALU_DEP_2) | instskip(NEXT) | instid1(VALU_DEP_2)
	v_dual_mul_f32 v154, v3, v12 :: v_dual_fmac_f32 v153, v2, v9
	v_fma_f32 v155, v1, v9, -v10
	v_mul_f32_e32 v1, v4, v12
	s_delay_alu instid0(VALU_DEP_3) | instskip(NEXT) | instid1(VALU_DEP_2)
	v_fmac_f32_e32 v154, v4, v11
	v_fma_f32 v156, v3, v11, -v1
	s_clause 0x1
	scratch_load_b128 v[1:4], off, off offset:136
	scratch_load_b128 v[9:12], off, off offset:152
	s_wait_loadcnt_dscnt 0x100
	v_mul_f32_e32 v157, v5, v2
	v_dual_mul_f32 v2, v6, v2 :: v_dual_mul_f32 v159, v7, v4
	s_delay_alu instid0(VALU_DEP_2) | instskip(NEXT) | instid1(VALU_DEP_2)
	v_fmac_f32_e32 v157, v6, v1
	v_fma_f32 v158, v5, v1, -v2
	v_mul_f32_e32 v1, v8, v4
	s_delay_alu instid0(VALU_DEP_4) | instskip(NEXT) | instid1(VALU_DEP_2)
	v_fmac_f32_e32 v159, v8, v3
	v_fma_f32 v160, v7, v3, -v1
	ds_load_2addr_b64 v[1:4], v25 offset0:75 offset1:76
	ds_load_2addr_b64 v[5:8], v25 offset0:77 offset1:78
	s_wait_loadcnt_dscnt 0x1
	v_mul_f32_e32 v161, v1, v10
	v_mul_f32_e32 v163, v3, v12
	s_delay_alu instid0(VALU_DEP_2) | instskip(NEXT) | instid1(VALU_DEP_2)
	v_fmac_f32_e32 v161, v2, v9
	v_dual_mul_f32 v2, v2, v10 :: v_dual_fmac_f32 v163, v4, v11
	s_delay_alu instid0(VALU_DEP_1) | instskip(SKIP_1) | instid1(VALU_DEP_1)
	v_fma_f32 v162, v1, v9, -v2
	v_mul_f32_e32 v1, v4, v12
	v_fma_f32 v164, v3, v11, -v1
	s_clause 0x1
	scratch_load_b128 v[1:4], off, off offset:168
	scratch_load_b128 v[9:12], off, off offset:184
	s_wait_loadcnt_dscnt 0x100
	v_mul_f32_e32 v165, v5, v2
	v_dual_mul_f32 v2, v6, v2 :: v_dual_mul_f32 v167, v7, v4
	s_delay_alu instid0(VALU_DEP_2) | instskip(NEXT) | instid1(VALU_DEP_2)
	v_fmac_f32_e32 v165, v6, v1
	v_fma_f32 v166, v5, v1, -v2
	v_mul_f32_e32 v1, v8, v4
	s_delay_alu instid0(VALU_DEP_4) | instskip(NEXT) | instid1(VALU_DEP_2)
	v_fmac_f32_e32 v167, v8, v3
	v_fma_f32 v168, v7, v3, -v1
	ds_load_2addr_b64 v[1:4], v25 offset0:79 offset1:80
	ds_load_2addr_b64 v[5:8], v25 offset0:81 offset1:82
	s_wait_loadcnt_dscnt 0x1
	v_mul_f32_e32 v169, v1, v10
	v_mul_f32_e32 v171, v3, v12
	s_delay_alu instid0(VALU_DEP_2) | instskip(NEXT) | instid1(VALU_DEP_2)
	v_fmac_f32_e32 v169, v2, v9
	v_dual_mul_f32 v2, v2, v10 :: v_dual_fmac_f32 v171, v4, v11
	s_delay_alu instid0(VALU_DEP_1) | instskip(SKIP_1) | instid1(VALU_DEP_1)
	v_fma_f32 v170, v1, v9, -v2
	v_mul_f32_e32 v1, v4, v12
	;; [unrolled: 25-line block ×7, first 2 shown]
	v_fma_f32 v212, v3, v11, -v1
	s_clause 0x1
	scratch_load_b128 v[1:4], off, off offset:360
	scratch_load_b128 v[9:12], off, off offset:376
	s_wait_loadcnt_dscnt 0x100
	v_mul_f32_e32 v213, v5, v2
	v_dual_mul_f32 v2, v6, v2 :: v_dual_mul_f32 v215, v7, v4
	s_delay_alu instid0(VALU_DEP_2) | instskip(NEXT) | instid1(VALU_DEP_2)
	v_fmac_f32_e32 v213, v6, v1
	v_fma_f32 v214, v5, v1, -v2
	v_add_f32_e32 v2, 0, v26
	s_delay_alu instid0(VALU_DEP_1) | instskip(NEXT) | instid1(VALU_DEP_1)
	v_add_f32_e32 v2, v2, v150
	v_add_f32_e32 v2, v2, v23
	s_delay_alu instid0(VALU_DEP_1) | instskip(NEXT) | instid1(VALU_DEP_1)
	v_add_f32_e32 v2, v2, v24
	;; [unrolled: 3-line block ×6, first 2 shown]
	v_dual_mul_f32 v1, v8, v4 :: v_dual_add_f32 v2, v2, v153
	s_delay_alu instid0(VALU_DEP_1) | instskip(NEXT) | instid1(VALU_DEP_2)
	v_fma_f32 v216, v7, v3, -v1
	v_dual_add_f32 v1, 0, v21 :: v_dual_add_f32 v2, v2, v154
	s_delay_alu instid0(VALU_DEP_1) | instskip(NEXT) | instid1(VALU_DEP_1)
	v_dual_add_f32 v1, v1, v22 :: v_dual_add_f32 v2, v2, v157
	v_dual_add_f32 v1, v1, v28 :: v_dual_add_f32 v2, v2, v159
	s_delay_alu instid0(VALU_DEP_1) | instskip(SKIP_2) | instid1(VALU_DEP_1)
	v_add_f32_e32 v1, v1, v29
	scratch_load_b64 v[28:29], off, off offset:440
	v_dual_add_f32 v2, v2, v161 :: v_dual_add_f32 v1, v1, v30
	v_add_f32_e32 v2, v2, v163
	s_delay_alu instid0(VALU_DEP_1) | instskip(NEXT) | instid1(VALU_DEP_1)
	v_dual_add_f32 v1, v1, v31 :: v_dual_add_f32 v2, v2, v165
	v_dual_add_f32 v1, v1, v13 :: v_dual_add_f32 v2, v2, v167
	s_delay_alu instid0(VALU_DEP_1) | instskip(NEXT) | instid1(VALU_DEP_1)
	v_dual_add_f32 v1, v1, v14 :: v_dual_add_f32 v2, v2, v169
	v_dual_add_f32 v1, v1, v16 :: v_dual_add_f32 v2, v2, v171
	s_delay_alu instid0(VALU_DEP_1) | instskip(NEXT) | instid1(VALU_DEP_1)
	v_add_f32_e32 v1, v1, v17
	v_add_f32_e32 v1, v1, v146
	s_delay_alu instid0(VALU_DEP_1) | instskip(NEXT) | instid1(VALU_DEP_1)
	v_add_f32_e32 v1, v1, v147
	v_add_f32_e32 v1, v1, v155
	;; [unrolled: 3-line block ×10, first 2 shown]
	s_delay_alu instid0(VALU_DEP_1) | instskip(SKIP_1) | instid1(VALU_DEP_2)
	v_add_f32_e32 v6, v1, v188
	v_add_f32_e32 v2, v2, v173
	;; [unrolled: 1-line block ×3, first 2 shown]
	s_delay_alu instid0(VALU_DEP_2) | instskip(NEXT) | instid1(VALU_DEP_2)
	v_add_f32_e32 v2, v2, v175
	v_add_f32_e32 v13, v6, v192
	s_delay_alu instid0(VALU_DEP_1) | instskip(NEXT) | instid1(VALU_DEP_1)
	v_dual_add_f32 v2, v2, v177 :: v_dual_add_f32 v13, v13, v194
	v_dual_add_f32 v2, v2, v179 :: v_dual_add_f32 v13, v13, v196
	s_delay_alu instid0(VALU_DEP_1) | instskip(NEXT) | instid1(VALU_DEP_1)
	v_dual_add_f32 v2, v2, v181 :: v_dual_add_f32 v13, v13, v198
	v_add_f32_e32 v2, v2, v183
	s_delay_alu instid0(VALU_DEP_2) | instskip(NEXT) | instid1(VALU_DEP_2)
	v_dual_add_f32 v18, v13, v200 :: v_dual_fmac_f32 v215, v8, v3
	v_add_f32_e32 v5, v2, v185
	ds_load_2addr_b64 v[1:4], v25 offset0:103 offset1:104
	v_dual_add_f32 v18, v18, v202 :: v_dual_add_f32 v5, v5, v187
	s_delay_alu instid0(VALU_DEP_1) | instskip(NEXT) | instid1(VALU_DEP_1)
	v_dual_add_f32 v18, v18, v204 :: v_dual_add_f32 v5, v5, v189
	v_add_f32_e32 v18, v18, v206
	s_delay_alu instid0(VALU_DEP_2)
	v_add_f32_e32 v14, v5, v191
	ds_load_2addr_b64 v[5:8], v25 offset0:105 offset1:106
	v_add_f32_e32 v18, v18, v208
	s_wait_loadcnt_dscnt 0x101
	v_mul_f32_e32 v26, v1, v10
	v_mul_f32_e32 v10, v2, v10
	;; [unrolled: 1-line block ×4, first 2 shown]
	v_add_f32_e32 v30, v18, v210
	v_fmac_f32_e32 v26, v2, v9
	v_fma_f32 v145, v1, v9, -v10
	v_fmac_f32_e32 v144, v4, v11
	v_fma_f32 v146, v3, v11, -v12
	s_clause 0x1
	scratch_load_b128 v[1:4], off, off offset:392
	scratch_load_b128 v[9:12], off, off offset:408
	v_add_f32_e32 v14, v14, v193
	v_add_f32_e32 v147, v30, v212
	s_delay_alu instid0(VALU_DEP_1) | instskip(NEXT) | instid1(VALU_DEP_1)
	v_dual_add_f32 v14, v14, v195 :: v_dual_add_f32 v147, v147, v214
	v_add_f32_e32 v17, v14, v197
	scratch_load_b128 v[13:16], off, off offset:424
	v_add_f32_e32 v147, v147, v216
	v_add_f32_e32 v17, v17, v199
	s_delay_alu instid0(VALU_DEP_2) | instskip(NEXT) | instid1(VALU_DEP_2)
	v_add_f32_e32 v145, v147, v145
	v_add_f32_e32 v17, v17, v201
	s_delay_alu instid0(VALU_DEP_2) | instskip(SKIP_1) | instid1(VALU_DEP_2)
	v_add_f32_e32 v145, v145, v146
	s_wait_loadcnt_dscnt 0x200
	v_dual_add_f32 v17, v17, v203 :: v_dual_mul_f32 v152, v7, v4
	s_delay_alu instid0(VALU_DEP_1) | instskip(SKIP_2) | instid1(VALU_DEP_4)
	v_dual_add_f32 v17, v17, v205 :: v_dual_mul_f32 v4, v8, v4
	v_mul_f32_e32 v151, v5, v2
	v_mul_f32_e32 v2, v6, v2
	v_fmac_f32_e32 v152, v8, v3
	s_delay_alu instid0(VALU_DEP_4)
	v_add_f32_e32 v21, v17, v207
	ds_load_2addr_b64 v[17:20], v25 offset0:107 offset1:108
	v_fmac_f32_e32 v151, v6, v1
	v_fma_f32 v2, v5, v1, -v2
	v_fma_f32 v1, v7, v3, -v4
	v_add_f32_e32 v31, v21, v209
	ds_load_2addr_b64 v[21:24], v25 offset0:109 offset1:110
	v_add_f32_e32 v2, v145, v2
	v_add_f32_e32 v150, v31, v211
	ds_load_b64 v[30:31], v25 offset:888
	v_add_f32_e32 v1, v2, v1
	v_add_f32_e32 v150, v150, v213
	s_wait_loadcnt_dscnt 0x102
	s_delay_alu instid0(VALU_DEP_1) | instskip(SKIP_1) | instid1(VALU_DEP_2)
	v_dual_add_f32 v150, v150, v215 :: v_dual_mul_f32 v147, v17, v10
	v_mul_f32_e32 v3, v18, v10
	v_dual_mul_f32 v5, v20, v12 :: v_dual_add_f32 v26, v150, v26
	s_delay_alu instid0(VALU_DEP_3) | instskip(NEXT) | instid1(VALU_DEP_3)
	v_dual_mul_f32 v150, v19, v12 :: v_dual_fmac_f32 v147, v18, v9
	v_fma_f32 v3, v17, v9, -v3
	s_wait_loadcnt_dscnt 0x1
	s_delay_alu instid0(VALU_DEP_3) | instskip(NEXT) | instid1(VALU_DEP_3)
	v_dual_mul_f32 v153, v21, v14 :: v_dual_add_f32 v26, v26, v144
	v_fmac_f32_e32 v150, v20, v11
	v_fma_f32 v5, v19, v11, -v5
	v_dual_add_f32 v1, v1, v3 :: v_dual_mul_f32 v146, v23, v16
	s_delay_alu instid0(VALU_DEP_4) | instskip(SKIP_1) | instid1(VALU_DEP_3)
	v_dual_add_f32 v4, v26, v151 :: v_dual_mul_f32 v3, v24, v16
	v_fmac_f32_e32 v153, v22, v13
	v_add_f32_e32 v1, v1, v5
	s_wait_dscnt 0x0
	v_mul_f32_e32 v144, v30, v29
	v_add_f32_e32 v2, v4, v152
	v_dual_mul_f32 v4, v22, v14 :: v_dual_mul_f32 v5, v31, v29
	v_fmac_f32_e32 v146, v24, v15
	v_fma_f32 v3, v23, v15, -v3
	s_delay_alu instid0(VALU_DEP_4) | instskip(NEXT) | instid1(VALU_DEP_4)
	v_add_f32_e32 v2, v2, v147
	v_fma_f32 v4, v21, v13, -v4
	v_fmac_f32_e32 v144, v31, v28
	s_delay_alu instid0(VALU_DEP_2) | instskip(SKIP_1) | instid1(VALU_DEP_2)
	v_dual_add_f32 v2, v2, v150 :: v_dual_add_f32 v1, v1, v4
	v_fma_f32 v4, v30, v28, -v5
	v_dual_add_f32 v2, v2, v153 :: v_dual_add_f32 v1, v1, v3
	s_delay_alu instid0(VALU_DEP_1) | instskip(NEXT) | instid1(VALU_DEP_1)
	v_dual_add_f32 v2, v2, v146 :: v_dual_add_f32 v1, v1, v4
	v_dual_add_f32 v2, v2, v144 :: v_dual_sub_f32 v1, v148, v1
	s_delay_alu instid0(VALU_DEP_1)
	v_sub_f32_e32 v2, v149, v2
	scratch_store_b64 off, v[1:2], off offset:16
	v_cmpx_lt_u32_e32 1, v0
	s_cbranch_execz .LBB119_347
; %bb.346:
	scratch_load_b64 v[1:2], off, off offset:8
	v_mov_b32_e32 v26, v25
	scratch_store_b64 off, v[25:26], off offset:8
	s_wait_loadcnt 0x0
	ds_store_b64 v27, v[1:2]
.LBB119_347:
	s_wait_alu 0xfffe
	s_or_b32 exec_lo, exec_lo, s0
	s_wait_storecnt_dscnt 0x0
	s_barrier_signal -1
	s_barrier_wait -1
	global_inv scope:SCOPE_SE
	s_clause 0x4
	scratch_load_b128 v[5:8], off, off offset:16
	scratch_load_b128 v[1:4], off, off offset:32
	;; [unrolled: 1-line block ×5, first 2 shown]
	ds_load_b128 v[21:24], v25 offset:464
	ds_load_b128 v[28:31], v25 offset:480
	ds_load_b128 v[144:147], v25 offset:496
	scratch_load_b64 v[148:149], off, off offset:8
	s_mov_b32 s0, exec_lo
	s_wait_loadcnt_dscnt 0x502
	v_mul_f32_e32 v26, v21, v6
	s_wait_loadcnt_dscnt 0x300
	v_dual_mul_f32 v150, v23, v8 :: v_dual_mul_f32 v151, v144, v10
	v_mul_f32_e32 v8, v24, v8
	v_mul_f32_e32 v6, v22, v6
	v_fmac_f32_e32 v26, v22, v5
	s_delay_alu instid0(VALU_DEP_4) | instskip(NEXT) | instid1(VALU_DEP_4)
	v_dual_mul_f32 v152, v146, v12 :: v_dual_fmac_f32 v151, v145, v9
	v_fma_f32 v22, v23, v7, -v8
	v_mul_f32_e32 v23, v28, v2
	v_fmac_f32_e32 v150, v24, v7
	v_mul_f32_e32 v10, v145, v10
	v_mul_f32_e32 v12, v147, v12
	;; [unrolled: 1-line block ×3, first 2 shown]
	v_fmac_f32_e32 v23, v29, v1
	v_fma_f32 v21, v21, v5, -v6
	ds_load_b128 v[5:8], v25 offset:512
	v_mul_f32_e32 v24, v30, v4
	v_mul_f32_e32 v4, v31, v4
	v_fmac_f32_e32 v152, v147, v11
	s_delay_alu instid0(VALU_DEP_3) | instskip(NEXT) | instid1(VALU_DEP_3)
	v_fmac_f32_e32 v24, v31, v3
	v_fma_f32 v29, v30, v3, -v4
	v_fma_f32 v30, v144, v9, -v10
	;; [unrolled: 1-line block ×3, first 2 shown]
	ds_load_b128 v[9:12], v25 offset:528
	s_wait_loadcnt_dscnt 0x201
	v_mul_f32_e32 v144, v5, v14
	v_dual_mul_f32 v14, v6, v14 :: v_dual_mul_f32 v145, v7, v16
	v_mul_f32_e32 v16, v8, v16
	s_delay_alu instid0(VALU_DEP_3) | instskip(NEXT) | instid1(VALU_DEP_3)
	v_fmac_f32_e32 v144, v6, v13
	v_fma_f32 v13, v5, v13, -v14
	s_delay_alu instid0(VALU_DEP_4) | instskip(NEXT) | instid1(VALU_DEP_4)
	v_fmac_f32_e32 v145, v8, v15
	v_fma_f32 v14, v7, v15, -v16
	ds_load_b128 v[5:8], v25 offset:544
	s_wait_loadcnt_dscnt 0x101
	v_mul_f32_e32 v15, v9, v18
	v_mul_f32_e32 v16, v10, v18
	v_mul_f32_e32 v18, v11, v20
	s_delay_alu instid0(VALU_DEP_3)
	v_dual_mul_f32 v20, v12, v20 :: v_dual_fmac_f32 v15, v10, v17
	v_fma_f32 v28, v28, v1, -v2
	scratch_load_b128 v[1:4], off, off offset:96
	v_fma_f32 v16, v9, v17, -v16
	v_fmac_f32_e32 v18, v12, v19
	v_fma_f32 v17, v11, v19, -v20
	scratch_load_b128 v[9:12], off, off offset:112
	s_wait_loadcnt_dscnt 0x100
	v_mul_f32_e32 v19, v5, v2
	v_mul_f32_e32 v2, v6, v2
	;; [unrolled: 1-line block ×3, first 2 shown]
	s_delay_alu instid0(VALU_DEP_3) | instskip(NEXT) | instid1(VALU_DEP_3)
	v_dual_mul_f32 v4, v8, v4 :: v_dual_fmac_f32 v19, v6, v1
	v_fma_f32 v146, v5, v1, -v2
	s_delay_alu instid0(VALU_DEP_3) | instskip(NEXT) | instid1(VALU_DEP_3)
	v_fmac_f32_e32 v20, v8, v3
	v_fma_f32 v147, v7, v3, -v4
	ds_load_b128 v[1:4], v25 offset:560
	ds_load_b128 v[5:8], v25 offset:576
	s_wait_loadcnt_dscnt 0x1
	v_mul_f32_e32 v153, v1, v10
	v_mul_f32_e32 v10, v2, v10
	s_delay_alu instid0(VALU_DEP_2) | instskip(NEXT) | instid1(VALU_DEP_2)
	v_dual_mul_f32 v154, v3, v12 :: v_dual_fmac_f32 v153, v2, v9
	v_fma_f32 v155, v1, v9, -v10
	v_mul_f32_e32 v1, v4, v12
	s_delay_alu instid0(VALU_DEP_3) | instskip(NEXT) | instid1(VALU_DEP_2)
	v_fmac_f32_e32 v154, v4, v11
	v_fma_f32 v156, v3, v11, -v1
	s_clause 0x1
	scratch_load_b128 v[1:4], off, off offset:128
	scratch_load_b128 v[9:12], off, off offset:144
	s_wait_loadcnt_dscnt 0x100
	v_mul_f32_e32 v157, v5, v2
	v_dual_mul_f32 v2, v6, v2 :: v_dual_mul_f32 v159, v7, v4
	s_delay_alu instid0(VALU_DEP_2) | instskip(NEXT) | instid1(VALU_DEP_2)
	v_fmac_f32_e32 v157, v6, v1
	v_fma_f32 v158, v5, v1, -v2
	v_mul_f32_e32 v1, v8, v4
	s_delay_alu instid0(VALU_DEP_4) | instskip(NEXT) | instid1(VALU_DEP_2)
	v_fmac_f32_e32 v159, v8, v3
	v_fma_f32 v160, v7, v3, -v1
	ds_load_b128 v[1:4], v25 offset:592
	ds_load_b128 v[5:8], v25 offset:608
	s_wait_loadcnt_dscnt 0x1
	v_mul_f32_e32 v161, v1, v10
	v_mul_f32_e32 v163, v3, v12
	s_delay_alu instid0(VALU_DEP_2) | instskip(NEXT) | instid1(VALU_DEP_2)
	v_fmac_f32_e32 v161, v2, v9
	v_dual_mul_f32 v2, v2, v10 :: v_dual_fmac_f32 v163, v4, v11
	s_delay_alu instid0(VALU_DEP_1) | instskip(SKIP_1) | instid1(VALU_DEP_1)
	v_fma_f32 v162, v1, v9, -v2
	v_mul_f32_e32 v1, v4, v12
	v_fma_f32 v164, v3, v11, -v1
	s_clause 0x1
	scratch_load_b128 v[1:4], off, off offset:160
	scratch_load_b128 v[9:12], off, off offset:176
	s_wait_loadcnt_dscnt 0x100
	v_mul_f32_e32 v165, v5, v2
	v_dual_mul_f32 v2, v6, v2 :: v_dual_mul_f32 v167, v7, v4
	s_delay_alu instid0(VALU_DEP_2) | instskip(NEXT) | instid1(VALU_DEP_2)
	v_fmac_f32_e32 v165, v6, v1
	v_fma_f32 v166, v5, v1, -v2
	v_mul_f32_e32 v1, v8, v4
	s_delay_alu instid0(VALU_DEP_4) | instskip(NEXT) | instid1(VALU_DEP_2)
	v_fmac_f32_e32 v167, v8, v3
	v_fma_f32 v168, v7, v3, -v1
	ds_load_b128 v[1:4], v25 offset:624
	ds_load_b128 v[5:8], v25 offset:640
	s_wait_loadcnt_dscnt 0x1
	v_mul_f32_e32 v169, v1, v10
	v_mul_f32_e32 v171, v3, v12
	s_delay_alu instid0(VALU_DEP_2) | instskip(NEXT) | instid1(VALU_DEP_2)
	v_fmac_f32_e32 v169, v2, v9
	v_dual_mul_f32 v2, v2, v10 :: v_dual_fmac_f32 v171, v4, v11
	s_delay_alu instid0(VALU_DEP_1) | instskip(SKIP_1) | instid1(VALU_DEP_1)
	v_fma_f32 v170, v1, v9, -v2
	v_mul_f32_e32 v1, v4, v12
	;; [unrolled: 25-line block ×7, first 2 shown]
	v_fma_f32 v212, v3, v11, -v1
	s_clause 0x1
	scratch_load_b128 v[1:4], off, off offset:352
	scratch_load_b128 v[9:12], off, off offset:368
	s_wait_loadcnt_dscnt 0x100
	v_mul_f32_e32 v213, v5, v2
	v_dual_mul_f32 v2, v6, v2 :: v_dual_mul_f32 v215, v7, v4
	s_delay_alu instid0(VALU_DEP_2) | instskip(NEXT) | instid1(VALU_DEP_2)
	v_fmac_f32_e32 v213, v6, v1
	v_fma_f32 v214, v5, v1, -v2
	v_dual_add_f32 v2, 0, v26 :: v_dual_mul_f32 v1, v8, v4
	s_delay_alu instid0(VALU_DEP_1) | instskip(NEXT) | instid1(VALU_DEP_2)
	v_add_f32_e32 v2, v2, v150
	v_fma_f32 v216, v7, v3, -v1
	s_delay_alu instid0(VALU_DEP_2) | instskip(NEXT) | instid1(VALU_DEP_1)
	v_add_f32_e32 v2, v2, v23
	v_add_f32_e32 v2, v2, v24
	s_delay_alu instid0(VALU_DEP_1) | instskip(NEXT) | instid1(VALU_DEP_1)
	v_add_f32_e32 v2, v2, v151
	v_add_f32_e32 v2, v2, v152
	s_delay_alu instid0(VALU_DEP_1) | instskip(NEXT) | instid1(VALU_DEP_1)
	;; [unrolled: 3-line block ×7, first 2 shown]
	v_add_f32_e32 v2, v2, v161
	v_dual_add_f32 v1, 0, v21 :: v_dual_add_f32 v2, v2, v163
	s_delay_alu instid0(VALU_DEP_1) | instskip(NEXT) | instid1(VALU_DEP_1)
	v_dual_add_f32 v1, v1, v22 :: v_dual_add_f32 v2, v2, v165
	v_dual_add_f32 v1, v1, v28 :: v_dual_add_f32 v2, v2, v167
	s_delay_alu instid0(VALU_DEP_1) | instskip(NEXT) | instid1(VALU_DEP_1)
	v_add_f32_e32 v1, v1, v29
	v_dual_add_f32 v2, v2, v169 :: v_dual_add_f32 v1, v1, v30
	s_delay_alu instid0(VALU_DEP_1) | instskip(NEXT) | instid1(VALU_DEP_1)
	v_add_f32_e32 v2, v2, v171
	v_dual_add_f32 v1, v1, v31 :: v_dual_add_f32 v2, v2, v173
	s_delay_alu instid0(VALU_DEP_1) | instskip(NEXT) | instid1(VALU_DEP_1)
	v_dual_add_f32 v1, v1, v13 :: v_dual_add_f32 v2, v2, v175
	v_add_f32_e32 v1, v1, v14
	s_delay_alu instid0(VALU_DEP_1) | instskip(NEXT) | instid1(VALU_DEP_1)
	v_add_f32_e32 v1, v1, v16
	v_add_f32_e32 v1, v1, v17
	s_delay_alu instid0(VALU_DEP_1) | instskip(NEXT) | instid1(VALU_DEP_1)
	v_add_f32_e32 v1, v1, v146
	;; [unrolled: 3-line block ×11, first 2 shown]
	v_add_f32_e32 v1, v1, v188
	s_delay_alu instid0(VALU_DEP_1) | instskip(SKIP_1) | instid1(VALU_DEP_2)
	v_add_f32_e32 v6, v1, v190
	v_add_f32_e32 v2, v2, v177
	;; [unrolled: 1-line block ×3, first 2 shown]
	s_delay_alu instid0(VALU_DEP_2) | instskip(NEXT) | instid1(VALU_DEP_2)
	v_add_f32_e32 v2, v2, v179
	v_add_f32_e32 v14, v14, v194
	s_delay_alu instid0(VALU_DEP_2) | instskip(NEXT) | instid1(VALU_DEP_2)
	v_add_f32_e32 v2, v2, v181
	v_add_f32_e32 v17, v14, v196
	s_delay_alu instid0(VALU_DEP_1) | instskip(NEXT) | instid1(VALU_DEP_1)
	v_dual_add_f32 v2, v2, v183 :: v_dual_add_f32 v17, v17, v198
	v_dual_add_f32 v2, v2, v185 :: v_dual_add_f32 v17, v17, v200
	s_delay_alu instid0(VALU_DEP_1) | instskip(NEXT) | instid1(VALU_DEP_2)
	v_add_f32_e32 v5, v2, v187
	v_add_f32_e32 v17, v17, v202
	s_delay_alu instid0(VALU_DEP_2) | instskip(NEXT) | instid1(VALU_DEP_2)
	v_add_f32_e32 v13, v5, v189
	v_add_f32_e32 v22, v17, v204
	s_delay_alu instid0(VALU_DEP_1) | instskip(NEXT) | instid1(VALU_DEP_1)
	v_dual_add_f32 v13, v13, v191 :: v_dual_add_f32 v22, v22, v206
	v_dual_add_f32 v13, v13, v193 :: v_dual_add_f32 v22, v22, v208
	s_delay_alu instid0(VALU_DEP_1)
	v_add_f32_e32 v18, v13, v195
	v_fmac_f32_e32 v215, v8, v3
	scratch_load_b128 v[5:8], off, off offset:384
	ds_load_b128 v[1:4], v25 offset:816
	ds_load_b128 v[13:16], v25 offset:832
	s_wait_loadcnt_dscnt 0x101
	v_mul_f32_e32 v28, v3, v12
	v_mul_f32_e32 v26, v1, v10
	;; [unrolled: 1-line block ×4, first 2 shown]
	s_delay_alu instid0(VALU_DEP_4)
	v_fmac_f32_e32 v28, v4, v11
	v_add_f32_e32 v18, v18, v197
	v_fmac_f32_e32 v26, v2, v9
	v_fma_f32 v29, v1, v9, -v10
	v_fma_f32 v30, v3, v11, -v12
	scratch_load_b128 v[1:4], off, off offset:400
	v_add_f32_e32 v18, v18, v199
	scratch_load_b128 v[9:12], off, off offset:416
	v_add_f32_e32 v21, v18, v201
	;; [unrolled: 2-line block ×3, first 2 shown]
	s_wait_loadcnt_dscnt 0x300
	v_mul_f32_e32 v31, v13, v6
	v_mul_f32_e32 v6, v14, v6
	s_delay_alu instid0(VALU_DEP_3) | instskip(SKIP_1) | instid1(VALU_DEP_3)
	v_dual_mul_f32 v144, v15, v8 :: v_dual_add_f32 v21, v21, v205
	v_mul_f32_e32 v8, v16, v8
	v_fma_f32 v145, v13, v5, -v6
	s_delay_alu instid0(VALU_DEP_3) | instskip(NEXT) | instid1(VALU_DEP_4)
	v_fmac_f32_e32 v144, v16, v7
	v_add_f32_e32 v13, v21, v207
	v_add_f32_e32 v21, v22, v210
	v_fma_f32 v146, v15, v7, -v8
	s_delay_alu instid0(VALU_DEP_3) | instskip(NEXT) | instid1(VALU_DEP_1)
	v_add_f32_e32 v22, v13, v209
	v_dual_add_f32 v147, v21, v212 :: v_dual_add_f32 v150, v22, v211
	ds_load_b128 v[21:24], v25 offset:880
	v_fmac_f32_e32 v31, v14, v5
	ds_load_b128 v[5:8], v25 offset:848
	ds_load_b128 v[13:16], v25 offset:864
	v_add_f32_e32 v25, v147, v214
	v_add_f32_e32 v147, v150, v213
	s_delay_alu instid0(VALU_DEP_2) | instskip(NEXT) | instid1(VALU_DEP_2)
	v_add_f32_e32 v25, v25, v216
	v_add_f32_e32 v147, v147, v215
	s_delay_alu instid0(VALU_DEP_1) | instskip(NEXT) | instid1(VALU_DEP_1)
	v_dual_add_f32 v25, v25, v29 :: v_dual_add_f32 v26, v147, v26
	v_dual_add_f32 v25, v25, v30 :: v_dual_add_f32 v26, v26, v28
	s_wait_loadcnt_dscnt 0x2
	v_mul_f32_e32 v28, v21, v18
	s_wait_dscnt 0x1
	v_mul_f32_e32 v150, v5, v2
	v_dual_mul_f32 v2, v6, v2 :: v_dual_add_f32 v25, v25, v145
	v_dual_add_f32 v26, v26, v31 :: v_dual_mul_f32 v29, v7, v4
	v_mul_f32_e32 v4, v8, v4
	s_delay_alu instid0(VALU_DEP_3) | instskip(NEXT) | instid1(VALU_DEP_4)
	v_fma_f32 v2, v5, v1, -v2
	v_dual_fmac_f32 v150, v6, v1 :: v_dual_add_f32 v1, v25, v146
	s_delay_alu instid0(VALU_DEP_4)
	v_add_f32_e32 v5, v26, v144
	s_wait_dscnt 0x0
	v_mul_f32_e32 v147, v13, v10
	v_dual_mul_f32 v6, v14, v10 :: v_dual_fmac_f32 v29, v8, v3
	v_fma_f32 v3, v7, v3, -v4
	v_add_f32_e32 v1, v1, v2
	v_dual_add_f32 v2, v5, v150 :: v_dual_mul_f32 v151, v15, v12
	v_dual_mul_f32 v4, v16, v12 :: v_dual_fmac_f32 v147, v14, v9
	v_fma_f32 v5, v13, v9, -v6
	s_delay_alu instid0(VALU_DEP_3) | instskip(SKIP_3) | instid1(VALU_DEP_4)
	v_dual_add_f32 v1, v1, v3 :: v_dual_add_f32 v2, v2, v29
	v_mul_f32_e32 v3, v22, v18
	v_fmac_f32_e32 v151, v16, v11
	v_fma_f32 v4, v15, v11, -v4
	v_dual_add_f32 v1, v1, v5 :: v_dual_add_f32 v2, v2, v147
	v_mul_f32_e32 v30, v23, v20
	v_dual_mul_f32 v5, v24, v20 :: v_dual_fmac_f32 v28, v22, v17
	v_fma_f32 v3, v21, v17, -v3
	s_delay_alu instid0(VALU_DEP_4) | instskip(NEXT) | instid1(VALU_DEP_4)
	v_dual_add_f32 v1, v1, v4 :: v_dual_add_f32 v2, v2, v151
	v_fmac_f32_e32 v30, v24, v19
	s_delay_alu instid0(VALU_DEP_4) | instskip(NEXT) | instid1(VALU_DEP_3)
	v_fma_f32 v4, v23, v19, -v5
	v_dual_add_f32 v1, v1, v3 :: v_dual_add_f32 v2, v2, v28
	s_delay_alu instid0(VALU_DEP_1) | instskip(NEXT) | instid1(VALU_DEP_1)
	v_dual_add_f32 v1, v1, v4 :: v_dual_add_f32 v2, v2, v30
	v_dual_sub_f32 v1, v148, v1 :: v_dual_sub_f32 v2, v149, v2
	scratch_store_b64 off, v[1:2], off offset:8
	v_cmpx_ne_u32_e32 0, v0
	s_cbranch_execz .LBB119_349
; %bb.348:
	scratch_load_b64 v[0:1], off, off
	v_mov_b32_e32 v2, 0
	s_delay_alu instid0(VALU_DEP_1)
	v_mov_b32_e32 v3, v2
	scratch_store_b64 off, v[2:3], off
	s_wait_loadcnt 0x0
	ds_store_b64 v27, v[0:1]
.LBB119_349:
	s_wait_alu 0xfffe
	s_or_b32 exec_lo, exec_lo, s0
	s_wait_storecnt_dscnt 0x0
	s_barrier_signal -1
	s_barrier_wait -1
	global_inv scope:SCOPE_SE
	s_clause 0x6
	scratch_load_b128 v[0:3], off, off offset:8
	scratch_load_b128 v[4:7], off, off offset:24
	;; [unrolled: 1-line block ×7, first 2 shown]
	v_mov_b32_e32 v144, 0
	scratch_load_b64 v[149:150], off, off
	s_and_b32 vcc_lo, exec_lo, s12
	ds_load_2addr_b64 v[28:31], v144 offset0:57 offset1:58
	ds_load_2addr_b64 v[145:148], v144 offset0:59 offset1:60
	s_wait_loadcnt_dscnt 0x701
	v_dual_mul_f32 v151, v28, v1 :: v_dual_mul_f32 v152, v30, v3
	v_mul_f32_e32 v1, v29, v1
	v_mul_f32_e32 v3, v31, v3
	s_delay_alu instid0(VALU_DEP_3) | instskip(NEXT) | instid1(VALU_DEP_3)
	v_dual_fmac_f32 v151, v29, v0 :: v_dual_fmac_f32 v152, v31, v2
	v_fma_f32 v28, v28, v0, -v1
	s_delay_alu instid0(VALU_DEP_3) | instskip(SKIP_4) | instid1(VALU_DEP_2)
	v_fma_f32 v29, v30, v2, -v3
	ds_load_2addr_b64 v[0:3], v144 offset0:61 offset1:62
	s_wait_loadcnt_dscnt 0x601
	v_dual_mul_f32 v30, v145, v5 :: v_dual_mul_f32 v31, v147, v7
	v_mul_f32_e32 v5, v146, v5
	v_dual_mul_f32 v7, v148, v7 :: v_dual_fmac_f32 v30, v146, v4
	s_delay_alu instid0(VALU_DEP_3) | instskip(NEXT) | instid1(VALU_DEP_3)
	v_fmac_f32_e32 v31, v148, v6
	v_fma_f32 v145, v145, v4, -v5
	s_delay_alu instid0(VALU_DEP_3)
	v_fma_f32 v146, v147, v6, -v7
	ds_load_2addr_b64 v[4:7], v144 offset0:63 offset1:64
	s_wait_loadcnt_dscnt 0x501
	v_dual_mul_f32 v147, v0, v9 :: v_dual_mul_f32 v148, v2, v11
	v_mul_f32_e32 v9, v1, v9
	v_mul_f32_e32 v11, v3, v11
	s_delay_alu instid0(VALU_DEP_3) | instskip(NEXT) | instid1(VALU_DEP_3)
	v_dual_fmac_f32 v147, v1, v8 :: v_dual_fmac_f32 v148, v3, v10
	v_fma_f32 v153, v0, v8, -v9
	s_delay_alu instid0(VALU_DEP_3)
	v_fma_f32 v154, v2, v10, -v11
	ds_load_2addr_b64 v[0:3], v144 offset0:65 offset1:66
	s_wait_loadcnt_dscnt 0x401
	v_mul_f32_e32 v8, v5, v13
	v_mul_f32_e32 v13, v4, v13
	;; [unrolled: 1-line block ×4, first 2 shown]
	s_delay_alu instid0(VALU_DEP_4) | instskip(NEXT) | instid1(VALU_DEP_4)
	v_fma_f32 v15, v4, v12, -v8
	v_fmac_f32_e32 v13, v5, v12
	s_delay_alu instid0(VALU_DEP_4) | instskip(NEXT) | instid1(VALU_DEP_4)
	v_fmac_f32_e32 v155, v7, v14
	v_fma_f32 v12, v6, v14, -v9
	ds_load_2addr_b64 v[4:7], v144 offset0:67 offset1:68
	s_wait_loadcnt_dscnt 0x301
	v_mul_f32_e32 v14, v0, v17
	v_dual_mul_f32 v8, v1, v17 :: v_dual_mul_f32 v17, v2, v19
	s_delay_alu instid0(VALU_DEP_2) | instskip(NEXT) | instid1(VALU_DEP_2)
	v_dual_mul_f32 v9, v3, v19 :: v_dual_fmac_f32 v14, v1, v16
	v_fma_f32 v16, v0, v16, -v8
	s_delay_alu instid0(VALU_DEP_3) | instskip(NEXT) | instid1(VALU_DEP_3)
	v_fmac_f32_e32 v17, v3, v18
	v_fma_f32 v18, v2, v18, -v9
	ds_load_2addr_b64 v[0:3], v144 offset0:69 offset1:70
	s_wait_loadcnt_dscnt 0x201
	v_mul_f32_e32 v19, v4, v21
	v_dual_mul_f32 v8, v5, v21 :: v_dual_mul_f32 v21, v6, v23
	v_mul_f32_e32 v9, v7, v23
	s_delay_alu instid0(VALU_DEP_3) | instskip(NEXT) | instid1(VALU_DEP_3)
	v_fmac_f32_e32 v19, v5, v20
	v_fma_f32 v20, v4, v20, -v8
	s_delay_alu instid0(VALU_DEP_4) | instskip(NEXT) | instid1(VALU_DEP_4)
	v_fmac_f32_e32 v21, v7, v22
	v_fma_f32 v22, v6, v22, -v9
	ds_load_2addr_b64 v[4:7], v144 offset0:71 offset1:72
	s_wait_loadcnt_dscnt 0x101
	v_mul_f32_e32 v23, v0, v25
	v_dual_mul_f32 v8, v1, v25 :: v_dual_mul_f32 v25, v2, v27
	v_mul_f32_e32 v9, v3, v27
	s_delay_alu instid0(VALU_DEP_3) | instskip(NEXT) | instid1(VALU_DEP_3)
	v_fmac_f32_e32 v23, v1, v24
	v_fma_f32 v24, v0, v24, -v8
	s_delay_alu instid0(VALU_DEP_4) | instskip(NEXT) | instid1(VALU_DEP_4)
	v_fmac_f32_e32 v25, v3, v26
	v_fma_f32 v26, v2, v26, -v9
	s_clause 0x1
	scratch_load_b128 v[0:3], off, off offset:120
	scratch_load_b128 v[8:11], off, off offset:136
	s_wait_loadcnt_dscnt 0x100
	v_mul_f32_e32 v27, v4, v1
	v_mul_f32_e32 v1, v5, v1
	;; [unrolled: 1-line block ×3, first 2 shown]
	s_delay_alu instid0(VALU_DEP_3) | instskip(NEXT) | instid1(VALU_DEP_3)
	v_fmac_f32_e32 v27, v5, v0
	v_fma_f32 v156, v4, v0, -v1
	v_mul_f32_e32 v0, v7, v3
	s_delay_alu instid0(VALU_DEP_4) | instskip(NEXT) | instid1(VALU_DEP_2)
	v_fmac_f32_e32 v157, v7, v2
	v_fma_f32 v158, v6, v2, -v0
	ds_load_2addr_b64 v[0:3], v144 offset0:73 offset1:74
	ds_load_2addr_b64 v[4:7], v144 offset0:75 offset1:76
	s_wait_loadcnt_dscnt 0x1
	v_mul_f32_e32 v159, v0, v9
	v_mul_f32_e32 v161, v2, v11
	s_delay_alu instid0(VALU_DEP_2) | instskip(SKIP_1) | instid1(VALU_DEP_3)
	v_fmac_f32_e32 v159, v1, v8
	v_mul_f32_e32 v1, v1, v9
	v_fmac_f32_e32 v161, v3, v10
	s_delay_alu instid0(VALU_DEP_2) | instskip(SKIP_1) | instid1(VALU_DEP_1)
	v_fma_f32 v160, v0, v8, -v1
	v_mul_f32_e32 v0, v3, v11
	v_fma_f32 v162, v2, v10, -v0
	s_clause 0x1
	scratch_load_b128 v[0:3], off, off offset:152
	scratch_load_b128 v[8:11], off, off offset:168
	s_wait_loadcnt_dscnt 0x100
	v_mul_f32_e32 v163, v4, v1
	v_mul_f32_e32 v1, v5, v1
	;; [unrolled: 1-line block ×3, first 2 shown]
	s_delay_alu instid0(VALU_DEP_3) | instskip(NEXT) | instid1(VALU_DEP_3)
	v_fmac_f32_e32 v163, v5, v0
	v_fma_f32 v164, v4, v0, -v1
	v_mul_f32_e32 v0, v7, v3
	s_delay_alu instid0(VALU_DEP_4) | instskip(NEXT) | instid1(VALU_DEP_2)
	v_fmac_f32_e32 v165, v7, v2
	v_fma_f32 v166, v6, v2, -v0
	ds_load_2addr_b64 v[0:3], v144 offset0:77 offset1:78
	ds_load_2addr_b64 v[4:7], v144 offset0:79 offset1:80
	s_wait_loadcnt_dscnt 0x1
	v_mul_f32_e32 v167, v0, v9
	v_mul_f32_e32 v169, v2, v11
	s_delay_alu instid0(VALU_DEP_2) | instskip(SKIP_1) | instid1(VALU_DEP_1)
	v_fmac_f32_e32 v167, v1, v8
	v_mul_f32_e32 v1, v1, v9
	v_fma_f32 v168, v0, v8, -v1
	v_mul_f32_e32 v0, v3, v11
	v_fmac_f32_e32 v169, v3, v10
	s_delay_alu instid0(VALU_DEP_2)
	v_fma_f32 v170, v2, v10, -v0
	s_clause 0x1
	scratch_load_b128 v[0:3], off, off offset:184
	scratch_load_b128 v[8:11], off, off offset:200
	s_wait_loadcnt_dscnt 0x100
	v_mul_f32_e32 v171, v4, v1
	v_mul_f32_e32 v1, v5, v1
	s_delay_alu instid0(VALU_DEP_2) | instskip(NEXT) | instid1(VALU_DEP_2)
	v_fmac_f32_e32 v171, v5, v0
	v_fma_f32 v172, v4, v0, -v1
	v_mul_f32_e32 v0, v7, v3
	s_delay_alu instid0(VALU_DEP_1) | instskip(SKIP_1) | instid1(VALU_DEP_1)
	v_fma_f32 v174, v6, v2, -v0
	v_mul_f32_e32 v173, v6, v3
	v_fmac_f32_e32 v173, v7, v2
	ds_load_2addr_b64 v[0:3], v144 offset0:81 offset1:82
	ds_load_2addr_b64 v[4:7], v144 offset0:83 offset1:84
	s_wait_loadcnt_dscnt 0x1
	v_mul_f32_e32 v175, v0, v9
	v_mul_f32_e32 v177, v2, v11
	s_delay_alu instid0(VALU_DEP_2) | instskip(SKIP_1) | instid1(VALU_DEP_3)
	v_fmac_f32_e32 v175, v1, v8
	v_mul_f32_e32 v1, v1, v9
	v_fmac_f32_e32 v177, v3, v10
	s_delay_alu instid0(VALU_DEP_2) | instskip(SKIP_1) | instid1(VALU_DEP_1)
	v_fma_f32 v176, v0, v8, -v1
	v_mul_f32_e32 v0, v3, v11
	v_fma_f32 v178, v2, v10, -v0
	s_clause 0x1
	scratch_load_b128 v[0:3], off, off offset:216
	scratch_load_b128 v[8:11], off, off offset:232
	s_wait_loadcnt_dscnt 0x100
	v_mul_f32_e32 v179, v4, v1
	v_mul_f32_e32 v1, v5, v1
	v_mul_f32_e32 v181, v6, v3
	s_delay_alu instid0(VALU_DEP_3) | instskip(NEXT) | instid1(VALU_DEP_3)
	v_fmac_f32_e32 v179, v5, v0
	v_fma_f32 v180, v4, v0, -v1
	v_mul_f32_e32 v0, v7, v3
	s_delay_alu instid0(VALU_DEP_4) | instskip(NEXT) | instid1(VALU_DEP_2)
	v_fmac_f32_e32 v181, v7, v2
	v_fma_f32 v182, v6, v2, -v0
	ds_load_2addr_b64 v[0:3], v144 offset0:85 offset1:86
	ds_load_2addr_b64 v[4:7], v144 offset0:87 offset1:88
	s_wait_loadcnt_dscnt 0x1
	v_mul_f32_e32 v183, v0, v9
	v_mul_f32_e32 v185, v2, v11
	s_delay_alu instid0(VALU_DEP_2) | instskip(SKIP_1) | instid1(VALU_DEP_3)
	v_fmac_f32_e32 v183, v1, v8
	v_mul_f32_e32 v1, v1, v9
	v_fmac_f32_e32 v185, v3, v10
	s_delay_alu instid0(VALU_DEP_2) | instskip(SKIP_1) | instid1(VALU_DEP_1)
	v_fma_f32 v184, v0, v8, -v1
	v_mul_f32_e32 v0, v3, v11
	v_fma_f32 v186, v2, v10, -v0
	s_clause 0x1
	scratch_load_b128 v[0:3], off, off offset:248
	scratch_load_b128 v[8:11], off, off offset:264
	s_wait_loadcnt_dscnt 0x100
	v_mul_f32_e32 v187, v4, v1
	v_mul_f32_e32 v1, v5, v1
	v_mul_f32_e32 v189, v6, v3
	s_delay_alu instid0(VALU_DEP_3) | instskip(NEXT) | instid1(VALU_DEP_3)
	v_fmac_f32_e32 v187, v5, v0
	v_fma_f32 v188, v4, v0, -v1
	v_mul_f32_e32 v0, v7, v3
	s_delay_alu instid0(VALU_DEP_4) | instskip(NEXT) | instid1(VALU_DEP_2)
	v_fmac_f32_e32 v189, v7, v2
	v_fma_f32 v190, v6, v2, -v0
	;; [unrolled: 27-line block ×4, first 2 shown]
	ds_load_2addr_b64 v[0:3], v144 offset0:97 offset1:98
	ds_load_2addr_b64 v[4:7], v144 offset0:99 offset1:100
	s_wait_loadcnt_dscnt 0x1
	v_mul_f32_e32 v207, v0, v9
	v_mul_f32_e32 v209, v2, v11
	s_delay_alu instid0(VALU_DEP_2) | instskip(SKIP_1) | instid1(VALU_DEP_3)
	v_fmac_f32_e32 v207, v1, v8
	v_mul_f32_e32 v1, v1, v9
	v_fmac_f32_e32 v209, v3, v10
	s_delay_alu instid0(VALU_DEP_2) | instskip(SKIP_1) | instid1(VALU_DEP_1)
	v_fma_f32 v208, v0, v8, -v1
	v_mul_f32_e32 v0, v3, v11
	v_fma_f32 v210, v2, v10, -v0
	s_clause 0x1
	scratch_load_b128 v[0:3], off, off offset:344
	scratch_load_b128 v[8:11], off, off offset:360
	s_wait_loadcnt_dscnt 0x100
	v_mul_f32_e32 v211, v4, v1
	v_mul_f32_e32 v1, v5, v1
	;; [unrolled: 1-line block ×3, first 2 shown]
	s_delay_alu instid0(VALU_DEP_3) | instskip(NEXT) | instid1(VALU_DEP_3)
	v_fmac_f32_e32 v211, v5, v0
	v_fma_f32 v212, v4, v0, -v1
	v_mul_f32_e32 v0, v7, v3
	v_add_f32_e32 v1, 0, v151
	v_fmac_f32_e32 v213, v7, v2
	s_delay_alu instid0(VALU_DEP_3) | instskip(SKIP_1) | instid1(VALU_DEP_1)
	v_fma_f32 v214, v6, v2, -v0
	v_add_f32_e32 v0, 0, v28
	v_dual_add_f32 v1, v1, v152 :: v_dual_add_f32 v0, v0, v29
	s_delay_alu instid0(VALU_DEP_1) | instskip(NEXT) | instid1(VALU_DEP_1)
	v_dual_add_f32 v1, v1, v30 :: v_dual_add_f32 v0, v0, v145
	v_dual_add_f32 v1, v1, v31 :: v_dual_add_f32 v0, v0, v146
	s_delay_alu instid0(VALU_DEP_1) | instskip(NEXT) | instid1(VALU_DEP_1)
	v_dual_add_f32 v1, v1, v147 :: v_dual_add_f32 v0, v0, v153
	;; [unrolled: 3-line block ×6, first 2 shown]
	v_add_f32_e32 v1, v1, v25
	scratch_load_b64 v[24:25], off, off offset:440
	v_dual_add_f32 v0, v0, v26 :: v_dual_add_f32 v1, v1, v27
	s_delay_alu instid0(VALU_DEP_1) | instskip(NEXT) | instid1(VALU_DEP_1)
	v_dual_add_f32 v0, v0, v156 :: v_dual_add_f32 v1, v1, v157
	v_dual_add_f32 v0, v0, v158 :: v_dual_add_f32 v1, v1, v159
	s_delay_alu instid0(VALU_DEP_1) | instskip(NEXT) | instid1(VALU_DEP_1)
	v_dual_add_f32 v0, v0, v160 :: v_dual_add_f32 v1, v1, v161
	;; [unrolled: 3-line block ×4, first 2 shown]
	v_dual_add_f32 v0, v0, v170 :: v_dual_add_f32 v1, v1, v171
	s_delay_alu instid0(VALU_DEP_1) | instskip(NEXT) | instid1(VALU_DEP_1)
	v_add_f32_e32 v0, v0, v172
	v_add_f32_e32 v0, v0, v174
	s_delay_alu instid0(VALU_DEP_1) | instskip(NEXT) | instid1(VALU_DEP_1)
	v_dual_add_f32 v0, v0, v176 :: v_dual_add_f32 v1, v1, v173
	v_dual_add_f32 v0, v0, v178 :: v_dual_add_f32 v1, v1, v175
	s_delay_alu instid0(VALU_DEP_1) | instskip(NEXT) | instid1(VALU_DEP_1)
	v_add_f32_e32 v0, v0, v180
	v_add_f32_e32 v0, v0, v182
	s_delay_alu instid0(VALU_DEP_1) | instskip(NEXT) | instid1(VALU_DEP_1)
	v_dual_add_f32 v0, v0, v184 :: v_dual_add_f32 v1, v1, v177
	v_add_f32_e32 v5, v0, v186
	s_delay_alu instid0(VALU_DEP_2) | instskip(NEXT) | instid1(VALU_DEP_2)
	v_add_f32_e32 v1, v1, v179
	v_add_f32_e32 v13, v5, v188
	s_delay_alu instid0(VALU_DEP_2) | instskip(NEXT) | instid1(VALU_DEP_2)
	v_add_f32_e32 v1, v1, v181
	v_add_f32_e32 v13, v13, v190
	s_delay_alu instid0(VALU_DEP_1) | instskip(NEXT) | instid1(VALU_DEP_1)
	v_add_f32_e32 v16, v13, v192
	v_add_f32_e32 v16, v16, v194
	s_delay_alu instid0(VALU_DEP_4)
	v_add_f32_e32 v4, v1, v183
	scratch_load_b128 v[0:3], off, off offset:376
	v_add_f32_e32 v16, v16, v196
	v_add_f32_e32 v12, v4, v185
	ds_load_2addr_b64 v[4:7], v144 offset0:101 offset1:102
	v_add_f32_e32 v16, v16, v198
	v_add_f32_e32 v12, v12, v187
	s_delay_alu instid0(VALU_DEP_2) | instskip(NEXT) | instid1(VALU_DEP_1)
	v_add_f32_e32 v21, v16, v200
	v_dual_add_f32 v12, v12, v189 :: v_dual_add_f32 v21, v21, v202
	s_delay_alu instid0(VALU_DEP_1)
	v_add_f32_e32 v17, v12, v191
	ds_load_2addr_b64 v[12:15], v144 offset0:103 offset1:104
	v_add_f32_e32 v21, v21, v204
	v_add_f32_e32 v17, v17, v193
	s_wait_loadcnt_dscnt 0x201
	v_mul_f32_e32 v28, v4, v9
	v_mul_f32_e32 v9, v5, v9
	;; [unrolled: 1-line block ×4, first 2 shown]
	v_add_f32_e32 v17, v17, v195
	v_fmac_f32_e32 v28, v5, v8
	v_fma_f32 v30, v4, v8, -v9
	v_fmac_f32_e32 v29, v7, v10
	v_fma_f32 v31, v6, v10, -v11
	s_clause 0x1
	scratch_load_b128 v[4:7], off, off offset:392
	scratch_load_b128 v[8:11], off, off offset:408
	v_add_f32_e32 v20, v17, v197
	scratch_load_b128 v[16:19], off, off offset:424
	v_dual_add_f32 v21, v21, v206 :: v_dual_add_f32 v20, v20, v199
	s_delay_alu instid0(VALU_DEP_1) | instskip(NEXT) | instid1(VALU_DEP_1)
	v_add_f32_e32 v20, v20, v201
	v_add_f32_e32 v20, v20, v203
	s_wait_loadcnt_dscnt 0x300
	v_mul_f32_e32 v145, v12, v1
	v_dual_mul_f32 v1, v13, v1 :: v_dual_mul_f32 v146, v14, v3
	v_mul_f32_e32 v3, v15, v3
	s_delay_alu instid0(VALU_DEP_3) | instskip(NEXT) | instid1(VALU_DEP_3)
	v_fmac_f32_e32 v145, v13, v0
	v_fma_f32 v147, v12, v0, -v1
	v_dual_add_f32 v12, v20, v205 :: v_dual_add_f32 v13, v21, v208
	v_fmac_f32_e32 v146, v15, v2
	v_fma_f32 v148, v14, v2, -v3
	ds_load_2addr_b64 v[0:3], v144 offset0:105 offset1:106
	v_add_f32_e32 v20, v12, v207
	v_add_f32_e32 v26, v13, v210
	ds_load_2addr_b64 v[12:15], v144 offset0:107 offset1:108
	v_add_f32_e32 v27, v20, v209
	v_add_f32_e32 v151, v26, v212
	;; [unrolled: 3-line block ×3, first 2 shown]
	ds_load_b64 v[26:27], v144 offset:888
	v_add_f32_e32 v152, v152, v213
	v_add_f32_e32 v30, v151, v30
	s_delay_alu instid0(VALU_DEP_2) | instskip(SKIP_1) | instid1(VALU_DEP_2)
	v_add_f32_e32 v28, v152, v28
	s_wait_loadcnt_dscnt 0x203
	v_dual_add_f32 v30, v30, v31 :: v_dual_mul_f32 v153, v0, v5
	v_mul_f32_e32 v5, v1, v5
	s_delay_alu instid0(VALU_DEP_3) | instskip(NEXT) | instid1(VALU_DEP_3)
	v_dual_mul_f32 v151, v2, v7 :: v_dual_add_f32 v28, v28, v29
	v_add_f32_e32 v30, v30, v147
	v_mul_f32_e32 v7, v3, v7
	v_fmac_f32_e32 v153, v1, v4
	v_fma_f32 v0, v0, v4, -v5
	s_delay_alu instid0(VALU_DEP_4)
	v_dual_add_f32 v28, v28, v145 :: v_dual_add_f32 v1, v30, v148
	s_wait_loadcnt_dscnt 0x102
	v_mul_f32_e32 v31, v12, v9
	v_mul_f32_e32 v5, v13, v9
	v_fmac_f32_e32 v151, v3, v6
	v_add_f32_e32 v4, v28, v146
	v_fma_f32 v2, v2, v6, -v7
	v_dual_add_f32 v0, v1, v0 :: v_dual_mul_f32 v29, v14, v11
	v_mul_f32_e32 v3, v15, v11
	s_delay_alu instid0(VALU_DEP_4)
	v_add_f32_e32 v1, v4, v153
	v_fmac_f32_e32 v31, v13, v8
	v_fma_f32 v4, v12, v8, -v5
	v_add_f32_e32 v0, v0, v2
	s_wait_loadcnt_dscnt 0x1
	v_dual_mul_f32 v152, v20, v17 :: v_dual_add_f32 v1, v1, v151
	v_dual_mul_f32 v2, v21, v17 :: v_dual_fmac_f32 v29, v15, v10
	v_fma_f32 v3, v14, v10, -v3
	s_delay_alu instid0(VALU_DEP_3)
	v_dual_add_f32 v0, v0, v4 :: v_dual_add_f32 v1, v1, v31
	v_mul_f32_e32 v147, v22, v19
	v_mul_f32_e32 v4, v23, v19
	v_fmac_f32_e32 v152, v21, v16
	v_fma_f32 v2, v20, v16, -v2
	v_dual_add_f32 v0, v0, v3 :: v_dual_add_f32 v1, v1, v29
	s_wait_dscnt 0x0
	v_mul_f32_e32 v145, v26, v25
	v_mul_f32_e32 v3, v27, v25
	v_fmac_f32_e32 v147, v23, v18
	v_fma_f32 v4, v22, v18, -v4
	v_dual_add_f32 v0, v0, v2 :: v_dual_add_f32 v1, v1, v152
	v_fmac_f32_e32 v145, v27, v24
	v_fma_f32 v2, v26, v24, -v3
	s_delay_alu instid0(VALU_DEP_3) | instskip(NEXT) | instid1(VALU_DEP_1)
	v_dual_add_f32 v0, v0, v4 :: v_dual_add_f32 v1, v1, v147
	v_dual_add_f32 v0, v0, v2 :: v_dual_add_f32 v1, v1, v145
	s_delay_alu instid0(VALU_DEP_1)
	v_dual_sub_f32 v0, v149, v0 :: v_dual_sub_f32 v1, v150, v1
	scratch_store_b64 off, v[0:1], off
	s_wait_alu 0xfffe
	s_cbranch_vccz .LBB119_460
; %bb.350:
	global_load_b32 v0, v144, s[2:3] offset:216
	s_wait_loadcnt 0x0
	v_cmp_ne_u32_e32 vcc_lo, 55, v0
	s_cbranch_vccz .LBB119_352
; %bb.351:
	v_lshlrev_b32_e32 v0, 3, v0
	s_delay_alu instid0(VALU_DEP_1)
	v_mov_b32_e32 v4, v0
	scratch_load_b64 v[0:1], v4, off offset:-8
	scratch_load_b64 v[2:3], off, off offset:432
	s_wait_loadcnt 0x1
	scratch_store_b64 off, v[0:1], off offset:432
	s_wait_loadcnt 0x0
	scratch_store_b64 v4, v[2:3], off offset:-8
.LBB119_352:
	v_mov_b32_e32 v0, 0
	global_load_b32 v1, v0, s[2:3] offset:212
	s_wait_loadcnt 0x0
	v_cmp_eq_u32_e32 vcc_lo, 54, v1
	s_cbranch_vccnz .LBB119_354
; %bb.353:
	v_lshlrev_b32_e32 v1, 3, v1
	s_delay_alu instid0(VALU_DEP_1)
	v_mov_b32_e32 v5, v1
	scratch_load_b64 v[1:2], v5, off offset:-8
	scratch_load_b64 v[3:4], off, off offset:424
	s_wait_loadcnt 0x1
	scratch_store_b64 off, v[1:2], off offset:424
	s_wait_loadcnt 0x0
	scratch_store_b64 v5, v[3:4], off offset:-8
.LBB119_354:
	global_load_b32 v0, v0, s[2:3] offset:208
	s_wait_loadcnt 0x0
	v_cmp_eq_u32_e32 vcc_lo, 53, v0
	s_cbranch_vccnz .LBB119_356
; %bb.355:
	v_lshlrev_b32_e32 v0, 3, v0
	s_delay_alu instid0(VALU_DEP_1)
	v_mov_b32_e32 v4, v0
	scratch_load_b64 v[0:1], v4, off offset:-8
	scratch_load_b64 v[2:3], off, off offset:416
	s_wait_loadcnt 0x1
	scratch_store_b64 off, v[0:1], off offset:416
	s_wait_loadcnt 0x0
	scratch_store_b64 v4, v[2:3], off offset:-8
.LBB119_356:
	v_mov_b32_e32 v0, 0
	global_load_b32 v1, v0, s[2:3] offset:204
	s_wait_loadcnt 0x0
	v_cmp_eq_u32_e32 vcc_lo, 52, v1
	s_cbranch_vccnz .LBB119_358
; %bb.357:
	v_lshlrev_b32_e32 v1, 3, v1
	s_delay_alu instid0(VALU_DEP_1)
	v_mov_b32_e32 v5, v1
	scratch_load_b64 v[1:2], v5, off offset:-8
	scratch_load_b64 v[3:4], off, off offset:408
	s_wait_loadcnt 0x1
	scratch_store_b64 off, v[1:2], off offset:408
	s_wait_loadcnt 0x0
	scratch_store_b64 v5, v[3:4], off offset:-8
.LBB119_358:
	global_load_b32 v0, v0, s[2:3] offset:200
	s_wait_loadcnt 0x0
	v_cmp_eq_u32_e32 vcc_lo, 51, v0
	s_cbranch_vccnz .LBB119_360
; %bb.359:
	v_lshlrev_b32_e32 v0, 3, v0
	s_delay_alu instid0(VALU_DEP_1)
	v_mov_b32_e32 v4, v0
	scratch_load_b64 v[0:1], v4, off offset:-8
	scratch_load_b64 v[2:3], off, off offset:400
	s_wait_loadcnt 0x1
	scratch_store_b64 off, v[0:1], off offset:400
	s_wait_loadcnt 0x0
	scratch_store_b64 v4, v[2:3], off offset:-8
.LBB119_360:
	;; [unrolled: 31-line block ×26, first 2 shown]
	v_mov_b32_e32 v0, 0
	global_load_b32 v1, v0, s[2:3] offset:4
	s_wait_loadcnt 0x0
	v_cmp_eq_u32_e32 vcc_lo, 2, v1
	s_cbranch_vccnz .LBB119_458
; %bb.457:
	v_lshlrev_b32_e32 v1, 3, v1
	s_delay_alu instid0(VALU_DEP_1)
	v_mov_b32_e32 v5, v1
	scratch_load_b64 v[1:2], v5, off offset:-8
	scratch_load_b64 v[3:4], off, off offset:8
	s_wait_loadcnt 0x1
	scratch_store_b64 off, v[1:2], off offset:8
	s_wait_loadcnt 0x0
	scratch_store_b64 v5, v[3:4], off offset:-8
.LBB119_458:
	global_load_b32 v0, v0, s[2:3]
	s_wait_loadcnt 0x0
	v_cmp_eq_u32_e32 vcc_lo, 1, v0
	s_cbranch_vccnz .LBB119_460
; %bb.459:
	v_lshlrev_b32_e32 v0, 3, v0
	s_delay_alu instid0(VALU_DEP_1)
	v_mov_b32_e32 v4, v0
	scratch_load_b64 v[0:1], v4, off offset:-8
	scratch_load_b64 v[2:3], off, off
	s_wait_loadcnt 0x1
	scratch_store_b64 off, v[0:1], off
	s_wait_loadcnt 0x0
	scratch_store_b64 v4, v[2:3], off offset:-8
.LBB119_460:
	scratch_load_b64 v[0:1], off, off
	s_wait_loadcnt 0x0
	flat_store_b64 v[32:33], v[0:1]
	scratch_load_b64 v[0:1], off, off offset:8
	s_wait_loadcnt 0x0
	flat_store_b64 v[34:35], v[0:1]
	scratch_load_b64 v[0:1], off, off offset:16
	;; [unrolled: 3-line block ×55, first 2 shown]
	s_wait_loadcnt 0x0
	flat_store_b64 v[142:143], v[0:1]
	s_nop 0
	s_sendmsg sendmsg(MSG_DEALLOC_VGPRS)
	s_endpgm
	.section	.rodata,"a",@progbits
	.p2align	6, 0x0
	.amdhsa_kernel _ZN9rocsolver6v33100L18getri_kernel_smallILi56E19rocblas_complex_numIfEPKPS3_EEvT1_iilPiilS8_bb
		.amdhsa_group_segment_fixed_size 900
		.amdhsa_private_segment_fixed_size 464
		.amdhsa_kernarg_size 60
		.amdhsa_user_sgpr_count 2
		.amdhsa_user_sgpr_dispatch_ptr 0
		.amdhsa_user_sgpr_queue_ptr 0
		.amdhsa_user_sgpr_kernarg_segment_ptr 1
		.amdhsa_user_sgpr_dispatch_id 0
		.amdhsa_user_sgpr_private_segment_size 0
		.amdhsa_wavefront_size32 1
		.amdhsa_uses_dynamic_stack 0
		.amdhsa_enable_private_segment 1
		.amdhsa_system_sgpr_workgroup_id_x 1
		.amdhsa_system_sgpr_workgroup_id_y 0
		.amdhsa_system_sgpr_workgroup_id_z 0
		.amdhsa_system_sgpr_workgroup_info 0
		.amdhsa_system_vgpr_workitem_id 0
		.amdhsa_next_free_vgpr 252
		.amdhsa_next_free_sgpr 19
		.amdhsa_reserve_vcc 1
		.amdhsa_float_round_mode_32 0
		.amdhsa_float_round_mode_16_64 0
		.amdhsa_float_denorm_mode_32 3
		.amdhsa_float_denorm_mode_16_64 3
		.amdhsa_fp16_overflow 0
		.amdhsa_workgroup_processor_mode 1
		.amdhsa_memory_ordered 1
		.amdhsa_forward_progress 1
		.amdhsa_inst_pref_size 255
		.amdhsa_round_robin_scheduling 0
		.amdhsa_exception_fp_ieee_invalid_op 0
		.amdhsa_exception_fp_denorm_src 0
		.amdhsa_exception_fp_ieee_div_zero 0
		.amdhsa_exception_fp_ieee_overflow 0
		.amdhsa_exception_fp_ieee_underflow 0
		.amdhsa_exception_fp_ieee_inexact 0
		.amdhsa_exception_int_div_zero 0
	.end_amdhsa_kernel
	.section	.text._ZN9rocsolver6v33100L18getri_kernel_smallILi56E19rocblas_complex_numIfEPKPS3_EEvT1_iilPiilS8_bb,"axG",@progbits,_ZN9rocsolver6v33100L18getri_kernel_smallILi56E19rocblas_complex_numIfEPKPS3_EEvT1_iilPiilS8_bb,comdat
.Lfunc_end119:
	.size	_ZN9rocsolver6v33100L18getri_kernel_smallILi56E19rocblas_complex_numIfEPKPS3_EEvT1_iilPiilS8_bb, .Lfunc_end119-_ZN9rocsolver6v33100L18getri_kernel_smallILi56E19rocblas_complex_numIfEPKPS3_EEvT1_iilPiilS8_bb
                                        ; -- End function
	.set _ZN9rocsolver6v33100L18getri_kernel_smallILi56E19rocblas_complex_numIfEPKPS3_EEvT1_iilPiilS8_bb.num_vgpr, 252
	.set _ZN9rocsolver6v33100L18getri_kernel_smallILi56E19rocblas_complex_numIfEPKPS3_EEvT1_iilPiilS8_bb.num_agpr, 0
	.set _ZN9rocsolver6v33100L18getri_kernel_smallILi56E19rocblas_complex_numIfEPKPS3_EEvT1_iilPiilS8_bb.numbered_sgpr, 19
	.set _ZN9rocsolver6v33100L18getri_kernel_smallILi56E19rocblas_complex_numIfEPKPS3_EEvT1_iilPiilS8_bb.num_named_barrier, 0
	.set _ZN9rocsolver6v33100L18getri_kernel_smallILi56E19rocblas_complex_numIfEPKPS3_EEvT1_iilPiilS8_bb.private_seg_size, 464
	.set _ZN9rocsolver6v33100L18getri_kernel_smallILi56E19rocblas_complex_numIfEPKPS3_EEvT1_iilPiilS8_bb.uses_vcc, 1
	.set _ZN9rocsolver6v33100L18getri_kernel_smallILi56E19rocblas_complex_numIfEPKPS3_EEvT1_iilPiilS8_bb.uses_flat_scratch, 1
	.set _ZN9rocsolver6v33100L18getri_kernel_smallILi56E19rocblas_complex_numIfEPKPS3_EEvT1_iilPiilS8_bb.has_dyn_sized_stack, 0
	.set _ZN9rocsolver6v33100L18getri_kernel_smallILi56E19rocblas_complex_numIfEPKPS3_EEvT1_iilPiilS8_bb.has_recursion, 0
	.set _ZN9rocsolver6v33100L18getri_kernel_smallILi56E19rocblas_complex_numIfEPKPS3_EEvT1_iilPiilS8_bb.has_indirect_call, 0
	.section	.AMDGPU.csdata,"",@progbits
; Kernel info:
; codeLenInByte = 104180
; TotalNumSgprs: 21
; NumVgprs: 252
; ScratchSize: 464
; MemoryBound: 0
; FloatMode: 240
; IeeeMode: 1
; LDSByteSize: 900 bytes/workgroup (compile time only)
; SGPRBlocks: 0
; VGPRBlocks: 31
; NumSGPRsForWavesPerEU: 21
; NumVGPRsForWavesPerEU: 252
; Occupancy: 5
; WaveLimiterHint : 1
; COMPUTE_PGM_RSRC2:SCRATCH_EN: 1
; COMPUTE_PGM_RSRC2:USER_SGPR: 2
; COMPUTE_PGM_RSRC2:TRAP_HANDLER: 0
; COMPUTE_PGM_RSRC2:TGID_X_EN: 1
; COMPUTE_PGM_RSRC2:TGID_Y_EN: 0
; COMPUTE_PGM_RSRC2:TGID_Z_EN: 0
; COMPUTE_PGM_RSRC2:TIDIG_COMP_CNT: 0
	.section	.text._ZN9rocsolver6v33100L18getri_kernel_smallILi57E19rocblas_complex_numIfEPKPS3_EEvT1_iilPiilS8_bb,"axG",@progbits,_ZN9rocsolver6v33100L18getri_kernel_smallILi57E19rocblas_complex_numIfEPKPS3_EEvT1_iilPiilS8_bb,comdat
	.globl	_ZN9rocsolver6v33100L18getri_kernel_smallILi57E19rocblas_complex_numIfEPKPS3_EEvT1_iilPiilS8_bb ; -- Begin function _ZN9rocsolver6v33100L18getri_kernel_smallILi57E19rocblas_complex_numIfEPKPS3_EEvT1_iilPiilS8_bb
	.p2align	8
	.type	_ZN9rocsolver6v33100L18getri_kernel_smallILi57E19rocblas_complex_numIfEPKPS3_EEvT1_iilPiilS8_bb,@function
_ZN9rocsolver6v33100L18getri_kernel_smallILi57E19rocblas_complex_numIfEPKPS3_EEvT1_iilPiilS8_bb: ; @_ZN9rocsolver6v33100L18getri_kernel_smallILi57E19rocblas_complex_numIfEPKPS3_EEvT1_iilPiilS8_bb
; %bb.0:
	s_mov_b32 s2, exec_lo
	v_cmpx_gt_u32_e32 57, v0
	s_cbranch_execz .LBB120_242
; %bb.1:
	s_clause 0x1
	s_load_b32 s13, s[0:1], 0x38
	s_load_b64 s[2:3], s[0:1], 0x0
	s_mov_b32 s8, ttmp9
	s_load_b128 s[4:7], s[0:1], 0x28
	s_wait_kmcnt 0x0
	s_bitcmp1_b32 s13, 8
	s_cselect_b32 s12, -1, 0
	s_ashr_i32 s9, ttmp9, 31
	s_delay_alu instid0(SALU_CYCLE_1) | instskip(NEXT) | instid1(SALU_CYCLE_1)
	s_lshl_b64 s[10:11], s[8:9], 3
	s_add_nc_u64 s[2:3], s[2:3], s[10:11]
	s_load_b64 s[10:11], s[2:3], 0x0
	s_bfe_u32 s2, s13, 0x10008
	s_delay_alu instid0(SALU_CYCLE_1)
	s_cmp_eq_u32 s2, 0
                                        ; implicit-def: $sgpr2_sgpr3
	s_cbranch_scc1 .LBB120_3
; %bb.2:
	s_load_b96 s[16:18], s[0:1], 0x18
	s_mul_u64 s[2:3], s[4:5], s[8:9]
	s_delay_alu instid0(SALU_CYCLE_1)
	s_lshl_b64 s[2:3], s[2:3], 2
	s_wait_kmcnt 0x0
	s_ashr_i32 s5, s18, 31
	s_mov_b32 s4, s18
	s_add_nc_u64 s[2:3], s[16:17], s[2:3]
	s_lshl_b64 s[4:5], s[4:5], 2
	s_delay_alu instid0(SALU_CYCLE_1)
	s_add_nc_u64 s[2:3], s[2:3], s[4:5]
.LBB120_3:
	s_clause 0x1
	s_load_b64 s[4:5], s[0:1], 0x8
	s_load_b32 s13, s[0:1], 0x38
	v_lshlrev_b32_e32 v7, 3, v0
	s_wait_kmcnt 0x0
	s_ashr_i32 s1, s4, 31
	s_mov_b32 s0, s4
	v_add3_u32 v3, s5, s5, v0
	s_lshl_b64 s[0:1], s[0:1], 3
	s_delay_alu instid0(SALU_CYCLE_1)
	s_add_nc_u64 s[0:1], s[10:11], s[0:1]
	s_ashr_i32 s11, s5, 31
	v_add_co_u32 v25, s4, s0, v7
	s_wait_alu 0xf1ff
	v_add_co_ci_u32_e64 v26, null, s1, 0, s4
	s_mov_b32 s10, s5
	v_ashrrev_i32_e32 v4, 31, v3
	s_lshl_b64 s[10:11], s[10:11], 3
	flat_load_b64 v[1:2], v[25:26]
	v_add_co_u32 v27, vcc_lo, v25, s10
	s_delay_alu instid0(VALU_DEP_1) | instskip(SKIP_3) | instid1(VALU_DEP_2)
	v_add_co_ci_u32_e64 v28, null, s11, v26, vcc_lo
	v_lshlrev_b64_e32 v[4:5], 3, v[3:4]
	v_add_nc_u32_e32 v3, s5, v3
	s_bitcmp0_b32 s13, 0
	v_add_co_u32 v29, vcc_lo, s0, v4
	s_wait_alu 0xfffd
	s_delay_alu instid0(VALU_DEP_3) | instskip(SKIP_1) | instid1(VALU_DEP_1)
	v_add_co_ci_u32_e64 v30, null, s1, v5, vcc_lo
	v_ashrrev_i32_e32 v4, 31, v3
	v_lshlrev_b64_e32 v[4:5], 3, v[3:4]
	v_add_nc_u32_e32 v3, s5, v3
	s_delay_alu instid0(VALU_DEP_2) | instskip(SKIP_1) | instid1(VALU_DEP_3)
	v_add_co_u32 v31, vcc_lo, s0, v4
	s_wait_alu 0xfffd
	v_add_co_ci_u32_e64 v32, null, s1, v5, vcc_lo
	s_delay_alu instid0(VALU_DEP_3) | instskip(NEXT) | instid1(VALU_DEP_1)
	v_ashrrev_i32_e32 v4, 31, v3
	v_lshlrev_b64_e32 v[4:5], 3, v[3:4]
	v_add_nc_u32_e32 v3, s5, v3
	s_delay_alu instid0(VALU_DEP_2) | instskip(SKIP_1) | instid1(VALU_DEP_3)
	v_add_co_u32 v33, vcc_lo, s0, v4
	s_wait_alu 0xfffd
	v_add_co_ci_u32_e64 v34, null, s1, v5, vcc_lo
	s_delay_alu instid0(VALU_DEP_3) | instskip(NEXT) | instid1(VALU_DEP_1)
	;; [unrolled: 8-line block ×20, first 2 shown]
	v_ashrrev_i32_e32 v4, 31, v3
	v_lshlrev_b64_e32 v[4:5], 3, v[3:4]
	s_wait_loadcnt_dscnt 0x0
	scratch_store_b64 off, v[1:2], off
	flat_load_b64 v[1:2], v[27:28]
	v_add_nc_u32_e32 v3, s5, v3
	v_add_co_u32 v71, vcc_lo, s0, v4
	s_wait_alu 0xfffd
	v_add_co_ci_u32_e64 v72, null, s1, v5, vcc_lo
	s_delay_alu instid0(VALU_DEP_3) | instskip(NEXT) | instid1(VALU_DEP_1)
	v_ashrrev_i32_e32 v4, 31, v3
	v_lshlrev_b64_e32 v[4:5], 3, v[3:4]
	v_add_nc_u32_e32 v3, s5, v3
	s_delay_alu instid0(VALU_DEP_2) | instskip(SKIP_1) | instid1(VALU_DEP_3)
	v_add_co_u32 v73, vcc_lo, s0, v4
	s_wait_alu 0xfffd
	v_add_co_ci_u32_e64 v74, null, s1, v5, vcc_lo
	s_delay_alu instid0(VALU_DEP_3) | instskip(NEXT) | instid1(VALU_DEP_1)
	v_ashrrev_i32_e32 v4, 31, v3
	v_lshlrev_b64_e32 v[4:5], 3, v[3:4]
	v_add_nc_u32_e32 v3, s5, v3
	s_delay_alu instid0(VALU_DEP_2) | instskip(SKIP_1) | instid1(VALU_DEP_3)
	;; [unrolled: 8-line block ×20, first 2 shown]
	v_add_co_u32 v111, vcc_lo, s0, v4
	s_wait_alu 0xfffd
	v_add_co_ci_u32_e64 v112, null, s1, v5, vcc_lo
	s_delay_alu instid0(VALU_DEP_3) | instskip(NEXT) | instid1(VALU_DEP_1)
	v_ashrrev_i32_e32 v4, 31, v3
	v_lshlrev_b64_e32 v[4:5], 3, v[3:4]
	v_add_nc_u32_e32 v3, s5, v3
	s_delay_alu instid0(VALU_DEP_2)
	v_add_co_u32 v113, vcc_lo, s0, v4
	s_wait_loadcnt_dscnt 0x0
	scratch_store_b64 off, v[1:2], off offset:8
	flat_load_b64 v[1:2], v[29:30]
	s_wait_alu 0xfffd
	v_add_co_ci_u32_e64 v114, null, s1, v5, vcc_lo
	v_ashrrev_i32_e32 v4, 31, v3
	s_delay_alu instid0(VALU_DEP_1) | instskip(SKIP_1) | instid1(VALU_DEP_2)
	v_lshlrev_b64_e32 v[4:5], 3, v[3:4]
	v_add_nc_u32_e32 v3, s5, v3
	v_add_co_u32 v115, vcc_lo, s0, v4
	s_wait_alu 0xfffd
	s_delay_alu instid0(VALU_DEP_3) | instskip(NEXT) | instid1(VALU_DEP_3)
	v_add_co_ci_u32_e64 v116, null, s1, v5, vcc_lo
	v_ashrrev_i32_e32 v4, 31, v3
	s_delay_alu instid0(VALU_DEP_1) | instskip(SKIP_1) | instid1(VALU_DEP_2)
	v_lshlrev_b64_e32 v[4:5], 3, v[3:4]
	v_add_nc_u32_e32 v3, s5, v3
	v_add_co_u32 v117, vcc_lo, s0, v4
	s_wait_alu 0xfffd
	s_delay_alu instid0(VALU_DEP_3) | instskip(NEXT) | instid1(VALU_DEP_3)
	;; [unrolled: 8-line block ×11, first 2 shown]
	v_add_co_ci_u32_e64 v136, null, s1, v5, vcc_lo
	v_ashrrev_i32_e32 v4, 31, v3
	s_delay_alu instid0(VALU_DEP_1) | instskip(NEXT) | instid1(VALU_DEP_1)
	v_lshlrev_b64_e32 v[3:4], 3, v[3:4]
	v_add_co_u32 v137, vcc_lo, s0, v3
	s_wait_alu 0xfffd
	s_delay_alu instid0(VALU_DEP_2)
	v_add_co_ci_u32_e64 v138, null, s1, v4, vcc_lo
	s_mov_b32 s1, -1
	s_wait_loadcnt_dscnt 0x0
	scratch_store_b64 off, v[1:2], off offset:16
	flat_load_b64 v[1:2], v[31:32]
	s_wait_loadcnt_dscnt 0x0
	scratch_store_b64 off, v[1:2], off offset:24
	flat_load_b64 v[1:2], v[33:34]
	;; [unrolled: 3-line block ×54, first 2 shown]
	s_wait_loadcnt_dscnt 0x0
	scratch_store_b64 off, v[1:2], off offset:448
	s_cbranch_scc1 .LBB120_240
; %bb.4:
	v_cmp_eq_u32_e64 s0, 0, v0
	s_and_saveexec_b32 s1, s0
; %bb.5:
	v_mov_b32_e32 v1, 0
	ds_store_b32 v1, v1 offset:456
; %bb.6:
	s_wait_alu 0xfffe
	s_or_b32 exec_lo, exec_lo, s1
	s_wait_storecnt_dscnt 0x0
	s_barrier_signal -1
	s_barrier_wait -1
	global_inv scope:SCOPE_SE
	scratch_load_b64 v[1:2], v7, off
	s_wait_loadcnt 0x0
	v_cmp_eq_f32_e32 vcc_lo, 0, v1
	v_cmp_eq_f32_e64 s1, 0, v2
	s_and_b32 s1, vcc_lo, s1
	s_wait_alu 0xfffe
	s_and_saveexec_b32 s4, s1
	s_cbranch_execz .LBB120_10
; %bb.7:
	v_mov_b32_e32 v1, 0
	s_mov_b32 s5, 0
	ds_load_b32 v2, v1 offset:456
	s_wait_dscnt 0x0
	v_readfirstlane_b32 s1, v2
	v_add_nc_u32_e32 v2, 1, v0
	s_cmp_eq_u32 s1, 0
	s_delay_alu instid0(VALU_DEP_1)
	v_cmp_gt_i32_e32 vcc_lo, s1, v2
	s_cselect_b32 s10, -1, 0
	s_wait_alu 0xfffe
	s_or_b32 s10, s10, vcc_lo
	s_wait_alu 0xfffe
	s_and_b32 exec_lo, exec_lo, s10
	s_cbranch_execz .LBB120_10
; %bb.8:
	v_mov_b32_e32 v3, s1
.LBB120_9:                              ; =>This Inner Loop Header: Depth=1
	ds_cmpstore_rtn_b32 v3, v1, v2, v3 offset:456
	s_wait_dscnt 0x0
	v_cmp_ne_u32_e32 vcc_lo, 0, v3
	v_cmp_le_i32_e64 s1, v3, v2
	s_and_b32 s1, vcc_lo, s1
	s_wait_alu 0xfffe
	s_and_b32 s1, exec_lo, s1
	s_wait_alu 0xfffe
	s_or_b32 s5, s1, s5
	s_wait_alu 0xfffe
	s_and_not1_b32 exec_lo, exec_lo, s5
	s_cbranch_execnz .LBB120_9
.LBB120_10:
	s_wait_alu 0xfffe
	s_or_b32 exec_lo, exec_lo, s4
	v_mov_b32_e32 v1, 0
	s_barrier_signal -1
	s_barrier_wait -1
	global_inv scope:SCOPE_SE
	ds_load_b32 v2, v1 offset:456
	s_and_saveexec_b32 s1, s0
	s_cbranch_execz .LBB120_12
; %bb.11:
	s_lshl_b64 s[4:5], s[8:9], 2
	s_wait_alu 0xfffe
	s_add_nc_u64 s[4:5], s[6:7], s[4:5]
	s_wait_dscnt 0x0
	global_store_b32 v1, v2, s[4:5]
.LBB120_12:
	s_wait_alu 0xfffe
	s_or_b32 exec_lo, exec_lo, s1
	s_wait_dscnt 0x0
	v_cmp_ne_u32_e32 vcc_lo, 0, v2
	s_mov_b32 s1, 0
	s_cbranch_vccnz .LBB120_240
; %bb.13:
	v_mov_b32_e32 v8, v7
                                        ; implicit-def: $vgpr3
                                        ; implicit-def: $vgpr5
	scratch_load_b64 v[1:2], v8, off
	s_wait_loadcnt 0x0
	v_cmp_ngt_f32_e64 s1, |v1|, |v2|
	s_wait_alu 0xfffe
	s_and_saveexec_b32 s4, s1
	s_wait_alu 0xfffe
	s_xor_b32 s1, exec_lo, s4
	s_cbranch_execz .LBB120_15
; %bb.14:
	v_div_scale_f32 v3, null, v2, v2, v1
	v_div_scale_f32 v6, vcc_lo, v1, v2, v1
	s_delay_alu instid0(VALU_DEP_2) | instskip(NEXT) | instid1(TRANS32_DEP_1)
	v_rcp_f32_e32 v4, v3
	v_fma_f32 v5, -v3, v4, 1.0
	s_delay_alu instid0(VALU_DEP_1) | instskip(NEXT) | instid1(VALU_DEP_1)
	v_fmac_f32_e32 v4, v5, v4
	v_mul_f32_e32 v5, v6, v4
	s_delay_alu instid0(VALU_DEP_1) | instskip(NEXT) | instid1(VALU_DEP_1)
	v_fma_f32 v9, -v3, v5, v6
	v_fmac_f32_e32 v5, v9, v4
	s_delay_alu instid0(VALU_DEP_1) | instskip(SKIP_1) | instid1(VALU_DEP_1)
	v_fma_f32 v3, -v3, v5, v6
	s_wait_alu 0xfffd
	v_div_fmas_f32 v3, v3, v4, v5
	s_delay_alu instid0(VALU_DEP_1) | instskip(NEXT) | instid1(VALU_DEP_1)
	v_div_fixup_f32 v3, v3, v2, v1
	v_fmac_f32_e32 v2, v1, v3
	s_delay_alu instid0(VALU_DEP_1) | instskip(NEXT) | instid1(VALU_DEP_1)
	v_div_scale_f32 v1, null, v2, v2, 1.0
	v_rcp_f32_e32 v4, v1
	s_delay_alu instid0(TRANS32_DEP_1) | instskip(NEXT) | instid1(VALU_DEP_1)
	v_fma_f32 v5, -v1, v4, 1.0
	v_fmac_f32_e32 v4, v5, v4
	v_div_scale_f32 v5, vcc_lo, 1.0, v2, 1.0
	s_delay_alu instid0(VALU_DEP_1) | instskip(NEXT) | instid1(VALU_DEP_1)
	v_mul_f32_e32 v6, v5, v4
	v_fma_f32 v9, -v1, v6, v5
	s_delay_alu instid0(VALU_DEP_1) | instskip(NEXT) | instid1(VALU_DEP_1)
	v_fmac_f32_e32 v6, v9, v4
	v_fma_f32 v1, -v1, v6, v5
	s_wait_alu 0xfffd
	s_delay_alu instid0(VALU_DEP_1) | instskip(NEXT) | instid1(VALU_DEP_1)
	v_div_fmas_f32 v1, v1, v4, v6
	v_div_fixup_f32 v1, v1, v2, 1.0
	s_delay_alu instid0(VALU_DEP_1) | instskip(SKIP_1) | instid1(VALU_DEP_2)
	v_mul_f32_e32 v3, v3, v1
	v_xor_b32_e32 v4, 0x80000000, v1
                                        ; implicit-def: $vgpr1_vgpr2
	v_xor_b32_e32 v5, 0x80000000, v3
.LBB120_15:
	s_wait_alu 0xfffe
	s_and_not1_saveexec_b32 s1, s1
	s_cbranch_execz .LBB120_17
; %bb.16:
	v_div_scale_f32 v3, null, v1, v1, v2
	v_div_scale_f32 v6, vcc_lo, v2, v1, v2
	s_delay_alu instid0(VALU_DEP_2) | instskip(NEXT) | instid1(TRANS32_DEP_1)
	v_rcp_f32_e32 v4, v3
	v_fma_f32 v5, -v3, v4, 1.0
	s_delay_alu instid0(VALU_DEP_1) | instskip(NEXT) | instid1(VALU_DEP_1)
	v_fmac_f32_e32 v4, v5, v4
	v_mul_f32_e32 v5, v6, v4
	s_delay_alu instid0(VALU_DEP_1) | instskip(NEXT) | instid1(VALU_DEP_1)
	v_fma_f32 v9, -v3, v5, v6
	v_fmac_f32_e32 v5, v9, v4
	s_delay_alu instid0(VALU_DEP_1) | instskip(SKIP_1) | instid1(VALU_DEP_1)
	v_fma_f32 v3, -v3, v5, v6
	s_wait_alu 0xfffd
	v_div_fmas_f32 v3, v3, v4, v5
	s_delay_alu instid0(VALU_DEP_1) | instskip(NEXT) | instid1(VALU_DEP_1)
	v_div_fixup_f32 v4, v3, v1, v2
	v_fmac_f32_e32 v1, v2, v4
	s_delay_alu instid0(VALU_DEP_1) | instskip(SKIP_1) | instid1(VALU_DEP_2)
	v_div_scale_f32 v2, null, v1, v1, 1.0
	v_div_scale_f32 v6, vcc_lo, 1.0, v1, 1.0
	v_rcp_f32_e32 v3, v2
	s_delay_alu instid0(TRANS32_DEP_1) | instskip(NEXT) | instid1(VALU_DEP_1)
	v_fma_f32 v5, -v2, v3, 1.0
	v_fmac_f32_e32 v3, v5, v3
	s_delay_alu instid0(VALU_DEP_1) | instskip(NEXT) | instid1(VALU_DEP_1)
	v_mul_f32_e32 v5, v6, v3
	v_fma_f32 v9, -v2, v5, v6
	s_delay_alu instid0(VALU_DEP_1) | instskip(NEXT) | instid1(VALU_DEP_1)
	v_fmac_f32_e32 v5, v9, v3
	v_fma_f32 v2, -v2, v5, v6
	s_wait_alu 0xfffd
	s_delay_alu instid0(VALU_DEP_1) | instskip(NEXT) | instid1(VALU_DEP_1)
	v_div_fmas_f32 v2, v2, v3, v5
	v_div_fixup_f32 v3, v2, v1, 1.0
	s_delay_alu instid0(VALU_DEP_1)
	v_xor_b32_e32 v5, 0x80000000, v3
	v_mul_f32_e64 v4, v4, -v3
.LBB120_17:
	s_wait_alu 0xfffe
	s_or_b32 exec_lo, exec_lo, s1
	scratch_store_b64 v8, v[3:4], off
	scratch_load_b64 v[2:3], off, off offset:8
	v_xor_b32_e32 v6, 0x80000000, v4
	v_add_nc_u32_e32 v1, 0x1d0, v7
	s_wait_loadcnt 0x0
	ds_store_2addr_b64 v7, v[5:6], v[2:3] offset1:58
	s_wait_storecnt_dscnt 0x0
	s_barrier_signal -1
	s_barrier_wait -1
	global_inv scope:SCOPE_SE
	s_and_saveexec_b32 s1, s0
	s_cbranch_execz .LBB120_19
; %bb.18:
	scratch_load_b64 v[2:3], v8, off
	ds_load_b64 v[4:5], v1
	v_mov_b32_e32 v6, 0
	ds_load_b64 v[9:10], v6 offset:8
	s_wait_loadcnt_dscnt 0x1
	v_mul_f32_e32 v6, v4, v3
	v_mul_f32_e32 v3, v5, v3
	s_delay_alu instid0(VALU_DEP_2) | instskip(NEXT) | instid1(VALU_DEP_2)
	v_fmac_f32_e32 v6, v5, v2
	v_fma_f32 v2, v4, v2, -v3
	s_delay_alu instid0(VALU_DEP_2) | instskip(NEXT) | instid1(VALU_DEP_2)
	v_add_f32_e32 v4, 0, v6
	v_add_f32_e32 v2, 0, v2
	s_wait_dscnt 0x0
	s_delay_alu instid0(VALU_DEP_2) | instskip(NEXT) | instid1(VALU_DEP_2)
	v_mul_f32_e32 v5, v4, v10
	v_mul_f32_e32 v3, v2, v10
	s_delay_alu instid0(VALU_DEP_2) | instskip(NEXT) | instid1(VALU_DEP_2)
	v_fma_f32 v2, v2, v9, -v5
	v_fmac_f32_e32 v3, v4, v9
	scratch_store_b64 off, v[2:3], off offset:8
.LBB120_19:
	s_wait_alu 0xfffe
	s_or_b32 exec_lo, exec_lo, s1
	s_wait_loadcnt 0x0
	s_wait_storecnt 0x0
	s_barrier_signal -1
	s_barrier_wait -1
	global_inv scope:SCOPE_SE
	scratch_load_b64 v[2:3], off, off offset:16
	s_mov_b32 s1, exec_lo
	s_wait_loadcnt 0x0
	ds_store_b64 v1, v[2:3]
	s_wait_dscnt 0x0
	s_barrier_signal -1
	s_barrier_wait -1
	global_inv scope:SCOPE_SE
	v_cmpx_gt_u32_e32 2, v0
	s_cbranch_execz .LBB120_23
; %bb.20:
	scratch_load_b64 v[2:3], v8, off
	ds_load_b64 v[4:5], v1
	s_wait_loadcnt_dscnt 0x0
	v_mul_f32_e32 v6, v5, v3
	v_mul_f32_e32 v9, v4, v3
	s_delay_alu instid0(VALU_DEP_2) | instskip(NEXT) | instid1(VALU_DEP_2)
	v_fma_f32 v3, v4, v2, -v6
	v_fmac_f32_e32 v9, v5, v2
	s_delay_alu instid0(VALU_DEP_1)
	v_dual_add_f32 v3, 0, v3 :: v_dual_add_f32 v2, 0, v9
	s_and_saveexec_b32 s4, s0
	s_cbranch_execz .LBB120_22
; %bb.21:
	scratch_load_b64 v[4:5], off, off offset:8
	v_mov_b32_e32 v6, 0
	ds_load_b64 v[9:10], v6 offset:472
	s_wait_loadcnt_dscnt 0x0
	v_mul_f32_e32 v6, v9, v5
	v_mul_f32_e32 v5, v10, v5
	s_delay_alu instid0(VALU_DEP_2) | instskip(NEXT) | instid1(VALU_DEP_2)
	v_fmac_f32_e32 v6, v10, v4
	v_fma_f32 v4, v9, v4, -v5
	s_delay_alu instid0(VALU_DEP_1)
	v_dual_add_f32 v2, v2, v6 :: v_dual_add_f32 v3, v3, v4
.LBB120_22:
	s_wait_alu 0xfffe
	s_or_b32 exec_lo, exec_lo, s4
	v_mov_b32_e32 v4, 0
	ds_load_b64 v[4:5], v4 offset:16
	s_wait_dscnt 0x0
	v_mul_f32_e32 v9, v2, v5
	v_mul_f32_e32 v6, v3, v5
	s_delay_alu instid0(VALU_DEP_2) | instskip(NEXT) | instid1(VALU_DEP_2)
	v_fma_f32 v5, v3, v4, -v9
	v_fmac_f32_e32 v6, v2, v4
	scratch_store_b64 off, v[5:6], off offset:16
.LBB120_23:
	s_wait_alu 0xfffe
	s_or_b32 exec_lo, exec_lo, s1
	s_wait_loadcnt 0x0
	s_wait_storecnt 0x0
	s_barrier_signal -1
	s_barrier_wait -1
	global_inv scope:SCOPE_SE
	scratch_load_b64 v[3:4], off, off offset:24
	v_add_nc_u32_e32 v2, -1, v0
	s_mov_b32 s0, exec_lo
	s_wait_loadcnt 0x0
	ds_store_b64 v1, v[3:4]
	s_wait_dscnt 0x0
	s_barrier_signal -1
	s_barrier_wait -1
	global_inv scope:SCOPE_SE
	v_cmpx_gt_u32_e32 3, v0
	s_cbranch_execz .LBB120_27
; %bb.24:
	v_dual_mov_b32 v3, 0 :: v_dual_add_nc_u32 v4, -1, v0
	v_dual_mov_b32 v6, v7 :: v_dual_add_nc_u32 v5, 0x1d0, v7
	v_mov_b32_e32 v9, 0
	s_mov_b32 s1, 0
.LBB120_25:                             ; =>This Inner Loop Header: Depth=1
	scratch_load_b64 v[10:11], v6, off
	ds_load_b64 v[12:13], v5
	v_add_nc_u32_e32 v4, 1, v4
	v_add_nc_u32_e32 v5, 8, v5
	s_delay_alu instid0(VALU_DEP_2)
	v_cmp_lt_u32_e32 vcc_lo, 1, v4
	s_wait_alu 0xfffe
	s_or_b32 s1, vcc_lo, s1
	s_wait_loadcnt_dscnt 0x0
	v_mul_f32_e32 v14, v13, v11
	v_mul_f32_e32 v11, v12, v11
	s_delay_alu instid0(VALU_DEP_2) | instskip(NEXT) | instid1(VALU_DEP_2)
	v_fma_f32 v12, v12, v10, -v14
	v_fmac_f32_e32 v11, v13, v10
	s_delay_alu instid0(VALU_DEP_2) | instskip(NEXT) | instid1(VALU_DEP_2)
	v_dual_add_f32 v9, v9, v12 :: v_dual_add_nc_u32 v6, 8, v6
	v_add_f32_e32 v3, v3, v11
	s_wait_alu 0xfffe
	s_and_not1_b32 exec_lo, exec_lo, s1
	s_cbranch_execnz .LBB120_25
; %bb.26:
	s_or_b32 exec_lo, exec_lo, s1
	v_mov_b32_e32 v4, 0
	ds_load_b64 v[4:5], v4 offset:24
	s_wait_dscnt 0x0
	v_mul_f32_e32 v10, v3, v5
	v_mul_f32_e32 v6, v9, v5
	s_delay_alu instid0(VALU_DEP_2) | instskip(NEXT) | instid1(VALU_DEP_2)
	v_fma_f32 v5, v9, v4, -v10
	v_fmac_f32_e32 v6, v3, v4
	scratch_store_b64 off, v[5:6], off offset:24
.LBB120_27:
	s_wait_alu 0xfffe
	s_or_b32 exec_lo, exec_lo, s0
	s_wait_loadcnt 0x0
	s_wait_storecnt 0x0
	s_barrier_signal -1
	s_barrier_wait -1
	global_inv scope:SCOPE_SE
	scratch_load_b64 v[3:4], off, off offset:32
	s_mov_b32 s0, exec_lo
	s_wait_loadcnt 0x0
	ds_store_b64 v1, v[3:4]
	s_wait_dscnt 0x0
	s_barrier_signal -1
	s_barrier_wait -1
	global_inv scope:SCOPE_SE
	v_cmpx_gt_u32_e32 4, v0
	s_cbranch_execz .LBB120_31
; %bb.28:
	v_dual_mov_b32 v3, 0 :: v_dual_add_nc_u32 v4, -1, v0
	v_dual_mov_b32 v6, v7 :: v_dual_add_nc_u32 v5, 0x1d0, v7
	v_mov_b32_e32 v9, 0
	s_mov_b32 s1, 0
.LBB120_29:                             ; =>This Inner Loop Header: Depth=1
	scratch_load_b64 v[10:11], v6, off
	ds_load_b64 v[12:13], v5
	v_add_nc_u32_e32 v4, 1, v4
	v_add_nc_u32_e32 v5, 8, v5
	s_delay_alu instid0(VALU_DEP_2)
	v_cmp_lt_u32_e32 vcc_lo, 2, v4
	s_wait_alu 0xfffe
	s_or_b32 s1, vcc_lo, s1
	s_wait_loadcnt_dscnt 0x0
	v_mul_f32_e32 v14, v13, v11
	v_mul_f32_e32 v11, v12, v11
	s_delay_alu instid0(VALU_DEP_2) | instskip(NEXT) | instid1(VALU_DEP_2)
	v_fma_f32 v12, v12, v10, -v14
	v_fmac_f32_e32 v11, v13, v10
	s_delay_alu instid0(VALU_DEP_2) | instskip(NEXT) | instid1(VALU_DEP_2)
	v_dual_add_f32 v9, v9, v12 :: v_dual_add_nc_u32 v6, 8, v6
	v_add_f32_e32 v3, v3, v11
	s_wait_alu 0xfffe
	s_and_not1_b32 exec_lo, exec_lo, s1
	s_cbranch_execnz .LBB120_29
; %bb.30:
	s_or_b32 exec_lo, exec_lo, s1
	v_mov_b32_e32 v4, 0
	ds_load_b64 v[4:5], v4 offset:32
	s_wait_dscnt 0x0
	v_mul_f32_e32 v10, v3, v5
	v_mul_f32_e32 v6, v9, v5
	s_delay_alu instid0(VALU_DEP_2) | instskip(NEXT) | instid1(VALU_DEP_2)
	v_fma_f32 v5, v9, v4, -v10
	v_fmac_f32_e32 v6, v3, v4
	scratch_store_b64 off, v[5:6], off offset:32
.LBB120_31:
	s_wait_alu 0xfffe
	s_or_b32 exec_lo, exec_lo, s0
	s_wait_loadcnt 0x0
	s_wait_storecnt 0x0
	s_barrier_signal -1
	s_barrier_wait -1
	global_inv scope:SCOPE_SE
	scratch_load_b64 v[3:4], off, off offset:40
	;; [unrolled: 55-line block ×19, first 2 shown]
	s_mov_b32 s0, exec_lo
	s_wait_loadcnt 0x0
	ds_store_b64 v1, v[3:4]
	s_wait_dscnt 0x0
	s_barrier_signal -1
	s_barrier_wait -1
	global_inv scope:SCOPE_SE
	v_cmpx_gt_u32_e32 22, v0
	s_cbranch_execz .LBB120_103
; %bb.100:
	v_dual_mov_b32 v3, 0 :: v_dual_add_nc_u32 v4, -1, v0
	v_dual_mov_b32 v6, v7 :: v_dual_add_nc_u32 v5, 0x1d0, v7
	v_mov_b32_e32 v9, 0
	s_mov_b32 s1, 0
.LBB120_101:                            ; =>This Inner Loop Header: Depth=1
	scratch_load_b64 v[10:11], v6, off
	ds_load_b64 v[12:13], v5
	v_add_nc_u32_e32 v4, 1, v4
	v_add_nc_u32_e32 v5, 8, v5
	s_delay_alu instid0(VALU_DEP_2)
	v_cmp_lt_u32_e32 vcc_lo, 20, v4
	s_wait_alu 0xfffe
	s_or_b32 s1, vcc_lo, s1
	s_wait_loadcnt_dscnt 0x0
	v_mul_f32_e32 v14, v13, v11
	v_mul_f32_e32 v11, v12, v11
	s_delay_alu instid0(VALU_DEP_2) | instskip(NEXT) | instid1(VALU_DEP_2)
	v_fma_f32 v12, v12, v10, -v14
	v_fmac_f32_e32 v11, v13, v10
	s_delay_alu instid0(VALU_DEP_2) | instskip(NEXT) | instid1(VALU_DEP_2)
	v_dual_add_f32 v9, v9, v12 :: v_dual_add_nc_u32 v6, 8, v6
	v_add_f32_e32 v3, v3, v11
	s_wait_alu 0xfffe
	s_and_not1_b32 exec_lo, exec_lo, s1
	s_cbranch_execnz .LBB120_101
; %bb.102:
	s_or_b32 exec_lo, exec_lo, s1
	v_mov_b32_e32 v4, 0
	ds_load_b64 v[4:5], v4 offset:176
	s_wait_dscnt 0x0
	v_mul_f32_e32 v10, v3, v5
	v_mul_f32_e32 v6, v9, v5
	s_delay_alu instid0(VALU_DEP_2) | instskip(NEXT) | instid1(VALU_DEP_2)
	v_fma_f32 v5, v9, v4, -v10
	v_fmac_f32_e32 v6, v3, v4
	scratch_store_b64 off, v[5:6], off offset:176
.LBB120_103:
	s_wait_alu 0xfffe
	s_or_b32 exec_lo, exec_lo, s0
	s_wait_loadcnt 0x0
	s_wait_storecnt 0x0
	s_barrier_signal -1
	s_barrier_wait -1
	global_inv scope:SCOPE_SE
	scratch_load_b64 v[3:4], off, off offset:184
	s_mov_b32 s0, exec_lo
	s_wait_loadcnt 0x0
	ds_store_b64 v1, v[3:4]
	s_wait_dscnt 0x0
	s_barrier_signal -1
	s_barrier_wait -1
	global_inv scope:SCOPE_SE
	v_cmpx_gt_u32_e32 23, v0
	s_cbranch_execz .LBB120_107
; %bb.104:
	v_dual_mov_b32 v3, 0 :: v_dual_add_nc_u32 v4, -1, v0
	v_dual_mov_b32 v6, v7 :: v_dual_add_nc_u32 v5, 0x1d0, v7
	v_mov_b32_e32 v9, 0
	s_mov_b32 s1, 0
.LBB120_105:                            ; =>This Inner Loop Header: Depth=1
	scratch_load_b64 v[10:11], v6, off
	ds_load_b64 v[12:13], v5
	v_add_nc_u32_e32 v4, 1, v4
	v_add_nc_u32_e32 v5, 8, v5
	s_delay_alu instid0(VALU_DEP_2)
	v_cmp_lt_u32_e32 vcc_lo, 21, v4
	s_wait_alu 0xfffe
	s_or_b32 s1, vcc_lo, s1
	s_wait_loadcnt_dscnt 0x0
	v_mul_f32_e32 v14, v13, v11
	v_mul_f32_e32 v11, v12, v11
	s_delay_alu instid0(VALU_DEP_2) | instskip(NEXT) | instid1(VALU_DEP_2)
	v_fma_f32 v12, v12, v10, -v14
	v_fmac_f32_e32 v11, v13, v10
	s_delay_alu instid0(VALU_DEP_2) | instskip(NEXT) | instid1(VALU_DEP_2)
	v_dual_add_f32 v9, v9, v12 :: v_dual_add_nc_u32 v6, 8, v6
	v_add_f32_e32 v3, v3, v11
	s_wait_alu 0xfffe
	s_and_not1_b32 exec_lo, exec_lo, s1
	s_cbranch_execnz .LBB120_105
; %bb.106:
	s_or_b32 exec_lo, exec_lo, s1
	v_mov_b32_e32 v4, 0
	ds_load_b64 v[4:5], v4 offset:184
	s_wait_dscnt 0x0
	v_mul_f32_e32 v10, v3, v5
	v_mul_f32_e32 v6, v9, v5
	s_delay_alu instid0(VALU_DEP_2) | instskip(NEXT) | instid1(VALU_DEP_2)
	v_fma_f32 v5, v9, v4, -v10
	v_fmac_f32_e32 v6, v3, v4
	scratch_store_b64 off, v[5:6], off offset:184
.LBB120_107:
	s_wait_alu 0xfffe
	s_or_b32 exec_lo, exec_lo, s0
	s_wait_loadcnt 0x0
	s_wait_storecnt 0x0
	s_barrier_signal -1
	s_barrier_wait -1
	global_inv scope:SCOPE_SE
	scratch_load_b64 v[3:4], off, off offset:192
	;; [unrolled: 55-line block ×33, first 2 shown]
	s_mov_b32 s0, exec_lo
	s_wait_loadcnt 0x0
	ds_store_b64 v1, v[3:4]
	s_wait_dscnt 0x0
	s_barrier_signal -1
	s_barrier_wait -1
	global_inv scope:SCOPE_SE
	v_cmpx_gt_u32_e32 55, v0
	s_cbranch_execz .LBB120_235
; %bb.232:
	v_dual_mov_b32 v3, 0 :: v_dual_add_nc_u32 v4, -1, v0
	v_dual_mov_b32 v6, v7 :: v_dual_add_nc_u32 v5, 0x1d0, v7
	v_mov_b32_e32 v7, 0
	s_mov_b32 s1, 0
.LBB120_233:                            ; =>This Inner Loop Header: Depth=1
	scratch_load_b64 v[9:10], v6, off
	ds_load_b64 v[11:12], v5
	v_add_nc_u32_e32 v6, 8, v6
	v_add_nc_u32_e32 v4, 1, v4
	;; [unrolled: 1-line block ×3, first 2 shown]
	s_delay_alu instid0(VALU_DEP_2)
	v_cmp_lt_u32_e32 vcc_lo, 53, v4
	s_wait_alu 0xfffe
	s_or_b32 s1, vcc_lo, s1
	s_wait_loadcnt_dscnt 0x0
	v_mul_f32_e32 v13, v12, v10
	v_mul_f32_e32 v10, v11, v10
	s_delay_alu instid0(VALU_DEP_2) | instskip(NEXT) | instid1(VALU_DEP_1)
	v_fma_f32 v11, v11, v9, -v13
	v_dual_fmac_f32 v10, v12, v9 :: v_dual_add_f32 v7, v7, v11
	s_delay_alu instid0(VALU_DEP_1)
	v_add_f32_e32 v3, v3, v10
	s_wait_alu 0xfffe
	s_and_not1_b32 exec_lo, exec_lo, s1
	s_cbranch_execnz .LBB120_233
; %bb.234:
	s_or_b32 exec_lo, exec_lo, s1
	v_mov_b32_e32 v4, 0
	ds_load_b64 v[4:5], v4 offset:440
	s_wait_dscnt 0x0
	v_mul_f32_e32 v9, v3, v5
	v_mul_f32_e32 v6, v7, v5
	s_delay_alu instid0(VALU_DEP_2) | instskip(NEXT) | instid1(VALU_DEP_2)
	v_fma_f32 v5, v7, v4, -v9
	v_fmac_f32_e32 v6, v3, v4
	scratch_store_b64 off, v[5:6], off offset:440
.LBB120_235:
	s_wait_alu 0xfffe
	s_or_b32 exec_lo, exec_lo, s0
	s_wait_loadcnt 0x0
	s_wait_storecnt 0x0
	s_barrier_signal -1
	s_barrier_wait -1
	global_inv scope:SCOPE_SE
	scratch_load_b64 v[3:4], off, off offset:448
	s_mov_b32 s0, exec_lo
	s_wait_loadcnt 0x0
	ds_store_b64 v1, v[3:4]
	s_wait_dscnt 0x0
	s_barrier_signal -1
	s_barrier_wait -1
	global_inv scope:SCOPE_SE
	v_cmpx_ne_u32_e32 56, v0
	s_cbranch_execz .LBB120_239
; %bb.236:
	v_dual_mov_b32 v3, 0 :: v_dual_mov_b32 v4, 0
	s_mov_b32 s1, 0
.LBB120_237:                            ; =>This Inner Loop Header: Depth=1
	scratch_load_b64 v[5:6], v8, off
	ds_load_b64 v[9:10], v1
	v_add_nc_u32_e32 v2, 1, v2
	v_add_nc_u32_e32 v1, 8, v1
	;; [unrolled: 1-line block ×3, first 2 shown]
	s_delay_alu instid0(VALU_DEP_3)
	v_cmp_lt_u32_e32 vcc_lo, 54, v2
	s_wait_alu 0xfffe
	s_or_b32 s1, vcc_lo, s1
	s_wait_loadcnt_dscnt 0x0
	v_mul_f32_e32 v7, v10, v6
	v_mul_f32_e32 v6, v9, v6
	s_delay_alu instid0(VALU_DEP_2) | instskip(NEXT) | instid1(VALU_DEP_2)
	v_fma_f32 v7, v9, v5, -v7
	v_fmac_f32_e32 v6, v10, v5
	s_delay_alu instid0(VALU_DEP_1)
	v_dual_add_f32 v4, v4, v7 :: v_dual_add_f32 v3, v3, v6
	s_wait_alu 0xfffe
	s_and_not1_b32 exec_lo, exec_lo, s1
	s_cbranch_execnz .LBB120_237
; %bb.238:
	s_or_b32 exec_lo, exec_lo, s1
	v_mov_b32_e32 v1, 0
	ds_load_b64 v[1:2], v1 offset:448
	s_wait_dscnt 0x0
	v_mul_f32_e32 v6, v3, v2
	v_mul_f32_e32 v5, v4, v2
	s_delay_alu instid0(VALU_DEP_2) | instskip(NEXT) | instid1(VALU_DEP_2)
	v_fma_f32 v4, v4, v1, -v6
	v_fmac_f32_e32 v5, v3, v1
	scratch_store_b64 off, v[4:5], off offset:448
.LBB120_239:
	s_wait_alu 0xfffe
	s_or_b32 exec_lo, exec_lo, s0
	s_mov_b32 s1, -1
	s_wait_loadcnt 0x0
	s_wait_storecnt 0x0
	s_barrier_signal -1
	s_barrier_wait -1
	global_inv scope:SCOPE_SE
.LBB120_240:
	s_wait_alu 0xfffe
	s_and_b32 vcc_lo, exec_lo, s1
	s_wait_alu 0xfffe
	s_cbranch_vccz .LBB120_242
; %bb.241:
	v_mov_b32_e32 v1, 0
	s_lshl_b64 s[0:1], s[8:9], 2
	s_wait_alu 0xfffe
	s_add_nc_u64 s[0:1], s[6:7], s[0:1]
	global_load_b32 v1, v1, s[0:1]
	s_wait_loadcnt 0x0
	v_cmp_ne_u32_e32 vcc_lo, 0, v1
	s_cbranch_vccz .LBB120_243
.LBB120_242:
	s_nop 0
	s_sendmsg sendmsg(MSG_DEALLOC_VGPRS)
	s_endpgm
.LBB120_243:
	v_lshl_add_u32 v141, v0, 3, 0x1d0
	s_mov_b32 s0, exec_lo
	v_cmpx_eq_u32_e32 56, v0
	s_cbranch_execz .LBB120_245
; %bb.244:
	scratch_load_b64 v[1:2], off, off offset:440
	v_mov_b32_e32 v3, 0
	s_delay_alu instid0(VALU_DEP_1)
	v_mov_b32_e32 v4, v3
	scratch_store_b64 off, v[3:4], off offset:440
	s_wait_loadcnt 0x0
	ds_store_b64 v141, v[1:2]
.LBB120_245:
	s_wait_alu 0xfffe
	s_or_b32 exec_lo, exec_lo, s0
	s_wait_storecnt_dscnt 0x0
	s_barrier_signal -1
	s_barrier_wait -1
	global_inv scope:SCOPE_SE
	s_clause 0x1
	scratch_load_b64 v[2:3], off, off offset:448
	scratch_load_b64 v[4:5], off, off offset:440
	v_mov_b32_e32 v1, 0
	s_mov_b32 s0, exec_lo
	ds_load_b64 v[6:7], v1 offset:912
	s_wait_loadcnt_dscnt 0x100
	v_mul_f32_e32 v8, v7, v3
	v_mul_f32_e32 v3, v6, v3
	s_delay_alu instid0(VALU_DEP_2) | instskip(NEXT) | instid1(VALU_DEP_2)
	v_fma_f32 v6, v6, v2, -v8
	v_fmac_f32_e32 v3, v7, v2
	s_delay_alu instid0(VALU_DEP_1) | instskip(SKIP_1) | instid1(VALU_DEP_1)
	v_dual_add_f32 v2, 0, v6 :: v_dual_add_f32 v3, 0, v3
	s_wait_loadcnt 0x0
	v_dual_sub_f32 v2, v4, v2 :: v_dual_sub_f32 v3, v5, v3
	scratch_store_b64 off, v[2:3], off offset:440
	v_cmpx_lt_u32_e32 54, v0
	s_cbranch_execz .LBB120_247
; %bb.246:
	scratch_load_b64 v[3:4], off, off offset:432
	v_mov_b32_e32 v2, v1
	scratch_store_b64 off, v[1:2], off offset:432
	s_wait_loadcnt 0x0
	ds_store_b64 v141, v[3:4]
.LBB120_247:
	s_wait_alu 0xfffe
	s_or_b32 exec_lo, exec_lo, s0
	s_wait_storecnt_dscnt 0x0
	s_barrier_signal -1
	s_barrier_wait -1
	global_inv scope:SCOPE_SE
	s_clause 0x1
	scratch_load_b128 v[2:5], off, off offset:440
	scratch_load_b64 v[10:11], off, off offset:432
	ds_load_2addr_b64 v[6:9], v1 offset0:113 offset1:114
	s_mov_b32 s0, exec_lo
	s_wait_loadcnt_dscnt 0x100
	v_dual_mul_f32 v1, v7, v3 :: v_dual_mul_f32 v12, v8, v5
	v_mul_f32_e32 v3, v6, v3
	s_delay_alu instid0(VALU_DEP_2) | instskip(NEXT) | instid1(VALU_DEP_2)
	v_fma_f32 v1, v6, v2, -v1
	v_dual_fmac_f32 v12, v9, v4 :: v_dual_fmac_f32 v3, v7, v2
	s_delay_alu instid0(VALU_DEP_2) | instskip(NEXT) | instid1(VALU_DEP_2)
	v_add_f32_e32 v1, 0, v1
	v_add_f32_e32 v3, 0, v3
	v_mul_f32_e32 v5, v9, v5
	s_delay_alu instid0(VALU_DEP_1) | instskip(NEXT) | instid1(VALU_DEP_1)
	v_fma_f32 v2, v8, v4, -v5
	v_dual_add_f32 v1, v1, v2 :: v_dual_add_f32 v2, v3, v12
	s_wait_loadcnt 0x0
	s_delay_alu instid0(VALU_DEP_1)
	v_dual_sub_f32 v1, v10, v1 :: v_dual_sub_f32 v2, v11, v2
	scratch_store_b64 off, v[1:2], off offset:432
	v_cmpx_lt_u32_e32 53, v0
	s_cbranch_execz .LBB120_249
; %bb.248:
	scratch_load_b64 v[1:2], off, off offset:424
	v_mov_b32_e32 v3, 0
	s_delay_alu instid0(VALU_DEP_1)
	v_mov_b32_e32 v4, v3
	scratch_store_b64 off, v[3:4], off offset:424
	s_wait_loadcnt 0x0
	ds_store_b64 v141, v[1:2]
.LBB120_249:
	s_wait_alu 0xfffe
	s_or_b32 exec_lo, exec_lo, s0
	s_wait_storecnt_dscnt 0x0
	s_barrier_signal -1
	s_barrier_wait -1
	global_inv scope:SCOPE_SE
	s_clause 0x2
	scratch_load_b128 v[2:5], off, off offset:432
	scratch_load_b64 v[10:11], off, off offset:448
	scratch_load_b64 v[12:13], off, off offset:424
	v_mov_b32_e32 v1, 0
	ds_load_b128 v[6:9], v1 offset:896
	ds_load_b64 v[14:15], v1 offset:912
	s_mov_b32 s0, exec_lo
	s_wait_loadcnt_dscnt 0x201
	v_dual_mul_f32 v16, v7, v3 :: v_dual_mul_f32 v17, v8, v5
	s_wait_loadcnt_dscnt 0x100
	v_mul_f32_e32 v18, v14, v11
	v_mul_f32_e32 v3, v6, v3
	;; [unrolled: 1-line block ×3, first 2 shown]
	v_fma_f32 v6, v6, v2, -v16
	s_delay_alu instid0(VALU_DEP_4) | instskip(NEXT) | instid1(VALU_DEP_4)
	v_fmac_f32_e32 v18, v15, v10
	v_fmac_f32_e32 v3, v7, v2
	v_mul_f32_e32 v2, v15, v11
	s_delay_alu instid0(VALU_DEP_1) | instskip(SKIP_3) | instid1(VALU_DEP_1)
	v_fma_f32 v2, v14, v10, -v2
	v_fmac_f32_e32 v17, v9, v4
	v_fma_f32 v4, v8, v4, -v5
	v_add_f32_e32 v5, 0, v6
	v_add_f32_e32 v4, v5, v4
	s_delay_alu instid0(VALU_DEP_1) | instskip(SKIP_1) | instid1(VALU_DEP_1)
	v_dual_add_f32 v2, v4, v2 :: v_dual_add_f32 v3, 0, v3
	s_wait_loadcnt 0x0
	v_dual_sub_f32 v2, v12, v2 :: v_dual_add_f32 v3, v3, v17
	s_delay_alu instid0(VALU_DEP_1) | instskip(NEXT) | instid1(VALU_DEP_1)
	v_add_f32_e32 v3, v3, v18
	v_sub_f32_e32 v3, v13, v3
	scratch_store_b64 off, v[2:3], off offset:424
	v_cmpx_lt_u32_e32 52, v0
	s_cbranch_execz .LBB120_251
; %bb.250:
	scratch_load_b64 v[3:4], off, off offset:416
	v_mov_b32_e32 v2, v1
	scratch_store_b64 off, v[1:2], off offset:416
	s_wait_loadcnt 0x0
	ds_store_b64 v141, v[3:4]
.LBB120_251:
	s_wait_alu 0xfffe
	s_or_b32 exec_lo, exec_lo, s0
	s_wait_storecnt_dscnt 0x0
	s_barrier_signal -1
	s_barrier_wait -1
	global_inv scope:SCOPE_SE
	s_clause 0x2
	scratch_load_b128 v[2:5], off, off offset:424
	scratch_load_b128 v[6:9], off, off offset:440
	scratch_load_b64 v[18:19], off, off offset:416
	ds_load_2addr_b64 v[10:13], v1 offset0:111 offset1:112
	ds_load_2addr_b64 v[14:17], v1 offset0:113 offset1:114
	s_mov_b32 s0, exec_lo
	s_wait_loadcnt_dscnt 0x201
	v_dual_mul_f32 v1, v10, v3 :: v_dual_mul_f32 v20, v12, v5
	s_wait_loadcnt_dscnt 0x100
	v_dual_mul_f32 v3, v11, v3 :: v_dual_mul_f32 v22, v16, v9
	v_mul_f32_e32 v5, v13, v5
	s_delay_alu instid0(VALU_DEP_3) | instskip(NEXT) | instid1(VALU_DEP_3)
	v_dual_mul_f32 v21, v14, v7 :: v_dual_fmac_f32 v20, v13, v4
	v_fma_f32 v3, v10, v2, -v3
	s_delay_alu instid0(VALU_DEP_4) | instskip(SKIP_2) | instid1(VALU_DEP_4)
	v_dual_fmac_f32 v1, v11, v2 :: v_dual_fmac_f32 v22, v17, v8
	v_mul_f32_e32 v2, v15, v7
	v_fma_f32 v4, v12, v4, -v5
	v_add_f32_e32 v3, 0, v3
	v_fmac_f32_e32 v21, v15, v6
	s_delay_alu instid0(VALU_DEP_4) | instskip(NEXT) | instid1(VALU_DEP_3)
	v_fma_f32 v2, v14, v6, -v2
	v_add_f32_e32 v3, v3, v4
	s_delay_alu instid0(VALU_DEP_1) | instskip(NEXT) | instid1(VALU_DEP_1)
	v_dual_add_f32 v1, 0, v1 :: v_dual_add_f32 v2, v3, v2
	v_add_f32_e32 v1, v1, v20
	s_delay_alu instid0(VALU_DEP_1) | instskip(NEXT) | instid1(VALU_DEP_1)
	v_add_f32_e32 v1, v1, v21
	v_add_f32_e32 v3, v1, v22
	v_mul_f32_e32 v5, v17, v9
	s_delay_alu instid0(VALU_DEP_1) | instskip(NEXT) | instid1(VALU_DEP_1)
	v_fma_f32 v4, v16, v8, -v5
	v_add_f32_e32 v2, v2, v4
	s_wait_loadcnt 0x0
	s_delay_alu instid0(VALU_DEP_1)
	v_dual_sub_f32 v1, v18, v2 :: v_dual_sub_f32 v2, v19, v3
	scratch_store_b64 off, v[1:2], off offset:416
	v_cmpx_lt_u32_e32 51, v0
	s_cbranch_execz .LBB120_253
; %bb.252:
	scratch_load_b64 v[1:2], off, off offset:408
	v_mov_b32_e32 v3, 0
	s_delay_alu instid0(VALU_DEP_1)
	v_mov_b32_e32 v4, v3
	scratch_store_b64 off, v[3:4], off offset:408
	s_wait_loadcnt 0x0
	ds_store_b64 v141, v[1:2]
.LBB120_253:
	s_wait_alu 0xfffe
	s_or_b32 exec_lo, exec_lo, s0
	s_wait_storecnt_dscnt 0x0
	s_barrier_signal -1
	s_barrier_wait -1
	global_inv scope:SCOPE_SE
	s_clause 0x3
	scratch_load_b128 v[2:5], off, off offset:416
	scratch_load_b128 v[6:9], off, off offset:432
	scratch_load_b64 v[18:19], off, off offset:448
	scratch_load_b64 v[20:21], off, off offset:408
	v_mov_b32_e32 v1, 0
	ds_load_b128 v[10:13], v1 offset:880
	ds_load_b128 v[14:17], v1 offset:896
	ds_load_b64 v[22:23], v1 offset:912
	s_mov_b32 s0, exec_lo
	s_wait_loadcnt_dscnt 0x302
	v_mul_f32_e32 v24, v10, v3
	s_wait_loadcnt_dscnt 0x201
	v_dual_mul_f32 v3, v11, v3 :: v_dual_mul_f32 v142, v16, v9
	v_dual_mul_f32 v139, v12, v5 :: v_dual_mul_f32 v140, v14, v7
	v_mul_f32_e32 v5, v13, v5
	s_delay_alu instid0(VALU_DEP_3)
	v_fma_f32 v3, v10, v2, -v3
	s_wait_loadcnt_dscnt 0x100
	v_dual_mul_f32 v143, v22, v19 :: v_dual_fmac_f32 v24, v11, v2
	v_dual_mul_f32 v2, v15, v7 :: v_dual_fmac_f32 v139, v13, v4
	v_fmac_f32_e32 v140, v15, v6
	v_fma_f32 v4, v12, v4, -v5
	v_dual_add_f32 v3, 0, v3 :: v_dual_fmac_f32 v142, v17, v8
	s_delay_alu instid0(VALU_DEP_4) | instskip(SKIP_1) | instid1(VALU_DEP_3)
	v_fma_f32 v2, v14, v6, -v2
	v_fmac_f32_e32 v143, v23, v18
	v_add_f32_e32 v3, v3, v4
	s_delay_alu instid0(VALU_DEP_1) | instskip(SKIP_1) | instid1(VALU_DEP_2)
	v_dual_add_f32 v5, 0, v24 :: v_dual_add_f32 v2, v3, v2
	v_mul_f32_e32 v7, v17, v9
	v_add_f32_e32 v4, v5, v139
	s_delay_alu instid0(VALU_DEP_2) | instskip(NEXT) | instid1(VALU_DEP_1)
	v_fma_f32 v6, v16, v8, -v7
	v_dual_add_f32 v3, v4, v140 :: v_dual_add_f32 v2, v2, v6
	v_mul_f32_e32 v5, v23, v19
	s_delay_alu instid0(VALU_DEP_2) | instskip(NEXT) | instid1(VALU_DEP_2)
	v_add_f32_e32 v3, v3, v142
	v_fma_f32 v4, v22, v18, -v5
	s_delay_alu instid0(VALU_DEP_1) | instskip(SKIP_1) | instid1(VALU_DEP_1)
	v_dual_add_f32 v2, v2, v4 :: v_dual_add_f32 v3, v3, v143
	s_wait_loadcnt 0x0
	v_dual_sub_f32 v2, v20, v2 :: v_dual_sub_f32 v3, v21, v3
	scratch_store_b64 off, v[2:3], off offset:408
	v_cmpx_lt_u32_e32 50, v0
	s_cbranch_execz .LBB120_255
; %bb.254:
	scratch_load_b64 v[3:4], off, off offset:400
	v_mov_b32_e32 v2, v1
	scratch_store_b64 off, v[1:2], off offset:400
	s_wait_loadcnt 0x0
	ds_store_b64 v141, v[3:4]
.LBB120_255:
	s_wait_alu 0xfffe
	s_or_b32 exec_lo, exec_lo, s0
	s_wait_storecnt_dscnt 0x0
	s_barrier_signal -1
	s_barrier_wait -1
	global_inv scope:SCOPE_SE
	s_clause 0x3
	scratch_load_b128 v[2:5], off, off offset:408
	scratch_load_b128 v[6:9], off, off offset:424
	scratch_load_b128 v[10:13], off, off offset:440
	scratch_load_b64 v[22:23], off, off offset:400
	ds_load_2addr_b64 v[14:17], v1 offset0:109 offset1:110
	ds_load_2addr_b64 v[18:21], v1 offset0:111 offset1:112
	ds_load_2addr_b64 v[142:145], v1 offset0:113 offset1:114
	s_mov_b32 s0, exec_lo
	s_wait_loadcnt_dscnt 0x302
	v_dual_mul_f32 v1, v14, v3 :: v_dual_mul_f32 v24, v16, v5
	v_mul_f32_e32 v3, v15, v3
	v_mul_f32_e32 v5, v17, v5
	s_wait_loadcnt_dscnt 0x201
	v_dual_mul_f32 v139, v18, v7 :: v_dual_mul_f32 v140, v20, v9
	v_fmac_f32_e32 v24, v17, v4
	v_fma_f32 v3, v14, v2, -v3
	s_wait_loadcnt_dscnt 0x100
	v_dual_mul_f32 v146, v142, v11 :: v_dual_mul_f32 v147, v144, v13
	v_dual_fmac_f32 v1, v15, v2 :: v_dual_fmac_f32 v140, v21, v8
	v_mul_f32_e32 v2, v19, v7
	v_fma_f32 v4, v16, v4, -v5
	s_delay_alu instid0(VALU_DEP_4) | instskip(NEXT) | instid1(VALU_DEP_4)
	v_dual_add_f32 v3, 0, v3 :: v_dual_fmac_f32 v146, v143, v10
	v_add_f32_e32 v1, 0, v1
	s_delay_alu instid0(VALU_DEP_4) | instskip(SKIP_1) | instid1(VALU_DEP_4)
	v_fma_f32 v2, v18, v6, -v2
	v_fmac_f32_e32 v147, v145, v12
	v_add_f32_e32 v3, v3, v4
	v_dual_mul_f32 v5, v21, v9 :: v_dual_mul_f32 v4, v143, v11
	s_delay_alu instid0(VALU_DEP_2) | instskip(NEXT) | instid1(VALU_DEP_2)
	v_add_f32_e32 v2, v3, v2
	v_fma_f32 v5, v20, v8, -v5
	v_fmac_f32_e32 v139, v19, v6
	s_delay_alu instid0(VALU_DEP_4) | instskip(NEXT) | instid1(VALU_DEP_3)
	v_fma_f32 v4, v142, v10, -v4
	v_add_f32_e32 v2, v2, v5
	s_delay_alu instid0(VALU_DEP_1) | instskip(NEXT) | instid1(VALU_DEP_1)
	v_dual_mul_f32 v3, v145, v13 :: v_dual_add_f32 v2, v2, v4
	v_fma_f32 v3, v144, v12, -v3
	s_delay_alu instid0(VALU_DEP_1) | instskip(NEXT) | instid1(VALU_DEP_1)
	v_dual_add_f32 v1, v1, v24 :: v_dual_add_f32 v2, v2, v3
	v_add_f32_e32 v1, v1, v139
	s_delay_alu instid0(VALU_DEP_1) | instskip(NEXT) | instid1(VALU_DEP_1)
	v_add_f32_e32 v1, v1, v140
	v_add_f32_e32 v1, v1, v146
	s_delay_alu instid0(VALU_DEP_1) | instskip(SKIP_1) | instid1(VALU_DEP_1)
	v_add_f32_e32 v3, v1, v147
	s_wait_loadcnt 0x0
	v_dual_sub_f32 v1, v22, v2 :: v_dual_sub_f32 v2, v23, v3
	scratch_store_b64 off, v[1:2], off offset:400
	v_cmpx_lt_u32_e32 49, v0
	s_cbranch_execz .LBB120_257
; %bb.256:
	scratch_load_b64 v[1:2], off, off offset:392
	v_mov_b32_e32 v3, 0
	s_delay_alu instid0(VALU_DEP_1)
	v_mov_b32_e32 v4, v3
	scratch_store_b64 off, v[3:4], off offset:392
	s_wait_loadcnt 0x0
	ds_store_b64 v141, v[1:2]
.LBB120_257:
	s_wait_alu 0xfffe
	s_or_b32 exec_lo, exec_lo, s0
	s_wait_storecnt_dscnt 0x0
	s_barrier_signal -1
	s_barrier_wait -1
	global_inv scope:SCOPE_SE
	s_clause 0x4
	scratch_load_b128 v[2:5], off, off offset:400
	scratch_load_b128 v[6:9], off, off offset:416
	;; [unrolled: 1-line block ×3, first 2 shown]
	scratch_load_b64 v[22:23], off, off offset:448
	scratch_load_b64 v[139:140], off, off offset:392
	v_mov_b32_e32 v1, 0
	ds_load_b128 v[14:17], v1 offset:864
	ds_load_b128 v[18:21], v1 offset:880
	;; [unrolled: 1-line block ×3, first 2 shown]
	ds_load_b64 v[146:147], v1 offset:912
	s_mov_b32 s0, exec_lo
	s_wait_loadcnt_dscnt 0x403
	v_mul_f32_e32 v24, v14, v3
	s_wait_loadcnt_dscnt 0x302
	v_dual_mul_f32 v150, v20, v9 :: v_dual_mul_f32 v3, v15, v3
	v_dual_mul_f32 v148, v16, v5 :: v_dual_mul_f32 v149, v18, v7
	v_mul_f32_e32 v5, v17, v5
	s_wait_loadcnt_dscnt 0x100
	v_dual_mul_f32 v153, v146, v23 :: v_dual_fmac_f32 v24, v15, v2
	v_fma_f32 v3, v14, v2, -v3
	v_mul_f32_e32 v2, v19, v7
	v_fmac_f32_e32 v148, v17, v4
	v_fma_f32 v4, v16, v4, -v5
	v_dual_mul_f32 v151, v142, v11 :: v_dual_mul_f32 v152, v144, v13
	v_add_f32_e32 v3, 0, v3
	v_fma_f32 v2, v18, v6, -v2
	s_delay_alu instid0(VALU_DEP_3) | instskip(NEXT) | instid1(VALU_DEP_4)
	v_dual_fmac_f32 v150, v21, v8 :: v_dual_fmac_f32 v151, v143, v10
	v_fmac_f32_e32 v152, v145, v12
	s_delay_alu instid0(VALU_DEP_4) | instskip(NEXT) | instid1(VALU_DEP_1)
	v_add_f32_e32 v3, v3, v4
	v_dual_add_f32 v5, 0, v24 :: v_dual_add_f32 v2, v3, v2
	v_mul_f32_e32 v7, v21, v9
	s_delay_alu instid0(VALU_DEP_2) | instskip(SKIP_1) | instid1(VALU_DEP_3)
	v_dual_fmac_f32 v149, v19, v6 :: v_dual_add_f32 v4, v5, v148
	v_mul_f32_e32 v5, v143, v11
	v_fma_f32 v6, v20, v8, -v7
	s_delay_alu instid0(VALU_DEP_3) | instskip(SKIP_1) | instid1(VALU_DEP_4)
	v_add_f32_e32 v3, v4, v149
	v_mul_f32_e32 v4, v145, v13
	v_fma_f32 v5, v142, v10, -v5
	s_delay_alu instid0(VALU_DEP_4) | instskip(SKIP_3) | instid1(VALU_DEP_4)
	v_add_f32_e32 v2, v2, v6
	v_mul_f32_e32 v6, v147, v23
	v_add_f32_e32 v3, v3, v150
	v_fma_f32 v4, v144, v12, -v4
	v_add_f32_e32 v2, v2, v5
	s_delay_alu instid0(VALU_DEP_4) | instskip(NEXT) | instid1(VALU_DEP_2)
	v_fma_f32 v5, v146, v22, -v6
	v_dual_add_f32 v3, v3, v151 :: v_dual_add_f32 v2, v2, v4
	v_fmac_f32_e32 v153, v147, v22
	s_delay_alu instid0(VALU_DEP_2) | instskip(NEXT) | instid1(VALU_DEP_1)
	v_dual_add_f32 v3, v3, v152 :: v_dual_add_f32 v2, v2, v5
	v_add_f32_e32 v3, v3, v153
	s_wait_loadcnt 0x0
	s_delay_alu instid0(VALU_DEP_1)
	v_dual_sub_f32 v2, v139, v2 :: v_dual_sub_f32 v3, v140, v3
	scratch_store_b64 off, v[2:3], off offset:392
	v_cmpx_lt_u32_e32 48, v0
	s_cbranch_execz .LBB120_259
; %bb.258:
	scratch_load_b64 v[3:4], off, off offset:384
	v_mov_b32_e32 v2, v1
	scratch_store_b64 off, v[1:2], off offset:384
	s_wait_loadcnt 0x0
	ds_store_b64 v141, v[3:4]
.LBB120_259:
	s_wait_alu 0xfffe
	s_or_b32 exec_lo, exec_lo, s0
	s_wait_storecnt_dscnt 0x0
	s_barrier_signal -1
	s_barrier_wait -1
	global_inv scope:SCOPE_SE
	s_clause 0x4
	scratch_load_b128 v[2:5], off, off offset:392
	scratch_load_b128 v[6:9], off, off offset:408
	scratch_load_b128 v[10:13], off, off offset:424
	scratch_load_b128 v[14:17], off, off offset:440
	scratch_load_b64 v[22:23], off, off offset:384
	ds_load_2addr_b64 v[18:21], v1 offset0:107 offset1:108
	ds_load_2addr_b64 v[142:145], v1 offset0:109 offset1:110
	ds_load_2addr_b64 v[146:149], v1 offset0:111 offset1:112
	ds_load_2addr_b64 v[150:153], v1 offset0:113 offset1:114
	s_mov_b32 s0, exec_lo
	s_wait_loadcnt_dscnt 0x403
	v_dual_mul_f32 v1, v18, v3 :: v_dual_mul_f32 v24, v20, v5
	v_mul_f32_e32 v3, v19, v3
	v_mul_f32_e32 v5, v21, v5
	s_wait_loadcnt_dscnt 0x302
	v_dual_mul_f32 v139, v142, v7 :: v_dual_mul_f32 v140, v144, v9
	v_fmac_f32_e32 v24, v21, v4
	v_fma_f32 v3, v18, v2, -v3
	s_wait_loadcnt_dscnt 0x201
	v_dual_mul_f32 v154, v146, v11 :: v_dual_mul_f32 v155, v148, v13
	v_dual_fmac_f32 v1, v19, v2 :: v_dual_fmac_f32 v140, v145, v8
	v_mul_f32_e32 v2, v143, v7
	v_fma_f32 v4, v20, v4, -v5
	s_delay_alu instid0(VALU_DEP_4) | instskip(NEXT) | instid1(VALU_DEP_4)
	v_dual_add_f32 v3, 0, v3 :: v_dual_fmac_f32 v154, v147, v10
	v_add_f32_e32 v1, 0, v1
	s_delay_alu instid0(VALU_DEP_4) | instskip(SKIP_4) | instid1(VALU_DEP_3)
	v_fma_f32 v2, v142, v6, -v2
	s_wait_loadcnt_dscnt 0x100
	v_dual_mul_f32 v156, v150, v15 :: v_dual_mul_f32 v157, v152, v17
	v_add_f32_e32 v3, v3, v4
	v_dual_mul_f32 v5, v145, v9 :: v_dual_mul_f32 v4, v147, v11
	v_dual_add_f32 v1, v1, v24 :: v_dual_fmac_f32 v156, v151, v14
	s_delay_alu instid0(VALU_DEP_3) | instskip(NEXT) | instid1(VALU_DEP_3)
	v_add_f32_e32 v2, v3, v2
	v_fma_f32 v5, v144, v8, -v5
	v_fmac_f32_e32 v139, v143, v6
	v_mul_f32_e32 v3, v149, v13
	v_fma_f32 v4, v146, v10, -v4
	s_delay_alu instid0(VALU_DEP_4) | instskip(NEXT) | instid1(VALU_DEP_4)
	v_dual_fmac_f32 v157, v153, v16 :: v_dual_add_f32 v2, v2, v5
	v_add_f32_e32 v1, v1, v139
	v_mul_f32_e32 v5, v151, v15
	v_fma_f32 v3, v148, v12, -v3
	s_delay_alu instid0(VALU_DEP_4) | instskip(NEXT) | instid1(VALU_DEP_4)
	v_add_f32_e32 v2, v2, v4
	v_add_f32_e32 v1, v1, v140
	v_mul_f32_e32 v4, v153, v17
	v_fma_f32 v5, v150, v14, -v5
	s_delay_alu instid0(VALU_DEP_4) | instskip(NEXT) | instid1(VALU_DEP_3)
	v_dual_add_f32 v2, v2, v3 :: v_dual_fmac_f32 v155, v149, v12
	v_fma_f32 v3, v152, v16, -v4
	s_delay_alu instid0(VALU_DEP_2) | instskip(NEXT) | instid1(VALU_DEP_1)
	v_dual_add_f32 v2, v2, v5 :: v_dual_add_f32 v1, v1, v154
	v_add_f32_e32 v2, v2, v3
	s_delay_alu instid0(VALU_DEP_2) | instskip(NEXT) | instid1(VALU_DEP_1)
	v_add_f32_e32 v1, v1, v155
	v_add_f32_e32 v1, v1, v156
	s_delay_alu instid0(VALU_DEP_1) | instskip(SKIP_1) | instid1(VALU_DEP_1)
	v_add_f32_e32 v3, v1, v157
	s_wait_loadcnt 0x0
	v_dual_sub_f32 v1, v22, v2 :: v_dual_sub_f32 v2, v23, v3
	scratch_store_b64 off, v[1:2], off offset:384
	v_cmpx_lt_u32_e32 47, v0
	s_cbranch_execz .LBB120_261
; %bb.260:
	scratch_load_b64 v[1:2], off, off offset:376
	v_mov_b32_e32 v3, 0
	s_delay_alu instid0(VALU_DEP_1)
	v_mov_b32_e32 v4, v3
	scratch_store_b64 off, v[3:4], off offset:376
	s_wait_loadcnt 0x0
	ds_store_b64 v141, v[1:2]
.LBB120_261:
	s_wait_alu 0xfffe
	s_or_b32 exec_lo, exec_lo, s0
	s_wait_storecnt_dscnt 0x0
	s_barrier_signal -1
	s_barrier_wait -1
	global_inv scope:SCOPE_SE
	s_clause 0x5
	scratch_load_b128 v[2:5], off, off offset:384
	scratch_load_b128 v[6:9], off, off offset:400
	;; [unrolled: 1-line block ×4, first 2 shown]
	scratch_load_b64 v[22:23], off, off offset:448
	scratch_load_b64 v[139:140], off, off offset:376
	v_mov_b32_e32 v1, 0
	ds_load_b128 v[18:21], v1 offset:848
	ds_load_b128 v[142:145], v1 offset:864
	;; [unrolled: 1-line block ×4, first 2 shown]
	ds_load_b64 v[154:155], v1 offset:912
	s_mov_b32 s0, exec_lo
	s_wait_loadcnt_dscnt 0x504
	v_mul_f32_e32 v24, v18, v3
	s_wait_loadcnt_dscnt 0x302
	v_dual_mul_f32 v3, v19, v3 :: v_dual_mul_f32 v160, v148, v13
	v_dual_mul_f32 v156, v20, v5 :: v_dual_mul_f32 v157, v142, v7
	v_mul_f32_e32 v5, v21, v5
	s_delay_alu instid0(VALU_DEP_3) | instskip(SKIP_3) | instid1(VALU_DEP_3)
	v_fma_f32 v3, v18, v2, -v3
	s_wait_loadcnt_dscnt 0x100
	v_dual_mul_f32 v163, v154, v23 :: v_dual_fmac_f32 v24, v19, v2
	v_mul_f32_e32 v2, v143, v7
	v_dual_fmac_f32 v156, v21, v4 :: v_dual_add_f32 v3, 0, v3
	v_fma_f32 v4, v20, v4, -v5
	v_dual_mul_f32 v158, v144, v9 :: v_dual_mul_f32 v159, v146, v11
	s_delay_alu instid0(VALU_DEP_4) | instskip(SKIP_1) | instid1(VALU_DEP_4)
	v_fma_f32 v2, v142, v6, -v2
	v_dual_mul_f32 v161, v150, v15 :: v_dual_mul_f32 v162, v152, v17
	v_add_f32_e32 v3, v3, v4
	v_add_f32_e32 v5, 0, v24
	v_dual_fmac_f32 v158, v145, v8 :: v_dual_fmac_f32 v159, v147, v10
	v_fmac_f32_e32 v160, v149, v12
	s_delay_alu instid0(VALU_DEP_4) | instskip(NEXT) | instid1(VALU_DEP_4)
	v_dual_add_f32 v2, v3, v2 :: v_dual_mul_f32 v7, v145, v9
	v_dual_fmac_f32 v157, v143, v6 :: v_dual_add_f32 v4, v5, v156
	v_mul_f32_e32 v5, v147, v11
	v_dual_fmac_f32 v161, v151, v14 :: v_dual_fmac_f32 v162, v153, v16
	s_delay_alu instid0(VALU_DEP_4) | instskip(NEXT) | instid1(VALU_DEP_4)
	v_fma_f32 v6, v144, v8, -v7
	v_add_f32_e32 v3, v4, v157
	v_mul_f32_e32 v4, v149, v13
	v_fma_f32 v5, v146, v10, -v5
	s_delay_alu instid0(VALU_DEP_4) | instskip(SKIP_3) | instid1(VALU_DEP_4)
	v_add_f32_e32 v2, v2, v6
	v_mul_f32_e32 v6, v151, v15
	v_add_f32_e32 v3, v3, v158
	v_fma_f32 v4, v148, v12, -v4
	v_add_f32_e32 v2, v2, v5
	v_mul_f32_e32 v5, v153, v17
	s_delay_alu instid0(VALU_DEP_4) | instskip(SKIP_1) | instid1(VALU_DEP_4)
	v_add_f32_e32 v3, v3, v159
	v_fma_f32 v6, v150, v14, -v6
	v_add_f32_e32 v2, v2, v4
	v_mul_f32_e32 v4, v155, v23
	s_delay_alu instid0(VALU_DEP_4) | instskip(SKIP_1) | instid1(VALU_DEP_4)
	v_add_f32_e32 v3, v3, v160
	v_fma_f32 v5, v152, v16, -v5
	v_add_f32_e32 v2, v2, v6
	v_fmac_f32_e32 v163, v155, v22
	v_fma_f32 v4, v154, v22, -v4
	s_delay_alu instid0(VALU_DEP_3) | instskip(NEXT) | instid1(VALU_DEP_1)
	v_add_f32_e32 v2, v2, v5
	v_dual_add_f32 v3, v3, v161 :: v_dual_add_f32 v2, v2, v4
	s_delay_alu instid0(VALU_DEP_1) | instskip(NEXT) | instid1(VALU_DEP_1)
	v_add_f32_e32 v3, v3, v162
	v_add_f32_e32 v3, v3, v163
	s_wait_loadcnt 0x0
	s_delay_alu instid0(VALU_DEP_1)
	v_dual_sub_f32 v2, v139, v2 :: v_dual_sub_f32 v3, v140, v3
	scratch_store_b64 off, v[2:3], off offset:376
	v_cmpx_lt_u32_e32 46, v0
	s_cbranch_execz .LBB120_263
; %bb.262:
	scratch_load_b64 v[3:4], off, off offset:368
	v_mov_b32_e32 v2, v1
	scratch_store_b64 off, v[1:2], off offset:368
	s_wait_loadcnt 0x0
	ds_store_b64 v141, v[3:4]
.LBB120_263:
	s_wait_alu 0xfffe
	s_or_b32 exec_lo, exec_lo, s0
	s_wait_storecnt_dscnt 0x0
	s_barrier_signal -1
	s_barrier_wait -1
	global_inv scope:SCOPE_SE
	s_clause 0x5
	scratch_load_b128 v[2:5], off, off offset:376
	scratch_load_b128 v[6:9], off, off offset:392
	;; [unrolled: 1-line block ×5, first 2 shown]
	scratch_load_b64 v[22:23], off, off offset:368
	ds_load_2addr_b64 v[142:145], v1 offset0:105 offset1:106
	ds_load_2addr_b64 v[146:149], v1 offset0:107 offset1:108
	;; [unrolled: 1-line block ×5, first 2 shown]
	s_mov_b32 s0, exec_lo
	s_wait_loadcnt_dscnt 0x504
	v_dual_mul_f32 v1, v142, v3 :: v_dual_mul_f32 v24, v144, v5
	v_mul_f32_e32 v3, v143, v3
	v_mul_f32_e32 v5, v145, v5
	s_wait_loadcnt_dscnt 0x403
	v_dual_mul_f32 v139, v146, v7 :: v_dual_mul_f32 v140, v148, v9
	v_fmac_f32_e32 v24, v145, v4
	v_fma_f32 v3, v142, v2, -v3
	s_wait_loadcnt_dscnt 0x302
	v_dual_mul_f32 v162, v150, v11 :: v_dual_mul_f32 v163, v152, v13
	v_dual_fmac_f32 v1, v143, v2 :: v_dual_fmac_f32 v140, v149, v8
	v_mul_f32_e32 v2, v147, v7
	v_fma_f32 v4, v144, v4, -v5
	s_delay_alu instid0(VALU_DEP_4) | instskip(NEXT) | instid1(VALU_DEP_4)
	v_dual_add_f32 v3, 0, v3 :: v_dual_fmac_f32 v162, v151, v10
	v_add_f32_e32 v1, 0, v1
	s_delay_alu instid0(VALU_DEP_4) | instskip(SKIP_4) | instid1(VALU_DEP_3)
	v_fma_f32 v2, v146, v6, -v2
	s_wait_loadcnt_dscnt 0x201
	v_dual_mul_f32 v164, v154, v15 :: v_dual_mul_f32 v165, v156, v17
	v_add_f32_e32 v3, v3, v4
	v_dual_mul_f32 v5, v149, v9 :: v_dual_mul_f32 v4, v151, v11
	v_dual_add_f32 v1, v1, v24 :: v_dual_fmac_f32 v164, v155, v14
	s_delay_alu instid0(VALU_DEP_3) | instskip(NEXT) | instid1(VALU_DEP_3)
	v_add_f32_e32 v2, v3, v2
	v_fma_f32 v5, v148, v8, -v5
	v_fmac_f32_e32 v139, v147, v6
	v_fma_f32 v4, v150, v10, -v4
	s_wait_loadcnt_dscnt 0x100
	v_dual_mul_f32 v166, v158, v19 :: v_dual_mul_f32 v167, v160, v21
	s_delay_alu instid0(VALU_DEP_3) | instskip(NEXT) | instid1(VALU_DEP_2)
	v_dual_add_f32 v2, v2, v5 :: v_dual_add_f32 v1, v1, v139
	v_dual_mul_f32 v3, v153, v13 :: v_dual_fmac_f32 v166, v159, v18
	v_fmac_f32_e32 v165, v157, v16
	s_delay_alu instid0(VALU_DEP_3) | instskip(SKIP_1) | instid1(VALU_DEP_4)
	v_add_f32_e32 v2, v2, v4
	v_mul_f32_e32 v4, v157, v17
	v_fma_f32 v3, v152, v12, -v3
	v_add_f32_e32 v1, v1, v140
	v_fmac_f32_e32 v167, v161, v20
	s_delay_alu instid0(VALU_DEP_4) | instskip(SKIP_3) | instid1(VALU_DEP_3)
	v_fma_f32 v4, v156, v16, -v4
	v_mul_f32_e32 v5, v155, v15
	v_add_f32_e32 v2, v2, v3
	v_mul_f32_e32 v3, v159, v19
	v_fma_f32 v5, v154, v14, -v5
	v_fmac_f32_e32 v163, v153, v12
	s_delay_alu instid0(VALU_DEP_3) | instskip(NEXT) | instid1(VALU_DEP_3)
	v_fma_f32 v3, v158, v18, -v3
	v_add_f32_e32 v2, v2, v5
	s_delay_alu instid0(VALU_DEP_1) | instskip(SKIP_1) | instid1(VALU_DEP_2)
	v_dual_mul_f32 v5, v161, v21 :: v_dual_add_f32 v2, v2, v4
	v_add_f32_e32 v1, v1, v162
	v_fma_f32 v4, v160, v20, -v5
	s_delay_alu instid0(VALU_DEP_3) | instskip(NEXT) | instid1(VALU_DEP_1)
	v_add_f32_e32 v2, v2, v3
	v_dual_add_f32 v1, v1, v163 :: v_dual_add_f32 v2, v2, v4
	s_delay_alu instid0(VALU_DEP_1) | instskip(NEXT) | instid1(VALU_DEP_1)
	v_add_f32_e32 v1, v1, v164
	v_add_f32_e32 v1, v1, v165
	s_delay_alu instid0(VALU_DEP_1) | instskip(NEXT) | instid1(VALU_DEP_1)
	v_add_f32_e32 v1, v1, v166
	v_add_f32_e32 v3, v1, v167
	s_wait_loadcnt 0x0
	s_delay_alu instid0(VALU_DEP_1)
	v_dual_sub_f32 v1, v22, v2 :: v_dual_sub_f32 v2, v23, v3
	scratch_store_b64 off, v[1:2], off offset:368
	v_cmpx_lt_u32_e32 45, v0
	s_cbranch_execz .LBB120_265
; %bb.264:
	scratch_load_b64 v[1:2], off, off offset:360
	v_mov_b32_e32 v3, 0
	s_delay_alu instid0(VALU_DEP_1)
	v_mov_b32_e32 v4, v3
	scratch_store_b64 off, v[3:4], off offset:360
	s_wait_loadcnt 0x0
	ds_store_b64 v141, v[1:2]
.LBB120_265:
	s_wait_alu 0xfffe
	s_or_b32 exec_lo, exec_lo, s0
	s_wait_storecnt_dscnt 0x0
	s_barrier_signal -1
	s_barrier_wait -1
	global_inv scope:SCOPE_SE
	s_clause 0x6
	scratch_load_b128 v[2:5], off, off offset:368
	scratch_load_b128 v[6:9], off, off offset:384
	;; [unrolled: 1-line block ×5, first 2 shown]
	scratch_load_b64 v[22:23], off, off offset:448
	scratch_load_b64 v[139:140], off, off offset:360
	v_mov_b32_e32 v1, 0
	ds_load_b128 v[142:145], v1 offset:832
	ds_load_b128 v[146:149], v1 offset:848
	;; [unrolled: 1-line block ×5, first 2 shown]
	ds_load_b64 v[162:163], v1 offset:912
	s_mov_b32 s0, exec_lo
	s_wait_loadcnt_dscnt 0x605
	v_mul_f32_e32 v24, v142, v3
	v_dual_mul_f32 v3, v143, v3 :: v_dual_mul_f32 v164, v144, v5
	s_wait_loadcnt_dscnt 0x302
	v_dual_mul_f32 v165, v146, v7 :: v_dual_mul_f32 v170, v156, v17
	v_mul_f32_e32 v5, v145, v5
	s_delay_alu instid0(VALU_DEP_3) | instskip(SKIP_3) | instid1(VALU_DEP_3)
	v_fma_f32 v3, v142, v2, -v3
	s_wait_loadcnt_dscnt 0x100
	v_dual_mul_f32 v173, v162, v23 :: v_dual_fmac_f32 v24, v143, v2
	v_mul_f32_e32 v2, v147, v7
	v_dual_fmac_f32 v164, v145, v4 :: v_dual_add_f32 v3, 0, v3
	v_fma_f32 v4, v144, v4, -v5
	v_dual_mul_f32 v166, v148, v9 :: v_dual_mul_f32 v167, v150, v11
	s_delay_alu instid0(VALU_DEP_4) | instskip(SKIP_1) | instid1(VALU_DEP_4)
	v_fma_f32 v2, v146, v6, -v2
	v_dual_mul_f32 v168, v152, v13 :: v_dual_mul_f32 v169, v154, v15
	v_add_f32_e32 v3, v3, v4
	v_add_f32_e32 v5, 0, v24
	v_dual_fmac_f32 v166, v149, v8 :: v_dual_fmac_f32 v167, v151, v10
	s_delay_alu instid0(VALU_DEP_4) | instskip(NEXT) | instid1(VALU_DEP_4)
	v_fmac_f32_e32 v168, v153, v12
	v_dual_add_f32 v2, v3, v2 :: v_dual_mul_f32 v7, v149, v9
	s_delay_alu instid0(VALU_DEP_4) | instskip(SKIP_2) | instid1(VALU_DEP_4)
	v_dual_fmac_f32 v165, v147, v6 :: v_dual_add_f32 v4, v5, v164
	v_mul_f32_e32 v5, v151, v11
	v_dual_fmac_f32 v169, v155, v14 :: v_dual_fmac_f32 v170, v157, v16
	v_fma_f32 v6, v148, v8, -v7
	s_delay_alu instid0(VALU_DEP_4)
	v_add_f32_e32 v3, v4, v165
	v_mul_f32_e32 v4, v153, v13
	v_fma_f32 v5, v150, v10, -v5
	v_dual_mul_f32 v171, v158, v19 :: v_dual_mul_f32 v172, v160, v21
	v_add_f32_e32 v2, v2, v6
	v_mul_f32_e32 v6, v155, v15
	v_add_f32_e32 v3, v3, v166
	v_fma_f32 v4, v152, v12, -v4
	s_delay_alu instid0(VALU_DEP_4) | instskip(SKIP_1) | instid1(VALU_DEP_4)
	v_dual_fmac_f32 v171, v159, v18 :: v_dual_add_f32 v2, v2, v5
	v_mul_f32_e32 v5, v157, v17
	v_add_f32_e32 v3, v3, v167
	v_fma_f32 v6, v154, v14, -v6
	v_fmac_f32_e32 v172, v161, v20
	v_add_f32_e32 v2, v2, v4
	v_mul_f32_e32 v4, v159, v19
	v_add_f32_e32 v3, v3, v168
	v_fma_f32 v5, v156, v16, -v5
	s_delay_alu instid0(VALU_DEP_4) | instskip(SKIP_1) | instid1(VALU_DEP_4)
	v_add_f32_e32 v2, v2, v6
	v_mul_f32_e32 v6, v161, v21
	v_add_f32_e32 v3, v3, v169
	v_fma_f32 v4, v158, v18, -v4
	s_delay_alu instid0(VALU_DEP_4) | instskip(NEXT) | instid1(VALU_DEP_4)
	v_add_f32_e32 v2, v2, v5
	v_fma_f32 v6, v160, v20, -v6
	s_delay_alu instid0(VALU_DEP_4) | instskip(NEXT) | instid1(VALU_DEP_3)
	v_add_f32_e32 v3, v3, v170
	v_dual_mul_f32 v5, v163, v23 :: v_dual_add_f32 v2, v2, v4
	s_delay_alu instid0(VALU_DEP_2) | instskip(NEXT) | instid1(VALU_DEP_2)
	v_add_f32_e32 v3, v3, v171
	v_fma_f32 v4, v162, v22, -v5
	s_delay_alu instid0(VALU_DEP_3) | instskip(SKIP_1) | instid1(VALU_DEP_4)
	v_add_f32_e32 v2, v2, v6
	v_fmac_f32_e32 v173, v163, v22
	v_add_f32_e32 v3, v3, v172
	s_delay_alu instid0(VALU_DEP_1) | instskip(SKIP_1) | instid1(VALU_DEP_1)
	v_dual_add_f32 v2, v2, v4 :: v_dual_add_f32 v3, v3, v173
	s_wait_loadcnt 0x0
	v_dual_sub_f32 v2, v139, v2 :: v_dual_sub_f32 v3, v140, v3
	scratch_store_b64 off, v[2:3], off offset:360
	v_cmpx_lt_u32_e32 44, v0
	s_cbranch_execz .LBB120_267
; %bb.266:
	scratch_load_b64 v[3:4], off, off offset:352
	v_mov_b32_e32 v2, v1
	scratch_store_b64 off, v[1:2], off offset:352
	s_wait_loadcnt 0x0
	ds_store_b64 v141, v[3:4]
.LBB120_267:
	s_wait_alu 0xfffe
	s_or_b32 exec_lo, exec_lo, s0
	s_wait_storecnt_dscnt 0x0
	s_barrier_signal -1
	s_barrier_wait -1
	global_inv scope:SCOPE_SE
	s_clause 0x6
	scratch_load_b128 v[2:5], off, off offset:360
	scratch_load_b128 v[6:9], off, off offset:376
	;; [unrolled: 1-line block ×6, first 2 shown]
	scratch_load_b64 v[22:23], off, off offset:352
	ds_load_2addr_b64 v[146:149], v1 offset0:103 offset1:104
	ds_load_2addr_b64 v[150:153], v1 offset0:105 offset1:106
	;; [unrolled: 1-line block ×6, first 2 shown]
	s_mov_b32 s0, exec_lo
	s_wait_loadcnt_dscnt 0x605
	v_dual_mul_f32 v1, v146, v3 :: v_dual_mul_f32 v24, v148, v5
	v_mul_f32_e32 v3, v147, v3
	v_mul_f32_e32 v5, v149, v5
	s_wait_loadcnt_dscnt 0x504
	v_dual_mul_f32 v139, v150, v7 :: v_dual_mul_f32 v140, v152, v9
	v_fmac_f32_e32 v24, v149, v4
	v_fma_f32 v3, v146, v2, -v3
	s_wait_loadcnt_dscnt 0x403
	v_dual_mul_f32 v170, v154, v11 :: v_dual_mul_f32 v171, v156, v13
	v_dual_fmac_f32 v1, v147, v2 :: v_dual_fmac_f32 v140, v153, v8
	v_mul_f32_e32 v2, v151, v7
	v_fma_f32 v4, v148, v4, -v5
	s_delay_alu instid0(VALU_DEP_4) | instskip(NEXT) | instid1(VALU_DEP_4)
	v_dual_add_f32 v3, 0, v3 :: v_dual_fmac_f32 v170, v155, v10
	v_add_f32_e32 v1, 0, v1
	s_delay_alu instid0(VALU_DEP_4) | instskip(SKIP_4) | instid1(VALU_DEP_3)
	v_fma_f32 v2, v150, v6, -v2
	s_wait_loadcnt_dscnt 0x302
	v_dual_mul_f32 v172, v158, v15 :: v_dual_mul_f32 v173, v160, v17
	v_add_f32_e32 v3, v3, v4
	v_dual_mul_f32 v5, v153, v9 :: v_dual_mul_f32 v4, v155, v11
	v_dual_add_f32 v1, v1, v24 :: v_dual_fmac_f32 v172, v159, v14
	s_delay_alu instid0(VALU_DEP_3) | instskip(NEXT) | instid1(VALU_DEP_3)
	v_add_f32_e32 v2, v3, v2
	v_fma_f32 v5, v152, v8, -v5
	v_fmac_f32_e32 v139, v151, v6
	v_fma_f32 v4, v154, v10, -v4
	s_wait_loadcnt_dscnt 0x201
	v_dual_mul_f32 v174, v162, v19 :: v_dual_mul_f32 v175, v164, v21
	s_delay_alu instid0(VALU_DEP_3) | instskip(NEXT) | instid1(VALU_DEP_2)
	v_dual_add_f32 v2, v2, v5 :: v_dual_add_f32 v1, v1, v139
	v_dual_mul_f32 v3, v157, v13 :: v_dual_fmac_f32 v174, v163, v18
	s_wait_loadcnt_dscnt 0x100
	v_dual_mul_f32 v176, v166, v143 :: v_dual_mul_f32 v177, v168, v145
	s_delay_alu instid0(VALU_DEP_3)
	v_add_f32_e32 v2, v2, v4
	v_mul_f32_e32 v4, v161, v17
	v_fma_f32 v3, v156, v12, -v3
	v_add_f32_e32 v1, v1, v140
	v_fmac_f32_e32 v175, v165, v20
	v_fmac_f32_e32 v177, v169, v144
	v_fma_f32 v4, v160, v16, -v4
	v_mul_f32_e32 v5, v159, v15
	v_dual_add_f32 v2, v2, v3 :: v_dual_add_f32 v1, v1, v170
	v_fmac_f32_e32 v176, v167, v142
	s_delay_alu instid0(VALU_DEP_3) | instskip(NEXT) | instid1(VALU_DEP_1)
	v_fma_f32 v5, v158, v14, -v5
	v_dual_fmac_f32 v171, v157, v12 :: v_dual_add_f32 v2, v2, v5
	s_delay_alu instid0(VALU_DEP_1) | instskip(SKIP_1) | instid1(VALU_DEP_3)
	v_add_f32_e32 v2, v2, v4
	v_mul_f32_e32 v4, v167, v143
	v_add_f32_e32 v1, v1, v171
	s_delay_alu instid0(VALU_DEP_2) | instskip(SKIP_1) | instid1(VALU_DEP_1)
	v_fma_f32 v4, v166, v142, -v4
	v_mul_f32_e32 v5, v165, v21
	v_fma_f32 v5, v164, v20, -v5
	v_mul_f32_e32 v3, v163, v19
	s_delay_alu instid0(VALU_DEP_1) | instskip(NEXT) | instid1(VALU_DEP_1)
	v_fma_f32 v3, v162, v18, -v3
	v_dual_fmac_f32 v173, v161, v16 :: v_dual_add_f32 v2, v2, v3
	v_mul_f32_e32 v3, v169, v145
	s_delay_alu instid0(VALU_DEP_2) | instskip(NEXT) | instid1(VALU_DEP_2)
	v_add_f32_e32 v2, v2, v5
	v_fma_f32 v3, v168, v144, -v3
	s_delay_alu instid0(VALU_DEP_2) | instskip(NEXT) | instid1(VALU_DEP_1)
	v_add_f32_e32 v2, v2, v4
	v_dual_add_f32 v1, v1, v172 :: v_dual_add_f32 v2, v2, v3
	s_delay_alu instid0(VALU_DEP_1) | instskip(NEXT) | instid1(VALU_DEP_1)
	v_add_f32_e32 v1, v1, v173
	v_add_f32_e32 v1, v1, v174
	s_delay_alu instid0(VALU_DEP_1) | instskip(NEXT) | instid1(VALU_DEP_1)
	v_add_f32_e32 v1, v1, v175
	v_add_f32_e32 v1, v1, v176
	s_delay_alu instid0(VALU_DEP_1) | instskip(SKIP_1) | instid1(VALU_DEP_1)
	v_add_f32_e32 v3, v1, v177
	s_wait_loadcnt 0x0
	v_dual_sub_f32 v1, v22, v2 :: v_dual_sub_f32 v2, v23, v3
	scratch_store_b64 off, v[1:2], off offset:352
	v_cmpx_lt_u32_e32 43, v0
	s_cbranch_execz .LBB120_269
; %bb.268:
	scratch_load_b64 v[1:2], off, off offset:344
	v_mov_b32_e32 v3, 0
	s_delay_alu instid0(VALU_DEP_1)
	v_mov_b32_e32 v4, v3
	scratch_store_b64 off, v[3:4], off offset:344
	s_wait_loadcnt 0x0
	ds_store_b64 v141, v[1:2]
.LBB120_269:
	s_wait_alu 0xfffe
	s_or_b32 exec_lo, exec_lo, s0
	s_wait_storecnt_dscnt 0x0
	s_barrier_signal -1
	s_barrier_wait -1
	global_inv scope:SCOPE_SE
	s_clause 0x7
	scratch_load_b128 v[2:5], off, off offset:352
	scratch_load_b128 v[6:9], off, off offset:368
	;; [unrolled: 1-line block ×6, first 2 shown]
	scratch_load_b64 v[22:23], off, off offset:448
	scratch_load_b64 v[139:140], off, off offset:344
	v_mov_b32_e32 v1, 0
	ds_load_b128 v[146:149], v1 offset:816
	ds_load_b128 v[150:153], v1 offset:832
	;; [unrolled: 1-line block ×6, first 2 shown]
	ds_load_b64 v[170:171], v1 offset:912
	s_mov_b32 s0, exec_lo
	s_wait_loadcnt_dscnt 0x706
	v_mul_f32_e32 v24, v146, v3
	v_dual_mul_f32 v3, v147, v3 :: v_dual_mul_f32 v172, v148, v5
	s_wait_loadcnt_dscnt 0x302
	v_dual_mul_f32 v173, v150, v7 :: v_dual_mul_f32 v180, v164, v21
	v_mul_f32_e32 v5, v149, v5
	s_delay_alu instid0(VALU_DEP_3) | instskip(SKIP_3) | instid1(VALU_DEP_3)
	v_fma_f32 v3, v146, v2, -v3
	s_wait_loadcnt_dscnt 0x100
	v_dual_mul_f32 v183, v170, v23 :: v_dual_fmac_f32 v24, v147, v2
	v_mul_f32_e32 v2, v151, v7
	v_dual_fmac_f32 v172, v149, v4 :: v_dual_add_f32 v3, 0, v3
	v_fma_f32 v4, v148, v4, -v5
	v_dual_mul_f32 v174, v152, v9 :: v_dual_mul_f32 v175, v154, v11
	s_delay_alu instid0(VALU_DEP_4) | instskip(SKIP_1) | instid1(VALU_DEP_4)
	v_fma_f32 v2, v150, v6, -v2
	v_dual_mul_f32 v176, v156, v13 :: v_dual_mul_f32 v177, v158, v15
	v_add_f32_e32 v3, v3, v4
	v_add_f32_e32 v5, 0, v24
	v_dual_fmac_f32 v174, v153, v8 :: v_dual_fmac_f32 v175, v155, v10
	s_delay_alu instid0(VALU_DEP_4) | instskip(NEXT) | instid1(VALU_DEP_4)
	v_fmac_f32_e32 v176, v157, v12
	v_dual_add_f32 v2, v3, v2 :: v_dual_mul_f32 v7, v153, v9
	s_delay_alu instid0(VALU_DEP_4) | instskip(SKIP_2) | instid1(VALU_DEP_4)
	v_dual_fmac_f32 v173, v151, v6 :: v_dual_add_f32 v4, v5, v172
	v_dual_mul_f32 v5, v155, v11 :: v_dual_mul_f32 v178, v160, v17
	v_mul_f32_e32 v179, v162, v19
	v_fma_f32 v6, v152, v8, -v7
	s_delay_alu instid0(VALU_DEP_4)
	v_add_f32_e32 v3, v4, v173
	v_mul_f32_e32 v4, v157, v13
	v_fma_f32 v5, v154, v10, -v5
	v_dual_fmac_f32 v177, v159, v14 :: v_dual_fmac_f32 v178, v161, v16
	v_add_f32_e32 v2, v2, v6
	v_mul_f32_e32 v6, v159, v15
	v_add_f32_e32 v3, v3, v174
	v_fma_f32 v4, v156, v12, -v4
	v_dual_mul_f32 v181, v166, v143 :: v_dual_mul_f32 v182, v168, v145
	s_delay_alu instid0(VALU_DEP_3) | instskip(SKIP_2) | instid1(VALU_DEP_3)
	v_dual_add_f32 v2, v2, v5 :: v_dual_add_f32 v3, v3, v175
	v_mul_f32_e32 v5, v161, v17
	v_fma_f32 v6, v158, v14, -v6
	v_dual_fmac_f32 v179, v163, v18 :: v_dual_add_f32 v2, v2, v4
	s_delay_alu instid0(VALU_DEP_4) | instskip(SKIP_3) | instid1(VALU_DEP_4)
	v_add_f32_e32 v3, v3, v176
	v_mul_f32_e32 v4, v163, v19
	v_fma_f32 v5, v160, v16, -v5
	v_fmac_f32_e32 v180, v165, v20
	v_dual_add_f32 v2, v2, v6 :: v_dual_add_f32 v3, v3, v177
	v_mul_f32_e32 v6, v165, v21
	v_fma_f32 v4, v162, v18, -v4
	v_dual_fmac_f32 v181, v167, v142 :: v_dual_fmac_f32 v182, v169, v144
	s_delay_alu instid0(VALU_DEP_4) | instskip(SKIP_2) | instid1(VALU_DEP_3)
	v_dual_add_f32 v2, v2, v5 :: v_dual_add_f32 v3, v3, v178
	v_mul_f32_e32 v5, v167, v143
	v_fma_f32 v6, v164, v20, -v6
	v_dual_fmac_f32 v183, v171, v22 :: v_dual_add_f32 v2, v2, v4
	s_delay_alu instid0(VALU_DEP_4) | instskip(NEXT) | instid1(VALU_DEP_4)
	v_dual_add_f32 v3, v3, v179 :: v_dual_mul_f32 v4, v169, v145
	v_fma_f32 v5, v166, v142, -v5
	s_delay_alu instid0(VALU_DEP_2) | instskip(SKIP_1) | instid1(VALU_DEP_4)
	v_dual_add_f32 v2, v2, v6 :: v_dual_add_f32 v3, v3, v180
	v_mul_f32_e32 v6, v171, v23
	v_fma_f32 v4, v168, v144, -v4
	s_delay_alu instid0(VALU_DEP_3) | instskip(NEXT) | instid1(VALU_DEP_4)
	v_add_f32_e32 v2, v2, v5
	v_add_f32_e32 v3, v3, v181
	s_delay_alu instid0(VALU_DEP_4) | instskip(NEXT) | instid1(VALU_DEP_2)
	v_fma_f32 v5, v170, v22, -v6
	v_dual_add_f32 v2, v2, v4 :: v_dual_add_f32 v3, v3, v182
	s_delay_alu instid0(VALU_DEP_1) | instskip(SKIP_1) | instid1(VALU_DEP_1)
	v_dual_add_f32 v2, v2, v5 :: v_dual_add_f32 v3, v3, v183
	s_wait_loadcnt 0x0
	v_dual_sub_f32 v2, v139, v2 :: v_dual_sub_f32 v3, v140, v3
	scratch_store_b64 off, v[2:3], off offset:344
	v_cmpx_lt_u32_e32 42, v0
	s_cbranch_execz .LBB120_271
; %bb.270:
	scratch_load_b64 v[3:4], off, off offset:336
	v_mov_b32_e32 v2, v1
	scratch_store_b64 off, v[1:2], off offset:336
	s_wait_loadcnt 0x0
	ds_store_b64 v141, v[3:4]
.LBB120_271:
	s_wait_alu 0xfffe
	s_or_b32 exec_lo, exec_lo, s0
	s_wait_storecnt_dscnt 0x0
	s_barrier_signal -1
	s_barrier_wait -1
	global_inv scope:SCOPE_SE
	s_clause 0x7
	scratch_load_b128 v[2:5], off, off offset:344
	scratch_load_b128 v[6:9], off, off offset:360
	;; [unrolled: 1-line block ×7, first 2 shown]
	scratch_load_b64 v[22:23], off, off offset:336
	ds_load_2addr_b64 v[150:153], v1 offset0:101 offset1:102
	ds_load_2addr_b64 v[154:157], v1 offset0:103 offset1:104
	;; [unrolled: 1-line block ×7, first 2 shown]
	s_mov_b32 s0, exec_lo
	s_wait_loadcnt_dscnt 0x706
	v_dual_mul_f32 v1, v150, v3 :: v_dual_mul_f32 v24, v152, v5
	v_mul_f32_e32 v3, v151, v3
	v_mul_f32_e32 v5, v153, v5
	s_wait_loadcnt_dscnt 0x605
	v_dual_mul_f32 v139, v154, v7 :: v_dual_mul_f32 v140, v156, v9
	v_fmac_f32_e32 v24, v153, v4
	v_fma_f32 v3, v150, v2, -v3
	s_wait_loadcnt_dscnt 0x504
	v_dual_mul_f32 v178, v158, v11 :: v_dual_mul_f32 v179, v160, v13
	v_dual_fmac_f32 v1, v151, v2 :: v_dual_fmac_f32 v140, v157, v8
	v_mul_f32_e32 v2, v155, v7
	v_fma_f32 v4, v152, v4, -v5
	s_delay_alu instid0(VALU_DEP_4) | instskip(NEXT) | instid1(VALU_DEP_4)
	v_dual_add_f32 v3, 0, v3 :: v_dual_fmac_f32 v178, v159, v10
	v_add_f32_e32 v1, 0, v1
	s_delay_alu instid0(VALU_DEP_4) | instskip(SKIP_4) | instid1(VALU_DEP_3)
	v_fma_f32 v2, v154, v6, -v2
	s_wait_loadcnt_dscnt 0x403
	v_dual_mul_f32 v180, v162, v15 :: v_dual_mul_f32 v181, v164, v17
	v_add_f32_e32 v3, v3, v4
	v_dual_mul_f32 v5, v157, v9 :: v_dual_mul_f32 v4, v159, v11
	v_dual_add_f32 v1, v1, v24 :: v_dual_fmac_f32 v180, v163, v14
	s_delay_alu instid0(VALU_DEP_3) | instskip(NEXT) | instid1(VALU_DEP_3)
	v_add_f32_e32 v2, v3, v2
	v_fma_f32 v5, v156, v8, -v5
	v_fmac_f32_e32 v139, v155, v6
	v_fma_f32 v4, v158, v10, -v4
	s_wait_loadcnt_dscnt 0x302
	v_dual_mul_f32 v182, v166, v19 :: v_dual_mul_f32 v183, v168, v21
	s_delay_alu instid0(VALU_DEP_3) | instskip(NEXT) | instid1(VALU_DEP_2)
	v_dual_add_f32 v2, v2, v5 :: v_dual_add_f32 v1, v1, v139
	v_dual_mul_f32 v3, v161, v13 :: v_dual_fmac_f32 v182, v167, v18
	s_wait_loadcnt_dscnt 0x201
	v_dual_mul_f32 v184, v170, v143 :: v_dual_mul_f32 v185, v172, v145
	s_delay_alu instid0(VALU_DEP_3)
	v_add_f32_e32 v2, v2, v4
	v_mul_f32_e32 v4, v165, v17
	v_fma_f32 v3, v160, v12, -v3
	s_wait_loadcnt_dscnt 0x100
	v_dual_add_f32 v1, v1, v140 :: v_dual_mul_f32 v186, v174, v147
	v_mul_f32_e32 v187, v176, v149
	v_fma_f32 v4, v164, v16, -v4
	v_mul_f32_e32 v5, v163, v15
	s_delay_alu instid0(VALU_DEP_4) | instskip(SKIP_1) | instid1(VALU_DEP_3)
	v_dual_add_f32 v2, v2, v3 :: v_dual_add_f32 v1, v1, v178
	v_dual_fmac_f32 v184, v171, v142 :: v_dual_fmac_f32 v185, v173, v144
	v_fma_f32 v5, v162, v14, -v5
	v_dual_fmac_f32 v179, v161, v12 :: v_dual_fmac_f32 v186, v175, v146
	s_delay_alu instid0(VALU_DEP_2) | instskip(NEXT) | instid1(VALU_DEP_1)
	v_dual_fmac_f32 v187, v177, v148 :: v_dual_add_f32 v2, v2, v5
	v_add_f32_e32 v2, v2, v4
	v_mul_f32_e32 v4, v171, v143
	s_delay_alu instid0(VALU_DEP_4) | instskip(NEXT) | instid1(VALU_DEP_2)
	v_add_f32_e32 v1, v1, v179
	v_fma_f32 v4, v170, v142, -v4
	v_mul_f32_e32 v5, v169, v21
	s_delay_alu instid0(VALU_DEP_3) | instskip(NEXT) | instid1(VALU_DEP_2)
	v_add_f32_e32 v1, v1, v180
	v_fma_f32 v5, v168, v20, -v5
	v_mul_f32_e32 v3, v167, v19
	s_delay_alu instid0(VALU_DEP_1) | instskip(NEXT) | instid1(VALU_DEP_1)
	v_fma_f32 v3, v166, v18, -v3
	v_dual_fmac_f32 v181, v165, v16 :: v_dual_add_f32 v2, v2, v3
	v_mul_f32_e32 v3, v173, v145
	s_delay_alu instid0(VALU_DEP_2) | instskip(NEXT) | instid1(VALU_DEP_2)
	v_dual_add_f32 v2, v2, v5 :: v_dual_mul_f32 v5, v175, v147
	v_fma_f32 v3, v172, v144, -v3
	s_delay_alu instid0(VALU_DEP_2) | instskip(SKIP_1) | instid1(VALU_DEP_4)
	v_dual_add_f32 v2, v2, v4 :: v_dual_add_f32 v1, v1, v181
	v_mul_f32_e32 v4, v177, v149
	v_fma_f32 v5, v174, v146, -v5
	s_delay_alu instid0(VALU_DEP_3) | instskip(NEXT) | instid1(VALU_DEP_3)
	v_dual_add_f32 v2, v2, v3 :: v_dual_fmac_f32 v183, v169, v20
	v_fma_f32 v3, v176, v148, -v4
	s_delay_alu instid0(VALU_DEP_2) | instskip(NEXT) | instid1(VALU_DEP_1)
	v_dual_add_f32 v2, v2, v5 :: v_dual_add_f32 v1, v1, v182
	v_add_f32_e32 v2, v2, v3
	s_delay_alu instid0(VALU_DEP_2) | instskip(NEXT) | instid1(VALU_DEP_1)
	v_add_f32_e32 v1, v1, v183
	v_add_f32_e32 v1, v1, v184
	s_delay_alu instid0(VALU_DEP_1) | instskip(NEXT) | instid1(VALU_DEP_1)
	v_add_f32_e32 v1, v1, v185
	v_add_f32_e32 v1, v1, v186
	s_delay_alu instid0(VALU_DEP_1) | instskip(SKIP_1) | instid1(VALU_DEP_1)
	v_add_f32_e32 v3, v1, v187
	s_wait_loadcnt 0x0
	v_dual_sub_f32 v1, v22, v2 :: v_dual_sub_f32 v2, v23, v3
	scratch_store_b64 off, v[1:2], off offset:336
	v_cmpx_lt_u32_e32 41, v0
	s_cbranch_execz .LBB120_273
; %bb.272:
	scratch_load_b64 v[1:2], off, off offset:328
	v_mov_b32_e32 v3, 0
	s_delay_alu instid0(VALU_DEP_1)
	v_mov_b32_e32 v4, v3
	scratch_store_b64 off, v[3:4], off offset:328
	s_wait_loadcnt 0x0
	ds_store_b64 v141, v[1:2]
.LBB120_273:
	s_wait_alu 0xfffe
	s_or_b32 exec_lo, exec_lo, s0
	s_wait_storecnt_dscnt 0x0
	s_barrier_signal -1
	s_barrier_wait -1
	global_inv scope:SCOPE_SE
	s_clause 0x8
	scratch_load_b128 v[2:5], off, off offset:336
	scratch_load_b128 v[6:9], off, off offset:352
	;; [unrolled: 1-line block ×7, first 2 shown]
	scratch_load_b64 v[22:23], off, off offset:448
	scratch_load_b64 v[139:140], off, off offset:328
	v_mov_b32_e32 v1, 0
	ds_load_b128 v[150:153], v1 offset:800
	ds_load_b128 v[154:157], v1 offset:816
	;; [unrolled: 1-line block ×7, first 2 shown]
	ds_load_b64 v[178:179], v1 offset:912
	s_mov_b32 s0, exec_lo
	s_wait_loadcnt_dscnt 0x807
	v_mul_f32_e32 v24, v150, v3
	v_dual_mul_f32 v3, v151, v3 :: v_dual_mul_f32 v180, v152, v5
	s_wait_loadcnt_dscnt 0x706
	v_mul_f32_e32 v181, v154, v7
	v_mul_f32_e32 v5, v153, v5
	s_wait_loadcnt_dscnt 0x302
	v_mul_f32_e32 v190, v172, v145
	v_fma_f32 v3, v150, v2, -v3
	s_wait_loadcnt_dscnt 0x100
	v_dual_mul_f32 v193, v178, v23 :: v_dual_fmac_f32 v24, v151, v2
	v_mul_f32_e32 v2, v155, v7
	s_delay_alu instid0(VALU_DEP_3) | instskip(SKIP_2) | instid1(VALU_DEP_4)
	v_dual_fmac_f32 v180, v153, v4 :: v_dual_add_f32 v3, 0, v3
	v_fma_f32 v4, v152, v4, -v5
	v_dual_mul_f32 v182, v156, v9 :: v_dual_mul_f32 v183, v158, v11
	v_fma_f32 v2, v154, v6, -v2
	v_dual_mul_f32 v184, v160, v13 :: v_dual_mul_f32 v185, v162, v15
	s_delay_alu instid0(VALU_DEP_4) | instskip(SKIP_1) | instid1(VALU_DEP_3)
	v_add_f32_e32 v3, v3, v4
	v_add_f32_e32 v5, 0, v24
	v_dual_fmac_f32 v183, v159, v10 :: v_dual_fmac_f32 v184, v161, v12
	v_fmac_f32_e32 v182, v157, v8
	s_delay_alu instid0(VALU_DEP_4) | instskip(NEXT) | instid1(VALU_DEP_4)
	v_dual_add_f32 v2, v3, v2 :: v_dual_mul_f32 v7, v157, v9
	v_dual_fmac_f32 v181, v155, v6 :: v_dual_add_f32 v4, v5, v180
	v_dual_mul_f32 v5, v159, v11 :: v_dual_mul_f32 v186, v164, v17
	v_mul_f32_e32 v187, v166, v19
	s_delay_alu instid0(VALU_DEP_4) | instskip(NEXT) | instid1(VALU_DEP_4)
	v_fma_f32 v6, v156, v8, -v7
	v_add_f32_e32 v3, v4, v181
	v_mul_f32_e32 v4, v161, v13
	v_fma_f32 v5, v158, v10, -v5
	v_dual_fmac_f32 v185, v163, v14 :: v_dual_fmac_f32 v186, v165, v16
	v_add_f32_e32 v2, v2, v6
	v_mul_f32_e32 v6, v163, v15
	v_add_f32_e32 v3, v3, v182
	v_fma_f32 v4, v160, v12, -v4
	v_dual_mul_f32 v188, v168, v21 :: v_dual_mul_f32 v189, v170, v143
	s_delay_alu instid0(VALU_DEP_3) | instskip(SKIP_2) | instid1(VALU_DEP_3)
	v_dual_add_f32 v2, v2, v5 :: v_dual_add_f32 v3, v3, v183
	v_mul_f32_e32 v5, v165, v17
	v_fma_f32 v6, v162, v14, -v6
	v_dual_fmac_f32 v187, v167, v18 :: v_dual_add_f32 v2, v2, v4
	s_delay_alu instid0(VALU_DEP_4) | instskip(SKIP_3) | instid1(VALU_DEP_4)
	v_add_f32_e32 v3, v3, v184
	v_mul_f32_e32 v4, v167, v19
	v_fma_f32 v5, v164, v16, -v5
	v_fmac_f32_e32 v188, v169, v20
	v_dual_add_f32 v2, v2, v6 :: v_dual_add_f32 v3, v3, v185
	v_mul_f32_e32 v6, v169, v21
	v_fma_f32 v4, v166, v18, -v4
	v_dual_mul_f32 v191, v174, v147 :: v_dual_mul_f32 v192, v176, v149
	s_delay_alu instid0(VALU_DEP_4) | instskip(SKIP_3) | instid1(VALU_DEP_4)
	v_dual_add_f32 v2, v2, v5 :: v_dual_add_f32 v3, v3, v186
	v_mul_f32_e32 v5, v171, v143
	v_fma_f32 v6, v168, v20, -v6
	v_dual_fmac_f32 v189, v171, v142 :: v_dual_fmac_f32 v190, v173, v144
	v_dual_add_f32 v2, v2, v4 :: v_dual_add_f32 v3, v3, v187
	v_mul_f32_e32 v4, v173, v145
	v_fma_f32 v5, v170, v142, -v5
	v_fmac_f32_e32 v191, v175, v146
	s_delay_alu instid0(VALU_DEP_4) | instskip(SKIP_3) | instid1(VALU_DEP_4)
	v_dual_add_f32 v2, v2, v6 :: v_dual_add_f32 v3, v3, v188
	v_mul_f32_e32 v6, v175, v147
	v_fma_f32 v4, v172, v144, -v4
	v_fmac_f32_e32 v192, v177, v148
	v_add_f32_e32 v2, v2, v5
	v_add_f32_e32 v3, v3, v189
	v_mul_f32_e32 v5, v177, v149
	v_fma_f32 v6, v174, v146, -v6
	s_delay_alu instid0(VALU_DEP_3) | instskip(SKIP_1) | instid1(VALU_DEP_4)
	v_dual_add_f32 v2, v2, v4 :: v_dual_add_f32 v3, v3, v190
	v_mul_f32_e32 v4, v179, v23
	v_fma_f32 v5, v176, v148, -v5
	s_delay_alu instid0(VALU_DEP_3) | instskip(SKIP_1) | instid1(VALU_DEP_4)
	v_dual_add_f32 v2, v2, v6 :: v_dual_add_f32 v3, v3, v191
	v_fmac_f32_e32 v193, v179, v22
	v_fma_f32 v4, v178, v22, -v4
	s_delay_alu instid0(VALU_DEP_3) | instskip(NEXT) | instid1(VALU_DEP_1)
	v_dual_add_f32 v2, v2, v5 :: v_dual_add_f32 v3, v3, v192
	v_dual_add_f32 v2, v2, v4 :: v_dual_add_f32 v3, v3, v193
	s_wait_loadcnt 0x0
	s_delay_alu instid0(VALU_DEP_1)
	v_dual_sub_f32 v2, v139, v2 :: v_dual_sub_f32 v3, v140, v3
	scratch_store_b64 off, v[2:3], off offset:328
	v_cmpx_lt_u32_e32 40, v0
	s_cbranch_execz .LBB120_275
; %bb.274:
	scratch_load_b64 v[3:4], off, off offset:320
	v_mov_b32_e32 v2, v1
	scratch_store_b64 off, v[1:2], off offset:320
	s_wait_loadcnt 0x0
	ds_store_b64 v141, v[3:4]
.LBB120_275:
	s_wait_alu 0xfffe
	s_or_b32 exec_lo, exec_lo, s0
	s_wait_storecnt_dscnt 0x0
	s_barrier_signal -1
	s_barrier_wait -1
	global_inv scope:SCOPE_SE
	s_clause 0x8
	scratch_load_b128 v[2:5], off, off offset:328
	scratch_load_b128 v[6:9], off, off offset:344
	;; [unrolled: 1-line block ×8, first 2 shown]
	scratch_load_b64 v[22:23], off, off offset:320
	ds_load_2addr_b64 v[154:157], v1 offset0:99 offset1:100
	ds_load_2addr_b64 v[158:161], v1 offset0:101 offset1:102
	;; [unrolled: 1-line block ×8, first 2 shown]
	s_mov_b32 s0, exec_lo
	s_wait_loadcnt_dscnt 0x807
	v_dual_mul_f32 v1, v154, v3 :: v_dual_mul_f32 v24, v156, v5
	v_mul_f32_e32 v3, v155, v3
	v_mul_f32_e32 v5, v157, v5
	s_wait_loadcnt_dscnt 0x706
	v_dual_mul_f32 v139, v158, v7 :: v_dual_mul_f32 v140, v160, v9
	v_fmac_f32_e32 v24, v157, v4
	v_fma_f32 v3, v154, v2, -v3
	s_wait_loadcnt_dscnt 0x605
	v_dual_mul_f32 v186, v162, v11 :: v_dual_mul_f32 v187, v164, v13
	v_dual_fmac_f32 v1, v155, v2 :: v_dual_fmac_f32 v140, v161, v8
	v_mul_f32_e32 v2, v159, v7
	v_fma_f32 v4, v156, v4, -v5
	s_delay_alu instid0(VALU_DEP_4) | instskip(NEXT) | instid1(VALU_DEP_4)
	v_dual_add_f32 v3, 0, v3 :: v_dual_fmac_f32 v186, v163, v10
	v_add_f32_e32 v1, 0, v1
	s_delay_alu instid0(VALU_DEP_4) | instskip(SKIP_4) | instid1(VALU_DEP_3)
	v_fma_f32 v2, v158, v6, -v2
	s_wait_loadcnt_dscnt 0x504
	v_dual_mul_f32 v188, v166, v15 :: v_dual_mul_f32 v189, v168, v17
	v_add_f32_e32 v3, v3, v4
	v_dual_mul_f32 v5, v161, v9 :: v_dual_mul_f32 v4, v163, v11
	v_dual_add_f32 v1, v1, v24 :: v_dual_fmac_f32 v188, v167, v14
	s_delay_alu instid0(VALU_DEP_3) | instskip(NEXT) | instid1(VALU_DEP_3)
	v_add_f32_e32 v2, v3, v2
	v_fma_f32 v5, v160, v8, -v5
	v_fmac_f32_e32 v139, v159, v6
	v_fma_f32 v4, v162, v10, -v4
	s_wait_loadcnt_dscnt 0x403
	v_dual_mul_f32 v190, v170, v19 :: v_dual_mul_f32 v191, v172, v21
	s_delay_alu instid0(VALU_DEP_3) | instskip(NEXT) | instid1(VALU_DEP_2)
	v_dual_add_f32 v2, v2, v5 :: v_dual_add_f32 v1, v1, v139
	v_dual_mul_f32 v3, v165, v13 :: v_dual_fmac_f32 v190, v171, v18
	s_wait_loadcnt_dscnt 0x302
	v_dual_mul_f32 v192, v174, v143 :: v_dual_mul_f32 v193, v176, v145
	s_delay_alu instid0(VALU_DEP_3)
	v_add_f32_e32 v2, v2, v4
	v_mul_f32_e32 v4, v169, v17
	v_fma_f32 v3, v164, v12, -v3
	s_wait_loadcnt_dscnt 0x100
	v_dual_add_f32 v1, v1, v140 :: v_dual_mul_f32 v196, v182, v151
	v_mul_f32_e32 v197, v184, v153
	v_fma_f32 v4, v168, v16, -v4
	v_mul_f32_e32 v5, v167, v15
	s_delay_alu instid0(VALU_DEP_4) | instskip(SKIP_1) | instid1(VALU_DEP_3)
	v_dual_add_f32 v2, v2, v3 :: v_dual_add_f32 v1, v1, v186
	v_dual_mul_f32 v194, v178, v147 :: v_dual_mul_f32 v195, v180, v149
	v_fma_f32 v5, v166, v14, -v5
	v_dual_fmac_f32 v187, v165, v12 :: v_dual_fmac_f32 v192, v175, v142
	s_delay_alu instid0(VALU_DEP_3) | instskip(NEXT) | instid1(VALU_DEP_3)
	v_dual_fmac_f32 v194, v179, v146 :: v_dual_fmac_f32 v195, v181, v148
	v_dual_add_f32 v2, v2, v5 :: v_dual_fmac_f32 v197, v185, v152
	v_fmac_f32_e32 v196, v183, v150
	s_delay_alu instid0(VALU_DEP_2) | instskip(SKIP_2) | instid1(VALU_DEP_2)
	v_add_f32_e32 v2, v2, v4
	v_mul_f32_e32 v4, v175, v143
	v_add_f32_e32 v1, v1, v187
	v_fma_f32 v4, v174, v142, -v4
	v_mul_f32_e32 v5, v173, v21
	s_delay_alu instid0(VALU_DEP_3) | instskip(NEXT) | instid1(VALU_DEP_2)
	v_add_f32_e32 v1, v1, v188
	v_fma_f32 v5, v172, v20, -v5
	v_mul_f32_e32 v3, v171, v19
	s_delay_alu instid0(VALU_DEP_1) | instskip(NEXT) | instid1(VALU_DEP_1)
	v_fma_f32 v3, v170, v18, -v3
	v_dual_fmac_f32 v189, v169, v16 :: v_dual_add_f32 v2, v2, v3
	v_mul_f32_e32 v3, v177, v145
	s_delay_alu instid0(VALU_DEP_2) | instskip(NEXT) | instid1(VALU_DEP_2)
	v_dual_add_f32 v2, v2, v5 :: v_dual_mul_f32 v5, v179, v147
	v_fma_f32 v3, v176, v144, -v3
	s_delay_alu instid0(VALU_DEP_2) | instskip(SKIP_1) | instid1(VALU_DEP_4)
	v_dual_add_f32 v2, v2, v4 :: v_dual_add_f32 v1, v1, v189
	v_mul_f32_e32 v4, v181, v149
	v_fma_f32 v5, v178, v146, -v5
	s_delay_alu instid0(VALU_DEP_3) | instskip(SKIP_1) | instid1(VALU_DEP_4)
	v_dual_add_f32 v2, v2, v3 :: v_dual_fmac_f32 v191, v173, v20
	v_mul_f32_e32 v3, v183, v151
	v_fma_f32 v4, v180, v148, -v4
	s_delay_alu instid0(VALU_DEP_3) | instskip(SKIP_1) | instid1(VALU_DEP_4)
	v_dual_add_f32 v2, v2, v5 :: v_dual_add_f32 v1, v1, v190
	v_mul_f32_e32 v5, v185, v153
	v_fma_f32 v3, v182, v150, -v3
	s_delay_alu instid0(VALU_DEP_3) | instskip(SKIP_1) | instid1(VALU_DEP_4)
	v_add_f32_e32 v2, v2, v4
	v_fmac_f32_e32 v193, v177, v144
	v_fma_f32 v4, v184, v152, -v5
	s_delay_alu instid0(VALU_DEP_3) | instskip(NEXT) | instid1(VALU_DEP_1)
	v_add_f32_e32 v2, v2, v3
	v_dual_add_f32 v1, v1, v191 :: v_dual_add_f32 v2, v2, v4
	s_delay_alu instid0(VALU_DEP_1) | instskip(NEXT) | instid1(VALU_DEP_1)
	v_add_f32_e32 v1, v1, v192
	v_add_f32_e32 v1, v1, v193
	s_delay_alu instid0(VALU_DEP_1) | instskip(NEXT) | instid1(VALU_DEP_1)
	v_add_f32_e32 v1, v1, v194
	v_add_f32_e32 v1, v1, v195
	;; [unrolled: 3-line block ×3, first 2 shown]
	s_wait_loadcnt 0x0
	s_delay_alu instid0(VALU_DEP_1)
	v_dual_sub_f32 v1, v22, v2 :: v_dual_sub_f32 v2, v23, v3
	scratch_store_b64 off, v[1:2], off offset:320
	v_cmpx_lt_u32_e32 39, v0
	s_cbranch_execz .LBB120_277
; %bb.276:
	scratch_load_b64 v[1:2], off, off offset:312
	v_mov_b32_e32 v3, 0
	s_delay_alu instid0(VALU_DEP_1)
	v_mov_b32_e32 v4, v3
	scratch_store_b64 off, v[3:4], off offset:312
	s_wait_loadcnt 0x0
	ds_store_b64 v141, v[1:2]
.LBB120_277:
	s_wait_alu 0xfffe
	s_or_b32 exec_lo, exec_lo, s0
	s_wait_storecnt_dscnt 0x0
	s_barrier_signal -1
	s_barrier_wait -1
	global_inv scope:SCOPE_SE
	s_clause 0x9
	scratch_load_b128 v[2:5], off, off offset:320
	scratch_load_b128 v[6:9], off, off offset:336
	;; [unrolled: 1-line block ×8, first 2 shown]
	scratch_load_b64 v[22:23], off, off offset:448
	scratch_load_b64 v[139:140], off, off offset:312
	v_mov_b32_e32 v1, 0
	ds_load_b128 v[154:157], v1 offset:784
	ds_load_b128 v[158:161], v1 offset:800
	;; [unrolled: 1-line block ×8, first 2 shown]
	ds_load_b64 v[186:187], v1 offset:912
	s_mov_b32 s0, exec_lo
	s_wait_loadcnt_dscnt 0x908
	v_mul_f32_e32 v24, v154, v3
	s_wait_loadcnt_dscnt 0x807
	v_dual_mul_f32 v188, v156, v5 :: v_dual_mul_f32 v189, v158, v7
	v_mul_f32_e32 v3, v155, v3
	s_delay_alu instid0(VALU_DEP_3)
	v_dual_mul_f32 v5, v157, v5 :: v_dual_fmac_f32 v24, v155, v2
	s_wait_loadcnt_dscnt 0x302
	v_mul_f32_e32 v200, v180, v149
	v_dual_mul_f32 v190, v160, v9 :: v_dual_mul_f32 v191, v162, v11
	v_fma_f32 v3, v154, v2, -v3
	s_wait_loadcnt_dscnt 0x100
	v_mul_f32_e32 v203, v186, v23
	v_mul_f32_e32 v2, v159, v7
	v_fmac_f32_e32 v188, v157, v4
	v_fma_f32 v4, v156, v4, -v5
	v_dual_add_f32 v3, 0, v3 :: v_dual_mul_f32 v192, v164, v13
	v_mul_f32_e32 v193, v166, v15
	v_fma_f32 v2, v158, v6, -v2
	v_fmac_f32_e32 v191, v163, v10
	s_delay_alu instid0(VALU_DEP_4)
	v_add_f32_e32 v3, v3, v4
	v_add_f32_e32 v5, 0, v24
	v_fmac_f32_e32 v192, v165, v12
	v_fmac_f32_e32 v190, v161, v8
	v_dual_mul_f32 v194, v168, v17 :: v_dual_mul_f32 v195, v170, v19
	v_dual_add_f32 v2, v3, v2 :: v_dual_mul_f32 v7, v161, v9
	v_dual_fmac_f32 v189, v159, v6 :: v_dual_add_f32 v4, v5, v188
	v_mul_f32_e32 v5, v163, v11
	s_delay_alu instid0(VALU_DEP_4) | instskip(NEXT) | instid1(VALU_DEP_4)
	v_dual_fmac_f32 v193, v167, v14 :: v_dual_fmac_f32 v194, v169, v16
	v_fma_f32 v6, v160, v8, -v7
	s_delay_alu instid0(VALU_DEP_4)
	v_add_f32_e32 v3, v4, v189
	v_mul_f32_e32 v4, v165, v13
	v_fma_f32 v5, v162, v10, -v5
	v_dual_mul_f32 v196, v172, v21 :: v_dual_mul_f32 v197, v174, v143
	v_add_f32_e32 v2, v2, v6
	v_mul_f32_e32 v6, v167, v15
	v_add_f32_e32 v3, v3, v190
	v_fma_f32 v4, v164, v12, -v4
	v_dual_mul_f32 v198, v176, v145 :: v_dual_mul_f32 v199, v178, v147
	s_delay_alu instid0(VALU_DEP_3) | instskip(SKIP_2) | instid1(VALU_DEP_3)
	v_dual_add_f32 v2, v2, v5 :: v_dual_add_f32 v3, v3, v191
	v_mul_f32_e32 v5, v169, v17
	v_fma_f32 v6, v166, v14, -v6
	v_dual_fmac_f32 v195, v171, v18 :: v_dual_add_f32 v2, v2, v4
	s_delay_alu instid0(VALU_DEP_4) | instskip(SKIP_3) | instid1(VALU_DEP_4)
	v_add_f32_e32 v3, v3, v192
	v_mul_f32_e32 v4, v171, v19
	v_fma_f32 v5, v168, v16, -v5
	v_fmac_f32_e32 v196, v173, v20
	v_dual_add_f32 v2, v2, v6 :: v_dual_add_f32 v3, v3, v193
	v_mul_f32_e32 v6, v173, v21
	v_fma_f32 v4, v170, v18, -v4
	v_dual_fmac_f32 v197, v175, v142 :: v_dual_fmac_f32 v198, v177, v144
	s_delay_alu instid0(VALU_DEP_4) | instskip(SKIP_3) | instid1(VALU_DEP_4)
	v_dual_add_f32 v2, v2, v5 :: v_dual_add_f32 v3, v3, v194
	v_mul_f32_e32 v5, v175, v143
	v_fma_f32 v6, v172, v20, -v6
	v_dual_mul_f32 v201, v182, v151 :: v_dual_mul_f32 v202, v184, v153
	v_dual_add_f32 v2, v2, v4 :: v_dual_add_f32 v3, v3, v195
	v_mul_f32_e32 v4, v177, v145
	v_fma_f32 v5, v174, v142, -v5
	v_fmac_f32_e32 v199, v179, v146
	s_delay_alu instid0(VALU_DEP_4) | instskip(SKIP_3) | instid1(VALU_DEP_4)
	v_dual_add_f32 v2, v2, v6 :: v_dual_add_f32 v3, v3, v196
	v_mul_f32_e32 v6, v179, v147
	v_fma_f32 v4, v176, v144, -v4
	v_fmac_f32_e32 v200, v181, v148
	v_add_f32_e32 v2, v2, v5
	v_add_f32_e32 v3, v3, v197
	v_mul_f32_e32 v5, v181, v149
	v_fma_f32 v6, v178, v146, -v6
	s_delay_alu instid0(VALU_DEP_4) | instskip(NEXT) | instid1(VALU_DEP_4)
	v_dual_fmac_f32 v201, v183, v150 :: v_dual_add_f32 v2, v2, v4
	v_add_f32_e32 v3, v3, v198
	v_mul_f32_e32 v4, v183, v151
	v_fma_f32 v5, v180, v148, -v5
	v_fmac_f32_e32 v202, v185, v152
	s_delay_alu instid0(VALU_DEP_4) | instskip(SKIP_2) | instid1(VALU_DEP_3)
	v_dual_add_f32 v2, v2, v6 :: v_dual_add_f32 v3, v3, v199
	v_mul_f32_e32 v6, v185, v153
	v_fma_f32 v4, v182, v150, -v4
	v_dual_add_f32 v2, v2, v5 :: v_dual_add_f32 v3, v3, v200
	v_mul_f32_e32 v5, v187, v23
	s_delay_alu instid0(VALU_DEP_4) | instskip(NEXT) | instid1(VALU_DEP_3)
	v_fma_f32 v6, v184, v152, -v6
	v_dual_add_f32 v2, v2, v4 :: v_dual_add_f32 v3, v3, v201
	s_delay_alu instid0(VALU_DEP_3) | instskip(NEXT) | instid1(VALU_DEP_2)
	v_fma_f32 v4, v186, v22, -v5
	v_add_f32_e32 v3, v3, v202
	s_delay_alu instid0(VALU_DEP_3) | instskip(NEXT) | instid1(VALU_DEP_1)
	v_add_f32_e32 v2, v2, v6
	v_dual_fmac_f32 v203, v187, v22 :: v_dual_add_f32 v2, v2, v4
	s_delay_alu instid0(VALU_DEP_1) | instskip(SKIP_1) | instid1(VALU_DEP_1)
	v_add_f32_e32 v3, v3, v203
	s_wait_loadcnt 0x0
	v_dual_sub_f32 v2, v139, v2 :: v_dual_sub_f32 v3, v140, v3
	scratch_store_b64 off, v[2:3], off offset:312
	v_cmpx_lt_u32_e32 38, v0
	s_cbranch_execz .LBB120_279
; %bb.278:
	scratch_load_b64 v[3:4], off, off offset:304
	v_mov_b32_e32 v2, v1
	scratch_store_b64 off, v[1:2], off offset:304
	s_wait_loadcnt 0x0
	ds_store_b64 v141, v[3:4]
.LBB120_279:
	s_wait_alu 0xfffe
	s_or_b32 exec_lo, exec_lo, s0
	s_wait_storecnt_dscnt 0x0
	s_barrier_signal -1
	s_barrier_wait -1
	global_inv scope:SCOPE_SE
	s_clause 0x9
	scratch_load_b128 v[2:5], off, off offset:312
	scratch_load_b128 v[6:9], off, off offset:328
	;; [unrolled: 1-line block ×9, first 2 shown]
	scratch_load_b64 v[22:23], off, off offset:304
	ds_load_2addr_b64 v[158:161], v1 offset0:97 offset1:98
	ds_load_2addr_b64 v[162:165], v1 offset0:99 offset1:100
	;; [unrolled: 1-line block ×9, first 2 shown]
	s_mov_b32 s0, exec_lo
	s_wait_loadcnt_dscnt 0x908
	v_dual_mul_f32 v1, v158, v3 :: v_dual_mul_f32 v24, v160, v5
	v_mul_f32_e32 v3, v159, v3
	v_mul_f32_e32 v5, v161, v5
	s_wait_loadcnt_dscnt 0x807
	v_dual_mul_f32 v139, v162, v7 :: v_dual_mul_f32 v140, v164, v9
	v_fmac_f32_e32 v24, v161, v4
	v_fma_f32 v3, v158, v2, -v3
	s_wait_loadcnt_dscnt 0x706
	v_dual_mul_f32 v194, v166, v11 :: v_dual_mul_f32 v195, v168, v13
	v_dual_fmac_f32 v1, v159, v2 :: v_dual_fmac_f32 v140, v165, v8
	v_mul_f32_e32 v2, v163, v7
	v_fma_f32 v4, v160, v4, -v5
	s_delay_alu instid0(VALU_DEP_4) | instskip(NEXT) | instid1(VALU_DEP_4)
	v_dual_add_f32 v3, 0, v3 :: v_dual_fmac_f32 v194, v167, v10
	v_add_f32_e32 v1, 0, v1
	s_delay_alu instid0(VALU_DEP_4) | instskip(SKIP_4) | instid1(VALU_DEP_3)
	v_fma_f32 v2, v162, v6, -v2
	s_wait_loadcnt_dscnt 0x605
	v_dual_mul_f32 v196, v170, v15 :: v_dual_mul_f32 v197, v172, v17
	v_add_f32_e32 v3, v3, v4
	v_dual_mul_f32 v5, v165, v9 :: v_dual_mul_f32 v4, v167, v11
	v_dual_add_f32 v1, v1, v24 :: v_dual_fmac_f32 v196, v171, v14
	s_delay_alu instid0(VALU_DEP_3) | instskip(NEXT) | instid1(VALU_DEP_3)
	v_add_f32_e32 v2, v3, v2
	v_fma_f32 v5, v164, v8, -v5
	v_fmac_f32_e32 v139, v163, v6
	v_fma_f32 v4, v166, v10, -v4
	s_wait_loadcnt_dscnt 0x504
	v_dual_mul_f32 v198, v174, v19 :: v_dual_mul_f32 v199, v176, v21
	s_delay_alu instid0(VALU_DEP_3) | instskip(NEXT) | instid1(VALU_DEP_2)
	v_dual_add_f32 v2, v2, v5 :: v_dual_add_f32 v1, v1, v139
	v_dual_mul_f32 v3, v169, v13 :: v_dual_fmac_f32 v198, v175, v18
	s_wait_loadcnt_dscnt 0x403
	v_dual_mul_f32 v200, v178, v143 :: v_dual_mul_f32 v201, v180, v145
	s_delay_alu instid0(VALU_DEP_3)
	v_add_f32_e32 v2, v2, v4
	v_mul_f32_e32 v4, v173, v17
	v_fma_f32 v3, v168, v12, -v3
	s_wait_loadcnt_dscnt 0x201
	v_dual_add_f32 v1, v1, v140 :: v_dual_mul_f32 v204, v186, v151
	v_mul_f32_e32 v205, v188, v153
	v_fma_f32 v4, v172, v16, -v4
	v_mul_f32_e32 v5, v171, v15
	s_delay_alu instid0(VALU_DEP_4) | instskip(SKIP_1) | instid1(VALU_DEP_3)
	v_dual_add_f32 v2, v2, v3 :: v_dual_add_f32 v1, v1, v194
	v_dual_mul_f32 v202, v182, v147 :: v_dual_mul_f32 v203, v184, v149
	v_fma_f32 v5, v170, v14, -v5
	v_dual_fmac_f32 v195, v169, v12 :: v_dual_fmac_f32 v200, v179, v142
	s_delay_alu instid0(VALU_DEP_3) | instskip(SKIP_4) | instid1(VALU_DEP_3)
	v_fmac_f32_e32 v202, v183, v146
	s_wait_loadcnt_dscnt 0x100
	v_dual_mul_f32 v206, v190, v155 :: v_dual_mul_f32 v207, v192, v157
	v_dual_add_f32 v2, v2, v5 :: v_dual_fmac_f32 v201, v181, v144
	v_dual_fmac_f32 v205, v189, v152 :: v_dual_fmac_f32 v204, v187, v150
	v_fmac_f32_e32 v207, v193, v156
	s_delay_alu instid0(VALU_DEP_3) | instskip(SKIP_2) | instid1(VALU_DEP_2)
	v_add_f32_e32 v2, v2, v4
	v_mul_f32_e32 v4, v179, v143
	v_dual_add_f32 v1, v1, v195 :: v_dual_fmac_f32 v206, v191, v154
	v_fma_f32 v4, v178, v142, -v4
	v_mul_f32_e32 v5, v177, v21
	s_delay_alu instid0(VALU_DEP_3) | instskip(NEXT) | instid1(VALU_DEP_2)
	v_add_f32_e32 v1, v1, v196
	v_fma_f32 v5, v176, v20, -v5
	v_mul_f32_e32 v3, v175, v19
	s_delay_alu instid0(VALU_DEP_1) | instskip(NEXT) | instid1(VALU_DEP_1)
	v_fma_f32 v3, v174, v18, -v3
	v_dual_fmac_f32 v197, v173, v16 :: v_dual_add_f32 v2, v2, v3
	v_mul_f32_e32 v3, v181, v145
	s_delay_alu instid0(VALU_DEP_2) | instskip(NEXT) | instid1(VALU_DEP_2)
	v_dual_add_f32 v2, v2, v5 :: v_dual_mul_f32 v5, v183, v147
	v_fma_f32 v3, v180, v144, -v3
	s_delay_alu instid0(VALU_DEP_2) | instskip(SKIP_1) | instid1(VALU_DEP_4)
	v_dual_add_f32 v2, v2, v4 :: v_dual_add_f32 v1, v1, v197
	v_mul_f32_e32 v4, v185, v149
	v_fma_f32 v5, v182, v146, -v5
	s_delay_alu instid0(VALU_DEP_3) | instskip(NEXT) | instid1(VALU_DEP_3)
	v_dual_add_f32 v2, v2, v3 :: v_dual_fmac_f32 v199, v177, v20
	v_fma_f32 v4, v184, v148, -v4
	s_delay_alu instid0(VALU_DEP_2) | instskip(SKIP_1) | instid1(VALU_DEP_2)
	v_add_f32_e32 v2, v2, v5
	v_mul_f32_e32 v5, v189, v153
	v_dual_add_f32 v1, v1, v198 :: v_dual_add_f32 v2, v2, v4
	s_delay_alu instid0(VALU_DEP_2) | instskip(SKIP_1) | instid1(VALU_DEP_3)
	v_fma_f32 v5, v188, v152, -v5
	v_mul_f32_e32 v3, v187, v151
	v_add_f32_e32 v1, v1, v199
	v_mul_f32_e32 v4, v191, v155
	s_delay_alu instid0(VALU_DEP_3) | instskip(NEXT) | instid1(VALU_DEP_3)
	v_fma_f32 v3, v186, v150, -v3
	v_add_f32_e32 v1, v1, v200
	s_delay_alu instid0(VALU_DEP_3) | instskip(NEXT) | instid1(VALU_DEP_3)
	v_fma_f32 v4, v190, v154, -v4
	v_dual_add_f32 v2, v2, v3 :: v_dual_mul_f32 v3, v193, v157
	s_delay_alu instid0(VALU_DEP_1) | instskip(NEXT) | instid1(VALU_DEP_4)
	v_add_f32_e32 v2, v2, v5
	v_add_f32_e32 v1, v1, v201
	s_delay_alu instid0(VALU_DEP_3) | instskip(NEXT) | instid1(VALU_DEP_3)
	v_fma_f32 v3, v192, v156, -v3
	v_add_f32_e32 v2, v2, v4
	v_fmac_f32_e32 v203, v185, v148
	s_delay_alu instid0(VALU_DEP_2) | instskip(NEXT) | instid1(VALU_DEP_1)
	v_dual_add_f32 v1, v1, v202 :: v_dual_add_f32 v2, v2, v3
	v_add_f32_e32 v1, v1, v203
	s_delay_alu instid0(VALU_DEP_1) | instskip(NEXT) | instid1(VALU_DEP_1)
	v_add_f32_e32 v1, v1, v204
	v_add_f32_e32 v1, v1, v205
	s_delay_alu instid0(VALU_DEP_1) | instskip(NEXT) | instid1(VALU_DEP_1)
	v_add_f32_e32 v1, v1, v206
	v_add_f32_e32 v3, v1, v207
	s_wait_loadcnt 0x0
	s_delay_alu instid0(VALU_DEP_1)
	v_dual_sub_f32 v1, v22, v2 :: v_dual_sub_f32 v2, v23, v3
	scratch_store_b64 off, v[1:2], off offset:304
	v_cmpx_lt_u32_e32 37, v0
	s_cbranch_execz .LBB120_281
; %bb.280:
	scratch_load_b64 v[1:2], off, off offset:296
	v_mov_b32_e32 v3, 0
	s_delay_alu instid0(VALU_DEP_1)
	v_mov_b32_e32 v4, v3
	scratch_store_b64 off, v[3:4], off offset:296
	s_wait_loadcnt 0x0
	ds_store_b64 v141, v[1:2]
.LBB120_281:
	s_wait_alu 0xfffe
	s_or_b32 exec_lo, exec_lo, s0
	s_wait_storecnt_dscnt 0x0
	s_barrier_signal -1
	s_barrier_wait -1
	global_inv scope:SCOPE_SE
	s_clause 0xa
	scratch_load_b128 v[2:5], off, off offset:304
	scratch_load_b128 v[6:9], off, off offset:320
	scratch_load_b128 v[10:13], off, off offset:336
	scratch_load_b128 v[14:17], off, off offset:352
	scratch_load_b128 v[18:21], off, off offset:368
	scratch_load_b128 v[142:145], off, off offset:384
	scratch_load_b128 v[146:149], off, off offset:400
	scratch_load_b128 v[150:153], off, off offset:416
	scratch_load_b128 v[154:157], off, off offset:432
	scratch_load_b64 v[22:23], off, off offset:448
	scratch_load_b64 v[139:140], off, off offset:296
	v_mov_b32_e32 v1, 0
	ds_load_b128 v[158:161], v1 offset:768
	ds_load_b128 v[162:165], v1 offset:784
	;; [unrolled: 1-line block ×9, first 2 shown]
	ds_load_b64 v[194:195], v1 offset:912
	s_mov_b32 s0, exec_lo
	s_wait_loadcnt_dscnt 0xa09
	v_mul_f32_e32 v24, v158, v3
	s_wait_loadcnt_dscnt 0x908
	v_dual_mul_f32 v196, v160, v5 :: v_dual_mul_f32 v197, v162, v7
	v_mul_f32_e32 v3, v159, v3
	s_delay_alu instid0(VALU_DEP_3)
	v_dual_mul_f32 v5, v161, v5 :: v_dual_fmac_f32 v24, v159, v2
	s_wait_loadcnt_dscnt 0x807
	v_dual_mul_f32 v198, v164, v9 :: v_dual_mul_f32 v199, v166, v11
	s_wait_loadcnt_dscnt 0x302
	v_mul_f32_e32 v210, v188, v153
	v_fma_f32 v3, v158, v2, -v3
	s_wait_loadcnt_dscnt 0x100
	v_mul_f32_e32 v213, v194, v23
	v_mul_f32_e32 v2, v163, v7
	v_fmac_f32_e32 v196, v161, v4
	v_fma_f32 v4, v160, v4, -v5
	v_dual_add_f32 v3, 0, v3 :: v_dual_mul_f32 v200, v168, v13
	v_mul_f32_e32 v201, v170, v15
	v_fma_f32 v2, v162, v6, -v2
	v_fmac_f32_e32 v199, v167, v10
	s_delay_alu instid0(VALU_DEP_4) | instskip(SKIP_3) | instid1(VALU_DEP_4)
	v_add_f32_e32 v3, v3, v4
	v_add_f32_e32 v5, 0, v24
	v_fmac_f32_e32 v200, v169, v12
	v_dual_mul_f32 v202, v172, v17 :: v_dual_mul_f32 v203, v174, v19
	v_dual_add_f32 v2, v3, v2 :: v_dual_mul_f32 v7, v165, v9
	s_delay_alu instid0(VALU_DEP_4) | instskip(SKIP_1) | instid1(VALU_DEP_3)
	v_dual_fmac_f32 v197, v163, v6 :: v_dual_add_f32 v4, v5, v196
	v_dual_mul_f32 v5, v167, v11 :: v_dual_fmac_f32 v198, v165, v8
	v_fma_f32 v6, v164, v8, -v7
	v_dual_fmac_f32 v201, v171, v14 :: v_dual_fmac_f32 v202, v173, v16
	s_delay_alu instid0(VALU_DEP_4)
	v_add_f32_e32 v3, v4, v197
	v_mul_f32_e32 v4, v169, v13
	v_fma_f32 v5, v166, v10, -v5
	v_add_f32_e32 v2, v2, v6
	v_mul_f32_e32 v6, v171, v15
	v_add_f32_e32 v3, v3, v198
	v_fma_f32 v4, v168, v12, -v4
	v_dual_mul_f32 v204, v176, v21 :: v_dual_mul_f32 v205, v178, v143
	s_delay_alu instid0(VALU_DEP_3) | instskip(SKIP_3) | instid1(VALU_DEP_4)
	v_dual_add_f32 v2, v2, v5 :: v_dual_add_f32 v3, v3, v199
	v_mul_f32_e32 v5, v173, v17
	v_fma_f32 v6, v170, v14, -v6
	v_dual_mul_f32 v206, v180, v145 :: v_dual_mul_f32 v207, v182, v147
	v_add_f32_e32 v2, v2, v4
	v_add_f32_e32 v3, v3, v200
	v_mul_f32_e32 v4, v175, v19
	v_fma_f32 v5, v172, v16, -v5
	v_fmac_f32_e32 v203, v175, v18
	s_delay_alu instid0(VALU_DEP_4) | instskip(SKIP_3) | instid1(VALU_DEP_4)
	v_dual_add_f32 v2, v2, v6 :: v_dual_add_f32 v3, v3, v201
	v_fmac_f32_e32 v204, v177, v20
	v_mul_f32_e32 v6, v177, v21
	v_fma_f32 v4, v174, v18, -v4
	v_dual_add_f32 v2, v2, v5 :: v_dual_add_f32 v3, v3, v202
	v_mul_f32_e32 v5, v179, v143
	s_delay_alu instid0(VALU_DEP_4) | instskip(SKIP_1) | instid1(VALU_DEP_4)
	v_fma_f32 v6, v176, v20, -v6
	v_dual_fmac_f32 v205, v179, v142 :: v_dual_fmac_f32 v206, v181, v144
	v_dual_add_f32 v2, v2, v4 :: v_dual_add_f32 v3, v3, v203
	v_mul_f32_e32 v4, v181, v145
	v_fma_f32 v5, v178, v142, -v5
	v_fmac_f32_e32 v207, v183, v146
	s_delay_alu instid0(VALU_DEP_4) | instskip(SKIP_3) | instid1(VALU_DEP_4)
	v_dual_add_f32 v2, v2, v6 :: v_dual_add_f32 v3, v3, v204
	v_mul_f32_e32 v6, v183, v147
	v_fma_f32 v4, v180, v144, -v4
	v_dual_mul_f32 v208, v184, v149 :: v_dual_mul_f32 v209, v186, v151
	v_add_f32_e32 v2, v2, v5
	v_add_f32_e32 v3, v3, v205
	v_mul_f32_e32 v5, v185, v149
	v_fma_f32 v6, v182, v146, -v6
	v_fmac_f32_e32 v208, v185, v148
	s_delay_alu instid0(VALU_DEP_4) | instskip(SKIP_3) | instid1(VALU_DEP_4)
	v_dual_add_f32 v2, v2, v4 :: v_dual_add_f32 v3, v3, v206
	v_mul_f32_e32 v4, v187, v151
	v_fma_f32 v5, v184, v148, -v5
	v_fmac_f32_e32 v209, v187, v150
	v_dual_add_f32 v2, v2, v6 :: v_dual_add_f32 v3, v3, v207
	v_mul_f32_e32 v6, v189, v153
	v_fma_f32 v4, v186, v150, -v4
	v_dual_mul_f32 v211, v190, v155 :: v_dual_mul_f32 v212, v192, v157
	s_delay_alu instid0(VALU_DEP_4) | instskip(SKIP_2) | instid1(VALU_DEP_3)
	v_dual_add_f32 v2, v2, v5 :: v_dual_add_f32 v3, v3, v208
	v_dual_mul_f32 v5, v191, v155 :: v_dual_fmac_f32 v210, v189, v152
	v_fma_f32 v6, v188, v152, -v6
	v_dual_add_f32 v2, v2, v4 :: v_dual_add_f32 v3, v3, v209
	v_dual_mul_f32 v4, v193, v157 :: v_dual_fmac_f32 v211, v191, v154
	s_delay_alu instid0(VALU_DEP_4) | instskip(NEXT) | instid1(VALU_DEP_3)
	v_fma_f32 v5, v190, v154, -v5
	v_dual_fmac_f32 v212, v193, v156 :: v_dual_add_f32 v3, v3, v210
	s_delay_alu instid0(VALU_DEP_4) | instskip(SKIP_3) | instid1(VALU_DEP_4)
	v_add_f32_e32 v2, v2, v6
	v_mul_f32_e32 v6, v195, v23
	v_fma_f32 v4, v192, v156, -v4
	v_fmac_f32_e32 v213, v195, v22
	v_dual_add_f32 v3, v3, v211 :: v_dual_add_f32 v2, v2, v5
	s_delay_alu instid0(VALU_DEP_4) | instskip(NEXT) | instid1(VALU_DEP_2)
	v_fma_f32 v5, v194, v22, -v6
	v_add_f32_e32 v3, v3, v212
	s_delay_alu instid0(VALU_DEP_1) | instskip(SKIP_1) | instid1(VALU_DEP_1)
	v_dual_add_f32 v2, v2, v4 :: v_dual_add_f32 v3, v3, v213
	s_wait_loadcnt 0x0
	v_dual_add_f32 v2, v2, v5 :: v_dual_sub_f32 v3, v140, v3
	s_delay_alu instid0(VALU_DEP_1)
	v_sub_f32_e32 v2, v139, v2
	scratch_store_b64 off, v[2:3], off offset:296
	v_cmpx_lt_u32_e32 36, v0
	s_cbranch_execz .LBB120_283
; %bb.282:
	scratch_load_b64 v[3:4], off, off offset:288
	v_mov_b32_e32 v2, v1
	scratch_store_b64 off, v[1:2], off offset:288
	s_wait_loadcnt 0x0
	ds_store_b64 v141, v[3:4]
.LBB120_283:
	s_wait_alu 0xfffe
	s_or_b32 exec_lo, exec_lo, s0
	s_wait_storecnt_dscnt 0x0
	s_barrier_signal -1
	s_barrier_wait -1
	global_inv scope:SCOPE_SE
	s_clause 0xa
	scratch_load_b128 v[2:5], off, off offset:296
	scratch_load_b128 v[6:9], off, off offset:312
	scratch_load_b128 v[10:13], off, off offset:328
	scratch_load_b128 v[14:17], off, off offset:344
	scratch_load_b128 v[18:21], off, off offset:360
	scratch_load_b128 v[142:145], off, off offset:376
	scratch_load_b128 v[146:149], off, off offset:392
	scratch_load_b128 v[150:153], off, off offset:408
	scratch_load_b128 v[154:157], off, off offset:424
	scratch_load_b128 v[158:161], off, off offset:440
	scratch_load_b64 v[22:23], off, off offset:288
	ds_load_2addr_b64 v[162:165], v1 offset0:95 offset1:96
	ds_load_2addr_b64 v[166:169], v1 offset0:97 offset1:98
	;; [unrolled: 1-line block ×10, first 2 shown]
	s_mov_b32 s0, exec_lo
	s_wait_loadcnt_dscnt 0xa09
	v_dual_mul_f32 v1, v162, v3 :: v_dual_mul_f32 v24, v164, v5
	v_mul_f32_e32 v3, v163, v3
	v_mul_f32_e32 v5, v165, v5
	s_wait_loadcnt_dscnt 0x908
	v_dual_mul_f32 v139, v166, v7 :: v_dual_mul_f32 v140, v168, v9
	v_fmac_f32_e32 v24, v165, v4
	v_fma_f32 v3, v162, v2, -v3
	s_wait_loadcnt_dscnt 0x807
	v_dual_mul_f32 v202, v170, v11 :: v_dual_mul_f32 v203, v172, v13
	v_dual_fmac_f32 v1, v163, v2 :: v_dual_fmac_f32 v140, v169, v8
	v_mul_f32_e32 v2, v167, v7
	v_fma_f32 v4, v164, v4, -v5
	s_delay_alu instid0(VALU_DEP_4) | instskip(NEXT) | instid1(VALU_DEP_4)
	v_dual_add_f32 v3, 0, v3 :: v_dual_fmac_f32 v202, v171, v10
	v_add_f32_e32 v1, 0, v1
	s_delay_alu instid0(VALU_DEP_4) | instskip(SKIP_4) | instid1(VALU_DEP_3)
	v_fma_f32 v2, v166, v6, -v2
	s_wait_loadcnt_dscnt 0x706
	v_dual_mul_f32 v204, v174, v15 :: v_dual_mul_f32 v205, v176, v17
	v_add_f32_e32 v3, v3, v4
	v_dual_mul_f32 v5, v169, v9 :: v_dual_mul_f32 v4, v171, v11
	v_dual_add_f32 v1, v1, v24 :: v_dual_fmac_f32 v204, v175, v14
	s_delay_alu instid0(VALU_DEP_3) | instskip(NEXT) | instid1(VALU_DEP_3)
	v_add_f32_e32 v2, v3, v2
	v_fma_f32 v5, v168, v8, -v5
	v_fmac_f32_e32 v139, v167, v6
	v_fma_f32 v4, v170, v10, -v4
	s_wait_loadcnt_dscnt 0x605
	v_dual_mul_f32 v206, v178, v19 :: v_dual_mul_f32 v207, v180, v21
	s_delay_alu instid0(VALU_DEP_3) | instskip(NEXT) | instid1(VALU_DEP_2)
	v_dual_add_f32 v2, v2, v5 :: v_dual_add_f32 v1, v1, v139
	v_dual_mul_f32 v3, v173, v13 :: v_dual_fmac_f32 v206, v179, v18
	s_wait_loadcnt_dscnt 0x504
	v_dual_mul_f32 v208, v182, v143 :: v_dual_mul_f32 v209, v184, v145
	s_delay_alu instid0(VALU_DEP_3)
	v_add_f32_e32 v2, v2, v4
	v_mul_f32_e32 v4, v177, v17
	v_fma_f32 v3, v172, v12, -v3
	s_wait_loadcnt_dscnt 0x302
	v_dual_add_f32 v1, v1, v140 :: v_dual_mul_f32 v212, v190, v151
	v_mul_f32_e32 v213, v192, v153
	v_fma_f32 v4, v176, v16, -v4
	v_mul_f32_e32 v5, v175, v15
	s_delay_alu instid0(VALU_DEP_4) | instskip(SKIP_1) | instid1(VALU_DEP_3)
	v_dual_add_f32 v2, v2, v3 :: v_dual_add_f32 v1, v1, v202
	v_dual_mul_f32 v210, v186, v147 :: v_dual_mul_f32 v211, v188, v149
	v_fma_f32 v5, v174, v14, -v5
	v_dual_fmac_f32 v203, v173, v12 :: v_dual_fmac_f32 v208, v183, v142
	s_delay_alu instid0(VALU_DEP_3)
	v_fmac_f32_e32 v210, v187, v146
	s_wait_loadcnt_dscnt 0x201
	v_dual_mul_f32 v214, v194, v155 :: v_dual_mul_f32 v215, v196, v157
	v_dual_add_f32 v2, v2, v5 :: v_dual_fmac_f32 v209, v185, v144
	s_wait_loadcnt_dscnt 0x100
	v_dual_mul_f32 v216, v198, v159 :: v_dual_mul_f32 v217, v200, v161
	v_fmac_f32_e32 v211, v189, v148
	s_delay_alu instid0(VALU_DEP_3) | instskip(SKIP_1) | instid1(VALU_DEP_4)
	v_add_f32_e32 v2, v2, v4
	v_mul_f32_e32 v4, v183, v143
	v_dual_add_f32 v1, v1, v203 :: v_dual_fmac_f32 v216, v199, v158
	v_fmac_f32_e32 v213, v193, v152
	v_fmac_f32_e32 v215, v197, v156
	s_delay_alu instid0(VALU_DEP_4) | instskip(SKIP_3) | instid1(VALU_DEP_3)
	v_fma_f32 v4, v182, v142, -v4
	v_mul_f32_e32 v5, v181, v21
	v_dual_add_f32 v1, v1, v204 :: v_dual_fmac_f32 v212, v191, v150
	v_dual_fmac_f32 v217, v201, v160 :: v_dual_fmac_f32 v214, v195, v154
	v_fma_f32 v5, v180, v20, -v5
	v_mul_f32_e32 v3, v179, v19
	s_delay_alu instid0(VALU_DEP_1) | instskip(NEXT) | instid1(VALU_DEP_1)
	v_fma_f32 v3, v178, v18, -v3
	v_dual_fmac_f32 v205, v177, v16 :: v_dual_add_f32 v2, v2, v3
	v_mul_f32_e32 v3, v185, v145
	s_delay_alu instid0(VALU_DEP_2) | instskip(NEXT) | instid1(VALU_DEP_2)
	v_dual_add_f32 v2, v2, v5 :: v_dual_mul_f32 v5, v187, v147
	v_fma_f32 v3, v184, v144, -v3
	s_delay_alu instid0(VALU_DEP_2) | instskip(SKIP_1) | instid1(VALU_DEP_4)
	v_dual_add_f32 v2, v2, v4 :: v_dual_add_f32 v1, v1, v205
	v_mul_f32_e32 v4, v189, v149
	v_fma_f32 v5, v186, v146, -v5
	s_delay_alu instid0(VALU_DEP_3) | instskip(NEXT) | instid1(VALU_DEP_3)
	v_dual_add_f32 v2, v2, v3 :: v_dual_fmac_f32 v207, v181, v20
	v_fma_f32 v4, v188, v148, -v4
	s_delay_alu instid0(VALU_DEP_2) | instskip(SKIP_1) | instid1(VALU_DEP_2)
	v_add_f32_e32 v2, v2, v5
	v_mul_f32_e32 v5, v193, v153
	v_dual_add_f32 v1, v1, v206 :: v_dual_add_f32 v2, v2, v4
	s_delay_alu instid0(VALU_DEP_2) | instskip(SKIP_1) | instid1(VALU_DEP_3)
	v_fma_f32 v5, v192, v152, -v5
	v_mul_f32_e32 v3, v191, v151
	v_add_f32_e32 v1, v1, v207
	v_mul_f32_e32 v4, v195, v155
	s_delay_alu instid0(VALU_DEP_3) | instskip(NEXT) | instid1(VALU_DEP_3)
	v_fma_f32 v3, v190, v150, -v3
	v_add_f32_e32 v1, v1, v208
	s_delay_alu instid0(VALU_DEP_3) | instskip(NEXT) | instid1(VALU_DEP_3)
	v_fma_f32 v4, v194, v154, -v4
	v_dual_add_f32 v2, v2, v3 :: v_dual_mul_f32 v3, v197, v157
	s_delay_alu instid0(VALU_DEP_1) | instskip(NEXT) | instid1(VALU_DEP_4)
	v_add_f32_e32 v2, v2, v5
	v_add_f32_e32 v1, v1, v209
	v_mul_f32_e32 v5, v199, v159
	s_delay_alu instid0(VALU_DEP_4) | instskip(NEXT) | instid1(VALU_DEP_3)
	v_fma_f32 v3, v196, v156, -v3
	v_dual_add_f32 v2, v2, v4 :: v_dual_add_f32 v1, v1, v210
	v_mul_f32_e32 v4, v201, v161
	s_delay_alu instid0(VALU_DEP_4) | instskip(NEXT) | instid1(VALU_DEP_3)
	v_fma_f32 v5, v198, v158, -v5
	v_add_f32_e32 v2, v2, v3
	s_delay_alu instid0(VALU_DEP_4) | instskip(NEXT) | instid1(VALU_DEP_4)
	v_add_f32_e32 v1, v1, v211
	v_fma_f32 v3, v200, v160, -v4
	s_delay_alu instid0(VALU_DEP_2) | instskip(NEXT) | instid1(VALU_DEP_1)
	v_dual_add_f32 v2, v2, v5 :: v_dual_add_f32 v1, v1, v212
	v_dual_add_f32 v2, v2, v3 :: v_dual_add_f32 v1, v1, v213
	s_delay_alu instid0(VALU_DEP_1) | instskip(NEXT) | instid1(VALU_DEP_1)
	v_add_f32_e32 v1, v1, v214
	v_add_f32_e32 v1, v1, v215
	s_delay_alu instid0(VALU_DEP_1) | instskip(NEXT) | instid1(VALU_DEP_1)
	v_add_f32_e32 v1, v1, v216
	v_add_f32_e32 v3, v1, v217
	s_wait_loadcnt 0x0
	s_delay_alu instid0(VALU_DEP_1)
	v_dual_sub_f32 v1, v22, v2 :: v_dual_sub_f32 v2, v23, v3
	scratch_store_b64 off, v[1:2], off offset:288
	v_cmpx_lt_u32_e32 35, v0
	s_cbranch_execz .LBB120_285
; %bb.284:
	scratch_load_b64 v[1:2], off, off offset:280
	v_mov_b32_e32 v3, 0
	s_delay_alu instid0(VALU_DEP_1)
	v_mov_b32_e32 v4, v3
	scratch_store_b64 off, v[3:4], off offset:280
	s_wait_loadcnt 0x0
	ds_store_b64 v141, v[1:2]
.LBB120_285:
	s_wait_alu 0xfffe
	s_or_b32 exec_lo, exec_lo, s0
	s_wait_storecnt_dscnt 0x0
	s_barrier_signal -1
	s_barrier_wait -1
	global_inv scope:SCOPE_SE
	s_clause 0xb
	scratch_load_b128 v[2:5], off, off offset:288
	scratch_load_b128 v[6:9], off, off offset:304
	;; [unrolled: 1-line block ×10, first 2 shown]
	scratch_load_b64 v[22:23], off, off offset:448
	scratch_load_b64 v[139:140], off, off offset:280
	v_mov_b32_e32 v1, 0
	ds_load_b128 v[162:165], v1 offset:752
	ds_load_b128 v[166:169], v1 offset:768
	;; [unrolled: 1-line block ×10, first 2 shown]
	ds_load_b64 v[202:203], v1 offset:912
	s_mov_b32 s0, exec_lo
	s_wait_loadcnt_dscnt 0xb0a
	v_mul_f32_e32 v24, v162, v3
	s_wait_loadcnt_dscnt 0xa09
	v_dual_mul_f32 v204, v164, v5 :: v_dual_mul_f32 v205, v166, v7
	v_mul_f32_e32 v5, v165, v5
	v_dual_mul_f32 v3, v163, v3 :: v_dual_mul_f32 v206, v168, v9
	s_wait_loadcnt_dscnt 0x908
	v_dual_mul_f32 v207, v170, v11 :: v_dual_fmac_f32 v24, v163, v2
	s_wait_loadcnt_dscnt 0x302
	v_mul_f32_e32 v220, v196, v157
	v_fma_f32 v3, v162, v2, -v3
	s_wait_loadcnt_dscnt 0x100
	v_mul_f32_e32 v223, v202, v23
	v_mul_f32_e32 v2, v167, v7
	v_fmac_f32_e32 v204, v165, v4
	v_fma_f32 v4, v164, v4, -v5
	v_dual_add_f32 v3, 0, v3 :: v_dual_mul_f32 v208, v172, v13
	v_mul_f32_e32 v209, v174, v15
	v_fma_f32 v2, v166, v6, -v2
	v_fmac_f32_e32 v207, v171, v10
	s_delay_alu instid0(VALU_DEP_4) | instskip(SKIP_3) | instid1(VALU_DEP_4)
	v_add_f32_e32 v3, v3, v4
	v_add_f32_e32 v5, 0, v24
	v_fmac_f32_e32 v208, v173, v12
	v_dual_mul_f32 v210, v176, v17 :: v_dual_mul_f32 v211, v178, v19
	v_dual_add_f32 v2, v3, v2 :: v_dual_mul_f32 v7, v169, v9
	s_delay_alu instid0(VALU_DEP_4) | instskip(SKIP_1) | instid1(VALU_DEP_3)
	v_dual_fmac_f32 v205, v167, v6 :: v_dual_add_f32 v4, v5, v204
	v_dual_mul_f32 v5, v171, v11 :: v_dual_fmac_f32 v206, v169, v8
	v_fma_f32 v6, v168, v8, -v7
	v_dual_fmac_f32 v209, v175, v14 :: v_dual_fmac_f32 v210, v177, v16
	s_delay_alu instid0(VALU_DEP_4)
	v_add_f32_e32 v3, v4, v205
	v_mul_f32_e32 v4, v173, v13
	v_fma_f32 v5, v170, v10, -v5
	v_add_f32_e32 v2, v2, v6
	v_mul_f32_e32 v6, v175, v15
	v_add_f32_e32 v3, v3, v206
	v_fma_f32 v4, v172, v12, -v4
	v_dual_mul_f32 v212, v180, v21 :: v_dual_mul_f32 v213, v182, v143
	s_delay_alu instid0(VALU_DEP_3) | instskip(SKIP_3) | instid1(VALU_DEP_4)
	v_dual_add_f32 v2, v2, v5 :: v_dual_add_f32 v3, v3, v207
	v_mul_f32_e32 v5, v177, v17
	v_fma_f32 v6, v174, v14, -v6
	v_dual_mul_f32 v214, v184, v145 :: v_dual_mul_f32 v215, v186, v147
	v_add_f32_e32 v2, v2, v4
	v_add_f32_e32 v3, v3, v208
	v_mul_f32_e32 v4, v179, v19
	v_fma_f32 v5, v176, v16, -v5
	v_fmac_f32_e32 v211, v179, v18
	s_delay_alu instid0(VALU_DEP_4) | instskip(SKIP_3) | instid1(VALU_DEP_4)
	v_dual_add_f32 v2, v2, v6 :: v_dual_add_f32 v3, v3, v209
	v_fmac_f32_e32 v212, v181, v20
	v_mul_f32_e32 v6, v181, v21
	v_fma_f32 v4, v178, v18, -v4
	v_dual_add_f32 v2, v2, v5 :: v_dual_add_f32 v3, v3, v210
	v_mul_f32_e32 v5, v183, v143
	s_delay_alu instid0(VALU_DEP_4) | instskip(SKIP_1) | instid1(VALU_DEP_4)
	v_fma_f32 v6, v180, v20, -v6
	v_dual_fmac_f32 v213, v183, v142 :: v_dual_fmac_f32 v214, v185, v144
	v_dual_add_f32 v2, v2, v4 :: v_dual_add_f32 v3, v3, v211
	v_mul_f32_e32 v4, v185, v145
	v_fma_f32 v5, v182, v142, -v5
	v_dual_mul_f32 v216, v188, v149 :: v_dual_mul_f32 v217, v190, v151
	s_delay_alu instid0(VALU_DEP_4) | instskip(SKIP_2) | instid1(VALU_DEP_3)
	v_dual_add_f32 v2, v2, v6 :: v_dual_add_f32 v3, v3, v212
	v_mul_f32_e32 v6, v187, v147
	v_fma_f32 v4, v184, v144, -v4
	v_dual_fmac_f32 v215, v187, v146 :: v_dual_add_f32 v2, v2, v5
	s_delay_alu instid0(VALU_DEP_4) | instskip(SKIP_3) | instid1(VALU_DEP_4)
	v_add_f32_e32 v3, v3, v213
	v_mul_f32_e32 v5, v189, v149
	v_fma_f32 v6, v186, v146, -v6
	v_fmac_f32_e32 v216, v189, v148
	v_dual_add_f32 v2, v2, v4 :: v_dual_add_f32 v3, v3, v214
	v_mul_f32_e32 v4, v191, v151
	v_fma_f32 v5, v188, v148, -v5
	v_dual_mul_f32 v218, v192, v153 :: v_dual_mul_f32 v219, v194, v155
	s_delay_alu instid0(VALU_DEP_4) | instskip(SKIP_2) | instid1(VALU_DEP_3)
	v_dual_add_f32 v2, v2, v6 :: v_dual_add_f32 v3, v3, v215
	v_dual_mul_f32 v6, v193, v153 :: v_dual_fmac_f32 v217, v191, v150
	v_fma_f32 v4, v190, v150, -v4
	v_dual_add_f32 v2, v2, v5 :: v_dual_add_f32 v3, v3, v216
	v_dual_mul_f32 v5, v195, v155 :: v_dual_fmac_f32 v218, v193, v152
	s_delay_alu instid0(VALU_DEP_4) | instskip(NEXT) | instid1(VALU_DEP_3)
	v_fma_f32 v6, v192, v152, -v6
	v_dual_add_f32 v2, v2, v4 :: v_dual_add_f32 v3, v3, v217
	v_dual_mul_f32 v4, v197, v157 :: v_dual_fmac_f32 v219, v195, v154
	s_delay_alu instid0(VALU_DEP_4) | instskip(NEXT) | instid1(VALU_DEP_3)
	v_fma_f32 v5, v194, v154, -v5
	v_dual_fmac_f32 v220, v197, v156 :: v_dual_add_f32 v3, v3, v218
	s_delay_alu instid0(VALU_DEP_4) | instskip(SKIP_3) | instid1(VALU_DEP_4)
	v_add_f32_e32 v2, v2, v6
	v_dual_mul_f32 v221, v198, v159 :: v_dual_mul_f32 v222, v200, v161
	v_mul_f32_e32 v6, v199, v159
	v_fma_f32 v4, v196, v156, -v4
	v_dual_add_f32 v3, v3, v219 :: v_dual_add_f32 v2, v2, v5
	s_delay_alu instid0(VALU_DEP_4) | instskip(SKIP_2) | instid1(VALU_DEP_4)
	v_fmac_f32_e32 v221, v199, v158
	v_mul_f32_e32 v5, v201, v161
	v_fma_f32 v6, v198, v158, -v6
	v_add_f32_e32 v3, v3, v220
	v_add_f32_e32 v2, v2, v4
	v_mul_f32_e32 v4, v203, v23
	v_dual_fmac_f32 v222, v201, v160 :: v_dual_fmac_f32 v223, v203, v22
	v_fma_f32 v5, v200, v160, -v5
	s_delay_alu instid0(VALU_DEP_4) | instskip(NEXT) | instid1(VALU_DEP_4)
	v_dual_add_f32 v3, v3, v221 :: v_dual_add_f32 v2, v2, v6
	v_fma_f32 v4, v202, v22, -v4
	s_delay_alu instid0(VALU_DEP_2) | instskip(NEXT) | instid1(VALU_DEP_1)
	v_dual_add_f32 v3, v3, v222 :: v_dual_add_f32 v2, v2, v5
	v_dual_add_f32 v3, v3, v223 :: v_dual_add_f32 v2, v2, v4
	s_wait_loadcnt 0x0
	s_delay_alu instid0(VALU_DEP_1)
	v_dual_sub_f32 v3, v140, v3 :: v_dual_sub_f32 v2, v139, v2
	scratch_store_b64 off, v[2:3], off offset:280
	v_cmpx_lt_u32_e32 34, v0
	s_cbranch_execz .LBB120_287
; %bb.286:
	scratch_load_b64 v[3:4], off, off offset:272
	v_mov_b32_e32 v2, v1
	scratch_store_b64 off, v[1:2], off offset:272
	s_wait_loadcnt 0x0
	ds_store_b64 v141, v[3:4]
.LBB120_287:
	s_wait_alu 0xfffe
	s_or_b32 exec_lo, exec_lo, s0
	s_wait_storecnt_dscnt 0x0
	s_barrier_signal -1
	s_barrier_wait -1
	global_inv scope:SCOPE_SE
	s_clause 0xb
	scratch_load_b128 v[2:5], off, off offset:280
	scratch_load_b128 v[6:9], off, off offset:296
	;; [unrolled: 1-line block ×11, first 2 shown]
	scratch_load_b64 v[22:23], off, off offset:272
	ds_load_2addr_b64 v[166:169], v1 offset0:93 offset1:94
	ds_load_2addr_b64 v[170:173], v1 offset0:95 offset1:96
	;; [unrolled: 1-line block ×11, first 2 shown]
	s_mov_b32 s0, exec_lo
	s_wait_loadcnt_dscnt 0xb0a
	v_dual_mul_f32 v1, v166, v3 :: v_dual_mul_f32 v24, v168, v5
	v_mul_f32_e32 v3, v167, v3
	v_mul_f32_e32 v5, v169, v5
	s_wait_loadcnt_dscnt 0xa09
	v_dual_mul_f32 v139, v170, v7 :: v_dual_mul_f32 v140, v172, v9
	v_fmac_f32_e32 v24, v169, v4
	v_fma_f32 v3, v166, v2, -v3
	s_wait_loadcnt_dscnt 0x908
	v_dual_mul_f32 v210, v174, v11 :: v_dual_mul_f32 v211, v176, v13
	v_dual_fmac_f32 v1, v167, v2 :: v_dual_fmac_f32 v140, v173, v8
	v_mul_f32_e32 v2, v171, v7
	v_fma_f32 v4, v168, v4, -v5
	s_delay_alu instid0(VALU_DEP_4) | instskip(NEXT) | instid1(VALU_DEP_4)
	v_dual_add_f32 v3, 0, v3 :: v_dual_fmac_f32 v210, v175, v10
	v_add_f32_e32 v1, 0, v1
	s_delay_alu instid0(VALU_DEP_4) | instskip(SKIP_4) | instid1(VALU_DEP_3)
	v_fma_f32 v2, v170, v6, -v2
	s_wait_loadcnt_dscnt 0x807
	v_dual_mul_f32 v212, v178, v15 :: v_dual_mul_f32 v213, v180, v17
	v_add_f32_e32 v3, v3, v4
	v_dual_mul_f32 v5, v173, v9 :: v_dual_mul_f32 v4, v175, v11
	v_dual_add_f32 v1, v1, v24 :: v_dual_fmac_f32 v212, v179, v14
	s_delay_alu instid0(VALU_DEP_3) | instskip(NEXT) | instid1(VALU_DEP_3)
	v_add_f32_e32 v2, v3, v2
	v_fma_f32 v5, v172, v8, -v5
	v_fmac_f32_e32 v139, v171, v6
	v_fma_f32 v4, v174, v10, -v4
	s_wait_loadcnt_dscnt 0x706
	v_dual_mul_f32 v214, v182, v19 :: v_dual_mul_f32 v215, v184, v21
	s_delay_alu instid0(VALU_DEP_3) | instskip(NEXT) | instid1(VALU_DEP_2)
	v_dual_add_f32 v2, v2, v5 :: v_dual_add_f32 v1, v1, v139
	v_dual_mul_f32 v3, v177, v13 :: v_dual_fmac_f32 v214, v183, v18
	s_wait_loadcnt_dscnt 0x605
	v_dual_mul_f32 v216, v186, v143 :: v_dual_mul_f32 v217, v188, v145
	s_delay_alu instid0(VALU_DEP_3)
	v_add_f32_e32 v2, v2, v4
	v_mul_f32_e32 v4, v181, v17
	v_fma_f32 v3, v176, v12, -v3
	s_wait_loadcnt_dscnt 0x403
	v_dual_add_f32 v1, v1, v140 :: v_dual_mul_f32 v220, v194, v151
	v_mul_f32_e32 v221, v196, v153
	v_fma_f32 v4, v180, v16, -v4
	v_mul_f32_e32 v5, v179, v15
	s_delay_alu instid0(VALU_DEP_4) | instskip(SKIP_1) | instid1(VALU_DEP_3)
	v_dual_add_f32 v2, v2, v3 :: v_dual_add_f32 v1, v1, v210
	v_dual_mul_f32 v218, v190, v147 :: v_dual_mul_f32 v219, v192, v149
	v_fma_f32 v5, v178, v14, -v5
	v_dual_fmac_f32 v211, v177, v12 :: v_dual_fmac_f32 v216, v187, v142
	s_delay_alu instid0(VALU_DEP_3)
	v_fmac_f32_e32 v218, v191, v146
	s_wait_loadcnt_dscnt 0x100
	v_dual_mul_f32 v226, v206, v163 :: v_dual_mul_f32 v227, v208, v165
	v_add_f32_e32 v2, v2, v5
	v_dual_mul_f32 v222, v198, v155 :: v_dual_mul_f32 v223, v200, v157
	v_dual_fmac_f32 v217, v189, v144 :: v_dual_mul_f32 v224, v202, v159
	s_delay_alu instid0(VALU_DEP_3) | instskip(SKIP_2) | instid1(VALU_DEP_4)
	v_dual_mul_f32 v225, v204, v161 :: v_dual_add_f32 v2, v2, v4
	v_mul_f32_e32 v4, v187, v143
	v_add_f32_e32 v1, v1, v211
	v_dual_fmac_f32 v219, v193, v148 :: v_dual_fmac_f32 v224, v203, v158
	v_fmac_f32_e32 v220, v195, v150
	s_delay_alu instid0(VALU_DEP_4)
	v_fma_f32 v4, v186, v142, -v4
	v_mul_f32_e32 v5, v185, v21
	v_add_f32_e32 v1, v1, v212
	v_fmac_f32_e32 v223, v201, v156
	v_fmac_f32_e32 v225, v205, v160
	;; [unrolled: 1-line block ×3, first 2 shown]
	v_fma_f32 v5, v184, v20, -v5
	v_mul_f32_e32 v3, v183, v19
	v_fmac_f32_e32 v226, v207, v162
	v_fmac_f32_e32 v222, v199, v154
	s_delay_alu instid0(VALU_DEP_3) | instskip(NEXT) | instid1(VALU_DEP_1)
	v_fma_f32 v3, v182, v18, -v3
	v_dual_fmac_f32 v213, v181, v16 :: v_dual_add_f32 v2, v2, v3
	v_mul_f32_e32 v3, v189, v145
	s_delay_alu instid0(VALU_DEP_2) | instskip(NEXT) | instid1(VALU_DEP_2)
	v_dual_add_f32 v2, v2, v5 :: v_dual_mul_f32 v5, v191, v147
	v_fma_f32 v3, v188, v144, -v3
	s_delay_alu instid0(VALU_DEP_2) | instskip(SKIP_1) | instid1(VALU_DEP_4)
	v_dual_add_f32 v2, v2, v4 :: v_dual_add_f32 v1, v1, v213
	v_mul_f32_e32 v4, v193, v149
	v_fma_f32 v5, v190, v146, -v5
	s_delay_alu instid0(VALU_DEP_3) | instskip(NEXT) | instid1(VALU_DEP_3)
	v_dual_add_f32 v2, v2, v3 :: v_dual_fmac_f32 v215, v185, v20
	v_fma_f32 v4, v192, v148, -v4
	s_delay_alu instid0(VALU_DEP_2) | instskip(SKIP_1) | instid1(VALU_DEP_2)
	v_add_f32_e32 v2, v2, v5
	v_mul_f32_e32 v5, v197, v153
	v_dual_add_f32 v1, v1, v214 :: v_dual_add_f32 v2, v2, v4
	s_delay_alu instid0(VALU_DEP_2) | instskip(SKIP_1) | instid1(VALU_DEP_3)
	v_fma_f32 v5, v196, v152, -v5
	v_mul_f32_e32 v3, v195, v151
	v_add_f32_e32 v1, v1, v215
	v_mul_f32_e32 v4, v199, v155
	s_delay_alu instid0(VALU_DEP_3) | instskip(NEXT) | instid1(VALU_DEP_3)
	v_fma_f32 v3, v194, v150, -v3
	v_add_f32_e32 v1, v1, v216
	s_delay_alu instid0(VALU_DEP_3) | instskip(NEXT) | instid1(VALU_DEP_3)
	v_fma_f32 v4, v198, v154, -v4
	v_add_f32_e32 v2, v2, v3
	s_delay_alu instid0(VALU_DEP_1) | instskip(NEXT) | instid1(VALU_DEP_4)
	v_add_f32_e32 v2, v2, v5
	v_add_f32_e32 v1, v1, v217
	s_delay_alu instid0(VALU_DEP_2) | instskip(SKIP_1) | instid1(VALU_DEP_2)
	v_dual_mul_f32 v5, v203, v159 :: v_dual_add_f32 v2, v2, v4
	v_mul_f32_e32 v4, v205, v161
	v_fma_f32 v5, v202, v158, -v5
	s_delay_alu instid0(VALU_DEP_2) | instskip(SKIP_1) | instid1(VALU_DEP_1)
	v_fma_f32 v4, v204, v160, -v4
	v_mul_f32_e32 v3, v201, v157
	v_fma_f32 v3, v200, v156, -v3
	s_delay_alu instid0(VALU_DEP_1) | instskip(NEXT) | instid1(VALU_DEP_1)
	v_dual_add_f32 v1, v1, v218 :: v_dual_add_f32 v2, v2, v3
	v_add_f32_e32 v1, v1, v219
	s_delay_alu instid0(VALU_DEP_2) | instskip(NEXT) | instid1(VALU_DEP_2)
	v_dual_mul_f32 v3, v207, v163 :: v_dual_add_f32 v2, v2, v5
	v_add_f32_e32 v1, v1, v220
	v_mul_f32_e32 v5, v209, v165
	s_delay_alu instid0(VALU_DEP_3) | instskip(NEXT) | instid1(VALU_DEP_4)
	v_fma_f32 v3, v206, v162, -v3
	v_add_f32_e32 v2, v2, v4
	v_fmac_f32_e32 v221, v197, v152
	s_delay_alu instid0(VALU_DEP_4) | instskip(NEXT) | instid1(VALU_DEP_2)
	v_fma_f32 v4, v208, v164, -v5
	v_dual_add_f32 v2, v2, v3 :: v_dual_add_f32 v1, v1, v221
	s_delay_alu instid0(VALU_DEP_1) | instskip(NEXT) | instid1(VALU_DEP_1)
	v_dual_add_f32 v2, v2, v4 :: v_dual_add_f32 v1, v1, v222
	v_add_f32_e32 v1, v1, v223
	s_delay_alu instid0(VALU_DEP_1) | instskip(NEXT) | instid1(VALU_DEP_1)
	v_add_f32_e32 v1, v1, v224
	v_add_f32_e32 v1, v1, v225
	s_delay_alu instid0(VALU_DEP_1) | instskip(NEXT) | instid1(VALU_DEP_1)
	v_add_f32_e32 v1, v1, v226
	v_add_f32_e32 v3, v1, v227
	s_wait_loadcnt 0x0
	s_delay_alu instid0(VALU_DEP_1)
	v_dual_sub_f32 v1, v22, v2 :: v_dual_sub_f32 v2, v23, v3
	scratch_store_b64 off, v[1:2], off offset:272
	v_cmpx_lt_u32_e32 33, v0
	s_cbranch_execz .LBB120_289
; %bb.288:
	scratch_load_b64 v[1:2], off, off offset:264
	v_mov_b32_e32 v3, 0
	s_delay_alu instid0(VALU_DEP_1)
	v_mov_b32_e32 v4, v3
	scratch_store_b64 off, v[3:4], off offset:264
	s_wait_loadcnt 0x0
	ds_store_b64 v141, v[1:2]
.LBB120_289:
	s_wait_alu 0xfffe
	s_or_b32 exec_lo, exec_lo, s0
	s_wait_storecnt_dscnt 0x0
	s_barrier_signal -1
	s_barrier_wait -1
	global_inv scope:SCOPE_SE
	s_clause 0xc
	scratch_load_b128 v[2:5], off, off offset:272
	scratch_load_b128 v[6:9], off, off offset:288
	;; [unrolled: 1-line block ×11, first 2 shown]
	scratch_load_b64 v[22:23], off, off offset:448
	scratch_load_b64 v[139:140], off, off offset:264
	v_mov_b32_e32 v1, 0
	ds_load_b128 v[166:169], v1 offset:736
	ds_load_b128 v[170:173], v1 offset:752
	;; [unrolled: 1-line block ×11, first 2 shown]
	ds_load_b64 v[210:211], v1 offset:912
	s_mov_b32 s0, exec_lo
	s_wait_loadcnt_dscnt 0xc0b
	v_mul_f32_e32 v24, v166, v3
	s_wait_loadcnt_dscnt 0xb0a
	v_dual_mul_f32 v212, v168, v5 :: v_dual_mul_f32 v213, v170, v7
	v_mul_f32_e32 v5, v169, v5
	s_wait_loadcnt_dscnt 0xa09
	v_dual_mul_f32 v214, v172, v9 :: v_dual_mul_f32 v215, v174, v11
	v_mul_f32_e32 v3, v167, v3
	v_fmac_f32_e32 v24, v167, v2
	s_wait_loadcnt_dscnt 0x908
	v_dual_mul_f32 v216, v176, v13 :: v_dual_mul_f32 v217, v178, v15
	s_wait_loadcnt_dscnt 0x302
	v_mul_f32_e32 v230, v204, v161
	v_fma_f32 v3, v166, v2, -v3
	s_wait_loadcnt_dscnt 0x100
	v_mul_f32_e32 v233, v210, v23
	v_mul_f32_e32 v2, v171, v7
	v_fmac_f32_e32 v212, v169, v4
	v_fma_f32 v4, v168, v4, -v5
	v_add_f32_e32 v3, 0, v3
	v_dual_fmac_f32 v215, v175, v10 :: v_dual_fmac_f32 v216, v177, v12
	v_fma_f32 v2, v170, v6, -v2
	v_dual_mul_f32 v218, v180, v17 :: v_dual_mul_f32 v219, v182, v19
	s_delay_alu instid0(VALU_DEP_4) | instskip(SKIP_1) | instid1(VALU_DEP_3)
	v_add_f32_e32 v3, v3, v4
	v_add_f32_e32 v5, 0, v24
	v_dual_fmac_f32 v217, v179, v14 :: v_dual_fmac_f32 v218, v181, v16
	v_fmac_f32_e32 v214, v173, v8
	s_delay_alu instid0(VALU_DEP_4) | instskip(NEXT) | instid1(VALU_DEP_4)
	v_dual_add_f32 v2, v3, v2 :: v_dual_mul_f32 v7, v173, v9
	v_dual_fmac_f32 v213, v171, v6 :: v_dual_add_f32 v4, v5, v212
	v_dual_mul_f32 v5, v175, v11 :: v_dual_mul_f32 v220, v184, v21
	v_mul_f32_e32 v221, v186, v143
	s_delay_alu instid0(VALU_DEP_4) | instskip(NEXT) | instid1(VALU_DEP_4)
	v_fma_f32 v6, v172, v8, -v7
	v_add_f32_e32 v3, v4, v213
	v_mul_f32_e32 v4, v177, v13
	v_fma_f32 v5, v174, v10, -v5
	v_dual_mul_f32 v222, v188, v145 :: v_dual_mul_f32 v223, v190, v147
	v_add_f32_e32 v2, v2, v6
	v_mul_f32_e32 v6, v179, v15
	v_add_f32_e32 v3, v3, v214
	v_fma_f32 v4, v176, v12, -v4
	v_dual_fmac_f32 v221, v187, v142 :: v_dual_fmac_f32 v222, v189, v144
	s_delay_alu instid0(VALU_DEP_3) | instskip(SKIP_2) | instid1(VALU_DEP_3)
	v_dual_add_f32 v2, v2, v5 :: v_dual_add_f32 v3, v3, v215
	v_mul_f32_e32 v5, v181, v17
	v_fma_f32 v6, v178, v14, -v6
	v_dual_fmac_f32 v219, v183, v18 :: v_dual_add_f32 v2, v2, v4
	s_delay_alu instid0(VALU_DEP_4) | instskip(SKIP_3) | instid1(VALU_DEP_4)
	v_add_f32_e32 v3, v3, v216
	v_mul_f32_e32 v4, v183, v19
	v_fma_f32 v5, v180, v16, -v5
	v_fmac_f32_e32 v220, v185, v20
	v_dual_add_f32 v2, v2, v6 :: v_dual_add_f32 v3, v3, v217
	v_mul_f32_e32 v6, v185, v21
	v_fma_f32 v4, v182, v18, -v4
	v_dual_mul_f32 v224, v192, v149 :: v_dual_mul_f32 v225, v194, v151
	s_delay_alu instid0(VALU_DEP_4) | instskip(SKIP_3) | instid1(VALU_DEP_4)
	v_dual_add_f32 v2, v2, v5 :: v_dual_add_f32 v3, v3, v218
	v_mul_f32_e32 v5, v187, v143
	v_fma_f32 v6, v184, v20, -v6
	v_dual_mul_f32 v226, v196, v153 :: v_dual_mul_f32 v227, v198, v155
	v_dual_add_f32 v2, v2, v4 :: v_dual_add_f32 v3, v3, v219
	v_mul_f32_e32 v4, v189, v145
	v_fma_f32 v5, v186, v142, -v5
	v_fmac_f32_e32 v223, v191, v146
	s_delay_alu instid0(VALU_DEP_4) | instskip(SKIP_3) | instid1(VALU_DEP_4)
	v_dual_add_f32 v2, v2, v6 :: v_dual_add_f32 v3, v3, v220
	v_mul_f32_e32 v6, v191, v147
	v_fma_f32 v4, v188, v144, -v4
	v_fmac_f32_e32 v224, v193, v148
	v_add_f32_e32 v2, v2, v5
	v_add_f32_e32 v3, v3, v221
	v_mul_f32_e32 v5, v193, v149
	v_fma_f32 v6, v190, v146, -v6
	s_delay_alu instid0(VALU_DEP_4) | instskip(NEXT) | instid1(VALU_DEP_4)
	v_dual_fmac_f32 v225, v195, v150 :: v_dual_add_f32 v2, v2, v4
	v_add_f32_e32 v3, v3, v222
	v_mul_f32_e32 v4, v195, v151
	v_fma_f32 v5, v192, v148, -v5
	v_dual_mul_f32 v228, v200, v157 :: v_dual_mul_f32 v229, v202, v159
	s_delay_alu instid0(VALU_DEP_4) | instskip(SKIP_3) | instid1(VALU_DEP_4)
	v_dual_add_f32 v2, v2, v6 :: v_dual_add_f32 v3, v3, v223
	v_mul_f32_e32 v6, v197, v153
	v_fma_f32 v4, v194, v150, -v4
	v_fmac_f32_e32 v226, v197, v152
	v_dual_add_f32 v2, v2, v5 :: v_dual_add_f32 v3, v3, v224
	v_mul_f32_e32 v5, v199, v155
	v_fma_f32 v6, v196, v152, -v6
	s_delay_alu instid0(VALU_DEP_3) | instskip(NEXT) | instid1(VALU_DEP_4)
	v_dual_fmac_f32 v227, v199, v154 :: v_dual_add_f32 v2, v2, v4
	v_add_f32_e32 v3, v3, v225
	v_mul_f32_e32 v4, v201, v157
	v_fma_f32 v5, v198, v154, -v5
	v_dual_fmac_f32 v228, v201, v156 :: v_dual_fmac_f32 v229, v203, v158
	s_delay_alu instid0(VALU_DEP_4) | instskip(SKIP_4) | instid1(VALU_DEP_4)
	v_add_f32_e32 v3, v3, v226
	v_add_f32_e32 v2, v2, v6
	v_mul_f32_e32 v6, v203, v159
	v_fma_f32 v4, v200, v156, -v4
	v_dual_mul_f32 v231, v206, v163 :: v_dual_mul_f32 v232, v208, v165
	v_dual_add_f32 v3, v3, v227 :: v_dual_add_f32 v2, v2, v5
	v_mul_f32_e32 v5, v205, v161
	v_fma_f32 v6, v202, v158, -v6
	s_delay_alu instid0(VALU_DEP_4) | instskip(NEXT) | instid1(VALU_DEP_4)
	v_dual_fmac_f32 v230, v205, v160 :: v_dual_fmac_f32 v231, v207, v162
	v_add_f32_e32 v3, v3, v228
	v_add_f32_e32 v2, v2, v4
	v_mul_f32_e32 v4, v207, v163
	v_fma_f32 v5, v204, v160, -v5
	v_fmac_f32_e32 v233, v211, v22
	s_delay_alu instid0(VALU_DEP_4) | instskip(SKIP_2) | instid1(VALU_DEP_3)
	v_dual_add_f32 v3, v3, v229 :: v_dual_add_f32 v2, v2, v6
	v_mul_f32_e32 v6, v209, v165
	v_fma_f32 v4, v206, v162, -v4
	v_dual_add_f32 v3, v3, v230 :: v_dual_add_f32 v2, v2, v5
	v_dual_mul_f32 v5, v211, v23 :: v_dual_fmac_f32 v232, v209, v164
	s_delay_alu instid0(VALU_DEP_4) | instskip(NEXT) | instid1(VALU_DEP_3)
	v_fma_f32 v6, v208, v164, -v6
	v_dual_add_f32 v3, v3, v231 :: v_dual_add_f32 v2, v2, v4
	s_delay_alu instid0(VALU_DEP_3) | instskip(NEXT) | instid1(VALU_DEP_2)
	v_fma_f32 v4, v210, v22, -v5
	v_dual_add_f32 v3, v3, v232 :: v_dual_add_f32 v2, v2, v6
	s_delay_alu instid0(VALU_DEP_1) | instskip(SKIP_1) | instid1(VALU_DEP_1)
	v_dual_add_f32 v3, v3, v233 :: v_dual_add_f32 v2, v2, v4
	s_wait_loadcnt 0x0
	v_dual_sub_f32 v3, v140, v3 :: v_dual_sub_f32 v2, v139, v2
	scratch_store_b64 off, v[2:3], off offset:264
	v_cmpx_lt_u32_e32 32, v0
	s_cbranch_execz .LBB120_291
; %bb.290:
	scratch_load_b64 v[3:4], off, off offset:256
	v_mov_b32_e32 v2, v1
	scratch_store_b64 off, v[1:2], off offset:256
	s_wait_loadcnt 0x0
	ds_store_b64 v141, v[3:4]
.LBB120_291:
	s_wait_alu 0xfffe
	s_or_b32 exec_lo, exec_lo, s0
	s_wait_storecnt_dscnt 0x0
	s_barrier_signal -1
	s_barrier_wait -1
	global_inv scope:SCOPE_SE
	s_clause 0xc
	scratch_load_b128 v[2:5], off, off offset:264
	scratch_load_b128 v[6:9], off, off offset:280
	;; [unrolled: 1-line block ×12, first 2 shown]
	scratch_load_b64 v[22:23], off, off offset:256
	ds_load_2addr_b64 v[170:173], v1 offset0:91 offset1:92
	ds_load_2addr_b64 v[174:177], v1 offset0:93 offset1:94
	;; [unrolled: 1-line block ×12, first 2 shown]
	s_mov_b32 s0, exec_lo
	s_wait_loadcnt_dscnt 0xc0b
	v_dual_mul_f32 v1, v170, v3 :: v_dual_mul_f32 v24, v172, v5
	v_mul_f32_e32 v3, v171, v3
	v_mul_f32_e32 v5, v173, v5
	s_wait_loadcnt_dscnt 0xb0a
	v_dual_mul_f32 v139, v174, v7 :: v_dual_mul_f32 v140, v176, v9
	v_fmac_f32_e32 v24, v173, v4
	v_fma_f32 v3, v170, v2, -v3
	s_wait_loadcnt_dscnt 0xa09
	v_dual_mul_f32 v218, v178, v11 :: v_dual_mul_f32 v219, v180, v13
	v_dual_fmac_f32 v1, v171, v2 :: v_dual_fmac_f32 v140, v177, v8
	v_mul_f32_e32 v2, v175, v7
	v_fma_f32 v4, v172, v4, -v5
	s_delay_alu instid0(VALU_DEP_4) | instskip(NEXT) | instid1(VALU_DEP_4)
	v_dual_add_f32 v3, 0, v3 :: v_dual_fmac_f32 v218, v179, v10
	v_add_f32_e32 v1, 0, v1
	s_delay_alu instid0(VALU_DEP_4) | instskip(SKIP_4) | instid1(VALU_DEP_3)
	v_fma_f32 v2, v174, v6, -v2
	s_wait_loadcnt_dscnt 0x908
	v_dual_mul_f32 v220, v182, v15 :: v_dual_mul_f32 v221, v184, v17
	v_add_f32_e32 v3, v3, v4
	v_dual_mul_f32 v5, v177, v9 :: v_dual_mul_f32 v4, v179, v11
	v_dual_add_f32 v1, v1, v24 :: v_dual_fmac_f32 v220, v183, v14
	s_delay_alu instid0(VALU_DEP_3) | instskip(NEXT) | instid1(VALU_DEP_3)
	v_add_f32_e32 v2, v3, v2
	v_fma_f32 v5, v176, v8, -v5
	v_fmac_f32_e32 v139, v175, v6
	v_fma_f32 v4, v178, v10, -v4
	s_wait_loadcnt_dscnt 0x807
	v_dual_mul_f32 v222, v186, v19 :: v_dual_mul_f32 v223, v188, v21
	s_delay_alu instid0(VALU_DEP_3) | instskip(NEXT) | instid1(VALU_DEP_2)
	v_dual_add_f32 v2, v2, v5 :: v_dual_add_f32 v1, v1, v139
	v_dual_mul_f32 v3, v181, v13 :: v_dual_fmac_f32 v222, v187, v18
	s_wait_loadcnt_dscnt 0x706
	v_dual_mul_f32 v224, v190, v143 :: v_dual_mul_f32 v225, v192, v145
	s_delay_alu instid0(VALU_DEP_3)
	v_add_f32_e32 v2, v2, v4
	v_mul_f32_e32 v4, v185, v17
	v_fma_f32 v3, v180, v12, -v3
	s_wait_loadcnt_dscnt 0x504
	v_dual_add_f32 v1, v1, v140 :: v_dual_mul_f32 v228, v198, v151
	v_mul_f32_e32 v229, v200, v153
	v_fma_f32 v4, v184, v16, -v4
	v_mul_f32_e32 v5, v183, v15
	s_delay_alu instid0(VALU_DEP_4) | instskip(SKIP_1) | instid1(VALU_DEP_3)
	v_dual_add_f32 v2, v2, v3 :: v_dual_add_f32 v1, v1, v218
	v_dual_mul_f32 v226, v194, v147 :: v_dual_mul_f32 v227, v196, v149
	v_fma_f32 v5, v182, v14, -v5
	v_dual_fmac_f32 v219, v181, v12 :: v_dual_fmac_f32 v224, v191, v142
	s_delay_alu instid0(VALU_DEP_3)
	v_fmac_f32_e32 v226, v195, v146
	s_wait_loadcnt_dscnt 0x201
	v_dual_mul_f32 v234, v210, v163 :: v_dual_mul_f32 v235, v212, v165
	v_add_f32_e32 v2, v2, v5
	v_dual_mul_f32 v230, v202, v155 :: v_dual_mul_f32 v231, v204, v157
	v_dual_fmac_f32 v225, v193, v144 :: v_dual_mul_f32 v232, v206, v159
	s_delay_alu instid0(VALU_DEP_3) | instskip(SKIP_2) | instid1(VALU_DEP_4)
	v_dual_mul_f32 v233, v208, v161 :: v_dual_add_f32 v2, v2, v4
	v_mul_f32_e32 v4, v191, v143
	v_add_f32_e32 v1, v1, v219
	v_dual_fmac_f32 v227, v197, v148 :: v_dual_fmac_f32 v232, v207, v158
	v_fmac_f32_e32 v228, v199, v150
	s_delay_alu instid0(VALU_DEP_4)
	v_fma_f32 v4, v190, v142, -v4
	v_mul_f32_e32 v5, v189, v21
	v_add_f32_e32 v1, v1, v220
	s_wait_loadcnt_dscnt 0x100
	v_dual_fmac_f32 v229, v201, v152 :: v_dual_mul_f32 v236, v214, v167
	v_mul_f32_e32 v237, v216, v169
	v_fma_f32 v5, v188, v20, -v5
	v_mul_f32_e32 v3, v187, v19
	v_dual_fmac_f32 v235, v213, v164 :: v_dual_fmac_f32 v234, v211, v162
	s_delay_alu instid0(VALU_DEP_4) | instskip(NEXT) | instid1(VALU_DEP_3)
	v_dual_fmac_f32 v237, v217, v168 :: v_dual_fmac_f32 v230, v203, v154
	v_fma_f32 v3, v186, v18, -v3
	v_dual_fmac_f32 v221, v185, v16 :: v_dual_fmac_f32 v236, v215, v166
	s_delay_alu instid0(VALU_DEP_2) | instskip(NEXT) | instid1(VALU_DEP_1)
	v_dual_add_f32 v2, v2, v3 :: v_dual_mul_f32 v3, v193, v145
	v_dual_add_f32 v2, v2, v5 :: v_dual_mul_f32 v5, v195, v147
	s_delay_alu instid0(VALU_DEP_2) | instskip(NEXT) | instid1(VALU_DEP_2)
	v_fma_f32 v3, v192, v144, -v3
	v_dual_add_f32 v2, v2, v4 :: v_dual_add_f32 v1, v1, v221
	v_mul_f32_e32 v4, v197, v149
	s_delay_alu instid0(VALU_DEP_4) | instskip(NEXT) | instid1(VALU_DEP_3)
	v_fma_f32 v5, v194, v146, -v5
	v_dual_add_f32 v2, v2, v3 :: v_dual_fmac_f32 v223, v189, v20
	s_delay_alu instid0(VALU_DEP_3) | instskip(NEXT) | instid1(VALU_DEP_2)
	v_fma_f32 v4, v196, v148, -v4
	v_add_f32_e32 v2, v2, v5
	v_mul_f32_e32 v5, v201, v153
	s_delay_alu instid0(VALU_DEP_2) | instskip(NEXT) | instid1(VALU_DEP_2)
	v_dual_add_f32 v1, v1, v222 :: v_dual_add_f32 v2, v2, v4
	v_fma_f32 v5, v200, v152, -v5
	v_mul_f32_e32 v3, v199, v151
	s_delay_alu instid0(VALU_DEP_3) | instskip(SKIP_1) | instid1(VALU_DEP_3)
	v_add_f32_e32 v1, v1, v223
	v_mul_f32_e32 v4, v203, v155
	v_fma_f32 v3, v198, v150, -v3
	s_delay_alu instid0(VALU_DEP_3) | instskip(NEXT) | instid1(VALU_DEP_3)
	v_add_f32_e32 v1, v1, v224
	v_fma_f32 v4, v202, v154, -v4
	s_delay_alu instid0(VALU_DEP_3) | instskip(NEXT) | instid1(VALU_DEP_1)
	v_add_f32_e32 v2, v2, v3
	v_add_f32_e32 v2, v2, v5
	s_delay_alu instid0(VALU_DEP_4) | instskip(NEXT) | instid1(VALU_DEP_2)
	v_add_f32_e32 v1, v1, v225
	v_dual_mul_f32 v5, v207, v159 :: v_dual_add_f32 v2, v2, v4
	v_mul_f32_e32 v4, v209, v161
	s_delay_alu instid0(VALU_DEP_2) | instskip(NEXT) | instid1(VALU_DEP_2)
	v_fma_f32 v5, v206, v158, -v5
	v_fma_f32 v4, v208, v160, -v4
	v_mul_f32_e32 v3, v205, v157
	s_delay_alu instid0(VALU_DEP_1) | instskip(NEXT) | instid1(VALU_DEP_1)
	v_fma_f32 v3, v204, v156, -v3
	v_dual_add_f32 v1, v1, v226 :: v_dual_add_f32 v2, v2, v3
	s_delay_alu instid0(VALU_DEP_1) | instskip(NEXT) | instid1(VALU_DEP_2)
	v_add_f32_e32 v1, v1, v227
	v_dual_mul_f32 v3, v211, v163 :: v_dual_add_f32 v2, v2, v5
	v_mul_f32_e32 v5, v213, v165
	s_delay_alu instid0(VALU_DEP_2) | instskip(NEXT) | instid1(VALU_DEP_3)
	v_fma_f32 v3, v210, v162, -v3
	v_add_f32_e32 v2, v2, v4
	v_dual_add_f32 v1, v1, v228 :: v_dual_mul_f32 v4, v215, v167
	s_delay_alu instid0(VALU_DEP_4) | instskip(NEXT) | instid1(VALU_DEP_2)
	v_fma_f32 v5, v212, v164, -v5
	v_dual_add_f32 v2, v2, v3 :: v_dual_add_f32 v1, v1, v229
	v_fmac_f32_e32 v231, v205, v156
	s_delay_alu instid0(VALU_DEP_4) | instskip(SKIP_1) | instid1(VALU_DEP_4)
	v_fma_f32 v4, v214, v166, -v4
	v_mul_f32_e32 v3, v217, v169
	v_dual_add_f32 v2, v2, v5 :: v_dual_add_f32 v1, v1, v230
	s_delay_alu instid0(VALU_DEP_2) | instskip(NEXT) | instid1(VALU_DEP_2)
	v_fma_f32 v3, v216, v168, -v3
	v_dual_add_f32 v2, v2, v4 :: v_dual_add_f32 v1, v1, v231
	s_delay_alu instid0(VALU_DEP_1) | instskip(NEXT) | instid1(VALU_DEP_2)
	v_dual_fmac_f32 v233, v209, v160 :: v_dual_add_f32 v2, v2, v3
	v_add_f32_e32 v1, v1, v232
	s_delay_alu instid0(VALU_DEP_1) | instskip(NEXT) | instid1(VALU_DEP_1)
	v_add_f32_e32 v1, v1, v233
	v_add_f32_e32 v1, v1, v234
	s_delay_alu instid0(VALU_DEP_1) | instskip(NEXT) | instid1(VALU_DEP_1)
	v_add_f32_e32 v1, v1, v235
	v_add_f32_e32 v1, v1, v236
	s_delay_alu instid0(VALU_DEP_1) | instskip(SKIP_1) | instid1(VALU_DEP_1)
	v_add_f32_e32 v3, v1, v237
	s_wait_loadcnt 0x0
	v_dual_sub_f32 v1, v22, v2 :: v_dual_sub_f32 v2, v23, v3
	scratch_store_b64 off, v[1:2], off offset:256
	v_cmpx_lt_u32_e32 31, v0
	s_cbranch_execz .LBB120_293
; %bb.292:
	scratch_load_b64 v[1:2], off, off offset:248
	v_mov_b32_e32 v3, 0
	s_delay_alu instid0(VALU_DEP_1)
	v_mov_b32_e32 v4, v3
	scratch_store_b64 off, v[3:4], off offset:248
	s_wait_loadcnt 0x0
	ds_store_b64 v141, v[1:2]
.LBB120_293:
	s_wait_alu 0xfffe
	s_or_b32 exec_lo, exec_lo, s0
	s_wait_storecnt_dscnt 0x0
	s_barrier_signal -1
	s_barrier_wait -1
	global_inv scope:SCOPE_SE
	s_clause 0xd
	scratch_load_b128 v[2:5], off, off offset:256
	scratch_load_b128 v[6:9], off, off offset:272
	scratch_load_b128 v[10:13], off, off offset:288
	scratch_load_b128 v[14:17], off, off offset:304
	scratch_load_b128 v[18:21], off, off offset:320
	scratch_load_b128 v[142:145], off, off offset:336
	scratch_load_b128 v[146:149], off, off offset:352
	scratch_load_b128 v[150:153], off, off offset:368
	scratch_load_b128 v[154:157], off, off offset:384
	scratch_load_b128 v[158:161], off, off offset:400
	scratch_load_b128 v[162:165], off, off offset:416
	scratch_load_b128 v[166:169], off, off offset:432
	scratch_load_b64 v[22:23], off, off offset:448
	scratch_load_b64 v[139:140], off, off offset:248
	v_mov_b32_e32 v1, 0
	ds_load_b128 v[170:173], v1 offset:720
	ds_load_b128 v[174:177], v1 offset:736
	;; [unrolled: 1-line block ×12, first 2 shown]
	ds_load_b64 v[218:219], v1 offset:912
	s_mov_b32 s0, exec_lo
	s_wait_loadcnt_dscnt 0xd0c
	v_mul_f32_e32 v24, v170, v3
	s_wait_loadcnt_dscnt 0xc0b
	v_dual_mul_f32 v220, v172, v5 :: v_dual_mul_f32 v221, v174, v7
	v_mul_f32_e32 v5, v173, v5
	s_wait_loadcnt_dscnt 0xb0a
	v_dual_mul_f32 v222, v176, v9 :: v_dual_mul_f32 v223, v178, v11
	v_dual_mul_f32 v3, v171, v3 :: v_dual_mul_f32 v224, v180, v13
	s_wait_loadcnt_dscnt 0xa09
	v_dual_mul_f32 v225, v182, v15 :: v_dual_fmac_f32 v24, v171, v2
	s_wait_loadcnt_dscnt 0x302
	v_mul_f32_e32 v240, v212, v165
	v_fma_f32 v3, v170, v2, -v3
	s_wait_loadcnt_dscnt 0x100
	v_mul_f32_e32 v243, v218, v23
	v_mul_f32_e32 v2, v175, v7
	v_fmac_f32_e32 v220, v173, v4
	v_fma_f32 v4, v172, v4, -v5
	v_add_f32_e32 v3, 0, v3
	v_dual_fmac_f32 v223, v179, v10 :: v_dual_fmac_f32 v224, v181, v12
	v_fma_f32 v2, v174, v6, -v2
	v_dual_mul_f32 v226, v184, v17 :: v_dual_mul_f32 v227, v186, v19
	s_delay_alu instid0(VALU_DEP_4) | instskip(SKIP_1) | instid1(VALU_DEP_3)
	v_add_f32_e32 v3, v3, v4
	v_add_f32_e32 v5, 0, v24
	v_dual_fmac_f32 v225, v183, v14 :: v_dual_fmac_f32 v226, v185, v16
	v_fmac_f32_e32 v222, v177, v8
	s_delay_alu instid0(VALU_DEP_4) | instskip(NEXT) | instid1(VALU_DEP_4)
	v_dual_add_f32 v2, v3, v2 :: v_dual_mul_f32 v7, v177, v9
	v_dual_fmac_f32 v221, v175, v6 :: v_dual_add_f32 v4, v5, v220
	v_dual_mul_f32 v5, v179, v11 :: v_dual_mul_f32 v228, v188, v21
	v_mul_f32_e32 v229, v190, v143
	s_delay_alu instid0(VALU_DEP_4) | instskip(NEXT) | instid1(VALU_DEP_4)
	v_fma_f32 v6, v176, v8, -v7
	v_add_f32_e32 v3, v4, v221
	v_mul_f32_e32 v4, v181, v13
	v_fma_f32 v5, v178, v10, -v5
	v_dual_mul_f32 v230, v192, v145 :: v_dual_mul_f32 v231, v194, v147
	v_add_f32_e32 v2, v2, v6
	v_mul_f32_e32 v6, v183, v15
	v_add_f32_e32 v3, v3, v222
	v_fma_f32 v4, v180, v12, -v4
	v_dual_fmac_f32 v229, v191, v142 :: v_dual_fmac_f32 v230, v193, v144
	s_delay_alu instid0(VALU_DEP_3) | instskip(SKIP_3) | instid1(VALU_DEP_4)
	v_dual_add_f32 v2, v2, v5 :: v_dual_add_f32 v3, v3, v223
	v_mul_f32_e32 v5, v185, v17
	v_fma_f32 v6, v182, v14, -v6
	v_dual_mul_f32 v232, v196, v149 :: v_dual_mul_f32 v233, v198, v151
	v_add_f32_e32 v2, v2, v4
	v_add_f32_e32 v3, v3, v224
	v_mul_f32_e32 v4, v187, v19
	v_fma_f32 v5, v184, v16, -v5
	v_fmac_f32_e32 v227, v187, v18
	s_delay_alu instid0(VALU_DEP_4) | instskip(SKIP_3) | instid1(VALU_DEP_4)
	v_dual_add_f32 v2, v2, v6 :: v_dual_add_f32 v3, v3, v225
	v_fmac_f32_e32 v228, v189, v20
	v_mul_f32_e32 v6, v189, v21
	v_fma_f32 v4, v186, v18, -v4
	v_dual_add_f32 v2, v2, v5 :: v_dual_add_f32 v3, v3, v226
	v_mul_f32_e32 v5, v191, v143
	s_delay_alu instid0(VALU_DEP_4) | instskip(SKIP_1) | instid1(VALU_DEP_4)
	v_fma_f32 v6, v188, v20, -v6
	v_dual_mul_f32 v234, v200, v153 :: v_dual_mul_f32 v235, v202, v155
	v_dual_add_f32 v2, v2, v4 :: v_dual_add_f32 v3, v3, v227
	v_mul_f32_e32 v4, v193, v145
	v_fma_f32 v5, v190, v142, -v5
	v_fmac_f32_e32 v231, v195, v146
	s_delay_alu instid0(VALU_DEP_4) | instskip(SKIP_3) | instid1(VALU_DEP_4)
	v_dual_add_f32 v2, v2, v6 :: v_dual_add_f32 v3, v3, v228
	v_mul_f32_e32 v6, v195, v147
	v_fma_f32 v4, v192, v144, -v4
	v_fmac_f32_e32 v232, v197, v148
	v_add_f32_e32 v2, v2, v5
	v_add_f32_e32 v3, v3, v229
	v_mul_f32_e32 v5, v197, v149
	v_fma_f32 v6, v194, v146, -v6
	s_delay_alu instid0(VALU_DEP_4) | instskip(NEXT) | instid1(VALU_DEP_4)
	v_dual_fmac_f32 v233, v199, v150 :: v_dual_add_f32 v2, v2, v4
	v_add_f32_e32 v3, v3, v230
	v_mul_f32_e32 v4, v199, v151
	v_fma_f32 v5, v196, v148, -v5
	v_dual_mul_f32 v236, v204, v157 :: v_dual_mul_f32 v237, v206, v159
	s_delay_alu instid0(VALU_DEP_4) | instskip(SKIP_3) | instid1(VALU_DEP_4)
	v_dual_add_f32 v2, v2, v6 :: v_dual_add_f32 v3, v3, v231
	v_mul_f32_e32 v6, v201, v153
	v_fma_f32 v4, v198, v150, -v4
	v_fmac_f32_e32 v234, v201, v152
	v_dual_add_f32 v2, v2, v5 :: v_dual_add_f32 v3, v3, v232
	v_mul_f32_e32 v5, v203, v155
	v_fma_f32 v6, v200, v152, -v6
	s_delay_alu instid0(VALU_DEP_3) | instskip(NEXT) | instid1(VALU_DEP_4)
	v_dual_fmac_f32 v235, v203, v154 :: v_dual_add_f32 v2, v2, v4
	v_add_f32_e32 v3, v3, v233
	v_mul_f32_e32 v4, v205, v157
	v_fma_f32 v5, v202, v154, -v5
	v_fmac_f32_e32 v236, v205, v156
	v_dual_mul_f32 v238, v208, v161 :: v_dual_mul_f32 v239, v210, v163
	v_add_f32_e32 v3, v3, v234
	v_add_f32_e32 v2, v2, v6
	v_mul_f32_e32 v6, v207, v159
	v_fma_f32 v4, v204, v156, -v4
	v_fmac_f32_e32 v237, v207, v158
	s_delay_alu instid0(VALU_DEP_4) | instskip(SKIP_3) | instid1(VALU_DEP_4)
	v_dual_add_f32 v3, v3, v235 :: v_dual_add_f32 v2, v2, v5
	v_mul_f32_e32 v5, v209, v161
	v_fma_f32 v6, v206, v158, -v6
	v_dual_fmac_f32 v238, v209, v160 :: v_dual_fmac_f32 v239, v211, v162
	v_add_f32_e32 v3, v3, v236
	v_add_f32_e32 v2, v2, v4
	v_mul_f32_e32 v4, v211, v163
	v_fma_f32 v5, v208, v160, -v5
	v_dual_mul_f32 v241, v214, v167 :: v_dual_mul_f32 v242, v216, v169
	s_delay_alu instid0(VALU_DEP_4) | instskip(SKIP_2) | instid1(VALU_DEP_4)
	v_dual_add_f32 v3, v3, v237 :: v_dual_add_f32 v2, v2, v6
	v_mul_f32_e32 v6, v213, v165
	v_fma_f32 v4, v210, v162, -v4
	v_fmac_f32_e32 v241, v215, v166
	s_delay_alu instid0(VALU_DEP_4) | instskip(SKIP_2) | instid1(VALU_DEP_3)
	v_dual_add_f32 v3, v3, v238 :: v_dual_add_f32 v2, v2, v5
	v_dual_mul_f32 v5, v215, v167 :: v_dual_fmac_f32 v240, v213, v164
	v_fma_f32 v6, v212, v164, -v6
	v_dual_add_f32 v3, v3, v239 :: v_dual_add_f32 v2, v2, v4
	v_mul_f32_e32 v4, v217, v169
	s_delay_alu instid0(VALU_DEP_4) | instskip(SKIP_1) | instid1(VALU_DEP_4)
	v_fma_f32 v5, v214, v166, -v5
	v_dual_fmac_f32 v242, v217, v168 :: v_dual_fmac_f32 v243, v219, v22
	v_dual_add_f32 v3, v3, v240 :: v_dual_add_f32 v2, v2, v6
	v_mul_f32_e32 v6, v219, v23
	v_fma_f32 v4, v216, v168, -v4
	s_delay_alu instid0(VALU_DEP_3) | instskip(NEXT) | instid1(VALU_DEP_4)
	v_add_f32_e32 v3, v3, v241
	v_add_f32_e32 v2, v2, v5
	s_delay_alu instid0(VALU_DEP_4) | instskip(NEXT) | instid1(VALU_DEP_2)
	v_fma_f32 v5, v218, v22, -v6
	v_dual_add_f32 v3, v3, v242 :: v_dual_add_f32 v2, v2, v4
	s_delay_alu instid0(VALU_DEP_1) | instskip(SKIP_1) | instid1(VALU_DEP_1)
	v_dual_add_f32 v3, v3, v243 :: v_dual_add_f32 v2, v2, v5
	s_wait_loadcnt 0x0
	v_dual_sub_f32 v3, v140, v3 :: v_dual_sub_f32 v2, v139, v2
	scratch_store_b64 off, v[2:3], off offset:248
	v_cmpx_lt_u32_e32 30, v0
	s_cbranch_execz .LBB120_295
; %bb.294:
	scratch_load_b64 v[3:4], off, off offset:240
	v_mov_b32_e32 v2, v1
	scratch_store_b64 off, v[1:2], off offset:240
	s_wait_loadcnt 0x0
	ds_store_b64 v141, v[3:4]
.LBB120_295:
	s_wait_alu 0xfffe
	s_or_b32 exec_lo, exec_lo, s0
	s_wait_storecnt_dscnt 0x0
	s_barrier_signal -1
	s_barrier_wait -1
	global_inv scope:SCOPE_SE
	s_clause 0xd
	scratch_load_b128 v[2:5], off, off offset:248
	scratch_load_b128 v[6:9], off, off offset:264
	;; [unrolled: 1-line block ×13, first 2 shown]
	scratch_load_b64 v[22:23], off, off offset:240
	ds_load_2addr_b64 v[174:177], v1 offset0:89 offset1:90
	ds_load_2addr_b64 v[178:181], v1 offset0:91 offset1:92
	;; [unrolled: 1-line block ×13, first 2 shown]
	s_mov_b32 s0, exec_lo
	s_wait_loadcnt_dscnt 0xd0c
	v_dual_mul_f32 v1, v174, v3 :: v_dual_mul_f32 v24, v176, v5
	v_mul_f32_e32 v3, v175, v3
	v_mul_f32_e32 v5, v177, v5
	s_wait_loadcnt_dscnt 0xc0b
	v_dual_mul_f32 v139, v178, v7 :: v_dual_mul_f32 v140, v180, v9
	v_fmac_f32_e32 v24, v177, v4
	v_fma_f32 v3, v174, v2, -v3
	s_wait_loadcnt_dscnt 0xb0a
	v_dual_mul_f32 v226, v182, v11 :: v_dual_mul_f32 v227, v184, v13
	v_dual_fmac_f32 v1, v175, v2 :: v_dual_fmac_f32 v140, v181, v8
	v_mul_f32_e32 v2, v179, v7
	v_fma_f32 v4, v176, v4, -v5
	s_delay_alu instid0(VALU_DEP_4) | instskip(NEXT) | instid1(VALU_DEP_4)
	v_dual_add_f32 v3, 0, v3 :: v_dual_fmac_f32 v226, v183, v10
	v_add_f32_e32 v1, 0, v1
	s_delay_alu instid0(VALU_DEP_4) | instskip(SKIP_4) | instid1(VALU_DEP_3)
	v_fma_f32 v2, v178, v6, -v2
	s_wait_loadcnt_dscnt 0xa09
	v_dual_mul_f32 v228, v186, v15 :: v_dual_mul_f32 v229, v188, v17
	v_add_f32_e32 v3, v3, v4
	v_dual_mul_f32 v5, v181, v9 :: v_dual_mul_f32 v4, v183, v11
	v_dual_add_f32 v1, v1, v24 :: v_dual_fmac_f32 v228, v187, v14
	s_delay_alu instid0(VALU_DEP_3) | instskip(NEXT) | instid1(VALU_DEP_3)
	v_add_f32_e32 v2, v3, v2
	v_fma_f32 v5, v180, v8, -v5
	v_fmac_f32_e32 v139, v179, v6
	v_fma_f32 v4, v182, v10, -v4
	s_wait_loadcnt_dscnt 0x908
	v_dual_mul_f32 v230, v190, v19 :: v_dual_mul_f32 v231, v192, v21
	s_delay_alu instid0(VALU_DEP_3) | instskip(NEXT) | instid1(VALU_DEP_2)
	v_dual_add_f32 v2, v2, v5 :: v_dual_add_f32 v1, v1, v139
	v_dual_mul_f32 v3, v185, v13 :: v_dual_fmac_f32 v230, v191, v18
	s_wait_loadcnt_dscnt 0x807
	v_dual_mul_f32 v232, v194, v143 :: v_dual_mul_f32 v233, v196, v145
	s_delay_alu instid0(VALU_DEP_3)
	v_add_f32_e32 v2, v2, v4
	v_mul_f32_e32 v4, v189, v17
	v_fma_f32 v3, v184, v12, -v3
	s_wait_loadcnt_dscnt 0x605
	v_dual_add_f32 v1, v1, v140 :: v_dual_mul_f32 v236, v202, v151
	v_mul_f32_e32 v237, v204, v153
	v_fma_f32 v4, v188, v16, -v4
	v_mul_f32_e32 v5, v187, v15
	s_delay_alu instid0(VALU_DEP_4) | instskip(SKIP_1) | instid1(VALU_DEP_3)
	v_dual_add_f32 v2, v2, v3 :: v_dual_add_f32 v1, v1, v226
	v_dual_mul_f32 v234, v198, v147 :: v_dual_mul_f32 v235, v200, v149
	v_fma_f32 v5, v186, v14, -v5
	v_dual_fmac_f32 v227, v185, v12 :: v_dual_fmac_f32 v232, v195, v142
	s_delay_alu instid0(VALU_DEP_3)
	v_fmac_f32_e32 v234, v199, v146
	s_wait_loadcnt_dscnt 0x302
	v_dual_mul_f32 v242, v214, v163 :: v_dual_mul_f32 v243, v216, v165
	v_add_f32_e32 v2, v2, v5
	v_dual_mul_f32 v238, v206, v155 :: v_dual_mul_f32 v239, v208, v157
	v_dual_fmac_f32 v233, v197, v144 :: v_dual_mul_f32 v240, v210, v159
	s_delay_alu instid0(VALU_DEP_3) | instskip(SKIP_2) | instid1(VALU_DEP_4)
	v_dual_mul_f32 v241, v212, v161 :: v_dual_add_f32 v2, v2, v4
	v_mul_f32_e32 v4, v195, v143
	v_add_f32_e32 v1, v1, v227
	v_dual_fmac_f32 v235, v201, v148 :: v_dual_fmac_f32 v240, v211, v158
	v_fmac_f32_e32 v236, v203, v150
	s_delay_alu instid0(VALU_DEP_4)
	v_fma_f32 v4, v194, v142, -v4
	v_mul_f32_e32 v5, v193, v21
	v_add_f32_e32 v1, v1, v228
	s_wait_loadcnt_dscnt 0x201
	v_dual_fmac_f32 v237, v205, v152 :: v_dual_mul_f32 v244, v218, v167
	v_mul_f32_e32 v245, v220, v169
	v_fma_f32 v5, v192, v20, -v5
	v_mul_f32_e32 v3, v191, v19
	s_wait_loadcnt_dscnt 0x100
	v_dual_mul_f32 v246, v222, v171 :: v_dual_mul_f32 v247, v224, v173
	v_fmac_f32_e32 v243, v217, v164
	v_fmac_f32_e32 v245, v221, v168
	v_fma_f32 v3, v190, v18, -v3
	v_fmac_f32_e32 v229, v189, v16
	v_dual_fmac_f32 v247, v225, v172 :: v_dual_fmac_f32 v242, v215, v162
	v_fmac_f32_e32 v238, v207, v154
	s_delay_alu instid0(VALU_DEP_4) | instskip(SKIP_2) | instid1(VALU_DEP_3)
	v_dual_add_f32 v2, v2, v3 :: v_dual_mul_f32 v3, v197, v145
	v_fmac_f32_e32 v244, v219, v166
	v_fmac_f32_e32 v246, v223, v170
	v_dual_add_f32 v2, v2, v5 :: v_dual_mul_f32 v5, v199, v147
	s_delay_alu instid0(VALU_DEP_4) | instskip(NEXT) | instid1(VALU_DEP_2)
	v_fma_f32 v3, v196, v144, -v3
	v_dual_add_f32 v2, v2, v4 :: v_dual_add_f32 v1, v1, v229
	v_mul_f32_e32 v4, v201, v149
	s_delay_alu instid0(VALU_DEP_4) | instskip(NEXT) | instid1(VALU_DEP_3)
	v_fma_f32 v5, v198, v146, -v5
	v_dual_add_f32 v2, v2, v3 :: v_dual_fmac_f32 v231, v193, v20
	s_delay_alu instid0(VALU_DEP_3) | instskip(NEXT) | instid1(VALU_DEP_2)
	v_fma_f32 v4, v200, v148, -v4
	v_add_f32_e32 v2, v2, v5
	v_mul_f32_e32 v5, v205, v153
	s_delay_alu instid0(VALU_DEP_2) | instskip(NEXT) | instid1(VALU_DEP_2)
	v_dual_add_f32 v1, v1, v230 :: v_dual_add_f32 v2, v2, v4
	v_fma_f32 v5, v204, v152, -v5
	v_mul_f32_e32 v3, v203, v151
	s_delay_alu instid0(VALU_DEP_3) | instskip(SKIP_1) | instid1(VALU_DEP_3)
	v_add_f32_e32 v1, v1, v231
	v_mul_f32_e32 v4, v207, v155
	v_fma_f32 v3, v202, v150, -v3
	s_delay_alu instid0(VALU_DEP_3) | instskip(NEXT) | instid1(VALU_DEP_3)
	v_add_f32_e32 v1, v1, v232
	v_fma_f32 v4, v206, v154, -v4
	s_delay_alu instid0(VALU_DEP_3) | instskip(NEXT) | instid1(VALU_DEP_1)
	v_add_f32_e32 v2, v2, v3
	v_add_f32_e32 v2, v2, v5
	s_delay_alu instid0(VALU_DEP_4) | instskip(NEXT) | instid1(VALU_DEP_2)
	v_add_f32_e32 v1, v1, v233
	v_dual_mul_f32 v5, v211, v159 :: v_dual_add_f32 v2, v2, v4
	v_mul_f32_e32 v4, v213, v161
	s_delay_alu instid0(VALU_DEP_2) | instskip(NEXT) | instid1(VALU_DEP_2)
	v_fma_f32 v5, v210, v158, -v5
	v_fma_f32 v4, v212, v160, -v4
	v_mul_f32_e32 v3, v209, v157
	s_delay_alu instid0(VALU_DEP_1) | instskip(NEXT) | instid1(VALU_DEP_1)
	v_fma_f32 v3, v208, v156, -v3
	v_dual_add_f32 v1, v1, v234 :: v_dual_add_f32 v2, v2, v3
	s_delay_alu instid0(VALU_DEP_1) | instskip(NEXT) | instid1(VALU_DEP_2)
	v_add_f32_e32 v1, v1, v235
	v_dual_mul_f32 v3, v215, v163 :: v_dual_add_f32 v2, v2, v5
	v_mul_f32_e32 v5, v217, v165
	s_delay_alu instid0(VALU_DEP_2) | instskip(NEXT) | instid1(VALU_DEP_3)
	v_fma_f32 v3, v214, v162, -v3
	v_add_f32_e32 v2, v2, v4
	v_dual_add_f32 v1, v1, v236 :: v_dual_mul_f32 v4, v219, v167
	s_delay_alu instid0(VALU_DEP_4) | instskip(NEXT) | instid1(VALU_DEP_2)
	v_fma_f32 v5, v216, v164, -v5
	v_dual_add_f32 v2, v2, v3 :: v_dual_add_f32 v1, v1, v237
	v_fmac_f32_e32 v239, v209, v156
	v_mul_f32_e32 v3, v221, v169
	v_fma_f32 v4, v218, v166, -v4
	s_delay_alu instid0(VALU_DEP_4) | instskip(SKIP_1) | instid1(VALU_DEP_4)
	v_dual_add_f32 v2, v2, v5 :: v_dual_add_f32 v1, v1, v238
	v_mul_f32_e32 v5, v223, v171
	v_fma_f32 v3, v220, v168, -v3
	s_delay_alu instid0(VALU_DEP_3) | instskip(SKIP_1) | instid1(VALU_DEP_4)
	v_dual_add_f32 v2, v2, v4 :: v_dual_add_f32 v1, v1, v239
	v_fmac_f32_e32 v241, v213, v160
	v_fma_f32 v5, v222, v170, -v5
	v_mul_f32_e32 v4, v225, v173
	s_delay_alu instid0(VALU_DEP_4) | instskip(NEXT) | instid1(VALU_DEP_2)
	v_dual_add_f32 v2, v2, v3 :: v_dual_add_f32 v1, v1, v240
	v_fma_f32 v3, v224, v172, -v4
	s_delay_alu instid0(VALU_DEP_2) | instskip(NEXT) | instid1(VALU_DEP_1)
	v_add_f32_e32 v2, v2, v5
	v_dual_add_f32 v1, v1, v241 :: v_dual_add_f32 v2, v2, v3
	s_delay_alu instid0(VALU_DEP_1) | instskip(NEXT) | instid1(VALU_DEP_1)
	v_add_f32_e32 v1, v1, v242
	v_add_f32_e32 v1, v1, v243
	s_delay_alu instid0(VALU_DEP_1) | instskip(NEXT) | instid1(VALU_DEP_1)
	v_add_f32_e32 v1, v1, v244
	v_add_f32_e32 v1, v1, v245
	;; [unrolled: 3-line block ×3, first 2 shown]
	s_wait_loadcnt 0x0
	s_delay_alu instid0(VALU_DEP_1)
	v_dual_sub_f32 v1, v22, v2 :: v_dual_sub_f32 v2, v23, v3
	scratch_store_b64 off, v[1:2], off offset:240
	v_cmpx_lt_u32_e32 29, v0
	s_cbranch_execz .LBB120_297
; %bb.296:
	scratch_load_b64 v[1:2], off, off offset:232
	v_mov_b32_e32 v3, 0
	s_delay_alu instid0(VALU_DEP_1)
	v_mov_b32_e32 v4, v3
	scratch_store_b64 off, v[3:4], off offset:232
	s_wait_loadcnt 0x0
	ds_store_b64 v141, v[1:2]
.LBB120_297:
	s_wait_alu 0xfffe
	s_or_b32 exec_lo, exec_lo, s0
	s_wait_storecnt_dscnt 0x0
	s_barrier_signal -1
	s_barrier_wait -1
	global_inv scope:SCOPE_SE
	s_clause 0xe
	scratch_load_b128 v[2:5], off, off offset:240
	scratch_load_b128 v[6:9], off, off offset:256
	;; [unrolled: 1-line block ×13, first 2 shown]
	scratch_load_b64 v[22:23], off, off offset:448
	scratch_load_b64 v[139:140], off, off offset:232
	v_mov_b32_e32 v1, 0
	ds_load_b128 v[174:177], v1 offset:704
	ds_load_b128 v[178:181], v1 offset:720
	;; [unrolled: 1-line block ×13, first 2 shown]
	ds_load_b64 v[226:227], v1 offset:912
	s_mov_b32 s0, exec_lo
	s_wait_loadcnt_dscnt 0xe0d
	v_mul_f32_e32 v24, v174, v3
	s_wait_loadcnt_dscnt 0xd0c
	v_dual_mul_f32 v228, v176, v5 :: v_dual_mul_f32 v229, v178, v7
	v_mul_f32_e32 v5, v177, v5
	s_wait_loadcnt_dscnt 0xc0b
	v_dual_mul_f32 v230, v180, v9 :: v_dual_mul_f32 v231, v182, v11
	s_wait_loadcnt_dscnt 0xb0a
	v_dual_mul_f32 v232, v184, v13 :: v_dual_mul_f32 v233, v186, v15
	v_mul_f32_e32 v3, v175, v3
	v_fmac_f32_e32 v24, v175, v2
	s_delay_alu instid0(VALU_DEP_3)
	v_dual_fmac_f32 v231, v183, v10 :: v_dual_fmac_f32 v232, v185, v12
	s_wait_loadcnt_dscnt 0x302
	v_mul_f32_e32 v250, v220, v169
	v_fma_f32 v3, v174, v2, -v3
	s_wait_loadcnt_dscnt 0x100
	v_mul_f32_e32 v253, v226, v23
	v_mul_f32_e32 v2, v179, v7
	v_fmac_f32_e32 v228, v177, v4
	v_fma_f32 v4, v176, v4, -v5
	v_dual_add_f32 v3, 0, v3 :: v_dual_mul_f32 v234, v188, v17
	v_mul_f32_e32 v235, v190, v19
	v_fma_f32 v2, v178, v6, -v2
	v_fmac_f32_e32 v233, v187, v14
	s_delay_alu instid0(VALU_DEP_4) | instskip(SKIP_2) | instid1(VALU_DEP_3)
	v_add_f32_e32 v3, v3, v4
	v_dual_add_f32 v5, 0, v24 :: v_dual_mul_f32 v236, v192, v21
	v_dual_mul_f32 v237, v194, v143 :: v_dual_fmac_f32 v230, v181, v8
	v_dual_add_f32 v2, v3, v2 :: v_dual_mul_f32 v7, v181, v9
	s_delay_alu instid0(VALU_DEP_3) | instskip(SKIP_1) | instid1(VALU_DEP_3)
	v_dual_fmac_f32 v229, v179, v6 :: v_dual_add_f32 v4, v5, v228
	v_dual_mul_f32 v5, v183, v11 :: v_dual_fmac_f32 v234, v189, v16
	v_fma_f32 v6, v180, v8, -v7
	v_dual_mul_f32 v238, v196, v145 :: v_dual_mul_f32 v239, v198, v147
	s_delay_alu instid0(VALU_DEP_4)
	v_add_f32_e32 v3, v4, v229
	v_mul_f32_e32 v4, v185, v13
	v_fma_f32 v5, v182, v10, -v5
	v_add_f32_e32 v2, v2, v6
	v_mul_f32_e32 v6, v187, v15
	v_add_f32_e32 v3, v3, v230
	v_fma_f32 v4, v184, v12, -v4
	v_dual_fmac_f32 v237, v195, v142 :: v_dual_fmac_f32 v238, v197, v144
	s_delay_alu instid0(VALU_DEP_3) | instskip(SKIP_3) | instid1(VALU_DEP_4)
	v_dual_add_f32 v2, v2, v5 :: v_dual_add_f32 v3, v3, v231
	v_mul_f32_e32 v5, v189, v17
	v_fma_f32 v6, v186, v14, -v6
	v_dual_mul_f32 v240, v200, v149 :: v_dual_mul_f32 v241, v202, v151
	v_add_f32_e32 v2, v2, v4
	v_add_f32_e32 v3, v3, v232
	v_mul_f32_e32 v4, v191, v19
	v_fma_f32 v5, v188, v16, -v5
	v_fmac_f32_e32 v235, v191, v18
	s_delay_alu instid0(VALU_DEP_4) | instskip(SKIP_3) | instid1(VALU_DEP_4)
	v_dual_add_f32 v2, v2, v6 :: v_dual_add_f32 v3, v3, v233
	v_fmac_f32_e32 v236, v193, v20
	v_mul_f32_e32 v6, v193, v21
	v_fma_f32 v4, v190, v18, -v4
	v_dual_add_f32 v2, v2, v5 :: v_dual_add_f32 v3, v3, v234
	v_mul_f32_e32 v5, v195, v143
	s_delay_alu instid0(VALU_DEP_4) | instskip(SKIP_1) | instid1(VALU_DEP_4)
	v_fma_f32 v6, v192, v20, -v6
	v_dual_mul_f32 v242, v204, v153 :: v_dual_mul_f32 v243, v206, v155
	v_dual_add_f32 v2, v2, v4 :: v_dual_add_f32 v3, v3, v235
	v_mul_f32_e32 v4, v197, v145
	v_fma_f32 v5, v194, v142, -v5
	v_fmac_f32_e32 v239, v199, v146
	s_delay_alu instid0(VALU_DEP_4) | instskip(SKIP_3) | instid1(VALU_DEP_4)
	v_dual_add_f32 v2, v2, v6 :: v_dual_add_f32 v3, v3, v236
	v_mul_f32_e32 v6, v199, v147
	v_fma_f32 v4, v196, v144, -v4
	v_fmac_f32_e32 v240, v201, v148
	v_add_f32_e32 v2, v2, v5
	v_add_f32_e32 v3, v3, v237
	v_mul_f32_e32 v5, v201, v149
	v_fma_f32 v6, v198, v146, -v6
	s_delay_alu instid0(VALU_DEP_4) | instskip(NEXT) | instid1(VALU_DEP_4)
	v_dual_fmac_f32 v241, v203, v150 :: v_dual_add_f32 v2, v2, v4
	v_add_f32_e32 v3, v3, v238
	v_mul_f32_e32 v4, v203, v151
	v_fma_f32 v5, v200, v148, -v5
	v_fmac_f32_e32 v242, v205, v152
	s_delay_alu instid0(VALU_DEP_4) | instskip(SKIP_3) | instid1(VALU_DEP_4)
	v_dual_add_f32 v2, v2, v6 :: v_dual_add_f32 v3, v3, v239
	v_mul_f32_e32 v6, v205, v153
	v_fma_f32 v4, v202, v150, -v4
	v_dual_mul_f32 v244, v208, v157 :: v_dual_mul_f32 v245, v210, v159
	v_dual_add_f32 v2, v2, v5 :: v_dual_add_f32 v3, v3, v240
	v_mul_f32_e32 v5, v207, v155
	v_fma_f32 v6, v204, v152, -v6
	s_delay_alu instid0(VALU_DEP_3) | instskip(NEXT) | instid1(VALU_DEP_4)
	v_dual_fmac_f32 v243, v207, v154 :: v_dual_add_f32 v2, v2, v4
	v_add_f32_e32 v3, v3, v241
	v_mul_f32_e32 v4, v209, v157
	v_fma_f32 v5, v206, v154, -v5
	v_fmac_f32_e32 v244, v209, v156
	v_dual_mul_f32 v246, v212, v161 :: v_dual_mul_f32 v247, v214, v163
	v_add_f32_e32 v3, v3, v242
	v_add_f32_e32 v2, v2, v6
	v_mul_f32_e32 v6, v211, v159
	v_fma_f32 v4, v208, v156, -v4
	v_fmac_f32_e32 v245, v211, v158
	s_delay_alu instid0(VALU_DEP_4) | instskip(NEXT) | instid1(VALU_DEP_4)
	v_dual_add_f32 v3, v3, v243 :: v_dual_add_f32 v2, v2, v5
	v_fma_f32 v6, v210, v158, -v6
	v_mul_f32_e32 v5, v213, v161
	v_dual_fmac_f32 v246, v213, v160 :: v_dual_fmac_f32 v247, v215, v162
	s_delay_alu instid0(VALU_DEP_4) | instskip(SKIP_3) | instid1(VALU_DEP_4)
	v_add_f32_e32 v3, v3, v244
	v_add_f32_e32 v2, v2, v4
	v_dual_mul_f32 v248, v216, v165 :: v_dual_mul_f32 v249, v218, v167
	v_mul_f32_e32 v4, v215, v163
	v_add_f32_e32 v3, v3, v245
	v_fma_f32 v5, v212, v160, -v5
	v_add_f32_e32 v2, v2, v6
	v_mul_f32_e32 v6, v217, v165
	v_fma_f32 v4, v214, v162, -v4
	v_dual_add_f32 v3, v3, v246 :: v_dual_fmac_f32 v248, v217, v164
	s_delay_alu instid0(VALU_DEP_4) | instskip(NEXT) | instid1(VALU_DEP_4)
	v_dual_add_f32 v2, v2, v5 :: v_dual_mul_f32 v5, v219, v167
	v_fma_f32 v6, v216, v164, -v6
	s_delay_alu instid0(VALU_DEP_3) | instskip(NEXT) | instid1(VALU_DEP_3)
	v_add_f32_e32 v3, v3, v247
	v_dual_fmac_f32 v249, v219, v166 :: v_dual_add_f32 v2, v2, v4
	v_dual_mul_f32 v4, v221, v169 :: v_dual_mul_f32 v251, v222, v171
	s_delay_alu instid0(VALU_DEP_3) | instskip(SKIP_1) | instid1(VALU_DEP_4)
	v_dual_mul_f32 v252, v224, v173 :: v_dual_add_f32 v3, v3, v248
	v_fma_f32 v5, v218, v166, -v5
	v_add_f32_e32 v2, v2, v6
	s_delay_alu instid0(VALU_DEP_4) | instskip(NEXT) | instid1(VALU_DEP_4)
	v_dual_fmac_f32 v250, v221, v168 :: v_dual_fmac_f32 v251, v223, v170
	v_add_f32_e32 v3, v3, v249
	v_mul_f32_e32 v6, v223, v171
	v_fma_f32 v4, v220, v168, -v4
	v_add_f32_e32 v2, v2, v5
	v_mul_f32_e32 v5, v225, v173
	v_add_f32_e32 v3, v3, v250
	v_fma_f32 v6, v222, v170, -v6
	v_dual_fmac_f32 v252, v225, v172 :: v_dual_fmac_f32 v253, v227, v22
	s_delay_alu instid0(VALU_DEP_3) | instskip(SKIP_2) | instid1(VALU_DEP_3)
	v_dual_add_f32 v2, v2, v4 :: v_dual_add_f32 v3, v3, v251
	v_mul_f32_e32 v4, v227, v23
	v_fma_f32 v5, v224, v172, -v5
	v_dual_add_f32 v2, v2, v6 :: v_dual_add_f32 v3, v3, v252
	s_delay_alu instid0(VALU_DEP_3) | instskip(NEXT) | instid1(VALU_DEP_2)
	v_fma_f32 v4, v226, v22, -v4
	v_add_f32_e32 v3, v3, v253
	s_wait_loadcnt 0x0
	s_delay_alu instid0(VALU_DEP_1) | instskip(NEXT) | instid1(VALU_DEP_1)
	v_dual_add_f32 v2, v2, v5 :: v_dual_sub_f32 v3, v140, v3
	v_add_f32_e32 v2, v2, v4
	s_delay_alu instid0(VALU_DEP_1)
	v_sub_f32_e32 v2, v139, v2
	scratch_store_b64 off, v[2:3], off offset:232
	v_cmpx_lt_u32_e32 28, v0
	s_cbranch_execz .LBB120_299
; %bb.298:
	scratch_load_b64 v[3:4], off, off offset:224
	v_mov_b32_e32 v2, v1
	scratch_store_b64 off, v[1:2], off offset:224
	s_wait_loadcnt 0x0
	ds_store_b64 v141, v[3:4]
.LBB120_299:
	s_wait_alu 0xfffe
	s_or_b32 exec_lo, exec_lo, s0
	s_wait_storecnt_dscnt 0x0
	s_barrier_signal -1
	s_barrier_wait -1
	global_inv scope:SCOPE_SE
	s_clause 0x4
	scratch_load_b128 v[2:5], off, off offset:232
	scratch_load_b128 v[6:9], off, off offset:248
	;; [unrolled: 1-line block ×5, first 2 shown]
	ds_load_2addr_b64 v[142:145], v1 offset0:87 offset1:88
	ds_load_2addr_b64 v[146:149], v1 offset0:89 offset1:90
	;; [unrolled: 1-line block ×3, first 2 shown]
	scratch_load_b64 v[22:23], off, off offset:224
	s_mov_b32 s0, exec_lo
	s_wait_loadcnt_dscnt 0x502
	v_mul_f32_e32 v24, v143, v3
	v_dual_mul_f32 v139, v142, v3 :: v_dual_mul_f32 v140, v144, v5
	v_mul_f32_e32 v3, v145, v5
	s_wait_loadcnt_dscnt 0x300
	v_mul_f32_e32 v154, v152, v13
	v_fma_f32 v24, v142, v2, -v24
	v_dual_fmac_f32 v139, v143, v2 :: v_dual_fmac_f32 v140, v145, v4
	v_fma_f32 v142, v144, v4, -v3
	ds_load_2addr_b64 v[2:5], v1 offset0:93 offset1:94
	v_dual_mul_f32 v143, v146, v7 :: v_dual_mul_f32 v144, v148, v9
	v_mul_f32_e32 v7, v147, v7
	v_mul_f32_e32 v9, v149, v9
	;; [unrolled: 1-line block ×3, first 2 shown]
	v_dual_mul_f32 v11, v151, v11 :: v_dual_fmac_f32 v154, v153, v12
	v_mul_f32_e32 v13, v153, v13
	v_fmac_f32_e32 v143, v147, v6
	v_fma_f32 v146, v146, v6, -v7
	v_fmac_f32_e32 v144, v149, v8
	v_fma_f32 v147, v148, v8, -v9
	scratch_load_b128 v[6:9], off, off offset:312
	v_fmac_f32_e32 v145, v151, v10
	v_fma_f32 v148, v150, v10, -v11
	v_fma_f32 v149, v152, v12, -v13
	ds_load_2addr_b64 v[10:13], v1 offset0:95 offset1:96
	s_wait_loadcnt_dscnt 0x301
	v_mul_f32_e32 v150, v2, v15
	v_mul_f32_e32 v15, v3, v15
	;; [unrolled: 1-line block ×3, first 2 shown]
	s_delay_alu instid0(VALU_DEP_3) | instskip(NEXT) | instid1(VALU_DEP_3)
	v_dual_mul_f32 v17, v5, v17 :: v_dual_fmac_f32 v150, v3, v14
	v_fma_f32 v14, v2, v14, -v15
	s_delay_alu instid0(VALU_DEP_3) | instskip(NEXT) | instid1(VALU_DEP_3)
	v_fmac_f32_e32 v151, v5, v16
	v_fma_f32 v15, v4, v16, -v17
	ds_load_2addr_b64 v[2:5], v1 offset0:97 offset1:98
	s_wait_loadcnt_dscnt 0x201
	v_mul_f32_e32 v16, v10, v19
	v_mul_f32_e32 v17, v11, v19
	;; [unrolled: 1-line block ×3, first 2 shown]
	s_delay_alu instid0(VALU_DEP_3) | instskip(NEXT) | instid1(VALU_DEP_3)
	v_dual_mul_f32 v21, v13, v21 :: v_dual_fmac_f32 v16, v11, v18
	v_fma_f32 v17, v10, v18, -v17
	s_delay_alu instid0(VALU_DEP_3) | instskip(NEXT) | instid1(VALU_DEP_3)
	v_fmac_f32_e32 v19, v13, v20
	v_fma_f32 v18, v12, v20, -v21
	scratch_load_b128 v[10:13], off, off offset:328
	s_wait_loadcnt_dscnt 0x100
	v_mul_f32_e32 v20, v2, v7
	v_mul_f32_e32 v7, v3, v7
	;; [unrolled: 1-line block ×3, first 2 shown]
	s_delay_alu instid0(VALU_DEP_3) | instskip(NEXT) | instid1(VALU_DEP_3)
	v_dual_mul_f32 v9, v5, v9 :: v_dual_fmac_f32 v20, v3, v6
	v_fma_f32 v152, v2, v6, -v7
	s_delay_alu instid0(VALU_DEP_3) | instskip(NEXT) | instid1(VALU_DEP_3)
	v_fmac_f32_e32 v21, v5, v8
	v_fma_f32 v153, v4, v8, -v9
	ds_load_2addr_b64 v[2:5], v1 offset0:99 offset1:100
	ds_load_2addr_b64 v[6:9], v1 offset0:101 offset1:102
	s_wait_loadcnt_dscnt 0x1
	v_mul_f32_e32 v155, v2, v11
	v_dual_mul_f32 v11, v3, v11 :: v_dual_mul_f32 v156, v4, v13
	s_delay_alu instid0(VALU_DEP_2) | instskip(NEXT) | instid1(VALU_DEP_2)
	v_fmac_f32_e32 v155, v3, v10
	v_fma_f32 v157, v2, v10, -v11
	v_mul_f32_e32 v2, v5, v13
	s_delay_alu instid0(VALU_DEP_4) | instskip(NEXT) | instid1(VALU_DEP_2)
	v_fmac_f32_e32 v156, v5, v12
	v_fma_f32 v158, v4, v12, -v2
	s_clause 0x1
	scratch_load_b128 v[2:5], off, off offset:344
	scratch_load_b128 v[10:13], off, off offset:360
	s_wait_loadcnt_dscnt 0x100
	v_mul_f32_e32 v159, v6, v3
	v_mul_f32_e32 v3, v7, v3
	;; [unrolled: 1-line block ×3, first 2 shown]
	s_delay_alu instid0(VALU_DEP_3) | instskip(NEXT) | instid1(VALU_DEP_3)
	v_fmac_f32_e32 v159, v7, v2
	v_fma_f32 v160, v6, v2, -v3
	v_mul_f32_e32 v2, v9, v5
	s_delay_alu instid0(VALU_DEP_4) | instskip(NEXT) | instid1(VALU_DEP_2)
	v_fmac_f32_e32 v161, v9, v4
	v_fma_f32 v162, v8, v4, -v2
	ds_load_2addr_b64 v[2:5], v1 offset0:103 offset1:104
	ds_load_2addr_b64 v[6:9], v1 offset0:105 offset1:106
	s_wait_loadcnt_dscnt 0x1
	v_mul_f32_e32 v163, v2, v11
	v_mul_f32_e32 v165, v4, v13
	s_delay_alu instid0(VALU_DEP_2) | instskip(SKIP_1) | instid1(VALU_DEP_3)
	v_fmac_f32_e32 v163, v3, v10
	v_mul_f32_e32 v3, v3, v11
	v_fmac_f32_e32 v165, v5, v12
	s_delay_alu instid0(VALU_DEP_2) | instskip(SKIP_1) | instid1(VALU_DEP_1)
	v_fma_f32 v164, v2, v10, -v3
	v_mul_f32_e32 v2, v5, v13
	v_fma_f32 v166, v4, v12, -v2
	s_clause 0x1
	scratch_load_b128 v[2:5], off, off offset:376
	scratch_load_b128 v[10:13], off, off offset:392
	s_wait_loadcnt_dscnt 0x100
	v_mul_f32_e32 v167, v6, v3
	v_mul_f32_e32 v3, v7, v3
	;; [unrolled: 1-line block ×3, first 2 shown]
	s_delay_alu instid0(VALU_DEP_3) | instskip(NEXT) | instid1(VALU_DEP_3)
	v_fmac_f32_e32 v167, v7, v2
	v_fma_f32 v168, v6, v2, -v3
	v_dual_mul_f32 v2, v9, v5 :: v_dual_add_f32 v3, 0, v139
	s_delay_alu instid0(VALU_DEP_1) | instskip(SKIP_1) | instid1(VALU_DEP_1)
	v_fma_f32 v170, v8, v4, -v2
	v_add_f32_e32 v2, 0, v24
	v_dual_add_f32 v3, v3, v140 :: v_dual_add_f32 v2, v2, v142
	s_delay_alu instid0(VALU_DEP_1) | instskip(NEXT) | instid1(VALU_DEP_1)
	v_dual_add_f32 v3, v3, v143 :: v_dual_add_f32 v2, v2, v146
	v_dual_add_f32 v3, v3, v144 :: v_dual_add_f32 v2, v2, v147
	s_delay_alu instid0(VALU_DEP_1) | instskip(NEXT) | instid1(VALU_DEP_2)
	v_add_f32_e32 v6, v3, v145
	v_add_f32_e32 v2, v2, v148
	s_delay_alu instid0(VALU_DEP_2) | instskip(NEXT) | instid1(VALU_DEP_2)
	v_add_f32_e32 v6, v6, v154
	v_add_f32_e32 v7, v2, v149
	s_delay_alu instid0(VALU_DEP_2) | instskip(NEXT) | instid1(VALU_DEP_2)
	v_add_f32_e32 v6, v6, v150
	v_add_f32_e32 v7, v7, v14
	s_delay_alu instid0(VALU_DEP_1) | instskip(NEXT) | instid1(VALU_DEP_3)
	v_add_f32_e32 v14, v7, v15
	v_add_f32_e32 v15, v6, v151
	s_delay_alu instid0(VALU_DEP_1) | instskip(NEXT) | instid1(VALU_DEP_1)
	v_dual_add_f32 v14, v14, v17 :: v_dual_add_f32 v15, v15, v16
	v_dual_add_f32 v14, v14, v18 :: v_dual_add_f32 v15, v15, v19
	s_delay_alu instid0(VALU_DEP_1) | instskip(NEXT) | instid1(VALU_DEP_1)
	v_add_f32_e32 v14, v14, v152
	v_dual_add_f32 v18, v15, v20 :: v_dual_add_f32 v19, v14, v153
	s_delay_alu instid0(VALU_DEP_1) | instskip(SKIP_2) | instid1(VALU_DEP_1)
	v_add_f32_e32 v18, v18, v21
	scratch_load_b128 v[14:17], off, off offset:440
	v_dual_add_f32 v19, v19, v157 :: v_dual_add_f32 v18, v18, v155
	v_dual_add_f32 v19, v19, v158 :: v_dual_add_f32 v18, v18, v156
	s_delay_alu instid0(VALU_DEP_1)
	v_dual_add_f32 v142, v19, v160 :: v_dual_add_f32 v143, v18, v159
	v_fmac_f32_e32 v169, v9, v4
	ds_load_2addr_b64 v[2:5], v1 offset0:107 offset1:108
	ds_load_2addr_b64 v[6:9], v1 offset0:109 offset1:110
	ds_load_2addr_b64 v[18:21], v1 offset0:111 offset1:112
	v_add_f32_e32 v147, v142, v162
	s_wait_loadcnt_dscnt 0x102
	v_mul_f32_e32 v24, v2, v11
	v_add_f32_e32 v148, v143, v161
	ds_load_2addr_b64 v[142:145], v1 offset0:113 offset1:114
	v_mul_f32_e32 v139, v4, v13
	v_mul_f32_e32 v11, v3, v11
	v_dual_mul_f32 v13, v5, v13 :: v_dual_fmac_f32 v24, v3, v10
	v_add_f32_e32 v1, v147, v164
	s_delay_alu instid0(VALU_DEP_4) | instskip(NEXT) | instid1(VALU_DEP_4)
	v_fmac_f32_e32 v139, v5, v12
	v_fma_f32 v140, v2, v10, -v11
	s_delay_alu instid0(VALU_DEP_4)
	v_fma_f32 v146, v4, v12, -v13
	s_clause 0x1
	scratch_load_b128 v[2:5], off, off offset:408
	scratch_load_b128 v[10:13], off, off offset:424
	v_add_f32_e32 v1, v1, v166
	v_add_f32_e32 v147, v148, v163
	s_delay_alu instid0(VALU_DEP_2) | instskip(NEXT) | instid1(VALU_DEP_2)
	v_add_f32_e32 v1, v1, v168
	v_add_f32_e32 v147, v147, v165
	s_delay_alu instid0(VALU_DEP_2) | instskip(NEXT) | instid1(VALU_DEP_2)
	;; [unrolled: 3-line block ×3, first 2 shown]
	v_add_f32_e32 v1, v1, v140
	v_add_f32_e32 v147, v147, v169
	s_delay_alu instid0(VALU_DEP_1) | instskip(SKIP_3) | instid1(VALU_DEP_2)
	v_dual_add_f32 v1, v1, v146 :: v_dual_add_f32 v24, v147, v24
	s_wait_loadcnt_dscnt 0x200
	v_mul_f32_e32 v152, v142, v15
	v_mul_f32_e32 v140, v144, v17
	v_fmac_f32_e32 v152, v143, v14
	s_delay_alu instid0(VALU_DEP_2)
	v_fmac_f32_e32 v140, v145, v16
	s_wait_loadcnt 0x1
	v_mul_f32_e32 v148, v6, v3
	v_mul_f32_e32 v3, v7, v3
	v_mul_f32_e32 v149, v8, v5
	s_wait_loadcnt 0x0
	v_dual_mul_f32 v5, v9, v5 :: v_dual_mul_f32 v150, v18, v11
	v_fmac_f32_e32 v148, v7, v2
	v_fma_f32 v3, v6, v2, -v3
	v_fmac_f32_e32 v149, v9, v4
	s_delay_alu instid0(VALU_DEP_4) | instskip(SKIP_1) | instid1(VALU_DEP_4)
	v_fma_f32 v4, v8, v4, -v5
	v_dual_mul_f32 v6, v19, v11 :: v_dual_mul_f32 v151, v20, v13
	v_add_f32_e32 v1, v1, v3
	v_dual_mul_f32 v3, v21, v13 :: v_dual_fmac_f32 v150, v19, v10
	s_delay_alu instid0(VALU_DEP_3) | instskip(NEXT) | instid1(VALU_DEP_4)
	v_fma_f32 v5, v18, v10, -v6
	v_fmac_f32_e32 v151, v21, v12
	s_delay_alu instid0(VALU_DEP_4) | instskip(SKIP_2) | instid1(VALU_DEP_3)
	v_dual_add_f32 v1, v1, v4 :: v_dual_mul_f32 v4, v143, v15
	v_add_f32_e32 v2, v24, v139
	v_fma_f32 v3, v20, v12, -v3
	v_add_f32_e32 v1, v1, v5
	s_delay_alu instid0(VALU_DEP_3) | instskip(SKIP_1) | instid1(VALU_DEP_3)
	v_dual_mul_f32 v5, v145, v17 :: v_dual_add_f32 v2, v2, v148
	v_fma_f32 v4, v142, v14, -v4
	v_add_f32_e32 v1, v1, v3
	s_delay_alu instid0(VALU_DEP_3) | instskip(NEXT) | instid1(VALU_DEP_2)
	v_fma_f32 v3, v144, v16, -v5
	v_dual_add_f32 v2, v2, v149 :: v_dual_add_f32 v1, v1, v4
	s_delay_alu instid0(VALU_DEP_1) | instskip(NEXT) | instid1(VALU_DEP_1)
	v_dual_add_f32 v2, v2, v150 :: v_dual_add_f32 v1, v1, v3
	v_add_f32_e32 v2, v2, v151
	s_delay_alu instid0(VALU_DEP_2) | instskip(NEXT) | instid1(VALU_DEP_2)
	v_sub_f32_e32 v1, v22, v1
	v_add_f32_e32 v2, v2, v152
	s_delay_alu instid0(VALU_DEP_1) | instskip(NEXT) | instid1(VALU_DEP_1)
	v_add_f32_e32 v2, v2, v140
	v_sub_f32_e32 v2, v23, v2
	scratch_store_b64 off, v[1:2], off offset:224
	v_cmpx_lt_u32_e32 27, v0
	s_cbranch_execz .LBB120_301
; %bb.300:
	scratch_load_b64 v[1:2], off, off offset:216
	v_mov_b32_e32 v3, 0
	s_delay_alu instid0(VALU_DEP_1)
	v_mov_b32_e32 v4, v3
	scratch_store_b64 off, v[3:4], off offset:216
	s_wait_loadcnt 0x0
	ds_store_b64 v141, v[1:2]
.LBB120_301:
	s_wait_alu 0xfffe
	s_or_b32 exec_lo, exec_lo, s0
	s_wait_storecnt_dscnt 0x0
	s_barrier_signal -1
	s_barrier_wait -1
	global_inv scope:SCOPE_SE
	s_clause 0x4
	scratch_load_b128 v[2:5], off, off offset:224
	scratch_load_b128 v[6:9], off, off offset:240
	;; [unrolled: 1-line block ×5, first 2 shown]
	v_mov_b32_e32 v1, 0
	ds_load_b128 v[142:145], v1 offset:688
	ds_load_b128 v[146:149], v1 offset:704
	;; [unrolled: 1-line block ×3, first 2 shown]
	scratch_load_b64 v[22:23], off, off offset:216
	s_mov_b32 s0, exec_lo
	s_wait_loadcnt_dscnt 0x502
	v_mul_f32_e32 v24, v143, v3
	v_dual_mul_f32 v139, v142, v3 :: v_dual_mul_f32 v140, v144, v5
	v_mul_f32_e32 v3, v145, v5
	s_wait_loadcnt_dscnt 0x300
	v_mul_f32_e32 v154, v152, v13
	v_fma_f32 v24, v142, v2, -v24
	v_dual_fmac_f32 v139, v143, v2 :: v_dual_fmac_f32 v140, v145, v4
	v_fma_f32 v142, v144, v4, -v3
	ds_load_b128 v[2:5], v1 offset:736
	v_dual_mul_f32 v143, v146, v7 :: v_dual_mul_f32 v144, v148, v9
	v_mul_f32_e32 v7, v147, v7
	v_mul_f32_e32 v9, v149, v9
	;; [unrolled: 1-line block ×3, first 2 shown]
	v_dual_mul_f32 v11, v151, v11 :: v_dual_fmac_f32 v154, v153, v12
	v_mul_f32_e32 v13, v153, v13
	v_fmac_f32_e32 v143, v147, v6
	v_fma_f32 v146, v146, v6, -v7
	v_fmac_f32_e32 v144, v149, v8
	v_fma_f32 v147, v148, v8, -v9
	scratch_load_b128 v[6:9], off, off offset:304
	v_fmac_f32_e32 v145, v151, v10
	v_fma_f32 v148, v150, v10, -v11
	v_fma_f32 v149, v152, v12, -v13
	ds_load_b128 v[10:13], v1 offset:752
	s_wait_loadcnt_dscnt 0x301
	v_mul_f32_e32 v150, v2, v15
	v_mul_f32_e32 v15, v3, v15
	;; [unrolled: 1-line block ×3, first 2 shown]
	s_delay_alu instid0(VALU_DEP_3) | instskip(NEXT) | instid1(VALU_DEP_3)
	v_dual_mul_f32 v17, v5, v17 :: v_dual_fmac_f32 v150, v3, v14
	v_fma_f32 v14, v2, v14, -v15
	s_delay_alu instid0(VALU_DEP_3) | instskip(NEXT) | instid1(VALU_DEP_3)
	v_fmac_f32_e32 v151, v5, v16
	v_fma_f32 v15, v4, v16, -v17
	ds_load_b128 v[2:5], v1 offset:768
	s_wait_loadcnt_dscnt 0x201
	v_mul_f32_e32 v16, v10, v19
	v_mul_f32_e32 v17, v11, v19
	;; [unrolled: 1-line block ×3, first 2 shown]
	s_delay_alu instid0(VALU_DEP_3) | instskip(NEXT) | instid1(VALU_DEP_3)
	v_dual_mul_f32 v21, v13, v21 :: v_dual_fmac_f32 v16, v11, v18
	v_fma_f32 v17, v10, v18, -v17
	s_delay_alu instid0(VALU_DEP_3) | instskip(NEXT) | instid1(VALU_DEP_3)
	v_fmac_f32_e32 v19, v13, v20
	v_fma_f32 v18, v12, v20, -v21
	scratch_load_b128 v[10:13], off, off offset:320
	s_wait_loadcnt_dscnt 0x100
	v_mul_f32_e32 v20, v2, v7
	v_mul_f32_e32 v7, v3, v7
	;; [unrolled: 1-line block ×3, first 2 shown]
	s_delay_alu instid0(VALU_DEP_3) | instskip(NEXT) | instid1(VALU_DEP_3)
	v_dual_mul_f32 v9, v5, v9 :: v_dual_fmac_f32 v20, v3, v6
	v_fma_f32 v152, v2, v6, -v7
	s_delay_alu instid0(VALU_DEP_3) | instskip(NEXT) | instid1(VALU_DEP_3)
	v_fmac_f32_e32 v21, v5, v8
	v_fma_f32 v153, v4, v8, -v9
	ds_load_b128 v[2:5], v1 offset:784
	ds_load_b128 v[6:9], v1 offset:800
	s_wait_loadcnt_dscnt 0x1
	v_mul_f32_e32 v155, v2, v11
	v_dual_mul_f32 v11, v3, v11 :: v_dual_mul_f32 v156, v4, v13
	s_delay_alu instid0(VALU_DEP_2) | instskip(NEXT) | instid1(VALU_DEP_2)
	v_fmac_f32_e32 v155, v3, v10
	v_fma_f32 v157, v2, v10, -v11
	v_mul_f32_e32 v2, v5, v13
	s_delay_alu instid0(VALU_DEP_4) | instskip(NEXT) | instid1(VALU_DEP_2)
	v_fmac_f32_e32 v156, v5, v12
	v_fma_f32 v158, v4, v12, -v2
	s_clause 0x1
	scratch_load_b128 v[2:5], off, off offset:336
	scratch_load_b128 v[10:13], off, off offset:352
	s_wait_loadcnt_dscnt 0x100
	v_mul_f32_e32 v159, v6, v3
	v_mul_f32_e32 v3, v7, v3
	;; [unrolled: 1-line block ×3, first 2 shown]
	s_delay_alu instid0(VALU_DEP_3) | instskip(NEXT) | instid1(VALU_DEP_3)
	v_fmac_f32_e32 v159, v7, v2
	v_fma_f32 v160, v6, v2, -v3
	v_mul_f32_e32 v2, v9, v5
	s_delay_alu instid0(VALU_DEP_4) | instskip(NEXT) | instid1(VALU_DEP_2)
	v_fmac_f32_e32 v161, v9, v4
	v_fma_f32 v162, v8, v4, -v2
	ds_load_b128 v[2:5], v1 offset:816
	ds_load_b128 v[6:9], v1 offset:832
	s_wait_loadcnt_dscnt 0x1
	v_mul_f32_e32 v163, v2, v11
	v_mul_f32_e32 v165, v4, v13
	s_delay_alu instid0(VALU_DEP_2) | instskip(SKIP_1) | instid1(VALU_DEP_3)
	v_fmac_f32_e32 v163, v3, v10
	v_mul_f32_e32 v3, v3, v11
	v_fmac_f32_e32 v165, v5, v12
	s_delay_alu instid0(VALU_DEP_2) | instskip(SKIP_1) | instid1(VALU_DEP_1)
	v_fma_f32 v164, v2, v10, -v3
	v_mul_f32_e32 v2, v5, v13
	v_fma_f32 v166, v4, v12, -v2
	s_clause 0x1
	scratch_load_b128 v[2:5], off, off offset:368
	scratch_load_b128 v[10:13], off, off offset:384
	s_wait_loadcnt_dscnt 0x100
	v_mul_f32_e32 v167, v6, v3
	v_mul_f32_e32 v3, v7, v3
	s_delay_alu instid0(VALU_DEP_2) | instskip(NEXT) | instid1(VALU_DEP_2)
	v_fmac_f32_e32 v167, v7, v2
	v_fma_f32 v168, v6, v2, -v3
	v_dual_mul_f32 v2, v9, v5 :: v_dual_add_f32 v3, 0, v139
	s_delay_alu instid0(VALU_DEP_1) | instskip(SKIP_1) | instid1(VALU_DEP_3)
	v_fma_f32 v170, v8, v4, -v2
	v_add_f32_e32 v2, 0, v24
	v_add_f32_e32 v3, v3, v140
	scratch_load_b64 v[139:140], off, off offset:448
	v_dual_add_f32 v2, v2, v142 :: v_dual_add_f32 v3, v3, v143
	s_delay_alu instid0(VALU_DEP_1) | instskip(NEXT) | instid1(VALU_DEP_1)
	v_dual_add_f32 v2, v2, v146 :: v_dual_add_f32 v3, v3, v144
	v_add_f32_e32 v2, v2, v147
	s_delay_alu instid0(VALU_DEP_2) | instskip(NEXT) | instid1(VALU_DEP_2)
	v_add_f32_e32 v6, v3, v145
	v_add_f32_e32 v2, v2, v148
	s_delay_alu instid0(VALU_DEP_2) | instskip(NEXT) | instid1(VALU_DEP_2)
	v_add_f32_e32 v6, v6, v154
	;; [unrolled: 3-line block ×3, first 2 shown]
	v_add_f32_e32 v7, v7, v14
	s_delay_alu instid0(VALU_DEP_1) | instskip(NEXT) | instid1(VALU_DEP_3)
	v_add_f32_e32 v14, v7, v15
	v_add_f32_e32 v15, v6, v151
	s_delay_alu instid0(VALU_DEP_1) | instskip(NEXT) | instid1(VALU_DEP_1)
	v_dual_add_f32 v14, v14, v17 :: v_dual_add_f32 v15, v15, v16
	v_dual_add_f32 v14, v14, v18 :: v_dual_add_f32 v15, v15, v19
	s_delay_alu instid0(VALU_DEP_1) | instskip(NEXT) | instid1(VALU_DEP_1)
	v_add_f32_e32 v14, v14, v152
	v_dual_add_f32 v18, v15, v20 :: v_dual_add_f32 v19, v14, v153
	scratch_load_b128 v[14:17], off, off offset:432
	v_add_f32_e32 v18, v18, v21
	s_delay_alu instid0(VALU_DEP_1) | instskip(NEXT) | instid1(VALU_DEP_1)
	v_dual_add_f32 v19, v19, v157 :: v_dual_add_f32 v18, v18, v155
	v_dual_add_f32 v19, v19, v158 :: v_dual_add_f32 v18, v18, v156
	v_mul_f32_e32 v169, v8, v5
	s_delay_alu instid0(VALU_DEP_2) | instskip(NEXT) | instid1(VALU_DEP_2)
	v_dual_add_f32 v19, v19, v160 :: v_dual_add_f32 v18, v18, v159
	v_fmac_f32_e32 v169, v9, v4
	ds_load_b128 v[2:5], v1 offset:848
	ds_load_b128 v[6:9], v1 offset:864
	v_add_f32_e32 v19, v19, v162
	s_delay_alu instid0(VALU_DEP_1)
	v_add_f32_e32 v146, v19, v164
	s_wait_loadcnt_dscnt 0x201
	v_mul_f32_e32 v24, v2, v11
	v_mul_f32_e32 v148, v4, v13
	v_add_f32_e32 v142, v18, v161
	ds_load_b128 v[18:21], v1 offset:880
	v_fmac_f32_e32 v24, v3, v10
	v_dual_fmac_f32 v148, v5, v12 :: v_dual_add_f32 v147, v142, v163
	ds_load_b128 v[142:145], v1 offset:896
	v_dual_add_f32 v151, v146, v166 :: v_dual_add_f32 v152, v147, v165
	ds_load_b64 v[146:147], v1 offset:912
	v_dual_mul_f32 v13, v5, v13 :: v_dual_add_f32 v152, v152, v167
	s_delay_alu instid0(VALU_DEP_1) | instskip(NEXT) | instid1(VALU_DEP_1)
	v_add_f32_e32 v152, v152, v169
	v_dual_add_f32 v24, v152, v24 :: v_dual_mul_f32 v11, v3, v11
	s_delay_alu instid0(VALU_DEP_1) | instskip(NEXT) | instid1(VALU_DEP_2)
	v_add_f32_e32 v24, v24, v148
	v_fma_f32 v149, v2, v10, -v11
	s_wait_loadcnt_dscnt 0x100
	v_mul_f32_e32 v148, v146, v140
	v_fma_f32 v150, v4, v12, -v13
	s_clause 0x1
	scratch_load_b128 v[2:5], off, off offset:400
	scratch_load_b128 v[10:13], off, off offset:416
	v_fmac_f32_e32 v148, v147, v139
	s_wait_loadcnt 0x2
	v_mul_f32_e32 v155, v142, v15
	s_delay_alu instid0(VALU_DEP_1)
	v_fmac_f32_e32 v155, v143, v14
	s_wait_loadcnt 0x1
	v_mul_f32_e32 v153, v6, v3
	v_dual_mul_f32 v3, v7, v3 :: v_dual_mul_f32 v154, v8, v5
	v_mul_f32_e32 v5, v9, v5
	s_wait_loadcnt 0x0
	s_delay_alu instid0(VALU_DEP_3) | instskip(NEXT) | instid1(VALU_DEP_3)
	v_dual_mul_f32 v152, v20, v13 :: v_dual_fmac_f32 v153, v7, v2
	v_fma_f32 v3, v6, v2, -v3
	v_mul_f32_e32 v6, v21, v13
	v_fmac_f32_e32 v154, v9, v4
	v_fma_f32 v2, v8, v4, -v5
	v_mul_f32_e32 v4, v19, v11
	v_fmac_f32_e32 v152, v21, v12
	v_fma_f32 v6, v20, v12, -v6
	v_add_f32_e32 v151, v151, v168
	v_add_f32_e32 v5, v24, v153
	v_fma_f32 v4, v18, v10, -v4
	s_delay_alu instid0(VALU_DEP_3) | instskip(NEXT) | instid1(VALU_DEP_1)
	v_add_f32_e32 v151, v151, v170
	v_add_f32_e32 v149, v151, v149
	v_mul_f32_e32 v151, v18, v11
	s_delay_alu instid0(VALU_DEP_2) | instskip(NEXT) | instid1(VALU_DEP_2)
	v_add_f32_e32 v149, v149, v150
	v_dual_fmac_f32 v151, v19, v10 :: v_dual_mul_f32 v150, v144, v17
	s_delay_alu instid0(VALU_DEP_2) | instskip(NEXT) | instid1(VALU_DEP_2)
	v_add_f32_e32 v3, v149, v3
	v_fmac_f32_e32 v150, v145, v16
	s_delay_alu instid0(VALU_DEP_2) | instskip(SKIP_1) | instid1(VALU_DEP_2)
	v_add_f32_e32 v2, v3, v2
	v_add_f32_e32 v3, v5, v154
	v_dual_mul_f32 v5, v143, v15 :: v_dual_add_f32 v2, v2, v4
	s_delay_alu instid0(VALU_DEP_2) | instskip(NEXT) | instid1(VALU_DEP_2)
	v_dual_add_f32 v3, v3, v151 :: v_dual_mul_f32 v4, v145, v17
	v_fma_f32 v5, v142, v14, -v5
	s_delay_alu instid0(VALU_DEP_2) | instskip(SKIP_1) | instid1(VALU_DEP_4)
	v_dual_add_f32 v2, v2, v6 :: v_dual_add_f32 v3, v3, v152
	v_mul_f32_e32 v6, v147, v140
	v_fma_f32 v4, v144, v16, -v4
	s_delay_alu instid0(VALU_DEP_3) | instskip(NEXT) | instid1(VALU_DEP_3)
	v_dual_add_f32 v2, v2, v5 :: v_dual_add_f32 v3, v3, v155
	v_fma_f32 v5, v146, v139, -v6
	s_delay_alu instid0(VALU_DEP_2) | instskip(NEXT) | instid1(VALU_DEP_1)
	v_dual_add_f32 v2, v2, v4 :: v_dual_add_f32 v3, v3, v150
	v_dual_add_f32 v2, v2, v5 :: v_dual_add_f32 v3, v3, v148
	s_delay_alu instid0(VALU_DEP_1)
	v_dual_sub_f32 v2, v22, v2 :: v_dual_sub_f32 v3, v23, v3
	scratch_store_b64 off, v[2:3], off offset:216
	v_cmpx_lt_u32_e32 26, v0
	s_cbranch_execz .LBB120_303
; %bb.302:
	scratch_load_b64 v[3:4], off, off offset:208
	v_mov_b32_e32 v2, v1
	scratch_store_b64 off, v[1:2], off offset:208
	s_wait_loadcnt 0x0
	ds_store_b64 v141, v[3:4]
.LBB120_303:
	s_wait_alu 0xfffe
	s_or_b32 exec_lo, exec_lo, s0
	s_wait_storecnt_dscnt 0x0
	s_barrier_signal -1
	s_barrier_wait -1
	global_inv scope:SCOPE_SE
	s_clause 0x4
	scratch_load_b128 v[2:5], off, off offset:216
	scratch_load_b128 v[6:9], off, off offset:232
	;; [unrolled: 1-line block ×5, first 2 shown]
	ds_load_2addr_b64 v[142:145], v1 offset0:85 offset1:86
	ds_load_2addr_b64 v[146:149], v1 offset0:87 offset1:88
	;; [unrolled: 1-line block ×3, first 2 shown]
	scratch_load_b64 v[22:23], off, off offset:208
	s_mov_b32 s0, exec_lo
	s_wait_loadcnt_dscnt 0x502
	v_mul_f32_e32 v24, v143, v3
	v_dual_mul_f32 v139, v142, v3 :: v_dual_mul_f32 v140, v144, v5
	v_mul_f32_e32 v3, v145, v5
	s_wait_loadcnt_dscnt 0x300
	v_mul_f32_e32 v154, v152, v13
	v_fma_f32 v24, v142, v2, -v24
	v_dual_fmac_f32 v139, v143, v2 :: v_dual_fmac_f32 v140, v145, v4
	v_fma_f32 v142, v144, v4, -v3
	ds_load_2addr_b64 v[2:5], v1 offset0:91 offset1:92
	v_dual_mul_f32 v143, v146, v7 :: v_dual_mul_f32 v144, v148, v9
	v_mul_f32_e32 v7, v147, v7
	v_mul_f32_e32 v9, v149, v9
	;; [unrolled: 1-line block ×3, first 2 shown]
	v_dual_mul_f32 v11, v151, v11 :: v_dual_fmac_f32 v154, v153, v12
	v_mul_f32_e32 v13, v153, v13
	v_fmac_f32_e32 v143, v147, v6
	v_fma_f32 v146, v146, v6, -v7
	v_fmac_f32_e32 v144, v149, v8
	v_fma_f32 v147, v148, v8, -v9
	scratch_load_b128 v[6:9], off, off offset:296
	v_fmac_f32_e32 v145, v151, v10
	v_fma_f32 v148, v150, v10, -v11
	v_fma_f32 v149, v152, v12, -v13
	ds_load_2addr_b64 v[10:13], v1 offset0:93 offset1:94
	s_wait_loadcnt_dscnt 0x301
	v_mul_f32_e32 v150, v2, v15
	v_mul_f32_e32 v15, v3, v15
	;; [unrolled: 1-line block ×3, first 2 shown]
	s_delay_alu instid0(VALU_DEP_3) | instskip(NEXT) | instid1(VALU_DEP_3)
	v_dual_mul_f32 v17, v5, v17 :: v_dual_fmac_f32 v150, v3, v14
	v_fma_f32 v14, v2, v14, -v15
	s_delay_alu instid0(VALU_DEP_3) | instskip(NEXT) | instid1(VALU_DEP_3)
	v_fmac_f32_e32 v151, v5, v16
	v_fma_f32 v15, v4, v16, -v17
	ds_load_2addr_b64 v[2:5], v1 offset0:95 offset1:96
	s_wait_loadcnt_dscnt 0x201
	v_mul_f32_e32 v16, v10, v19
	v_mul_f32_e32 v17, v11, v19
	;; [unrolled: 1-line block ×3, first 2 shown]
	s_delay_alu instid0(VALU_DEP_3) | instskip(NEXT) | instid1(VALU_DEP_3)
	v_dual_mul_f32 v21, v13, v21 :: v_dual_fmac_f32 v16, v11, v18
	v_fma_f32 v17, v10, v18, -v17
	s_delay_alu instid0(VALU_DEP_3) | instskip(NEXT) | instid1(VALU_DEP_3)
	v_fmac_f32_e32 v19, v13, v20
	v_fma_f32 v18, v12, v20, -v21
	scratch_load_b128 v[10:13], off, off offset:312
	s_wait_loadcnt_dscnt 0x100
	v_mul_f32_e32 v20, v2, v7
	v_mul_f32_e32 v7, v3, v7
	;; [unrolled: 1-line block ×3, first 2 shown]
	s_delay_alu instid0(VALU_DEP_3) | instskip(NEXT) | instid1(VALU_DEP_3)
	v_dual_mul_f32 v9, v5, v9 :: v_dual_fmac_f32 v20, v3, v6
	v_fma_f32 v152, v2, v6, -v7
	s_delay_alu instid0(VALU_DEP_3) | instskip(NEXT) | instid1(VALU_DEP_3)
	v_fmac_f32_e32 v21, v5, v8
	v_fma_f32 v153, v4, v8, -v9
	ds_load_2addr_b64 v[2:5], v1 offset0:97 offset1:98
	ds_load_2addr_b64 v[6:9], v1 offset0:99 offset1:100
	s_wait_loadcnt_dscnt 0x1
	v_mul_f32_e32 v155, v2, v11
	v_dual_mul_f32 v11, v3, v11 :: v_dual_mul_f32 v156, v4, v13
	s_delay_alu instid0(VALU_DEP_2) | instskip(NEXT) | instid1(VALU_DEP_2)
	v_fmac_f32_e32 v155, v3, v10
	v_fma_f32 v157, v2, v10, -v11
	v_mul_f32_e32 v2, v5, v13
	s_delay_alu instid0(VALU_DEP_4) | instskip(NEXT) | instid1(VALU_DEP_2)
	v_fmac_f32_e32 v156, v5, v12
	v_fma_f32 v158, v4, v12, -v2
	s_clause 0x1
	scratch_load_b128 v[2:5], off, off offset:328
	scratch_load_b128 v[10:13], off, off offset:344
	s_wait_loadcnt_dscnt 0x100
	v_mul_f32_e32 v159, v6, v3
	v_mul_f32_e32 v3, v7, v3
	;; [unrolled: 1-line block ×3, first 2 shown]
	s_delay_alu instid0(VALU_DEP_3) | instskip(NEXT) | instid1(VALU_DEP_3)
	v_fmac_f32_e32 v159, v7, v2
	v_fma_f32 v160, v6, v2, -v3
	v_mul_f32_e32 v2, v9, v5
	s_delay_alu instid0(VALU_DEP_4) | instskip(NEXT) | instid1(VALU_DEP_2)
	v_fmac_f32_e32 v161, v9, v4
	v_fma_f32 v162, v8, v4, -v2
	ds_load_2addr_b64 v[2:5], v1 offset0:101 offset1:102
	ds_load_2addr_b64 v[6:9], v1 offset0:103 offset1:104
	s_wait_loadcnt_dscnt 0x1
	v_mul_f32_e32 v163, v2, v11
	v_mul_f32_e32 v165, v4, v13
	s_delay_alu instid0(VALU_DEP_2) | instskip(SKIP_1) | instid1(VALU_DEP_3)
	v_fmac_f32_e32 v163, v3, v10
	v_mul_f32_e32 v3, v3, v11
	v_fmac_f32_e32 v165, v5, v12
	s_delay_alu instid0(VALU_DEP_2) | instskip(SKIP_1) | instid1(VALU_DEP_1)
	v_fma_f32 v164, v2, v10, -v3
	v_mul_f32_e32 v2, v5, v13
	v_fma_f32 v166, v4, v12, -v2
	s_clause 0x1
	scratch_load_b128 v[2:5], off, off offset:360
	scratch_load_b128 v[10:13], off, off offset:376
	s_wait_loadcnt_dscnt 0x100
	v_mul_f32_e32 v167, v6, v3
	v_mul_f32_e32 v3, v7, v3
	s_delay_alu instid0(VALU_DEP_2) | instskip(NEXT) | instid1(VALU_DEP_2)
	v_fmac_f32_e32 v167, v7, v2
	v_fma_f32 v168, v6, v2, -v3
	v_dual_mul_f32 v2, v9, v5 :: v_dual_add_f32 v3, 0, v139
	s_delay_alu instid0(VALU_DEP_1) | instskip(SKIP_1) | instid1(VALU_DEP_1)
	v_fma_f32 v170, v8, v4, -v2
	v_add_f32_e32 v2, 0, v24
	v_dual_add_f32 v3, v3, v140 :: v_dual_add_f32 v2, v2, v142
	s_delay_alu instid0(VALU_DEP_1) | instskip(NEXT) | instid1(VALU_DEP_1)
	v_dual_add_f32 v3, v3, v143 :: v_dual_add_f32 v2, v2, v146
	v_dual_add_f32 v3, v3, v144 :: v_dual_add_f32 v2, v2, v147
	s_delay_alu instid0(VALU_DEP_1) | instskip(NEXT) | instid1(VALU_DEP_1)
	v_dual_add_f32 v3, v3, v145 :: v_dual_add_f32 v2, v2, v148
	v_add_f32_e32 v6, v3, v154
	s_delay_alu instid0(VALU_DEP_2) | instskip(NEXT) | instid1(VALU_DEP_1)
	v_add_f32_e32 v2, v2, v149
	v_add_f32_e32 v7, v2, v14
	s_delay_alu instid0(VALU_DEP_1) | instskip(NEXT) | instid1(VALU_DEP_1)
	v_dual_add_f32 v14, v6, v150 :: v_dual_add_f32 v15, v7, v15
	v_dual_add_f32 v14, v14, v151 :: v_dual_add_f32 v15, v15, v17
	s_delay_alu instid0(VALU_DEP_1) | instskip(NEXT) | instid1(VALU_DEP_1)
	v_add_f32_e32 v14, v14, v16
	v_dual_add_f32 v18, v15, v18 :: v_dual_add_f32 v19, v14, v19
	ds_load_2addr_b64 v[14:17], v1 offset0:107 offset1:108
	v_add_f32_e32 v18, v18, v152
	s_delay_alu instid0(VALU_DEP_1) | instskip(NEXT) | instid1(VALU_DEP_1)
	v_dual_add_f32 v19, v19, v20 :: v_dual_add_f32 v18, v18, v153
	v_add_f32_e32 v19, v19, v21
	s_delay_alu instid0(VALU_DEP_2) | instskip(NEXT) | instid1(VALU_DEP_1)
	v_add_f32_e32 v18, v18, v157
	v_dual_add_f32 v142, v19, v155 :: v_dual_add_f32 v143, v18, v158
	s_delay_alu instid0(VALU_DEP_1)
	v_dual_add_f32 v142, v142, v156 :: v_dual_mul_f32 v169, v8, v5
	scratch_load_b128 v[18:21], off, off offset:440
	v_dual_add_f32 v143, v143, v160 :: v_dual_add_f32 v142, v142, v159
	v_fmac_f32_e32 v169, v9, v4
	scratch_load_b128 v[6:9], off, off offset:392
	ds_load_2addr_b64 v[2:5], v1 offset0:105 offset1:106
	s_wait_loadcnt_dscnt 0x200
	v_dual_add_f32 v143, v143, v162 :: v_dual_mul_f32 v24, v2, v11
	v_mul_f32_e32 v11, v3, v11
	v_mul_f32_e32 v139, v4, v13
	s_delay_alu instid0(VALU_DEP_3) | instskip(NEXT) | instid1(VALU_DEP_3)
	v_dual_mul_f32 v13, v5, v13 :: v_dual_fmac_f32 v24, v3, v10
	v_fma_f32 v140, v2, v10, -v11
	s_delay_alu instid0(VALU_DEP_3) | instskip(NEXT) | instid1(VALU_DEP_3)
	v_fmac_f32_e32 v139, v5, v12
	v_fma_f32 v146, v4, v12, -v13
	s_clause 0x1
	scratch_load_b128 v[2:5], off, off offset:408
	scratch_load_b128 v[10:13], off, off offset:424
	s_wait_loadcnt 0x2
	v_mul_f32_e32 v147, v14, v7
	v_dual_mul_f32 v7, v15, v7 :: v_dual_mul_f32 v148, v16, v9
	v_mul_f32_e32 v9, v17, v9
	s_delay_alu instid0(VALU_DEP_3) | instskip(NEXT) | instid1(VALU_DEP_3)
	v_fmac_f32_e32 v147, v15, v6
	v_fma_f32 v149, v14, v6, -v7
	v_add_f32_e32 v14, v142, v161
	v_add_f32_e32 v142, v143, v164
	v_fmac_f32_e32 v148, v17, v8
	v_fma_f32 v150, v16, v8, -v9
	ds_load_2addr_b64 v[6:9], v1 offset0:109 offset1:110
	v_add_f32_e32 v143, v14, v163
	v_add_f32_e32 v151, v142, v166
	ds_load_2addr_b64 v[14:17], v1 offset0:111 offset1:112
	v_add_f32_e32 v152, v143, v165
	ds_load_2addr_b64 v[142:145], v1 offset0:113 offset1:114
	v_add_f32_e32 v1, v151, v168
	v_add_f32_e32 v151, v152, v167
	s_delay_alu instid0(VALU_DEP_2) | instskip(NEXT) | instid1(VALU_DEP_2)
	v_add_f32_e32 v1, v1, v170
	v_add_f32_e32 v151, v151, v169
	s_wait_loadcnt_dscnt 0x102
	s_delay_alu instid0(VALU_DEP_2) | instskip(SKIP_1) | instid1(VALU_DEP_2)
	v_dual_add_f32 v1, v1, v140 :: v_dual_mul_f32 v152, v6, v3
	v_dual_mul_f32 v3, v7, v3 :: v_dual_mul_f32 v140, v8, v5
	v_add_f32_e32 v1, v1, v146
	v_dual_mul_f32 v5, v9, v5 :: v_dual_add_f32 v24, v151, v24
	s_delay_alu instid0(VALU_DEP_3) | instskip(NEXT) | instid1(VALU_DEP_4)
	v_fma_f32 v3, v6, v2, -v3
	v_fmac_f32_e32 v140, v9, v4
	s_delay_alu instid0(VALU_DEP_4) | instskip(NEXT) | instid1(VALU_DEP_4)
	v_add_f32_e32 v1, v1, v149
	v_fma_f32 v4, v8, v4, -v5
	s_wait_loadcnt_dscnt 0x1
	v_dual_fmac_f32 v152, v7, v2 :: v_dual_mul_f32 v151, v14, v11
	s_delay_alu instid0(VALU_DEP_3) | instskip(SKIP_2) | instid1(VALU_DEP_3)
	v_dual_mul_f32 v6, v15, v11 :: v_dual_add_f32 v1, v1, v150
	v_mul_f32_e32 v153, v16, v13
	s_wait_dscnt 0x0
	v_dual_mul_f32 v146, v144, v21 :: v_dual_fmac_f32 v151, v15, v10
	s_delay_alu instid0(VALU_DEP_3) | instskip(SKIP_4) | instid1(VALU_DEP_4)
	v_fma_f32 v5, v14, v10, -v6
	v_add_f32_e32 v1, v1, v3
	v_mul_f32_e32 v3, v17, v13
	v_fmac_f32_e32 v153, v17, v12
	v_fmac_f32_e32 v146, v145, v20
	v_dual_add_f32 v1, v1, v4 :: v_dual_mul_f32 v4, v143, v19
	v_add_f32_e32 v24, v24, v139
	v_mul_f32_e32 v139, v142, v19
	v_fma_f32 v3, v16, v12, -v3
	s_delay_alu instid0(VALU_DEP_4) | instskip(NEXT) | instid1(VALU_DEP_4)
	v_add_f32_e32 v1, v1, v5
	v_dual_mul_f32 v5, v145, v21 :: v_dual_add_f32 v24, v24, v147
	s_delay_alu instid0(VALU_DEP_4) | instskip(SKIP_1) | instid1(VALU_DEP_4)
	v_fmac_f32_e32 v139, v143, v18
	v_fma_f32 v4, v142, v18, -v4
	v_add_f32_e32 v1, v1, v3
	s_delay_alu instid0(VALU_DEP_4) | instskip(SKIP_1) | instid1(VALU_DEP_3)
	v_fma_f32 v3, v144, v20, -v5
	v_add_f32_e32 v2, v24, v148
	v_add_f32_e32 v1, v1, v4
	s_delay_alu instid0(VALU_DEP_1) | instskip(NEXT) | instid1(VALU_DEP_1)
	v_dual_add_f32 v2, v2, v152 :: v_dual_add_f32 v1, v1, v3
	v_add_f32_e32 v2, v2, v140
	s_delay_alu instid0(VALU_DEP_2) | instskip(NEXT) | instid1(VALU_DEP_2)
	v_sub_f32_e32 v1, v22, v1
	v_add_f32_e32 v2, v2, v151
	s_delay_alu instid0(VALU_DEP_1) | instskip(NEXT) | instid1(VALU_DEP_1)
	v_add_f32_e32 v2, v2, v153
	v_add_f32_e32 v2, v2, v139
	s_delay_alu instid0(VALU_DEP_1) | instskip(NEXT) | instid1(VALU_DEP_1)
	v_add_f32_e32 v2, v2, v146
	v_sub_f32_e32 v2, v23, v2
	scratch_store_b64 off, v[1:2], off offset:208
	v_cmpx_lt_u32_e32 25, v0
	s_cbranch_execz .LBB120_305
; %bb.304:
	scratch_load_b64 v[1:2], off, off offset:200
	v_mov_b32_e32 v3, 0
	s_delay_alu instid0(VALU_DEP_1)
	v_mov_b32_e32 v4, v3
	scratch_store_b64 off, v[3:4], off offset:200
	s_wait_loadcnt 0x0
	ds_store_b64 v141, v[1:2]
.LBB120_305:
	s_wait_alu 0xfffe
	s_or_b32 exec_lo, exec_lo, s0
	s_wait_storecnt_dscnt 0x0
	s_barrier_signal -1
	s_barrier_wait -1
	global_inv scope:SCOPE_SE
	s_clause 0x4
	scratch_load_b128 v[5:8], off, off offset:208
	scratch_load_b128 v[1:4], off, off offset:224
	;; [unrolled: 1-line block ×5, first 2 shown]
	v_mov_b32_e32 v21, 0
	ds_load_b128 v[142:145], v21 offset:672
	ds_load_b128 v[146:149], v21 offset:688
	;; [unrolled: 1-line block ×3, first 2 shown]
	scratch_load_b64 v[22:23], off, off offset:200
	s_mov_b32 s0, exec_lo
	s_wait_loadcnt_dscnt 0x502
	v_mul_f32_e32 v24, v143, v6
	v_dual_mul_f32 v139, v142, v6 :: v_dual_mul_f32 v140, v144, v8
	v_mul_f32_e32 v6, v145, v8
	s_delay_alu instid0(VALU_DEP_3) | instskip(NEXT) | instid1(VALU_DEP_3)
	v_fma_f32 v24, v142, v5, -v24
	v_dual_fmac_f32 v139, v143, v5 :: v_dual_fmac_f32 v140, v145, v7
	s_wait_loadcnt_dscnt 0x401
	v_mul_f32_e32 v143, v146, v2
	v_fma_f32 v142, v144, v7, -v6
	ds_load_b128 v[5:8], v21 offset:720
	s_wait_loadcnt_dscnt 0x301
	v_dual_mul_f32 v144, v148, v4 :: v_dual_mul_f32 v145, v150, v10
	v_dual_mul_f32 v4, v149, v4 :: v_dual_fmac_f32 v143, v147, v1
	v_mul_f32_e32 v10, v151, v10
	s_delay_alu instid0(VALU_DEP_3)
	v_dual_mul_f32 v154, v152, v12 :: v_dual_fmac_f32 v145, v151, v9
	v_mul_f32_e32 v12, v153, v12
	v_mul_f32_e32 v2, v147, v2
	v_fmac_f32_e32 v144, v149, v3
	v_fma_f32 v147, v148, v3, -v4
	v_fma_f32 v148, v150, v9, -v10
	v_fmac_f32_e32 v154, v153, v11
	v_fma_f32 v149, v152, v11, -v12
	ds_load_b128 v[9:12], v21 offset:736
	s_wait_loadcnt_dscnt 0x201
	v_dual_mul_f32 v151, v7, v16 :: v_dual_mul_f32 v150, v5, v14
	v_mul_f32_e32 v14, v6, v14
	v_mul_f32_e32 v16, v8, v16
	s_delay_alu instid0(VALU_DEP_3)
	v_fmac_f32_e32 v151, v8, v15
	v_fma_f32 v146, v146, v1, -v2
	scratch_load_b128 v[1:4], off, off offset:288
	v_fmac_f32_e32 v150, v6, v13
	v_fma_f32 v13, v5, v13, -v14
	v_fma_f32 v14, v7, v15, -v16
	ds_load_b128 v[5:8], v21 offset:752
	s_wait_loadcnt_dscnt 0x201
	v_mul_f32_e32 v15, v9, v18
	v_mul_f32_e32 v16, v10, v18
	;; [unrolled: 1-line block ×3, first 2 shown]
	s_delay_alu instid0(VALU_DEP_3) | instskip(NEXT) | instid1(VALU_DEP_3)
	v_dual_mul_f32 v20, v12, v20 :: v_dual_fmac_f32 v15, v10, v17
	v_fma_f32 v16, v9, v17, -v16
	s_delay_alu instid0(VALU_DEP_3) | instskip(NEXT) | instid1(VALU_DEP_3)
	v_fmac_f32_e32 v18, v12, v19
	v_fma_f32 v17, v11, v19, -v20
	scratch_load_b128 v[9:12], off, off offset:304
	s_wait_loadcnt_dscnt 0x100
	v_mul_f32_e32 v19, v5, v2
	v_mul_f32_e32 v2, v6, v2
	v_mul_f32_e32 v20, v7, v4
	s_delay_alu instid0(VALU_DEP_3) | instskip(NEXT) | instid1(VALU_DEP_3)
	v_dual_mul_f32 v4, v8, v4 :: v_dual_fmac_f32 v19, v6, v1
	v_fma_f32 v152, v5, v1, -v2
	s_delay_alu instid0(VALU_DEP_3) | instskip(NEXT) | instid1(VALU_DEP_3)
	v_fmac_f32_e32 v20, v8, v3
	v_fma_f32 v153, v7, v3, -v4
	ds_load_b128 v[1:4], v21 offset:768
	ds_load_b128 v[5:8], v21 offset:784
	s_wait_loadcnt_dscnt 0x1
	v_mul_f32_e32 v155, v1, v10
	v_mul_f32_e32 v10, v2, v10
	s_delay_alu instid0(VALU_DEP_2) | instskip(NEXT) | instid1(VALU_DEP_2)
	v_dual_mul_f32 v156, v3, v12 :: v_dual_fmac_f32 v155, v2, v9
	v_fma_f32 v157, v1, v9, -v10
	v_mul_f32_e32 v1, v4, v12
	s_delay_alu instid0(VALU_DEP_3) | instskip(NEXT) | instid1(VALU_DEP_2)
	v_fmac_f32_e32 v156, v4, v11
	v_fma_f32 v158, v3, v11, -v1
	s_clause 0x1
	scratch_load_b128 v[1:4], off, off offset:320
	scratch_load_b128 v[9:12], off, off offset:336
	s_wait_loadcnt_dscnt 0x100
	v_mul_f32_e32 v159, v5, v2
	v_dual_mul_f32 v2, v6, v2 :: v_dual_mul_f32 v161, v7, v4
	s_delay_alu instid0(VALU_DEP_2) | instskip(NEXT) | instid1(VALU_DEP_2)
	v_fmac_f32_e32 v159, v6, v1
	v_fma_f32 v160, v5, v1, -v2
	v_mul_f32_e32 v1, v8, v4
	s_delay_alu instid0(VALU_DEP_4) | instskip(NEXT) | instid1(VALU_DEP_2)
	v_fmac_f32_e32 v161, v8, v3
	v_fma_f32 v162, v7, v3, -v1
	ds_load_b128 v[1:4], v21 offset:800
	ds_load_b128 v[5:8], v21 offset:816
	s_wait_loadcnt_dscnt 0x1
	v_mul_f32_e32 v163, v1, v10
	v_mul_f32_e32 v165, v3, v12
	s_delay_alu instid0(VALU_DEP_2) | instskip(NEXT) | instid1(VALU_DEP_2)
	v_fmac_f32_e32 v163, v2, v9
	v_dual_mul_f32 v2, v2, v10 :: v_dual_fmac_f32 v165, v4, v11
	s_delay_alu instid0(VALU_DEP_1) | instskip(SKIP_1) | instid1(VALU_DEP_1)
	v_fma_f32 v164, v1, v9, -v2
	v_mul_f32_e32 v1, v4, v12
	v_fma_f32 v166, v3, v11, -v1
	s_clause 0x1
	scratch_load_b128 v[1:4], off, off offset:352
	scratch_load_b128 v[9:12], off, off offset:368
	s_wait_loadcnt_dscnt 0x100
	v_mul_f32_e32 v167, v5, v2
	v_dual_mul_f32 v169, v7, v4 :: v_dual_mul_f32 v2, v6, v2
	s_delay_alu instid0(VALU_DEP_2) | instskip(NEXT) | instid1(VALU_DEP_2)
	v_fmac_f32_e32 v167, v6, v1
	v_fmac_f32_e32 v169, v8, v3
	s_delay_alu instid0(VALU_DEP_3) | instskip(SKIP_1) | instid1(VALU_DEP_1)
	v_fma_f32 v168, v5, v1, -v2
	v_dual_mul_f32 v1, v8, v4 :: v_dual_add_f32 v2, 0, v139
	v_fma_f32 v170, v7, v3, -v1
	s_delay_alu instid0(VALU_DEP_2) | instskip(NEXT) | instid1(VALU_DEP_1)
	v_add_f32_e32 v2, v2, v140
	v_dual_add_f32 v1, 0, v24 :: v_dual_add_f32 v2, v2, v143
	s_delay_alu instid0(VALU_DEP_1) | instskip(NEXT) | instid1(VALU_DEP_1)
	v_dual_add_f32 v1, v1, v142 :: v_dual_add_f32 v2, v2, v144
	v_dual_add_f32 v1, v1, v146 :: v_dual_add_f32 v2, v2, v145
	s_delay_alu instid0(VALU_DEP_1) | instskip(NEXT) | instid1(VALU_DEP_1)
	v_add_f32_e32 v1, v1, v147
	v_add_f32_e32 v1, v1, v148
	s_delay_alu instid0(VALU_DEP_1) | instskip(NEXT) | instid1(VALU_DEP_1)
	v_add_f32_e32 v1, v1, v149
	v_dual_add_f32 v5, v2, v154 :: v_dual_add_f32 v6, v1, v13
	scratch_load_b128 v[1:4], off, off offset:384
	v_add_f32_e32 v13, v5, v150
	v_add_f32_e32 v14, v6, v14
	ds_load_b128 v[5:8], v21 offset:832
	v_dual_add_f32 v13, v13, v151 :: v_dual_add_f32 v14, v14, v16
	s_delay_alu instid0(VALU_DEP_1) | instskip(NEXT) | instid1(VALU_DEP_1)
	v_add_f32_e32 v13, v13, v15
	v_dual_add_f32 v17, v14, v17 :: v_dual_add_f32 v18, v13, v18
	ds_load_b128 v[13:16], v21 offset:848
	v_add_f32_e32 v18, v18, v19
	s_wait_loadcnt_dscnt 0x101
	v_mul_f32_e32 v148, v7, v12
	s_delay_alu instid0(VALU_DEP_2) | instskip(SKIP_2) | instid1(VALU_DEP_3)
	v_add_f32_e32 v18, v18, v20
	v_mul_f32_e32 v24, v5, v10
	v_mul_f32_e32 v10, v6, v10
	v_dual_mul_f32 v12, v8, v12 :: v_dual_add_f32 v139, v18, v155
	s_delay_alu instid0(VALU_DEP_3) | instskip(NEXT) | instid1(VALU_DEP_3)
	v_dual_add_f32 v17, v17, v152 :: v_dual_fmac_f32 v24, v6, v9
	v_fma_f32 v149, v5, v9, -v10
	s_delay_alu instid0(VALU_DEP_3) | instskip(NEXT) | instid1(VALU_DEP_3)
	v_fma_f32 v150, v7, v11, -v12
	v_dual_add_f32 v17, v17, v153 :: v_dual_fmac_f32 v148, v8, v11
	s_clause 0x1
	scratch_load_b128 v[5:8], off, off offset:400
	scratch_load_b128 v[9:12], off, off offset:416
	v_dual_add_f32 v142, v139, v156 :: v_dual_add_f32 v17, v17, v157
	s_delay_alu instid0(VALU_DEP_1)
	v_add_f32_e32 v140, v17, v158
	scratch_load_b128 v[17:20], off, off offset:432
	s_wait_loadcnt_dscnt 0x300
	v_mul_f32_e32 v151, v13, v2
	v_dual_add_f32 v143, v140, v160 :: v_dual_add_f32 v142, v142, v159
	scratch_load_b64 v[139:140], off, off offset:448
	v_mul_f32_e32 v2, v14, v2
	v_dual_mul_f32 v152, v15, v4 :: v_dual_fmac_f32 v151, v14, v1
	v_dual_add_f32 v143, v143, v162 :: v_dual_mul_f32 v4, v16, v4
	s_delay_alu instid0(VALU_DEP_1) | instskip(NEXT) | instid1(VALU_DEP_2)
	v_add_f32_e32 v143, v143, v164
	v_fma_f32 v154, v15, v3, -v4
	s_delay_alu instid0(VALU_DEP_2) | instskip(NEXT) | instid1(VALU_DEP_1)
	v_add_f32_e32 v14, v143, v166
	v_add_f32_e32 v146, v14, v168
	s_delay_alu instid0(VALU_DEP_1) | instskip(NEXT) | instid1(VALU_DEP_1)
	v_dual_fmac_f32 v152, v16, v3 :: v_dual_add_f32 v155, v146, v170
	v_add_f32_e32 v149, v155, v149
	v_fma_f32 v153, v13, v1, -v2
	ds_load_b128 v[1:4], v21 offset:864
	v_dual_add_f32 v142, v142, v161 :: v_dual_add_f32 v149, v149, v150
	s_delay_alu instid0(VALU_DEP_1) | instskip(NEXT) | instid1(VALU_DEP_2)
	v_add_f32_e32 v13, v142, v163
	v_add_f32_e32 v149, v149, v153
	s_delay_alu instid0(VALU_DEP_2)
	v_add_f32_e32 v142, v13, v165
	ds_load_b128 v[13:16], v21 offset:880
	v_add_f32_e32 v149, v149, v154
	v_add_f32_e32 v147, v142, v167
	ds_load_b128 v[142:145], v21 offset:896
	s_wait_loadcnt_dscnt 0x302
	v_dual_mul_f32 v155, v1, v6 :: v_dual_add_f32 v156, v147, v169
	ds_load_b64 v[146:147], v21 offset:912
	v_mul_f32_e32 v6, v2, v6
	v_fmac_f32_e32 v155, v2, v5
	s_delay_alu instid0(VALU_DEP_2) | instskip(SKIP_2) | instid1(VALU_DEP_2)
	v_fma_f32 v1, v1, v5, -v6
	s_wait_loadcnt_dscnt 0x202
	v_dual_mul_f32 v150, v13, v10 :: v_dual_mul_f32 v5, v16, v12
	v_add_f32_e32 v1, v149, v1
	s_wait_loadcnt_dscnt 0x101
	v_dual_mul_f32 v153, v142, v18 :: v_dual_add_f32 v24, v156, v24
	s_delay_alu instid0(VALU_DEP_3) | instskip(SKIP_1) | instid1(VALU_DEP_3)
	v_fma_f32 v5, v15, v11, -v5
	v_fmac_f32_e32 v150, v14, v9
	v_dual_fmac_f32 v153, v143, v17 :: v_dual_add_f32 v24, v24, v148
	v_mul_f32_e32 v148, v3, v8
	v_mul_f32_e32 v8, v4, v8
	s_delay_alu instid0(VALU_DEP_1) | instskip(NEXT) | instid1(VALU_DEP_4)
	v_fma_f32 v2, v3, v7, -v8
	v_dual_add_f32 v24, v24, v151 :: v_dual_mul_f32 v3, v14, v10
	s_delay_alu instid0(VALU_DEP_4) | instskip(NEXT) | instid1(VALU_DEP_2)
	v_dual_fmac_f32 v148, v4, v7 :: v_dual_mul_f32 v151, v15, v12
	v_dual_add_f32 v1, v1, v2 :: v_dual_add_f32 v24, v24, v152
	s_delay_alu instid0(VALU_DEP_3) | instskip(SKIP_1) | instid1(VALU_DEP_4)
	v_fma_f32 v3, v13, v9, -v3
	v_mul_f32_e32 v154, v144, v20
	v_fmac_f32_e32 v151, v16, v11
	s_delay_alu instid0(VALU_DEP_3) | instskip(SKIP_1) | instid1(VALU_DEP_4)
	v_add_f32_e32 v1, v1, v3
	v_dual_add_f32 v4, v24, v155 :: v_dual_mul_f32 v3, v145, v20
	v_fmac_f32_e32 v154, v145, v19
	s_delay_alu instid0(VALU_DEP_3) | instskip(NEXT) | instid1(VALU_DEP_3)
	v_add_f32_e32 v1, v1, v5
	v_fma_f32 v3, v144, v19, -v3
	s_delay_alu instid0(VALU_DEP_4) | instskip(SKIP_1) | instid1(VALU_DEP_1)
	v_add_f32_e32 v2, v4, v148
	v_mul_f32_e32 v4, v143, v18
	v_fma_f32 v4, v142, v17, -v4
	s_delay_alu instid0(VALU_DEP_1) | instskip(NEXT) | instid1(VALU_DEP_1)
	v_add_f32_e32 v1, v1, v4
	v_add_f32_e32 v1, v1, v3
	s_wait_loadcnt_dscnt 0x0
	v_mul_f32_e32 v5, v147, v140
	v_mul_f32_e32 v152, v146, v140
	s_delay_alu instid0(VALU_DEP_2) | instskip(SKIP_1) | instid1(VALU_DEP_2)
	v_fma_f32 v4, v146, v139, -v5
	v_add_f32_e32 v2, v2, v150
	v_dual_fmac_f32 v152, v147, v139 :: v_dual_add_f32 v1, v1, v4
	s_delay_alu instid0(VALU_DEP_2) | instskip(NEXT) | instid1(VALU_DEP_2)
	v_add_f32_e32 v2, v2, v151
	v_sub_f32_e32 v1, v22, v1
	s_delay_alu instid0(VALU_DEP_2) | instskip(NEXT) | instid1(VALU_DEP_1)
	v_add_f32_e32 v2, v2, v153
	v_add_f32_e32 v2, v2, v154
	s_delay_alu instid0(VALU_DEP_1) | instskip(NEXT) | instid1(VALU_DEP_1)
	v_add_f32_e32 v2, v2, v152
	v_sub_f32_e32 v2, v23, v2
	scratch_store_b64 off, v[1:2], off offset:200
	v_cmpx_lt_u32_e32 24, v0
	s_cbranch_execz .LBB120_307
; %bb.306:
	scratch_load_b64 v[1:2], off, off offset:192
	v_mov_b32_e32 v22, v21
	scratch_store_b64 off, v[21:22], off offset:192
	s_wait_loadcnt 0x0
	ds_store_b64 v141, v[1:2]
.LBB120_307:
	s_wait_alu 0xfffe
	s_or_b32 exec_lo, exec_lo, s0
	s_wait_storecnt_dscnt 0x0
	s_barrier_signal -1
	s_barrier_wait -1
	global_inv scope:SCOPE_SE
	s_clause 0x4
	scratch_load_b128 v[5:8], off, off offset:200
	scratch_load_b128 v[1:4], off, off offset:216
	;; [unrolled: 1-line block ×5, first 2 shown]
	ds_load_2addr_b64 v[142:145], v21 offset0:83 offset1:84
	ds_load_2addr_b64 v[146:149], v21 offset0:85 offset1:86
	;; [unrolled: 1-line block ×3, first 2 shown]
	scratch_load_b64 v[139:140], off, off offset:192
	s_mov_b32 s0, exec_lo
	s_wait_loadcnt_dscnt 0x502
	v_mul_f32_e32 v22, v143, v6
	v_dual_mul_f32 v23, v142, v6 :: v_dual_mul_f32 v24, v144, v8
	v_mul_f32_e32 v6, v145, v8
	s_delay_alu instid0(VALU_DEP_3) | instskip(NEXT) | instid1(VALU_DEP_3)
	v_fma_f32 v22, v142, v5, -v22
	v_dual_fmac_f32 v23, v143, v5 :: v_dual_fmac_f32 v24, v145, v7
	s_wait_loadcnt_dscnt 0x401
	v_mul_f32_e32 v143, v146, v2
	v_fma_f32 v142, v144, v7, -v6
	ds_load_2addr_b64 v[5:8], v21 offset0:89 offset1:90
	s_wait_loadcnt_dscnt 0x301
	v_dual_mul_f32 v144, v148, v4 :: v_dual_mul_f32 v145, v150, v10
	v_dual_mul_f32 v4, v149, v4 :: v_dual_fmac_f32 v143, v147, v1
	v_mul_f32_e32 v10, v151, v10
	s_delay_alu instid0(VALU_DEP_3)
	v_dual_mul_f32 v154, v152, v12 :: v_dual_fmac_f32 v145, v151, v9
	v_mul_f32_e32 v12, v153, v12
	v_mul_f32_e32 v2, v147, v2
	v_fmac_f32_e32 v144, v149, v3
	v_fma_f32 v147, v148, v3, -v4
	v_fma_f32 v148, v150, v9, -v10
	v_fmac_f32_e32 v154, v153, v11
	v_fma_f32 v149, v152, v11, -v12
	ds_load_2addr_b64 v[9:12], v21 offset0:91 offset1:92
	s_wait_loadcnt_dscnt 0x201
	v_mul_f32_e32 v150, v5, v14
	v_dual_mul_f32 v14, v6, v14 :: v_dual_mul_f32 v151, v7, v16
	v_mul_f32_e32 v16, v8, v16
	s_delay_alu instid0(VALU_DEP_3) | instskip(NEXT) | instid1(VALU_DEP_3)
	v_fmac_f32_e32 v150, v6, v13
	v_fma_f32 v13, v5, v13, -v14
	s_delay_alu instid0(VALU_DEP_4) | instskip(NEXT) | instid1(VALU_DEP_4)
	v_fmac_f32_e32 v151, v8, v15
	v_fma_f32 v14, v7, v15, -v16
	ds_load_2addr_b64 v[5:8], v21 offset0:93 offset1:94
	s_wait_loadcnt_dscnt 0x101
	v_mul_f32_e32 v15, v9, v18
	v_mul_f32_e32 v16, v10, v18
	;; [unrolled: 1-line block ×3, first 2 shown]
	s_delay_alu instid0(VALU_DEP_3)
	v_dual_mul_f32 v20, v12, v20 :: v_dual_fmac_f32 v15, v10, v17
	v_fma_f32 v146, v146, v1, -v2
	scratch_load_b128 v[1:4], off, off offset:280
	v_fma_f32 v16, v9, v17, -v16
	v_fmac_f32_e32 v18, v12, v19
	v_fma_f32 v17, v11, v19, -v20
	scratch_load_b128 v[9:12], off, off offset:296
	s_wait_loadcnt_dscnt 0x100
	v_mul_f32_e32 v19, v5, v2
	v_mul_f32_e32 v2, v6, v2
	;; [unrolled: 1-line block ×3, first 2 shown]
	s_delay_alu instid0(VALU_DEP_3) | instskip(NEXT) | instid1(VALU_DEP_3)
	v_dual_mul_f32 v4, v8, v4 :: v_dual_fmac_f32 v19, v6, v1
	v_fma_f32 v152, v5, v1, -v2
	s_delay_alu instid0(VALU_DEP_3) | instskip(NEXT) | instid1(VALU_DEP_3)
	v_fmac_f32_e32 v20, v8, v3
	v_fma_f32 v153, v7, v3, -v4
	ds_load_2addr_b64 v[1:4], v21 offset0:95 offset1:96
	ds_load_2addr_b64 v[5:8], v21 offset0:97 offset1:98
	s_wait_loadcnt_dscnt 0x1
	v_mul_f32_e32 v155, v1, v10
	v_mul_f32_e32 v10, v2, v10
	s_delay_alu instid0(VALU_DEP_2) | instskip(NEXT) | instid1(VALU_DEP_2)
	v_dual_mul_f32 v156, v3, v12 :: v_dual_fmac_f32 v155, v2, v9
	v_fma_f32 v157, v1, v9, -v10
	v_mul_f32_e32 v1, v4, v12
	s_delay_alu instid0(VALU_DEP_3) | instskip(NEXT) | instid1(VALU_DEP_2)
	v_fmac_f32_e32 v156, v4, v11
	v_fma_f32 v158, v3, v11, -v1
	s_clause 0x1
	scratch_load_b128 v[1:4], off, off offset:312
	scratch_load_b128 v[9:12], off, off offset:328
	s_wait_loadcnt_dscnt 0x100
	v_mul_f32_e32 v159, v5, v2
	v_dual_mul_f32 v2, v6, v2 :: v_dual_mul_f32 v161, v7, v4
	s_delay_alu instid0(VALU_DEP_2) | instskip(NEXT) | instid1(VALU_DEP_2)
	v_fmac_f32_e32 v159, v6, v1
	v_fma_f32 v160, v5, v1, -v2
	v_mul_f32_e32 v1, v8, v4
	s_delay_alu instid0(VALU_DEP_4) | instskip(NEXT) | instid1(VALU_DEP_2)
	v_fmac_f32_e32 v161, v8, v3
	v_fma_f32 v162, v7, v3, -v1
	ds_load_2addr_b64 v[1:4], v21 offset0:99 offset1:100
	ds_load_2addr_b64 v[5:8], v21 offset0:101 offset1:102
	s_wait_loadcnt_dscnt 0x1
	v_mul_f32_e32 v163, v1, v10
	v_mul_f32_e32 v165, v3, v12
	s_delay_alu instid0(VALU_DEP_2) | instskip(NEXT) | instid1(VALU_DEP_2)
	v_fmac_f32_e32 v163, v2, v9
	v_dual_mul_f32 v2, v2, v10 :: v_dual_fmac_f32 v165, v4, v11
	s_delay_alu instid0(VALU_DEP_1) | instskip(SKIP_1) | instid1(VALU_DEP_1)
	v_fma_f32 v164, v1, v9, -v2
	v_mul_f32_e32 v1, v4, v12
	v_fma_f32 v166, v3, v11, -v1
	s_clause 0x1
	scratch_load_b128 v[1:4], off, off offset:344
	scratch_load_b128 v[9:12], off, off offset:360
	s_wait_loadcnt_dscnt 0x100
	v_mul_f32_e32 v167, v5, v2
	v_dual_mul_f32 v2, v6, v2 :: v_dual_mul_f32 v169, v7, v4
	s_delay_alu instid0(VALU_DEP_2) | instskip(NEXT) | instid1(VALU_DEP_2)
	v_fmac_f32_e32 v167, v6, v1
	v_fma_f32 v168, v5, v1, -v2
	v_mul_f32_e32 v1, v8, v4
	s_delay_alu instid0(VALU_DEP_4) | instskip(NEXT) | instid1(VALU_DEP_2)
	v_fmac_f32_e32 v169, v8, v3
	v_fma_f32 v170, v7, v3, -v1
	ds_load_2addr_b64 v[1:4], v21 offset0:103 offset1:104
	ds_load_2addr_b64 v[5:8], v21 offset0:105 offset1:106
	s_wait_loadcnt_dscnt 0x1
	v_mul_f32_e32 v171, v1, v10
	v_mul_f32_e32 v173, v3, v12
	s_delay_alu instid0(VALU_DEP_2) | instskip(NEXT) | instid1(VALU_DEP_2)
	v_fmac_f32_e32 v171, v2, v9
	v_dual_mul_f32 v2, v2, v10 :: v_dual_fmac_f32 v173, v4, v11
	s_delay_alu instid0(VALU_DEP_1) | instskip(SKIP_1) | instid1(VALU_DEP_1)
	v_fma_f32 v172, v1, v9, -v2
	v_mul_f32_e32 v1, v4, v12
	v_fma_f32 v174, v3, v11, -v1
	s_clause 0x1
	scratch_load_b128 v[1:4], off, off offset:376
	scratch_load_b128 v[9:12], off, off offset:392
	s_wait_loadcnt_dscnt 0x100
	v_mul_f32_e32 v175, v5, v2
	v_mul_f32_e32 v2, v6, v2
	s_delay_alu instid0(VALU_DEP_1) | instskip(SKIP_1) | instid1(VALU_DEP_1)
	v_fma_f32 v176, v5, v1, -v2
	v_add_f32_e32 v2, 0, v23
	v_add_f32_e32 v2, v2, v24
	v_fmac_f32_e32 v175, v6, v1
	s_delay_alu instid0(VALU_DEP_2) | instskip(NEXT) | instid1(VALU_DEP_1)
	v_add_f32_e32 v2, v2, v143
	v_add_f32_e32 v2, v2, v144
	s_delay_alu instid0(VALU_DEP_1) | instskip(NEXT) | instid1(VALU_DEP_1)
	v_dual_mul_f32 v177, v7, v4 :: v_dual_add_f32 v2, v2, v145
	v_dual_fmac_f32 v177, v8, v3 :: v_dual_add_f32 v2, v2, v154
	s_delay_alu instid0(VALU_DEP_1) | instskip(NEXT) | instid1(VALU_DEP_1)
	v_dual_mul_f32 v1, v8, v4 :: v_dual_add_f32 v2, v2, v150
	v_fma_f32 v178, v7, v3, -v1
	s_delay_alu instid0(VALU_DEP_2) | instskip(NEXT) | instid1(VALU_DEP_1)
	v_dual_add_f32 v1, 0, v22 :: v_dual_add_f32 v2, v2, v151
	v_add_f32_e32 v1, v1, v142
	s_delay_alu instid0(VALU_DEP_2) | instskip(NEXT) | instid1(VALU_DEP_2)
	v_add_f32_e32 v5, v2, v15
	v_add_f32_e32 v1, v1, v146
	s_delay_alu instid0(VALU_DEP_2) | instskip(NEXT) | instid1(VALU_DEP_2)
	v_add_f32_e32 v5, v5, v18
	;; [unrolled: 3-line block ×3, first 2 shown]
	v_add_f32_e32 v1, v1, v148
	s_delay_alu instid0(VALU_DEP_1) | instskip(NEXT) | instid1(VALU_DEP_1)
	v_add_f32_e32 v1, v1, v149
	v_add_f32_e32 v1, v1, v13
	s_delay_alu instid0(VALU_DEP_1) | instskip(SKIP_1) | instid1(VALU_DEP_1)
	v_add_f32_e32 v1, v1, v14
	v_add_f32_e32 v14, v5, v20
	;; [unrolled: 1-line block ×3, first 2 shown]
	s_delay_alu instid0(VALU_DEP_1) | instskip(NEXT) | instid1(VALU_DEP_4)
	v_add_f32_e32 v14, v14, v156
	v_add_f32_e32 v1, v1, v16
	s_delay_alu instid0(VALU_DEP_1) | instskip(SKIP_3) | instid1(VALU_DEP_1)
	v_add_f32_e32 v6, v1, v17
	ds_load_2addr_b64 v[1:4], v21 offset0:107 offset1:108
	v_add_f32_e32 v17, v14, v159
	v_add_f32_e32 v6, v6, v152
	;; [unrolled: 1-line block ×3, first 2 shown]
	ds_load_2addr_b64 v[5:8], v21 offset0:109 offset1:110
	s_wait_loadcnt_dscnt 0x1
	v_dual_mul_f32 v142, v1, v10 :: v_dual_mul_f32 v143, v3, v12
	v_mul_f32_e32 v10, v2, v10
	v_mul_f32_e32 v12, v4, v12
	s_delay_alu instid0(VALU_DEP_3) | instskip(NEXT) | instid1(VALU_DEP_3)
	v_dual_fmac_f32 v142, v2, v9 :: v_dual_fmac_f32 v143, v4, v11
	v_fma_f32 v144, v1, v9, -v10
	s_delay_alu instid0(VALU_DEP_3)
	v_fma_f32 v145, v3, v11, -v12
	s_clause 0x1
	scratch_load_b128 v[1:4], off, off offset:408
	scratch_load_b128 v[9:12], off, off offset:424
	s_wait_loadcnt_dscnt 0x100
	v_mul_f32_e32 v148, v5, v2
	v_dual_add_f32 v13, v13, v157 :: v_dual_mul_f32 v2, v6, v2
	v_mul_f32_e32 v149, v7, v4
	v_mul_f32_e32 v4, v8, v4
	s_delay_alu instid0(VALU_DEP_3) | instskip(NEXT) | instid1(VALU_DEP_4)
	v_dual_fmac_f32 v148, v6, v1 :: v_dual_add_f32 v13, v13, v158
	v_fma_f32 v2, v5, v1, -v2
	s_delay_alu instid0(VALU_DEP_2) | instskip(NEXT) | instid1(VALU_DEP_1)
	v_add_f32_e32 v13, v13, v160
	v_add_f32_e32 v18, v13, v162
	scratch_load_b128 v[13:16], off, off offset:440
	v_add_f32_e32 v18, v18, v164
	s_delay_alu instid0(VALU_DEP_1) | instskip(NEXT) | instid1(VALU_DEP_1)
	v_add_f32_e32 v18, v18, v166
	v_add_f32_e32 v22, v18, v168
	s_delay_alu instid0(VALU_DEP_1) | instskip(NEXT) | instid1(VALU_DEP_1)
	v_add_f32_e32 v146, v22, v170
	v_add_f32_e32 v146, v146, v172
	s_delay_alu instid0(VALU_DEP_1) | instskip(NEXT) | instid1(VALU_DEP_1)
	v_dual_add_f32 v146, v146, v174 :: v_dual_add_f32 v17, v17, v161
	v_dual_add_f32 v146, v146, v176 :: v_dual_add_f32 v17, v17, v163
	s_delay_alu instid0(VALU_DEP_1) | instskip(NEXT) | instid1(VALU_DEP_1)
	v_dual_add_f32 v146, v146, v178 :: v_dual_add_f32 v17, v17, v165
	v_dual_add_f32 v144, v146, v144 :: v_dual_add_f32 v23, v17, v167
	ds_load_2addr_b64 v[17:20], v21 offset0:111 offset1:112
	v_add_f32_e32 v1, v144, v145
	v_add_f32_e32 v147, v23, v169
	ds_load_2addr_b64 v[21:24], v21 offset0:113 offset1:114
	s_wait_loadcnt_dscnt 0x101
	v_dual_mul_f32 v150, v17, v10 :: v_dual_add_f32 v147, v147, v171
	v_mul_f32_e32 v6, v18, v10
	s_delay_alu instid0(VALU_DEP_2) | instskip(NEXT) | instid1(VALU_DEP_3)
	v_fmac_f32_e32 v150, v18, v9
	v_add_f32_e32 v147, v147, v173
	v_fmac_f32_e32 v149, v8, v3
	v_fma_f32 v3, v7, v3, -v4
	s_delay_alu instid0(VALU_DEP_3) | instskip(NEXT) | instid1(VALU_DEP_1)
	v_dual_mul_f32 v4, v20, v12 :: v_dual_add_f32 v147, v147, v175
	v_fma_f32 v4, v19, v11, -v4
	s_delay_alu instid0(VALU_DEP_2) | instskip(NEXT) | instid1(VALU_DEP_1)
	v_add_f32_e32 v147, v147, v177
	v_add_f32_e32 v142, v147, v142
	s_wait_loadcnt_dscnt 0x0
	s_delay_alu instid0(VALU_DEP_1) | instskip(SKIP_2) | instid1(VALU_DEP_3)
	v_dual_add_f32 v5, v142, v143 :: v_dual_mul_f32 v146, v23, v16
	v_mul_f32_e32 v152, v21, v14
	v_add_f32_e32 v1, v1, v2
	v_add_f32_e32 v2, v5, v148
	v_mul_f32_e32 v151, v19, v12
	v_fma_f32 v5, v17, v9, -v6
	v_fmac_f32_e32 v152, v22, v13
	v_fmac_f32_e32 v146, v24, v15
	s_delay_alu instid0(VALU_DEP_4) | instskip(NEXT) | instid1(VALU_DEP_1)
	v_dual_add_f32 v2, v2, v149 :: v_dual_fmac_f32 v151, v20, v11
	v_add_f32_e32 v2, v2, v150
	s_delay_alu instid0(VALU_DEP_1) | instskip(SKIP_2) | instid1(VALU_DEP_3)
	v_add_f32_e32 v2, v2, v151
	v_add_f32_e32 v1, v1, v3
	v_mul_f32_e32 v3, v22, v14
	v_add_f32_e32 v2, v2, v152
	s_delay_alu instid0(VALU_DEP_2) | instskip(NEXT) | instid1(VALU_DEP_2)
	v_fma_f32 v3, v21, v13, -v3
	v_dual_add_f32 v2, v2, v146 :: v_dual_add_f32 v1, v1, v5
	v_mul_f32_e32 v5, v24, v16
	s_delay_alu instid0(VALU_DEP_2) | instskip(NEXT) | instid1(VALU_DEP_2)
	v_dual_sub_f32 v2, v140, v2 :: v_dual_add_f32 v1, v1, v4
	v_fma_f32 v4, v23, v15, -v5
	s_delay_alu instid0(VALU_DEP_2) | instskip(NEXT) | instid1(VALU_DEP_1)
	v_add_f32_e32 v1, v1, v3
	v_add_f32_e32 v1, v1, v4
	s_delay_alu instid0(VALU_DEP_1)
	v_sub_f32_e32 v1, v139, v1
	scratch_store_b64 off, v[1:2], off offset:192
	v_cmpx_lt_u32_e32 23, v0
	s_cbranch_execz .LBB120_309
; %bb.308:
	scratch_load_b64 v[1:2], off, off offset:184
	v_mov_b32_e32 v3, 0
	s_delay_alu instid0(VALU_DEP_1)
	v_mov_b32_e32 v4, v3
	scratch_store_b64 off, v[3:4], off offset:184
	s_wait_loadcnt 0x0
	ds_store_b64 v141, v[1:2]
.LBB120_309:
	s_wait_alu 0xfffe
	s_or_b32 exec_lo, exec_lo, s0
	s_wait_storecnt_dscnt 0x0
	s_barrier_signal -1
	s_barrier_wait -1
	global_inv scope:SCOPE_SE
	s_clause 0x4
	scratch_load_b128 v[5:8], off, off offset:192
	scratch_load_b128 v[1:4], off, off offset:208
	scratch_load_b128 v[9:12], off, off offset:224
	scratch_load_b128 v[13:16], off, off offset:240
	scratch_load_b128 v[17:20], off, off offset:256
	v_mov_b32_e32 v21, 0
	ds_load_b128 v[142:145], v21 offset:656
	ds_load_b128 v[146:149], v21 offset:672
	;; [unrolled: 1-line block ×3, first 2 shown]
	scratch_load_b64 v[22:23], off, off offset:184
	s_mov_b32 s0, exec_lo
	s_wait_loadcnt_dscnt 0x502
	v_mul_f32_e32 v24, v143, v6
	v_dual_mul_f32 v139, v142, v6 :: v_dual_mul_f32 v140, v144, v8
	v_mul_f32_e32 v6, v145, v8
	s_delay_alu instid0(VALU_DEP_3) | instskip(NEXT) | instid1(VALU_DEP_3)
	v_fma_f32 v24, v142, v5, -v24
	v_dual_fmac_f32 v139, v143, v5 :: v_dual_fmac_f32 v140, v145, v7
	s_wait_loadcnt_dscnt 0x401
	v_mul_f32_e32 v143, v146, v2
	v_fma_f32 v142, v144, v7, -v6
	ds_load_b128 v[5:8], v21 offset:704
	s_wait_loadcnt_dscnt 0x301
	v_dual_mul_f32 v144, v148, v4 :: v_dual_mul_f32 v145, v150, v10
	v_dual_mul_f32 v4, v149, v4 :: v_dual_fmac_f32 v143, v147, v1
	v_mul_f32_e32 v10, v151, v10
	s_delay_alu instid0(VALU_DEP_3)
	v_dual_mul_f32 v154, v152, v12 :: v_dual_fmac_f32 v145, v151, v9
	v_mul_f32_e32 v12, v153, v12
	v_mul_f32_e32 v2, v147, v2
	v_fmac_f32_e32 v144, v149, v3
	v_fma_f32 v147, v148, v3, -v4
	v_fma_f32 v148, v150, v9, -v10
	v_fmac_f32_e32 v154, v153, v11
	v_fma_f32 v149, v152, v11, -v12
	ds_load_b128 v[9:12], v21 offset:720
	s_wait_loadcnt_dscnt 0x201
	v_dual_mul_f32 v151, v7, v16 :: v_dual_mul_f32 v150, v5, v14
	v_mul_f32_e32 v14, v6, v14
	v_mul_f32_e32 v16, v8, v16
	s_delay_alu instid0(VALU_DEP_3)
	v_fmac_f32_e32 v151, v8, v15
	v_fma_f32 v146, v146, v1, -v2
	scratch_load_b128 v[1:4], off, off offset:272
	v_fmac_f32_e32 v150, v6, v13
	v_fma_f32 v13, v5, v13, -v14
	v_fma_f32 v14, v7, v15, -v16
	ds_load_b128 v[5:8], v21 offset:736
	s_wait_loadcnt_dscnt 0x201
	v_mul_f32_e32 v15, v9, v18
	v_mul_f32_e32 v16, v10, v18
	;; [unrolled: 1-line block ×3, first 2 shown]
	s_delay_alu instid0(VALU_DEP_3) | instskip(NEXT) | instid1(VALU_DEP_3)
	v_dual_mul_f32 v20, v12, v20 :: v_dual_fmac_f32 v15, v10, v17
	v_fma_f32 v16, v9, v17, -v16
	s_delay_alu instid0(VALU_DEP_3) | instskip(NEXT) | instid1(VALU_DEP_3)
	v_fmac_f32_e32 v18, v12, v19
	v_fma_f32 v17, v11, v19, -v20
	scratch_load_b128 v[9:12], off, off offset:288
	s_wait_loadcnt_dscnt 0x100
	v_mul_f32_e32 v19, v5, v2
	v_mul_f32_e32 v2, v6, v2
	;; [unrolled: 1-line block ×3, first 2 shown]
	s_delay_alu instid0(VALU_DEP_3) | instskip(NEXT) | instid1(VALU_DEP_3)
	v_dual_mul_f32 v4, v8, v4 :: v_dual_fmac_f32 v19, v6, v1
	v_fma_f32 v152, v5, v1, -v2
	s_delay_alu instid0(VALU_DEP_3) | instskip(NEXT) | instid1(VALU_DEP_3)
	v_fmac_f32_e32 v20, v8, v3
	v_fma_f32 v153, v7, v3, -v4
	ds_load_b128 v[1:4], v21 offset:752
	ds_load_b128 v[5:8], v21 offset:768
	s_wait_loadcnt_dscnt 0x1
	v_mul_f32_e32 v155, v1, v10
	v_mul_f32_e32 v10, v2, v10
	s_delay_alu instid0(VALU_DEP_2) | instskip(NEXT) | instid1(VALU_DEP_2)
	v_dual_mul_f32 v156, v3, v12 :: v_dual_fmac_f32 v155, v2, v9
	v_fma_f32 v157, v1, v9, -v10
	v_mul_f32_e32 v1, v4, v12
	s_delay_alu instid0(VALU_DEP_3) | instskip(NEXT) | instid1(VALU_DEP_2)
	v_fmac_f32_e32 v156, v4, v11
	v_fma_f32 v158, v3, v11, -v1
	s_clause 0x1
	scratch_load_b128 v[1:4], off, off offset:304
	scratch_load_b128 v[9:12], off, off offset:320
	s_wait_loadcnt_dscnt 0x100
	v_mul_f32_e32 v159, v5, v2
	v_dual_mul_f32 v2, v6, v2 :: v_dual_mul_f32 v161, v7, v4
	s_delay_alu instid0(VALU_DEP_2) | instskip(NEXT) | instid1(VALU_DEP_2)
	v_fmac_f32_e32 v159, v6, v1
	v_fma_f32 v160, v5, v1, -v2
	v_mul_f32_e32 v1, v8, v4
	s_delay_alu instid0(VALU_DEP_4) | instskip(NEXT) | instid1(VALU_DEP_2)
	v_fmac_f32_e32 v161, v8, v3
	v_fma_f32 v162, v7, v3, -v1
	ds_load_b128 v[1:4], v21 offset:784
	ds_load_b128 v[5:8], v21 offset:800
	s_wait_loadcnt_dscnt 0x1
	v_mul_f32_e32 v163, v1, v10
	v_mul_f32_e32 v165, v3, v12
	s_delay_alu instid0(VALU_DEP_2) | instskip(NEXT) | instid1(VALU_DEP_2)
	v_fmac_f32_e32 v163, v2, v9
	v_dual_mul_f32 v2, v2, v10 :: v_dual_fmac_f32 v165, v4, v11
	s_delay_alu instid0(VALU_DEP_1) | instskip(SKIP_1) | instid1(VALU_DEP_1)
	v_fma_f32 v164, v1, v9, -v2
	v_mul_f32_e32 v1, v4, v12
	v_fma_f32 v166, v3, v11, -v1
	s_clause 0x1
	scratch_load_b128 v[1:4], off, off offset:336
	scratch_load_b128 v[9:12], off, off offset:352
	s_wait_loadcnt_dscnt 0x100
	v_mul_f32_e32 v167, v5, v2
	v_dual_mul_f32 v169, v7, v4 :: v_dual_mul_f32 v2, v6, v2
	s_delay_alu instid0(VALU_DEP_2) | instskip(NEXT) | instid1(VALU_DEP_2)
	v_fmac_f32_e32 v167, v6, v1
	v_fmac_f32_e32 v169, v8, v3
	s_delay_alu instid0(VALU_DEP_3) | instskip(SKIP_1) | instid1(VALU_DEP_1)
	v_fma_f32 v168, v5, v1, -v2
	v_mul_f32_e32 v1, v8, v4
	v_fma_f32 v170, v7, v3, -v1
	ds_load_b128 v[1:4], v21 offset:816
	ds_load_b128 v[5:8], v21 offset:832
	s_wait_loadcnt_dscnt 0x1
	v_mul_f32_e32 v171, v1, v10
	v_mul_f32_e32 v173, v3, v12
	s_delay_alu instid0(VALU_DEP_2) | instskip(NEXT) | instid1(VALU_DEP_2)
	v_fmac_f32_e32 v171, v2, v9
	v_dual_mul_f32 v2, v2, v10 :: v_dual_fmac_f32 v173, v4, v11
	s_delay_alu instid0(VALU_DEP_1) | instskip(SKIP_1) | instid1(VALU_DEP_1)
	v_fma_f32 v172, v1, v9, -v2
	v_mul_f32_e32 v1, v4, v12
	v_fma_f32 v174, v3, v11, -v1
	s_clause 0x1
	scratch_load_b128 v[1:4], off, off offset:368
	scratch_load_b128 v[9:12], off, off offset:384
	s_wait_loadcnt_dscnt 0x100
	v_mul_f32_e32 v175, v5, v2
	v_mul_f32_e32 v2, v6, v2
	s_delay_alu instid0(VALU_DEP_1) | instskip(SKIP_1) | instid1(VALU_DEP_1)
	v_fma_f32 v176, v5, v1, -v2
	v_add_f32_e32 v2, 0, v139
	v_add_f32_e32 v2, v2, v140
	scratch_load_b64 v[139:140], off, off offset:448
	v_add_f32_e32 v2, v2, v143
	s_delay_alu instid0(VALU_DEP_1) | instskip(SKIP_2) | instid1(VALU_DEP_2)
	v_add_f32_e32 v2, v2, v144
	v_mul_f32_e32 v177, v7, v4
	v_fmac_f32_e32 v175, v6, v1
	v_dual_add_f32 v2, v2, v145 :: v_dual_fmac_f32 v177, v8, v3
	s_delay_alu instid0(VALU_DEP_1) | instskip(NEXT) | instid1(VALU_DEP_1)
	v_dual_add_f32 v2, v2, v154 :: v_dual_mul_f32 v1, v8, v4
	v_add_f32_e32 v2, v2, v150
	s_delay_alu instid0(VALU_DEP_2) | instskip(NEXT) | instid1(VALU_DEP_2)
	v_fma_f32 v178, v7, v3, -v1
	v_dual_add_f32 v1, 0, v24 :: v_dual_add_f32 v2, v2, v151
	s_delay_alu instid0(VALU_DEP_1) | instskip(NEXT) | instid1(VALU_DEP_1)
	v_add_f32_e32 v1, v1, v142
	v_add_f32_e32 v1, v1, v146
	s_delay_alu instid0(VALU_DEP_1) | instskip(NEXT) | instid1(VALU_DEP_1)
	v_add_f32_e32 v1, v1, v147
	v_add_f32_e32 v1, v1, v148
	;; [unrolled: 3-line block ×4, first 2 shown]
	s_delay_alu instid0(VALU_DEP_1) | instskip(SKIP_2) | instid1(VALU_DEP_1)
	v_dual_add_f32 v5, v2, v15 :: v_dual_add_f32 v6, v1, v17
	ds_load_b128 v[1:4], v21 offset:848
	v_dual_add_f32 v5, v5, v18 :: v_dual_add_f32 v6, v6, v152
	v_add_f32_e32 v13, v6, v153
	s_delay_alu instid0(VALU_DEP_1) | instskip(NEXT) | instid1(VALU_DEP_1)
	v_add_f32_e32 v13, v13, v157
	v_add_f32_e32 v13, v13, v158
	s_delay_alu instid0(VALU_DEP_1) | instskip(NEXT) | instid1(VALU_DEP_1)
	v_add_f32_e32 v13, v13, v160
	v_add_f32_e32 v18, v13, v162
	s_delay_alu instid0(VALU_DEP_1) | instskip(NEXT) | instid1(VALU_DEP_1)
	v_dual_add_f32 v5, v5, v19 :: v_dual_add_f32 v18, v18, v164
	v_add_f32_e32 v14, v5, v20
	ds_load_b128 v[5:8], v21 offset:864
	s_wait_loadcnt_dscnt 0x101
	v_mul_f32_e32 v24, v1, v10
	v_mul_f32_e32 v10, v2, v10
	v_mul_f32_e32 v148, v3, v12
	v_mul_f32_e32 v12, v4, v12
	v_add_f32_e32 v14, v14, v155
	v_fmac_f32_e32 v24, v2, v9
	v_fma_f32 v149, v1, v9, -v10
	v_fmac_f32_e32 v148, v4, v11
	v_fma_f32 v150, v3, v11, -v12
	s_clause 0x1
	scratch_load_b128 v[1:4], off, off offset:400
	scratch_load_b128 v[9:12], off, off offset:416
	v_add_f32_e32 v14, v14, v156
	v_add_f32_e32 v18, v18, v166
	s_delay_alu instid0(VALU_DEP_2) | instskip(SKIP_2) | instid1(VALU_DEP_1)
	v_add_f32_e32 v17, v14, v159
	scratch_load_b128 v[13:16], off, off offset:432
	v_dual_add_f32 v18, v18, v168 :: v_dual_add_f32 v17, v17, v161
	v_add_f32_e32 v18, v18, v170
	s_delay_alu instid0(VALU_DEP_1) | instskip(NEXT) | instid1(VALU_DEP_1)
	v_add_f32_e32 v146, v18, v172
	v_add_f32_e32 v151, v146, v174
	s_wait_loadcnt_dscnt 0x200
	v_mul_f32_e32 v153, v5, v2
	v_dual_mul_f32 v2, v6, v2 :: v_dual_add_f32 v17, v17, v163
	v_mul_f32_e32 v154, v7, v4
	v_mul_f32_e32 v4, v8, v4
	v_add_f32_e32 v151, v151, v176
	s_delay_alu instid0(VALU_DEP_4) | instskip(NEXT) | instid1(VALU_DEP_4)
	v_fma_f32 v2, v5, v1, -v2
	v_dual_add_f32 v17, v17, v165 :: v_dual_fmac_f32 v154, v8, v3
	s_delay_alu instid0(VALU_DEP_1) | instskip(NEXT) | instid1(VALU_DEP_1)
	v_add_f32_e32 v17, v17, v167
	v_add_f32_e32 v142, v17, v169
	ds_load_b128 v[17:20], v21 offset:880
	v_add_f32_e32 v147, v142, v171
	ds_load_b128 v[142:145], v21 offset:896
	v_add_f32_e32 v151, v151, v178
	v_add_f32_e32 v152, v147, v173
	ds_load_b64 v[146:147], v21 offset:912
	v_add_f32_e32 v152, v152, v175
	s_delay_alu instid0(VALU_DEP_1) | instskip(SKIP_2) | instid1(VALU_DEP_2)
	v_add_f32_e32 v152, v152, v177
	s_wait_loadcnt_dscnt 0x102
	v_mul_f32_e32 v5, v20, v12
	v_dual_add_f32 v24, v152, v24 :: v_dual_add_f32 v149, v151, v149
	v_dual_mul_f32 v151, v17, v10 :: v_dual_mul_f32 v152, v19, v12
	s_delay_alu instid0(VALU_DEP_2)
	v_dual_add_f32 v24, v24, v148 :: v_dual_add_f32 v149, v149, v150
	s_wait_dscnt 0x0
	v_mul_f32_e32 v148, v146, v140
	v_fmac_f32_e32 v153, v6, v1
	v_fma_f32 v1, v7, v3, -v4
	v_dual_mul_f32 v3, v18, v10 :: v_dual_fmac_f32 v152, v20, v11
	v_add_f32_e32 v2, v149, v2
	s_wait_loadcnt 0x0
	v_dual_mul_f32 v155, v142, v14 :: v_dual_add_f32 v4, v24, v153
	v_dual_mul_f32 v150, v144, v16 :: v_dual_fmac_f32 v151, v18, v9
	v_fma_f32 v3, v17, v9, -v3
	s_delay_alu instid0(VALU_DEP_3) | instskip(SKIP_3) | instid1(VALU_DEP_4)
	v_dual_add_f32 v1, v2, v1 :: v_dual_add_f32 v2, v4, v154
	v_mul_f32_e32 v4, v143, v14
	v_fma_f32 v5, v19, v11, -v5
	v_dual_fmac_f32 v150, v145, v15 :: v_dual_fmac_f32 v155, v143, v13
	v_add_f32_e32 v2, v2, v151
	v_add_f32_e32 v1, v1, v3
	v_mul_f32_e32 v3, v145, v16
	v_fma_f32 v4, v142, v13, -v4
	v_fmac_f32_e32 v148, v147, v139
	s_delay_alu instid0(VALU_DEP_4) | instskip(SKIP_2) | instid1(VALU_DEP_3)
	v_dual_add_f32 v2, v2, v152 :: v_dual_add_f32 v1, v1, v5
	v_mul_f32_e32 v5, v147, v140
	v_fma_f32 v3, v144, v15, -v3
	v_dual_add_f32 v2, v2, v155 :: v_dual_add_f32 v1, v1, v4
	s_delay_alu instid0(VALU_DEP_3) | instskip(NEXT) | instid1(VALU_DEP_2)
	v_fma_f32 v4, v146, v139, -v5
	v_dual_add_f32 v2, v2, v150 :: v_dual_add_f32 v1, v1, v3
	s_delay_alu instid0(VALU_DEP_1) | instskip(NEXT) | instid1(VALU_DEP_1)
	v_add_f32_e32 v2, v2, v148
	v_dual_add_f32 v1, v1, v4 :: v_dual_sub_f32 v2, v23, v2
	s_delay_alu instid0(VALU_DEP_1)
	v_sub_f32_e32 v1, v22, v1
	scratch_store_b64 off, v[1:2], off offset:184
	v_cmpx_lt_u32_e32 22, v0
	s_cbranch_execz .LBB120_311
; %bb.310:
	scratch_load_b64 v[1:2], off, off offset:176
	v_mov_b32_e32 v22, v21
	scratch_store_b64 off, v[21:22], off offset:176
	s_wait_loadcnt 0x0
	ds_store_b64 v141, v[1:2]
.LBB120_311:
	s_wait_alu 0xfffe
	s_or_b32 exec_lo, exec_lo, s0
	s_wait_storecnt_dscnt 0x0
	s_barrier_signal -1
	s_barrier_wait -1
	global_inv scope:SCOPE_SE
	s_clause 0x4
	scratch_load_b128 v[5:8], off, off offset:184
	scratch_load_b128 v[1:4], off, off offset:200
	;; [unrolled: 1-line block ×5, first 2 shown]
	ds_load_2addr_b64 v[142:145], v21 offset0:81 offset1:82
	ds_load_2addr_b64 v[146:149], v21 offset0:83 offset1:84
	;; [unrolled: 1-line block ×3, first 2 shown]
	scratch_load_b64 v[139:140], off, off offset:176
	s_mov_b32 s0, exec_lo
	s_wait_loadcnt_dscnt 0x502
	v_mul_f32_e32 v22, v143, v6
	v_dual_mul_f32 v23, v142, v6 :: v_dual_mul_f32 v24, v144, v8
	v_mul_f32_e32 v6, v145, v8
	s_delay_alu instid0(VALU_DEP_3) | instskip(NEXT) | instid1(VALU_DEP_3)
	v_fma_f32 v22, v142, v5, -v22
	v_dual_fmac_f32 v23, v143, v5 :: v_dual_fmac_f32 v24, v145, v7
	s_wait_loadcnt_dscnt 0x401
	v_mul_f32_e32 v143, v146, v2
	v_fma_f32 v142, v144, v7, -v6
	ds_load_2addr_b64 v[5:8], v21 offset0:87 offset1:88
	s_wait_loadcnt_dscnt 0x301
	v_dual_mul_f32 v144, v148, v4 :: v_dual_mul_f32 v145, v150, v10
	v_dual_mul_f32 v4, v149, v4 :: v_dual_fmac_f32 v143, v147, v1
	v_mul_f32_e32 v10, v151, v10
	s_delay_alu instid0(VALU_DEP_3)
	v_dual_mul_f32 v154, v152, v12 :: v_dual_fmac_f32 v145, v151, v9
	v_mul_f32_e32 v12, v153, v12
	v_mul_f32_e32 v2, v147, v2
	v_fmac_f32_e32 v144, v149, v3
	v_fma_f32 v147, v148, v3, -v4
	v_fma_f32 v148, v150, v9, -v10
	v_fmac_f32_e32 v154, v153, v11
	v_fma_f32 v149, v152, v11, -v12
	ds_load_2addr_b64 v[9:12], v21 offset0:89 offset1:90
	s_wait_loadcnt_dscnt 0x201
	v_mul_f32_e32 v150, v5, v14
	v_dual_mul_f32 v14, v6, v14 :: v_dual_mul_f32 v151, v7, v16
	v_mul_f32_e32 v16, v8, v16
	s_delay_alu instid0(VALU_DEP_3) | instskip(NEXT) | instid1(VALU_DEP_3)
	v_fmac_f32_e32 v150, v6, v13
	v_fma_f32 v13, v5, v13, -v14
	s_delay_alu instid0(VALU_DEP_4) | instskip(NEXT) | instid1(VALU_DEP_4)
	v_fmac_f32_e32 v151, v8, v15
	v_fma_f32 v14, v7, v15, -v16
	ds_load_2addr_b64 v[5:8], v21 offset0:91 offset1:92
	s_wait_loadcnt_dscnt 0x101
	v_mul_f32_e32 v15, v9, v18
	v_mul_f32_e32 v16, v10, v18
	;; [unrolled: 1-line block ×3, first 2 shown]
	s_delay_alu instid0(VALU_DEP_3)
	v_dual_mul_f32 v20, v12, v20 :: v_dual_fmac_f32 v15, v10, v17
	v_fma_f32 v146, v146, v1, -v2
	scratch_load_b128 v[1:4], off, off offset:264
	v_fma_f32 v16, v9, v17, -v16
	v_fmac_f32_e32 v18, v12, v19
	v_fma_f32 v17, v11, v19, -v20
	scratch_load_b128 v[9:12], off, off offset:280
	s_wait_loadcnt_dscnt 0x100
	v_mul_f32_e32 v19, v5, v2
	v_mul_f32_e32 v2, v6, v2
	;; [unrolled: 1-line block ×3, first 2 shown]
	s_delay_alu instid0(VALU_DEP_3) | instskip(NEXT) | instid1(VALU_DEP_3)
	v_dual_mul_f32 v4, v8, v4 :: v_dual_fmac_f32 v19, v6, v1
	v_fma_f32 v152, v5, v1, -v2
	s_delay_alu instid0(VALU_DEP_3) | instskip(NEXT) | instid1(VALU_DEP_3)
	v_fmac_f32_e32 v20, v8, v3
	v_fma_f32 v153, v7, v3, -v4
	ds_load_2addr_b64 v[1:4], v21 offset0:93 offset1:94
	ds_load_2addr_b64 v[5:8], v21 offset0:95 offset1:96
	s_wait_loadcnt_dscnt 0x1
	v_mul_f32_e32 v155, v1, v10
	v_mul_f32_e32 v10, v2, v10
	s_delay_alu instid0(VALU_DEP_2) | instskip(NEXT) | instid1(VALU_DEP_2)
	v_dual_mul_f32 v156, v3, v12 :: v_dual_fmac_f32 v155, v2, v9
	v_fma_f32 v157, v1, v9, -v10
	v_mul_f32_e32 v1, v4, v12
	s_delay_alu instid0(VALU_DEP_3) | instskip(NEXT) | instid1(VALU_DEP_2)
	v_fmac_f32_e32 v156, v4, v11
	v_fma_f32 v158, v3, v11, -v1
	s_clause 0x1
	scratch_load_b128 v[1:4], off, off offset:296
	scratch_load_b128 v[9:12], off, off offset:312
	s_wait_loadcnt_dscnt 0x100
	v_mul_f32_e32 v159, v5, v2
	v_dual_mul_f32 v2, v6, v2 :: v_dual_mul_f32 v161, v7, v4
	s_delay_alu instid0(VALU_DEP_2) | instskip(NEXT) | instid1(VALU_DEP_2)
	v_fmac_f32_e32 v159, v6, v1
	v_fma_f32 v160, v5, v1, -v2
	v_mul_f32_e32 v1, v8, v4
	s_delay_alu instid0(VALU_DEP_4) | instskip(NEXT) | instid1(VALU_DEP_2)
	v_fmac_f32_e32 v161, v8, v3
	v_fma_f32 v162, v7, v3, -v1
	ds_load_2addr_b64 v[1:4], v21 offset0:97 offset1:98
	ds_load_2addr_b64 v[5:8], v21 offset0:99 offset1:100
	s_wait_loadcnt_dscnt 0x1
	v_mul_f32_e32 v163, v1, v10
	v_mul_f32_e32 v165, v3, v12
	s_delay_alu instid0(VALU_DEP_2) | instskip(NEXT) | instid1(VALU_DEP_2)
	v_fmac_f32_e32 v163, v2, v9
	v_dual_mul_f32 v2, v2, v10 :: v_dual_fmac_f32 v165, v4, v11
	s_delay_alu instid0(VALU_DEP_1) | instskip(SKIP_1) | instid1(VALU_DEP_1)
	v_fma_f32 v164, v1, v9, -v2
	v_mul_f32_e32 v1, v4, v12
	v_fma_f32 v166, v3, v11, -v1
	s_clause 0x1
	scratch_load_b128 v[1:4], off, off offset:328
	scratch_load_b128 v[9:12], off, off offset:344
	s_wait_loadcnt_dscnt 0x100
	v_mul_f32_e32 v167, v5, v2
	v_dual_mul_f32 v2, v6, v2 :: v_dual_mul_f32 v169, v7, v4
	s_delay_alu instid0(VALU_DEP_2) | instskip(NEXT) | instid1(VALU_DEP_2)
	v_fmac_f32_e32 v167, v6, v1
	v_fma_f32 v168, v5, v1, -v2
	v_mul_f32_e32 v1, v8, v4
	s_delay_alu instid0(VALU_DEP_4) | instskip(NEXT) | instid1(VALU_DEP_2)
	v_fmac_f32_e32 v169, v8, v3
	v_fma_f32 v170, v7, v3, -v1
	ds_load_2addr_b64 v[1:4], v21 offset0:101 offset1:102
	ds_load_2addr_b64 v[5:8], v21 offset0:103 offset1:104
	s_wait_loadcnt_dscnt 0x1
	v_mul_f32_e32 v171, v1, v10
	v_mul_f32_e32 v173, v3, v12
	s_delay_alu instid0(VALU_DEP_2) | instskip(NEXT) | instid1(VALU_DEP_2)
	v_fmac_f32_e32 v171, v2, v9
	v_dual_mul_f32 v2, v2, v10 :: v_dual_fmac_f32 v173, v4, v11
	s_delay_alu instid0(VALU_DEP_1) | instskip(SKIP_1) | instid1(VALU_DEP_1)
	v_fma_f32 v172, v1, v9, -v2
	v_mul_f32_e32 v1, v4, v12
	v_fma_f32 v174, v3, v11, -v1
	s_clause 0x1
	scratch_load_b128 v[1:4], off, off offset:360
	scratch_load_b128 v[9:12], off, off offset:376
	s_wait_loadcnt_dscnt 0x100
	v_mul_f32_e32 v175, v5, v2
	v_mul_f32_e32 v2, v6, v2
	s_delay_alu instid0(VALU_DEP_1) | instskip(SKIP_1) | instid1(VALU_DEP_1)
	v_fma_f32 v176, v5, v1, -v2
	v_add_f32_e32 v2, 0, v23
	v_add_f32_e32 v2, v2, v24
	v_fmac_f32_e32 v175, v6, v1
	s_delay_alu instid0(VALU_DEP_2) | instskip(NEXT) | instid1(VALU_DEP_1)
	v_add_f32_e32 v2, v2, v143
	v_add_f32_e32 v2, v2, v144
	s_delay_alu instid0(VALU_DEP_1) | instskip(NEXT) | instid1(VALU_DEP_1)
	v_dual_mul_f32 v177, v7, v4 :: v_dual_add_f32 v2, v2, v145
	v_dual_fmac_f32 v177, v8, v3 :: v_dual_add_f32 v2, v2, v154
	s_delay_alu instid0(VALU_DEP_1) | instskip(NEXT) | instid1(VALU_DEP_1)
	v_dual_mul_f32 v1, v8, v4 :: v_dual_add_f32 v2, v2, v150
	v_fma_f32 v178, v7, v3, -v1
	s_delay_alu instid0(VALU_DEP_2) | instskip(NEXT) | instid1(VALU_DEP_1)
	v_dual_add_f32 v1, 0, v22 :: v_dual_add_f32 v2, v2, v151
	v_dual_add_f32 v1, v1, v142 :: v_dual_add_f32 v2, v2, v15
	s_delay_alu instid0(VALU_DEP_1) | instskip(NEXT) | instid1(VALU_DEP_2)
	v_add_f32_e32 v1, v1, v146
	v_add_f32_e32 v5, v2, v18
	s_delay_alu instid0(VALU_DEP_2) | instskip(NEXT) | instid1(VALU_DEP_1)
	v_add_f32_e32 v1, v1, v147
	v_add_f32_e32 v1, v1, v148
	s_delay_alu instid0(VALU_DEP_1) | instskip(NEXT) | instid1(VALU_DEP_1)
	v_add_f32_e32 v1, v1, v149
	v_add_f32_e32 v1, v1, v13
	;; [unrolled: 1-line block ×3, first 2 shown]
	s_delay_alu instid0(VALU_DEP_1) | instskip(NEXT) | instid1(VALU_DEP_1)
	v_add_f32_e32 v13, v13, v20
	v_add_f32_e32 v13, v13, v155
	s_delay_alu instid0(VALU_DEP_1) | instskip(NEXT) | instid1(VALU_DEP_1)
	v_add_f32_e32 v18, v13, v156
	v_dual_add_f32 v18, v18, v159 :: v_dual_add_f32 v1, v1, v14
	s_delay_alu instid0(VALU_DEP_1) | instskip(NEXT) | instid1(VALU_DEP_1)
	v_dual_add_f32 v18, v18, v161 :: v_dual_add_f32 v1, v1, v16
	v_dual_add_f32 v22, v18, v163 :: v_dual_add_f32 v1, v1, v17
	s_delay_alu instid0(VALU_DEP_1) | instskip(NEXT) | instid1(VALU_DEP_2)
	v_add_f32_e32 v22, v22, v165
	v_add_f32_e32 v6, v1, v152
	ds_load_2addr_b64 v[1:4], v21 offset0:105 offset1:106
	v_add_f32_e32 v22, v22, v167
	v_add_f32_e32 v14, v6, v153
	scratch_load_b128 v[5:8], off, off offset:392
	v_add_f32_e32 v14, v14, v157
	s_delay_alu instid0(VALU_DEP_1)
	v_add_f32_e32 v17, v14, v158
	ds_load_2addr_b64 v[13:16], v21 offset0:107 offset1:108
	v_add_f32_e32 v17, v17, v160
	s_wait_loadcnt_dscnt 0x101
	v_dual_mul_f32 v142, v1, v10 :: v_dual_mul_f32 v143, v3, v12
	v_mul_f32_e32 v10, v2, v10
	v_mul_f32_e32 v12, v4, v12
	s_delay_alu instid0(VALU_DEP_3) | instskip(NEXT) | instid1(VALU_DEP_3)
	v_dual_fmac_f32 v142, v2, v9 :: v_dual_fmac_f32 v143, v4, v11
	v_fma_f32 v144, v1, v9, -v10
	s_delay_alu instid0(VALU_DEP_3)
	v_fma_f32 v145, v3, v11, -v12
	s_clause 0x1
	scratch_load_b128 v[1:4], off, off offset:408
	scratch_load_b128 v[9:12], off, off offset:424
	s_wait_loadcnt_dscnt 0x200
	v_mul_f32_e32 v146, v13, v6
	v_add_f32_e32 v17, v17, v162
	v_dual_mul_f32 v6, v14, v6 :: v_dual_mul_f32 v147, v15, v8
	v_mul_f32_e32 v8, v16, v8
	s_delay_alu instid0(VALU_DEP_3) | instskip(NEXT) | instid1(VALU_DEP_3)
	v_dual_fmac_f32 v146, v14, v5 :: v_dual_add_f32 v17, v17, v164
	v_fma_f32 v148, v13, v5, -v6
	v_add_f32_e32 v13, v22, v169
	v_fmac_f32_e32 v147, v16, v7
	v_fma_f32 v149, v15, v7, -v8
	v_add_f32_e32 v23, v17, v166
	scratch_load_b128 v[17:20], off, off offset:440
	ds_load_2addr_b64 v[5:8], v21 offset0:109 offset1:110
	v_add_f32_e32 v23, v23, v168
	s_delay_alu instid0(VALU_DEP_1) | instskip(NEXT) | instid1(VALU_DEP_1)
	v_add_f32_e32 v23, v23, v170
	v_add_f32_e32 v22, v23, v172
	s_delay_alu instid0(VALU_DEP_1) | instskip(NEXT) | instid1(VALU_DEP_1)
	v_add_f32_e32 v150, v22, v174
	;; [unrolled: 3-line block ×3, first 2 shown]
	v_dual_add_f32 v144, v150, v144 :: v_dual_add_f32 v23, v13, v171
	ds_load_2addr_b64 v[13:16], v21 offset0:111 offset1:112
	s_wait_loadcnt_dscnt 0x201
	v_mul_f32_e32 v152, v5, v2
	v_mul_f32_e32 v2, v6, v2
	v_add_f32_e32 v144, v144, v145
	v_add_f32_e32 v151, v23, v173
	ds_load_2addr_b64 v[21:24], v21 offset0:113 offset1:114
	v_mul_f32_e32 v150, v7, v4
	v_mul_f32_e32 v4, v8, v4
	v_dual_add_f32 v144, v144, v148 :: v_dual_add_f32 v151, v151, v175
	v_fma_f32 v2, v5, v1, -v2
	s_delay_alu instid0(VALU_DEP_4) | instskip(NEXT) | instid1(VALU_DEP_4)
	v_fmac_f32_e32 v150, v8, v3
	v_fma_f32 v3, v7, v3, -v4
	v_fmac_f32_e32 v152, v6, v1
	v_add_f32_e32 v151, v151, v177
	s_delay_alu instid0(VALU_DEP_1) | instskip(SKIP_3) | instid1(VALU_DEP_3)
	v_add_f32_e32 v142, v151, v142
	s_wait_loadcnt_dscnt 0x101
	v_dual_mul_f32 v151, v13, v10 :: v_dual_mul_f32 v4, v16, v12
	v_mul_f32_e32 v6, v14, v10
	v_dual_add_f32 v142, v142, v143 :: v_dual_mul_f32 v153, v15, v12
	s_delay_alu instid0(VALU_DEP_3) | instskip(NEXT) | instid1(VALU_DEP_4)
	v_fmac_f32_e32 v151, v14, v9
	v_fma_f32 v4, v15, v11, -v4
	s_delay_alu instid0(VALU_DEP_3) | instskip(NEXT) | instid1(VALU_DEP_1)
	v_add_f32_e32 v142, v142, v146
	v_add_f32_e32 v5, v142, v147
	;; [unrolled: 1-line block ×3, first 2 shown]
	s_delay_alu instid0(VALU_DEP_1) | instskip(NEXT) | instid1(VALU_DEP_3)
	v_add_f32_e32 v1, v1, v2
	v_add_f32_e32 v2, v5, v152
	v_fma_f32 v5, v13, v9, -v6
	s_delay_alu instid0(VALU_DEP_2) | instskip(NEXT) | instid1(VALU_DEP_1)
	v_dual_add_f32 v1, v1, v3 :: v_dual_add_f32 v2, v2, v150
	v_dual_add_f32 v1, v1, v5 :: v_dual_add_f32 v2, v2, v151
	s_wait_loadcnt_dscnt 0x0
	v_mul_f32_e32 v143, v21, v18
	v_mul_f32_e32 v145, v23, v20
	;; [unrolled: 1-line block ×3, first 2 shown]
	s_delay_alu instid0(VALU_DEP_3) | instskip(NEXT) | instid1(VALU_DEP_3)
	v_fmac_f32_e32 v143, v22, v17
	v_fmac_f32_e32 v145, v24, v19
	;; [unrolled: 1-line block ×3, first 2 shown]
	v_mul_f32_e32 v5, v24, v20
	v_fma_f32 v3, v21, v17, -v3
	s_delay_alu instid0(VALU_DEP_3) | instskip(NEXT) | instid1(VALU_DEP_3)
	v_dual_add_f32 v2, v2, v153 :: v_dual_add_f32 v1, v1, v4
	v_fma_f32 v4, v23, v19, -v5
	s_delay_alu instid0(VALU_DEP_2) | instskip(NEXT) | instid1(VALU_DEP_1)
	v_add_f32_e32 v2, v2, v143
	v_dual_add_f32 v1, v1, v3 :: v_dual_add_f32 v2, v2, v145
	s_delay_alu instid0(VALU_DEP_1) | instskip(NEXT) | instid1(VALU_DEP_1)
	v_dual_add_f32 v1, v1, v4 :: v_dual_sub_f32 v2, v140, v2
	v_sub_f32_e32 v1, v139, v1
	scratch_store_b64 off, v[1:2], off offset:176
	v_cmpx_lt_u32_e32 21, v0
	s_cbranch_execz .LBB120_313
; %bb.312:
	scratch_load_b64 v[1:2], off, off offset:168
	v_mov_b32_e32 v3, 0
	s_delay_alu instid0(VALU_DEP_1)
	v_mov_b32_e32 v4, v3
	scratch_store_b64 off, v[3:4], off offset:168
	s_wait_loadcnt 0x0
	ds_store_b64 v141, v[1:2]
.LBB120_313:
	s_wait_alu 0xfffe
	s_or_b32 exec_lo, exec_lo, s0
	s_wait_storecnt_dscnt 0x0
	s_barrier_signal -1
	s_barrier_wait -1
	global_inv scope:SCOPE_SE
	s_clause 0x4
	scratch_load_b128 v[5:8], off, off offset:176
	scratch_load_b128 v[1:4], off, off offset:192
	;; [unrolled: 1-line block ×5, first 2 shown]
	v_mov_b32_e32 v21, 0
	ds_load_b128 v[142:145], v21 offset:640
	ds_load_b128 v[146:149], v21 offset:656
	;; [unrolled: 1-line block ×3, first 2 shown]
	scratch_load_b64 v[22:23], off, off offset:168
	s_mov_b32 s0, exec_lo
	s_wait_loadcnt_dscnt 0x502
	v_mul_f32_e32 v24, v143, v6
	v_dual_mul_f32 v139, v142, v6 :: v_dual_mul_f32 v140, v144, v8
	v_mul_f32_e32 v6, v145, v8
	s_delay_alu instid0(VALU_DEP_3) | instskip(NEXT) | instid1(VALU_DEP_3)
	v_fma_f32 v24, v142, v5, -v24
	v_dual_fmac_f32 v139, v143, v5 :: v_dual_fmac_f32 v140, v145, v7
	s_wait_loadcnt_dscnt 0x401
	v_mul_f32_e32 v143, v146, v2
	v_fma_f32 v142, v144, v7, -v6
	ds_load_b128 v[5:8], v21 offset:688
	s_wait_loadcnt_dscnt 0x301
	v_dual_mul_f32 v144, v148, v4 :: v_dual_mul_f32 v145, v150, v10
	v_dual_mul_f32 v4, v149, v4 :: v_dual_fmac_f32 v143, v147, v1
	v_mul_f32_e32 v10, v151, v10
	s_delay_alu instid0(VALU_DEP_3)
	v_dual_mul_f32 v154, v152, v12 :: v_dual_fmac_f32 v145, v151, v9
	v_mul_f32_e32 v12, v153, v12
	v_mul_f32_e32 v2, v147, v2
	v_fmac_f32_e32 v144, v149, v3
	v_fma_f32 v147, v148, v3, -v4
	v_fma_f32 v148, v150, v9, -v10
	v_fmac_f32_e32 v154, v153, v11
	v_fma_f32 v149, v152, v11, -v12
	ds_load_b128 v[9:12], v21 offset:704
	s_wait_loadcnt_dscnt 0x201
	v_dual_mul_f32 v151, v7, v16 :: v_dual_mul_f32 v150, v5, v14
	v_mul_f32_e32 v14, v6, v14
	v_mul_f32_e32 v16, v8, v16
	s_delay_alu instid0(VALU_DEP_3)
	v_fmac_f32_e32 v151, v8, v15
	v_fma_f32 v146, v146, v1, -v2
	scratch_load_b128 v[1:4], off, off offset:256
	v_fmac_f32_e32 v150, v6, v13
	v_fma_f32 v13, v5, v13, -v14
	v_fma_f32 v14, v7, v15, -v16
	ds_load_b128 v[5:8], v21 offset:720
	s_wait_loadcnt_dscnt 0x201
	v_mul_f32_e32 v15, v9, v18
	v_mul_f32_e32 v16, v10, v18
	;; [unrolled: 1-line block ×3, first 2 shown]
	s_delay_alu instid0(VALU_DEP_3) | instskip(NEXT) | instid1(VALU_DEP_3)
	v_dual_mul_f32 v20, v12, v20 :: v_dual_fmac_f32 v15, v10, v17
	v_fma_f32 v16, v9, v17, -v16
	s_delay_alu instid0(VALU_DEP_3) | instskip(NEXT) | instid1(VALU_DEP_3)
	v_fmac_f32_e32 v18, v12, v19
	v_fma_f32 v17, v11, v19, -v20
	scratch_load_b128 v[9:12], off, off offset:272
	s_wait_loadcnt_dscnt 0x100
	v_mul_f32_e32 v19, v5, v2
	v_mul_f32_e32 v2, v6, v2
	;; [unrolled: 1-line block ×3, first 2 shown]
	s_delay_alu instid0(VALU_DEP_3) | instskip(NEXT) | instid1(VALU_DEP_3)
	v_dual_mul_f32 v4, v8, v4 :: v_dual_fmac_f32 v19, v6, v1
	v_fma_f32 v152, v5, v1, -v2
	s_delay_alu instid0(VALU_DEP_3) | instskip(NEXT) | instid1(VALU_DEP_3)
	v_fmac_f32_e32 v20, v8, v3
	v_fma_f32 v153, v7, v3, -v4
	ds_load_b128 v[1:4], v21 offset:736
	ds_load_b128 v[5:8], v21 offset:752
	s_wait_loadcnt_dscnt 0x1
	v_mul_f32_e32 v155, v1, v10
	v_mul_f32_e32 v10, v2, v10
	s_delay_alu instid0(VALU_DEP_2) | instskip(NEXT) | instid1(VALU_DEP_2)
	v_dual_mul_f32 v156, v3, v12 :: v_dual_fmac_f32 v155, v2, v9
	v_fma_f32 v157, v1, v9, -v10
	v_mul_f32_e32 v1, v4, v12
	s_delay_alu instid0(VALU_DEP_3) | instskip(NEXT) | instid1(VALU_DEP_2)
	v_fmac_f32_e32 v156, v4, v11
	v_fma_f32 v158, v3, v11, -v1
	s_clause 0x1
	scratch_load_b128 v[1:4], off, off offset:288
	scratch_load_b128 v[9:12], off, off offset:304
	s_wait_loadcnt_dscnt 0x100
	v_mul_f32_e32 v159, v5, v2
	v_dual_mul_f32 v2, v6, v2 :: v_dual_mul_f32 v161, v7, v4
	s_delay_alu instid0(VALU_DEP_2) | instskip(NEXT) | instid1(VALU_DEP_2)
	v_fmac_f32_e32 v159, v6, v1
	v_fma_f32 v160, v5, v1, -v2
	v_mul_f32_e32 v1, v8, v4
	s_delay_alu instid0(VALU_DEP_4) | instskip(NEXT) | instid1(VALU_DEP_2)
	v_fmac_f32_e32 v161, v8, v3
	v_fma_f32 v162, v7, v3, -v1
	ds_load_b128 v[1:4], v21 offset:768
	ds_load_b128 v[5:8], v21 offset:784
	s_wait_loadcnt_dscnt 0x1
	v_mul_f32_e32 v163, v1, v10
	v_mul_f32_e32 v165, v3, v12
	s_delay_alu instid0(VALU_DEP_2) | instskip(NEXT) | instid1(VALU_DEP_2)
	v_fmac_f32_e32 v163, v2, v9
	v_dual_mul_f32 v2, v2, v10 :: v_dual_fmac_f32 v165, v4, v11
	s_delay_alu instid0(VALU_DEP_1) | instskip(SKIP_1) | instid1(VALU_DEP_1)
	v_fma_f32 v164, v1, v9, -v2
	v_mul_f32_e32 v1, v4, v12
	v_fma_f32 v166, v3, v11, -v1
	s_clause 0x1
	scratch_load_b128 v[1:4], off, off offset:320
	scratch_load_b128 v[9:12], off, off offset:336
	s_wait_loadcnt_dscnt 0x100
	v_mul_f32_e32 v167, v5, v2
	v_dual_mul_f32 v169, v7, v4 :: v_dual_mul_f32 v2, v6, v2
	s_delay_alu instid0(VALU_DEP_2) | instskip(NEXT) | instid1(VALU_DEP_2)
	v_fmac_f32_e32 v167, v6, v1
	v_fmac_f32_e32 v169, v8, v3
	s_delay_alu instid0(VALU_DEP_3) | instskip(SKIP_1) | instid1(VALU_DEP_1)
	v_fma_f32 v168, v5, v1, -v2
	v_mul_f32_e32 v1, v8, v4
	v_fma_f32 v170, v7, v3, -v1
	ds_load_b128 v[1:4], v21 offset:800
	ds_load_b128 v[5:8], v21 offset:816
	s_wait_loadcnt_dscnt 0x1
	v_mul_f32_e32 v171, v1, v10
	v_mul_f32_e32 v173, v3, v12
	s_delay_alu instid0(VALU_DEP_2) | instskip(NEXT) | instid1(VALU_DEP_2)
	v_fmac_f32_e32 v171, v2, v9
	v_dual_mul_f32 v2, v2, v10 :: v_dual_fmac_f32 v173, v4, v11
	s_delay_alu instid0(VALU_DEP_1) | instskip(SKIP_1) | instid1(VALU_DEP_1)
	v_fma_f32 v172, v1, v9, -v2
	v_mul_f32_e32 v1, v4, v12
	v_fma_f32 v174, v3, v11, -v1
	s_clause 0x1
	scratch_load_b128 v[1:4], off, off offset:352
	scratch_load_b128 v[9:12], off, off offset:368
	s_wait_loadcnt_dscnt 0x100
	v_mul_f32_e32 v175, v5, v2
	v_mul_f32_e32 v2, v6, v2
	s_delay_alu instid0(VALU_DEP_1) | instskip(SKIP_1) | instid1(VALU_DEP_1)
	v_fma_f32 v176, v5, v1, -v2
	v_add_f32_e32 v2, 0, v139
	v_add_f32_e32 v2, v2, v140
	s_delay_alu instid0(VALU_DEP_1) | instskip(NEXT) | instid1(VALU_DEP_1)
	v_add_f32_e32 v2, v2, v143
	v_add_f32_e32 v2, v2, v144
	v_mul_f32_e32 v177, v7, v4
	v_fmac_f32_e32 v175, v6, v1
	s_delay_alu instid0(VALU_DEP_2) | instskip(NEXT) | instid1(VALU_DEP_1)
	v_dual_add_f32 v2, v2, v145 :: v_dual_fmac_f32 v177, v8, v3
	v_dual_add_f32 v2, v2, v154 :: v_dual_mul_f32 v1, v8, v4
	s_delay_alu instid0(VALU_DEP_1) | instskip(NEXT) | instid1(VALU_DEP_2)
	v_add_f32_e32 v2, v2, v150
	v_fma_f32 v178, v7, v3, -v1
	s_delay_alu instid0(VALU_DEP_2) | instskip(NEXT) | instid1(VALU_DEP_1)
	v_dual_add_f32 v1, 0, v24 :: v_dual_add_f32 v2, v2, v151
	v_dual_add_f32 v1, v1, v142 :: v_dual_add_f32 v2, v2, v15
	s_delay_alu instid0(VALU_DEP_1) | instskip(NEXT) | instid1(VALU_DEP_2)
	v_add_f32_e32 v1, v1, v146
	v_add_f32_e32 v5, v2, v18
	s_delay_alu instid0(VALU_DEP_2) | instskip(NEXT) | instid1(VALU_DEP_1)
	v_add_f32_e32 v1, v1, v147
	v_add_f32_e32 v1, v1, v148
	s_delay_alu instid0(VALU_DEP_1) | instskip(NEXT) | instid1(VALU_DEP_1)
	v_add_f32_e32 v1, v1, v149
	v_add_f32_e32 v1, v1, v13
	;; [unrolled: 1-line block ×3, first 2 shown]
	s_delay_alu instid0(VALU_DEP_2) | instskip(NEXT) | instid1(VALU_DEP_2)
	v_add_f32_e32 v1, v1, v14
	v_add_f32_e32 v13, v13, v20
	s_delay_alu instid0(VALU_DEP_2) | instskip(NEXT) | instid1(VALU_DEP_1)
	v_add_f32_e32 v1, v1, v16
	v_add_f32_e32 v1, v1, v17
	s_delay_alu instid0(VALU_DEP_1)
	v_add_f32_e32 v6, v1, v152
	scratch_load_b128 v[1:4], off, off offset:384
	v_dual_add_f32 v13, v13, v155 :: v_dual_add_f32 v14, v6, v153
	ds_load_b128 v[5:8], v21 offset:832
	v_add_f32_e32 v18, v13, v156
	v_add_f32_e32 v14, v14, v157
	s_delay_alu instid0(VALU_DEP_2) | instskip(NEXT) | instid1(VALU_DEP_2)
	v_add_f32_e32 v18, v18, v159
	v_add_f32_e32 v17, v14, v158
	ds_load_b128 v[13:16], v21 offset:848
	v_add_f32_e32 v18, v18, v161
	s_wait_loadcnt_dscnt 0x101
	s_delay_alu instid0(VALU_DEP_1) | instskip(SKIP_3) | instid1(VALU_DEP_4)
	v_dual_add_f32 v139, v18, v163 :: v_dual_mul_f32 v24, v5, v10
	v_mul_f32_e32 v10, v6, v10
	v_mul_f32_e32 v148, v7, v12
	;; [unrolled: 1-line block ×3, first 2 shown]
	v_add_f32_e32 v142, v139, v165
	v_fmac_f32_e32 v24, v6, v9
	v_fma_f32 v149, v5, v9, -v10
	v_fmac_f32_e32 v148, v8, v11
	v_fma_f32 v150, v7, v11, -v12
	scratch_load_b128 v[5:8], off, off offset:400
	v_add_f32_e32 v142, v142, v167
	scratch_load_b128 v[9:12], off, off offset:416
	v_add_f32_e32 v142, v142, v169
	s_wait_loadcnt_dscnt 0x200
	v_mul_f32_e32 v152, v15, v4
	v_add_f32_e32 v17, v17, v160
	v_dual_mul_f32 v4, v16, v4 :: v_dual_mul_f32 v151, v13, v2
	v_mul_f32_e32 v2, v14, v2
	s_delay_alu instid0(VALU_DEP_3) | instskip(NEXT) | instid1(VALU_DEP_3)
	v_dual_fmac_f32 v152, v16, v3 :: v_dual_add_f32 v17, v17, v162
	v_fma_f32 v154, v15, v3, -v4
	s_delay_alu instid0(VALU_DEP_3) | instskip(SKIP_1) | instid1(VALU_DEP_4)
	v_fma_f32 v153, v13, v1, -v2
	v_add_f32_e32 v13, v142, v171
	v_add_f32_e32 v17, v17, v164
	s_delay_alu instid0(VALU_DEP_2) | instskip(NEXT) | instid1(VALU_DEP_2)
	v_add_f32_e32 v142, v13, v173
	v_add_f32_e32 v140, v17, v166
	scratch_load_b128 v[17:20], off, off offset:432
	v_add_f32_e32 v147, v142, v175
	v_add_f32_e32 v143, v140, v168
	scratch_load_b64 v[139:140], off, off offset:448
	v_add_f32_e32 v156, v147, v177
	s_delay_alu instid0(VALU_DEP_1) | instskip(NEXT) | instid1(VALU_DEP_1)
	v_dual_add_f32 v143, v143, v170 :: v_dual_add_f32 v24, v156, v24
	v_add_f32_e32 v143, v143, v172
	v_fmac_f32_e32 v151, v14, v1
	ds_load_b128 v[1:4], v21 offset:864
	v_add_f32_e32 v24, v24, v148
	v_add_f32_e32 v14, v143, v174
	ds_load_b128 v[142:145], v21 offset:896
	v_add_f32_e32 v24, v24, v151
	v_add_f32_e32 v146, v14, v176
	ds_load_b128 v[13:16], v21 offset:880
	v_dual_add_f32 v24, v24, v152 :: v_dual_add_f32 v155, v146, v178
	ds_load_b64 v[146:147], v21 offset:912
	s_wait_loadcnt_dscnt 0x303
	v_mul_f32_e32 v148, v3, v8
	v_add_f32_e32 v149, v155, v149
	v_dual_mul_f32 v155, v1, v6 :: v_dual_mul_f32 v8, v4, v8
	v_mul_f32_e32 v6, v2, v6
	s_delay_alu instid0(VALU_DEP_3) | instskip(NEXT) | instid1(VALU_DEP_3)
	v_dual_fmac_f32 v148, v4, v7 :: v_dual_add_f32 v149, v149, v150
	v_fmac_f32_e32 v155, v2, v5
	s_delay_alu instid0(VALU_DEP_4) | instskip(NEXT) | instid1(VALU_DEP_4)
	v_fma_f32 v2, v3, v7, -v8
	v_fma_f32 v1, v1, v5, -v6
	s_wait_loadcnt_dscnt 0x201
	v_dual_mul_f32 v150, v13, v10 :: v_dual_mul_f32 v151, v15, v12
	v_add_f32_e32 v149, v149, v153
	v_dual_mul_f32 v3, v14, v10 :: v_dual_add_f32 v4, v24, v155
	s_delay_alu instid0(VALU_DEP_3) | instskip(NEXT) | instid1(VALU_DEP_3)
	v_dual_mul_f32 v5, v16, v12 :: v_dual_fmac_f32 v150, v14, v9
	v_add_f32_e32 v149, v149, v154
	v_fmac_f32_e32 v151, v16, v11
	s_delay_alu instid0(VALU_DEP_4) | instskip(NEXT) | instid1(VALU_DEP_4)
	v_fma_f32 v3, v13, v9, -v3
	v_fma_f32 v5, v15, v11, -v5
	s_wait_loadcnt 0x1
	v_dual_mul_f32 v153, v142, v18 :: v_dual_mul_f32 v154, v144, v20
	s_wait_loadcnt_dscnt 0x0
	v_dual_mul_f32 v152, v146, v140 :: v_dual_add_f32 v1, v149, v1
	s_delay_alu instid0(VALU_DEP_2) | instskip(NEXT) | instid1(VALU_DEP_2)
	v_dual_fmac_f32 v153, v143, v17 :: v_dual_fmac_f32 v154, v145, v19
	v_dual_fmac_f32 v152, v147, v139 :: v_dual_add_f32 v1, v1, v2
	v_add_f32_e32 v2, v4, v148
	s_delay_alu instid0(VALU_DEP_1) | instskip(NEXT) | instid1(VALU_DEP_1)
	v_add_f32_e32 v2, v2, v150
	v_add_f32_e32 v2, v2, v151
	s_delay_alu instid0(VALU_DEP_4) | instskip(NEXT) | instid1(VALU_DEP_2)
	v_dual_mul_f32 v4, v143, v18 :: v_dual_add_f32 v1, v1, v3
	v_dual_mul_f32 v3, v145, v20 :: v_dual_add_f32 v2, v2, v153
	s_delay_alu instid0(VALU_DEP_2) | instskip(NEXT) | instid1(VALU_DEP_3)
	v_fma_f32 v4, v142, v17, -v4
	v_add_f32_e32 v1, v1, v5
	v_mul_f32_e32 v5, v147, v140
	s_delay_alu instid0(VALU_DEP_4) | instskip(SKIP_1) | instid1(VALU_DEP_1)
	v_fma_f32 v3, v144, v19, -v3
	v_add_f32_e32 v2, v2, v154
	v_add_f32_e32 v2, v2, v152
	;; [unrolled: 1-line block ×3, first 2 shown]
	v_fma_f32 v4, v146, v139, -v5
	s_delay_alu instid0(VALU_DEP_2) | instskip(NEXT) | instid1(VALU_DEP_1)
	v_dual_sub_f32 v2, v23, v2 :: v_dual_add_f32 v1, v1, v3
	v_add_f32_e32 v1, v1, v4
	s_delay_alu instid0(VALU_DEP_1)
	v_sub_f32_e32 v1, v22, v1
	scratch_store_b64 off, v[1:2], off offset:168
	v_cmpx_lt_u32_e32 20, v0
	s_cbranch_execz .LBB120_315
; %bb.314:
	scratch_load_b64 v[1:2], off, off offset:160
	v_mov_b32_e32 v22, v21
	scratch_store_b64 off, v[21:22], off offset:160
	s_wait_loadcnt 0x0
	ds_store_b64 v141, v[1:2]
.LBB120_315:
	s_wait_alu 0xfffe
	s_or_b32 exec_lo, exec_lo, s0
	s_wait_storecnt_dscnt 0x0
	s_barrier_signal -1
	s_barrier_wait -1
	global_inv scope:SCOPE_SE
	s_clause 0x4
	scratch_load_b128 v[5:8], off, off offset:168
	scratch_load_b128 v[1:4], off, off offset:184
	;; [unrolled: 1-line block ×5, first 2 shown]
	ds_load_2addr_b64 v[142:145], v21 offset0:79 offset1:80
	ds_load_2addr_b64 v[146:149], v21 offset0:81 offset1:82
	;; [unrolled: 1-line block ×3, first 2 shown]
	scratch_load_b64 v[139:140], off, off offset:160
	s_mov_b32 s0, exec_lo
	s_wait_loadcnt_dscnt 0x502
	v_mul_f32_e32 v22, v143, v6
	v_dual_mul_f32 v23, v142, v6 :: v_dual_mul_f32 v24, v144, v8
	v_mul_f32_e32 v6, v145, v8
	s_delay_alu instid0(VALU_DEP_3) | instskip(NEXT) | instid1(VALU_DEP_3)
	v_fma_f32 v22, v142, v5, -v22
	v_dual_fmac_f32 v23, v143, v5 :: v_dual_fmac_f32 v24, v145, v7
	s_wait_loadcnt_dscnt 0x401
	v_mul_f32_e32 v143, v146, v2
	v_fma_f32 v142, v144, v7, -v6
	ds_load_2addr_b64 v[5:8], v21 offset0:85 offset1:86
	s_wait_loadcnt_dscnt 0x301
	v_dual_mul_f32 v144, v148, v4 :: v_dual_mul_f32 v145, v150, v10
	v_dual_mul_f32 v4, v149, v4 :: v_dual_fmac_f32 v143, v147, v1
	v_mul_f32_e32 v10, v151, v10
	s_delay_alu instid0(VALU_DEP_3)
	v_dual_mul_f32 v154, v152, v12 :: v_dual_fmac_f32 v145, v151, v9
	v_mul_f32_e32 v12, v153, v12
	v_mul_f32_e32 v2, v147, v2
	v_fmac_f32_e32 v144, v149, v3
	v_fma_f32 v147, v148, v3, -v4
	v_fma_f32 v148, v150, v9, -v10
	v_fmac_f32_e32 v154, v153, v11
	v_fma_f32 v149, v152, v11, -v12
	ds_load_2addr_b64 v[9:12], v21 offset0:87 offset1:88
	s_wait_loadcnt_dscnt 0x201
	v_mul_f32_e32 v150, v5, v14
	v_dual_mul_f32 v14, v6, v14 :: v_dual_mul_f32 v151, v7, v16
	v_mul_f32_e32 v16, v8, v16
	s_delay_alu instid0(VALU_DEP_3) | instskip(NEXT) | instid1(VALU_DEP_3)
	v_fmac_f32_e32 v150, v6, v13
	v_fma_f32 v13, v5, v13, -v14
	s_delay_alu instid0(VALU_DEP_4) | instskip(NEXT) | instid1(VALU_DEP_4)
	v_fmac_f32_e32 v151, v8, v15
	v_fma_f32 v14, v7, v15, -v16
	ds_load_2addr_b64 v[5:8], v21 offset0:89 offset1:90
	s_wait_loadcnt_dscnt 0x101
	v_mul_f32_e32 v15, v9, v18
	v_mul_f32_e32 v16, v10, v18
	;; [unrolled: 1-line block ×3, first 2 shown]
	s_delay_alu instid0(VALU_DEP_3)
	v_dual_mul_f32 v20, v12, v20 :: v_dual_fmac_f32 v15, v10, v17
	v_fma_f32 v146, v146, v1, -v2
	scratch_load_b128 v[1:4], off, off offset:248
	v_fma_f32 v16, v9, v17, -v16
	v_fmac_f32_e32 v18, v12, v19
	v_fma_f32 v17, v11, v19, -v20
	scratch_load_b128 v[9:12], off, off offset:264
	s_wait_loadcnt_dscnt 0x100
	v_mul_f32_e32 v19, v5, v2
	v_mul_f32_e32 v2, v6, v2
	v_mul_f32_e32 v20, v7, v4
	s_delay_alu instid0(VALU_DEP_3) | instskip(NEXT) | instid1(VALU_DEP_3)
	v_dual_mul_f32 v4, v8, v4 :: v_dual_fmac_f32 v19, v6, v1
	v_fma_f32 v152, v5, v1, -v2
	s_delay_alu instid0(VALU_DEP_3) | instskip(NEXT) | instid1(VALU_DEP_3)
	v_fmac_f32_e32 v20, v8, v3
	v_fma_f32 v153, v7, v3, -v4
	ds_load_2addr_b64 v[1:4], v21 offset0:91 offset1:92
	ds_load_2addr_b64 v[5:8], v21 offset0:93 offset1:94
	s_wait_loadcnt_dscnt 0x1
	v_mul_f32_e32 v155, v1, v10
	v_mul_f32_e32 v10, v2, v10
	s_delay_alu instid0(VALU_DEP_2) | instskip(NEXT) | instid1(VALU_DEP_2)
	v_dual_mul_f32 v156, v3, v12 :: v_dual_fmac_f32 v155, v2, v9
	v_fma_f32 v157, v1, v9, -v10
	v_mul_f32_e32 v1, v4, v12
	s_delay_alu instid0(VALU_DEP_3) | instskip(NEXT) | instid1(VALU_DEP_2)
	v_fmac_f32_e32 v156, v4, v11
	v_fma_f32 v158, v3, v11, -v1
	s_clause 0x1
	scratch_load_b128 v[1:4], off, off offset:280
	scratch_load_b128 v[9:12], off, off offset:296
	s_wait_loadcnt_dscnt 0x100
	v_mul_f32_e32 v159, v5, v2
	v_dual_mul_f32 v2, v6, v2 :: v_dual_mul_f32 v161, v7, v4
	s_delay_alu instid0(VALU_DEP_2) | instskip(NEXT) | instid1(VALU_DEP_2)
	v_fmac_f32_e32 v159, v6, v1
	v_fma_f32 v160, v5, v1, -v2
	v_mul_f32_e32 v1, v8, v4
	s_delay_alu instid0(VALU_DEP_4) | instskip(NEXT) | instid1(VALU_DEP_2)
	v_fmac_f32_e32 v161, v8, v3
	v_fma_f32 v162, v7, v3, -v1
	ds_load_2addr_b64 v[1:4], v21 offset0:95 offset1:96
	ds_load_2addr_b64 v[5:8], v21 offset0:97 offset1:98
	s_wait_loadcnt_dscnt 0x1
	v_mul_f32_e32 v163, v1, v10
	v_mul_f32_e32 v165, v3, v12
	s_delay_alu instid0(VALU_DEP_2) | instskip(NEXT) | instid1(VALU_DEP_2)
	v_fmac_f32_e32 v163, v2, v9
	v_dual_mul_f32 v2, v2, v10 :: v_dual_fmac_f32 v165, v4, v11
	s_delay_alu instid0(VALU_DEP_1) | instskip(SKIP_1) | instid1(VALU_DEP_1)
	v_fma_f32 v164, v1, v9, -v2
	v_mul_f32_e32 v1, v4, v12
	v_fma_f32 v166, v3, v11, -v1
	s_clause 0x1
	scratch_load_b128 v[1:4], off, off offset:312
	scratch_load_b128 v[9:12], off, off offset:328
	s_wait_loadcnt_dscnt 0x100
	v_mul_f32_e32 v167, v5, v2
	v_dual_mul_f32 v2, v6, v2 :: v_dual_mul_f32 v169, v7, v4
	s_delay_alu instid0(VALU_DEP_2) | instskip(NEXT) | instid1(VALU_DEP_2)
	v_fmac_f32_e32 v167, v6, v1
	v_fma_f32 v168, v5, v1, -v2
	v_mul_f32_e32 v1, v8, v4
	s_delay_alu instid0(VALU_DEP_4) | instskip(NEXT) | instid1(VALU_DEP_2)
	v_fmac_f32_e32 v169, v8, v3
	v_fma_f32 v170, v7, v3, -v1
	ds_load_2addr_b64 v[1:4], v21 offset0:99 offset1:100
	ds_load_2addr_b64 v[5:8], v21 offset0:101 offset1:102
	s_wait_loadcnt_dscnt 0x1
	v_mul_f32_e32 v171, v1, v10
	v_mul_f32_e32 v173, v3, v12
	s_delay_alu instid0(VALU_DEP_2) | instskip(NEXT) | instid1(VALU_DEP_2)
	v_fmac_f32_e32 v171, v2, v9
	v_dual_mul_f32 v2, v2, v10 :: v_dual_fmac_f32 v173, v4, v11
	s_delay_alu instid0(VALU_DEP_1) | instskip(SKIP_1) | instid1(VALU_DEP_1)
	v_fma_f32 v172, v1, v9, -v2
	v_mul_f32_e32 v1, v4, v12
	;; [unrolled: 25-line block ×3, first 2 shown]
	v_fma_f32 v182, v3, v11, -v1
	s_clause 0x1
	scratch_load_b128 v[1:4], off, off offset:376
	scratch_load_b128 v[9:12], off, off offset:392
	s_wait_loadcnt_dscnt 0x100
	v_mul_f32_e32 v183, v5, v2
	v_mul_f32_e32 v2, v6, v2
	s_delay_alu instid0(VALU_DEP_1) | instskip(SKIP_1) | instid1(VALU_DEP_1)
	v_fma_f32 v184, v5, v1, -v2
	v_add_f32_e32 v2, 0, v23
	v_add_f32_e32 v2, v2, v24
	s_delay_alu instid0(VALU_DEP_1) | instskip(NEXT) | instid1(VALU_DEP_1)
	v_add_f32_e32 v2, v2, v143
	v_add_f32_e32 v2, v2, v144
	s_delay_alu instid0(VALU_DEP_1) | instskip(NEXT) | instid1(VALU_DEP_1)
	;; [unrolled: 3-line block ×3, first 2 shown]
	v_add_f32_e32 v2, v2, v150
	v_add_f32_e32 v2, v2, v151
	s_delay_alu instid0(VALU_DEP_1) | instskip(SKIP_1) | instid1(VALU_DEP_2)
	v_add_f32_e32 v2, v2, v15
	v_fmac_f32_e32 v183, v6, v1
	v_dual_mul_f32 v185, v7, v4 :: v_dual_add_f32 v2, v2, v18
	s_delay_alu instid0(VALU_DEP_1) | instskip(NEXT) | instid1(VALU_DEP_1)
	v_dual_mul_f32 v1, v8, v4 :: v_dual_add_f32 v2, v2, v19
	v_fma_f32 v186, v7, v3, -v1
	v_add_f32_e32 v1, 0, v22
	s_delay_alu instid0(VALU_DEP_3) | instskip(NEXT) | instid1(VALU_DEP_2)
	v_dual_fmac_f32 v185, v8, v3 :: v_dual_add_f32 v2, v2, v20
	v_add_f32_e32 v1, v1, v142
	s_delay_alu instid0(VALU_DEP_2) | instskip(NEXT) | instid1(VALU_DEP_2)
	v_add_f32_e32 v5, v2, v155
	v_add_f32_e32 v1, v1, v146
	s_delay_alu instid0(VALU_DEP_2) | instskip(NEXT) | instid1(VALU_DEP_2)
	v_add_f32_e32 v5, v5, v156
	;; [unrolled: 3-line block ×3, first 2 shown]
	v_add_f32_e32 v1, v1, v148
	s_delay_alu instid0(VALU_DEP_1) | instskip(NEXT) | instid1(VALU_DEP_1)
	v_add_f32_e32 v1, v1, v149
	v_add_f32_e32 v1, v1, v13
	s_delay_alu instid0(VALU_DEP_1) | instskip(SKIP_1) | instid1(VALU_DEP_1)
	v_add_f32_e32 v1, v1, v14
	v_add_f32_e32 v14, v5, v161
	v_dual_add_f32 v1, v1, v16 :: v_dual_add_f32 v14, v14, v163
	s_delay_alu instid0(VALU_DEP_1) | instskip(NEXT) | instid1(VALU_DEP_1)
	v_add_f32_e32 v1, v1, v17
	v_dual_add_f32 v14, v14, v165 :: v_dual_add_f32 v1, v1, v152
	s_delay_alu instid0(VALU_DEP_1) | instskip(NEXT) | instid1(VALU_DEP_2)
	v_add_f32_e32 v17, v14, v167
	v_add_f32_e32 v1, v1, v153
	s_delay_alu instid0(VALU_DEP_2) | instskip(NEXT) | instid1(VALU_DEP_2)
	v_add_f32_e32 v17, v17, v169
	v_add_f32_e32 v1, v1, v157
	s_delay_alu instid0(VALU_DEP_1) | instskip(SKIP_2) | instid1(VALU_DEP_1)
	v_add_f32_e32 v6, v1, v158
	ds_load_2addr_b64 v[1:4], v21 offset0:107 offset1:108
	v_dual_add_f32 v17, v17, v171 :: v_dual_add_f32 v6, v6, v160
	v_add_f32_e32 v17, v17, v173
	s_delay_alu instid0(VALU_DEP_2)
	v_add_f32_e32 v13, v6, v162
	ds_load_2addr_b64 v[5:8], v21 offset0:109 offset1:110
	s_wait_loadcnt_dscnt 0x1
	v_mul_f32_e32 v142, v1, v10
	v_dual_mul_f32 v10, v2, v10 :: v_dual_mul_f32 v143, v3, v12
	v_dual_mul_f32 v12, v4, v12 :: v_dual_add_f32 v23, v17, v175
	s_delay_alu instid0(VALU_DEP_3) | instskip(NEXT) | instid1(VALU_DEP_3)
	v_dual_fmac_f32 v142, v2, v9 :: v_dual_add_f32 v13, v13, v164
	v_fma_f32 v144, v1, v9, -v10
	s_delay_alu instid0(VALU_DEP_3) | instskip(NEXT) | instid1(VALU_DEP_4)
	v_fma_f32 v145, v3, v11, -v12
	v_add_f32_e32 v147, v23, v177
	s_delay_alu instid0(VALU_DEP_4) | instskip(NEXT) | instid1(VALU_DEP_1)
	v_add_f32_e32 v13, v13, v166
	v_add_f32_e32 v13, v13, v168
	s_delay_alu instid0(VALU_DEP_1) | instskip(SKIP_2) | instid1(VALU_DEP_1)
	v_add_f32_e32 v18, v13, v170
	scratch_load_b128 v[13:16], off, off offset:440
	v_add_f32_e32 v18, v18, v172
	v_add_f32_e32 v18, v18, v174
	s_delay_alu instid0(VALU_DEP_1)
	v_add_f32_e32 v22, v18, v176
	ds_load_2addr_b64 v[17:20], v21 offset0:111 offset1:112
	v_add_f32_e32 v146, v22, v178
	ds_load_2addr_b64 v[21:24], v21 offset0:113 offset1:114
	v_fmac_f32_e32 v143, v4, v11
	s_clause 0x1
	scratch_load_b128 v[1:4], off, off offset:408
	scratch_load_b128 v[9:12], off, off offset:424
	v_add_f32_e32 v146, v146, v180
	s_delay_alu instid0(VALU_DEP_1) | instskip(NEXT) | instid1(VALU_DEP_1)
	v_add_f32_e32 v146, v146, v182
	v_add_f32_e32 v146, v146, v184
	s_delay_alu instid0(VALU_DEP_1) | instskip(NEXT) | instid1(VALU_DEP_1)
	v_add_f32_e32 v146, v146, v186
	v_add_f32_e32 v144, v146, v144
	s_wait_loadcnt_dscnt 0x200
	v_mul_f32_e32 v146, v23, v16
	v_mul_f32_e32 v152, v21, v14
	s_delay_alu instid0(VALU_DEP_2) | instskip(SKIP_1) | instid1(VALU_DEP_2)
	v_fmac_f32_e32 v146, v24, v15
	s_wait_loadcnt 0x1
	v_dual_fmac_f32 v152, v22, v13 :: v_dual_mul_f32 v149, v7, v4
	s_wait_loadcnt 0x0
	v_dual_mul_f32 v151, v19, v12 :: v_dual_mul_f32 v148, v5, v2
	v_mul_f32_e32 v2, v6, v2
	v_mul_f32_e32 v4, v8, v4
	v_fmac_f32_e32 v149, v8, v3
	v_add_f32_e32 v147, v147, v179
	v_fmac_f32_e32 v151, v20, v11
	v_fma_f32 v2, v5, v1, -v2
	v_fmac_f32_e32 v148, v6, v1
	v_add_f32_e32 v1, v144, v145
	v_dual_add_f32 v147, v147, v181 :: v_dual_mul_f32 v150, v17, v10
	v_mul_f32_e32 v6, v18, v10
	v_fma_f32 v3, v7, v3, -v4
	s_delay_alu instid0(VALU_DEP_4) | instskip(NEXT) | instid1(VALU_DEP_4)
	v_add_f32_e32 v1, v1, v2
	v_dual_add_f32 v147, v147, v183 :: v_dual_mul_f32 v4, v20, v12
	s_delay_alu instid0(VALU_DEP_2) | instskip(NEXT) | instid1(VALU_DEP_2)
	v_dual_fmac_f32 v150, v18, v9 :: v_dual_add_f32 v1, v1, v3
	v_add_f32_e32 v147, v147, v185
	v_mul_f32_e32 v3, v22, v14
	s_delay_alu instid0(VALU_DEP_4) | instskip(NEXT) | instid1(VALU_DEP_3)
	v_fma_f32 v4, v19, v11, -v4
	v_add_f32_e32 v142, v147, v142
	s_delay_alu instid0(VALU_DEP_3) | instskip(NEXT) | instid1(VALU_DEP_2)
	v_fma_f32 v3, v21, v13, -v3
	v_add_f32_e32 v5, v142, v143
	s_delay_alu instid0(VALU_DEP_1) | instskip(SKIP_1) | instid1(VALU_DEP_2)
	v_add_f32_e32 v2, v5, v148
	v_fma_f32 v5, v17, v9, -v6
	v_add_f32_e32 v2, v2, v149
	s_delay_alu instid0(VALU_DEP_2) | instskip(NEXT) | instid1(VALU_DEP_2)
	v_add_f32_e32 v1, v1, v5
	v_dual_mul_f32 v5, v24, v16 :: v_dual_add_f32 v2, v2, v150
	s_delay_alu instid0(VALU_DEP_2) | instskip(NEXT) | instid1(VALU_DEP_2)
	v_add_f32_e32 v1, v1, v4
	v_fma_f32 v4, v23, v15, -v5
	s_delay_alu instid0(VALU_DEP_3) | instskip(NEXT) | instid1(VALU_DEP_1)
	v_add_f32_e32 v2, v2, v151
	v_dual_add_f32 v1, v1, v3 :: v_dual_add_f32 v2, v2, v152
	s_delay_alu instid0(VALU_DEP_1) | instskip(NEXT) | instid1(VALU_DEP_1)
	v_dual_add_f32 v1, v1, v4 :: v_dual_add_f32 v2, v2, v146
	v_dual_sub_f32 v1, v139, v1 :: v_dual_sub_f32 v2, v140, v2
	scratch_store_b64 off, v[1:2], off offset:160
	v_cmpx_lt_u32_e32 19, v0
	s_cbranch_execz .LBB120_317
; %bb.316:
	scratch_load_b64 v[1:2], off, off offset:152
	v_mov_b32_e32 v3, 0
	s_delay_alu instid0(VALU_DEP_1)
	v_mov_b32_e32 v4, v3
	scratch_store_b64 off, v[3:4], off offset:152
	s_wait_loadcnt 0x0
	ds_store_b64 v141, v[1:2]
.LBB120_317:
	s_wait_alu 0xfffe
	s_or_b32 exec_lo, exec_lo, s0
	s_wait_storecnt_dscnt 0x0
	s_barrier_signal -1
	s_barrier_wait -1
	global_inv scope:SCOPE_SE
	s_clause 0x4
	scratch_load_b128 v[5:8], off, off offset:160
	scratch_load_b128 v[1:4], off, off offset:176
	;; [unrolled: 1-line block ×5, first 2 shown]
	v_mov_b32_e32 v21, 0
	ds_load_b128 v[142:145], v21 offset:624
	ds_load_b128 v[146:149], v21 offset:640
	;; [unrolled: 1-line block ×3, first 2 shown]
	scratch_load_b64 v[22:23], off, off offset:152
	s_mov_b32 s0, exec_lo
	s_wait_loadcnt_dscnt 0x502
	v_mul_f32_e32 v24, v143, v6
	v_dual_mul_f32 v139, v142, v6 :: v_dual_mul_f32 v140, v144, v8
	v_mul_f32_e32 v6, v145, v8
	s_delay_alu instid0(VALU_DEP_3) | instskip(NEXT) | instid1(VALU_DEP_3)
	v_fma_f32 v24, v142, v5, -v24
	v_dual_fmac_f32 v139, v143, v5 :: v_dual_fmac_f32 v140, v145, v7
	s_wait_loadcnt_dscnt 0x401
	v_mul_f32_e32 v143, v146, v2
	v_fma_f32 v142, v144, v7, -v6
	ds_load_b128 v[5:8], v21 offset:672
	s_wait_loadcnt_dscnt 0x301
	v_dual_mul_f32 v144, v148, v4 :: v_dual_mul_f32 v145, v150, v10
	v_dual_mul_f32 v4, v149, v4 :: v_dual_fmac_f32 v143, v147, v1
	v_mul_f32_e32 v10, v151, v10
	s_delay_alu instid0(VALU_DEP_3)
	v_dual_mul_f32 v154, v152, v12 :: v_dual_fmac_f32 v145, v151, v9
	v_mul_f32_e32 v12, v153, v12
	v_mul_f32_e32 v2, v147, v2
	v_fmac_f32_e32 v144, v149, v3
	v_fma_f32 v147, v148, v3, -v4
	v_fma_f32 v148, v150, v9, -v10
	v_fmac_f32_e32 v154, v153, v11
	v_fma_f32 v149, v152, v11, -v12
	ds_load_b128 v[9:12], v21 offset:688
	s_wait_loadcnt_dscnt 0x201
	v_dual_mul_f32 v151, v7, v16 :: v_dual_mul_f32 v150, v5, v14
	v_mul_f32_e32 v14, v6, v14
	v_mul_f32_e32 v16, v8, v16
	s_delay_alu instid0(VALU_DEP_3)
	v_fmac_f32_e32 v151, v8, v15
	v_fma_f32 v146, v146, v1, -v2
	scratch_load_b128 v[1:4], off, off offset:240
	v_fmac_f32_e32 v150, v6, v13
	v_fma_f32 v13, v5, v13, -v14
	v_fma_f32 v14, v7, v15, -v16
	ds_load_b128 v[5:8], v21 offset:704
	s_wait_loadcnt_dscnt 0x201
	v_mul_f32_e32 v15, v9, v18
	v_mul_f32_e32 v16, v10, v18
	;; [unrolled: 1-line block ×3, first 2 shown]
	s_delay_alu instid0(VALU_DEP_3) | instskip(NEXT) | instid1(VALU_DEP_3)
	v_dual_mul_f32 v20, v12, v20 :: v_dual_fmac_f32 v15, v10, v17
	v_fma_f32 v16, v9, v17, -v16
	s_delay_alu instid0(VALU_DEP_3) | instskip(NEXT) | instid1(VALU_DEP_3)
	v_fmac_f32_e32 v18, v12, v19
	v_fma_f32 v17, v11, v19, -v20
	scratch_load_b128 v[9:12], off, off offset:256
	s_wait_loadcnt_dscnt 0x100
	v_mul_f32_e32 v19, v5, v2
	v_mul_f32_e32 v2, v6, v2
	;; [unrolled: 1-line block ×3, first 2 shown]
	s_delay_alu instid0(VALU_DEP_3) | instskip(NEXT) | instid1(VALU_DEP_3)
	v_dual_mul_f32 v4, v8, v4 :: v_dual_fmac_f32 v19, v6, v1
	v_fma_f32 v152, v5, v1, -v2
	s_delay_alu instid0(VALU_DEP_3) | instskip(NEXT) | instid1(VALU_DEP_3)
	v_fmac_f32_e32 v20, v8, v3
	v_fma_f32 v153, v7, v3, -v4
	ds_load_b128 v[1:4], v21 offset:720
	ds_load_b128 v[5:8], v21 offset:736
	s_wait_loadcnt_dscnt 0x1
	v_mul_f32_e32 v155, v1, v10
	v_mul_f32_e32 v10, v2, v10
	s_delay_alu instid0(VALU_DEP_2) | instskip(NEXT) | instid1(VALU_DEP_2)
	v_dual_mul_f32 v156, v3, v12 :: v_dual_fmac_f32 v155, v2, v9
	v_fma_f32 v157, v1, v9, -v10
	v_mul_f32_e32 v1, v4, v12
	s_delay_alu instid0(VALU_DEP_3) | instskip(NEXT) | instid1(VALU_DEP_2)
	v_fmac_f32_e32 v156, v4, v11
	v_fma_f32 v158, v3, v11, -v1
	s_clause 0x1
	scratch_load_b128 v[1:4], off, off offset:272
	scratch_load_b128 v[9:12], off, off offset:288
	s_wait_loadcnt_dscnt 0x100
	v_mul_f32_e32 v159, v5, v2
	v_dual_mul_f32 v2, v6, v2 :: v_dual_mul_f32 v161, v7, v4
	s_delay_alu instid0(VALU_DEP_2) | instskip(NEXT) | instid1(VALU_DEP_2)
	v_fmac_f32_e32 v159, v6, v1
	v_fma_f32 v160, v5, v1, -v2
	v_mul_f32_e32 v1, v8, v4
	s_delay_alu instid0(VALU_DEP_4) | instskip(NEXT) | instid1(VALU_DEP_2)
	v_fmac_f32_e32 v161, v8, v3
	v_fma_f32 v162, v7, v3, -v1
	ds_load_b128 v[1:4], v21 offset:752
	ds_load_b128 v[5:8], v21 offset:768
	s_wait_loadcnt_dscnt 0x1
	v_mul_f32_e32 v163, v1, v10
	v_mul_f32_e32 v165, v3, v12
	s_delay_alu instid0(VALU_DEP_2) | instskip(NEXT) | instid1(VALU_DEP_2)
	v_fmac_f32_e32 v163, v2, v9
	v_dual_mul_f32 v2, v2, v10 :: v_dual_fmac_f32 v165, v4, v11
	s_delay_alu instid0(VALU_DEP_1) | instskip(SKIP_1) | instid1(VALU_DEP_1)
	v_fma_f32 v164, v1, v9, -v2
	v_mul_f32_e32 v1, v4, v12
	v_fma_f32 v166, v3, v11, -v1
	s_clause 0x1
	scratch_load_b128 v[1:4], off, off offset:304
	scratch_load_b128 v[9:12], off, off offset:320
	s_wait_loadcnt_dscnt 0x100
	v_mul_f32_e32 v167, v5, v2
	v_dual_mul_f32 v169, v7, v4 :: v_dual_mul_f32 v2, v6, v2
	s_delay_alu instid0(VALU_DEP_2) | instskip(NEXT) | instid1(VALU_DEP_2)
	v_fmac_f32_e32 v167, v6, v1
	v_fmac_f32_e32 v169, v8, v3
	s_delay_alu instid0(VALU_DEP_3) | instskip(SKIP_1) | instid1(VALU_DEP_1)
	v_fma_f32 v168, v5, v1, -v2
	v_mul_f32_e32 v1, v8, v4
	v_fma_f32 v170, v7, v3, -v1
	ds_load_b128 v[1:4], v21 offset:784
	ds_load_b128 v[5:8], v21 offset:800
	s_wait_loadcnt_dscnt 0x1
	v_mul_f32_e32 v171, v1, v10
	v_mul_f32_e32 v173, v3, v12
	s_delay_alu instid0(VALU_DEP_2) | instskip(NEXT) | instid1(VALU_DEP_2)
	v_fmac_f32_e32 v171, v2, v9
	v_dual_mul_f32 v2, v2, v10 :: v_dual_fmac_f32 v173, v4, v11
	s_delay_alu instid0(VALU_DEP_1) | instskip(SKIP_1) | instid1(VALU_DEP_1)
	v_fma_f32 v172, v1, v9, -v2
	v_mul_f32_e32 v1, v4, v12
	v_fma_f32 v174, v3, v11, -v1
	s_clause 0x1
	scratch_load_b128 v[1:4], off, off offset:336
	scratch_load_b128 v[9:12], off, off offset:352
	s_wait_loadcnt_dscnt 0x100
	v_mul_f32_e32 v175, v5, v2
	v_dual_mul_f32 v2, v6, v2 :: v_dual_mul_f32 v177, v7, v4
	s_delay_alu instid0(VALU_DEP_2) | instskip(NEXT) | instid1(VALU_DEP_2)
	v_fmac_f32_e32 v175, v6, v1
	v_fma_f32 v176, v5, v1, -v2
	v_mul_f32_e32 v1, v8, v4
	s_delay_alu instid0(VALU_DEP_4) | instskip(NEXT) | instid1(VALU_DEP_2)
	v_fmac_f32_e32 v177, v8, v3
	v_fma_f32 v178, v7, v3, -v1
	ds_load_b128 v[1:4], v21 offset:816
	ds_load_b128 v[5:8], v21 offset:832
	s_wait_loadcnt_dscnt 0x1
	v_mul_f32_e32 v179, v1, v10
	v_mul_f32_e32 v181, v3, v12
	s_delay_alu instid0(VALU_DEP_2) | instskip(NEXT) | instid1(VALU_DEP_2)
	v_fmac_f32_e32 v179, v2, v9
	v_dual_mul_f32 v2, v2, v10 :: v_dual_fmac_f32 v181, v4, v11
	s_delay_alu instid0(VALU_DEP_1) | instskip(SKIP_1) | instid1(VALU_DEP_1)
	v_fma_f32 v180, v1, v9, -v2
	v_mul_f32_e32 v1, v4, v12
	v_fma_f32 v182, v3, v11, -v1
	s_clause 0x1
	scratch_load_b128 v[1:4], off, off offset:368
	scratch_load_b128 v[9:12], off, off offset:384
	s_wait_loadcnt_dscnt 0x100
	v_mul_f32_e32 v183, v5, v2
	v_mul_f32_e32 v2, v6, v2
	s_delay_alu instid0(VALU_DEP_1) | instskip(SKIP_1) | instid1(VALU_DEP_1)
	v_fma_f32 v184, v5, v1, -v2
	v_add_f32_e32 v2, 0, v139
	v_add_f32_e32 v2, v2, v140
	scratch_load_b64 v[139:140], off, off offset:448
	v_add_f32_e32 v2, v2, v143
	s_delay_alu instid0(VALU_DEP_1) | instskip(NEXT) | instid1(VALU_DEP_1)
	v_add_f32_e32 v2, v2, v144
	v_add_f32_e32 v2, v2, v145
	s_delay_alu instid0(VALU_DEP_1) | instskip(NEXT) | instid1(VALU_DEP_1)
	v_add_f32_e32 v2, v2, v154
	;; [unrolled: 3-line block ×3, first 2 shown]
	v_dual_add_f32 v2, v2, v15 :: v_dual_mul_f32 v185, v7, v4
	s_delay_alu instid0(VALU_DEP_1) | instskip(NEXT) | instid1(VALU_DEP_1)
	v_add_f32_e32 v2, v2, v18
	v_add_f32_e32 v2, v2, v19
	s_delay_alu instid0(VALU_DEP_3) | instskip(SKIP_1) | instid1(VALU_DEP_3)
	v_fmac_f32_e32 v185, v8, v3
	v_fmac_f32_e32 v183, v6, v1
	v_add_f32_e32 v2, v2, v20
	s_delay_alu instid0(VALU_DEP_1) | instskip(NEXT) | instid1(VALU_DEP_1)
	v_add_f32_e32 v5, v2, v155
	v_add_f32_e32 v5, v5, v156
	s_delay_alu instid0(VALU_DEP_1) | instskip(SKIP_1) | instid1(VALU_DEP_1)
	v_add_f32_e32 v5, v5, v159
	v_mul_f32_e32 v1, v8, v4
	v_fma_f32 v186, v7, v3, -v1
	v_add_f32_e32 v1, 0, v24
	s_delay_alu instid0(VALU_DEP_1) | instskip(NEXT) | instid1(VALU_DEP_1)
	v_add_f32_e32 v1, v1, v142
	v_add_f32_e32 v1, v1, v146
	s_delay_alu instid0(VALU_DEP_1) | instskip(NEXT) | instid1(VALU_DEP_1)
	v_add_f32_e32 v1, v1, v147
	;; [unrolled: 3-line block ×3, first 2 shown]
	v_add_f32_e32 v1, v1, v13
	s_delay_alu instid0(VALU_DEP_1) | instskip(SKIP_1) | instid1(VALU_DEP_1)
	v_add_f32_e32 v1, v1, v14
	v_add_f32_e32 v14, v5, v161
	;; [unrolled: 1-line block ×3, first 2 shown]
	s_delay_alu instid0(VALU_DEP_1) | instskip(NEXT) | instid1(VALU_DEP_1)
	v_dual_add_f32 v14, v14, v165 :: v_dual_add_f32 v1, v1, v16
	v_add_f32_e32 v1, v1, v17
	s_delay_alu instid0(VALU_DEP_1) | instskip(NEXT) | instid1(VALU_DEP_1)
	v_add_f32_e32 v1, v1, v152
	v_add_f32_e32 v1, v1, v153
	s_delay_alu instid0(VALU_DEP_1) | instskip(NEXT) | instid1(VALU_DEP_1)
	v_add_f32_e32 v1, v1, v157
	v_add_f32_e32 v6, v1, v158
	ds_load_b128 v[1:4], v21 offset:848
	v_add_f32_e32 v6, v6, v160
	s_delay_alu instid0(VALU_DEP_1)
	v_add_f32_e32 v13, v6, v162
	ds_load_b128 v[5:8], v21 offset:864
	s_wait_loadcnt_dscnt 0x101
	v_mul_f32_e32 v24, v1, v10
	v_mul_f32_e32 v10, v2, v10
	;; [unrolled: 1-line block ×4, first 2 shown]
	s_delay_alu instid0(VALU_DEP_4) | instskip(NEXT) | instid1(VALU_DEP_4)
	v_fmac_f32_e32 v24, v2, v9
	v_fma_f32 v149, v1, v9, -v10
	s_delay_alu instid0(VALU_DEP_4) | instskip(NEXT) | instid1(VALU_DEP_4)
	v_fmac_f32_e32 v148, v4, v11
	v_fma_f32 v150, v3, v11, -v12
	s_clause 0x1
	scratch_load_b128 v[1:4], off, off offset:400
	scratch_load_b128 v[9:12], off, off offset:416
	s_wait_loadcnt_dscnt 0x100
	v_dual_add_f32 v17, v14, v167 :: v_dual_mul_f32 v154, v7, v4
	s_delay_alu instid0(VALU_DEP_1)
	v_add_f32_e32 v17, v17, v169
	v_mul_f32_e32 v153, v5, v2
	v_mul_f32_e32 v2, v6, v2
	;; [unrolled: 1-line block ×3, first 2 shown]
	v_fmac_f32_e32 v154, v8, v3
	v_add_f32_e32 v17, v17, v171
	v_fmac_f32_e32 v153, v6, v1
	v_fma_f32 v2, v5, v1, -v2
	v_fma_f32 v1, v7, v3, -v4
	s_delay_alu instid0(VALU_DEP_4) | instskip(NEXT) | instid1(VALU_DEP_1)
	v_add_f32_e32 v17, v17, v173
	v_add_f32_e32 v17, v17, v175
	s_delay_alu instid0(VALU_DEP_1) | instskip(SKIP_1) | instid1(VALU_DEP_2)
	v_add_f32_e32 v142, v17, v177
	v_add_f32_e32 v13, v13, v164
	;; [unrolled: 1-line block ×3, first 2 shown]
	s_delay_alu instid0(VALU_DEP_2) | instskip(SKIP_2) | instid1(VALU_DEP_1)
	v_add_f32_e32 v13, v13, v166
	ds_load_b128 v[142:145], v21 offset:896
	v_add_f32_e32 v152, v147, v181
	v_add_f32_e32 v152, v152, v183
	s_delay_alu instid0(VALU_DEP_1) | instskip(NEXT) | instid1(VALU_DEP_1)
	v_add_f32_e32 v152, v152, v185
	v_add_f32_e32 v24, v152, v24
	s_delay_alu instid0(VALU_DEP_1) | instskip(NEXT) | instid1(VALU_DEP_1)
	v_add_f32_e32 v24, v24, v148
	v_dual_add_f32 v13, v13, v168 :: v_dual_add_f32 v4, v24, v153
	s_delay_alu instid0(VALU_DEP_1) | instskip(SKIP_2) | instid1(VALU_DEP_1)
	v_add_f32_e32 v18, v13, v170
	scratch_load_b128 v[13:16], off, off offset:432
	v_add_f32_e32 v18, v18, v172
	v_add_f32_e32 v18, v18, v174
	s_delay_alu instid0(VALU_DEP_1) | instskip(NEXT) | instid1(VALU_DEP_1)
	v_add_f32_e32 v18, v18, v176
	v_add_f32_e32 v18, v18, v178
	s_delay_alu instid0(VALU_DEP_1)
	v_add_f32_e32 v146, v18, v180
	ds_load_b128 v[17:20], v21 offset:880
	s_wait_loadcnt_dscnt 0x100
	v_dual_mul_f32 v152, v19, v12 :: v_dual_add_f32 v151, v146, v182
	ds_load_b64 v[146:147], v21 offset:912
	v_dual_mul_f32 v3, v18, v10 :: v_dual_fmac_f32 v152, v20, v11
	v_add_f32_e32 v151, v151, v184
	s_delay_alu instid0(VALU_DEP_2) | instskip(NEXT) | instid1(VALU_DEP_2)
	v_fma_f32 v3, v17, v9, -v3
	v_add_f32_e32 v151, v151, v186
	s_wait_dscnt 0x0
	s_delay_alu instid0(VALU_DEP_1) | instskip(NEXT) | instid1(VALU_DEP_1)
	v_dual_add_f32 v149, v151, v149 :: v_dual_mul_f32 v148, v146, v140
	v_dual_add_f32 v149, v149, v150 :: v_dual_fmac_f32 v148, v147, v139
	s_delay_alu instid0(VALU_DEP_1) | instskip(NEXT) | instid1(VALU_DEP_1)
	v_add_f32_e32 v2, v149, v2
	v_dual_add_f32 v1, v2, v1 :: v_dual_add_f32 v2, v4, v154
	s_wait_loadcnt 0x0
	v_dual_mul_f32 v150, v144, v16 :: v_dual_mul_f32 v155, v142, v14
	v_mul_f32_e32 v4, v143, v14
	s_delay_alu instid0(VALU_DEP_2) | instskip(SKIP_1) | instid1(VALU_DEP_3)
	v_dual_fmac_f32 v150, v145, v15 :: v_dual_fmac_f32 v155, v143, v13
	v_mul_f32_e32 v151, v17, v10
	v_fma_f32 v4, v142, v13, -v4
	s_delay_alu instid0(VALU_DEP_2) | instskip(NEXT) | instid1(VALU_DEP_1)
	v_fmac_f32_e32 v151, v18, v9
	v_add_f32_e32 v2, v2, v151
	s_delay_alu instid0(VALU_DEP_1) | instskip(NEXT) | instid1(VALU_DEP_1)
	v_add_f32_e32 v2, v2, v152
	v_dual_add_f32 v2, v2, v155 :: v_dual_mul_f32 v5, v20, v12
	s_delay_alu instid0(VALU_DEP_1) | instskip(NEXT) | instid1(VALU_DEP_2)
	v_add_f32_e32 v2, v2, v150
	v_fma_f32 v5, v19, v11, -v5
	v_add_f32_e32 v1, v1, v3
	v_mul_f32_e32 v3, v145, v16
	s_delay_alu instid0(VALU_DEP_2) | instskip(SKIP_1) | instid1(VALU_DEP_3)
	v_dual_add_f32 v2, v2, v148 :: v_dual_add_f32 v1, v1, v5
	v_mul_f32_e32 v5, v147, v140
	v_fma_f32 v3, v144, v15, -v3
	s_delay_alu instid0(VALU_DEP_3) | instskip(NEXT) | instid1(VALU_DEP_3)
	v_dual_sub_f32 v2, v23, v2 :: v_dual_add_f32 v1, v1, v4
	v_fma_f32 v4, v146, v139, -v5
	s_delay_alu instid0(VALU_DEP_2) | instskip(NEXT) | instid1(VALU_DEP_1)
	v_add_f32_e32 v1, v1, v3
	v_add_f32_e32 v1, v1, v4
	s_delay_alu instid0(VALU_DEP_1)
	v_sub_f32_e32 v1, v22, v1
	scratch_store_b64 off, v[1:2], off offset:152
	v_cmpx_lt_u32_e32 18, v0
	s_cbranch_execz .LBB120_319
; %bb.318:
	scratch_load_b64 v[1:2], off, off offset:144
	v_mov_b32_e32 v22, v21
	scratch_store_b64 off, v[21:22], off offset:144
	s_wait_loadcnt 0x0
	ds_store_b64 v141, v[1:2]
.LBB120_319:
	s_wait_alu 0xfffe
	s_or_b32 exec_lo, exec_lo, s0
	s_wait_storecnt_dscnt 0x0
	s_barrier_signal -1
	s_barrier_wait -1
	global_inv scope:SCOPE_SE
	s_clause 0x4
	scratch_load_b128 v[5:8], off, off offset:152
	scratch_load_b128 v[1:4], off, off offset:168
	scratch_load_b128 v[9:12], off, off offset:184
	scratch_load_b128 v[13:16], off, off offset:200
	scratch_load_b128 v[17:20], off, off offset:216
	ds_load_2addr_b64 v[142:145], v21 offset0:77 offset1:78
	ds_load_2addr_b64 v[146:149], v21 offset0:79 offset1:80
	;; [unrolled: 1-line block ×3, first 2 shown]
	scratch_load_b64 v[139:140], off, off offset:144
	s_mov_b32 s0, exec_lo
	s_wait_loadcnt_dscnt 0x502
	v_mul_f32_e32 v22, v143, v6
	v_dual_mul_f32 v23, v142, v6 :: v_dual_mul_f32 v24, v144, v8
	v_mul_f32_e32 v6, v145, v8
	s_delay_alu instid0(VALU_DEP_3) | instskip(NEXT) | instid1(VALU_DEP_3)
	v_fma_f32 v22, v142, v5, -v22
	v_dual_fmac_f32 v23, v143, v5 :: v_dual_fmac_f32 v24, v145, v7
	s_wait_loadcnt_dscnt 0x401
	v_mul_f32_e32 v143, v146, v2
	v_fma_f32 v142, v144, v7, -v6
	ds_load_2addr_b64 v[5:8], v21 offset0:83 offset1:84
	s_wait_loadcnt_dscnt 0x301
	v_dual_mul_f32 v144, v148, v4 :: v_dual_mul_f32 v145, v150, v10
	v_dual_mul_f32 v4, v149, v4 :: v_dual_fmac_f32 v143, v147, v1
	v_mul_f32_e32 v10, v151, v10
	s_delay_alu instid0(VALU_DEP_3)
	v_dual_mul_f32 v154, v152, v12 :: v_dual_fmac_f32 v145, v151, v9
	v_mul_f32_e32 v12, v153, v12
	v_mul_f32_e32 v2, v147, v2
	v_fmac_f32_e32 v144, v149, v3
	v_fma_f32 v147, v148, v3, -v4
	v_fma_f32 v148, v150, v9, -v10
	v_fmac_f32_e32 v154, v153, v11
	v_fma_f32 v149, v152, v11, -v12
	ds_load_2addr_b64 v[9:12], v21 offset0:85 offset1:86
	s_wait_loadcnt_dscnt 0x201
	v_mul_f32_e32 v150, v5, v14
	v_dual_mul_f32 v14, v6, v14 :: v_dual_mul_f32 v151, v7, v16
	v_mul_f32_e32 v16, v8, v16
	s_delay_alu instid0(VALU_DEP_3) | instskip(NEXT) | instid1(VALU_DEP_3)
	v_fmac_f32_e32 v150, v6, v13
	v_fma_f32 v13, v5, v13, -v14
	s_delay_alu instid0(VALU_DEP_4) | instskip(NEXT) | instid1(VALU_DEP_4)
	v_fmac_f32_e32 v151, v8, v15
	v_fma_f32 v14, v7, v15, -v16
	ds_load_2addr_b64 v[5:8], v21 offset0:87 offset1:88
	s_wait_loadcnt_dscnt 0x101
	v_mul_f32_e32 v15, v9, v18
	v_mul_f32_e32 v16, v10, v18
	v_mul_f32_e32 v18, v11, v20
	s_delay_alu instid0(VALU_DEP_3)
	v_dual_mul_f32 v20, v12, v20 :: v_dual_fmac_f32 v15, v10, v17
	v_fma_f32 v146, v146, v1, -v2
	scratch_load_b128 v[1:4], off, off offset:232
	v_fma_f32 v16, v9, v17, -v16
	v_fmac_f32_e32 v18, v12, v19
	v_fma_f32 v17, v11, v19, -v20
	scratch_load_b128 v[9:12], off, off offset:248
	s_wait_loadcnt_dscnt 0x100
	v_mul_f32_e32 v19, v5, v2
	v_mul_f32_e32 v2, v6, v2
	;; [unrolled: 1-line block ×3, first 2 shown]
	s_delay_alu instid0(VALU_DEP_3) | instskip(NEXT) | instid1(VALU_DEP_3)
	v_dual_mul_f32 v4, v8, v4 :: v_dual_fmac_f32 v19, v6, v1
	v_fma_f32 v152, v5, v1, -v2
	s_delay_alu instid0(VALU_DEP_3) | instskip(NEXT) | instid1(VALU_DEP_3)
	v_fmac_f32_e32 v20, v8, v3
	v_fma_f32 v153, v7, v3, -v4
	ds_load_2addr_b64 v[1:4], v21 offset0:89 offset1:90
	ds_load_2addr_b64 v[5:8], v21 offset0:91 offset1:92
	s_wait_loadcnt_dscnt 0x1
	v_mul_f32_e32 v155, v1, v10
	v_mul_f32_e32 v10, v2, v10
	s_delay_alu instid0(VALU_DEP_2) | instskip(NEXT) | instid1(VALU_DEP_2)
	v_dual_mul_f32 v156, v3, v12 :: v_dual_fmac_f32 v155, v2, v9
	v_fma_f32 v157, v1, v9, -v10
	v_mul_f32_e32 v1, v4, v12
	s_delay_alu instid0(VALU_DEP_3) | instskip(NEXT) | instid1(VALU_DEP_2)
	v_fmac_f32_e32 v156, v4, v11
	v_fma_f32 v158, v3, v11, -v1
	s_clause 0x1
	scratch_load_b128 v[1:4], off, off offset:264
	scratch_load_b128 v[9:12], off, off offset:280
	s_wait_loadcnt_dscnt 0x100
	v_mul_f32_e32 v159, v5, v2
	v_dual_mul_f32 v2, v6, v2 :: v_dual_mul_f32 v161, v7, v4
	s_delay_alu instid0(VALU_DEP_2) | instskip(NEXT) | instid1(VALU_DEP_2)
	v_fmac_f32_e32 v159, v6, v1
	v_fma_f32 v160, v5, v1, -v2
	v_mul_f32_e32 v1, v8, v4
	s_delay_alu instid0(VALU_DEP_4) | instskip(NEXT) | instid1(VALU_DEP_2)
	v_fmac_f32_e32 v161, v8, v3
	v_fma_f32 v162, v7, v3, -v1
	ds_load_2addr_b64 v[1:4], v21 offset0:93 offset1:94
	ds_load_2addr_b64 v[5:8], v21 offset0:95 offset1:96
	s_wait_loadcnt_dscnt 0x1
	v_mul_f32_e32 v163, v1, v10
	v_mul_f32_e32 v165, v3, v12
	s_delay_alu instid0(VALU_DEP_2) | instskip(NEXT) | instid1(VALU_DEP_2)
	v_fmac_f32_e32 v163, v2, v9
	v_dual_mul_f32 v2, v2, v10 :: v_dual_fmac_f32 v165, v4, v11
	s_delay_alu instid0(VALU_DEP_1) | instskip(SKIP_1) | instid1(VALU_DEP_1)
	v_fma_f32 v164, v1, v9, -v2
	v_mul_f32_e32 v1, v4, v12
	v_fma_f32 v166, v3, v11, -v1
	s_clause 0x1
	scratch_load_b128 v[1:4], off, off offset:296
	scratch_load_b128 v[9:12], off, off offset:312
	s_wait_loadcnt_dscnt 0x100
	v_mul_f32_e32 v167, v5, v2
	v_dual_mul_f32 v2, v6, v2 :: v_dual_mul_f32 v169, v7, v4
	s_delay_alu instid0(VALU_DEP_2) | instskip(NEXT) | instid1(VALU_DEP_2)
	v_fmac_f32_e32 v167, v6, v1
	v_fma_f32 v168, v5, v1, -v2
	v_mul_f32_e32 v1, v8, v4
	s_delay_alu instid0(VALU_DEP_4) | instskip(NEXT) | instid1(VALU_DEP_2)
	v_fmac_f32_e32 v169, v8, v3
	v_fma_f32 v170, v7, v3, -v1
	ds_load_2addr_b64 v[1:4], v21 offset0:97 offset1:98
	ds_load_2addr_b64 v[5:8], v21 offset0:99 offset1:100
	s_wait_loadcnt_dscnt 0x1
	v_mul_f32_e32 v171, v1, v10
	v_mul_f32_e32 v173, v3, v12
	s_delay_alu instid0(VALU_DEP_2) | instskip(NEXT) | instid1(VALU_DEP_2)
	v_fmac_f32_e32 v171, v2, v9
	v_dual_mul_f32 v2, v2, v10 :: v_dual_fmac_f32 v173, v4, v11
	s_delay_alu instid0(VALU_DEP_1) | instskip(SKIP_1) | instid1(VALU_DEP_1)
	v_fma_f32 v172, v1, v9, -v2
	v_mul_f32_e32 v1, v4, v12
	;; [unrolled: 25-line block ×3, first 2 shown]
	v_fma_f32 v182, v3, v11, -v1
	s_clause 0x1
	scratch_load_b128 v[1:4], off, off offset:360
	scratch_load_b128 v[9:12], off, off offset:376
	s_wait_loadcnt_dscnt 0x100
	v_mul_f32_e32 v183, v5, v2
	v_mul_f32_e32 v2, v6, v2
	s_delay_alu instid0(VALU_DEP_1) | instskip(SKIP_1) | instid1(VALU_DEP_1)
	v_fma_f32 v184, v5, v1, -v2
	v_add_f32_e32 v2, 0, v23
	v_add_f32_e32 v2, v2, v24
	s_delay_alu instid0(VALU_DEP_1) | instskip(NEXT) | instid1(VALU_DEP_1)
	v_add_f32_e32 v2, v2, v143
	v_add_f32_e32 v2, v2, v144
	s_delay_alu instid0(VALU_DEP_1) | instskip(NEXT) | instid1(VALU_DEP_1)
	;; [unrolled: 3-line block ×3, first 2 shown]
	v_add_f32_e32 v2, v2, v150
	v_add_f32_e32 v2, v2, v151
	s_delay_alu instid0(VALU_DEP_1) | instskip(SKIP_1) | instid1(VALU_DEP_2)
	v_dual_add_f32 v2, v2, v15 :: v_dual_mul_f32 v185, v7, v4
	v_fmac_f32_e32 v183, v6, v1
	v_dual_add_f32 v2, v2, v18 :: v_dual_mul_f32 v1, v8, v4
	s_delay_alu instid0(VALU_DEP_1) | instskip(NEXT) | instid1(VALU_DEP_4)
	v_add_f32_e32 v2, v2, v19
	v_fmac_f32_e32 v185, v8, v3
	s_delay_alu instid0(VALU_DEP_3) | instskip(NEXT) | instid1(VALU_DEP_3)
	v_fma_f32 v186, v7, v3, -v1
	v_dual_add_f32 v2, v2, v20 :: v_dual_add_f32 v1, 0, v22
	s_delay_alu instid0(VALU_DEP_1) | instskip(NEXT) | instid1(VALU_DEP_1)
	v_dual_add_f32 v2, v2, v155 :: v_dual_add_f32 v1, v1, v142
	v_add_f32_e32 v5, v2, v156
	s_delay_alu instid0(VALU_DEP_2) | instskip(NEXT) | instid1(VALU_DEP_1)
	v_add_f32_e32 v1, v1, v146
	v_add_f32_e32 v1, v1, v147
	s_delay_alu instid0(VALU_DEP_1) | instskip(NEXT) | instid1(VALU_DEP_1)
	v_add_f32_e32 v1, v1, v148
	v_add_f32_e32 v1, v1, v149
	s_delay_alu instid0(VALU_DEP_1) | instskip(SKIP_1) | instid1(VALU_DEP_2)
	v_add_f32_e32 v1, v1, v13
	v_add_f32_e32 v13, v5, v159
	;; [unrolled: 1-line block ×3, first 2 shown]
	s_delay_alu instid0(VALU_DEP_2) | instskip(NEXT) | instid1(VALU_DEP_1)
	v_add_f32_e32 v13, v13, v161
	v_add_f32_e32 v13, v13, v163
	s_delay_alu instid0(VALU_DEP_1) | instskip(NEXT) | instid1(VALU_DEP_1)
	v_add_f32_e32 v18, v13, v165
	v_dual_add_f32 v18, v18, v167 :: v_dual_add_f32 v1, v1, v16
	s_delay_alu instid0(VALU_DEP_1) | instskip(NEXT) | instid1(VALU_DEP_2)
	v_add_f32_e32 v18, v18, v169
	v_add_f32_e32 v1, v1, v17
	s_delay_alu instid0(VALU_DEP_1) | instskip(NEXT) | instid1(VALU_DEP_1)
	v_add_f32_e32 v1, v1, v152
	v_add_f32_e32 v1, v1, v153
	s_delay_alu instid0(VALU_DEP_1) | instskip(NEXT) | instid1(VALU_DEP_1)
	v_add_f32_e32 v1, v1, v157
	v_add_f32_e32 v1, v1, v158
	s_delay_alu instid0(VALU_DEP_1)
	v_add_f32_e32 v6, v1, v160
	ds_load_2addr_b64 v[1:4], v21 offset0:105 offset1:106
	v_add_f32_e32 v22, v18, v171
	v_add_f32_e32 v14, v6, v162
	scratch_load_b128 v[5:8], off, off offset:392
	v_add_f32_e32 v22, v22, v173
	v_add_f32_e32 v14, v14, v164
	s_delay_alu instid0(VALU_DEP_1)
	v_add_f32_e32 v17, v14, v166
	ds_load_2addr_b64 v[13:16], v21 offset0:107 offset1:108
	s_wait_loadcnt_dscnt 0x101
	v_mul_f32_e32 v142, v1, v10
	v_dual_mul_f32 v10, v2, v10 :: v_dual_mul_f32 v143, v3, v12
	v_mul_f32_e32 v12, v4, v12
	v_add_f32_e32 v22, v22, v175
	s_delay_alu instid0(VALU_DEP_4) | instskip(NEXT) | instid1(VALU_DEP_4)
	v_fmac_f32_e32 v142, v2, v9
	v_fma_f32 v144, v1, v9, -v10
	v_fmac_f32_e32 v143, v4, v11
	v_fma_f32 v145, v3, v11, -v12
	s_clause 0x1
	scratch_load_b128 v[1:4], off, off offset:408
	scratch_load_b128 v[9:12], off, off offset:424
	v_add_f32_e32 v17, v17, v168
	s_delay_alu instid0(VALU_DEP_1) | instskip(NEXT) | instid1(VALU_DEP_1)
	v_add_f32_e32 v17, v17, v170
	v_add_f32_e32 v17, v17, v172
	s_delay_alu instid0(VALU_DEP_1)
	v_add_f32_e32 v23, v17, v174
	scratch_load_b128 v[17:20], off, off offset:440
	s_wait_loadcnt_dscnt 0x300
	v_mul_f32_e32 v146, v13, v6
	v_dual_mul_f32 v6, v14, v6 :: v_dual_mul_f32 v147, v15, v8
	v_mul_f32_e32 v8, v16, v8
	s_delay_alu instid0(VALU_DEP_3) | instskip(NEXT) | instid1(VALU_DEP_3)
	v_dual_fmac_f32 v146, v14, v5 :: v_dual_add_f32 v23, v23, v176
	v_fma_f32 v148, v13, v5, -v6
	s_delay_alu instid0(VALU_DEP_4) | instskip(NEXT) | instid1(VALU_DEP_4)
	v_fmac_f32_e32 v147, v16, v7
	v_fma_f32 v149, v15, v7, -v8
	ds_load_2addr_b64 v[5:8], v21 offset0:109 offset1:110
	v_add_f32_e32 v23, v23, v178
	s_delay_alu instid0(VALU_DEP_1) | instskip(NEXT) | instid1(VALU_DEP_1)
	v_dual_add_f32 v13, v22, v177 :: v_dual_add_f32 v22, v23, v180
	v_add_f32_e32 v150, v22, v182
	s_delay_alu instid0(VALU_DEP_1) | instskip(NEXT) | instid1(VALU_DEP_1)
	v_add_f32_e32 v150, v150, v184
	v_add_f32_e32 v150, v150, v186
	s_delay_alu instid0(VALU_DEP_1) | instskip(NEXT) | instid1(VALU_DEP_1)
	v_add_f32_e32 v144, v150, v144
	v_add_f32_e32 v144, v144, v145
	s_delay_alu instid0(VALU_DEP_1)
	v_dual_add_f32 v144, v144, v148 :: v_dual_add_f32 v23, v13, v179
	ds_load_2addr_b64 v[13:16], v21 offset0:111 offset1:112
	s_wait_loadcnt_dscnt 0x201
	v_mul_f32_e32 v152, v5, v2
	v_mul_f32_e32 v150, v7, v4
	;; [unrolled: 1-line block ×4, first 2 shown]
	s_delay_alu instid0(VALU_DEP_4) | instskip(NEXT) | instid1(VALU_DEP_4)
	v_fmac_f32_e32 v152, v6, v1
	v_fmac_f32_e32 v150, v8, v3
	s_delay_alu instid0(VALU_DEP_4) | instskip(NEXT) | instid1(VALU_DEP_4)
	v_fma_f32 v3, v7, v3, -v4
	v_fma_f32 v2, v5, v1, -v2
	v_add_f32_e32 v1, v144, v149
	s_wait_loadcnt_dscnt 0x100
	v_mul_f32_e32 v153, v15, v12
	v_dual_mul_f32 v4, v16, v12 :: v_dual_add_f32 v151, v23, v181
	ds_load_2addr_b64 v[21:24], v21 offset0:113 offset1:114
	v_dual_mul_f32 v6, v14, v10 :: v_dual_fmac_f32 v153, v16, v11
	v_fma_f32 v4, v15, v11, -v4
	v_add_f32_e32 v151, v151, v183
	s_delay_alu instid0(VALU_DEP_1) | instskip(NEXT) | instid1(VALU_DEP_1)
	v_add_f32_e32 v151, v151, v185
	v_add_f32_e32 v142, v151, v142
	s_delay_alu instid0(VALU_DEP_1) | instskip(SKIP_2) | instid1(VALU_DEP_2)
	v_dual_mul_f32 v151, v13, v10 :: v_dual_add_f32 v142, v142, v143
	s_wait_loadcnt_dscnt 0x0
	v_mul_f32_e32 v145, v23, v20
	v_fmac_f32_e32 v151, v14, v9
	s_delay_alu instid0(VALU_DEP_2) | instskip(SKIP_1) | instid1(VALU_DEP_2)
	v_dual_add_f32 v142, v142, v146 :: v_dual_fmac_f32 v145, v24, v19
	v_add_f32_e32 v1, v1, v2
	v_add_f32_e32 v5, v142, v147
	s_delay_alu instid0(VALU_DEP_1) | instskip(SKIP_1) | instid1(VALU_DEP_2)
	v_add_f32_e32 v2, v5, v152
	v_fma_f32 v5, v13, v9, -v6
	v_add_f32_e32 v2, v2, v150
	s_delay_alu instid0(VALU_DEP_1) | instskip(NEXT) | instid1(VALU_DEP_1)
	v_dual_mul_f32 v143, v21, v18 :: v_dual_add_f32 v2, v2, v151
	v_fmac_f32_e32 v143, v22, v17
	s_delay_alu instid0(VALU_DEP_2) | instskip(NEXT) | instid1(VALU_DEP_1)
	v_add_f32_e32 v2, v2, v153
	v_add_f32_e32 v2, v2, v143
	s_delay_alu instid0(VALU_DEP_1) | instskip(SKIP_1) | instid1(VALU_DEP_2)
	v_dual_add_f32 v2, v2, v145 :: v_dual_add_f32 v1, v1, v3
	v_mul_f32_e32 v3, v22, v18
	v_dual_sub_f32 v2, v140, v2 :: v_dual_add_f32 v1, v1, v5
	v_mul_f32_e32 v5, v24, v20
	s_delay_alu instid0(VALU_DEP_3) | instskip(NEXT) | instid1(VALU_DEP_3)
	v_fma_f32 v3, v21, v17, -v3
	v_add_f32_e32 v1, v1, v4
	s_delay_alu instid0(VALU_DEP_3) | instskip(NEXT) | instid1(VALU_DEP_2)
	v_fma_f32 v4, v23, v19, -v5
	v_add_f32_e32 v1, v1, v3
	s_delay_alu instid0(VALU_DEP_1) | instskip(NEXT) | instid1(VALU_DEP_1)
	v_add_f32_e32 v1, v1, v4
	v_sub_f32_e32 v1, v139, v1
	scratch_store_b64 off, v[1:2], off offset:144
	v_cmpx_lt_u32_e32 17, v0
	s_cbranch_execz .LBB120_321
; %bb.320:
	scratch_load_b64 v[1:2], off, off offset:136
	v_mov_b32_e32 v3, 0
	s_delay_alu instid0(VALU_DEP_1)
	v_mov_b32_e32 v4, v3
	scratch_store_b64 off, v[3:4], off offset:136
	s_wait_loadcnt 0x0
	ds_store_b64 v141, v[1:2]
.LBB120_321:
	s_wait_alu 0xfffe
	s_or_b32 exec_lo, exec_lo, s0
	s_wait_storecnt_dscnt 0x0
	s_barrier_signal -1
	s_barrier_wait -1
	global_inv scope:SCOPE_SE
	s_clause 0x4
	scratch_load_b128 v[5:8], off, off offset:144
	scratch_load_b128 v[1:4], off, off offset:160
	;; [unrolled: 1-line block ×5, first 2 shown]
	v_mov_b32_e32 v21, 0
	ds_load_b128 v[142:145], v21 offset:608
	ds_load_b128 v[146:149], v21 offset:624
	;; [unrolled: 1-line block ×3, first 2 shown]
	scratch_load_b64 v[22:23], off, off offset:136
	s_mov_b32 s0, exec_lo
	s_wait_loadcnt_dscnt 0x502
	v_mul_f32_e32 v24, v143, v6
	v_dual_mul_f32 v139, v142, v6 :: v_dual_mul_f32 v140, v144, v8
	v_mul_f32_e32 v6, v145, v8
	s_delay_alu instid0(VALU_DEP_3) | instskip(NEXT) | instid1(VALU_DEP_3)
	v_fma_f32 v24, v142, v5, -v24
	v_dual_fmac_f32 v139, v143, v5 :: v_dual_fmac_f32 v140, v145, v7
	s_wait_loadcnt_dscnt 0x401
	v_mul_f32_e32 v143, v146, v2
	v_fma_f32 v142, v144, v7, -v6
	ds_load_b128 v[5:8], v21 offset:656
	s_wait_loadcnt_dscnt 0x301
	v_dual_mul_f32 v144, v148, v4 :: v_dual_mul_f32 v145, v150, v10
	v_dual_mul_f32 v4, v149, v4 :: v_dual_fmac_f32 v143, v147, v1
	v_mul_f32_e32 v10, v151, v10
	s_delay_alu instid0(VALU_DEP_3)
	v_dual_mul_f32 v154, v152, v12 :: v_dual_fmac_f32 v145, v151, v9
	v_mul_f32_e32 v12, v153, v12
	v_mul_f32_e32 v2, v147, v2
	v_fmac_f32_e32 v144, v149, v3
	v_fma_f32 v147, v148, v3, -v4
	v_fma_f32 v148, v150, v9, -v10
	v_fmac_f32_e32 v154, v153, v11
	v_fma_f32 v149, v152, v11, -v12
	ds_load_b128 v[9:12], v21 offset:672
	s_wait_loadcnt_dscnt 0x201
	v_dual_mul_f32 v151, v7, v16 :: v_dual_mul_f32 v150, v5, v14
	v_mul_f32_e32 v14, v6, v14
	v_mul_f32_e32 v16, v8, v16
	s_delay_alu instid0(VALU_DEP_3)
	v_fmac_f32_e32 v151, v8, v15
	v_fma_f32 v146, v146, v1, -v2
	scratch_load_b128 v[1:4], off, off offset:224
	v_fmac_f32_e32 v150, v6, v13
	v_fma_f32 v13, v5, v13, -v14
	v_fma_f32 v14, v7, v15, -v16
	ds_load_b128 v[5:8], v21 offset:688
	s_wait_loadcnt_dscnt 0x201
	v_mul_f32_e32 v15, v9, v18
	v_mul_f32_e32 v16, v10, v18
	;; [unrolled: 1-line block ×3, first 2 shown]
	s_delay_alu instid0(VALU_DEP_3) | instskip(NEXT) | instid1(VALU_DEP_3)
	v_dual_mul_f32 v20, v12, v20 :: v_dual_fmac_f32 v15, v10, v17
	v_fma_f32 v16, v9, v17, -v16
	s_delay_alu instid0(VALU_DEP_3) | instskip(NEXT) | instid1(VALU_DEP_3)
	v_fmac_f32_e32 v18, v12, v19
	v_fma_f32 v17, v11, v19, -v20
	scratch_load_b128 v[9:12], off, off offset:240
	s_wait_loadcnt_dscnt 0x100
	v_mul_f32_e32 v19, v5, v2
	v_mul_f32_e32 v2, v6, v2
	v_mul_f32_e32 v20, v7, v4
	s_delay_alu instid0(VALU_DEP_3) | instskip(NEXT) | instid1(VALU_DEP_3)
	v_dual_mul_f32 v4, v8, v4 :: v_dual_fmac_f32 v19, v6, v1
	v_fma_f32 v152, v5, v1, -v2
	s_delay_alu instid0(VALU_DEP_3) | instskip(NEXT) | instid1(VALU_DEP_3)
	v_fmac_f32_e32 v20, v8, v3
	v_fma_f32 v153, v7, v3, -v4
	ds_load_b128 v[1:4], v21 offset:704
	ds_load_b128 v[5:8], v21 offset:720
	s_wait_loadcnt_dscnt 0x1
	v_mul_f32_e32 v155, v1, v10
	v_mul_f32_e32 v10, v2, v10
	s_delay_alu instid0(VALU_DEP_2) | instskip(NEXT) | instid1(VALU_DEP_2)
	v_dual_mul_f32 v156, v3, v12 :: v_dual_fmac_f32 v155, v2, v9
	v_fma_f32 v157, v1, v9, -v10
	v_mul_f32_e32 v1, v4, v12
	s_delay_alu instid0(VALU_DEP_3) | instskip(NEXT) | instid1(VALU_DEP_2)
	v_fmac_f32_e32 v156, v4, v11
	v_fma_f32 v158, v3, v11, -v1
	s_clause 0x1
	scratch_load_b128 v[1:4], off, off offset:256
	scratch_load_b128 v[9:12], off, off offset:272
	s_wait_loadcnt_dscnt 0x100
	v_mul_f32_e32 v159, v5, v2
	v_dual_mul_f32 v2, v6, v2 :: v_dual_mul_f32 v161, v7, v4
	s_delay_alu instid0(VALU_DEP_2) | instskip(NEXT) | instid1(VALU_DEP_2)
	v_fmac_f32_e32 v159, v6, v1
	v_fma_f32 v160, v5, v1, -v2
	v_mul_f32_e32 v1, v8, v4
	s_delay_alu instid0(VALU_DEP_4) | instskip(NEXT) | instid1(VALU_DEP_2)
	v_fmac_f32_e32 v161, v8, v3
	v_fma_f32 v162, v7, v3, -v1
	ds_load_b128 v[1:4], v21 offset:736
	ds_load_b128 v[5:8], v21 offset:752
	s_wait_loadcnt_dscnt 0x1
	v_mul_f32_e32 v163, v1, v10
	v_mul_f32_e32 v165, v3, v12
	s_delay_alu instid0(VALU_DEP_2) | instskip(NEXT) | instid1(VALU_DEP_2)
	v_fmac_f32_e32 v163, v2, v9
	v_dual_mul_f32 v2, v2, v10 :: v_dual_fmac_f32 v165, v4, v11
	s_delay_alu instid0(VALU_DEP_1) | instskip(SKIP_1) | instid1(VALU_DEP_1)
	v_fma_f32 v164, v1, v9, -v2
	v_mul_f32_e32 v1, v4, v12
	v_fma_f32 v166, v3, v11, -v1
	s_clause 0x1
	scratch_load_b128 v[1:4], off, off offset:288
	scratch_load_b128 v[9:12], off, off offset:304
	s_wait_loadcnt_dscnt 0x100
	v_mul_f32_e32 v167, v5, v2
	v_dual_mul_f32 v169, v7, v4 :: v_dual_mul_f32 v2, v6, v2
	s_delay_alu instid0(VALU_DEP_2) | instskip(NEXT) | instid1(VALU_DEP_2)
	v_fmac_f32_e32 v167, v6, v1
	v_fmac_f32_e32 v169, v8, v3
	s_delay_alu instid0(VALU_DEP_3) | instskip(SKIP_1) | instid1(VALU_DEP_1)
	v_fma_f32 v168, v5, v1, -v2
	v_mul_f32_e32 v1, v8, v4
	v_fma_f32 v170, v7, v3, -v1
	ds_load_b128 v[1:4], v21 offset:768
	ds_load_b128 v[5:8], v21 offset:784
	s_wait_loadcnt_dscnt 0x1
	v_mul_f32_e32 v171, v1, v10
	v_mul_f32_e32 v173, v3, v12
	s_delay_alu instid0(VALU_DEP_2) | instskip(NEXT) | instid1(VALU_DEP_2)
	v_fmac_f32_e32 v171, v2, v9
	v_dual_mul_f32 v2, v2, v10 :: v_dual_fmac_f32 v173, v4, v11
	s_delay_alu instid0(VALU_DEP_1) | instskip(SKIP_1) | instid1(VALU_DEP_1)
	v_fma_f32 v172, v1, v9, -v2
	v_mul_f32_e32 v1, v4, v12
	v_fma_f32 v174, v3, v11, -v1
	s_clause 0x1
	scratch_load_b128 v[1:4], off, off offset:320
	scratch_load_b128 v[9:12], off, off offset:336
	s_wait_loadcnt_dscnt 0x100
	v_mul_f32_e32 v175, v5, v2
	v_dual_mul_f32 v2, v6, v2 :: v_dual_mul_f32 v177, v7, v4
	s_delay_alu instid0(VALU_DEP_2) | instskip(NEXT) | instid1(VALU_DEP_2)
	v_fmac_f32_e32 v175, v6, v1
	v_fma_f32 v176, v5, v1, -v2
	v_mul_f32_e32 v1, v8, v4
	s_delay_alu instid0(VALU_DEP_4) | instskip(NEXT) | instid1(VALU_DEP_2)
	v_fmac_f32_e32 v177, v8, v3
	v_fma_f32 v178, v7, v3, -v1
	ds_load_b128 v[1:4], v21 offset:800
	ds_load_b128 v[5:8], v21 offset:816
	s_wait_loadcnt_dscnt 0x1
	v_mul_f32_e32 v179, v1, v10
	v_mul_f32_e32 v181, v3, v12
	s_delay_alu instid0(VALU_DEP_2) | instskip(NEXT) | instid1(VALU_DEP_2)
	v_fmac_f32_e32 v179, v2, v9
	v_dual_mul_f32 v2, v2, v10 :: v_dual_fmac_f32 v181, v4, v11
	s_delay_alu instid0(VALU_DEP_1) | instskip(SKIP_1) | instid1(VALU_DEP_1)
	v_fma_f32 v180, v1, v9, -v2
	v_mul_f32_e32 v1, v4, v12
	v_fma_f32 v182, v3, v11, -v1
	s_clause 0x1
	scratch_load_b128 v[1:4], off, off offset:352
	scratch_load_b128 v[9:12], off, off offset:368
	s_wait_loadcnt_dscnt 0x100
	v_mul_f32_e32 v183, v5, v2
	v_mul_f32_e32 v2, v6, v2
	s_delay_alu instid0(VALU_DEP_1) | instskip(SKIP_1) | instid1(VALU_DEP_1)
	v_fma_f32 v184, v5, v1, -v2
	v_add_f32_e32 v2, 0, v139
	v_add_f32_e32 v2, v2, v140
	s_delay_alu instid0(VALU_DEP_1) | instskip(NEXT) | instid1(VALU_DEP_1)
	v_add_f32_e32 v2, v2, v143
	v_add_f32_e32 v2, v2, v144
	s_delay_alu instid0(VALU_DEP_1) | instskip(NEXT) | instid1(VALU_DEP_1)
	;; [unrolled: 3-line block ×4, first 2 shown]
	v_dual_add_f32 v2, v2, v15 :: v_dual_mul_f32 v185, v7, v4
	v_add_f32_e32 v2, v2, v18
	s_delay_alu instid0(VALU_DEP_1) | instskip(SKIP_1) | instid1(VALU_DEP_2)
	v_add_f32_e32 v2, v2, v19
	v_fmac_f32_e32 v183, v6, v1
	v_dual_fmac_f32 v185, v8, v3 :: v_dual_add_f32 v2, v2, v20
	s_delay_alu instid0(VALU_DEP_1) | instskip(NEXT) | instid1(VALU_DEP_1)
	v_dual_mul_f32 v1, v8, v4 :: v_dual_add_f32 v2, v2, v155
	v_fma_f32 v186, v7, v3, -v1
	v_add_f32_e32 v1, 0, v24
	s_delay_alu instid0(VALU_DEP_3) | instskip(NEXT) | instid1(VALU_DEP_2)
	v_add_f32_e32 v5, v2, v156
	v_add_f32_e32 v1, v1, v142
	s_delay_alu instid0(VALU_DEP_1) | instskip(NEXT) | instid1(VALU_DEP_1)
	v_add_f32_e32 v1, v1, v146
	v_add_f32_e32 v1, v1, v147
	s_delay_alu instid0(VALU_DEP_1) | instskip(NEXT) | instid1(VALU_DEP_1)
	v_add_f32_e32 v1, v1, v148
	v_add_f32_e32 v1, v1, v149
	s_delay_alu instid0(VALU_DEP_1) | instskip(SKIP_1) | instid1(VALU_DEP_1)
	v_add_f32_e32 v1, v1, v13
	v_add_f32_e32 v13, v5, v159
	;; [unrolled: 1-line block ×3, first 2 shown]
	s_delay_alu instid0(VALU_DEP_1) | instskip(NEXT) | instid1(VALU_DEP_1)
	v_add_f32_e32 v13, v13, v163
	v_add_f32_e32 v18, v13, v165
	s_delay_alu instid0(VALU_DEP_1) | instskip(NEXT) | instid1(VALU_DEP_1)
	v_dual_add_f32 v18, v18, v167 :: v_dual_add_f32 v1, v1, v14
	v_dual_add_f32 v18, v18, v169 :: v_dual_add_f32 v1, v1, v16
	s_delay_alu instid0(VALU_DEP_1) | instskip(NEXT) | instid1(VALU_DEP_1)
	v_add_f32_e32 v1, v1, v17
	v_add_f32_e32 v1, v1, v152
	s_delay_alu instid0(VALU_DEP_1) | instskip(NEXT) | instid1(VALU_DEP_1)
	v_add_f32_e32 v1, v1, v153
	v_add_f32_e32 v1, v1, v157
	;; [unrolled: 3-line block ×3, first 2 shown]
	scratch_load_b128 v[1:4], off, off offset:384
	v_add_f32_e32 v139, v18, v171
	v_add_f32_e32 v14, v6, v162
	ds_load_b128 v[5:8], v21 offset:832
	v_add_f32_e32 v142, v139, v173
	v_add_f32_e32 v14, v14, v164
	s_delay_alu instid0(VALU_DEP_1)
	v_add_f32_e32 v17, v14, v166
	ds_load_b128 v[13:16], v21 offset:848
	s_wait_loadcnt_dscnt 0x101
	v_mul_f32_e32 v24, v5, v10
	v_mul_f32_e32 v10, v6, v10
	;; [unrolled: 1-line block ×4, first 2 shown]
	v_add_f32_e32 v142, v142, v175
	v_fmac_f32_e32 v24, v6, v9
	v_fma_f32 v149, v5, v9, -v10
	v_fmac_f32_e32 v148, v8, v11
	v_fma_f32 v150, v7, v11, -v12
	scratch_load_b128 v[5:8], off, off offset:400
	v_add_f32_e32 v142, v142, v177
	scratch_load_b128 v[9:12], off, off offset:416
	s_wait_loadcnt_dscnt 0x200
	v_mul_f32_e32 v151, v13, v2
	v_mul_f32_e32 v2, v14, v2
	;; [unrolled: 1-line block ×3, first 2 shown]
	s_delay_alu instid0(VALU_DEP_3) | instskip(NEXT) | instid1(VALU_DEP_3)
	v_dual_mul_f32 v4, v16, v4 :: v_dual_fmac_f32 v151, v14, v1
	v_fma_f32 v153, v13, v1, -v2
	v_add_f32_e32 v13, v142, v179
	s_delay_alu instid0(VALU_DEP_4) | instskip(NEXT) | instid1(VALU_DEP_4)
	v_fmac_f32_e32 v152, v16, v3
	v_fma_f32 v154, v15, v3, -v4
	ds_load_b128 v[1:4], v21 offset:864
	v_add_f32_e32 v142, v13, v181
	v_add_f32_e32 v17, v17, v168
	s_delay_alu instid0(VALU_DEP_2) | instskip(NEXT) | instid1(VALU_DEP_1)
	v_add_f32_e32 v147, v142, v183
	v_dual_add_f32 v156, v147, v185 :: v_dual_add_f32 v17, v17, v170
	s_delay_alu instid0(VALU_DEP_1) | instskip(NEXT) | instid1(VALU_DEP_1)
	v_add_f32_e32 v24, v156, v24
	v_add_f32_e32 v24, v24, v148
	s_delay_alu instid0(VALU_DEP_1) | instskip(NEXT) | instid1(VALU_DEP_1)
	v_dual_add_f32 v17, v17, v172 :: v_dual_add_f32 v24, v24, v151
	v_add_f32_e32 v140, v17, v174
	scratch_load_b128 v[17:20], off, off offset:432
	v_add_f32_e32 v24, v24, v152
	v_add_f32_e32 v143, v140, v176
	scratch_load_b64 v[139:140], off, off offset:448
	v_add_f32_e32 v143, v143, v178
	s_delay_alu instid0(VALU_DEP_1) | instskip(NEXT) | instid1(VALU_DEP_1)
	v_add_f32_e32 v143, v143, v180
	v_add_f32_e32 v14, v143, v182
	ds_load_b128 v[142:145], v21 offset:896
	v_add_f32_e32 v146, v14, v184
	ds_load_b128 v[13:16], v21 offset:880
	s_wait_loadcnt_dscnt 0x302
	v_mul_f32_e32 v148, v3, v8
	v_mul_f32_e32 v8, v4, v8
	s_delay_alu instid0(VALU_DEP_2) | instskip(SKIP_3) | instid1(VALU_DEP_1)
	v_dual_fmac_f32 v148, v4, v7 :: v_dual_add_f32 v155, v146, v186
	ds_load_b64 v[146:147], v21 offset:912
	s_wait_loadcnt_dscnt 0x0
	v_dual_add_f32 v149, v155, v149 :: v_dual_mul_f32 v152, v146, v140
	v_add_f32_e32 v149, v149, v150
	v_mul_f32_e32 v150, v13, v10
	v_mul_f32_e32 v155, v1, v6
	;; [unrolled: 1-line block ×3, first 2 shown]
	v_fmac_f32_e32 v152, v147, v139
	s_delay_alu instid0(VALU_DEP_4) | instskip(NEXT) | instid1(VALU_DEP_4)
	v_fmac_f32_e32 v150, v14, v9
	v_fmac_f32_e32 v155, v2, v5
	s_delay_alu instid0(VALU_DEP_4) | instskip(SKIP_1) | instid1(VALU_DEP_3)
	v_fma_f32 v1, v1, v5, -v6
	v_fma_f32 v2, v3, v7, -v8
	v_dual_mul_f32 v3, v14, v10 :: v_dual_add_f32 v4, v24, v155
	v_add_f32_e32 v149, v149, v153
	s_delay_alu instid0(VALU_DEP_2) | instskip(NEXT) | instid1(VALU_DEP_2)
	v_fma_f32 v3, v13, v9, -v3
	v_dual_add_f32 v149, v149, v154 :: v_dual_mul_f32 v154, v144, v20
	s_delay_alu instid0(VALU_DEP_1) | instskip(NEXT) | instid1(VALU_DEP_2)
	v_dual_mul_f32 v153, v142, v18 :: v_dual_fmac_f32 v154, v145, v19
	v_add_f32_e32 v1, v149, v1
	s_delay_alu instid0(VALU_DEP_2) | instskip(NEXT) | instid1(VALU_DEP_2)
	v_fmac_f32_e32 v153, v143, v17
	v_dual_add_f32 v1, v1, v2 :: v_dual_add_f32 v2, v4, v148
	v_mul_f32_e32 v151, v15, v12
	v_mul_f32_e32 v4, v143, v18
	s_delay_alu instid0(VALU_DEP_2) | instskip(NEXT) | instid1(VALU_DEP_2)
	v_dual_add_f32 v2, v2, v150 :: v_dual_fmac_f32 v151, v16, v11
	v_fma_f32 v4, v142, v17, -v4
	s_delay_alu instid0(VALU_DEP_2) | instskip(NEXT) | instid1(VALU_DEP_1)
	v_dual_add_f32 v2, v2, v151 :: v_dual_mul_f32 v5, v16, v12
	v_add_f32_e32 v2, v2, v153
	s_delay_alu instid0(VALU_DEP_2) | instskip(NEXT) | instid1(VALU_DEP_2)
	v_fma_f32 v5, v15, v11, -v5
	v_add_f32_e32 v2, v2, v154
	s_delay_alu instid0(VALU_DEP_1) | instskip(NEXT) | instid1(VALU_DEP_1)
	v_dual_add_f32 v2, v2, v152 :: v_dual_add_f32 v1, v1, v3
	v_dual_mul_f32 v3, v145, v20 :: v_dual_sub_f32 v2, v23, v2
	s_delay_alu instid0(VALU_DEP_2) | instskip(SKIP_1) | instid1(VALU_DEP_3)
	v_add_f32_e32 v1, v1, v5
	v_mul_f32_e32 v5, v147, v140
	v_fma_f32 v3, v144, v19, -v3
	s_delay_alu instid0(VALU_DEP_3) | instskip(NEXT) | instid1(VALU_DEP_3)
	v_add_f32_e32 v1, v1, v4
	v_fma_f32 v4, v146, v139, -v5
	s_delay_alu instid0(VALU_DEP_2) | instskip(NEXT) | instid1(VALU_DEP_1)
	v_add_f32_e32 v1, v1, v3
	v_add_f32_e32 v1, v1, v4
	s_delay_alu instid0(VALU_DEP_1)
	v_sub_f32_e32 v1, v22, v1
	scratch_store_b64 off, v[1:2], off offset:136
	v_cmpx_lt_u32_e32 16, v0
	s_cbranch_execz .LBB120_323
; %bb.322:
	scratch_load_b64 v[1:2], off, off offset:128
	v_mov_b32_e32 v22, v21
	scratch_store_b64 off, v[21:22], off offset:128
	s_wait_loadcnt 0x0
	ds_store_b64 v141, v[1:2]
.LBB120_323:
	s_wait_alu 0xfffe
	s_or_b32 exec_lo, exec_lo, s0
	s_wait_storecnt_dscnt 0x0
	s_barrier_signal -1
	s_barrier_wait -1
	global_inv scope:SCOPE_SE
	s_clause 0x4
	scratch_load_b128 v[5:8], off, off offset:136
	scratch_load_b128 v[1:4], off, off offset:152
	;; [unrolled: 1-line block ×5, first 2 shown]
	ds_load_2addr_b64 v[142:145], v21 offset0:75 offset1:76
	ds_load_2addr_b64 v[146:149], v21 offset0:77 offset1:78
	;; [unrolled: 1-line block ×3, first 2 shown]
	scratch_load_b64 v[139:140], off, off offset:128
	s_mov_b32 s0, exec_lo
	s_wait_loadcnt_dscnt 0x502
	v_mul_f32_e32 v22, v143, v6
	v_dual_mul_f32 v23, v142, v6 :: v_dual_mul_f32 v24, v144, v8
	v_mul_f32_e32 v6, v145, v8
	s_delay_alu instid0(VALU_DEP_3) | instskip(NEXT) | instid1(VALU_DEP_3)
	v_fma_f32 v22, v142, v5, -v22
	v_dual_fmac_f32 v23, v143, v5 :: v_dual_fmac_f32 v24, v145, v7
	s_wait_loadcnt_dscnt 0x401
	v_mul_f32_e32 v143, v146, v2
	v_fma_f32 v142, v144, v7, -v6
	ds_load_2addr_b64 v[5:8], v21 offset0:81 offset1:82
	s_wait_loadcnt_dscnt 0x301
	v_dual_mul_f32 v144, v148, v4 :: v_dual_mul_f32 v145, v150, v10
	v_dual_mul_f32 v4, v149, v4 :: v_dual_fmac_f32 v143, v147, v1
	v_mul_f32_e32 v10, v151, v10
	s_delay_alu instid0(VALU_DEP_3)
	v_dual_mul_f32 v154, v152, v12 :: v_dual_fmac_f32 v145, v151, v9
	v_mul_f32_e32 v12, v153, v12
	v_mul_f32_e32 v2, v147, v2
	v_fmac_f32_e32 v144, v149, v3
	v_fma_f32 v147, v148, v3, -v4
	v_fma_f32 v148, v150, v9, -v10
	v_fmac_f32_e32 v154, v153, v11
	v_fma_f32 v149, v152, v11, -v12
	ds_load_2addr_b64 v[9:12], v21 offset0:83 offset1:84
	s_wait_loadcnt_dscnt 0x201
	v_mul_f32_e32 v150, v5, v14
	v_dual_mul_f32 v14, v6, v14 :: v_dual_mul_f32 v151, v7, v16
	v_mul_f32_e32 v16, v8, v16
	s_delay_alu instid0(VALU_DEP_3) | instskip(NEXT) | instid1(VALU_DEP_3)
	v_fmac_f32_e32 v150, v6, v13
	v_fma_f32 v13, v5, v13, -v14
	s_delay_alu instid0(VALU_DEP_4) | instskip(NEXT) | instid1(VALU_DEP_4)
	v_fmac_f32_e32 v151, v8, v15
	v_fma_f32 v14, v7, v15, -v16
	ds_load_2addr_b64 v[5:8], v21 offset0:85 offset1:86
	s_wait_loadcnt_dscnt 0x101
	v_mul_f32_e32 v15, v9, v18
	v_mul_f32_e32 v16, v10, v18
	;; [unrolled: 1-line block ×3, first 2 shown]
	s_delay_alu instid0(VALU_DEP_3)
	v_dual_mul_f32 v20, v12, v20 :: v_dual_fmac_f32 v15, v10, v17
	v_fma_f32 v146, v146, v1, -v2
	scratch_load_b128 v[1:4], off, off offset:216
	v_fma_f32 v16, v9, v17, -v16
	v_fmac_f32_e32 v18, v12, v19
	v_fma_f32 v17, v11, v19, -v20
	scratch_load_b128 v[9:12], off, off offset:232
	s_wait_loadcnt_dscnt 0x100
	v_mul_f32_e32 v19, v5, v2
	v_mul_f32_e32 v2, v6, v2
	;; [unrolled: 1-line block ×3, first 2 shown]
	s_delay_alu instid0(VALU_DEP_3) | instskip(NEXT) | instid1(VALU_DEP_3)
	v_dual_mul_f32 v4, v8, v4 :: v_dual_fmac_f32 v19, v6, v1
	v_fma_f32 v152, v5, v1, -v2
	s_delay_alu instid0(VALU_DEP_3) | instskip(NEXT) | instid1(VALU_DEP_3)
	v_fmac_f32_e32 v20, v8, v3
	v_fma_f32 v153, v7, v3, -v4
	ds_load_2addr_b64 v[1:4], v21 offset0:87 offset1:88
	ds_load_2addr_b64 v[5:8], v21 offset0:89 offset1:90
	s_wait_loadcnt_dscnt 0x1
	v_mul_f32_e32 v155, v1, v10
	v_mul_f32_e32 v10, v2, v10
	s_delay_alu instid0(VALU_DEP_2) | instskip(NEXT) | instid1(VALU_DEP_2)
	v_dual_mul_f32 v156, v3, v12 :: v_dual_fmac_f32 v155, v2, v9
	v_fma_f32 v157, v1, v9, -v10
	v_mul_f32_e32 v1, v4, v12
	s_delay_alu instid0(VALU_DEP_3) | instskip(NEXT) | instid1(VALU_DEP_2)
	v_fmac_f32_e32 v156, v4, v11
	v_fma_f32 v158, v3, v11, -v1
	s_clause 0x1
	scratch_load_b128 v[1:4], off, off offset:248
	scratch_load_b128 v[9:12], off, off offset:264
	s_wait_loadcnt_dscnt 0x100
	v_mul_f32_e32 v159, v5, v2
	v_dual_mul_f32 v2, v6, v2 :: v_dual_mul_f32 v161, v7, v4
	s_delay_alu instid0(VALU_DEP_2) | instskip(NEXT) | instid1(VALU_DEP_2)
	v_fmac_f32_e32 v159, v6, v1
	v_fma_f32 v160, v5, v1, -v2
	v_mul_f32_e32 v1, v8, v4
	s_delay_alu instid0(VALU_DEP_4) | instskip(NEXT) | instid1(VALU_DEP_2)
	v_fmac_f32_e32 v161, v8, v3
	v_fma_f32 v162, v7, v3, -v1
	ds_load_2addr_b64 v[1:4], v21 offset0:91 offset1:92
	ds_load_2addr_b64 v[5:8], v21 offset0:93 offset1:94
	s_wait_loadcnt_dscnt 0x1
	v_mul_f32_e32 v163, v1, v10
	v_mul_f32_e32 v165, v3, v12
	s_delay_alu instid0(VALU_DEP_2) | instskip(NEXT) | instid1(VALU_DEP_2)
	v_fmac_f32_e32 v163, v2, v9
	v_dual_mul_f32 v2, v2, v10 :: v_dual_fmac_f32 v165, v4, v11
	s_delay_alu instid0(VALU_DEP_1) | instskip(SKIP_1) | instid1(VALU_DEP_1)
	v_fma_f32 v164, v1, v9, -v2
	v_mul_f32_e32 v1, v4, v12
	v_fma_f32 v166, v3, v11, -v1
	s_clause 0x1
	scratch_load_b128 v[1:4], off, off offset:280
	scratch_load_b128 v[9:12], off, off offset:296
	s_wait_loadcnt_dscnt 0x100
	v_mul_f32_e32 v167, v5, v2
	v_dual_mul_f32 v2, v6, v2 :: v_dual_mul_f32 v169, v7, v4
	s_delay_alu instid0(VALU_DEP_2) | instskip(NEXT) | instid1(VALU_DEP_2)
	v_fmac_f32_e32 v167, v6, v1
	v_fma_f32 v168, v5, v1, -v2
	v_mul_f32_e32 v1, v8, v4
	s_delay_alu instid0(VALU_DEP_4) | instskip(NEXT) | instid1(VALU_DEP_2)
	v_fmac_f32_e32 v169, v8, v3
	v_fma_f32 v170, v7, v3, -v1
	ds_load_2addr_b64 v[1:4], v21 offset0:95 offset1:96
	ds_load_2addr_b64 v[5:8], v21 offset0:97 offset1:98
	s_wait_loadcnt_dscnt 0x1
	v_mul_f32_e32 v171, v1, v10
	v_mul_f32_e32 v173, v3, v12
	s_delay_alu instid0(VALU_DEP_2) | instskip(NEXT) | instid1(VALU_DEP_2)
	v_fmac_f32_e32 v171, v2, v9
	v_dual_mul_f32 v2, v2, v10 :: v_dual_fmac_f32 v173, v4, v11
	s_delay_alu instid0(VALU_DEP_1) | instskip(SKIP_1) | instid1(VALU_DEP_1)
	v_fma_f32 v172, v1, v9, -v2
	v_mul_f32_e32 v1, v4, v12
	;; [unrolled: 25-line block ×4, first 2 shown]
	v_fma_f32 v190, v3, v11, -v1
	s_clause 0x1
	scratch_load_b128 v[1:4], off, off offset:376
	scratch_load_b128 v[9:12], off, off offset:392
	s_wait_loadcnt_dscnt 0x100
	v_mul_f32_e32 v191, v5, v2
	v_mul_f32_e32 v2, v6, v2
	s_delay_alu instid0(VALU_DEP_1) | instskip(SKIP_1) | instid1(VALU_DEP_1)
	v_fma_f32 v192, v5, v1, -v2
	v_add_f32_e32 v2, 0, v23
	v_add_f32_e32 v2, v2, v24
	s_delay_alu instid0(VALU_DEP_1) | instskip(NEXT) | instid1(VALU_DEP_1)
	v_add_f32_e32 v2, v2, v143
	v_add_f32_e32 v2, v2, v144
	s_delay_alu instid0(VALU_DEP_1) | instskip(NEXT) | instid1(VALU_DEP_1)
	v_add_f32_e32 v2, v2, v145
	v_add_f32_e32 v2, v2, v154
	s_delay_alu instid0(VALU_DEP_1) | instskip(NEXT) | instid1(VALU_DEP_1)
	v_add_f32_e32 v2, v2, v150
	v_add_f32_e32 v2, v2, v151
	s_delay_alu instid0(VALU_DEP_1) | instskip(NEXT) | instid1(VALU_DEP_1)
	v_add_f32_e32 v2, v2, v15
	v_add_f32_e32 v2, v2, v18
	s_delay_alu instid0(VALU_DEP_1) | instskip(NEXT) | instid1(VALU_DEP_1)
	v_add_f32_e32 v2, v2, v19
	v_add_f32_e32 v2, v2, v20
	s_delay_alu instid0(VALU_DEP_1) | instskip(NEXT) | instid1(VALU_DEP_1)
	v_add_f32_e32 v2, v2, v155
	v_add_f32_e32 v2, v2, v156
	v_fmac_f32_e32 v191, v6, v1
	s_delay_alu instid0(VALU_DEP_2) | instskip(NEXT) | instid1(VALU_DEP_1)
	v_dual_add_f32 v2, v2, v159 :: v_dual_mul_f32 v193, v7, v4
	v_add_f32_e32 v2, v2, v161
	s_delay_alu instid0(VALU_DEP_1) | instskip(NEXT) | instid1(VALU_DEP_1)
	v_add_f32_e32 v5, v2, v163
	v_add_f32_e32 v5, v5, v165
	s_delay_alu instid0(VALU_DEP_1) | instskip(SKIP_1) | instid1(VALU_DEP_1)
	v_add_f32_e32 v5, v5, v167
	v_mul_f32_e32 v1, v8, v4
	v_fma_f32 v194, v7, v3, -v1
	v_add_f32_e32 v1, 0, v22
	s_delay_alu instid0(VALU_DEP_1) | instskip(NEXT) | instid1(VALU_DEP_1)
	v_add_f32_e32 v1, v1, v142
	v_add_f32_e32 v1, v1, v146
	s_delay_alu instid0(VALU_DEP_1) | instskip(NEXT) | instid1(VALU_DEP_1)
	v_add_f32_e32 v1, v1, v147
	;; [unrolled: 3-line block ×3, first 2 shown]
	v_add_f32_e32 v1, v1, v13
	s_delay_alu instid0(VALU_DEP_1) | instskip(SKIP_1) | instid1(VALU_DEP_2)
	v_add_f32_e32 v1, v1, v14
	v_add_f32_e32 v14, v5, v169
	;; [unrolled: 1-line block ×3, first 2 shown]
	s_delay_alu instid0(VALU_DEP_1) | instskip(NEXT) | instid1(VALU_DEP_1)
	v_add_f32_e32 v1, v1, v17
	v_add_f32_e32 v1, v1, v152
	s_delay_alu instid0(VALU_DEP_1) | instskip(NEXT) | instid1(VALU_DEP_1)
	v_add_f32_e32 v1, v1, v153
	v_add_f32_e32 v1, v1, v157
	s_delay_alu instid0(VALU_DEP_1) | instskip(NEXT) | instid1(VALU_DEP_1)
	v_add_f32_e32 v1, v1, v158
	v_add_f32_e32 v1, v1, v160
	s_delay_alu instid0(VALU_DEP_1) | instskip(NEXT) | instid1(VALU_DEP_1)
	v_add_f32_e32 v1, v1, v162
	v_add_f32_e32 v1, v1, v164
	s_delay_alu instid0(VALU_DEP_1) | instskip(SKIP_3) | instid1(VALU_DEP_2)
	v_dual_add_f32 v6, v1, v166 :: v_dual_fmac_f32 v193, v8, v3
	ds_load_2addr_b64 v[1:4], v21 offset0:107 offset1:108
	v_add_f32_e32 v14, v14, v171
	v_add_f32_e32 v6, v6, v168
	;; [unrolled: 1-line block ×3, first 2 shown]
	s_delay_alu instid0(VALU_DEP_2)
	v_add_f32_e32 v13, v6, v170
	ds_load_2addr_b64 v[5:8], v21 offset0:109 offset1:110
	s_wait_loadcnt_dscnt 0x1
	v_dual_mul_f32 v142, v1, v10 :: v_dual_mul_f32 v143, v3, v12
	v_mul_f32_e32 v10, v2, v10
	v_dual_mul_f32 v12, v4, v12 :: v_dual_add_f32 v17, v14, v175
	s_delay_alu instid0(VALU_DEP_3) | instskip(NEXT) | instid1(VALU_DEP_3)
	v_dual_fmac_f32 v142, v2, v9 :: v_dual_fmac_f32 v143, v4, v11
	v_fma_f32 v144, v1, v9, -v10
	s_delay_alu instid0(VALU_DEP_3) | instskip(SKIP_4) | instid1(VALU_DEP_1)
	v_fma_f32 v145, v3, v11, -v12
	s_clause 0x1
	scratch_load_b128 v[1:4], off, off offset:408
	scratch_load_b128 v[9:12], off, off offset:424
	v_add_f32_e32 v13, v13, v172
	v_add_f32_e32 v13, v13, v174
	s_delay_alu instid0(VALU_DEP_1) | instskip(NEXT) | instid1(VALU_DEP_1)
	v_add_f32_e32 v13, v13, v176
	v_add_f32_e32 v18, v13, v178
	scratch_load_b128 v[13:16], off, off offset:440
	v_dual_add_f32 v17, v17, v177 :: v_dual_add_f32 v18, v18, v180
	s_delay_alu instid0(VALU_DEP_1) | instskip(NEXT) | instid1(VALU_DEP_1)
	v_dual_add_f32 v17, v17, v179 :: v_dual_add_f32 v18, v18, v182
	v_dual_add_f32 v17, v17, v181 :: v_dual_add_f32 v22, v18, v184
	s_delay_alu instid0(VALU_DEP_1) | instskip(SKIP_4) | instid1(VALU_DEP_1)
	v_add_f32_e32 v23, v17, v183
	ds_load_2addr_b64 v[17:20], v21 offset0:111 offset1:112
	v_dual_add_f32 v146, v22, v186 :: v_dual_add_f32 v147, v23, v185
	ds_load_2addr_b64 v[21:24], v21 offset0:113 offset1:114
	v_add_f32_e32 v146, v146, v188
	v_add_f32_e32 v146, v146, v190
	s_delay_alu instid0(VALU_DEP_1) | instskip(NEXT) | instid1(VALU_DEP_1)
	v_add_f32_e32 v146, v146, v192
	v_add_f32_e32 v146, v146, v194
	s_delay_alu instid0(VALU_DEP_1)
	v_add_f32_e32 v144, v146, v144
	s_wait_loadcnt_dscnt 0x202
	v_dual_mul_f32 v148, v5, v2 :: v_dual_add_f32 v147, v147, v187
	s_wait_loadcnt_dscnt 0x101
	v_mul_f32_e32 v150, v17, v10
	v_dual_mul_f32 v2, v6, v2 :: v_dual_mul_f32 v149, v7, v4
	s_delay_alu instid0(VALU_DEP_3) | instskip(SKIP_1) | instid1(VALU_DEP_3)
	v_dual_mul_f32 v4, v8, v4 :: v_dual_add_f32 v147, v147, v189
	v_fmac_f32_e32 v148, v6, v1
	v_fma_f32 v2, v5, v1, -v2
	v_dual_add_f32 v1, v144, v145 :: v_dual_mul_f32 v6, v18, v10
	s_delay_alu instid0(VALU_DEP_4) | instskip(SKIP_2) | instid1(VALU_DEP_4)
	v_add_f32_e32 v147, v147, v191
	v_fmac_f32_e32 v149, v8, v3
	v_fma_f32 v3, v7, v3, -v4
	v_add_f32_e32 v1, v1, v2
	v_mul_f32_e32 v151, v19, v12
	v_dual_add_f32 v147, v147, v193 :: v_dual_mul_f32 v4, v20, v12
	s_delay_alu instid0(VALU_DEP_3) | instskip(SKIP_2) | instid1(VALU_DEP_3)
	v_dual_fmac_f32 v150, v18, v9 :: v_dual_add_f32 v1, v1, v3
	s_wait_loadcnt_dscnt 0x0
	v_mul_f32_e32 v152, v21, v14
	v_add_f32_e32 v142, v147, v142
	v_mul_f32_e32 v3, v22, v14
	v_fmac_f32_e32 v151, v20, v11
	v_fma_f32 v4, v19, v11, -v4
	s_delay_alu instid0(VALU_DEP_4) | instskip(SKIP_2) | instid1(VALU_DEP_3)
	v_dual_mul_f32 v146, v23, v16 :: v_dual_add_f32 v5, v142, v143
	v_fmac_f32_e32 v152, v22, v13
	v_fma_f32 v3, v21, v13, -v3
	v_fmac_f32_e32 v146, v24, v15
	s_delay_alu instid0(VALU_DEP_4) | instskip(SKIP_1) | instid1(VALU_DEP_2)
	v_add_f32_e32 v2, v5, v148
	v_fma_f32 v5, v17, v9, -v6
	v_add_f32_e32 v2, v2, v149
	s_delay_alu instid0(VALU_DEP_2) | instskip(NEXT) | instid1(VALU_DEP_2)
	v_add_f32_e32 v1, v1, v5
	v_dual_mul_f32 v5, v24, v16 :: v_dual_add_f32 v2, v2, v150
	s_delay_alu instid0(VALU_DEP_2) | instskip(NEXT) | instid1(VALU_DEP_2)
	v_add_f32_e32 v1, v1, v4
	v_fma_f32 v4, v23, v15, -v5
	s_delay_alu instid0(VALU_DEP_3) | instskip(NEXT) | instid1(VALU_DEP_1)
	v_add_f32_e32 v2, v2, v151
	v_dual_add_f32 v1, v1, v3 :: v_dual_add_f32 v2, v2, v152
	s_delay_alu instid0(VALU_DEP_1) | instskip(NEXT) | instid1(VALU_DEP_1)
	v_dual_add_f32 v1, v1, v4 :: v_dual_add_f32 v2, v2, v146
	v_dual_sub_f32 v1, v139, v1 :: v_dual_sub_f32 v2, v140, v2
	scratch_store_b64 off, v[1:2], off offset:128
	v_cmpx_lt_u32_e32 15, v0
	s_cbranch_execz .LBB120_325
; %bb.324:
	scratch_load_b64 v[1:2], off, off offset:120
	v_mov_b32_e32 v3, 0
	s_delay_alu instid0(VALU_DEP_1)
	v_mov_b32_e32 v4, v3
	scratch_store_b64 off, v[3:4], off offset:120
	s_wait_loadcnt 0x0
	ds_store_b64 v141, v[1:2]
.LBB120_325:
	s_wait_alu 0xfffe
	s_or_b32 exec_lo, exec_lo, s0
	s_wait_storecnt_dscnt 0x0
	s_barrier_signal -1
	s_barrier_wait -1
	global_inv scope:SCOPE_SE
	s_clause 0x4
	scratch_load_b128 v[5:8], off, off offset:128
	scratch_load_b128 v[1:4], off, off offset:144
	;; [unrolled: 1-line block ×5, first 2 shown]
	v_mov_b32_e32 v21, 0
	ds_load_b128 v[142:145], v21 offset:592
	ds_load_b128 v[146:149], v21 offset:608
	ds_load_b128 v[150:153], v21 offset:624
	scratch_load_b64 v[22:23], off, off offset:120
	s_mov_b32 s0, exec_lo
	s_wait_loadcnt_dscnt 0x502
	v_mul_f32_e32 v24, v143, v6
	v_dual_mul_f32 v139, v142, v6 :: v_dual_mul_f32 v140, v144, v8
	v_mul_f32_e32 v6, v145, v8
	s_delay_alu instid0(VALU_DEP_3) | instskip(NEXT) | instid1(VALU_DEP_3)
	v_fma_f32 v24, v142, v5, -v24
	v_dual_fmac_f32 v139, v143, v5 :: v_dual_fmac_f32 v140, v145, v7
	s_wait_loadcnt_dscnt 0x401
	v_mul_f32_e32 v143, v146, v2
	v_fma_f32 v142, v144, v7, -v6
	ds_load_b128 v[5:8], v21 offset:640
	s_wait_loadcnt_dscnt 0x301
	v_dual_mul_f32 v144, v148, v4 :: v_dual_mul_f32 v145, v150, v10
	v_dual_mul_f32 v4, v149, v4 :: v_dual_fmac_f32 v143, v147, v1
	v_mul_f32_e32 v10, v151, v10
	s_delay_alu instid0(VALU_DEP_3)
	v_dual_mul_f32 v154, v152, v12 :: v_dual_fmac_f32 v145, v151, v9
	v_mul_f32_e32 v12, v153, v12
	v_mul_f32_e32 v2, v147, v2
	v_fmac_f32_e32 v144, v149, v3
	v_fma_f32 v147, v148, v3, -v4
	v_fma_f32 v148, v150, v9, -v10
	v_fmac_f32_e32 v154, v153, v11
	v_fma_f32 v149, v152, v11, -v12
	ds_load_b128 v[9:12], v21 offset:656
	s_wait_loadcnt_dscnt 0x201
	v_dual_mul_f32 v151, v7, v16 :: v_dual_mul_f32 v150, v5, v14
	v_mul_f32_e32 v14, v6, v14
	v_mul_f32_e32 v16, v8, v16
	s_delay_alu instid0(VALU_DEP_3)
	v_fmac_f32_e32 v151, v8, v15
	v_fma_f32 v146, v146, v1, -v2
	scratch_load_b128 v[1:4], off, off offset:208
	v_fmac_f32_e32 v150, v6, v13
	v_fma_f32 v13, v5, v13, -v14
	v_fma_f32 v14, v7, v15, -v16
	ds_load_b128 v[5:8], v21 offset:672
	s_wait_loadcnt_dscnt 0x201
	v_mul_f32_e32 v15, v9, v18
	v_mul_f32_e32 v16, v10, v18
	;; [unrolled: 1-line block ×3, first 2 shown]
	s_delay_alu instid0(VALU_DEP_3) | instskip(NEXT) | instid1(VALU_DEP_3)
	v_dual_mul_f32 v20, v12, v20 :: v_dual_fmac_f32 v15, v10, v17
	v_fma_f32 v16, v9, v17, -v16
	s_delay_alu instid0(VALU_DEP_3) | instskip(NEXT) | instid1(VALU_DEP_3)
	v_fmac_f32_e32 v18, v12, v19
	v_fma_f32 v17, v11, v19, -v20
	scratch_load_b128 v[9:12], off, off offset:224
	s_wait_loadcnt_dscnt 0x100
	v_mul_f32_e32 v19, v5, v2
	v_mul_f32_e32 v2, v6, v2
	;; [unrolled: 1-line block ×3, first 2 shown]
	s_delay_alu instid0(VALU_DEP_3) | instskip(NEXT) | instid1(VALU_DEP_3)
	v_dual_mul_f32 v4, v8, v4 :: v_dual_fmac_f32 v19, v6, v1
	v_fma_f32 v152, v5, v1, -v2
	s_delay_alu instid0(VALU_DEP_3) | instskip(NEXT) | instid1(VALU_DEP_3)
	v_fmac_f32_e32 v20, v8, v3
	v_fma_f32 v153, v7, v3, -v4
	ds_load_b128 v[1:4], v21 offset:688
	ds_load_b128 v[5:8], v21 offset:704
	s_wait_loadcnt_dscnt 0x1
	v_mul_f32_e32 v155, v1, v10
	v_mul_f32_e32 v10, v2, v10
	s_delay_alu instid0(VALU_DEP_2) | instskip(NEXT) | instid1(VALU_DEP_2)
	v_dual_mul_f32 v156, v3, v12 :: v_dual_fmac_f32 v155, v2, v9
	v_fma_f32 v157, v1, v9, -v10
	v_mul_f32_e32 v1, v4, v12
	s_delay_alu instid0(VALU_DEP_3) | instskip(NEXT) | instid1(VALU_DEP_2)
	v_fmac_f32_e32 v156, v4, v11
	v_fma_f32 v158, v3, v11, -v1
	s_clause 0x1
	scratch_load_b128 v[1:4], off, off offset:240
	scratch_load_b128 v[9:12], off, off offset:256
	s_wait_loadcnt_dscnt 0x100
	v_mul_f32_e32 v159, v5, v2
	v_dual_mul_f32 v2, v6, v2 :: v_dual_mul_f32 v161, v7, v4
	s_delay_alu instid0(VALU_DEP_2) | instskip(NEXT) | instid1(VALU_DEP_2)
	v_fmac_f32_e32 v159, v6, v1
	v_fma_f32 v160, v5, v1, -v2
	v_mul_f32_e32 v1, v8, v4
	s_delay_alu instid0(VALU_DEP_4) | instskip(NEXT) | instid1(VALU_DEP_2)
	v_fmac_f32_e32 v161, v8, v3
	v_fma_f32 v162, v7, v3, -v1
	ds_load_b128 v[1:4], v21 offset:720
	ds_load_b128 v[5:8], v21 offset:736
	s_wait_loadcnt_dscnt 0x1
	v_mul_f32_e32 v163, v1, v10
	v_mul_f32_e32 v165, v3, v12
	s_delay_alu instid0(VALU_DEP_2) | instskip(NEXT) | instid1(VALU_DEP_2)
	v_fmac_f32_e32 v163, v2, v9
	v_dual_mul_f32 v2, v2, v10 :: v_dual_fmac_f32 v165, v4, v11
	s_delay_alu instid0(VALU_DEP_1) | instskip(SKIP_1) | instid1(VALU_DEP_1)
	v_fma_f32 v164, v1, v9, -v2
	v_mul_f32_e32 v1, v4, v12
	v_fma_f32 v166, v3, v11, -v1
	s_clause 0x1
	scratch_load_b128 v[1:4], off, off offset:272
	scratch_load_b128 v[9:12], off, off offset:288
	s_wait_loadcnt_dscnt 0x100
	v_mul_f32_e32 v167, v5, v2
	v_dual_mul_f32 v169, v7, v4 :: v_dual_mul_f32 v2, v6, v2
	s_delay_alu instid0(VALU_DEP_2) | instskip(NEXT) | instid1(VALU_DEP_2)
	v_fmac_f32_e32 v167, v6, v1
	v_fmac_f32_e32 v169, v8, v3
	s_delay_alu instid0(VALU_DEP_3) | instskip(SKIP_1) | instid1(VALU_DEP_1)
	v_fma_f32 v168, v5, v1, -v2
	v_mul_f32_e32 v1, v8, v4
	v_fma_f32 v170, v7, v3, -v1
	ds_load_b128 v[1:4], v21 offset:752
	ds_load_b128 v[5:8], v21 offset:768
	s_wait_loadcnt_dscnt 0x1
	v_mul_f32_e32 v171, v1, v10
	v_mul_f32_e32 v173, v3, v12
	s_delay_alu instid0(VALU_DEP_2) | instskip(NEXT) | instid1(VALU_DEP_2)
	v_fmac_f32_e32 v171, v2, v9
	v_dual_mul_f32 v2, v2, v10 :: v_dual_fmac_f32 v173, v4, v11
	s_delay_alu instid0(VALU_DEP_1) | instskip(SKIP_1) | instid1(VALU_DEP_1)
	v_fma_f32 v172, v1, v9, -v2
	v_mul_f32_e32 v1, v4, v12
	v_fma_f32 v174, v3, v11, -v1
	s_clause 0x1
	scratch_load_b128 v[1:4], off, off offset:304
	scratch_load_b128 v[9:12], off, off offset:320
	s_wait_loadcnt_dscnt 0x100
	v_mul_f32_e32 v175, v5, v2
	v_dual_mul_f32 v2, v6, v2 :: v_dual_mul_f32 v177, v7, v4
	s_delay_alu instid0(VALU_DEP_2) | instskip(NEXT) | instid1(VALU_DEP_2)
	v_fmac_f32_e32 v175, v6, v1
	v_fma_f32 v176, v5, v1, -v2
	v_mul_f32_e32 v1, v8, v4
	s_delay_alu instid0(VALU_DEP_4) | instskip(NEXT) | instid1(VALU_DEP_2)
	v_fmac_f32_e32 v177, v8, v3
	v_fma_f32 v178, v7, v3, -v1
	ds_load_b128 v[1:4], v21 offset:784
	ds_load_b128 v[5:8], v21 offset:800
	s_wait_loadcnt_dscnt 0x1
	v_mul_f32_e32 v179, v1, v10
	v_mul_f32_e32 v181, v3, v12
	s_delay_alu instid0(VALU_DEP_2) | instskip(NEXT) | instid1(VALU_DEP_2)
	v_fmac_f32_e32 v179, v2, v9
	v_dual_mul_f32 v2, v2, v10 :: v_dual_fmac_f32 v181, v4, v11
	s_delay_alu instid0(VALU_DEP_1) | instskip(SKIP_1) | instid1(VALU_DEP_1)
	v_fma_f32 v180, v1, v9, -v2
	v_mul_f32_e32 v1, v4, v12
	v_fma_f32 v182, v3, v11, -v1
	s_clause 0x1
	scratch_load_b128 v[1:4], off, off offset:336
	scratch_load_b128 v[9:12], off, off offset:352
	s_wait_loadcnt_dscnt 0x100
	v_mul_f32_e32 v183, v5, v2
	v_dual_mul_f32 v2, v6, v2 :: v_dual_mul_f32 v185, v7, v4
	s_delay_alu instid0(VALU_DEP_2) | instskip(NEXT) | instid1(VALU_DEP_2)
	v_fmac_f32_e32 v183, v6, v1
	v_fma_f32 v184, v5, v1, -v2
	v_mul_f32_e32 v1, v8, v4
	s_delay_alu instid0(VALU_DEP_4) | instskip(NEXT) | instid1(VALU_DEP_2)
	v_fmac_f32_e32 v185, v8, v3
	v_fma_f32 v186, v7, v3, -v1
	ds_load_b128 v[1:4], v21 offset:816
	ds_load_b128 v[5:8], v21 offset:832
	s_wait_loadcnt_dscnt 0x1
	v_mul_f32_e32 v187, v1, v10
	v_mul_f32_e32 v189, v3, v12
	s_delay_alu instid0(VALU_DEP_2) | instskip(NEXT) | instid1(VALU_DEP_2)
	v_fmac_f32_e32 v187, v2, v9
	v_dual_mul_f32 v2, v2, v10 :: v_dual_fmac_f32 v189, v4, v11
	s_delay_alu instid0(VALU_DEP_1) | instskip(SKIP_1) | instid1(VALU_DEP_1)
	v_fma_f32 v188, v1, v9, -v2
	v_mul_f32_e32 v1, v4, v12
	v_fma_f32 v190, v3, v11, -v1
	s_clause 0x1
	scratch_load_b128 v[1:4], off, off offset:368
	scratch_load_b128 v[9:12], off, off offset:384
	s_wait_loadcnt_dscnt 0x100
	v_mul_f32_e32 v191, v5, v2
	v_mul_f32_e32 v2, v6, v2
	s_delay_alu instid0(VALU_DEP_1) | instskip(SKIP_1) | instid1(VALU_DEP_1)
	v_fma_f32 v192, v5, v1, -v2
	v_add_f32_e32 v2, 0, v139
	v_add_f32_e32 v2, v2, v140
	scratch_load_b64 v[139:140], off, off offset:448
	v_add_f32_e32 v2, v2, v143
	s_delay_alu instid0(VALU_DEP_1) | instskip(NEXT) | instid1(VALU_DEP_1)
	v_add_f32_e32 v2, v2, v144
	v_add_f32_e32 v2, v2, v145
	s_delay_alu instid0(VALU_DEP_1) | instskip(NEXT) | instid1(VALU_DEP_1)
	v_add_f32_e32 v2, v2, v154
	;; [unrolled: 3-line block ×6, first 2 shown]
	v_add_f32_e32 v2, v2, v159
	s_delay_alu instid0(VALU_DEP_1) | instskip(SKIP_2) | instid1(VALU_DEP_3)
	v_add_f32_e32 v2, v2, v161
	v_fmac_f32_e32 v191, v6, v1
	v_mul_f32_e32 v1, v8, v4
	v_add_f32_e32 v5, v2, v163
	s_delay_alu instid0(VALU_DEP_2) | instskip(SKIP_1) | instid1(VALU_DEP_3)
	v_fma_f32 v194, v7, v3, -v1
	v_add_f32_e32 v1, 0, v24
	v_add_f32_e32 v5, v5, v165
	s_delay_alu instid0(VALU_DEP_2) | instskip(NEXT) | instid1(VALU_DEP_2)
	v_add_f32_e32 v1, v1, v142
	v_add_f32_e32 v5, v5, v167
	v_mul_f32_e32 v193, v7, v4
	s_delay_alu instid0(VALU_DEP_3) | instskip(NEXT) | instid1(VALU_DEP_1)
	v_add_f32_e32 v1, v1, v146
	v_add_f32_e32 v1, v1, v147
	s_delay_alu instid0(VALU_DEP_1) | instskip(NEXT) | instid1(VALU_DEP_1)
	v_add_f32_e32 v1, v1, v148
	v_add_f32_e32 v1, v1, v149
	s_delay_alu instid0(VALU_DEP_1) | instskip(NEXT) | instid1(VALU_DEP_1)
	v_add_f32_e32 v1, v1, v13
	v_add_f32_e32 v1, v1, v14
	;; [unrolled: 1-line block ×3, first 2 shown]
	s_delay_alu instid0(VALU_DEP_2) | instskip(NEXT) | instid1(VALU_DEP_1)
	v_add_f32_e32 v1, v1, v16
	v_add_f32_e32 v1, v1, v17
	s_delay_alu instid0(VALU_DEP_1) | instskip(NEXT) | instid1(VALU_DEP_1)
	v_add_f32_e32 v1, v1, v152
	v_add_f32_e32 v1, v1, v153
	s_delay_alu instid0(VALU_DEP_1) | instskip(NEXT) | instid1(VALU_DEP_1)
	;; [unrolled: 3-line block ×4, first 2 shown]
	v_add_f32_e32 v1, v1, v164
	v_dual_add_f32 v6, v1, v166 :: v_dual_fmac_f32 v193, v8, v3
	ds_load_b128 v[1:4], v21 offset:848
	v_add_f32_e32 v14, v14, v171
	v_add_f32_e32 v6, v6, v168
	s_delay_alu instid0(VALU_DEP_2) | instskip(NEXT) | instid1(VALU_DEP_2)
	v_add_f32_e32 v14, v14, v173
	v_add_f32_e32 v13, v6, v170
	ds_load_b128 v[5:8], v21 offset:864
	s_wait_loadcnt_dscnt 0x101
	v_mul_f32_e32 v24, v1, v10
	v_mul_f32_e32 v10, v2, v10
	;; [unrolled: 1-line block ×4, first 2 shown]
	s_delay_alu instid0(VALU_DEP_4) | instskip(NEXT) | instid1(VALU_DEP_4)
	v_fmac_f32_e32 v24, v2, v9
	v_fma_f32 v149, v1, v9, -v10
	s_delay_alu instid0(VALU_DEP_4) | instskip(NEXT) | instid1(VALU_DEP_4)
	v_fmac_f32_e32 v148, v4, v11
	v_fma_f32 v150, v3, v11, -v12
	s_clause 0x1
	scratch_load_b128 v[1:4], off, off offset:400
	scratch_load_b128 v[9:12], off, off offset:416
	s_wait_loadcnt_dscnt 0x100
	v_dual_mul_f32 v154, v7, v4 :: v_dual_mul_f32 v153, v5, v2
	v_mul_f32_e32 v2, v6, v2
	v_mul_f32_e32 v4, v8, v4
	s_delay_alu instid0(VALU_DEP_3) | instskip(NEXT) | instid1(VALU_DEP_3)
	v_dual_fmac_f32 v154, v8, v3 :: v_dual_add_f32 v13, v13, v172
	v_fma_f32 v2, v5, v1, -v2
	s_delay_alu instid0(VALU_DEP_2) | instskip(NEXT) | instid1(VALU_DEP_1)
	v_add_f32_e32 v13, v13, v174
	v_add_f32_e32 v13, v13, v176
	s_delay_alu instid0(VALU_DEP_1) | instskip(NEXT) | instid1(VALU_DEP_1)
	v_add_f32_e32 v18, v13, v178
	v_add_f32_e32 v18, v18, v180
	s_delay_alu instid0(VALU_DEP_1) | instskip(NEXT) | instid1(VALU_DEP_1)
	;; [unrolled: 3-line block ×5, first 2 shown]
	v_add_f32_e32 v151, v151, v194
	v_add_f32_e32 v149, v151, v149
	s_delay_alu instid0(VALU_DEP_1) | instskip(SKIP_4) | instid1(VALU_DEP_1)
	v_add_f32_e32 v149, v149, v150
	v_add_f32_e32 v17, v14, v175
	scratch_load_b128 v[13:16], off, off offset:432
	v_add_f32_e32 v2, v149, v2
	v_add_f32_e32 v17, v17, v177
	;; [unrolled: 1-line block ×3, first 2 shown]
	s_delay_alu instid0(VALU_DEP_1) | instskip(NEXT) | instid1(VALU_DEP_1)
	v_add_f32_e32 v17, v17, v181
	v_add_f32_e32 v17, v17, v183
	s_delay_alu instid0(VALU_DEP_1)
	v_add_f32_e32 v142, v17, v185
	ds_load_b128 v[17:20], v21 offset:880
	v_add_f32_e32 v147, v142, v187
	ds_load_b128 v[142:145], v21 offset:896
	v_add_f32_e32 v152, v147, v189
	ds_load_b64 v[146:147], v21 offset:912
	v_add_f32_e32 v152, v152, v191
	s_wait_loadcnt_dscnt 0x102
	s_delay_alu instid0(VALU_DEP_1) | instskip(SKIP_1) | instid1(VALU_DEP_2)
	v_dual_add_f32 v152, v152, v193 :: v_dual_mul_f32 v151, v17, v10
	v_mul_f32_e32 v5, v20, v12
	v_add_f32_e32 v24, v152, v24
	s_delay_alu instid0(VALU_DEP_3) | instskip(NEXT) | instid1(VALU_DEP_3)
	v_dual_mul_f32 v152, v19, v12 :: v_dual_fmac_f32 v151, v18, v9
	v_fma_f32 v5, v19, v11, -v5
	s_delay_alu instid0(VALU_DEP_3) | instskip(NEXT) | instid1(VALU_DEP_3)
	v_add_f32_e32 v24, v24, v148
	v_fmac_f32_e32 v152, v20, v11
	s_wait_dscnt 0x0
	v_mul_f32_e32 v148, v146, v140
	s_delay_alu instid0(VALU_DEP_1) | instskip(SKIP_1) | instid1(VALU_DEP_2)
	v_dual_fmac_f32 v148, v147, v139 :: v_dual_fmac_f32 v153, v6, v1
	v_fma_f32 v1, v7, v3, -v4
	v_dual_mul_f32 v3, v18, v10 :: v_dual_add_f32 v4, v24, v153
	s_delay_alu instid0(VALU_DEP_2) | instskip(NEXT) | instid1(VALU_DEP_2)
	v_add_f32_e32 v1, v2, v1
	v_fma_f32 v3, v17, v9, -v3
	s_delay_alu instid0(VALU_DEP_1) | instskip(NEXT) | instid1(VALU_DEP_1)
	v_dual_add_f32 v2, v4, v154 :: v_dual_add_f32 v1, v1, v3
	v_dual_add_f32 v2, v2, v151 :: v_dual_add_f32 v1, v1, v5
	v_mul_f32_e32 v5, v147, v140
	s_delay_alu instid0(VALU_DEP_2)
	v_add_f32_e32 v2, v2, v152
	s_wait_loadcnt 0x0
	v_mul_f32_e32 v155, v142, v14
	v_mul_f32_e32 v4, v143, v14
	;; [unrolled: 1-line block ×4, first 2 shown]
	s_delay_alu instid0(VALU_DEP_4) | instskip(NEXT) | instid1(VALU_DEP_4)
	v_fmac_f32_e32 v155, v143, v13
	v_fma_f32 v4, v142, v13, -v4
	s_delay_alu instid0(VALU_DEP_4) | instskip(NEXT) | instid1(VALU_DEP_4)
	v_fmac_f32_e32 v150, v145, v15
	v_fma_f32 v3, v144, v15, -v3
	s_delay_alu instid0(VALU_DEP_3) | instskip(SKIP_1) | instid1(VALU_DEP_2)
	v_dual_add_f32 v2, v2, v155 :: v_dual_add_f32 v1, v1, v4
	v_fma_f32 v4, v146, v139, -v5
	v_dual_add_f32 v2, v2, v150 :: v_dual_add_f32 v1, v1, v3
	s_delay_alu instid0(VALU_DEP_1) | instskip(NEXT) | instid1(VALU_DEP_1)
	v_add_f32_e32 v2, v2, v148
	v_dual_add_f32 v1, v1, v4 :: v_dual_sub_f32 v2, v23, v2
	s_delay_alu instid0(VALU_DEP_1)
	v_sub_f32_e32 v1, v22, v1
	scratch_store_b64 off, v[1:2], off offset:120
	v_cmpx_lt_u32_e32 14, v0
	s_cbranch_execz .LBB120_327
; %bb.326:
	scratch_load_b64 v[1:2], off, off offset:112
	v_mov_b32_e32 v22, v21
	scratch_store_b64 off, v[21:22], off offset:112
	s_wait_loadcnt 0x0
	ds_store_b64 v141, v[1:2]
.LBB120_327:
	s_wait_alu 0xfffe
	s_or_b32 exec_lo, exec_lo, s0
	s_wait_storecnt_dscnt 0x0
	s_barrier_signal -1
	s_barrier_wait -1
	global_inv scope:SCOPE_SE
	s_clause 0x4
	scratch_load_b128 v[5:8], off, off offset:120
	scratch_load_b128 v[1:4], off, off offset:136
	;; [unrolled: 1-line block ×5, first 2 shown]
	ds_load_2addr_b64 v[142:145], v21 offset0:73 offset1:74
	ds_load_2addr_b64 v[146:149], v21 offset0:75 offset1:76
	;; [unrolled: 1-line block ×3, first 2 shown]
	scratch_load_b64 v[139:140], off, off offset:112
	s_mov_b32 s0, exec_lo
	s_wait_loadcnt_dscnt 0x502
	v_mul_f32_e32 v22, v143, v6
	v_dual_mul_f32 v23, v142, v6 :: v_dual_mul_f32 v24, v144, v8
	v_mul_f32_e32 v6, v145, v8
	s_delay_alu instid0(VALU_DEP_3) | instskip(NEXT) | instid1(VALU_DEP_3)
	v_fma_f32 v22, v142, v5, -v22
	v_dual_fmac_f32 v23, v143, v5 :: v_dual_fmac_f32 v24, v145, v7
	s_wait_loadcnt_dscnt 0x401
	v_mul_f32_e32 v143, v146, v2
	v_fma_f32 v142, v144, v7, -v6
	ds_load_2addr_b64 v[5:8], v21 offset0:79 offset1:80
	s_wait_loadcnt_dscnt 0x301
	v_dual_mul_f32 v144, v148, v4 :: v_dual_mul_f32 v145, v150, v10
	v_dual_mul_f32 v4, v149, v4 :: v_dual_fmac_f32 v143, v147, v1
	v_mul_f32_e32 v10, v151, v10
	s_delay_alu instid0(VALU_DEP_3)
	v_dual_mul_f32 v154, v152, v12 :: v_dual_fmac_f32 v145, v151, v9
	v_mul_f32_e32 v12, v153, v12
	v_mul_f32_e32 v2, v147, v2
	v_fmac_f32_e32 v144, v149, v3
	v_fma_f32 v147, v148, v3, -v4
	v_fma_f32 v148, v150, v9, -v10
	v_fmac_f32_e32 v154, v153, v11
	v_fma_f32 v149, v152, v11, -v12
	ds_load_2addr_b64 v[9:12], v21 offset0:81 offset1:82
	s_wait_loadcnt_dscnt 0x201
	v_mul_f32_e32 v150, v5, v14
	v_dual_mul_f32 v14, v6, v14 :: v_dual_mul_f32 v151, v7, v16
	v_mul_f32_e32 v16, v8, v16
	s_delay_alu instid0(VALU_DEP_3) | instskip(NEXT) | instid1(VALU_DEP_3)
	v_fmac_f32_e32 v150, v6, v13
	v_fma_f32 v13, v5, v13, -v14
	s_delay_alu instid0(VALU_DEP_4) | instskip(NEXT) | instid1(VALU_DEP_4)
	v_fmac_f32_e32 v151, v8, v15
	v_fma_f32 v14, v7, v15, -v16
	ds_load_2addr_b64 v[5:8], v21 offset0:83 offset1:84
	s_wait_loadcnt_dscnt 0x101
	v_mul_f32_e32 v15, v9, v18
	v_mul_f32_e32 v16, v10, v18
	;; [unrolled: 1-line block ×3, first 2 shown]
	s_delay_alu instid0(VALU_DEP_3)
	v_dual_mul_f32 v20, v12, v20 :: v_dual_fmac_f32 v15, v10, v17
	v_fma_f32 v146, v146, v1, -v2
	scratch_load_b128 v[1:4], off, off offset:200
	v_fma_f32 v16, v9, v17, -v16
	v_fmac_f32_e32 v18, v12, v19
	v_fma_f32 v17, v11, v19, -v20
	scratch_load_b128 v[9:12], off, off offset:216
	s_wait_loadcnt_dscnt 0x100
	v_mul_f32_e32 v19, v5, v2
	v_mul_f32_e32 v2, v6, v2
	;; [unrolled: 1-line block ×3, first 2 shown]
	s_delay_alu instid0(VALU_DEP_3) | instskip(NEXT) | instid1(VALU_DEP_3)
	v_dual_mul_f32 v4, v8, v4 :: v_dual_fmac_f32 v19, v6, v1
	v_fma_f32 v152, v5, v1, -v2
	s_delay_alu instid0(VALU_DEP_3) | instskip(NEXT) | instid1(VALU_DEP_3)
	v_fmac_f32_e32 v20, v8, v3
	v_fma_f32 v153, v7, v3, -v4
	ds_load_2addr_b64 v[1:4], v21 offset0:85 offset1:86
	ds_load_2addr_b64 v[5:8], v21 offset0:87 offset1:88
	s_wait_loadcnt_dscnt 0x1
	v_mul_f32_e32 v155, v1, v10
	v_mul_f32_e32 v10, v2, v10
	s_delay_alu instid0(VALU_DEP_2) | instskip(NEXT) | instid1(VALU_DEP_2)
	v_dual_mul_f32 v156, v3, v12 :: v_dual_fmac_f32 v155, v2, v9
	v_fma_f32 v157, v1, v9, -v10
	v_mul_f32_e32 v1, v4, v12
	s_delay_alu instid0(VALU_DEP_3) | instskip(NEXT) | instid1(VALU_DEP_2)
	v_fmac_f32_e32 v156, v4, v11
	v_fma_f32 v158, v3, v11, -v1
	s_clause 0x1
	scratch_load_b128 v[1:4], off, off offset:232
	scratch_load_b128 v[9:12], off, off offset:248
	s_wait_loadcnt_dscnt 0x100
	v_mul_f32_e32 v159, v5, v2
	v_dual_mul_f32 v2, v6, v2 :: v_dual_mul_f32 v161, v7, v4
	s_delay_alu instid0(VALU_DEP_2) | instskip(NEXT) | instid1(VALU_DEP_2)
	v_fmac_f32_e32 v159, v6, v1
	v_fma_f32 v160, v5, v1, -v2
	v_mul_f32_e32 v1, v8, v4
	s_delay_alu instid0(VALU_DEP_4) | instskip(NEXT) | instid1(VALU_DEP_2)
	v_fmac_f32_e32 v161, v8, v3
	v_fma_f32 v162, v7, v3, -v1
	ds_load_2addr_b64 v[1:4], v21 offset0:89 offset1:90
	ds_load_2addr_b64 v[5:8], v21 offset0:91 offset1:92
	s_wait_loadcnt_dscnt 0x1
	v_mul_f32_e32 v163, v1, v10
	v_mul_f32_e32 v165, v3, v12
	s_delay_alu instid0(VALU_DEP_2) | instskip(NEXT) | instid1(VALU_DEP_2)
	v_fmac_f32_e32 v163, v2, v9
	v_dual_mul_f32 v2, v2, v10 :: v_dual_fmac_f32 v165, v4, v11
	s_delay_alu instid0(VALU_DEP_1) | instskip(SKIP_1) | instid1(VALU_DEP_1)
	v_fma_f32 v164, v1, v9, -v2
	v_mul_f32_e32 v1, v4, v12
	v_fma_f32 v166, v3, v11, -v1
	s_clause 0x1
	scratch_load_b128 v[1:4], off, off offset:264
	scratch_load_b128 v[9:12], off, off offset:280
	s_wait_loadcnt_dscnt 0x100
	v_mul_f32_e32 v167, v5, v2
	v_dual_mul_f32 v2, v6, v2 :: v_dual_mul_f32 v169, v7, v4
	s_delay_alu instid0(VALU_DEP_2) | instskip(NEXT) | instid1(VALU_DEP_2)
	v_fmac_f32_e32 v167, v6, v1
	v_fma_f32 v168, v5, v1, -v2
	v_mul_f32_e32 v1, v8, v4
	s_delay_alu instid0(VALU_DEP_4) | instskip(NEXT) | instid1(VALU_DEP_2)
	v_fmac_f32_e32 v169, v8, v3
	v_fma_f32 v170, v7, v3, -v1
	ds_load_2addr_b64 v[1:4], v21 offset0:93 offset1:94
	ds_load_2addr_b64 v[5:8], v21 offset0:95 offset1:96
	s_wait_loadcnt_dscnt 0x1
	v_mul_f32_e32 v171, v1, v10
	v_mul_f32_e32 v173, v3, v12
	s_delay_alu instid0(VALU_DEP_2) | instskip(NEXT) | instid1(VALU_DEP_2)
	v_fmac_f32_e32 v171, v2, v9
	v_dual_mul_f32 v2, v2, v10 :: v_dual_fmac_f32 v173, v4, v11
	s_delay_alu instid0(VALU_DEP_1) | instskip(SKIP_1) | instid1(VALU_DEP_1)
	v_fma_f32 v172, v1, v9, -v2
	v_mul_f32_e32 v1, v4, v12
	;; [unrolled: 25-line block ×4, first 2 shown]
	v_fma_f32 v190, v3, v11, -v1
	s_clause 0x1
	scratch_load_b128 v[1:4], off, off offset:360
	scratch_load_b128 v[9:12], off, off offset:376
	s_wait_loadcnt_dscnt 0x100
	v_mul_f32_e32 v191, v5, v2
	v_mul_f32_e32 v2, v6, v2
	s_delay_alu instid0(VALU_DEP_1) | instskip(SKIP_1) | instid1(VALU_DEP_1)
	v_fma_f32 v192, v5, v1, -v2
	v_add_f32_e32 v2, 0, v23
	v_add_f32_e32 v2, v2, v24
	s_delay_alu instid0(VALU_DEP_1) | instskip(NEXT) | instid1(VALU_DEP_1)
	v_add_f32_e32 v2, v2, v143
	v_add_f32_e32 v2, v2, v144
	s_delay_alu instid0(VALU_DEP_1) | instskip(NEXT) | instid1(VALU_DEP_1)
	;; [unrolled: 3-line block ×6, first 2 shown]
	v_add_f32_e32 v2, v2, v155
	v_add_f32_e32 v2, v2, v156
	v_fmac_f32_e32 v191, v6, v1
	s_delay_alu instid0(VALU_DEP_2) | instskip(NEXT) | instid1(VALU_DEP_1)
	v_dual_add_f32 v2, v2, v159 :: v_dual_mul_f32 v193, v7, v4
	v_dual_add_f32 v2, v2, v161 :: v_dual_mul_f32 v1, v8, v4
	s_delay_alu instid0(VALU_DEP_1) | instskip(NEXT) | instid1(VALU_DEP_2)
	v_add_f32_e32 v2, v2, v163
	v_fma_f32 v194, v7, v3, -v1
	v_add_f32_e32 v1, 0, v22
	s_delay_alu instid0(VALU_DEP_3) | instskip(NEXT) | instid1(VALU_DEP_2)
	v_add_f32_e32 v5, v2, v165
	v_add_f32_e32 v1, v1, v142
	s_delay_alu instid0(VALU_DEP_1) | instskip(NEXT) | instid1(VALU_DEP_1)
	v_add_f32_e32 v1, v1, v146
	v_add_f32_e32 v1, v1, v147
	s_delay_alu instid0(VALU_DEP_1) | instskip(NEXT) | instid1(VALU_DEP_1)
	v_add_f32_e32 v1, v1, v148
	v_add_f32_e32 v1, v1, v149
	s_delay_alu instid0(VALU_DEP_1) | instskip(SKIP_1) | instid1(VALU_DEP_2)
	v_add_f32_e32 v1, v1, v13
	v_add_f32_e32 v13, v5, v167
	;; [unrolled: 1-line block ×3, first 2 shown]
	s_delay_alu instid0(VALU_DEP_2) | instskip(NEXT) | instid1(VALU_DEP_2)
	v_add_f32_e32 v13, v13, v169
	v_add_f32_e32 v1, v1, v16
	s_delay_alu instid0(VALU_DEP_1) | instskip(NEXT) | instid1(VALU_DEP_1)
	v_add_f32_e32 v1, v1, v17
	v_add_f32_e32 v1, v1, v152
	s_delay_alu instid0(VALU_DEP_1) | instskip(NEXT) | instid1(VALU_DEP_1)
	;; [unrolled: 3-line block ×5, first 2 shown]
	v_add_f32_e32 v1, v1, v166
	v_dual_add_f32 v6, v1, v168 :: v_dual_fmac_f32 v193, v8, v3
	ds_load_2addr_b64 v[1:4], v21 offset0:105 offset1:106
	v_dual_add_f32 v13, v13, v171 :: v_dual_add_f32 v14, v6, v170
	scratch_load_b128 v[5:8], off, off offset:392
	v_add_f32_e32 v18, v13, v173
	v_add_f32_e32 v14, v14, v172
	s_delay_alu instid0(VALU_DEP_1)
	v_add_f32_e32 v17, v14, v174
	ds_load_2addr_b64 v[13:16], v21 offset0:107 offset1:108
	s_wait_loadcnt_dscnt 0x101
	v_mul_f32_e32 v142, v1, v10
	v_dual_mul_f32 v10, v2, v10 :: v_dual_mul_f32 v143, v3, v12
	v_mul_f32_e32 v12, v4, v12
	v_add_f32_e32 v18, v18, v175
	s_delay_alu instid0(VALU_DEP_4) | instskip(NEXT) | instid1(VALU_DEP_4)
	v_fmac_f32_e32 v142, v2, v9
	v_fma_f32 v144, v1, v9, -v10
	v_fmac_f32_e32 v143, v4, v11
	v_fma_f32 v145, v3, v11, -v12
	s_clause 0x1
	scratch_load_b128 v[1:4], off, off offset:408
	scratch_load_b128 v[9:12], off, off offset:424
	v_add_f32_e32 v18, v18, v177
	s_delay_alu instid0(VALU_DEP_1) | instskip(NEXT) | instid1(VALU_DEP_1)
	v_add_f32_e32 v22, v18, v179
	v_add_f32_e32 v22, v22, v181
	s_wait_loadcnt_dscnt 0x200
	v_mul_f32_e32 v146, v13, v6
	v_dual_mul_f32 v6, v14, v6 :: v_dual_mul_f32 v147, v15, v8
	v_mul_f32_e32 v8, v16, v8
	v_add_f32_e32 v22, v22, v183
	s_delay_alu instid0(VALU_DEP_4) | instskip(NEXT) | instid1(VALU_DEP_4)
	v_fmac_f32_e32 v146, v14, v5
	v_fma_f32 v148, v13, v5, -v6
	v_fmac_f32_e32 v147, v16, v7
	v_fma_f32 v149, v15, v7, -v8
	ds_load_2addr_b64 v[5:8], v21 offset0:109 offset1:110
	v_add_f32_e32 v17, v17, v176
	v_add_f32_e32 v13, v22, v185
	s_delay_alu instid0(VALU_DEP_2) | instskip(NEXT) | instid1(VALU_DEP_1)
	v_add_f32_e32 v17, v17, v178
	v_add_f32_e32 v17, v17, v180
	s_delay_alu instid0(VALU_DEP_1) | instskip(SKIP_2) | instid1(VALU_DEP_1)
	v_add_f32_e32 v23, v17, v182
	scratch_load_b128 v[17:20], off, off offset:440
	v_add_f32_e32 v23, v23, v184
	v_add_f32_e32 v23, v23, v186
	s_delay_alu instid0(VALU_DEP_1)
	v_dual_add_f32 v22, v23, v188 :: v_dual_add_f32 v23, v13, v187
	ds_load_2addr_b64 v[13:16], v21 offset0:111 offset1:112
	s_wait_loadcnt_dscnt 0x201
	v_mul_f32_e32 v152, v5, v2
	v_mul_f32_e32 v2, v6, v2
	v_dual_add_f32 v150, v22, v190 :: v_dual_add_f32 v151, v23, v189
	ds_load_2addr_b64 v[21:24], v21 offset0:113 offset1:114
	v_fmac_f32_e32 v152, v6, v1
	v_fma_f32 v2, v5, v1, -v2
	v_dual_add_f32 v150, v150, v192 :: v_dual_add_f32 v151, v151, v191
	s_delay_alu instid0(VALU_DEP_1) | instskip(NEXT) | instid1(VALU_DEP_1)
	v_dual_add_f32 v150, v150, v194 :: v_dual_add_f32 v151, v151, v193
	v_add_f32_e32 v144, v150, v144
	s_delay_alu instid0(VALU_DEP_2)
	v_add_f32_e32 v142, v151, v142
	s_wait_loadcnt_dscnt 0x101
	v_mul_f32_e32 v6, v14, v10
	v_mul_f32_e32 v150, v7, v4
	v_mul_f32_e32 v4, v8, v4
	v_add_f32_e32 v144, v144, v145
	v_dual_add_f32 v142, v142, v143 :: v_dual_mul_f32 v151, v13, v10
	s_delay_alu instid0(VALU_DEP_4) | instskip(NEXT) | instid1(VALU_DEP_4)
	v_fmac_f32_e32 v150, v8, v3
	v_fma_f32 v3, v7, v3, -v4
	s_delay_alu instid0(VALU_DEP_4) | instskip(NEXT) | instid1(VALU_DEP_4)
	v_add_f32_e32 v144, v144, v148
	v_dual_add_f32 v142, v142, v146 :: v_dual_mul_f32 v153, v15, v12
	v_dual_mul_f32 v4, v16, v12 :: v_dual_fmac_f32 v151, v14, v9
	s_delay_alu instid0(VALU_DEP_3) | instskip(NEXT) | instid1(VALU_DEP_3)
	v_add_f32_e32 v1, v144, v149
	v_add_f32_e32 v5, v142, v147
	s_delay_alu instid0(VALU_DEP_4) | instskip(NEXT) | instid1(VALU_DEP_4)
	v_fmac_f32_e32 v153, v16, v11
	v_fma_f32 v4, v15, v11, -v4
	s_delay_alu instid0(VALU_DEP_4) | instskip(NEXT) | instid1(VALU_DEP_4)
	v_add_f32_e32 v1, v1, v2
	v_add_f32_e32 v2, v5, v152
	v_fma_f32 v5, v13, v9, -v6
	s_delay_alu instid0(VALU_DEP_2) | instskip(NEXT) | instid1(VALU_DEP_1)
	v_dual_add_f32 v1, v1, v3 :: v_dual_add_f32 v2, v2, v150
	v_dual_add_f32 v1, v1, v5 :: v_dual_add_f32 v2, v2, v151
	s_delay_alu instid0(VALU_DEP_1)
	v_dual_add_f32 v1, v1, v4 :: v_dual_add_f32 v2, v2, v153
	s_wait_loadcnt_dscnt 0x0
	v_mul_f32_e32 v143, v21, v18
	v_mul_f32_e32 v3, v22, v18
	;; [unrolled: 1-line block ×4, first 2 shown]
	s_delay_alu instid0(VALU_DEP_4) | instskip(NEXT) | instid1(VALU_DEP_4)
	v_fmac_f32_e32 v143, v22, v17
	v_fma_f32 v3, v21, v17, -v3
	s_delay_alu instid0(VALU_DEP_4) | instskip(NEXT) | instid1(VALU_DEP_4)
	v_fmac_f32_e32 v145, v24, v19
	v_fma_f32 v4, v23, v19, -v5
	s_delay_alu instid0(VALU_DEP_4) | instskip(NEXT) | instid1(VALU_DEP_1)
	v_add_f32_e32 v2, v2, v143
	v_dual_add_f32 v1, v1, v3 :: v_dual_add_f32 v2, v2, v145
	s_delay_alu instid0(VALU_DEP_1) | instskip(NEXT) | instid1(VALU_DEP_1)
	v_dual_add_f32 v1, v1, v4 :: v_dual_sub_f32 v2, v140, v2
	v_sub_f32_e32 v1, v139, v1
	scratch_store_b64 off, v[1:2], off offset:112
	v_cmpx_lt_u32_e32 13, v0
	s_cbranch_execz .LBB120_329
; %bb.328:
	scratch_load_b64 v[1:2], off, off offset:104
	v_mov_b32_e32 v3, 0
	s_delay_alu instid0(VALU_DEP_1)
	v_mov_b32_e32 v4, v3
	scratch_store_b64 off, v[3:4], off offset:104
	s_wait_loadcnt 0x0
	ds_store_b64 v141, v[1:2]
.LBB120_329:
	s_wait_alu 0xfffe
	s_or_b32 exec_lo, exec_lo, s0
	s_wait_storecnt_dscnt 0x0
	s_barrier_signal -1
	s_barrier_wait -1
	global_inv scope:SCOPE_SE
	s_clause 0x4
	scratch_load_b128 v[5:8], off, off offset:112
	scratch_load_b128 v[1:4], off, off offset:128
	;; [unrolled: 1-line block ×5, first 2 shown]
	v_mov_b32_e32 v21, 0
	ds_load_b128 v[142:145], v21 offset:576
	ds_load_b128 v[146:149], v21 offset:592
	;; [unrolled: 1-line block ×3, first 2 shown]
	scratch_load_b64 v[22:23], off, off offset:104
	s_mov_b32 s0, exec_lo
	s_wait_loadcnt_dscnt 0x502
	v_mul_f32_e32 v24, v143, v6
	v_dual_mul_f32 v139, v142, v6 :: v_dual_mul_f32 v140, v144, v8
	v_mul_f32_e32 v6, v145, v8
	s_delay_alu instid0(VALU_DEP_3) | instskip(NEXT) | instid1(VALU_DEP_3)
	v_fma_f32 v24, v142, v5, -v24
	v_dual_fmac_f32 v139, v143, v5 :: v_dual_fmac_f32 v140, v145, v7
	s_wait_loadcnt_dscnt 0x401
	v_mul_f32_e32 v143, v146, v2
	v_fma_f32 v142, v144, v7, -v6
	ds_load_b128 v[5:8], v21 offset:624
	s_wait_loadcnt_dscnt 0x301
	v_dual_mul_f32 v144, v148, v4 :: v_dual_mul_f32 v145, v150, v10
	v_dual_mul_f32 v4, v149, v4 :: v_dual_fmac_f32 v143, v147, v1
	v_mul_f32_e32 v10, v151, v10
	s_delay_alu instid0(VALU_DEP_3)
	v_dual_mul_f32 v154, v152, v12 :: v_dual_fmac_f32 v145, v151, v9
	v_mul_f32_e32 v12, v153, v12
	v_mul_f32_e32 v2, v147, v2
	v_fmac_f32_e32 v144, v149, v3
	v_fma_f32 v147, v148, v3, -v4
	v_fma_f32 v148, v150, v9, -v10
	v_fmac_f32_e32 v154, v153, v11
	v_fma_f32 v149, v152, v11, -v12
	ds_load_b128 v[9:12], v21 offset:640
	s_wait_loadcnt_dscnt 0x201
	v_dual_mul_f32 v151, v7, v16 :: v_dual_mul_f32 v150, v5, v14
	v_mul_f32_e32 v14, v6, v14
	v_mul_f32_e32 v16, v8, v16
	s_delay_alu instid0(VALU_DEP_3)
	v_fmac_f32_e32 v151, v8, v15
	v_fma_f32 v146, v146, v1, -v2
	scratch_load_b128 v[1:4], off, off offset:192
	v_fmac_f32_e32 v150, v6, v13
	v_fma_f32 v13, v5, v13, -v14
	v_fma_f32 v14, v7, v15, -v16
	ds_load_b128 v[5:8], v21 offset:656
	s_wait_loadcnt_dscnt 0x201
	v_mul_f32_e32 v15, v9, v18
	v_mul_f32_e32 v16, v10, v18
	;; [unrolled: 1-line block ×3, first 2 shown]
	s_delay_alu instid0(VALU_DEP_3) | instskip(NEXT) | instid1(VALU_DEP_3)
	v_dual_mul_f32 v20, v12, v20 :: v_dual_fmac_f32 v15, v10, v17
	v_fma_f32 v16, v9, v17, -v16
	s_delay_alu instid0(VALU_DEP_3) | instskip(NEXT) | instid1(VALU_DEP_3)
	v_fmac_f32_e32 v18, v12, v19
	v_fma_f32 v17, v11, v19, -v20
	scratch_load_b128 v[9:12], off, off offset:208
	s_wait_loadcnt_dscnt 0x100
	v_mul_f32_e32 v19, v5, v2
	v_mul_f32_e32 v2, v6, v2
	v_mul_f32_e32 v20, v7, v4
	s_delay_alu instid0(VALU_DEP_3) | instskip(NEXT) | instid1(VALU_DEP_3)
	v_dual_mul_f32 v4, v8, v4 :: v_dual_fmac_f32 v19, v6, v1
	v_fma_f32 v152, v5, v1, -v2
	s_delay_alu instid0(VALU_DEP_3) | instskip(NEXT) | instid1(VALU_DEP_3)
	v_fmac_f32_e32 v20, v8, v3
	v_fma_f32 v153, v7, v3, -v4
	ds_load_b128 v[1:4], v21 offset:672
	ds_load_b128 v[5:8], v21 offset:688
	s_wait_loadcnt_dscnt 0x1
	v_mul_f32_e32 v155, v1, v10
	v_mul_f32_e32 v10, v2, v10
	s_delay_alu instid0(VALU_DEP_2) | instskip(NEXT) | instid1(VALU_DEP_2)
	v_dual_mul_f32 v156, v3, v12 :: v_dual_fmac_f32 v155, v2, v9
	v_fma_f32 v157, v1, v9, -v10
	v_mul_f32_e32 v1, v4, v12
	s_delay_alu instid0(VALU_DEP_3) | instskip(NEXT) | instid1(VALU_DEP_2)
	v_fmac_f32_e32 v156, v4, v11
	v_fma_f32 v158, v3, v11, -v1
	s_clause 0x1
	scratch_load_b128 v[1:4], off, off offset:224
	scratch_load_b128 v[9:12], off, off offset:240
	s_wait_loadcnt_dscnt 0x100
	v_mul_f32_e32 v159, v5, v2
	v_dual_mul_f32 v2, v6, v2 :: v_dual_mul_f32 v161, v7, v4
	s_delay_alu instid0(VALU_DEP_2) | instskip(NEXT) | instid1(VALU_DEP_2)
	v_fmac_f32_e32 v159, v6, v1
	v_fma_f32 v160, v5, v1, -v2
	v_mul_f32_e32 v1, v8, v4
	s_delay_alu instid0(VALU_DEP_4) | instskip(NEXT) | instid1(VALU_DEP_2)
	v_fmac_f32_e32 v161, v8, v3
	v_fma_f32 v162, v7, v3, -v1
	ds_load_b128 v[1:4], v21 offset:704
	ds_load_b128 v[5:8], v21 offset:720
	s_wait_loadcnt_dscnt 0x1
	v_mul_f32_e32 v163, v1, v10
	v_mul_f32_e32 v165, v3, v12
	s_delay_alu instid0(VALU_DEP_2) | instskip(NEXT) | instid1(VALU_DEP_2)
	v_fmac_f32_e32 v163, v2, v9
	v_dual_mul_f32 v2, v2, v10 :: v_dual_fmac_f32 v165, v4, v11
	s_delay_alu instid0(VALU_DEP_1) | instskip(SKIP_1) | instid1(VALU_DEP_1)
	v_fma_f32 v164, v1, v9, -v2
	v_mul_f32_e32 v1, v4, v12
	v_fma_f32 v166, v3, v11, -v1
	s_clause 0x1
	scratch_load_b128 v[1:4], off, off offset:256
	scratch_load_b128 v[9:12], off, off offset:272
	s_wait_loadcnt_dscnt 0x100
	v_mul_f32_e32 v167, v5, v2
	v_dual_mul_f32 v169, v7, v4 :: v_dual_mul_f32 v2, v6, v2
	s_delay_alu instid0(VALU_DEP_2) | instskip(NEXT) | instid1(VALU_DEP_2)
	v_fmac_f32_e32 v167, v6, v1
	v_fmac_f32_e32 v169, v8, v3
	s_delay_alu instid0(VALU_DEP_3) | instskip(SKIP_1) | instid1(VALU_DEP_1)
	v_fma_f32 v168, v5, v1, -v2
	v_mul_f32_e32 v1, v8, v4
	v_fma_f32 v170, v7, v3, -v1
	ds_load_b128 v[1:4], v21 offset:736
	ds_load_b128 v[5:8], v21 offset:752
	s_wait_loadcnt_dscnt 0x1
	v_mul_f32_e32 v171, v1, v10
	v_mul_f32_e32 v173, v3, v12
	s_delay_alu instid0(VALU_DEP_2) | instskip(NEXT) | instid1(VALU_DEP_2)
	v_fmac_f32_e32 v171, v2, v9
	v_dual_mul_f32 v2, v2, v10 :: v_dual_fmac_f32 v173, v4, v11
	s_delay_alu instid0(VALU_DEP_1) | instskip(SKIP_1) | instid1(VALU_DEP_1)
	v_fma_f32 v172, v1, v9, -v2
	v_mul_f32_e32 v1, v4, v12
	v_fma_f32 v174, v3, v11, -v1
	s_clause 0x1
	scratch_load_b128 v[1:4], off, off offset:288
	scratch_load_b128 v[9:12], off, off offset:304
	s_wait_loadcnt_dscnt 0x100
	v_mul_f32_e32 v175, v5, v2
	v_dual_mul_f32 v2, v6, v2 :: v_dual_mul_f32 v177, v7, v4
	s_delay_alu instid0(VALU_DEP_2) | instskip(NEXT) | instid1(VALU_DEP_2)
	v_fmac_f32_e32 v175, v6, v1
	v_fma_f32 v176, v5, v1, -v2
	v_mul_f32_e32 v1, v8, v4
	s_delay_alu instid0(VALU_DEP_4) | instskip(NEXT) | instid1(VALU_DEP_2)
	v_fmac_f32_e32 v177, v8, v3
	v_fma_f32 v178, v7, v3, -v1
	ds_load_b128 v[1:4], v21 offset:768
	ds_load_b128 v[5:8], v21 offset:784
	s_wait_loadcnt_dscnt 0x1
	v_mul_f32_e32 v179, v1, v10
	v_mul_f32_e32 v181, v3, v12
	s_delay_alu instid0(VALU_DEP_2) | instskip(NEXT) | instid1(VALU_DEP_2)
	v_fmac_f32_e32 v179, v2, v9
	v_dual_mul_f32 v2, v2, v10 :: v_dual_fmac_f32 v181, v4, v11
	s_delay_alu instid0(VALU_DEP_1) | instskip(SKIP_1) | instid1(VALU_DEP_1)
	v_fma_f32 v180, v1, v9, -v2
	v_mul_f32_e32 v1, v4, v12
	v_fma_f32 v182, v3, v11, -v1
	s_clause 0x1
	scratch_load_b128 v[1:4], off, off offset:320
	scratch_load_b128 v[9:12], off, off offset:336
	s_wait_loadcnt_dscnt 0x100
	v_mul_f32_e32 v183, v5, v2
	v_dual_mul_f32 v2, v6, v2 :: v_dual_mul_f32 v185, v7, v4
	s_delay_alu instid0(VALU_DEP_2) | instskip(NEXT) | instid1(VALU_DEP_2)
	v_fmac_f32_e32 v183, v6, v1
	v_fma_f32 v184, v5, v1, -v2
	v_mul_f32_e32 v1, v8, v4
	s_delay_alu instid0(VALU_DEP_4) | instskip(NEXT) | instid1(VALU_DEP_2)
	v_fmac_f32_e32 v185, v8, v3
	v_fma_f32 v186, v7, v3, -v1
	ds_load_b128 v[1:4], v21 offset:800
	ds_load_b128 v[5:8], v21 offset:816
	s_wait_loadcnt_dscnt 0x1
	v_mul_f32_e32 v187, v1, v10
	v_mul_f32_e32 v189, v3, v12
	s_delay_alu instid0(VALU_DEP_2) | instskip(NEXT) | instid1(VALU_DEP_2)
	v_fmac_f32_e32 v187, v2, v9
	v_dual_mul_f32 v2, v2, v10 :: v_dual_fmac_f32 v189, v4, v11
	s_delay_alu instid0(VALU_DEP_1) | instskip(SKIP_1) | instid1(VALU_DEP_1)
	v_fma_f32 v188, v1, v9, -v2
	v_mul_f32_e32 v1, v4, v12
	v_fma_f32 v190, v3, v11, -v1
	s_clause 0x1
	scratch_load_b128 v[1:4], off, off offset:352
	scratch_load_b128 v[9:12], off, off offset:368
	s_wait_loadcnt_dscnt 0x100
	v_mul_f32_e32 v191, v5, v2
	v_mul_f32_e32 v2, v6, v2
	s_delay_alu instid0(VALU_DEP_1) | instskip(SKIP_1) | instid1(VALU_DEP_1)
	v_fma_f32 v192, v5, v1, -v2
	v_add_f32_e32 v2, 0, v139
	v_add_f32_e32 v2, v2, v140
	s_delay_alu instid0(VALU_DEP_1) | instskip(NEXT) | instid1(VALU_DEP_1)
	v_add_f32_e32 v2, v2, v143
	v_add_f32_e32 v2, v2, v144
	s_delay_alu instid0(VALU_DEP_1) | instskip(NEXT) | instid1(VALU_DEP_1)
	;; [unrolled: 3-line block ×7, first 2 shown]
	v_add_f32_e32 v2, v2, v159
	v_add_f32_e32 v2, v2, v161
	v_fmac_f32_e32 v191, v6, v1
	v_mul_f32_e32 v1, v8, v4
	s_delay_alu instid0(VALU_DEP_3) | instskip(NEXT) | instid1(VALU_DEP_2)
	v_dual_mul_f32 v193, v7, v4 :: v_dual_add_f32 v2, v2, v163
	v_fma_f32 v194, v7, v3, -v1
	v_add_f32_e32 v1, 0, v24
	s_delay_alu instid0(VALU_DEP_3) | instskip(NEXT) | instid1(VALU_DEP_2)
	v_add_f32_e32 v5, v2, v165
	v_add_f32_e32 v1, v1, v142
	s_delay_alu instid0(VALU_DEP_1) | instskip(NEXT) | instid1(VALU_DEP_1)
	v_add_f32_e32 v1, v1, v146
	v_add_f32_e32 v1, v1, v147
	s_delay_alu instid0(VALU_DEP_1) | instskip(NEXT) | instid1(VALU_DEP_1)
	v_add_f32_e32 v1, v1, v148
	v_add_f32_e32 v1, v1, v149
	s_delay_alu instid0(VALU_DEP_1) | instskip(SKIP_1) | instid1(VALU_DEP_2)
	v_add_f32_e32 v1, v1, v13
	v_add_f32_e32 v13, v5, v167
	;; [unrolled: 1-line block ×3, first 2 shown]
	s_delay_alu instid0(VALU_DEP_2) | instskip(NEXT) | instid1(VALU_DEP_2)
	v_add_f32_e32 v13, v13, v169
	v_add_f32_e32 v1, v1, v16
	s_delay_alu instid0(VALU_DEP_1) | instskip(NEXT) | instid1(VALU_DEP_1)
	v_add_f32_e32 v1, v1, v17
	v_add_f32_e32 v1, v1, v152
	s_delay_alu instid0(VALU_DEP_1) | instskip(NEXT) | instid1(VALU_DEP_1)
	v_add_f32_e32 v1, v1, v153
	v_add_f32_e32 v1, v1, v157
	s_delay_alu instid0(VALU_DEP_1) | instskip(NEXT) | instid1(VALU_DEP_1)
	v_add_f32_e32 v1, v1, v158
	v_add_f32_e32 v1, v1, v160
	s_delay_alu instid0(VALU_DEP_1) | instskip(NEXT) | instid1(VALU_DEP_1)
	v_add_f32_e32 v1, v1, v162
	v_add_f32_e32 v1, v1, v164
	s_delay_alu instid0(VALU_DEP_1) | instskip(NEXT) | instid1(VALU_DEP_1)
	v_add_f32_e32 v1, v1, v166
	v_dual_add_f32 v6, v1, v168 :: v_dual_fmac_f32 v193, v8, v3
	scratch_load_b128 v[1:4], off, off offset:384
	v_dual_add_f32 v13, v13, v171 :: v_dual_add_f32 v14, v6, v170
	ds_load_b128 v[5:8], v21 offset:832
	v_add_f32_e32 v18, v13, v173
	v_add_f32_e32 v14, v14, v172
	s_delay_alu instid0(VALU_DEP_1)
	v_add_f32_e32 v17, v14, v174
	ds_load_b128 v[13:16], v21 offset:848
	s_wait_loadcnt_dscnt 0x101
	v_mul_f32_e32 v24, v5, v10
	v_add_f32_e32 v18, v18, v175
	v_mul_f32_e32 v10, v6, v10
	v_mul_f32_e32 v148, v7, v12
	;; [unrolled: 1-line block ×3, first 2 shown]
	v_fmac_f32_e32 v24, v6, v9
	v_add_f32_e32 v18, v18, v177
	v_fma_f32 v149, v5, v9, -v10
	v_fmac_f32_e32 v148, v8, v11
	v_fma_f32 v150, v7, v11, -v12
	scratch_load_b128 v[9:12], off, off offset:416
	v_add_f32_e32 v139, v18, v179
	scratch_load_b128 v[5:8], off, off offset:400
	v_add_f32_e32 v142, v139, v181
	s_delay_alu instid0(VALU_DEP_1) | instskip(SKIP_1) | instid1(VALU_DEP_1)
	v_add_f32_e32 v142, v142, v183
	s_wait_loadcnt_dscnt 0x200
	v_dual_add_f32 v142, v142, v185 :: v_dual_mul_f32 v151, v13, v2
	v_mul_f32_e32 v2, v14, v2
	v_mul_f32_e32 v152, v15, v4
	s_delay_alu instid0(VALU_DEP_3) | instskip(NEXT) | instid1(VALU_DEP_3)
	v_dual_mul_f32 v4, v16, v4 :: v_dual_fmac_f32 v151, v14, v1
	v_fma_f32 v153, v13, v1, -v2
	v_add_f32_e32 v13, v142, v187
	s_delay_alu instid0(VALU_DEP_4) | instskip(NEXT) | instid1(VALU_DEP_4)
	v_fmac_f32_e32 v152, v16, v3
	v_fma_f32 v154, v15, v3, -v4
	ds_load_b128 v[1:4], v21 offset:864
	v_add_f32_e32 v142, v13, v189
	v_add_f32_e32 v17, v17, v176
	s_delay_alu instid0(VALU_DEP_1) | instskip(NEXT) | instid1(VALU_DEP_1)
	v_add_f32_e32 v17, v17, v178
	v_add_f32_e32 v17, v17, v180
	s_delay_alu instid0(VALU_DEP_1)
	v_add_f32_e32 v140, v17, v182
	scratch_load_b128 v[17:20], off, off offset:432
	v_add_f32_e32 v147, v142, v191
	v_add_f32_e32 v143, v140, v184
	scratch_load_b64 v[139:140], off, off offset:448
	v_add_f32_e32 v156, v147, v193
	s_delay_alu instid0(VALU_DEP_1) | instskip(NEXT) | instid1(VALU_DEP_1)
	v_dual_add_f32 v143, v143, v186 :: v_dual_add_f32 v24, v156, v24
	v_add_f32_e32 v143, v143, v188
	s_delay_alu instid0(VALU_DEP_2) | instskip(NEXT) | instid1(VALU_DEP_2)
	v_add_f32_e32 v24, v24, v148
	v_add_f32_e32 v14, v143, v190
	ds_load_b128 v[142:145], v21 offset:896
	v_add_f32_e32 v24, v24, v151
	v_add_f32_e32 v146, v14, v192
	ds_load_b128 v[13:16], v21 offset:880
	v_add_f32_e32 v24, v24, v152
	s_wait_loadcnt_dscnt 0x202
	v_mul_f32_e32 v148, v3, v8
	v_dual_mul_f32 v8, v4, v8 :: v_dual_add_f32 v155, v146, v194
	ds_load_b64 v[146:147], v21 offset:912
	s_wait_dscnt 0x1
	v_dual_fmac_f32 v148, v4, v7 :: v_dual_mul_f32 v151, v15, v12
	s_delay_alu instid0(VALU_DEP_1) | instskip(SKIP_2) | instid1(VALU_DEP_1)
	v_fmac_f32_e32 v151, v16, v11
	s_wait_loadcnt_dscnt 0x0
	v_dual_add_f32 v149, v155, v149 :: v_dual_mul_f32 v152, v146, v140
	v_add_f32_e32 v149, v149, v150
	v_mul_f32_e32 v150, v13, v10
	s_delay_alu instid0(VALU_DEP_2) | instskip(SKIP_1) | instid1(VALU_DEP_2)
	v_dual_fmac_f32 v152, v147, v139 :: v_dual_add_f32 v149, v149, v153
	v_mul_f32_e32 v153, v142, v18
	v_dual_fmac_f32 v150, v14, v9 :: v_dual_add_f32 v149, v149, v154
	s_delay_alu instid0(VALU_DEP_2) | instskip(SKIP_2) | instid1(VALU_DEP_2)
	v_fmac_f32_e32 v153, v143, v17
	v_mul_f32_e32 v155, v1, v6
	v_mul_f32_e32 v6, v2, v6
	v_dual_mul_f32 v154, v144, v20 :: v_dual_fmac_f32 v155, v2, v5
	s_delay_alu instid0(VALU_DEP_2) | instskip(SKIP_3) | instid1(VALU_DEP_4)
	v_fma_f32 v1, v1, v5, -v6
	v_fma_f32 v2, v3, v7, -v8
	v_mul_f32_e32 v3, v14, v10
	v_mul_f32_e32 v5, v16, v12
	v_dual_add_f32 v4, v24, v155 :: v_dual_add_f32 v1, v149, v1
	v_fmac_f32_e32 v154, v145, v19
	s_delay_alu instid0(VALU_DEP_4) | instskip(NEXT) | instid1(VALU_DEP_4)
	v_fma_f32 v3, v13, v9, -v3
	v_fma_f32 v5, v15, v11, -v5
	s_delay_alu instid0(VALU_DEP_4) | instskip(NEXT) | instid1(VALU_DEP_1)
	v_dual_add_f32 v1, v1, v2 :: v_dual_add_f32 v2, v4, v148
	v_dual_mul_f32 v4, v143, v18 :: v_dual_add_f32 v1, v1, v3
	s_delay_alu instid0(VALU_DEP_2) | instskip(NEXT) | instid1(VALU_DEP_2)
	v_dual_add_f32 v2, v2, v150 :: v_dual_mul_f32 v3, v145, v20
	v_fma_f32 v4, v142, v17, -v4
	s_delay_alu instid0(VALU_DEP_2) | instskip(SKIP_1) | instid1(VALU_DEP_4)
	v_dual_add_f32 v1, v1, v5 :: v_dual_add_f32 v2, v2, v151
	v_mul_f32_e32 v5, v147, v140
	v_fma_f32 v3, v144, v19, -v3
	s_delay_alu instid0(VALU_DEP_3) | instskip(NEXT) | instid1(VALU_DEP_3)
	v_dual_add_f32 v1, v1, v4 :: v_dual_add_f32 v2, v2, v153
	v_fma_f32 v4, v146, v139, -v5
	s_delay_alu instid0(VALU_DEP_2) | instskip(NEXT) | instid1(VALU_DEP_1)
	v_dual_add_f32 v1, v1, v3 :: v_dual_add_f32 v2, v2, v154
	v_add_f32_e32 v1, v1, v4
	s_delay_alu instid0(VALU_DEP_2) | instskip(NEXT) | instid1(VALU_DEP_1)
	v_add_f32_e32 v2, v2, v152
	v_dual_sub_f32 v1, v22, v1 :: v_dual_sub_f32 v2, v23, v2
	scratch_store_b64 off, v[1:2], off offset:104
	v_cmpx_lt_u32_e32 12, v0
	s_cbranch_execz .LBB120_331
; %bb.330:
	scratch_load_b64 v[1:2], off, off offset:96
	v_mov_b32_e32 v22, v21
	scratch_store_b64 off, v[21:22], off offset:96
	s_wait_loadcnt 0x0
	ds_store_b64 v141, v[1:2]
.LBB120_331:
	s_wait_alu 0xfffe
	s_or_b32 exec_lo, exec_lo, s0
	s_wait_storecnt_dscnt 0x0
	s_barrier_signal -1
	s_barrier_wait -1
	global_inv scope:SCOPE_SE
	s_clause 0x4
	scratch_load_b128 v[5:8], off, off offset:104
	scratch_load_b128 v[1:4], off, off offset:120
	;; [unrolled: 1-line block ×5, first 2 shown]
	ds_load_2addr_b64 v[142:145], v21 offset0:71 offset1:72
	ds_load_2addr_b64 v[146:149], v21 offset0:73 offset1:74
	;; [unrolled: 1-line block ×3, first 2 shown]
	scratch_load_b64 v[139:140], off, off offset:96
	s_mov_b32 s0, exec_lo
	s_wait_loadcnt_dscnt 0x502
	v_mul_f32_e32 v22, v143, v6
	v_dual_mul_f32 v23, v142, v6 :: v_dual_mul_f32 v24, v144, v8
	v_mul_f32_e32 v6, v145, v8
	s_delay_alu instid0(VALU_DEP_3) | instskip(NEXT) | instid1(VALU_DEP_3)
	v_fma_f32 v22, v142, v5, -v22
	v_dual_fmac_f32 v23, v143, v5 :: v_dual_fmac_f32 v24, v145, v7
	s_wait_loadcnt_dscnt 0x401
	v_mul_f32_e32 v143, v146, v2
	v_fma_f32 v142, v144, v7, -v6
	ds_load_2addr_b64 v[5:8], v21 offset0:77 offset1:78
	s_wait_loadcnt_dscnt 0x301
	v_dual_mul_f32 v144, v148, v4 :: v_dual_mul_f32 v145, v150, v10
	v_dual_mul_f32 v4, v149, v4 :: v_dual_fmac_f32 v143, v147, v1
	v_mul_f32_e32 v10, v151, v10
	s_delay_alu instid0(VALU_DEP_3)
	v_dual_mul_f32 v154, v152, v12 :: v_dual_fmac_f32 v145, v151, v9
	v_mul_f32_e32 v12, v153, v12
	v_mul_f32_e32 v2, v147, v2
	v_fmac_f32_e32 v144, v149, v3
	v_fma_f32 v147, v148, v3, -v4
	v_fma_f32 v148, v150, v9, -v10
	v_fmac_f32_e32 v154, v153, v11
	v_fma_f32 v149, v152, v11, -v12
	ds_load_2addr_b64 v[9:12], v21 offset0:79 offset1:80
	s_wait_loadcnt_dscnt 0x201
	v_mul_f32_e32 v150, v5, v14
	v_dual_mul_f32 v14, v6, v14 :: v_dual_mul_f32 v151, v7, v16
	v_mul_f32_e32 v16, v8, v16
	s_delay_alu instid0(VALU_DEP_3) | instskip(NEXT) | instid1(VALU_DEP_3)
	v_fmac_f32_e32 v150, v6, v13
	v_fma_f32 v13, v5, v13, -v14
	s_delay_alu instid0(VALU_DEP_4) | instskip(NEXT) | instid1(VALU_DEP_4)
	v_fmac_f32_e32 v151, v8, v15
	v_fma_f32 v14, v7, v15, -v16
	ds_load_2addr_b64 v[5:8], v21 offset0:81 offset1:82
	s_wait_loadcnt_dscnt 0x101
	v_mul_f32_e32 v15, v9, v18
	v_mul_f32_e32 v16, v10, v18
	;; [unrolled: 1-line block ×3, first 2 shown]
	s_delay_alu instid0(VALU_DEP_3)
	v_dual_mul_f32 v20, v12, v20 :: v_dual_fmac_f32 v15, v10, v17
	v_fma_f32 v146, v146, v1, -v2
	scratch_load_b128 v[1:4], off, off offset:184
	v_fma_f32 v16, v9, v17, -v16
	v_fmac_f32_e32 v18, v12, v19
	v_fma_f32 v17, v11, v19, -v20
	scratch_load_b128 v[9:12], off, off offset:200
	s_wait_loadcnt_dscnt 0x100
	v_mul_f32_e32 v19, v5, v2
	v_mul_f32_e32 v2, v6, v2
	v_mul_f32_e32 v20, v7, v4
	s_delay_alu instid0(VALU_DEP_3) | instskip(NEXT) | instid1(VALU_DEP_3)
	v_dual_mul_f32 v4, v8, v4 :: v_dual_fmac_f32 v19, v6, v1
	v_fma_f32 v152, v5, v1, -v2
	s_delay_alu instid0(VALU_DEP_3) | instskip(NEXT) | instid1(VALU_DEP_3)
	v_fmac_f32_e32 v20, v8, v3
	v_fma_f32 v153, v7, v3, -v4
	ds_load_2addr_b64 v[1:4], v21 offset0:83 offset1:84
	ds_load_2addr_b64 v[5:8], v21 offset0:85 offset1:86
	s_wait_loadcnt_dscnt 0x1
	v_mul_f32_e32 v155, v1, v10
	v_mul_f32_e32 v10, v2, v10
	s_delay_alu instid0(VALU_DEP_2) | instskip(NEXT) | instid1(VALU_DEP_2)
	v_dual_mul_f32 v156, v3, v12 :: v_dual_fmac_f32 v155, v2, v9
	v_fma_f32 v157, v1, v9, -v10
	v_mul_f32_e32 v1, v4, v12
	s_delay_alu instid0(VALU_DEP_3) | instskip(NEXT) | instid1(VALU_DEP_2)
	v_fmac_f32_e32 v156, v4, v11
	v_fma_f32 v158, v3, v11, -v1
	s_clause 0x1
	scratch_load_b128 v[1:4], off, off offset:216
	scratch_load_b128 v[9:12], off, off offset:232
	s_wait_loadcnt_dscnt 0x100
	v_mul_f32_e32 v159, v5, v2
	v_dual_mul_f32 v2, v6, v2 :: v_dual_mul_f32 v161, v7, v4
	s_delay_alu instid0(VALU_DEP_2) | instskip(NEXT) | instid1(VALU_DEP_2)
	v_fmac_f32_e32 v159, v6, v1
	v_fma_f32 v160, v5, v1, -v2
	v_mul_f32_e32 v1, v8, v4
	s_delay_alu instid0(VALU_DEP_4) | instskip(NEXT) | instid1(VALU_DEP_2)
	v_fmac_f32_e32 v161, v8, v3
	v_fma_f32 v162, v7, v3, -v1
	ds_load_2addr_b64 v[1:4], v21 offset0:87 offset1:88
	ds_load_2addr_b64 v[5:8], v21 offset0:89 offset1:90
	s_wait_loadcnt_dscnt 0x1
	v_mul_f32_e32 v163, v1, v10
	v_mul_f32_e32 v165, v3, v12
	s_delay_alu instid0(VALU_DEP_2) | instskip(NEXT) | instid1(VALU_DEP_2)
	v_fmac_f32_e32 v163, v2, v9
	v_dual_mul_f32 v2, v2, v10 :: v_dual_fmac_f32 v165, v4, v11
	s_delay_alu instid0(VALU_DEP_1) | instskip(SKIP_1) | instid1(VALU_DEP_1)
	v_fma_f32 v164, v1, v9, -v2
	v_mul_f32_e32 v1, v4, v12
	v_fma_f32 v166, v3, v11, -v1
	s_clause 0x1
	scratch_load_b128 v[1:4], off, off offset:248
	scratch_load_b128 v[9:12], off, off offset:264
	s_wait_loadcnt_dscnt 0x100
	v_mul_f32_e32 v167, v5, v2
	v_dual_mul_f32 v2, v6, v2 :: v_dual_mul_f32 v169, v7, v4
	s_delay_alu instid0(VALU_DEP_2) | instskip(NEXT) | instid1(VALU_DEP_2)
	v_fmac_f32_e32 v167, v6, v1
	v_fma_f32 v168, v5, v1, -v2
	v_mul_f32_e32 v1, v8, v4
	s_delay_alu instid0(VALU_DEP_4) | instskip(NEXT) | instid1(VALU_DEP_2)
	v_fmac_f32_e32 v169, v8, v3
	v_fma_f32 v170, v7, v3, -v1
	ds_load_2addr_b64 v[1:4], v21 offset0:91 offset1:92
	ds_load_2addr_b64 v[5:8], v21 offset0:93 offset1:94
	s_wait_loadcnt_dscnt 0x1
	v_mul_f32_e32 v171, v1, v10
	v_mul_f32_e32 v173, v3, v12
	s_delay_alu instid0(VALU_DEP_2) | instskip(NEXT) | instid1(VALU_DEP_2)
	v_fmac_f32_e32 v171, v2, v9
	v_dual_mul_f32 v2, v2, v10 :: v_dual_fmac_f32 v173, v4, v11
	s_delay_alu instid0(VALU_DEP_1) | instskip(SKIP_1) | instid1(VALU_DEP_1)
	v_fma_f32 v172, v1, v9, -v2
	v_mul_f32_e32 v1, v4, v12
	;; [unrolled: 25-line block ×5, first 2 shown]
	v_fma_f32 v198, v3, v11, -v1
	s_clause 0x1
	scratch_load_b128 v[1:4], off, off offset:376
	scratch_load_b128 v[9:12], off, off offset:392
	s_wait_loadcnt_dscnt 0x100
	v_mul_f32_e32 v199, v5, v2
	v_mul_f32_e32 v2, v6, v2
	s_delay_alu instid0(VALU_DEP_2) | instskip(NEXT) | instid1(VALU_DEP_2)
	v_fmac_f32_e32 v199, v6, v1
	v_fma_f32 v200, v5, v1, -v2
	v_dual_mul_f32 v1, v8, v4 :: v_dual_add_f32 v2, 0, v23
	s_delay_alu instid0(VALU_DEP_1) | instskip(NEXT) | instid1(VALU_DEP_2)
	v_fma_f32 v202, v7, v3, -v1
	v_dual_add_f32 v1, 0, v22 :: v_dual_add_f32 v2, v2, v24
	s_delay_alu instid0(VALU_DEP_1) | instskip(NEXT) | instid1(VALU_DEP_1)
	v_dual_add_f32 v1, v1, v142 :: v_dual_add_f32 v2, v2, v143
	v_dual_add_f32 v1, v1, v146 :: v_dual_add_f32 v2, v2, v144
	s_delay_alu instid0(VALU_DEP_1) | instskip(NEXT) | instid1(VALU_DEP_1)
	v_dual_add_f32 v1, v1, v147 :: v_dual_add_f32 v2, v2, v145
	;; [unrolled: 3-line block ×5, first 2 shown]
	v_add_f32_e32 v1, v1, v152
	s_delay_alu instid0(VALU_DEP_1) | instskip(NEXT) | instid1(VALU_DEP_1)
	v_dual_add_f32 v2, v2, v20 :: v_dual_add_f32 v1, v1, v153
	v_dual_add_f32 v2, v2, v155 :: v_dual_add_f32 v1, v1, v157
	s_delay_alu instid0(VALU_DEP_1) | instskip(NEXT) | instid1(VALU_DEP_1)
	v_dual_add_f32 v2, v2, v156 :: v_dual_add_f32 v1, v1, v158
	v_dual_add_f32 v2, v2, v159 :: v_dual_add_f32 v1, v1, v160
	;; [unrolled: 3-line block ×4, first 2 shown]
	s_delay_alu instid0(VALU_DEP_1) | instskip(NEXT) | instid1(VALU_DEP_1)
	v_dual_add_f32 v2, v2, v169 :: v_dual_add_f32 v1, v1, v170
	v_add_f32_e32 v1, v1, v172
	s_delay_alu instid0(VALU_DEP_1) | instskip(NEXT) | instid1(VALU_DEP_1)
	v_dual_add_f32 v6, v1, v174 :: v_dual_add_f32 v5, v2, v171
	v_dual_add_f32 v6, v6, v176 :: v_dual_add_f32 v5, v5, v173
	s_delay_alu instid0(VALU_DEP_1) | instskip(NEXT) | instid1(VALU_DEP_2)
	v_add_f32_e32 v13, v6, v178
	v_add_f32_e32 v5, v5, v175
	v_mul_f32_e32 v201, v7, v4
	s_delay_alu instid0(VALU_DEP_3) | instskip(NEXT) | instid1(VALU_DEP_2)
	v_add_f32_e32 v13, v13, v180
	v_dual_add_f32 v14, v5, v177 :: v_dual_fmac_f32 v201, v8, v3
	ds_load_2addr_b64 v[1:4], v21 offset0:107 offset1:108
	ds_load_2addr_b64 v[5:8], v21 offset0:109 offset1:110
	v_add_f32_e32 v13, v13, v182
	s_delay_alu instid0(VALU_DEP_1) | instskip(NEXT) | instid1(VALU_DEP_1)
	v_add_f32_e32 v13, v13, v184
	v_add_f32_e32 v18, v13, v186
	s_delay_alu instid0(VALU_DEP_1)
	v_add_f32_e32 v18, v18, v188
	s_wait_loadcnt_dscnt 0x1
	v_dual_mul_f32 v142, v1, v10 :: v_dual_mul_f32 v143, v3, v12
	v_mul_f32_e32 v10, v2, v10
	v_mul_f32_e32 v12, v4, v12
	v_add_f32_e32 v14, v14, v179
	s_delay_alu instid0(VALU_DEP_4) | instskip(NEXT) | instid1(VALU_DEP_4)
	v_dual_fmac_f32 v142, v2, v9 :: v_dual_fmac_f32 v143, v4, v11
	v_fma_f32 v144, v1, v9, -v10
	s_delay_alu instid0(VALU_DEP_4)
	v_fma_f32 v145, v3, v11, -v12
	s_clause 0x1
	scratch_load_b128 v[1:4], off, off offset:408
	scratch_load_b128 v[9:12], off, off offset:424
	v_add_f32_e32 v14, v14, v181
	v_add_f32_e32 v18, v18, v190
	s_delay_alu instid0(VALU_DEP_2) | instskip(SKIP_2) | instid1(VALU_DEP_1)
	v_add_f32_e32 v17, v14, v183
	scratch_load_b128 v[13:16], off, off offset:440
	v_dual_add_f32 v22, v18, v192 :: v_dual_add_f32 v17, v17, v185
	v_add_f32_e32 v146, v22, v194
	s_delay_alu instid0(VALU_DEP_1) | instskip(NEXT) | instid1(VALU_DEP_1)
	v_add_f32_e32 v146, v146, v196
	v_add_f32_e32 v146, v146, v198
	s_delay_alu instid0(VALU_DEP_1) | instskip(NEXT) | instid1(VALU_DEP_1)
	v_add_f32_e32 v146, v146, v200
	v_add_f32_e32 v146, v146, v202
	s_delay_alu instid0(VALU_DEP_1)
	v_add_f32_e32 v144, v146, v144
	s_wait_loadcnt_dscnt 0x200
	v_mul_f32_e32 v148, v5, v2
	v_add_f32_e32 v17, v17, v187
	v_mul_f32_e32 v149, v7, v4
	v_mul_f32_e32 v4, v8, v4
	;; [unrolled: 1-line block ×3, first 2 shown]
	v_fmac_f32_e32 v148, v6, v1
	v_add_f32_e32 v17, v17, v189
	v_fmac_f32_e32 v149, v8, v3
	v_fma_f32 v3, v7, v3, -v4
	v_fma_f32 v2, v5, v1, -v2
	v_add_f32_e32 v1, v144, v145
	v_add_f32_e32 v23, v17, v191
	ds_load_2addr_b64 v[17:20], v21 offset0:111 offset1:112
	v_add_f32_e32 v1, v1, v2
	v_add_f32_e32 v147, v23, v193
	ds_load_2addr_b64 v[21:24], v21 offset0:113 offset1:114
	v_add_f32_e32 v1, v1, v3
	s_wait_loadcnt_dscnt 0x101
	v_mul_f32_e32 v150, v17, v10
	v_dual_mul_f32 v6, v18, v10 :: v_dual_mul_f32 v151, v19, v12
	v_mul_f32_e32 v4, v20, v12
	s_wait_loadcnt_dscnt 0x0
	v_dual_mul_f32 v152, v21, v14 :: v_dual_add_f32 v147, v147, v195
	v_fmac_f32_e32 v150, v18, v9
	v_mul_f32_e32 v3, v22, v14
	v_fmac_f32_e32 v151, v20, v11
	v_fma_f32 v4, v19, v11, -v4
	v_add_f32_e32 v147, v147, v197
	v_mul_f32_e32 v146, v23, v16
	v_fmac_f32_e32 v152, v22, v13
	v_fma_f32 v3, v21, v13, -v3
	s_delay_alu instid0(VALU_DEP_4) | instskip(NEXT) | instid1(VALU_DEP_1)
	v_add_f32_e32 v147, v147, v199
	v_dual_fmac_f32 v146, v24, v15 :: v_dual_add_f32 v147, v147, v201
	s_delay_alu instid0(VALU_DEP_1) | instskip(NEXT) | instid1(VALU_DEP_1)
	v_add_f32_e32 v142, v147, v142
	v_add_f32_e32 v5, v142, v143
	s_delay_alu instid0(VALU_DEP_1) | instskip(SKIP_1) | instid1(VALU_DEP_2)
	v_add_f32_e32 v2, v5, v148
	v_fma_f32 v5, v17, v9, -v6
	v_add_f32_e32 v2, v2, v149
	s_delay_alu instid0(VALU_DEP_2) | instskip(NEXT) | instid1(VALU_DEP_2)
	v_add_f32_e32 v1, v1, v5
	v_dual_mul_f32 v5, v24, v16 :: v_dual_add_f32 v2, v2, v150
	s_delay_alu instid0(VALU_DEP_2) | instskip(NEXT) | instid1(VALU_DEP_2)
	v_add_f32_e32 v1, v1, v4
	v_fma_f32 v4, v23, v15, -v5
	s_delay_alu instid0(VALU_DEP_3) | instskip(NEXT) | instid1(VALU_DEP_1)
	v_add_f32_e32 v2, v2, v151
	v_dual_add_f32 v1, v1, v3 :: v_dual_add_f32 v2, v2, v152
	s_delay_alu instid0(VALU_DEP_1) | instskip(NEXT) | instid1(VALU_DEP_1)
	v_dual_add_f32 v1, v1, v4 :: v_dual_add_f32 v2, v2, v146
	v_dual_sub_f32 v1, v139, v1 :: v_dual_sub_f32 v2, v140, v2
	scratch_store_b64 off, v[1:2], off offset:96
	v_cmpx_lt_u32_e32 11, v0
	s_cbranch_execz .LBB120_333
; %bb.332:
	scratch_load_b64 v[1:2], off, off offset:88
	v_mov_b32_e32 v3, 0
	s_delay_alu instid0(VALU_DEP_1)
	v_mov_b32_e32 v4, v3
	scratch_store_b64 off, v[3:4], off offset:88
	s_wait_loadcnt 0x0
	ds_store_b64 v141, v[1:2]
.LBB120_333:
	s_wait_alu 0xfffe
	s_or_b32 exec_lo, exec_lo, s0
	s_wait_storecnt_dscnt 0x0
	s_barrier_signal -1
	s_barrier_wait -1
	global_inv scope:SCOPE_SE
	s_clause 0x4
	scratch_load_b128 v[5:8], off, off offset:96
	scratch_load_b128 v[1:4], off, off offset:112
	;; [unrolled: 1-line block ×5, first 2 shown]
	v_mov_b32_e32 v21, 0
	ds_load_b128 v[142:145], v21 offset:560
	ds_load_b128 v[146:149], v21 offset:576
	;; [unrolled: 1-line block ×3, first 2 shown]
	scratch_load_b64 v[22:23], off, off offset:88
	s_mov_b32 s0, exec_lo
	s_wait_loadcnt_dscnt 0x502
	v_mul_f32_e32 v24, v143, v6
	v_dual_mul_f32 v139, v142, v6 :: v_dual_mul_f32 v140, v144, v8
	v_mul_f32_e32 v6, v145, v8
	s_delay_alu instid0(VALU_DEP_3) | instskip(NEXT) | instid1(VALU_DEP_3)
	v_fma_f32 v24, v142, v5, -v24
	v_dual_fmac_f32 v139, v143, v5 :: v_dual_fmac_f32 v140, v145, v7
	s_wait_loadcnt_dscnt 0x401
	v_mul_f32_e32 v143, v146, v2
	v_fma_f32 v142, v144, v7, -v6
	ds_load_b128 v[5:8], v21 offset:608
	s_wait_loadcnt_dscnt 0x301
	v_dual_mul_f32 v144, v148, v4 :: v_dual_mul_f32 v145, v150, v10
	v_dual_mul_f32 v4, v149, v4 :: v_dual_fmac_f32 v143, v147, v1
	v_mul_f32_e32 v10, v151, v10
	s_delay_alu instid0(VALU_DEP_3)
	v_dual_mul_f32 v154, v152, v12 :: v_dual_fmac_f32 v145, v151, v9
	v_mul_f32_e32 v12, v153, v12
	v_mul_f32_e32 v2, v147, v2
	v_fmac_f32_e32 v144, v149, v3
	v_fma_f32 v147, v148, v3, -v4
	v_fma_f32 v148, v150, v9, -v10
	v_fmac_f32_e32 v154, v153, v11
	v_fma_f32 v149, v152, v11, -v12
	ds_load_b128 v[9:12], v21 offset:624
	s_wait_loadcnt_dscnt 0x201
	v_dual_mul_f32 v151, v7, v16 :: v_dual_mul_f32 v150, v5, v14
	v_mul_f32_e32 v14, v6, v14
	v_mul_f32_e32 v16, v8, v16
	s_delay_alu instid0(VALU_DEP_3)
	v_fmac_f32_e32 v151, v8, v15
	v_fma_f32 v146, v146, v1, -v2
	scratch_load_b128 v[1:4], off, off offset:176
	v_fmac_f32_e32 v150, v6, v13
	v_fma_f32 v13, v5, v13, -v14
	v_fma_f32 v14, v7, v15, -v16
	ds_load_b128 v[5:8], v21 offset:640
	s_wait_loadcnt_dscnt 0x201
	v_mul_f32_e32 v15, v9, v18
	v_mul_f32_e32 v16, v10, v18
	;; [unrolled: 1-line block ×3, first 2 shown]
	s_delay_alu instid0(VALU_DEP_3) | instskip(NEXT) | instid1(VALU_DEP_3)
	v_dual_mul_f32 v20, v12, v20 :: v_dual_fmac_f32 v15, v10, v17
	v_fma_f32 v16, v9, v17, -v16
	s_delay_alu instid0(VALU_DEP_3) | instskip(NEXT) | instid1(VALU_DEP_3)
	v_fmac_f32_e32 v18, v12, v19
	v_fma_f32 v17, v11, v19, -v20
	scratch_load_b128 v[9:12], off, off offset:192
	s_wait_loadcnt_dscnt 0x100
	v_mul_f32_e32 v19, v5, v2
	v_mul_f32_e32 v2, v6, v2
	;; [unrolled: 1-line block ×3, first 2 shown]
	s_delay_alu instid0(VALU_DEP_3) | instskip(NEXT) | instid1(VALU_DEP_3)
	v_dual_mul_f32 v4, v8, v4 :: v_dual_fmac_f32 v19, v6, v1
	v_fma_f32 v152, v5, v1, -v2
	s_delay_alu instid0(VALU_DEP_3) | instskip(NEXT) | instid1(VALU_DEP_3)
	v_fmac_f32_e32 v20, v8, v3
	v_fma_f32 v153, v7, v3, -v4
	ds_load_b128 v[1:4], v21 offset:656
	ds_load_b128 v[5:8], v21 offset:672
	s_wait_loadcnt_dscnt 0x1
	v_mul_f32_e32 v155, v1, v10
	v_mul_f32_e32 v10, v2, v10
	s_delay_alu instid0(VALU_DEP_2) | instskip(NEXT) | instid1(VALU_DEP_2)
	v_dual_mul_f32 v156, v3, v12 :: v_dual_fmac_f32 v155, v2, v9
	v_fma_f32 v157, v1, v9, -v10
	v_mul_f32_e32 v1, v4, v12
	s_delay_alu instid0(VALU_DEP_3) | instskip(NEXT) | instid1(VALU_DEP_2)
	v_fmac_f32_e32 v156, v4, v11
	v_fma_f32 v158, v3, v11, -v1
	s_clause 0x1
	scratch_load_b128 v[1:4], off, off offset:208
	scratch_load_b128 v[9:12], off, off offset:224
	s_wait_loadcnt_dscnt 0x100
	v_mul_f32_e32 v159, v5, v2
	v_dual_mul_f32 v2, v6, v2 :: v_dual_mul_f32 v161, v7, v4
	s_delay_alu instid0(VALU_DEP_2) | instskip(NEXT) | instid1(VALU_DEP_2)
	v_fmac_f32_e32 v159, v6, v1
	v_fma_f32 v160, v5, v1, -v2
	v_mul_f32_e32 v1, v8, v4
	s_delay_alu instid0(VALU_DEP_4) | instskip(NEXT) | instid1(VALU_DEP_2)
	v_fmac_f32_e32 v161, v8, v3
	v_fma_f32 v162, v7, v3, -v1
	ds_load_b128 v[1:4], v21 offset:688
	ds_load_b128 v[5:8], v21 offset:704
	s_wait_loadcnt_dscnt 0x1
	v_mul_f32_e32 v163, v1, v10
	v_mul_f32_e32 v165, v3, v12
	s_delay_alu instid0(VALU_DEP_2) | instskip(NEXT) | instid1(VALU_DEP_2)
	v_fmac_f32_e32 v163, v2, v9
	v_dual_mul_f32 v2, v2, v10 :: v_dual_fmac_f32 v165, v4, v11
	s_delay_alu instid0(VALU_DEP_1) | instskip(SKIP_1) | instid1(VALU_DEP_1)
	v_fma_f32 v164, v1, v9, -v2
	v_mul_f32_e32 v1, v4, v12
	v_fma_f32 v166, v3, v11, -v1
	s_clause 0x1
	scratch_load_b128 v[1:4], off, off offset:240
	scratch_load_b128 v[9:12], off, off offset:256
	s_wait_loadcnt_dscnt 0x100
	v_mul_f32_e32 v167, v5, v2
	v_dual_mul_f32 v169, v7, v4 :: v_dual_mul_f32 v2, v6, v2
	s_delay_alu instid0(VALU_DEP_2) | instskip(NEXT) | instid1(VALU_DEP_2)
	v_fmac_f32_e32 v167, v6, v1
	v_fmac_f32_e32 v169, v8, v3
	s_delay_alu instid0(VALU_DEP_3) | instskip(SKIP_1) | instid1(VALU_DEP_1)
	v_fma_f32 v168, v5, v1, -v2
	v_mul_f32_e32 v1, v8, v4
	v_fma_f32 v170, v7, v3, -v1
	ds_load_b128 v[1:4], v21 offset:720
	ds_load_b128 v[5:8], v21 offset:736
	s_wait_loadcnt_dscnt 0x1
	v_mul_f32_e32 v171, v1, v10
	v_mul_f32_e32 v173, v3, v12
	s_delay_alu instid0(VALU_DEP_2) | instskip(NEXT) | instid1(VALU_DEP_2)
	v_fmac_f32_e32 v171, v2, v9
	v_dual_mul_f32 v2, v2, v10 :: v_dual_fmac_f32 v173, v4, v11
	s_delay_alu instid0(VALU_DEP_1) | instskip(SKIP_1) | instid1(VALU_DEP_1)
	v_fma_f32 v172, v1, v9, -v2
	v_mul_f32_e32 v1, v4, v12
	v_fma_f32 v174, v3, v11, -v1
	s_clause 0x1
	scratch_load_b128 v[1:4], off, off offset:272
	scratch_load_b128 v[9:12], off, off offset:288
	s_wait_loadcnt_dscnt 0x100
	v_mul_f32_e32 v175, v5, v2
	v_dual_mul_f32 v2, v6, v2 :: v_dual_mul_f32 v177, v7, v4
	s_delay_alu instid0(VALU_DEP_2) | instskip(NEXT) | instid1(VALU_DEP_2)
	v_fmac_f32_e32 v175, v6, v1
	v_fma_f32 v176, v5, v1, -v2
	v_mul_f32_e32 v1, v8, v4
	s_delay_alu instid0(VALU_DEP_4) | instskip(NEXT) | instid1(VALU_DEP_2)
	v_fmac_f32_e32 v177, v8, v3
	v_fma_f32 v178, v7, v3, -v1
	ds_load_b128 v[1:4], v21 offset:752
	ds_load_b128 v[5:8], v21 offset:768
	s_wait_loadcnt_dscnt 0x1
	v_mul_f32_e32 v179, v1, v10
	v_mul_f32_e32 v181, v3, v12
	s_delay_alu instid0(VALU_DEP_2) | instskip(NEXT) | instid1(VALU_DEP_2)
	v_fmac_f32_e32 v179, v2, v9
	v_dual_mul_f32 v2, v2, v10 :: v_dual_fmac_f32 v181, v4, v11
	s_delay_alu instid0(VALU_DEP_1) | instskip(SKIP_1) | instid1(VALU_DEP_1)
	v_fma_f32 v180, v1, v9, -v2
	v_mul_f32_e32 v1, v4, v12
	v_fma_f32 v182, v3, v11, -v1
	s_clause 0x1
	scratch_load_b128 v[1:4], off, off offset:304
	scratch_load_b128 v[9:12], off, off offset:320
	s_wait_loadcnt_dscnt 0x100
	v_mul_f32_e32 v183, v5, v2
	v_dual_mul_f32 v2, v6, v2 :: v_dual_mul_f32 v185, v7, v4
	s_delay_alu instid0(VALU_DEP_2) | instskip(NEXT) | instid1(VALU_DEP_2)
	v_fmac_f32_e32 v183, v6, v1
	v_fma_f32 v184, v5, v1, -v2
	v_mul_f32_e32 v1, v8, v4
	s_delay_alu instid0(VALU_DEP_4) | instskip(NEXT) | instid1(VALU_DEP_2)
	v_fmac_f32_e32 v185, v8, v3
	;; [unrolled: 25-line block ×3, first 2 shown]
	v_fma_f32 v194, v7, v3, -v1
	ds_load_b128 v[1:4], v21 offset:816
	ds_load_b128 v[5:8], v21 offset:832
	s_wait_loadcnt_dscnt 0x1
	v_mul_f32_e32 v195, v1, v10
	v_mul_f32_e32 v197, v3, v12
	s_delay_alu instid0(VALU_DEP_2) | instskip(NEXT) | instid1(VALU_DEP_2)
	v_fmac_f32_e32 v195, v2, v9
	v_dual_mul_f32 v2, v2, v10 :: v_dual_fmac_f32 v197, v4, v11
	s_delay_alu instid0(VALU_DEP_1) | instskip(SKIP_1) | instid1(VALU_DEP_1)
	v_fma_f32 v196, v1, v9, -v2
	v_mul_f32_e32 v1, v4, v12
	v_fma_f32 v198, v3, v11, -v1
	s_clause 0x1
	scratch_load_b128 v[1:4], off, off offset:368
	scratch_load_b128 v[9:12], off, off offset:384
	s_wait_loadcnt_dscnt 0x100
	v_mul_f32_e32 v199, v5, v2
	v_dual_mul_f32 v2, v6, v2 :: v_dual_mul_f32 v201, v7, v4
	s_delay_alu instid0(VALU_DEP_2) | instskip(NEXT) | instid1(VALU_DEP_2)
	v_fmac_f32_e32 v199, v6, v1
	v_fma_f32 v200, v5, v1, -v2
	v_dual_add_f32 v2, 0, v139 :: v_dual_mul_f32 v1, v8, v4
	s_delay_alu instid0(VALU_DEP_1) | instskip(NEXT) | instid1(VALU_DEP_2)
	v_dual_fmac_f32 v201, v8, v3 :: v_dual_add_f32 v2, v2, v140
	v_fma_f32 v202, v7, v3, -v1
	scratch_load_b64 v[139:140], off, off offset:448
	v_add_f32_e32 v2, v2, v143
	s_delay_alu instid0(VALU_DEP_1) | instskip(NEXT) | instid1(VALU_DEP_1)
	v_add_f32_e32 v2, v2, v144
	v_dual_add_f32 v1, 0, v24 :: v_dual_add_f32 v2, v2, v145
	s_delay_alu instid0(VALU_DEP_1) | instskip(NEXT) | instid1(VALU_DEP_2)
	v_add_f32_e32 v1, v1, v142
	v_add_f32_e32 v2, v2, v154
	s_delay_alu instid0(VALU_DEP_2) | instskip(NEXT) | instid1(VALU_DEP_1)
	v_add_f32_e32 v1, v1, v146
	v_dual_add_f32 v2, v2, v150 :: v_dual_add_f32 v1, v1, v147
	s_delay_alu instid0(VALU_DEP_1) | instskip(NEXT) | instid1(VALU_DEP_1)
	v_dual_add_f32 v2, v2, v151 :: v_dual_add_f32 v1, v1, v148
	v_dual_add_f32 v2, v2, v15 :: v_dual_add_f32 v1, v1, v149
	s_delay_alu instid0(VALU_DEP_1) | instskip(NEXT) | instid1(VALU_DEP_1)
	v_dual_add_f32 v2, v2, v18 :: v_dual_add_f32 v1, v1, v13
	v_add_f32_e32 v2, v2, v19
	s_delay_alu instid0(VALU_DEP_1) | instskip(NEXT) | instid1(VALU_DEP_1)
	v_add_f32_e32 v2, v2, v20
	v_add_f32_e32 v2, v2, v155
	s_delay_alu instid0(VALU_DEP_1) | instskip(NEXT) | instid1(VALU_DEP_1)
	v_add_f32_e32 v2, v2, v156
	;; [unrolled: 3-line block ×4, first 2 shown]
	v_add_f32_e32 v2, v2, v167
	s_delay_alu instid0(VALU_DEP_1) | instskip(NEXT) | instid1(VALU_DEP_1)
	v_dual_add_f32 v2, v2, v169 :: v_dual_add_f32 v1, v1, v14
	v_add_f32_e32 v1, v1, v16
	s_delay_alu instid0(VALU_DEP_1) | instskip(NEXT) | instid1(VALU_DEP_1)
	v_add_f32_e32 v1, v1, v17
	v_add_f32_e32 v1, v1, v152
	s_delay_alu instid0(VALU_DEP_1) | instskip(NEXT) | instid1(VALU_DEP_1)
	v_add_f32_e32 v1, v1, v153
	;; [unrolled: 3-line block ×6, first 2 shown]
	v_add_f32_e32 v1, v1, v172
	s_delay_alu instid0(VALU_DEP_1) | instskip(SKIP_2) | instid1(VALU_DEP_1)
	v_dual_add_f32 v6, v1, v174 :: v_dual_add_f32 v5, v2, v171
	ds_load_b128 v[1:4], v21 offset:848
	v_dual_add_f32 v6, v6, v176 :: v_dual_add_f32 v5, v5, v173
	v_add_f32_e32 v13, v6, v178
	s_delay_alu instid0(VALU_DEP_2) | instskip(NEXT) | instid1(VALU_DEP_2)
	v_add_f32_e32 v5, v5, v175
	v_add_f32_e32 v13, v13, v180
	s_delay_alu instid0(VALU_DEP_2)
	v_add_f32_e32 v14, v5, v177
	ds_load_b128 v[5:8], v21 offset:864
	v_add_f32_e32 v13, v13, v182
	s_wait_loadcnt_dscnt 0x101
	v_mul_f32_e32 v24, v1, v10
	v_mul_f32_e32 v10, v2, v10
	;; [unrolled: 1-line block ×4, first 2 shown]
	s_delay_alu instid0(VALU_DEP_4) | instskip(NEXT) | instid1(VALU_DEP_4)
	v_dual_add_f32 v13, v13, v184 :: v_dual_fmac_f32 v24, v2, v9
	v_fma_f32 v149, v1, v9, -v10
	s_delay_alu instid0(VALU_DEP_4) | instskip(NEXT) | instid1(VALU_DEP_4)
	v_fmac_f32_e32 v148, v4, v11
	v_fma_f32 v150, v3, v11, -v12
	s_clause 0x1
	scratch_load_b128 v[1:4], off, off offset:400
	scratch_load_b128 v[9:12], off, off offset:416
	v_add_f32_e32 v18, v13, v186
	v_add_f32_e32 v14, v14, v179
	s_delay_alu instid0(VALU_DEP_2) | instskip(NEXT) | instid1(VALU_DEP_2)
	v_add_f32_e32 v18, v18, v188
	v_add_f32_e32 v14, v14, v181
	s_delay_alu instid0(VALU_DEP_2) | instskip(NEXT) | instid1(VALU_DEP_1)
	v_add_f32_e32 v18, v18, v190
	v_add_f32_e32 v18, v18, v192
	s_delay_alu instid0(VALU_DEP_1) | instskip(NEXT) | instid1(VALU_DEP_1)
	v_add_f32_e32 v18, v18, v194
	v_add_f32_e32 v146, v18, v196
	s_delay_alu instid0(VALU_DEP_1) | instskip(NEXT) | instid1(VALU_DEP_1)
	v_add_f32_e32 v151, v146, v198
	v_add_f32_e32 v151, v151, v200
	s_delay_alu instid0(VALU_DEP_1) | instskip(NEXT) | instid1(VALU_DEP_1)
	v_add_f32_e32 v151, v151, v202
	v_add_f32_e32 v149, v151, v149
	s_delay_alu instid0(VALU_DEP_1) | instskip(SKIP_4) | instid1(VALU_DEP_3)
	v_add_f32_e32 v149, v149, v150
	s_wait_loadcnt_dscnt 0x100
	v_mul_f32_e32 v153, v5, v2
	v_mul_f32_e32 v2, v6, v2
	;; [unrolled: 1-line block ×3, first 2 shown]
	v_dual_mul_f32 v4, v8, v4 :: v_dual_fmac_f32 v153, v6, v1
	s_delay_alu instid0(VALU_DEP_3)
	v_fma_f32 v2, v5, v1, -v2
	v_add_f32_e32 v17, v14, v183
	scratch_load_b128 v[13:16], off, off offset:432
	v_fmac_f32_e32 v154, v8, v3
	v_fma_f32 v1, v7, v3, -v4
	v_add_f32_e32 v2, v149, v2
	v_add_f32_e32 v17, v17, v185
	s_delay_alu instid0(VALU_DEP_2) | instskip(NEXT) | instid1(VALU_DEP_2)
	v_add_f32_e32 v1, v2, v1
	v_add_f32_e32 v17, v17, v187
	s_delay_alu instid0(VALU_DEP_1) | instskip(NEXT) | instid1(VALU_DEP_1)
	v_add_f32_e32 v17, v17, v189
	v_add_f32_e32 v17, v17, v191
	s_delay_alu instid0(VALU_DEP_1)
	v_add_f32_e32 v142, v17, v193
	ds_load_b128 v[17:20], v21 offset:880
	v_add_f32_e32 v147, v142, v195
	ds_load_b128 v[142:145], v21 offset:896
	v_add_f32_e32 v152, v147, v197
	ds_load_b64 v[146:147], v21 offset:912
	v_add_f32_e32 v152, v152, v199
	s_wait_loadcnt_dscnt 0x102
	s_delay_alu instid0(VALU_DEP_1) | instskip(SKIP_2) | instid1(VALU_DEP_3)
	v_dual_add_f32 v152, v152, v201 :: v_dual_mul_f32 v151, v17, v10
	v_mul_f32_e32 v3, v18, v10
	v_mul_f32_e32 v5, v20, v12
	v_add_f32_e32 v24, v152, v24
	s_delay_alu instid0(VALU_DEP_4) | instskip(NEXT) | instid1(VALU_DEP_4)
	v_dual_mul_f32 v152, v19, v12 :: v_dual_fmac_f32 v151, v18, v9
	v_fma_f32 v3, v17, v9, -v3
	s_delay_alu instid0(VALU_DEP_4) | instskip(NEXT) | instid1(VALU_DEP_4)
	v_fma_f32 v5, v19, v11, -v5
	v_add_f32_e32 v24, v24, v148
	s_delay_alu instid0(VALU_DEP_4) | instskip(SKIP_2) | instid1(VALU_DEP_3)
	v_fmac_f32_e32 v152, v20, v11
	s_wait_dscnt 0x0
	v_dual_mul_f32 v148, v146, v140 :: v_dual_add_f32 v1, v1, v3
	v_add_f32_e32 v4, v24, v153
	s_delay_alu instid0(VALU_DEP_2) | instskip(NEXT) | instid1(VALU_DEP_2)
	v_dual_fmac_f32 v148, v147, v139 :: v_dual_add_f32 v1, v1, v5
	v_dual_mul_f32 v5, v147, v140 :: v_dual_add_f32 v2, v4, v154
	s_delay_alu instid0(VALU_DEP_1) | instskip(NEXT) | instid1(VALU_DEP_1)
	v_add_f32_e32 v2, v2, v151
	v_add_f32_e32 v2, v2, v152
	s_wait_loadcnt 0x0
	v_mul_f32_e32 v155, v142, v14
	v_mul_f32_e32 v4, v143, v14
	;; [unrolled: 1-line block ×4, first 2 shown]
	s_delay_alu instid0(VALU_DEP_4) | instskip(NEXT) | instid1(VALU_DEP_4)
	v_fmac_f32_e32 v155, v143, v13
	v_fma_f32 v4, v142, v13, -v4
	s_delay_alu instid0(VALU_DEP_4) | instskip(NEXT) | instid1(VALU_DEP_4)
	v_fmac_f32_e32 v150, v145, v15
	v_fma_f32 v3, v144, v15, -v3
	s_delay_alu instid0(VALU_DEP_3) | instskip(SKIP_1) | instid1(VALU_DEP_2)
	v_dual_add_f32 v2, v2, v155 :: v_dual_add_f32 v1, v1, v4
	v_fma_f32 v4, v146, v139, -v5
	v_dual_add_f32 v2, v2, v150 :: v_dual_add_f32 v1, v1, v3
	s_delay_alu instid0(VALU_DEP_1) | instskip(NEXT) | instid1(VALU_DEP_1)
	v_add_f32_e32 v2, v2, v148
	v_dual_add_f32 v1, v1, v4 :: v_dual_sub_f32 v2, v23, v2
	s_delay_alu instid0(VALU_DEP_1)
	v_sub_f32_e32 v1, v22, v1
	scratch_store_b64 off, v[1:2], off offset:88
	v_cmpx_lt_u32_e32 10, v0
	s_cbranch_execz .LBB120_335
; %bb.334:
	scratch_load_b64 v[1:2], off, off offset:80
	v_mov_b32_e32 v22, v21
	scratch_store_b64 off, v[21:22], off offset:80
	s_wait_loadcnt 0x0
	ds_store_b64 v141, v[1:2]
.LBB120_335:
	s_wait_alu 0xfffe
	s_or_b32 exec_lo, exec_lo, s0
	s_wait_storecnt_dscnt 0x0
	s_barrier_signal -1
	s_barrier_wait -1
	global_inv scope:SCOPE_SE
	s_clause 0x4
	scratch_load_b128 v[5:8], off, off offset:88
	scratch_load_b128 v[1:4], off, off offset:104
	;; [unrolled: 1-line block ×5, first 2 shown]
	ds_load_2addr_b64 v[142:145], v21 offset0:69 offset1:70
	ds_load_2addr_b64 v[146:149], v21 offset0:71 offset1:72
	;; [unrolled: 1-line block ×3, first 2 shown]
	scratch_load_b64 v[139:140], off, off offset:80
	s_mov_b32 s0, exec_lo
	s_wait_loadcnt_dscnt 0x502
	v_mul_f32_e32 v22, v143, v6
	v_dual_mul_f32 v23, v142, v6 :: v_dual_mul_f32 v24, v144, v8
	v_mul_f32_e32 v6, v145, v8
	s_delay_alu instid0(VALU_DEP_3) | instskip(NEXT) | instid1(VALU_DEP_3)
	v_fma_f32 v22, v142, v5, -v22
	v_dual_fmac_f32 v23, v143, v5 :: v_dual_fmac_f32 v24, v145, v7
	s_wait_loadcnt_dscnt 0x401
	v_mul_f32_e32 v143, v146, v2
	v_fma_f32 v142, v144, v7, -v6
	ds_load_2addr_b64 v[5:8], v21 offset0:75 offset1:76
	s_wait_loadcnt_dscnt 0x301
	v_dual_mul_f32 v144, v148, v4 :: v_dual_mul_f32 v145, v150, v10
	v_dual_mul_f32 v4, v149, v4 :: v_dual_fmac_f32 v143, v147, v1
	v_mul_f32_e32 v10, v151, v10
	s_delay_alu instid0(VALU_DEP_3)
	v_dual_mul_f32 v154, v152, v12 :: v_dual_fmac_f32 v145, v151, v9
	v_mul_f32_e32 v12, v153, v12
	v_mul_f32_e32 v2, v147, v2
	v_fmac_f32_e32 v144, v149, v3
	v_fma_f32 v147, v148, v3, -v4
	v_fma_f32 v148, v150, v9, -v10
	v_fmac_f32_e32 v154, v153, v11
	v_fma_f32 v149, v152, v11, -v12
	ds_load_2addr_b64 v[9:12], v21 offset0:77 offset1:78
	s_wait_loadcnt_dscnt 0x201
	v_mul_f32_e32 v150, v5, v14
	v_dual_mul_f32 v14, v6, v14 :: v_dual_mul_f32 v151, v7, v16
	v_mul_f32_e32 v16, v8, v16
	s_delay_alu instid0(VALU_DEP_3) | instskip(NEXT) | instid1(VALU_DEP_3)
	v_fmac_f32_e32 v150, v6, v13
	v_fma_f32 v13, v5, v13, -v14
	s_delay_alu instid0(VALU_DEP_4) | instskip(NEXT) | instid1(VALU_DEP_4)
	v_fmac_f32_e32 v151, v8, v15
	v_fma_f32 v14, v7, v15, -v16
	ds_load_2addr_b64 v[5:8], v21 offset0:79 offset1:80
	s_wait_loadcnt_dscnt 0x101
	v_mul_f32_e32 v15, v9, v18
	v_mul_f32_e32 v16, v10, v18
	;; [unrolled: 1-line block ×3, first 2 shown]
	s_delay_alu instid0(VALU_DEP_3)
	v_dual_mul_f32 v20, v12, v20 :: v_dual_fmac_f32 v15, v10, v17
	v_fma_f32 v146, v146, v1, -v2
	scratch_load_b128 v[1:4], off, off offset:168
	v_fma_f32 v16, v9, v17, -v16
	v_fmac_f32_e32 v18, v12, v19
	v_fma_f32 v17, v11, v19, -v20
	scratch_load_b128 v[9:12], off, off offset:184
	s_wait_loadcnt_dscnt 0x100
	v_mul_f32_e32 v19, v5, v2
	v_mul_f32_e32 v2, v6, v2
	;; [unrolled: 1-line block ×3, first 2 shown]
	s_delay_alu instid0(VALU_DEP_3) | instskip(NEXT) | instid1(VALU_DEP_3)
	v_dual_mul_f32 v4, v8, v4 :: v_dual_fmac_f32 v19, v6, v1
	v_fma_f32 v152, v5, v1, -v2
	s_delay_alu instid0(VALU_DEP_3) | instskip(NEXT) | instid1(VALU_DEP_3)
	v_fmac_f32_e32 v20, v8, v3
	v_fma_f32 v153, v7, v3, -v4
	ds_load_2addr_b64 v[1:4], v21 offset0:81 offset1:82
	ds_load_2addr_b64 v[5:8], v21 offset0:83 offset1:84
	s_wait_loadcnt_dscnt 0x1
	v_mul_f32_e32 v155, v1, v10
	v_mul_f32_e32 v10, v2, v10
	s_delay_alu instid0(VALU_DEP_2) | instskip(NEXT) | instid1(VALU_DEP_2)
	v_dual_mul_f32 v156, v3, v12 :: v_dual_fmac_f32 v155, v2, v9
	v_fma_f32 v157, v1, v9, -v10
	v_mul_f32_e32 v1, v4, v12
	s_delay_alu instid0(VALU_DEP_3) | instskip(NEXT) | instid1(VALU_DEP_2)
	v_fmac_f32_e32 v156, v4, v11
	v_fma_f32 v158, v3, v11, -v1
	s_clause 0x1
	scratch_load_b128 v[1:4], off, off offset:200
	scratch_load_b128 v[9:12], off, off offset:216
	s_wait_loadcnt_dscnt 0x100
	v_mul_f32_e32 v159, v5, v2
	v_dual_mul_f32 v2, v6, v2 :: v_dual_mul_f32 v161, v7, v4
	s_delay_alu instid0(VALU_DEP_2) | instskip(NEXT) | instid1(VALU_DEP_2)
	v_fmac_f32_e32 v159, v6, v1
	v_fma_f32 v160, v5, v1, -v2
	v_mul_f32_e32 v1, v8, v4
	s_delay_alu instid0(VALU_DEP_4) | instskip(NEXT) | instid1(VALU_DEP_2)
	v_fmac_f32_e32 v161, v8, v3
	v_fma_f32 v162, v7, v3, -v1
	ds_load_2addr_b64 v[1:4], v21 offset0:85 offset1:86
	ds_load_2addr_b64 v[5:8], v21 offset0:87 offset1:88
	s_wait_loadcnt_dscnt 0x1
	v_mul_f32_e32 v163, v1, v10
	v_mul_f32_e32 v165, v3, v12
	s_delay_alu instid0(VALU_DEP_2) | instskip(NEXT) | instid1(VALU_DEP_2)
	v_fmac_f32_e32 v163, v2, v9
	v_dual_mul_f32 v2, v2, v10 :: v_dual_fmac_f32 v165, v4, v11
	s_delay_alu instid0(VALU_DEP_1) | instskip(SKIP_1) | instid1(VALU_DEP_1)
	v_fma_f32 v164, v1, v9, -v2
	v_mul_f32_e32 v1, v4, v12
	v_fma_f32 v166, v3, v11, -v1
	s_clause 0x1
	scratch_load_b128 v[1:4], off, off offset:232
	scratch_load_b128 v[9:12], off, off offset:248
	s_wait_loadcnt_dscnt 0x100
	v_mul_f32_e32 v167, v5, v2
	v_dual_mul_f32 v2, v6, v2 :: v_dual_mul_f32 v169, v7, v4
	s_delay_alu instid0(VALU_DEP_2) | instskip(NEXT) | instid1(VALU_DEP_2)
	v_fmac_f32_e32 v167, v6, v1
	v_fma_f32 v168, v5, v1, -v2
	v_mul_f32_e32 v1, v8, v4
	s_delay_alu instid0(VALU_DEP_4) | instskip(NEXT) | instid1(VALU_DEP_2)
	v_fmac_f32_e32 v169, v8, v3
	v_fma_f32 v170, v7, v3, -v1
	ds_load_2addr_b64 v[1:4], v21 offset0:89 offset1:90
	ds_load_2addr_b64 v[5:8], v21 offset0:91 offset1:92
	s_wait_loadcnt_dscnt 0x1
	v_mul_f32_e32 v171, v1, v10
	v_mul_f32_e32 v173, v3, v12
	s_delay_alu instid0(VALU_DEP_2) | instskip(NEXT) | instid1(VALU_DEP_2)
	v_fmac_f32_e32 v171, v2, v9
	v_dual_mul_f32 v2, v2, v10 :: v_dual_fmac_f32 v173, v4, v11
	s_delay_alu instid0(VALU_DEP_1) | instskip(SKIP_1) | instid1(VALU_DEP_1)
	v_fma_f32 v172, v1, v9, -v2
	v_mul_f32_e32 v1, v4, v12
	;; [unrolled: 25-line block ×5, first 2 shown]
	v_fma_f32 v198, v3, v11, -v1
	s_clause 0x1
	scratch_load_b128 v[1:4], off, off offset:360
	scratch_load_b128 v[9:12], off, off offset:376
	s_wait_loadcnt_dscnt 0x100
	v_mul_f32_e32 v199, v5, v2
	v_mul_f32_e32 v2, v6, v2
	s_delay_alu instid0(VALU_DEP_2) | instskip(NEXT) | instid1(VALU_DEP_2)
	v_fmac_f32_e32 v199, v6, v1
	v_fma_f32 v200, v5, v1, -v2
	v_dual_add_f32 v2, 0, v23 :: v_dual_mul_f32 v1, v8, v4
	s_delay_alu instid0(VALU_DEP_1) | instskip(NEXT) | instid1(VALU_DEP_2)
	v_add_f32_e32 v2, v2, v24
	v_fma_f32 v202, v7, v3, -v1
	s_delay_alu instid0(VALU_DEP_2) | instskip(NEXT) | instid1(VALU_DEP_1)
	v_dual_add_f32 v1, 0, v22 :: v_dual_add_f32 v2, v2, v143
	v_dual_add_f32 v1, v1, v142 :: v_dual_add_f32 v2, v2, v144
	s_delay_alu instid0(VALU_DEP_1) | instskip(NEXT) | instid1(VALU_DEP_1)
	v_add_f32_e32 v2, v2, v145
	v_add_f32_e32 v2, v2, v154
	s_delay_alu instid0(VALU_DEP_1) | instskip(NEXT) | instid1(VALU_DEP_1)
	v_add_f32_e32 v2, v2, v150
	v_dual_add_f32 v1, v1, v146 :: v_dual_add_f32 v2, v2, v151
	s_delay_alu instid0(VALU_DEP_1) | instskip(NEXT) | instid1(VALU_DEP_1)
	v_add_f32_e32 v1, v1, v147
	v_dual_add_f32 v2, v2, v15 :: v_dual_add_f32 v1, v1, v148
	s_delay_alu instid0(VALU_DEP_1) | instskip(NEXT) | instid1(VALU_DEP_1)
	v_dual_add_f32 v2, v2, v18 :: v_dual_add_f32 v1, v1, v149
	v_dual_add_f32 v2, v2, v19 :: v_dual_add_f32 v1, v1, v13
	s_delay_alu instid0(VALU_DEP_1) | instskip(NEXT) | instid1(VALU_DEP_1)
	v_dual_add_f32 v2, v2, v20 :: v_dual_add_f32 v1, v1, v14
	;; [unrolled: 3-line block ×3, first 2 shown]
	v_dual_add_f32 v2, v2, v159 :: v_dual_add_f32 v1, v1, v152
	s_delay_alu instid0(VALU_DEP_1) | instskip(NEXT) | instid1(VALU_DEP_1)
	v_add_f32_e32 v2, v2, v161
	v_dual_add_f32 v1, v1, v153 :: v_dual_add_f32 v2, v2, v163
	s_delay_alu instid0(VALU_DEP_1) | instskip(NEXT) | instid1(VALU_DEP_1)
	v_add_f32_e32 v1, v1, v157
	v_dual_add_f32 v2, v2, v165 :: v_dual_add_f32 v1, v1, v158
	s_delay_alu instid0(VALU_DEP_1) | instskip(NEXT) | instid1(VALU_DEP_1)
	v_dual_add_f32 v2, v2, v167 :: v_dual_add_f32 v1, v1, v160
	v_dual_add_f32 v2, v2, v169 :: v_dual_add_f32 v1, v1, v162
	s_delay_alu instid0(VALU_DEP_1) | instskip(NEXT) | instid1(VALU_DEP_1)
	v_add_f32_e32 v1, v1, v164
	v_add_f32_e32 v1, v1, v166
	s_delay_alu instid0(VALU_DEP_1) | instskip(NEXT) | instid1(VALU_DEP_1)
	v_add_f32_e32 v1, v1, v168
	v_add_f32_e32 v1, v1, v170
	;; [unrolled: 3-line block ×3, first 2 shown]
	s_delay_alu instid0(VALU_DEP_1) | instskip(SKIP_1) | instid1(VALU_DEP_2)
	v_add_f32_e32 v6, v1, v176
	v_dual_add_f32 v2, v2, v171 :: v_dual_mul_f32 v201, v7, v4
	v_add_f32_e32 v14, v6, v178
	s_delay_alu instid0(VALU_DEP_2) | instskip(NEXT) | instid1(VALU_DEP_3)
	v_add_f32_e32 v5, v2, v173
	v_fmac_f32_e32 v201, v8, v3
	ds_load_2addr_b64 v[1:4], v21 offset0:105 offset1:106
	v_dual_add_f32 v14, v14, v180 :: v_dual_add_f32 v13, v5, v175
	scratch_load_b128 v[5:8], off, off offset:392
	v_add_f32_e32 v17, v14, v182
	v_add_f32_e32 v13, v13, v177
	s_delay_alu instid0(VALU_DEP_2) | instskip(NEXT) | instid1(VALU_DEP_2)
	v_add_f32_e32 v17, v17, v184
	v_add_f32_e32 v13, v13, v179
	s_delay_alu instid0(VALU_DEP_2) | instskip(NEXT) | instid1(VALU_DEP_2)
	v_add_f32_e32 v17, v17, v186
	v_add_f32_e32 v18, v13, v181
	ds_load_2addr_b64 v[13:16], v21 offset0:107 offset1:108
	s_wait_loadcnt_dscnt 0x101
	v_mul_f32_e32 v142, v1, v10
	v_dual_mul_f32 v10, v2, v10 :: v_dual_mul_f32 v143, v3, v12
	v_mul_f32_e32 v12, v4, v12
	s_delay_alu instid0(VALU_DEP_3) | instskip(NEXT) | instid1(VALU_DEP_3)
	v_dual_add_f32 v17, v17, v188 :: v_dual_fmac_f32 v142, v2, v9
	v_fma_f32 v144, v1, v9, -v10
	s_delay_alu instid0(VALU_DEP_4) | instskip(NEXT) | instid1(VALU_DEP_4)
	v_fmac_f32_e32 v143, v4, v11
	v_fma_f32 v145, v3, v11, -v12
	s_clause 0x1
	scratch_load_b128 v[1:4], off, off offset:408
	scratch_load_b128 v[9:12], off, off offset:424
	v_add_f32_e32 v23, v17, v190
	s_delay_alu instid0(VALU_DEP_1) | instskip(NEXT) | instid1(VALU_DEP_1)
	v_add_f32_e32 v23, v23, v192
	v_add_f32_e32 v23, v23, v194
	s_wait_loadcnt_dscnt 0x200
	v_mul_f32_e32 v146, v13, v6
	v_dual_add_f32 v18, v18, v183 :: v_dual_mul_f32 v147, v15, v8
	v_mul_f32_e32 v8, v16, v8
	v_mul_f32_e32 v6, v14, v6
	s_delay_alu instid0(VALU_DEP_4) | instskip(NEXT) | instid1(VALU_DEP_4)
	v_fmac_f32_e32 v146, v14, v5
	v_dual_add_f32 v18, v18, v185 :: v_dual_fmac_f32 v147, v16, v7
	s_delay_alu instid0(VALU_DEP_4) | instskip(NEXT) | instid1(VALU_DEP_4)
	v_fma_f32 v149, v15, v7, -v8
	v_fma_f32 v148, v13, v5, -v6
	ds_load_2addr_b64 v[5:8], v21 offset0:109 offset1:110
	v_add_f32_e32 v22, v18, v187
	scratch_load_b128 v[17:20], off, off offset:440
	v_add_f32_e32 v22, v22, v189
	s_delay_alu instid0(VALU_DEP_1) | instskip(NEXT) | instid1(VALU_DEP_1)
	v_add_f32_e32 v22, v22, v191
	v_dual_add_f32 v13, v22, v193 :: v_dual_add_f32 v22, v23, v196
	s_delay_alu instid0(VALU_DEP_1)
	v_dual_add_f32 v23, v13, v195 :: v_dual_add_f32 v150, v22, v198
	ds_load_2addr_b64 v[13:16], v21 offset0:111 offset1:112
	s_wait_loadcnt_dscnt 0x201
	v_mul_f32_e32 v152, v5, v2
	v_dual_mul_f32 v2, v6, v2 :: v_dual_add_f32 v151, v23, v197
	v_add_f32_e32 v150, v150, v200
	ds_load_2addr_b64 v[21:24], v21 offset0:113 offset1:114
	v_fmac_f32_e32 v152, v6, v1
	v_fma_f32 v2, v5, v1, -v2
	v_dual_add_f32 v151, v151, v199 :: v_dual_add_f32 v150, v150, v202
	s_delay_alu instid0(VALU_DEP_1) | instskip(SKIP_2) | instid1(VALU_DEP_3)
	v_dual_add_f32 v151, v151, v201 :: v_dual_add_f32 v144, v150, v144
	v_mul_f32_e32 v150, v7, v4
	v_mul_f32_e32 v4, v8, v4
	v_add_f32_e32 v142, v151, v142
	s_wait_loadcnt_dscnt 0x101
	v_dual_add_f32 v144, v144, v145 :: v_dual_mul_f32 v151, v13, v10
	v_mul_f32_e32 v6, v14, v10
	v_fmac_f32_e32 v150, v8, v3
	v_add_f32_e32 v142, v142, v143
	s_delay_alu instid0(VALU_DEP_4) | instskip(SKIP_3) | instid1(VALU_DEP_4)
	v_add_f32_e32 v144, v144, v148
	v_fma_f32 v3, v7, v3, -v4
	v_mul_f32_e32 v153, v15, v12
	v_mul_f32_e32 v4, v16, v12
	v_dual_add_f32 v142, v142, v146 :: v_dual_add_f32 v1, v144, v149
	v_fmac_f32_e32 v151, v14, v9
	s_delay_alu instid0(VALU_DEP_4) | instskip(NEXT) | instid1(VALU_DEP_4)
	v_fmac_f32_e32 v153, v16, v11
	v_fma_f32 v4, v15, v11, -v4
	s_delay_alu instid0(VALU_DEP_4) | instskip(SKIP_1) | instid1(VALU_DEP_2)
	v_add_f32_e32 v5, v142, v147
	v_add_f32_e32 v1, v1, v2
	;; [unrolled: 1-line block ×3, first 2 shown]
	v_fma_f32 v5, v13, v9, -v6
	s_delay_alu instid0(VALU_DEP_2) | instskip(NEXT) | instid1(VALU_DEP_1)
	v_dual_add_f32 v1, v1, v3 :: v_dual_add_f32 v2, v2, v150
	v_dual_add_f32 v1, v1, v5 :: v_dual_add_f32 v2, v2, v151
	s_delay_alu instid0(VALU_DEP_1)
	v_dual_add_f32 v1, v1, v4 :: v_dual_add_f32 v2, v2, v153
	s_wait_loadcnt_dscnt 0x0
	v_mul_f32_e32 v143, v21, v18
	v_mul_f32_e32 v3, v22, v18
	;; [unrolled: 1-line block ×4, first 2 shown]
	s_delay_alu instid0(VALU_DEP_4) | instskip(NEXT) | instid1(VALU_DEP_4)
	v_fmac_f32_e32 v143, v22, v17
	v_fma_f32 v3, v21, v17, -v3
	s_delay_alu instid0(VALU_DEP_4) | instskip(NEXT) | instid1(VALU_DEP_4)
	v_fmac_f32_e32 v145, v24, v19
	v_fma_f32 v4, v23, v19, -v5
	s_delay_alu instid0(VALU_DEP_4) | instskip(NEXT) | instid1(VALU_DEP_1)
	v_add_f32_e32 v2, v2, v143
	v_dual_add_f32 v1, v1, v3 :: v_dual_add_f32 v2, v2, v145
	s_delay_alu instid0(VALU_DEP_1) | instskip(NEXT) | instid1(VALU_DEP_1)
	v_dual_add_f32 v1, v1, v4 :: v_dual_sub_f32 v2, v140, v2
	v_sub_f32_e32 v1, v139, v1
	scratch_store_b64 off, v[1:2], off offset:80
	v_cmpx_lt_u32_e32 9, v0
	s_cbranch_execz .LBB120_337
; %bb.336:
	scratch_load_b64 v[1:2], off, off offset:72
	v_mov_b32_e32 v3, 0
	s_delay_alu instid0(VALU_DEP_1)
	v_mov_b32_e32 v4, v3
	scratch_store_b64 off, v[3:4], off offset:72
	s_wait_loadcnt 0x0
	ds_store_b64 v141, v[1:2]
.LBB120_337:
	s_wait_alu 0xfffe
	s_or_b32 exec_lo, exec_lo, s0
	s_wait_storecnt_dscnt 0x0
	s_barrier_signal -1
	s_barrier_wait -1
	global_inv scope:SCOPE_SE
	s_clause 0x4
	scratch_load_b128 v[5:8], off, off offset:80
	scratch_load_b128 v[1:4], off, off offset:96
	;; [unrolled: 1-line block ×5, first 2 shown]
	v_mov_b32_e32 v21, 0
	ds_load_b128 v[142:145], v21 offset:544
	ds_load_b128 v[146:149], v21 offset:560
	;; [unrolled: 1-line block ×3, first 2 shown]
	scratch_load_b64 v[22:23], off, off offset:72
	s_mov_b32 s0, exec_lo
	s_wait_loadcnt_dscnt 0x502
	v_mul_f32_e32 v24, v143, v6
	v_dual_mul_f32 v139, v142, v6 :: v_dual_mul_f32 v140, v144, v8
	v_mul_f32_e32 v6, v145, v8
	s_delay_alu instid0(VALU_DEP_3) | instskip(NEXT) | instid1(VALU_DEP_3)
	v_fma_f32 v24, v142, v5, -v24
	v_dual_fmac_f32 v139, v143, v5 :: v_dual_fmac_f32 v140, v145, v7
	s_wait_loadcnt_dscnt 0x401
	v_mul_f32_e32 v143, v146, v2
	v_fma_f32 v142, v144, v7, -v6
	ds_load_b128 v[5:8], v21 offset:592
	s_wait_loadcnt_dscnt 0x301
	v_dual_mul_f32 v144, v148, v4 :: v_dual_mul_f32 v145, v150, v10
	v_dual_mul_f32 v4, v149, v4 :: v_dual_fmac_f32 v143, v147, v1
	v_mul_f32_e32 v10, v151, v10
	s_delay_alu instid0(VALU_DEP_3)
	v_dual_mul_f32 v154, v152, v12 :: v_dual_fmac_f32 v145, v151, v9
	v_mul_f32_e32 v12, v153, v12
	v_mul_f32_e32 v2, v147, v2
	v_fmac_f32_e32 v144, v149, v3
	v_fma_f32 v147, v148, v3, -v4
	v_fma_f32 v148, v150, v9, -v10
	v_fmac_f32_e32 v154, v153, v11
	v_fma_f32 v149, v152, v11, -v12
	ds_load_b128 v[9:12], v21 offset:608
	s_wait_loadcnt_dscnt 0x201
	v_dual_mul_f32 v151, v7, v16 :: v_dual_mul_f32 v150, v5, v14
	v_mul_f32_e32 v14, v6, v14
	v_mul_f32_e32 v16, v8, v16
	s_delay_alu instid0(VALU_DEP_3)
	v_fmac_f32_e32 v151, v8, v15
	v_fma_f32 v146, v146, v1, -v2
	scratch_load_b128 v[1:4], off, off offset:160
	v_fmac_f32_e32 v150, v6, v13
	v_fma_f32 v13, v5, v13, -v14
	v_fma_f32 v14, v7, v15, -v16
	ds_load_b128 v[5:8], v21 offset:624
	s_wait_loadcnt_dscnt 0x201
	v_mul_f32_e32 v15, v9, v18
	v_mul_f32_e32 v16, v10, v18
	;; [unrolled: 1-line block ×3, first 2 shown]
	s_delay_alu instid0(VALU_DEP_3) | instskip(NEXT) | instid1(VALU_DEP_3)
	v_dual_mul_f32 v20, v12, v20 :: v_dual_fmac_f32 v15, v10, v17
	v_fma_f32 v16, v9, v17, -v16
	s_delay_alu instid0(VALU_DEP_3) | instskip(NEXT) | instid1(VALU_DEP_3)
	v_fmac_f32_e32 v18, v12, v19
	v_fma_f32 v17, v11, v19, -v20
	scratch_load_b128 v[9:12], off, off offset:176
	s_wait_loadcnt_dscnt 0x100
	v_mul_f32_e32 v19, v5, v2
	v_mul_f32_e32 v2, v6, v2
	;; [unrolled: 1-line block ×3, first 2 shown]
	s_delay_alu instid0(VALU_DEP_3) | instskip(NEXT) | instid1(VALU_DEP_3)
	v_dual_mul_f32 v4, v8, v4 :: v_dual_fmac_f32 v19, v6, v1
	v_fma_f32 v152, v5, v1, -v2
	s_delay_alu instid0(VALU_DEP_3) | instskip(NEXT) | instid1(VALU_DEP_3)
	v_fmac_f32_e32 v20, v8, v3
	v_fma_f32 v153, v7, v3, -v4
	ds_load_b128 v[1:4], v21 offset:640
	ds_load_b128 v[5:8], v21 offset:656
	s_wait_loadcnt_dscnt 0x1
	v_mul_f32_e32 v155, v1, v10
	v_mul_f32_e32 v10, v2, v10
	s_delay_alu instid0(VALU_DEP_2) | instskip(NEXT) | instid1(VALU_DEP_2)
	v_dual_mul_f32 v156, v3, v12 :: v_dual_fmac_f32 v155, v2, v9
	v_fma_f32 v157, v1, v9, -v10
	v_mul_f32_e32 v1, v4, v12
	s_delay_alu instid0(VALU_DEP_3) | instskip(NEXT) | instid1(VALU_DEP_2)
	v_fmac_f32_e32 v156, v4, v11
	v_fma_f32 v158, v3, v11, -v1
	s_clause 0x1
	scratch_load_b128 v[1:4], off, off offset:192
	scratch_load_b128 v[9:12], off, off offset:208
	s_wait_loadcnt_dscnt 0x100
	v_mul_f32_e32 v159, v5, v2
	v_dual_mul_f32 v2, v6, v2 :: v_dual_mul_f32 v161, v7, v4
	s_delay_alu instid0(VALU_DEP_2) | instskip(NEXT) | instid1(VALU_DEP_2)
	v_fmac_f32_e32 v159, v6, v1
	v_fma_f32 v160, v5, v1, -v2
	v_mul_f32_e32 v1, v8, v4
	s_delay_alu instid0(VALU_DEP_4) | instskip(NEXT) | instid1(VALU_DEP_2)
	v_fmac_f32_e32 v161, v8, v3
	v_fma_f32 v162, v7, v3, -v1
	ds_load_b128 v[1:4], v21 offset:672
	ds_load_b128 v[5:8], v21 offset:688
	s_wait_loadcnt_dscnt 0x1
	v_mul_f32_e32 v163, v1, v10
	v_mul_f32_e32 v165, v3, v12
	s_delay_alu instid0(VALU_DEP_2) | instskip(NEXT) | instid1(VALU_DEP_2)
	v_fmac_f32_e32 v163, v2, v9
	v_dual_mul_f32 v2, v2, v10 :: v_dual_fmac_f32 v165, v4, v11
	s_delay_alu instid0(VALU_DEP_1) | instskip(SKIP_1) | instid1(VALU_DEP_1)
	v_fma_f32 v164, v1, v9, -v2
	v_mul_f32_e32 v1, v4, v12
	v_fma_f32 v166, v3, v11, -v1
	s_clause 0x1
	scratch_load_b128 v[1:4], off, off offset:224
	scratch_load_b128 v[9:12], off, off offset:240
	s_wait_loadcnt_dscnt 0x100
	v_mul_f32_e32 v167, v5, v2
	v_dual_mul_f32 v169, v7, v4 :: v_dual_mul_f32 v2, v6, v2
	s_delay_alu instid0(VALU_DEP_2) | instskip(NEXT) | instid1(VALU_DEP_2)
	v_fmac_f32_e32 v167, v6, v1
	v_fmac_f32_e32 v169, v8, v3
	s_delay_alu instid0(VALU_DEP_3) | instskip(SKIP_1) | instid1(VALU_DEP_1)
	v_fma_f32 v168, v5, v1, -v2
	v_mul_f32_e32 v1, v8, v4
	v_fma_f32 v170, v7, v3, -v1
	ds_load_b128 v[1:4], v21 offset:704
	ds_load_b128 v[5:8], v21 offset:720
	s_wait_loadcnt_dscnt 0x1
	v_mul_f32_e32 v171, v1, v10
	v_mul_f32_e32 v173, v3, v12
	s_delay_alu instid0(VALU_DEP_2) | instskip(NEXT) | instid1(VALU_DEP_2)
	v_fmac_f32_e32 v171, v2, v9
	v_dual_mul_f32 v2, v2, v10 :: v_dual_fmac_f32 v173, v4, v11
	s_delay_alu instid0(VALU_DEP_1) | instskip(SKIP_1) | instid1(VALU_DEP_1)
	v_fma_f32 v172, v1, v9, -v2
	v_mul_f32_e32 v1, v4, v12
	v_fma_f32 v174, v3, v11, -v1
	s_clause 0x1
	scratch_load_b128 v[1:4], off, off offset:256
	scratch_load_b128 v[9:12], off, off offset:272
	s_wait_loadcnt_dscnt 0x100
	v_mul_f32_e32 v175, v5, v2
	v_dual_mul_f32 v2, v6, v2 :: v_dual_mul_f32 v177, v7, v4
	s_delay_alu instid0(VALU_DEP_2) | instskip(NEXT) | instid1(VALU_DEP_2)
	v_fmac_f32_e32 v175, v6, v1
	v_fma_f32 v176, v5, v1, -v2
	v_mul_f32_e32 v1, v8, v4
	s_delay_alu instid0(VALU_DEP_4) | instskip(NEXT) | instid1(VALU_DEP_2)
	v_fmac_f32_e32 v177, v8, v3
	v_fma_f32 v178, v7, v3, -v1
	ds_load_b128 v[1:4], v21 offset:736
	ds_load_b128 v[5:8], v21 offset:752
	s_wait_loadcnt_dscnt 0x1
	v_mul_f32_e32 v179, v1, v10
	v_mul_f32_e32 v181, v3, v12
	s_delay_alu instid0(VALU_DEP_2) | instskip(NEXT) | instid1(VALU_DEP_2)
	v_fmac_f32_e32 v179, v2, v9
	v_dual_mul_f32 v2, v2, v10 :: v_dual_fmac_f32 v181, v4, v11
	s_delay_alu instid0(VALU_DEP_1) | instskip(SKIP_1) | instid1(VALU_DEP_1)
	v_fma_f32 v180, v1, v9, -v2
	v_mul_f32_e32 v1, v4, v12
	v_fma_f32 v182, v3, v11, -v1
	s_clause 0x1
	scratch_load_b128 v[1:4], off, off offset:288
	scratch_load_b128 v[9:12], off, off offset:304
	s_wait_loadcnt_dscnt 0x100
	v_mul_f32_e32 v183, v5, v2
	v_dual_mul_f32 v2, v6, v2 :: v_dual_mul_f32 v185, v7, v4
	s_delay_alu instid0(VALU_DEP_2) | instskip(NEXT) | instid1(VALU_DEP_2)
	v_fmac_f32_e32 v183, v6, v1
	v_fma_f32 v184, v5, v1, -v2
	v_mul_f32_e32 v1, v8, v4
	s_delay_alu instid0(VALU_DEP_4) | instskip(NEXT) | instid1(VALU_DEP_2)
	v_fmac_f32_e32 v185, v8, v3
	;; [unrolled: 25-line block ×3, first 2 shown]
	v_fma_f32 v194, v7, v3, -v1
	ds_load_b128 v[1:4], v21 offset:800
	ds_load_b128 v[5:8], v21 offset:816
	s_wait_loadcnt_dscnt 0x1
	v_mul_f32_e32 v195, v1, v10
	v_mul_f32_e32 v197, v3, v12
	s_delay_alu instid0(VALU_DEP_2) | instskip(NEXT) | instid1(VALU_DEP_2)
	v_fmac_f32_e32 v195, v2, v9
	v_dual_mul_f32 v2, v2, v10 :: v_dual_fmac_f32 v197, v4, v11
	s_delay_alu instid0(VALU_DEP_1) | instskip(SKIP_1) | instid1(VALU_DEP_1)
	v_fma_f32 v196, v1, v9, -v2
	v_mul_f32_e32 v1, v4, v12
	v_fma_f32 v198, v3, v11, -v1
	s_clause 0x1
	scratch_load_b128 v[1:4], off, off offset:352
	scratch_load_b128 v[9:12], off, off offset:368
	s_wait_loadcnt_dscnt 0x100
	v_mul_f32_e32 v199, v5, v2
	v_mul_f32_e32 v2, v6, v2
	s_delay_alu instid0(VALU_DEP_2) | instskip(NEXT) | instid1(VALU_DEP_2)
	v_fmac_f32_e32 v199, v6, v1
	v_fma_f32 v200, v5, v1, -v2
	v_dual_add_f32 v2, 0, v139 :: v_dual_mul_f32 v1, v8, v4
	s_delay_alu instid0(VALU_DEP_1) | instskip(NEXT) | instid1(VALU_DEP_2)
	v_add_f32_e32 v2, v2, v140
	v_fma_f32 v202, v7, v3, -v1
	s_delay_alu instid0(VALU_DEP_2) | instskip(NEXT) | instid1(VALU_DEP_1)
	v_dual_add_f32 v1, 0, v24 :: v_dual_add_f32 v2, v2, v143
	v_dual_add_f32 v1, v1, v142 :: v_dual_add_f32 v2, v2, v144
	s_delay_alu instid0(VALU_DEP_1) | instskip(NEXT) | instid1(VALU_DEP_1)
	v_add_f32_e32 v2, v2, v145
	v_add_f32_e32 v2, v2, v154
	s_delay_alu instid0(VALU_DEP_1) | instskip(NEXT) | instid1(VALU_DEP_1)
	v_add_f32_e32 v2, v2, v150
	v_dual_add_f32 v1, v1, v146 :: v_dual_add_f32 v2, v2, v151
	s_delay_alu instid0(VALU_DEP_1) | instskip(NEXT) | instid1(VALU_DEP_1)
	v_add_f32_e32 v2, v2, v15
	v_add_f32_e32 v2, v2, v18
	s_delay_alu instid0(VALU_DEP_1) | instskip(NEXT) | instid1(VALU_DEP_1)
	v_add_f32_e32 v2, v2, v19
	v_dual_add_f32 v2, v2, v20 :: v_dual_add_f32 v1, v1, v147
	s_delay_alu instid0(VALU_DEP_1) | instskip(NEXT) | instid1(VALU_DEP_1)
	v_dual_add_f32 v2, v2, v155 :: v_dual_add_f32 v1, v1, v148
	v_dual_add_f32 v2, v2, v156 :: v_dual_add_f32 v1, v1, v149
	s_delay_alu instid0(VALU_DEP_1) | instskip(NEXT) | instid1(VALU_DEP_1)
	v_dual_add_f32 v2, v2, v159 :: v_dual_add_f32 v1, v1, v13
	;; [unrolled: 3-line block ×3, first 2 shown]
	v_add_f32_e32 v2, v2, v165
	s_delay_alu instid0(VALU_DEP_1) | instskip(NEXT) | instid1(VALU_DEP_1)
	v_dual_add_f32 v1, v1, v17 :: v_dual_add_f32 v2, v2, v167
	v_dual_add_f32 v1, v1, v152 :: v_dual_add_f32 v2, v2, v169
	s_delay_alu instid0(VALU_DEP_1) | instskip(NEXT) | instid1(VALU_DEP_1)
	v_add_f32_e32 v1, v1, v153
	v_add_f32_e32 v1, v1, v157
	s_delay_alu instid0(VALU_DEP_1) | instskip(NEXT) | instid1(VALU_DEP_1)
	v_add_f32_e32 v1, v1, v158
	v_add_f32_e32 v1, v1, v160
	;; [unrolled: 3-line block ×6, first 2 shown]
	v_dual_add_f32 v2, v2, v171 :: v_dual_mul_f32 v201, v7, v4
	s_delay_alu instid0(VALU_DEP_2) | instskip(NEXT) | instid1(VALU_DEP_2)
	v_add_f32_e32 v14, v6, v178
	v_add_f32_e32 v5, v2, v173
	s_delay_alu instid0(VALU_DEP_1) | instskip(NEXT) | instid1(VALU_DEP_1)
	v_dual_add_f32 v14, v14, v180 :: v_dual_add_f32 v13, v5, v175
	v_add_f32_e32 v17, v14, v182
	s_delay_alu instid0(VALU_DEP_2) | instskip(NEXT) | instid1(VALU_DEP_2)
	v_add_f32_e32 v13, v13, v177
	v_add_f32_e32 v17, v17, v184
	s_delay_alu instid0(VALU_DEP_2)
	v_add_f32_e32 v13, v13, v179
	v_fmac_f32_e32 v201, v8, v3
	scratch_load_b128 v[1:4], off, off offset:384
	ds_load_b128 v[5:8], v21 offset:832
	v_add_f32_e32 v17, v17, v186
	v_add_f32_e32 v18, v13, v181
	ds_load_b128 v[13:16], v21 offset:848
	v_add_f32_e32 v17, v17, v188
	s_delay_alu instid0(VALU_DEP_1)
	v_add_f32_e32 v140, v17, v190
	s_wait_loadcnt_dscnt 0x101
	v_mul_f32_e32 v24, v5, v10
	v_mul_f32_e32 v10, v6, v10
	v_mul_f32_e32 v148, v7, v12
	v_mul_f32_e32 v12, v8, v12
	v_add_f32_e32 v18, v18, v183
	v_fmac_f32_e32 v24, v6, v9
	v_fma_f32 v149, v5, v9, -v10
	v_fmac_f32_e32 v148, v8, v11
	v_fma_f32 v150, v7, v11, -v12
	s_clause 0x1
	scratch_load_b128 v[5:8], off, off offset:400
	scratch_load_b128 v[9:12], off, off offset:416
	v_add_f32_e32 v18, v18, v185
	s_delay_alu instid0(VALU_DEP_1) | instskip(SKIP_4) | instid1(VALU_DEP_1)
	v_add_f32_e32 v139, v18, v187
	scratch_load_b128 v[17:20], off, off offset:432
	v_dual_add_f32 v143, v140, v192 :: v_dual_add_f32 v142, v139, v189
	scratch_load_b64 v[139:140], off, off offset:448
	v_dual_add_f32 v143, v143, v194 :: v_dual_add_f32 v142, v142, v191
	v_dual_add_f32 v143, v143, v196 :: v_dual_add_f32 v142, v142, v193
	s_wait_loadcnt_dscnt 0x400
	v_mul_f32_e32 v151, v13, v2
	v_mul_f32_e32 v2, v14, v2
	;; [unrolled: 1-line block ×3, first 2 shown]
	s_delay_alu instid0(VALU_DEP_3) | instskip(NEXT) | instid1(VALU_DEP_3)
	v_dual_mul_f32 v4, v16, v4 :: v_dual_fmac_f32 v151, v14, v1
	v_fma_f32 v153, v13, v1, -v2
	v_dual_add_f32 v13, v142, v195 :: v_dual_add_f32 v14, v143, v198
	s_delay_alu instid0(VALU_DEP_4) | instskip(NEXT) | instid1(VALU_DEP_4)
	v_fmac_f32_e32 v152, v16, v3
	v_fma_f32 v154, v15, v3, -v4
	ds_load_b128 v[1:4], v21 offset:864
	v_add_f32_e32 v142, v13, v197
	v_add_f32_e32 v146, v14, v200
	ds_load_b128 v[13:16], v21 offset:880
	v_add_f32_e32 v147, v142, v199
	v_add_f32_e32 v155, v146, v202
	;; [unrolled: 3-line block ×3, first 2 shown]
	ds_load_b64 v[146:147], v21 offset:912
	v_dual_add_f32 v24, v156, v24 :: v_dual_add_f32 v149, v149, v150
	s_wait_loadcnt_dscnt 0x303
	s_delay_alu instid0(VALU_DEP_1) | instskip(NEXT) | instid1(VALU_DEP_2)
	v_dual_mul_f32 v155, v1, v6 :: v_dual_add_f32 v24, v24, v148
	v_dual_mul_f32 v6, v2, v6 :: v_dual_add_f32 v149, v149, v153
	v_mul_f32_e32 v148, v3, v8
	v_mul_f32_e32 v8, v4, v8
	s_delay_alu instid0(VALU_DEP_4) | instskip(NEXT) | instid1(VALU_DEP_4)
	v_add_f32_e32 v24, v24, v151
	v_fma_f32 v1, v1, v5, -v6
	v_add_f32_e32 v149, v149, v154
	s_wait_loadcnt_dscnt 0x202
	v_dual_fmac_f32 v155, v2, v5 :: v_dual_mul_f32 v150, v13, v10
	v_add_f32_e32 v24, v24, v152
	v_fmac_f32_e32 v148, v4, v7
	v_fma_f32 v2, v3, v7, -v8
	v_mul_f32_e32 v3, v14, v10
	s_delay_alu instid0(VALU_DEP_4) | instskip(SKIP_2) | instid1(VALU_DEP_4)
	v_dual_add_f32 v1, v149, v1 :: v_dual_add_f32 v4, v24, v155
	v_mul_f32_e32 v151, v15, v12
	v_dual_mul_f32 v5, v16, v12 :: v_dual_fmac_f32 v150, v14, v9
	v_fma_f32 v3, v13, v9, -v3
	s_delay_alu instid0(VALU_DEP_4)
	v_dual_add_f32 v1, v1, v2 :: v_dual_add_f32 v2, v4, v148
	s_wait_loadcnt_dscnt 0x101
	v_mul_f32_e32 v153, v142, v18
	v_dual_mul_f32 v4, v143, v18 :: v_dual_fmac_f32 v151, v16, v11
	v_fma_f32 v5, v15, v11, -v5
	v_dual_add_f32 v1, v1, v3 :: v_dual_add_f32 v2, v2, v150
	v_mul_f32_e32 v154, v144, v20
	v_mul_f32_e32 v3, v145, v20
	v_fmac_f32_e32 v153, v143, v17
	v_fma_f32 v4, v142, v17, -v4
	v_dual_add_f32 v1, v1, v5 :: v_dual_add_f32 v2, v2, v151
	s_wait_loadcnt_dscnt 0x0
	v_mul_f32_e32 v152, v146, v140
	v_dual_mul_f32 v5, v147, v140 :: v_dual_fmac_f32 v154, v145, v19
	v_fma_f32 v3, v144, v19, -v3
	v_dual_add_f32 v1, v1, v4 :: v_dual_add_f32 v2, v2, v153
	s_delay_alu instid0(VALU_DEP_4) | instskip(NEXT) | instid1(VALU_DEP_4)
	v_fmac_f32_e32 v152, v147, v139
	v_fma_f32 v4, v146, v139, -v5
	s_delay_alu instid0(VALU_DEP_3) | instskip(NEXT) | instid1(VALU_DEP_1)
	v_dual_add_f32 v1, v1, v3 :: v_dual_add_f32 v2, v2, v154
	v_add_f32_e32 v1, v1, v4
	s_delay_alu instid0(VALU_DEP_2) | instskip(NEXT) | instid1(VALU_DEP_1)
	v_add_f32_e32 v2, v2, v152
	v_dual_sub_f32 v1, v22, v1 :: v_dual_sub_f32 v2, v23, v2
	scratch_store_b64 off, v[1:2], off offset:72
	v_cmpx_lt_u32_e32 8, v0
	s_cbranch_execz .LBB120_339
; %bb.338:
	scratch_load_b64 v[1:2], off, off offset:64
	v_mov_b32_e32 v22, v21
	scratch_store_b64 off, v[21:22], off offset:64
	s_wait_loadcnt 0x0
	ds_store_b64 v141, v[1:2]
.LBB120_339:
	s_wait_alu 0xfffe
	s_or_b32 exec_lo, exec_lo, s0
	s_wait_storecnt_dscnt 0x0
	s_barrier_signal -1
	s_barrier_wait -1
	global_inv scope:SCOPE_SE
	s_clause 0x4
	scratch_load_b128 v[5:8], off, off offset:72
	scratch_load_b128 v[1:4], off, off offset:88
	;; [unrolled: 1-line block ×5, first 2 shown]
	ds_load_2addr_b64 v[142:145], v21 offset0:67 offset1:68
	ds_load_2addr_b64 v[146:149], v21 offset0:69 offset1:70
	;; [unrolled: 1-line block ×3, first 2 shown]
	scratch_load_b64 v[139:140], off, off offset:64
	s_mov_b32 s0, exec_lo
	s_wait_loadcnt_dscnt 0x502
	v_mul_f32_e32 v22, v143, v6
	v_dual_mul_f32 v23, v142, v6 :: v_dual_mul_f32 v24, v144, v8
	v_mul_f32_e32 v6, v145, v8
	s_delay_alu instid0(VALU_DEP_3) | instskip(NEXT) | instid1(VALU_DEP_3)
	v_fma_f32 v22, v142, v5, -v22
	v_dual_fmac_f32 v23, v143, v5 :: v_dual_fmac_f32 v24, v145, v7
	s_wait_loadcnt_dscnt 0x401
	v_mul_f32_e32 v143, v146, v2
	v_fma_f32 v142, v144, v7, -v6
	ds_load_2addr_b64 v[5:8], v21 offset0:73 offset1:74
	s_wait_loadcnt_dscnt 0x301
	v_dual_mul_f32 v144, v148, v4 :: v_dual_mul_f32 v145, v150, v10
	v_dual_mul_f32 v4, v149, v4 :: v_dual_fmac_f32 v143, v147, v1
	v_mul_f32_e32 v10, v151, v10
	s_delay_alu instid0(VALU_DEP_3)
	v_dual_mul_f32 v154, v152, v12 :: v_dual_fmac_f32 v145, v151, v9
	v_mul_f32_e32 v12, v153, v12
	v_mul_f32_e32 v2, v147, v2
	v_fmac_f32_e32 v144, v149, v3
	v_fma_f32 v147, v148, v3, -v4
	v_fma_f32 v148, v150, v9, -v10
	v_fmac_f32_e32 v154, v153, v11
	v_fma_f32 v149, v152, v11, -v12
	ds_load_2addr_b64 v[9:12], v21 offset0:75 offset1:76
	s_wait_loadcnt_dscnt 0x201
	v_mul_f32_e32 v150, v5, v14
	v_dual_mul_f32 v14, v6, v14 :: v_dual_mul_f32 v151, v7, v16
	v_mul_f32_e32 v16, v8, v16
	s_delay_alu instid0(VALU_DEP_3) | instskip(NEXT) | instid1(VALU_DEP_3)
	v_fmac_f32_e32 v150, v6, v13
	v_fma_f32 v13, v5, v13, -v14
	s_delay_alu instid0(VALU_DEP_4) | instskip(NEXT) | instid1(VALU_DEP_4)
	v_fmac_f32_e32 v151, v8, v15
	v_fma_f32 v14, v7, v15, -v16
	ds_load_2addr_b64 v[5:8], v21 offset0:77 offset1:78
	s_wait_loadcnt_dscnt 0x101
	v_mul_f32_e32 v15, v9, v18
	v_mul_f32_e32 v16, v10, v18
	;; [unrolled: 1-line block ×3, first 2 shown]
	s_delay_alu instid0(VALU_DEP_3)
	v_dual_mul_f32 v20, v12, v20 :: v_dual_fmac_f32 v15, v10, v17
	v_fma_f32 v146, v146, v1, -v2
	scratch_load_b128 v[1:4], off, off offset:152
	v_fma_f32 v16, v9, v17, -v16
	v_fmac_f32_e32 v18, v12, v19
	v_fma_f32 v17, v11, v19, -v20
	scratch_load_b128 v[9:12], off, off offset:168
	s_wait_loadcnt_dscnt 0x100
	v_mul_f32_e32 v19, v5, v2
	v_mul_f32_e32 v2, v6, v2
	;; [unrolled: 1-line block ×3, first 2 shown]
	s_delay_alu instid0(VALU_DEP_3) | instskip(NEXT) | instid1(VALU_DEP_3)
	v_dual_mul_f32 v4, v8, v4 :: v_dual_fmac_f32 v19, v6, v1
	v_fma_f32 v152, v5, v1, -v2
	s_delay_alu instid0(VALU_DEP_3) | instskip(NEXT) | instid1(VALU_DEP_3)
	v_fmac_f32_e32 v20, v8, v3
	v_fma_f32 v153, v7, v3, -v4
	ds_load_2addr_b64 v[1:4], v21 offset0:79 offset1:80
	ds_load_2addr_b64 v[5:8], v21 offset0:81 offset1:82
	s_wait_loadcnt_dscnt 0x1
	v_mul_f32_e32 v155, v1, v10
	v_mul_f32_e32 v10, v2, v10
	s_delay_alu instid0(VALU_DEP_2) | instskip(NEXT) | instid1(VALU_DEP_2)
	v_dual_mul_f32 v156, v3, v12 :: v_dual_fmac_f32 v155, v2, v9
	v_fma_f32 v157, v1, v9, -v10
	v_mul_f32_e32 v1, v4, v12
	s_delay_alu instid0(VALU_DEP_3) | instskip(NEXT) | instid1(VALU_DEP_2)
	v_fmac_f32_e32 v156, v4, v11
	v_fma_f32 v158, v3, v11, -v1
	s_clause 0x1
	scratch_load_b128 v[1:4], off, off offset:184
	scratch_load_b128 v[9:12], off, off offset:200
	s_wait_loadcnt_dscnt 0x100
	v_mul_f32_e32 v159, v5, v2
	v_dual_mul_f32 v2, v6, v2 :: v_dual_mul_f32 v161, v7, v4
	s_delay_alu instid0(VALU_DEP_2) | instskip(NEXT) | instid1(VALU_DEP_2)
	v_fmac_f32_e32 v159, v6, v1
	v_fma_f32 v160, v5, v1, -v2
	v_mul_f32_e32 v1, v8, v4
	s_delay_alu instid0(VALU_DEP_4) | instskip(NEXT) | instid1(VALU_DEP_2)
	v_fmac_f32_e32 v161, v8, v3
	v_fma_f32 v162, v7, v3, -v1
	ds_load_2addr_b64 v[1:4], v21 offset0:83 offset1:84
	ds_load_2addr_b64 v[5:8], v21 offset0:85 offset1:86
	s_wait_loadcnt_dscnt 0x1
	v_mul_f32_e32 v163, v1, v10
	v_mul_f32_e32 v165, v3, v12
	s_delay_alu instid0(VALU_DEP_2) | instskip(NEXT) | instid1(VALU_DEP_2)
	v_fmac_f32_e32 v163, v2, v9
	v_dual_mul_f32 v2, v2, v10 :: v_dual_fmac_f32 v165, v4, v11
	s_delay_alu instid0(VALU_DEP_1) | instskip(SKIP_1) | instid1(VALU_DEP_1)
	v_fma_f32 v164, v1, v9, -v2
	v_mul_f32_e32 v1, v4, v12
	v_fma_f32 v166, v3, v11, -v1
	s_clause 0x1
	scratch_load_b128 v[1:4], off, off offset:216
	scratch_load_b128 v[9:12], off, off offset:232
	s_wait_loadcnt_dscnt 0x100
	v_mul_f32_e32 v167, v5, v2
	v_dual_mul_f32 v2, v6, v2 :: v_dual_mul_f32 v169, v7, v4
	s_delay_alu instid0(VALU_DEP_2) | instskip(NEXT) | instid1(VALU_DEP_2)
	v_fmac_f32_e32 v167, v6, v1
	v_fma_f32 v168, v5, v1, -v2
	v_mul_f32_e32 v1, v8, v4
	s_delay_alu instid0(VALU_DEP_4) | instskip(NEXT) | instid1(VALU_DEP_2)
	v_fmac_f32_e32 v169, v8, v3
	v_fma_f32 v170, v7, v3, -v1
	ds_load_2addr_b64 v[1:4], v21 offset0:87 offset1:88
	ds_load_2addr_b64 v[5:8], v21 offset0:89 offset1:90
	s_wait_loadcnt_dscnt 0x1
	v_mul_f32_e32 v171, v1, v10
	v_mul_f32_e32 v173, v3, v12
	s_delay_alu instid0(VALU_DEP_2) | instskip(NEXT) | instid1(VALU_DEP_2)
	v_fmac_f32_e32 v171, v2, v9
	v_dual_mul_f32 v2, v2, v10 :: v_dual_fmac_f32 v173, v4, v11
	s_delay_alu instid0(VALU_DEP_1) | instskip(SKIP_1) | instid1(VALU_DEP_1)
	v_fma_f32 v172, v1, v9, -v2
	v_mul_f32_e32 v1, v4, v12
	;; [unrolled: 25-line block ×6, first 2 shown]
	v_fma_f32 v206, v3, v11, -v1
	s_clause 0x1
	scratch_load_b128 v[1:4], off, off offset:376
	scratch_load_b128 v[9:12], off, off offset:392
	s_wait_loadcnt_dscnt 0x100
	v_mul_f32_e32 v207, v5, v2
	v_dual_mul_f32 v2, v6, v2 :: v_dual_mul_f32 v209, v7, v4
	s_delay_alu instid0(VALU_DEP_2) | instskip(NEXT) | instid1(VALU_DEP_2)
	v_fmac_f32_e32 v207, v6, v1
	v_fma_f32 v208, v5, v1, -v2
	v_add_f32_e32 v2, 0, v23
	s_delay_alu instid0(VALU_DEP_1) | instskip(NEXT) | instid1(VALU_DEP_1)
	v_dual_fmac_f32 v209, v8, v3 :: v_dual_add_f32 v2, v2, v24
	v_add_f32_e32 v2, v2, v143
	s_delay_alu instid0(VALU_DEP_1) | instskip(NEXT) | instid1(VALU_DEP_1)
	v_add_f32_e32 v2, v2, v144
	v_add_f32_e32 v2, v2, v145
	s_delay_alu instid0(VALU_DEP_1) | instskip(NEXT) | instid1(VALU_DEP_1)
	v_add_f32_e32 v2, v2, v154
	;; [unrolled: 3-line block ×3, first 2 shown]
	v_add_f32_e32 v2, v2, v15
	s_delay_alu instid0(VALU_DEP_1) | instskip(NEXT) | instid1(VALU_DEP_1)
	v_dual_add_f32 v2, v2, v18 :: v_dual_mul_f32 v1, v8, v4
	v_add_f32_e32 v2, v2, v19
	s_delay_alu instid0(VALU_DEP_2) | instskip(NEXT) | instid1(VALU_DEP_2)
	v_fma_f32 v210, v7, v3, -v1
	v_dual_add_f32 v1, 0, v22 :: v_dual_add_f32 v2, v2, v20
	s_delay_alu instid0(VALU_DEP_1) | instskip(NEXT) | instid1(VALU_DEP_1)
	v_dual_add_f32 v1, v1, v142 :: v_dual_add_f32 v2, v2, v155
	v_dual_add_f32 v1, v1, v146 :: v_dual_add_f32 v2, v2, v156
	s_delay_alu instid0(VALU_DEP_1) | instskip(NEXT) | instid1(VALU_DEP_1)
	v_add_f32_e32 v1, v1, v147
	v_dual_add_f32 v2, v2, v159 :: v_dual_add_f32 v1, v1, v148
	s_delay_alu instid0(VALU_DEP_1) | instskip(NEXT) | instid1(VALU_DEP_1)
	v_add_f32_e32 v2, v2, v161
	;; [unrolled: 3-line block ×3, first 2 shown]
	v_dual_add_f32 v2, v2, v165 :: v_dual_add_f32 v1, v1, v14
	s_delay_alu instid0(VALU_DEP_1) | instskip(NEXT) | instid1(VALU_DEP_1)
	v_dual_add_f32 v2, v2, v167 :: v_dual_add_f32 v1, v1, v16
	v_add_f32_e32 v2, v2, v169
	s_delay_alu instid0(VALU_DEP_2) | instskip(NEXT) | instid1(VALU_DEP_1)
	v_add_f32_e32 v1, v1, v17
	v_add_f32_e32 v1, v1, v152
	s_delay_alu instid0(VALU_DEP_1) | instskip(NEXT) | instid1(VALU_DEP_1)
	v_add_f32_e32 v1, v1, v153
	v_add_f32_e32 v1, v1, v157
	s_delay_alu instid0(VALU_DEP_1) | instskip(NEXT) | instid1(VALU_DEP_1)
	v_add_f32_e32 v1, v1, v158
	v_add_f32_e32 v1, v1, v160
	s_delay_alu instid0(VALU_DEP_1) | instskip(NEXT) | instid1(VALU_DEP_1)
	v_add_f32_e32 v1, v1, v162
	v_add_f32_e32 v1, v1, v164
	s_delay_alu instid0(VALU_DEP_1) | instskip(NEXT) | instid1(VALU_DEP_1)
	v_add_f32_e32 v1, v1, v166
	v_add_f32_e32 v1, v1, v168
	s_delay_alu instid0(VALU_DEP_1) | instskip(NEXT) | instid1(VALU_DEP_1)
	v_add_f32_e32 v1, v1, v170
	v_add_f32_e32 v1, v1, v172
	s_delay_alu instid0(VALU_DEP_1) | instskip(NEXT) | instid1(VALU_DEP_1)
	v_add_f32_e32 v1, v1, v174
	v_add_f32_e32 v1, v1, v176
	s_delay_alu instid0(VALU_DEP_1) | instskip(NEXT) | instid1(VALU_DEP_1)
	v_add_f32_e32 v1, v1, v178
	v_add_f32_e32 v1, v1, v180
	s_delay_alu instid0(VALU_DEP_1) | instskip(SKIP_1) | instid1(VALU_DEP_2)
	v_add_f32_e32 v6, v1, v182
	v_add_f32_e32 v2, v2, v171
	;; [unrolled: 1-line block ×3, first 2 shown]
	s_delay_alu instid0(VALU_DEP_2) | instskip(NEXT) | instid1(VALU_DEP_2)
	v_add_f32_e32 v2, v2, v173
	v_add_f32_e32 v13, v6, v186
	s_delay_alu instid0(VALU_DEP_1) | instskip(NEXT) | instid1(VALU_DEP_1)
	v_dual_add_f32 v2, v2, v175 :: v_dual_add_f32 v13, v13, v188
	v_dual_add_f32 v2, v2, v177 :: v_dual_add_f32 v13, v13, v190
	s_delay_alu instid0(VALU_DEP_1) | instskip(SKIP_3) | instid1(VALU_DEP_2)
	v_add_f32_e32 v5, v2, v179
	ds_load_2addr_b64 v[1:4], v21 offset0:107 offset1:108
	v_add_f32_e32 v13, v13, v192
	v_add_f32_e32 v5, v5, v181
	;; [unrolled: 1-line block ×3, first 2 shown]
	s_delay_alu instid0(VALU_DEP_1) | instskip(NEXT) | instid1(VALU_DEP_1)
	v_dual_add_f32 v5, v5, v183 :: v_dual_add_f32 v18, v18, v196
	v_add_f32_e32 v14, v5, v185
	ds_load_2addr_b64 v[5:8], v21 offset0:109 offset1:110
	v_add_f32_e32 v18, v18, v198
	s_wait_loadcnt_dscnt 0x1
	v_dual_mul_f32 v142, v1, v10 :: v_dual_mul_f32 v143, v3, v12
	v_mul_f32_e32 v10, v2, v10
	v_mul_f32_e32 v12, v4, v12
	v_add_f32_e32 v22, v18, v200
	s_delay_alu instid0(VALU_DEP_4) | instskip(NEXT) | instid1(VALU_DEP_4)
	v_dual_fmac_f32 v142, v2, v9 :: v_dual_fmac_f32 v143, v4, v11
	v_fma_f32 v144, v1, v9, -v10
	s_delay_alu instid0(VALU_DEP_4) | instskip(SKIP_4) | instid1(VALU_DEP_1)
	v_fma_f32 v145, v3, v11, -v12
	s_clause 0x1
	scratch_load_b128 v[1:4], off, off offset:408
	scratch_load_b128 v[9:12], off, off offset:424
	v_add_f32_e32 v146, v22, v202
	v_add_f32_e32 v146, v146, v204
	s_delay_alu instid0(VALU_DEP_1) | instskip(NEXT) | instid1(VALU_DEP_1)
	v_add_f32_e32 v146, v146, v206
	v_add_f32_e32 v146, v146, v208
	s_delay_alu instid0(VALU_DEP_1) | instskip(NEXT) | instid1(VALU_DEP_1)
	v_add_f32_e32 v146, v146, v210
	v_add_f32_e32 v144, v146, v144
	s_wait_loadcnt_dscnt 0x100
	v_mul_f32_e32 v148, v5, v2
	v_dual_add_f32 v14, v14, v187 :: v_dual_mul_f32 v149, v7, v4
	v_mul_f32_e32 v4, v8, v4
	v_mul_f32_e32 v2, v6, v2
	s_delay_alu instid0(VALU_DEP_4) | instskip(NEXT) | instid1(VALU_DEP_4)
	v_fmac_f32_e32 v148, v6, v1
	v_dual_add_f32 v14, v14, v189 :: v_dual_fmac_f32 v149, v8, v3
	s_delay_alu instid0(VALU_DEP_4) | instskip(NEXT) | instid1(VALU_DEP_4)
	v_fma_f32 v3, v7, v3, -v4
	v_fma_f32 v2, v5, v1, -v2
	v_add_f32_e32 v1, v144, v145
	s_delay_alu instid0(VALU_DEP_4) | instskip(SKIP_3) | instid1(VALU_DEP_2)
	v_add_f32_e32 v17, v14, v191
	scratch_load_b128 v[13:16], off, off offset:440
	v_add_f32_e32 v1, v1, v2
	v_add_f32_e32 v17, v17, v193
	;; [unrolled: 1-line block ×3, first 2 shown]
	s_delay_alu instid0(VALU_DEP_2) | instskip(NEXT) | instid1(VALU_DEP_1)
	v_add_f32_e32 v17, v17, v195
	v_add_f32_e32 v17, v17, v197
	s_delay_alu instid0(VALU_DEP_1)
	v_add_f32_e32 v23, v17, v199
	ds_load_2addr_b64 v[17:20], v21 offset0:111 offset1:112
	v_add_f32_e32 v147, v23, v201
	ds_load_2addr_b64 v[21:24], v21 offset0:113 offset1:114
	v_add_f32_e32 v147, v147, v203
	s_wait_loadcnt_dscnt 0x101
	s_delay_alu instid0(VALU_DEP_1) | instskip(SKIP_2) | instid1(VALU_DEP_2)
	v_dual_add_f32 v147, v147, v205 :: v_dual_mul_f32 v150, v17, v10
	v_dual_mul_f32 v6, v18, v10 :: v_dual_mul_f32 v151, v19, v12
	v_mul_f32_e32 v4, v20, v12
	v_dual_fmac_f32 v150, v18, v9 :: v_dual_fmac_f32 v151, v20, v11
	s_delay_alu instid0(VALU_DEP_2) | instskip(SKIP_3) | instid1(VALU_DEP_2)
	v_fma_f32 v4, v19, v11, -v4
	s_wait_loadcnt_dscnt 0x0
	v_mul_f32_e32 v146, v23, v16
	v_dual_add_f32 v147, v147, v207 :: v_dual_mul_f32 v152, v21, v14
	v_dual_mul_f32 v3, v22, v14 :: v_dual_fmac_f32 v146, v24, v15
	s_delay_alu instid0(VALU_DEP_2) | instskip(NEXT) | instid1(VALU_DEP_3)
	v_add_f32_e32 v147, v147, v209
	v_fmac_f32_e32 v152, v22, v13
	s_delay_alu instid0(VALU_DEP_3) | instskip(NEXT) | instid1(VALU_DEP_3)
	v_fma_f32 v3, v21, v13, -v3
	v_add_f32_e32 v142, v147, v142
	s_delay_alu instid0(VALU_DEP_1) | instskip(NEXT) | instid1(VALU_DEP_1)
	v_add_f32_e32 v5, v142, v143
	v_add_f32_e32 v2, v5, v148
	v_fma_f32 v5, v17, v9, -v6
	s_delay_alu instid0(VALU_DEP_2) | instskip(NEXT) | instid1(VALU_DEP_2)
	v_add_f32_e32 v2, v2, v149
	v_add_f32_e32 v1, v1, v5
	s_delay_alu instid0(VALU_DEP_2) | instskip(NEXT) | instid1(VALU_DEP_2)
	v_dual_mul_f32 v5, v24, v16 :: v_dual_add_f32 v2, v2, v150
	v_add_f32_e32 v1, v1, v4
	s_delay_alu instid0(VALU_DEP_2) | instskip(NEXT) | instid1(VALU_DEP_3)
	v_fma_f32 v4, v23, v15, -v5
	v_add_f32_e32 v2, v2, v151
	s_delay_alu instid0(VALU_DEP_1) | instskip(NEXT) | instid1(VALU_DEP_1)
	v_dual_add_f32 v1, v1, v3 :: v_dual_add_f32 v2, v2, v152
	v_dual_add_f32 v1, v1, v4 :: v_dual_add_f32 v2, v2, v146
	s_delay_alu instid0(VALU_DEP_1)
	v_dual_sub_f32 v1, v139, v1 :: v_dual_sub_f32 v2, v140, v2
	scratch_store_b64 off, v[1:2], off offset:64
	v_cmpx_lt_u32_e32 7, v0
	s_cbranch_execz .LBB120_341
; %bb.340:
	scratch_load_b64 v[1:2], off, off offset:56
	v_mov_b32_e32 v3, 0
	s_delay_alu instid0(VALU_DEP_1)
	v_mov_b32_e32 v4, v3
	scratch_store_b64 off, v[3:4], off offset:56
	s_wait_loadcnt 0x0
	ds_store_b64 v141, v[1:2]
.LBB120_341:
	s_wait_alu 0xfffe
	s_or_b32 exec_lo, exec_lo, s0
	s_wait_storecnt_dscnt 0x0
	s_barrier_signal -1
	s_barrier_wait -1
	global_inv scope:SCOPE_SE
	s_clause 0x4
	scratch_load_b128 v[5:8], off, off offset:64
	scratch_load_b128 v[1:4], off, off offset:80
	;; [unrolled: 1-line block ×5, first 2 shown]
	v_mov_b32_e32 v139, 0
	ds_load_b128 v[21:24], v139 offset:528
	ds_load_b128 v[142:145], v139 offset:544
	;; [unrolled: 1-line block ×3, first 2 shown]
	scratch_load_b64 v[150:151], off, off offset:56
	s_mov_b32 s0, exec_lo
	s_wait_loadcnt_dscnt 0x502
	v_mul_f32_e32 v140, v22, v6
	v_dual_mul_f32 v152, v21, v6 :: v_dual_mul_f32 v153, v23, v8
	v_mul_f32_e32 v6, v24, v8
	s_wait_loadcnt_dscnt 0x300
	v_mul_f32_e32 v154, v148, v12
	v_fma_f32 v21, v21, v5, -v140
	v_dual_fmac_f32 v152, v22, v5 :: v_dual_fmac_f32 v153, v24, v7
	v_fma_f32 v22, v23, v7, -v6
	ds_load_b128 v[5:8], v139 offset:576
	v_dual_mul_f32 v23, v142, v2 :: v_dual_mul_f32 v24, v144, v4
	v_mul_f32_e32 v4, v145, v4
	v_mul_f32_e32 v140, v146, v10
	;; [unrolled: 1-line block ×5, first 2 shown]
	v_dual_fmac_f32 v23, v143, v1 :: v_dual_fmac_f32 v24, v145, v3
	v_fma_f32 v143, v144, v3, -v4
	v_fmac_f32_e32 v140, v147, v9
	v_fma_f32 v144, v146, v9, -v10
	v_fmac_f32_e32 v154, v149, v11
	v_fma_f32 v145, v148, v11, -v12
	ds_load_b128 v[9:12], v139 offset:592
	s_wait_loadcnt_dscnt 0x201
	v_dual_mul_f32 v147, v7, v16 :: v_dual_mul_f32 v146, v5, v14
	v_mul_f32_e32 v14, v6, v14
	v_mul_f32_e32 v16, v8, v16
	s_delay_alu instid0(VALU_DEP_3)
	v_fmac_f32_e32 v147, v8, v15
	v_fma_f32 v142, v142, v1, -v2
	scratch_load_b128 v[1:4], off, off offset:144
	v_fmac_f32_e32 v146, v6, v13
	v_fma_f32 v13, v5, v13, -v14
	v_fma_f32 v14, v7, v15, -v16
	ds_load_b128 v[5:8], v139 offset:608
	s_wait_loadcnt_dscnt 0x201
	v_mul_f32_e32 v15, v9, v18
	v_mul_f32_e32 v16, v10, v18
	;; [unrolled: 1-line block ×3, first 2 shown]
	s_delay_alu instid0(VALU_DEP_3) | instskip(NEXT) | instid1(VALU_DEP_3)
	v_dual_mul_f32 v20, v12, v20 :: v_dual_fmac_f32 v15, v10, v17
	v_fma_f32 v16, v9, v17, -v16
	s_delay_alu instid0(VALU_DEP_3) | instskip(NEXT) | instid1(VALU_DEP_3)
	v_fmac_f32_e32 v18, v12, v19
	v_fma_f32 v17, v11, v19, -v20
	scratch_load_b128 v[9:12], off, off offset:160
	s_wait_loadcnt_dscnt 0x100
	v_mul_f32_e32 v19, v5, v2
	v_mul_f32_e32 v2, v6, v2
	;; [unrolled: 1-line block ×3, first 2 shown]
	s_delay_alu instid0(VALU_DEP_3) | instskip(NEXT) | instid1(VALU_DEP_3)
	v_dual_mul_f32 v4, v8, v4 :: v_dual_fmac_f32 v19, v6, v1
	v_fma_f32 v148, v5, v1, -v2
	s_delay_alu instid0(VALU_DEP_3) | instskip(NEXT) | instid1(VALU_DEP_3)
	v_fmac_f32_e32 v20, v8, v3
	v_fma_f32 v149, v7, v3, -v4
	ds_load_b128 v[1:4], v139 offset:624
	ds_load_b128 v[5:8], v139 offset:640
	s_wait_loadcnt_dscnt 0x1
	v_mul_f32_e32 v155, v1, v10
	v_mul_f32_e32 v10, v2, v10
	s_delay_alu instid0(VALU_DEP_2) | instskip(NEXT) | instid1(VALU_DEP_2)
	v_dual_mul_f32 v156, v3, v12 :: v_dual_fmac_f32 v155, v2, v9
	v_fma_f32 v157, v1, v9, -v10
	v_mul_f32_e32 v1, v4, v12
	s_delay_alu instid0(VALU_DEP_3) | instskip(NEXT) | instid1(VALU_DEP_2)
	v_fmac_f32_e32 v156, v4, v11
	v_fma_f32 v158, v3, v11, -v1
	s_clause 0x1
	scratch_load_b128 v[1:4], off, off offset:176
	scratch_load_b128 v[9:12], off, off offset:192
	s_wait_loadcnt_dscnt 0x100
	v_mul_f32_e32 v159, v5, v2
	v_dual_mul_f32 v2, v6, v2 :: v_dual_mul_f32 v161, v7, v4
	s_delay_alu instid0(VALU_DEP_2) | instskip(NEXT) | instid1(VALU_DEP_2)
	v_fmac_f32_e32 v159, v6, v1
	v_fma_f32 v160, v5, v1, -v2
	v_mul_f32_e32 v1, v8, v4
	s_delay_alu instid0(VALU_DEP_4) | instskip(NEXT) | instid1(VALU_DEP_2)
	v_fmac_f32_e32 v161, v8, v3
	v_fma_f32 v162, v7, v3, -v1
	ds_load_b128 v[1:4], v139 offset:656
	ds_load_b128 v[5:8], v139 offset:672
	s_wait_loadcnt_dscnt 0x1
	v_mul_f32_e32 v163, v1, v10
	v_mul_f32_e32 v165, v3, v12
	s_delay_alu instid0(VALU_DEP_2) | instskip(NEXT) | instid1(VALU_DEP_2)
	v_fmac_f32_e32 v163, v2, v9
	v_dual_mul_f32 v2, v2, v10 :: v_dual_fmac_f32 v165, v4, v11
	s_delay_alu instid0(VALU_DEP_1) | instskip(SKIP_1) | instid1(VALU_DEP_1)
	v_fma_f32 v164, v1, v9, -v2
	v_mul_f32_e32 v1, v4, v12
	v_fma_f32 v166, v3, v11, -v1
	s_clause 0x1
	scratch_load_b128 v[1:4], off, off offset:208
	scratch_load_b128 v[9:12], off, off offset:224
	s_wait_loadcnt_dscnt 0x100
	v_mul_f32_e32 v167, v5, v2
	v_dual_mul_f32 v2, v6, v2 :: v_dual_mul_f32 v169, v7, v4
	s_delay_alu instid0(VALU_DEP_2) | instskip(NEXT) | instid1(VALU_DEP_2)
	v_fmac_f32_e32 v167, v6, v1
	v_fma_f32 v168, v5, v1, -v2
	v_mul_f32_e32 v1, v8, v4
	s_delay_alu instid0(VALU_DEP_4) | instskip(NEXT) | instid1(VALU_DEP_2)
	v_fmac_f32_e32 v169, v8, v3
	v_fma_f32 v170, v7, v3, -v1
	ds_load_b128 v[1:4], v139 offset:688
	ds_load_b128 v[5:8], v139 offset:704
	s_wait_loadcnt_dscnt 0x1
	v_mul_f32_e32 v171, v1, v10
	v_mul_f32_e32 v173, v3, v12
	s_delay_alu instid0(VALU_DEP_2) | instskip(NEXT) | instid1(VALU_DEP_2)
	v_fmac_f32_e32 v171, v2, v9
	v_dual_mul_f32 v2, v2, v10 :: v_dual_fmac_f32 v173, v4, v11
	s_delay_alu instid0(VALU_DEP_1) | instskip(SKIP_1) | instid1(VALU_DEP_1)
	v_fma_f32 v172, v1, v9, -v2
	v_mul_f32_e32 v1, v4, v12
	v_fma_f32 v174, v3, v11, -v1
	s_clause 0x1
	scratch_load_b128 v[1:4], off, off offset:240
	scratch_load_b128 v[9:12], off, off offset:256
	s_wait_loadcnt_dscnt 0x100
	v_mul_f32_e32 v175, v5, v2
	v_dual_mul_f32 v2, v6, v2 :: v_dual_mul_f32 v177, v7, v4
	s_delay_alu instid0(VALU_DEP_2) | instskip(NEXT) | instid1(VALU_DEP_2)
	v_fmac_f32_e32 v175, v6, v1
	v_fma_f32 v176, v5, v1, -v2
	v_mul_f32_e32 v1, v8, v4
	s_delay_alu instid0(VALU_DEP_4) | instskip(NEXT) | instid1(VALU_DEP_2)
	v_fmac_f32_e32 v177, v8, v3
	v_fma_f32 v178, v7, v3, -v1
	ds_load_b128 v[1:4], v139 offset:720
	ds_load_b128 v[5:8], v139 offset:736
	s_wait_loadcnt_dscnt 0x1
	v_mul_f32_e32 v179, v1, v10
	v_mul_f32_e32 v181, v3, v12
	s_delay_alu instid0(VALU_DEP_2) | instskip(NEXT) | instid1(VALU_DEP_2)
	v_fmac_f32_e32 v179, v2, v9
	v_dual_mul_f32 v2, v2, v10 :: v_dual_fmac_f32 v181, v4, v11
	s_delay_alu instid0(VALU_DEP_1) | instskip(SKIP_1) | instid1(VALU_DEP_1)
	v_fma_f32 v180, v1, v9, -v2
	v_mul_f32_e32 v1, v4, v12
	v_fma_f32 v182, v3, v11, -v1
	s_clause 0x1
	scratch_load_b128 v[1:4], off, off offset:272
	scratch_load_b128 v[9:12], off, off offset:288
	s_wait_loadcnt_dscnt 0x100
	v_mul_f32_e32 v183, v5, v2
	v_dual_mul_f32 v2, v6, v2 :: v_dual_mul_f32 v185, v7, v4
	s_delay_alu instid0(VALU_DEP_2) | instskip(NEXT) | instid1(VALU_DEP_2)
	v_fmac_f32_e32 v183, v6, v1
	v_fma_f32 v184, v5, v1, -v2
	v_mul_f32_e32 v1, v8, v4
	s_delay_alu instid0(VALU_DEP_4) | instskip(NEXT) | instid1(VALU_DEP_2)
	v_fmac_f32_e32 v185, v8, v3
	v_fma_f32 v186, v7, v3, -v1
	ds_load_b128 v[1:4], v139 offset:752
	ds_load_b128 v[5:8], v139 offset:768
	s_wait_loadcnt_dscnt 0x1
	v_mul_f32_e32 v187, v1, v10
	v_mul_f32_e32 v189, v3, v12
	s_delay_alu instid0(VALU_DEP_2) | instskip(NEXT) | instid1(VALU_DEP_2)
	v_fmac_f32_e32 v187, v2, v9
	v_dual_mul_f32 v2, v2, v10 :: v_dual_fmac_f32 v189, v4, v11
	s_delay_alu instid0(VALU_DEP_1) | instskip(SKIP_1) | instid1(VALU_DEP_1)
	v_fma_f32 v188, v1, v9, -v2
	v_mul_f32_e32 v1, v4, v12
	v_fma_f32 v190, v3, v11, -v1
	s_clause 0x1
	scratch_load_b128 v[1:4], off, off offset:304
	scratch_load_b128 v[9:12], off, off offset:320
	s_wait_loadcnt_dscnt 0x100
	v_mul_f32_e32 v191, v5, v2
	v_dual_mul_f32 v2, v6, v2 :: v_dual_mul_f32 v193, v7, v4
	s_delay_alu instid0(VALU_DEP_2) | instskip(NEXT) | instid1(VALU_DEP_2)
	v_fmac_f32_e32 v191, v6, v1
	v_fma_f32 v192, v5, v1, -v2
	v_mul_f32_e32 v1, v8, v4
	s_delay_alu instid0(VALU_DEP_4) | instskip(NEXT) | instid1(VALU_DEP_2)
	v_fmac_f32_e32 v193, v8, v3
	v_fma_f32 v194, v7, v3, -v1
	ds_load_b128 v[1:4], v139 offset:784
	ds_load_b128 v[5:8], v139 offset:800
	s_wait_loadcnt_dscnt 0x1
	v_mul_f32_e32 v195, v1, v10
	v_mul_f32_e32 v197, v3, v12
	s_delay_alu instid0(VALU_DEP_2) | instskip(NEXT) | instid1(VALU_DEP_2)
	v_fmac_f32_e32 v195, v2, v9
	v_dual_mul_f32 v2, v2, v10 :: v_dual_fmac_f32 v197, v4, v11
	s_delay_alu instid0(VALU_DEP_1) | instskip(SKIP_1) | instid1(VALU_DEP_1)
	v_fma_f32 v196, v1, v9, -v2
	v_mul_f32_e32 v1, v4, v12
	v_fma_f32 v198, v3, v11, -v1
	s_clause 0x1
	scratch_load_b128 v[1:4], off, off offset:336
	scratch_load_b128 v[9:12], off, off offset:352
	s_wait_loadcnt_dscnt 0x100
	v_mul_f32_e32 v199, v5, v2
	v_dual_mul_f32 v2, v6, v2 :: v_dual_mul_f32 v201, v7, v4
	s_delay_alu instid0(VALU_DEP_2) | instskip(NEXT) | instid1(VALU_DEP_2)
	v_fmac_f32_e32 v199, v6, v1
	v_fma_f32 v200, v5, v1, -v2
	v_mul_f32_e32 v1, v8, v4
	s_delay_alu instid0(VALU_DEP_4) | instskip(NEXT) | instid1(VALU_DEP_2)
	v_fmac_f32_e32 v201, v8, v3
	v_fma_f32 v202, v7, v3, -v1
	ds_load_b128 v[1:4], v139 offset:816
	ds_load_b128 v[5:8], v139 offset:832
	s_wait_loadcnt_dscnt 0x1
	v_mul_f32_e32 v203, v1, v10
	v_mul_f32_e32 v205, v3, v12
	s_delay_alu instid0(VALU_DEP_2) | instskip(NEXT) | instid1(VALU_DEP_2)
	v_fmac_f32_e32 v203, v2, v9
	v_dual_mul_f32 v2, v2, v10 :: v_dual_fmac_f32 v205, v4, v11
	s_delay_alu instid0(VALU_DEP_1) | instskip(SKIP_1) | instid1(VALU_DEP_1)
	v_fma_f32 v204, v1, v9, -v2
	v_mul_f32_e32 v1, v4, v12
	v_fma_f32 v206, v3, v11, -v1
	s_clause 0x1
	scratch_load_b128 v[1:4], off, off offset:368
	scratch_load_b128 v[9:12], off, off offset:384
	s_wait_loadcnt_dscnt 0x100
	v_mul_f32_e32 v207, v5, v2
	v_mul_f32_e32 v2, v6, v2
	s_delay_alu instid0(VALU_DEP_2) | instskip(NEXT) | instid1(VALU_DEP_2)
	v_fmac_f32_e32 v207, v6, v1
	v_fma_f32 v208, v5, v1, -v2
	v_add_f32_e32 v2, 0, v152
	s_delay_alu instid0(VALU_DEP_1) | instskip(NEXT) | instid1(VALU_DEP_1)
	v_dual_mul_f32 v1, v8, v4 :: v_dual_add_f32 v2, v2, v153
	v_fma_f32 v210, v7, v3, -v1
	s_delay_alu instid0(VALU_DEP_2) | instskip(NEXT) | instid1(VALU_DEP_1)
	v_dual_add_f32 v1, 0, v21 :: v_dual_add_f32 v2, v2, v23
	v_dual_add_f32 v1, v1, v22 :: v_dual_add_f32 v2, v2, v24
	s_delay_alu instid0(VALU_DEP_1) | instskip(NEXT) | instid1(VALU_DEP_1)
	v_add_f32_e32 v2, v2, v140
	v_add_f32_e32 v2, v2, v154
	s_delay_alu instid0(VALU_DEP_1) | instskip(NEXT) | instid1(VALU_DEP_1)
	v_add_f32_e32 v2, v2, v146
	v_dual_add_f32 v1, v1, v142 :: v_dual_add_f32 v2, v2, v147
	s_delay_alu instid0(VALU_DEP_1) | instskip(SKIP_2) | instid1(VALU_DEP_1)
	v_add_f32_e32 v1, v1, v143
	scratch_load_b64 v[142:143], off, off offset:448
	v_dual_add_f32 v2, v2, v15 :: v_dual_add_f32 v1, v1, v144
	v_dual_add_f32 v2, v2, v18 :: v_dual_add_f32 v1, v1, v145
	s_delay_alu instid0(VALU_DEP_1) | instskip(NEXT) | instid1(VALU_DEP_1)
	v_dual_add_f32 v2, v2, v19 :: v_dual_add_f32 v1, v1, v13
	v_dual_add_f32 v2, v2, v20 :: v_dual_add_f32 v1, v1, v14
	s_delay_alu instid0(VALU_DEP_1) | instskip(NEXT) | instid1(VALU_DEP_1)
	;; [unrolled: 3-line block ×3, first 2 shown]
	v_dual_add_f32 v2, v2, v159 :: v_dual_add_f32 v1, v1, v148
	v_add_f32_e32 v2, v2, v161
	s_delay_alu instid0(VALU_DEP_1) | instskip(NEXT) | instid1(VALU_DEP_1)
	v_dual_add_f32 v1, v1, v149 :: v_dual_add_f32 v2, v2, v163
	v_add_f32_e32 v1, v1, v157
	s_delay_alu instid0(VALU_DEP_1) | instskip(NEXT) | instid1(VALU_DEP_1)
	v_dual_add_f32 v2, v2, v165 :: v_dual_add_f32 v1, v1, v158
	v_dual_add_f32 v2, v2, v167 :: v_dual_add_f32 v1, v1, v160
	s_delay_alu instid0(VALU_DEP_1) | instskip(NEXT) | instid1(VALU_DEP_1)
	v_dual_add_f32 v2, v2, v169 :: v_dual_add_f32 v1, v1, v162
	v_dual_add_f32 v2, v2, v171 :: v_dual_add_f32 v1, v1, v164
	s_delay_alu instid0(VALU_DEP_1) | instskip(NEXT) | instid1(VALU_DEP_1)
	v_dual_add_f32 v2, v2, v173 :: v_dual_add_f32 v1, v1, v166
	v_add_f32_e32 v1, v1, v168
	s_delay_alu instid0(VALU_DEP_1) | instskip(NEXT) | instid1(VALU_DEP_1)
	v_add_f32_e32 v1, v1, v170
	v_add_f32_e32 v1, v1, v172
	s_delay_alu instid0(VALU_DEP_1) | instskip(NEXT) | instid1(VALU_DEP_1)
	v_add_f32_e32 v1, v1, v174
	;; [unrolled: 3-line block ×3, first 2 shown]
	v_add_f32_e32 v1, v1, v180
	s_delay_alu instid0(VALU_DEP_1) | instskip(SKIP_1) | instid1(VALU_DEP_2)
	v_add_f32_e32 v6, v1, v182
	v_add_f32_e32 v2, v2, v175
	;; [unrolled: 1-line block ×3, first 2 shown]
	s_delay_alu instid0(VALU_DEP_2) | instskip(NEXT) | instid1(VALU_DEP_2)
	v_add_f32_e32 v2, v2, v177
	v_add_f32_e32 v13, v6, v186
	s_delay_alu instid0(VALU_DEP_2) | instskip(NEXT) | instid1(VALU_DEP_2)
	v_add_f32_e32 v5, v2, v179
	v_add_f32_e32 v13, v13, v188
	;; [unrolled: 3-line block ×3, first 2 shown]
	s_delay_alu instid0(VALU_DEP_2) | instskip(SKIP_1) | instid1(VALU_DEP_3)
	v_add_f32_e32 v5, v5, v183
	v_mul_f32_e32 v209, v7, v4
	v_add_f32_e32 v13, v13, v192
	s_delay_alu instid0(VALU_DEP_2) | instskip(SKIP_3) | instid1(VALU_DEP_1)
	v_dual_add_f32 v14, v5, v185 :: v_dual_fmac_f32 v209, v8, v3
	ds_load_b128 v[1:4], v139 offset:848
	ds_load_b128 v[5:8], v139 offset:864
	v_add_f32_e32 v18, v13, v194
	v_add_f32_e32 v18, v18, v196
	s_delay_alu instid0(VALU_DEP_1) | instskip(NEXT) | instid1(VALU_DEP_1)
	v_add_f32_e32 v18, v18, v198
	v_add_f32_e32 v18, v18, v200
	s_wait_loadcnt_dscnt 0x101
	v_mul_f32_e32 v140, v1, v10
	v_mul_f32_e32 v10, v2, v10
	;; [unrolled: 1-line block ×4, first 2 shown]
	v_add_f32_e32 v14, v14, v187
	v_fmac_f32_e32 v140, v2, v9
	v_fma_f32 v147, v1, v9, -v10
	v_fmac_f32_e32 v146, v4, v11
	v_fma_f32 v148, v3, v11, -v12
	s_clause 0x1
	scratch_load_b128 v[1:4], off, off offset:400
	scratch_load_b128 v[9:12], off, off offset:416
	v_add_f32_e32 v14, v14, v189
	v_add_f32_e32 v18, v18, v202
	s_delay_alu instid0(VALU_DEP_2) | instskip(SKIP_2) | instid1(VALU_DEP_1)
	v_add_f32_e32 v17, v14, v191
	scratch_load_b128 v[13:16], off, off offset:432
	v_dual_add_f32 v144, v18, v204 :: v_dual_add_f32 v17, v17, v193
	v_add_f32_e32 v149, v144, v206
	s_delay_alu instid0(VALU_DEP_2) | instskip(NEXT) | instid1(VALU_DEP_2)
	v_add_f32_e32 v17, v17, v195
	v_add_f32_e32 v149, v149, v208
	s_delay_alu instid0(VALU_DEP_2) | instskip(NEXT) | instid1(VALU_DEP_2)
	v_add_f32_e32 v17, v17, v197
	;; [unrolled: 3-line block ×3, first 2 shown]
	v_add_f32_e32 v147, v149, v147
	s_delay_alu instid0(VALU_DEP_2)
	v_add_f32_e32 v21, v17, v201
	ds_load_b128 v[17:20], v139 offset:880
	v_add_f32_e32 v147, v147, v148
	s_wait_loadcnt_dscnt 0x201
	v_dual_mul_f32 v154, v7, v4 :: v_dual_add_f32 v145, v21, v203
	v_mul_f32_e32 v4, v8, v4
	ds_load_b128 v[21:24], v139 offset:896
	v_mul_f32_e32 v153, v5, v2
	v_mul_f32_e32 v2, v6, v2
	v_add_f32_e32 v152, v145, v205
	ds_load_b64 v[144:145], v139 offset:912
	s_wait_loadcnt_dscnt 0x102
	v_mul_f32_e32 v149, v17, v10
	v_fmac_f32_e32 v153, v6, v1
	v_fma_f32 v2, v5, v1, -v2
	v_add_f32_e32 v152, v152, v207
	v_fmac_f32_e32 v154, v8, v3
	v_fma_f32 v1, v7, v3, -v4
	v_mul_f32_e32 v3, v18, v10
	v_add_f32_e32 v2, v147, v2
	v_add_f32_e32 v152, v152, v209
	v_mul_f32_e32 v5, v20, v12
	v_fmac_f32_e32 v149, v18, v9
	v_fma_f32 v3, v17, v9, -v3
	s_delay_alu instid0(VALU_DEP_4) | instskip(SKIP_3) | instid1(VALU_DEP_3)
	v_dual_add_f32 v1, v2, v1 :: v_dual_add_f32 v140, v152, v140
	s_wait_loadcnt_dscnt 0x1
	v_dual_mul_f32 v152, v19, v12 :: v_dual_mul_f32 v155, v21, v14
	v_fma_f32 v5, v19, v11, -v5
	v_dual_add_f32 v1, v1, v3 :: v_dual_add_f32 v140, v140, v146
	s_delay_alu instid0(VALU_DEP_3)
	v_fmac_f32_e32 v152, v20, v11
	v_mul_f32_e32 v148, v23, v16
	v_mul_f32_e32 v3, v24, v16
	v_fmac_f32_e32 v155, v22, v13
	v_add_f32_e32 v4, v140, v153
	s_wait_dscnt 0x0
	v_dual_add_f32 v1, v1, v5 :: v_dual_mul_f32 v146, v144, v143
	v_mul_f32_e32 v5, v145, v143
	v_fmac_f32_e32 v148, v24, v15
	v_add_f32_e32 v2, v4, v154
	v_mul_f32_e32 v4, v22, v14
	v_fma_f32 v3, v23, v15, -v3
	v_fmac_f32_e32 v146, v145, v142
	s_delay_alu instid0(VALU_DEP_4) | instskip(NEXT) | instid1(VALU_DEP_4)
	v_add_f32_e32 v2, v2, v149
	v_fma_f32 v4, v21, v13, -v4
	s_delay_alu instid0(VALU_DEP_2) | instskip(NEXT) | instid1(VALU_DEP_2)
	v_add_f32_e32 v2, v2, v152
	v_add_f32_e32 v1, v1, v4
	v_fma_f32 v4, v144, v142, -v5
	s_delay_alu instid0(VALU_DEP_3) | instskip(NEXT) | instid1(VALU_DEP_1)
	v_add_f32_e32 v2, v2, v155
	v_dual_add_f32 v1, v1, v3 :: v_dual_add_f32 v2, v2, v148
	s_delay_alu instid0(VALU_DEP_1) | instskip(NEXT) | instid1(VALU_DEP_1)
	v_dual_add_f32 v1, v1, v4 :: v_dual_add_f32 v2, v2, v146
	v_dual_sub_f32 v1, v150, v1 :: v_dual_sub_f32 v2, v151, v2
	scratch_store_b64 off, v[1:2], off offset:56
	v_cmpx_lt_u32_e32 6, v0
	s_cbranch_execz .LBB120_343
; %bb.342:
	scratch_load_b64 v[1:2], off, off offset:48
	v_mov_b32_e32 v140, v139
	scratch_store_b64 off, v[139:140], off offset:48
	s_wait_loadcnt 0x0
	ds_store_b64 v141, v[1:2]
.LBB120_343:
	s_wait_alu 0xfffe
	s_or_b32 exec_lo, exec_lo, s0
	s_wait_storecnt_dscnt 0x0
	s_barrier_signal -1
	s_barrier_wait -1
	global_inv scope:SCOPE_SE
	s_clause 0x4
	scratch_load_b128 v[5:8], off, off offset:56
	scratch_load_b128 v[1:4], off, off offset:72
	;; [unrolled: 1-line block ×5, first 2 shown]
	ds_load_2addr_b64 v[21:24], v139 offset0:65 offset1:66
	ds_load_2addr_b64 v[142:145], v139 offset0:67 offset1:68
	;; [unrolled: 1-line block ×3, first 2 shown]
	scratch_load_b64 v[150:151], off, off offset:48
	s_mov_b32 s0, exec_lo
	s_wait_loadcnt_dscnt 0x502
	v_mul_f32_e32 v140, v21, v6
	v_mul_f32_e32 v152, v23, v8
	s_wait_loadcnt_dscnt 0x300
	v_dual_mul_f32 v8, v24, v8 :: v_dual_mul_f32 v153, v146, v10
	v_mul_f32_e32 v6, v22, v6
	v_fmac_f32_e32 v140, v22, v5
	v_mul_f32_e32 v10, v147, v10
	s_delay_alu instid0(VALU_DEP_4)
	v_fma_f32 v22, v23, v7, -v8
	v_dual_mul_f32 v23, v142, v2 :: v_dual_fmac_f32 v152, v24, v7
	v_fmac_f32_e32 v153, v147, v9
	v_fma_f32 v21, v21, v5, -v6
	ds_load_2addr_b64 v[5:8], v139 offset0:71 offset1:72
	v_mul_f32_e32 v24, v144, v4
	v_mul_f32_e32 v4, v145, v4
	;; [unrolled: 1-line block ×5, first 2 shown]
	v_dual_fmac_f32 v23, v143, v1 :: v_dual_fmac_f32 v24, v145, v3
	v_fma_f32 v143, v144, v3, -v4
	v_fma_f32 v144, v146, v9, -v10
	v_fmac_f32_e32 v154, v149, v11
	v_fma_f32 v145, v148, v11, -v12
	ds_load_2addr_b64 v[9:12], v139 offset0:73 offset1:74
	s_wait_loadcnt_dscnt 0x201
	v_dual_mul_f32 v147, v7, v16 :: v_dual_mul_f32 v146, v5, v14
	v_mul_f32_e32 v14, v6, v14
	v_mul_f32_e32 v16, v8, v16
	s_delay_alu instid0(VALU_DEP_3)
	v_fmac_f32_e32 v147, v8, v15
	v_fma_f32 v142, v142, v1, -v2
	scratch_load_b128 v[1:4], off, off offset:136
	v_fmac_f32_e32 v146, v6, v13
	v_fma_f32 v13, v5, v13, -v14
	v_fma_f32 v14, v7, v15, -v16
	ds_load_2addr_b64 v[5:8], v139 offset0:75 offset1:76
	s_wait_loadcnt_dscnt 0x201
	v_mul_f32_e32 v15, v9, v18
	v_mul_f32_e32 v16, v10, v18
	v_mul_f32_e32 v18, v11, v20
	s_delay_alu instid0(VALU_DEP_3) | instskip(NEXT) | instid1(VALU_DEP_3)
	v_dual_mul_f32 v20, v12, v20 :: v_dual_fmac_f32 v15, v10, v17
	v_fma_f32 v16, v9, v17, -v16
	s_delay_alu instid0(VALU_DEP_3) | instskip(NEXT) | instid1(VALU_DEP_3)
	v_fmac_f32_e32 v18, v12, v19
	v_fma_f32 v17, v11, v19, -v20
	scratch_load_b128 v[9:12], off, off offset:152
	s_wait_loadcnt_dscnt 0x100
	v_mul_f32_e32 v19, v5, v2
	v_mul_f32_e32 v2, v6, v2
	;; [unrolled: 1-line block ×3, first 2 shown]
	s_delay_alu instid0(VALU_DEP_3) | instskip(NEXT) | instid1(VALU_DEP_3)
	v_dual_mul_f32 v4, v8, v4 :: v_dual_fmac_f32 v19, v6, v1
	v_fma_f32 v148, v5, v1, -v2
	s_delay_alu instid0(VALU_DEP_3) | instskip(NEXT) | instid1(VALU_DEP_3)
	v_fmac_f32_e32 v20, v8, v3
	v_fma_f32 v149, v7, v3, -v4
	ds_load_2addr_b64 v[1:4], v139 offset0:77 offset1:78
	ds_load_2addr_b64 v[5:8], v139 offset0:79 offset1:80
	s_wait_loadcnt_dscnt 0x1
	v_mul_f32_e32 v155, v1, v10
	v_mul_f32_e32 v10, v2, v10
	s_delay_alu instid0(VALU_DEP_2) | instskip(NEXT) | instid1(VALU_DEP_2)
	v_dual_mul_f32 v156, v3, v12 :: v_dual_fmac_f32 v155, v2, v9
	v_fma_f32 v157, v1, v9, -v10
	v_mul_f32_e32 v1, v4, v12
	s_delay_alu instid0(VALU_DEP_3) | instskip(NEXT) | instid1(VALU_DEP_2)
	v_fmac_f32_e32 v156, v4, v11
	v_fma_f32 v158, v3, v11, -v1
	s_clause 0x1
	scratch_load_b128 v[1:4], off, off offset:168
	scratch_load_b128 v[9:12], off, off offset:184
	s_wait_loadcnt_dscnt 0x100
	v_mul_f32_e32 v159, v5, v2
	v_dual_mul_f32 v2, v6, v2 :: v_dual_mul_f32 v161, v7, v4
	s_delay_alu instid0(VALU_DEP_2) | instskip(NEXT) | instid1(VALU_DEP_2)
	v_fmac_f32_e32 v159, v6, v1
	v_fma_f32 v160, v5, v1, -v2
	v_mul_f32_e32 v1, v8, v4
	s_delay_alu instid0(VALU_DEP_4) | instskip(NEXT) | instid1(VALU_DEP_2)
	v_fmac_f32_e32 v161, v8, v3
	v_fma_f32 v162, v7, v3, -v1
	ds_load_2addr_b64 v[1:4], v139 offset0:81 offset1:82
	ds_load_2addr_b64 v[5:8], v139 offset0:83 offset1:84
	s_wait_loadcnt_dscnt 0x1
	v_mul_f32_e32 v163, v1, v10
	v_mul_f32_e32 v165, v3, v12
	s_delay_alu instid0(VALU_DEP_2) | instskip(NEXT) | instid1(VALU_DEP_2)
	v_fmac_f32_e32 v163, v2, v9
	v_dual_mul_f32 v2, v2, v10 :: v_dual_fmac_f32 v165, v4, v11
	s_delay_alu instid0(VALU_DEP_1) | instskip(SKIP_1) | instid1(VALU_DEP_1)
	v_fma_f32 v164, v1, v9, -v2
	v_mul_f32_e32 v1, v4, v12
	v_fma_f32 v166, v3, v11, -v1
	s_clause 0x1
	scratch_load_b128 v[1:4], off, off offset:200
	scratch_load_b128 v[9:12], off, off offset:216
	s_wait_loadcnt_dscnt 0x100
	v_mul_f32_e32 v167, v5, v2
	v_dual_mul_f32 v2, v6, v2 :: v_dual_mul_f32 v169, v7, v4
	s_delay_alu instid0(VALU_DEP_2) | instskip(NEXT) | instid1(VALU_DEP_2)
	v_fmac_f32_e32 v167, v6, v1
	v_fma_f32 v168, v5, v1, -v2
	v_mul_f32_e32 v1, v8, v4
	s_delay_alu instid0(VALU_DEP_4) | instskip(NEXT) | instid1(VALU_DEP_2)
	v_fmac_f32_e32 v169, v8, v3
	v_fma_f32 v170, v7, v3, -v1
	ds_load_2addr_b64 v[1:4], v139 offset0:85 offset1:86
	ds_load_2addr_b64 v[5:8], v139 offset0:87 offset1:88
	s_wait_loadcnt_dscnt 0x1
	v_mul_f32_e32 v171, v1, v10
	v_mul_f32_e32 v173, v3, v12
	s_delay_alu instid0(VALU_DEP_2) | instskip(NEXT) | instid1(VALU_DEP_2)
	v_fmac_f32_e32 v171, v2, v9
	v_dual_mul_f32 v2, v2, v10 :: v_dual_fmac_f32 v173, v4, v11
	s_delay_alu instid0(VALU_DEP_1) | instskip(SKIP_1) | instid1(VALU_DEP_1)
	v_fma_f32 v172, v1, v9, -v2
	v_mul_f32_e32 v1, v4, v12
	;; [unrolled: 25-line block ×6, first 2 shown]
	v_fma_f32 v206, v3, v11, -v1
	s_clause 0x1
	scratch_load_b128 v[1:4], off, off offset:360
	scratch_load_b128 v[9:12], off, off offset:376
	s_wait_loadcnt_dscnt 0x100
	v_mul_f32_e32 v207, v5, v2
	v_mul_f32_e32 v2, v6, v2
	s_delay_alu instid0(VALU_DEP_2) | instskip(NEXT) | instid1(VALU_DEP_2)
	v_fmac_f32_e32 v207, v6, v1
	v_fma_f32 v208, v5, v1, -v2
	v_add_f32_e32 v2, 0, v140
	s_delay_alu instid0(VALU_DEP_1) | instskip(NEXT) | instid1(VALU_DEP_1)
	v_add_f32_e32 v2, v2, v152
	v_add_f32_e32 v2, v2, v23
	s_delay_alu instid0(VALU_DEP_1) | instskip(NEXT) | instid1(VALU_DEP_1)
	v_add_f32_e32 v2, v2, v24
	v_add_f32_e32 v2, v2, v153
	s_delay_alu instid0(VALU_DEP_1) | instskip(NEXT) | instid1(VALU_DEP_1)
	v_dual_add_f32 v2, v2, v154 :: v_dual_mul_f32 v1, v8, v4
	v_add_f32_e32 v2, v2, v146
	s_delay_alu instid0(VALU_DEP_2) | instskip(NEXT) | instid1(VALU_DEP_2)
	v_fma_f32 v210, v7, v3, -v1
	v_dual_add_f32 v1, 0, v21 :: v_dual_add_f32 v2, v2, v147
	s_delay_alu instid0(VALU_DEP_1) | instskip(NEXT) | instid1(VALU_DEP_1)
	v_dual_add_f32 v1, v1, v22 :: v_dual_add_f32 v2, v2, v15
	v_add_f32_e32 v1, v1, v142
	s_delay_alu instid0(VALU_DEP_1) | instskip(NEXT) | instid1(VALU_DEP_1)
	v_dual_add_f32 v2, v2, v18 :: v_dual_add_f32 v1, v1, v143
	v_dual_add_f32 v2, v2, v19 :: v_dual_add_f32 v1, v1, v144
	s_delay_alu instid0(VALU_DEP_1) | instskip(NEXT) | instid1(VALU_DEP_1)
	v_dual_add_f32 v2, v2, v20 :: v_dual_add_f32 v1, v1, v145
	v_dual_add_f32 v2, v2, v155 :: v_dual_add_f32 v1, v1, v13
	s_delay_alu instid0(VALU_DEP_1) | instskip(NEXT) | instid1(VALU_DEP_1)
	v_add_f32_e32 v2, v2, v156
	v_add_f32_e32 v2, v2, v159
	s_delay_alu instid0(VALU_DEP_1) | instskip(NEXT) | instid1(VALU_DEP_1)
	v_add_f32_e32 v2, v2, v161
	v_add_f32_e32 v2, v2, v163
	;; [unrolled: 3-line block ×4, first 2 shown]
	s_delay_alu instid0(VALU_DEP_1) | instskip(NEXT) | instid1(VALU_DEP_1)
	v_dual_add_f32 v2, v2, v173 :: v_dual_add_f32 v1, v1, v14
	v_add_f32_e32 v1, v1, v16
	s_delay_alu instid0(VALU_DEP_1) | instskip(NEXT) | instid1(VALU_DEP_1)
	v_add_f32_e32 v1, v1, v17
	v_add_f32_e32 v1, v1, v148
	s_delay_alu instid0(VALU_DEP_1) | instskip(NEXT) | instid1(VALU_DEP_1)
	v_add_f32_e32 v1, v1, v149
	;; [unrolled: 3-line block ×9, first 2 shown]
	v_add_f32_e32 v6, v1, v184
	v_add_f32_e32 v2, v2, v175
	s_delay_alu instid0(VALU_DEP_2) | instskip(NEXT) | instid1(VALU_DEP_2)
	v_add_f32_e32 v14, v6, v186
	v_dual_add_f32 v2, v2, v177 :: v_dual_mul_f32 v209, v7, v4
	s_delay_alu instid0(VALU_DEP_2) | instskip(NEXT) | instid1(VALU_DEP_2)
	v_add_f32_e32 v14, v14, v188
	v_add_f32_e32 v2, v2, v179
	s_delay_alu instid0(VALU_DEP_3) | instskip(NEXT) | instid1(VALU_DEP_3)
	v_fmac_f32_e32 v209, v8, v3
	v_add_f32_e32 v17, v14, v190
	s_delay_alu instid0(VALU_DEP_3)
	v_add_f32_e32 v5, v2, v181
	ds_load_2addr_b64 v[1:4], v139 offset0:105 offset1:106
	v_add_f32_e32 v17, v17, v192
	v_add_f32_e32 v13, v5, v183
	scratch_load_b128 v[5:8], off, off offset:392
	v_add_f32_e32 v17, v17, v194
	v_add_f32_e32 v13, v13, v185
	s_delay_alu instid0(VALU_DEP_2) | instskip(NEXT) | instid1(VALU_DEP_2)
	v_add_f32_e32 v17, v17, v196
	v_add_f32_e32 v13, v13, v187
	s_delay_alu instid0(VALU_DEP_2) | instskip(NEXT) | instid1(VALU_DEP_2)
	v_add_f32_e32 v22, v17, v198
	v_add_f32_e32 v18, v13, v189
	ds_load_2addr_b64 v[13:16], v139 offset0:107 offset1:108
	s_wait_loadcnt_dscnt 0x101
	v_mul_f32_e32 v142, v3, v12
	v_mul_f32_e32 v140, v1, v10
	;; [unrolled: 1-line block ×4, first 2 shown]
	v_add_f32_e32 v22, v22, v200
	v_fmac_f32_e32 v142, v4, v11
	v_add_f32_e32 v18, v18, v191
	v_fmac_f32_e32 v140, v2, v9
	v_fma_f32 v143, v1, v9, -v10
	v_fma_f32 v144, v3, v11, -v12
	scratch_load_b128 v[1:4], off, off offset:408
	v_add_f32_e32 v18, v18, v193
	scratch_load_b128 v[9:12], off, off offset:424
	v_add_f32_e32 v22, v22, v202
	s_wait_loadcnt_dscnt 0x200
	v_mul_f32_e32 v145, v13, v6
	v_mul_f32_e32 v6, v14, v6
	;; [unrolled: 1-line block ×3, first 2 shown]
	s_delay_alu instid0(VALU_DEP_3) | instskip(NEXT) | instid1(VALU_DEP_3)
	v_dual_mul_f32 v8, v16, v8 :: v_dual_fmac_f32 v145, v14, v5
	v_fma_f32 v147, v13, v5, -v6
	s_delay_alu instid0(VALU_DEP_3) | instskip(NEXT) | instid1(VALU_DEP_3)
	v_fmac_f32_e32 v146, v16, v7
	v_fma_f32 v148, v15, v7, -v8
	ds_load_2addr_b64 v[5:8], v139 offset0:109 offset1:110
	v_add_f32_e32 v21, v18, v195
	scratch_load_b128 v[17:20], off, off offset:440
	v_add_f32_e32 v21, v21, v197
	s_delay_alu instid0(VALU_DEP_1) | instskip(NEXT) | instid1(VALU_DEP_1)
	v_add_f32_e32 v21, v21, v199
	v_add_f32_e32 v13, v21, v201
	s_delay_alu instid0(VALU_DEP_1) | instskip(NEXT) | instid1(VALU_DEP_1)
	v_dual_add_f32 v21, v22, v204 :: v_dual_add_f32 v22, v13, v203
	v_add_f32_e32 v149, v21, v206
	ds_load_2addr_b64 v[13:16], v139 offset0:111 offset1:112
	v_add_f32_e32 v152, v22, v205
	ds_load_2addr_b64 v[21:24], v139 offset0:113 offset1:114
	v_add_f32_e32 v139, v149, v208
	s_wait_loadcnt_dscnt 0x202
	v_dual_add_f32 v149, v152, v207 :: v_dual_mul_f32 v152, v5, v2
	s_delay_alu instid0(VALU_DEP_2) | instskip(NEXT) | instid1(VALU_DEP_2)
	v_add_f32_e32 v139, v139, v210
	v_dual_mul_f32 v2, v6, v2 :: v_dual_add_f32 v149, v149, v209
	s_delay_alu instid0(VALU_DEP_2) | instskip(SKIP_2) | instid1(VALU_DEP_4)
	v_dual_fmac_f32 v152, v6, v1 :: v_dual_add_f32 v139, v139, v143
	v_mul_f32_e32 v143, v7, v4
	v_mul_f32_e32 v4, v8, v4
	v_add_f32_e32 v140, v149, v140
	v_fma_f32 v2, v5, v1, -v2
	v_add_f32_e32 v139, v139, v144
	s_wait_loadcnt_dscnt 0x101
	v_mul_f32_e32 v149, v13, v10
	v_mul_f32_e32 v6, v14, v10
	v_add_f32_e32 v140, v140, v142
	v_fmac_f32_e32 v143, v8, v3
	v_add_f32_e32 v139, v139, v147
	v_fma_f32 v3, v7, v3, -v4
	v_mul_f32_e32 v153, v15, v12
	v_dual_mul_f32 v4, v16, v12 :: v_dual_fmac_f32 v149, v14, v9
	s_delay_alu instid0(VALU_DEP_4) | instskip(NEXT) | instid1(VALU_DEP_3)
	v_add_f32_e32 v1, v139, v148
	v_fmac_f32_e32 v153, v16, v11
	s_delay_alu instid0(VALU_DEP_3) | instskip(NEXT) | instid1(VALU_DEP_3)
	v_fma_f32 v4, v15, v11, -v4
	v_add_f32_e32 v1, v1, v2
	s_delay_alu instid0(VALU_DEP_1) | instskip(SKIP_4) | instid1(VALU_DEP_2)
	v_add_f32_e32 v1, v1, v3
	s_wait_loadcnt_dscnt 0x0
	v_mul_f32_e32 v142, v21, v18
	v_dual_add_f32 v140, v140, v145 :: v_dual_mul_f32 v3, v22, v18
	v_mul_f32_e32 v144, v23, v20
	v_dual_fmac_f32 v142, v22, v17 :: v_dual_add_f32 v5, v140, v146
	s_delay_alu instid0(VALU_DEP_3) | instskip(NEXT) | instid1(VALU_DEP_3)
	v_fma_f32 v3, v21, v17, -v3
	v_fmac_f32_e32 v144, v24, v19
	s_delay_alu instid0(VALU_DEP_3) | instskip(SKIP_1) | instid1(VALU_DEP_1)
	v_add_f32_e32 v2, v5, v152
	v_fma_f32 v5, v13, v9, -v6
	v_dual_add_f32 v2, v2, v143 :: v_dual_add_f32 v1, v1, v5
	s_delay_alu instid0(VALU_DEP_1) | instskip(NEXT) | instid1(VALU_DEP_2)
	v_dual_mul_f32 v5, v24, v20 :: v_dual_add_f32 v2, v2, v149
	v_add_f32_e32 v1, v1, v4
	s_delay_alu instid0(VALU_DEP_2) | instskip(NEXT) | instid1(VALU_DEP_2)
	v_fma_f32 v4, v23, v19, -v5
	v_dual_add_f32 v2, v2, v153 :: v_dual_add_f32 v1, v1, v3
	s_delay_alu instid0(VALU_DEP_1) | instskip(NEXT) | instid1(VALU_DEP_1)
	v_dual_add_f32 v2, v2, v142 :: v_dual_add_f32 v1, v1, v4
	v_add_f32_e32 v2, v2, v144
	s_delay_alu instid0(VALU_DEP_1)
	v_dual_sub_f32 v1, v150, v1 :: v_dual_sub_f32 v2, v151, v2
	scratch_store_b64 off, v[1:2], off offset:48
	v_cmpx_lt_u32_e32 5, v0
	s_cbranch_execz .LBB120_345
; %bb.344:
	scratch_load_b64 v[1:2], off, off offset:40
	v_mov_b32_e32 v3, 0
	s_delay_alu instid0(VALU_DEP_1)
	v_mov_b32_e32 v4, v3
	scratch_store_b64 off, v[3:4], off offset:40
	s_wait_loadcnt 0x0
	ds_store_b64 v141, v[1:2]
.LBB120_345:
	s_wait_alu 0xfffe
	s_or_b32 exec_lo, exec_lo, s0
	s_wait_storecnt_dscnt 0x0
	s_barrier_signal -1
	s_barrier_wait -1
	global_inv scope:SCOPE_SE
	s_clause 0x4
	scratch_load_b128 v[5:8], off, off offset:48
	scratch_load_b128 v[1:4], off, off offset:64
	;; [unrolled: 1-line block ×5, first 2 shown]
	v_mov_b32_e32 v139, 0
	ds_load_b128 v[21:24], v139 offset:512
	ds_load_b128 v[142:145], v139 offset:528
	;; [unrolled: 1-line block ×3, first 2 shown]
	scratch_load_b64 v[150:151], off, off offset:40
	s_mov_b32 s0, exec_lo
	s_wait_loadcnt_dscnt 0x502
	v_mul_f32_e32 v140, v21, v6
	v_mul_f32_e32 v152, v23, v8
	s_wait_loadcnt_dscnt 0x300
	v_dual_mul_f32 v8, v24, v8 :: v_dual_mul_f32 v153, v146, v10
	v_mul_f32_e32 v6, v22, v6
	v_fmac_f32_e32 v140, v22, v5
	v_mul_f32_e32 v10, v147, v10
	s_delay_alu instid0(VALU_DEP_4) | instskip(SKIP_2) | instid1(VALU_DEP_2)
	v_fma_f32 v22, v23, v7, -v8
	v_dual_mul_f32 v23, v142, v2 :: v_dual_fmac_f32 v152, v24, v7
	v_dual_fmac_f32 v153, v147, v9 :: v_dual_mul_f32 v24, v144, v4
	v_dual_mul_f32 v4, v145, v4 :: v_dual_fmac_f32 v23, v143, v1
	v_fma_f32 v21, v21, v5, -v6
	ds_load_b128 v[5:8], v139 offset:560
	v_mul_f32_e32 v154, v148, v12
	v_mul_f32_e32 v12, v149, v12
	;; [unrolled: 1-line block ×3, first 2 shown]
	v_fmac_f32_e32 v24, v145, v3
	v_fma_f32 v143, v144, v3, -v4
	v_fma_f32 v144, v146, v9, -v10
	v_fmac_f32_e32 v154, v149, v11
	v_fma_f32 v145, v148, v11, -v12
	ds_load_b128 v[9:12], v139 offset:576
	s_wait_loadcnt_dscnt 0x201
	v_dual_mul_f32 v147, v7, v16 :: v_dual_mul_f32 v146, v5, v14
	v_mul_f32_e32 v14, v6, v14
	v_mul_f32_e32 v16, v8, v16
	s_delay_alu instid0(VALU_DEP_3)
	v_fmac_f32_e32 v147, v8, v15
	v_fma_f32 v142, v142, v1, -v2
	scratch_load_b128 v[1:4], off, off offset:128
	v_fmac_f32_e32 v146, v6, v13
	v_fma_f32 v13, v5, v13, -v14
	v_fma_f32 v14, v7, v15, -v16
	s_wait_loadcnt_dscnt 0x200
	v_mul_f32_e32 v15, v9, v18
	v_mul_f32_e32 v16, v10, v18
	;; [unrolled: 1-line block ×4, first 2 shown]
	ds_load_b128 v[5:8], v139 offset:592
	v_fmac_f32_e32 v15, v10, v17
	v_fma_f32 v16, v9, v17, -v16
	v_fmac_f32_e32 v18, v12, v19
	v_fma_f32 v17, v11, v19, -v20
	scratch_load_b128 v[9:12], off, off offset:144
	s_wait_loadcnt_dscnt 0x100
	v_mul_f32_e32 v19, v5, v2
	v_mul_f32_e32 v2, v6, v2
	;; [unrolled: 1-line block ×3, first 2 shown]
	s_delay_alu instid0(VALU_DEP_3) | instskip(NEXT) | instid1(VALU_DEP_3)
	v_dual_mul_f32 v4, v8, v4 :: v_dual_fmac_f32 v19, v6, v1
	v_fma_f32 v148, v5, v1, -v2
	s_delay_alu instid0(VALU_DEP_3) | instskip(NEXT) | instid1(VALU_DEP_3)
	v_fmac_f32_e32 v20, v8, v3
	v_fma_f32 v149, v7, v3, -v4
	ds_load_b128 v[1:4], v139 offset:608
	ds_load_b128 v[5:8], v139 offset:624
	s_wait_loadcnt_dscnt 0x1
	v_mul_f32_e32 v155, v1, v10
	v_mul_f32_e32 v10, v2, v10
	s_delay_alu instid0(VALU_DEP_2) | instskip(NEXT) | instid1(VALU_DEP_2)
	v_dual_mul_f32 v156, v3, v12 :: v_dual_fmac_f32 v155, v2, v9
	v_fma_f32 v157, v1, v9, -v10
	v_mul_f32_e32 v1, v4, v12
	s_delay_alu instid0(VALU_DEP_3) | instskip(NEXT) | instid1(VALU_DEP_2)
	v_fmac_f32_e32 v156, v4, v11
	v_fma_f32 v158, v3, v11, -v1
	s_clause 0x1
	scratch_load_b128 v[1:4], off, off offset:160
	scratch_load_b128 v[9:12], off, off offset:176
	s_wait_loadcnt_dscnt 0x100
	v_mul_f32_e32 v159, v5, v2
	v_dual_mul_f32 v2, v6, v2 :: v_dual_mul_f32 v161, v7, v4
	s_delay_alu instid0(VALU_DEP_2) | instskip(NEXT) | instid1(VALU_DEP_2)
	v_fmac_f32_e32 v159, v6, v1
	v_fma_f32 v160, v5, v1, -v2
	v_mul_f32_e32 v1, v8, v4
	s_delay_alu instid0(VALU_DEP_4) | instskip(NEXT) | instid1(VALU_DEP_2)
	v_fmac_f32_e32 v161, v8, v3
	v_fma_f32 v162, v7, v3, -v1
	ds_load_b128 v[1:4], v139 offset:640
	ds_load_b128 v[5:8], v139 offset:656
	s_wait_loadcnt_dscnt 0x1
	v_mul_f32_e32 v163, v1, v10
	v_mul_f32_e32 v165, v3, v12
	s_delay_alu instid0(VALU_DEP_2) | instskip(NEXT) | instid1(VALU_DEP_2)
	v_fmac_f32_e32 v163, v2, v9
	v_dual_mul_f32 v2, v2, v10 :: v_dual_fmac_f32 v165, v4, v11
	s_delay_alu instid0(VALU_DEP_1) | instskip(SKIP_1) | instid1(VALU_DEP_1)
	v_fma_f32 v164, v1, v9, -v2
	v_mul_f32_e32 v1, v4, v12
	v_fma_f32 v166, v3, v11, -v1
	s_clause 0x1
	scratch_load_b128 v[1:4], off, off offset:192
	scratch_load_b128 v[9:12], off, off offset:208
	s_wait_loadcnt_dscnt 0x100
	v_mul_f32_e32 v167, v5, v2
	v_dual_mul_f32 v2, v6, v2 :: v_dual_mul_f32 v169, v7, v4
	s_delay_alu instid0(VALU_DEP_2) | instskip(NEXT) | instid1(VALU_DEP_2)
	v_fmac_f32_e32 v167, v6, v1
	v_fma_f32 v168, v5, v1, -v2
	v_mul_f32_e32 v1, v8, v4
	s_delay_alu instid0(VALU_DEP_4) | instskip(NEXT) | instid1(VALU_DEP_2)
	v_fmac_f32_e32 v169, v8, v3
	v_fma_f32 v170, v7, v3, -v1
	ds_load_b128 v[1:4], v139 offset:672
	ds_load_b128 v[5:8], v139 offset:688
	s_wait_loadcnt_dscnt 0x1
	v_mul_f32_e32 v171, v1, v10
	v_mul_f32_e32 v173, v3, v12
	s_delay_alu instid0(VALU_DEP_2) | instskip(NEXT) | instid1(VALU_DEP_2)
	v_fmac_f32_e32 v171, v2, v9
	v_dual_mul_f32 v2, v2, v10 :: v_dual_fmac_f32 v173, v4, v11
	s_delay_alu instid0(VALU_DEP_1) | instskip(SKIP_1) | instid1(VALU_DEP_1)
	v_fma_f32 v172, v1, v9, -v2
	v_mul_f32_e32 v1, v4, v12
	;; [unrolled: 25-line block ×6, first 2 shown]
	v_fma_f32 v206, v3, v11, -v1
	s_clause 0x1
	scratch_load_b128 v[1:4], off, off offset:352
	scratch_load_b128 v[9:12], off, off offset:368
	s_wait_loadcnt_dscnt 0x100
	v_mul_f32_e32 v207, v5, v2
	v_mul_f32_e32 v2, v6, v2
	s_delay_alu instid0(VALU_DEP_2) | instskip(NEXT) | instid1(VALU_DEP_2)
	v_fmac_f32_e32 v207, v6, v1
	v_fma_f32 v208, v5, v1, -v2
	v_add_f32_e32 v2, 0, v140
	s_delay_alu instid0(VALU_DEP_1) | instskip(NEXT) | instid1(VALU_DEP_1)
	v_add_f32_e32 v2, v2, v152
	v_add_f32_e32 v2, v2, v23
	s_delay_alu instid0(VALU_DEP_1) | instskip(NEXT) | instid1(VALU_DEP_1)
	v_add_f32_e32 v2, v2, v24
	;; [unrolled: 3-line block ×3, first 2 shown]
	v_dual_add_f32 v2, v2, v146 :: v_dual_mul_f32 v1, v8, v4
	s_delay_alu instid0(VALU_DEP_1) | instskip(NEXT) | instid1(VALU_DEP_2)
	v_add_f32_e32 v2, v2, v147
	v_fma_f32 v210, v7, v3, -v1
	s_delay_alu instid0(VALU_DEP_2) | instskip(NEXT) | instid1(VALU_DEP_1)
	v_dual_add_f32 v1, 0, v21 :: v_dual_add_f32 v2, v2, v15
	v_add_f32_e32 v1, v1, v22
	s_delay_alu instid0(VALU_DEP_2) | instskip(NEXT) | instid1(VALU_DEP_1)
	v_add_f32_e32 v2, v2, v18
	v_dual_add_f32 v1, v1, v142 :: v_dual_add_f32 v2, v2, v19
	s_delay_alu instid0(VALU_DEP_1) | instskip(SKIP_2) | instid1(VALU_DEP_1)
	v_dual_add_f32 v2, v2, v20 :: v_dual_add_f32 v1, v1, v143
	scratch_load_b64 v[142:143], off, off offset:448
	v_dual_add_f32 v2, v2, v155 :: v_dual_add_f32 v1, v1, v144
	v_dual_add_f32 v2, v2, v156 :: v_dual_add_f32 v1, v1, v145
	s_delay_alu instid0(VALU_DEP_1) | instskip(NEXT) | instid1(VALU_DEP_1)
	v_dual_add_f32 v2, v2, v159 :: v_dual_add_f32 v1, v1, v13
	v_dual_add_f32 v2, v2, v161 :: v_dual_add_f32 v1, v1, v14
	s_delay_alu instid0(VALU_DEP_1) | instskip(NEXT) | instid1(VALU_DEP_1)
	v_dual_add_f32 v2, v2, v163 :: v_dual_add_f32 v1, v1, v16
	v_add_f32_e32 v2, v2, v165
	s_delay_alu instid0(VALU_DEP_1) | instskip(NEXT) | instid1(VALU_DEP_1)
	v_dual_add_f32 v1, v1, v17 :: v_dual_add_f32 v2, v2, v167
	v_dual_add_f32 v1, v1, v148 :: v_dual_add_f32 v2, v2, v169
	s_delay_alu instid0(VALU_DEP_1) | instskip(NEXT) | instid1(VALU_DEP_1)
	v_dual_add_f32 v1, v1, v149 :: v_dual_add_f32 v2, v2, v171
	v_add_f32_e32 v1, v1, v157
	s_delay_alu instid0(VALU_DEP_1) | instskip(NEXT) | instid1(VALU_DEP_1)
	v_dual_add_f32 v2, v2, v173 :: v_dual_add_f32 v1, v1, v158
	v_add_f32_e32 v1, v1, v160
	s_delay_alu instid0(VALU_DEP_1) | instskip(NEXT) | instid1(VALU_DEP_1)
	v_add_f32_e32 v1, v1, v162
	v_add_f32_e32 v1, v1, v164
	s_delay_alu instid0(VALU_DEP_1) | instskip(NEXT) | instid1(VALU_DEP_1)
	v_add_f32_e32 v1, v1, v166
	;; [unrolled: 3-line block ×6, first 2 shown]
	v_add_f32_e32 v6, v1, v184
	v_dual_add_f32 v2, v2, v175 :: v_dual_mul_f32 v209, v7, v4
	s_delay_alu instid0(VALU_DEP_2) | instskip(NEXT) | instid1(VALU_DEP_2)
	v_add_f32_e32 v14, v6, v186
	v_dual_add_f32 v2, v2, v177 :: v_dual_fmac_f32 v209, v8, v3
	s_delay_alu instid0(VALU_DEP_2) | instskip(NEXT) | instid1(VALU_DEP_2)
	v_add_f32_e32 v14, v14, v188
	v_add_f32_e32 v2, v2, v179
	s_delay_alu instid0(VALU_DEP_2) | instskip(NEXT) | instid1(VALU_DEP_2)
	v_add_f32_e32 v17, v14, v190
	v_add_f32_e32 v5, v2, v181
	scratch_load_b128 v[1:4], off, off offset:384
	v_add_f32_e32 v17, v17, v192
	v_add_f32_e32 v13, v5, v183
	ds_load_b128 v[5:8], v139 offset:832
	v_add_f32_e32 v17, v17, v194
	v_add_f32_e32 v13, v13, v185
	s_delay_alu instid0(VALU_DEP_2) | instskip(NEXT) | instid1(VALU_DEP_2)
	v_add_f32_e32 v17, v17, v196
	v_add_f32_e32 v13, v13, v187
	s_delay_alu instid0(VALU_DEP_2) | instskip(NEXT) | instid1(VALU_DEP_2)
	v_add_f32_e32 v22, v17, v198
	v_add_f32_e32 v18, v13, v189
	ds_load_b128 v[13:16], v139 offset:848
	v_add_f32_e32 v22, v22, v200
	s_wait_loadcnt_dscnt 0x201
	v_mul_f32_e32 v140, v5, v10
	v_mul_f32_e32 v10, v6, v10
	;; [unrolled: 1-line block ×4, first 2 shown]
	v_add_f32_e32 v22, v22, v202
	v_fmac_f32_e32 v140, v6, v9
	v_fma_f32 v147, v5, v9, -v10
	v_fmac_f32_e32 v146, v8, v11
	v_fma_f32 v148, v7, v11, -v12
	scratch_load_b128 v[5:8], off, off offset:400
	v_add_f32_e32 v18, v18, v191
	scratch_load_b128 v[9:12], off, off offset:416
	v_add_f32_e32 v22, v22, v204
	v_add_f32_e32 v18, v18, v193
	s_delay_alu instid0(VALU_DEP_1) | instskip(SKIP_3) | instid1(VALU_DEP_1)
	v_add_f32_e32 v21, v18, v195
	scratch_load_b128 v[17:20], off, off offset:432
	s_wait_loadcnt_dscnt 0x300
	v_dual_add_f32 v21, v21, v197 :: v_dual_mul_f32 v152, v15, v4
	v_add_f32_e32 v21, v21, v199
	v_mul_f32_e32 v149, v13, v2
	v_mul_f32_e32 v2, v14, v2
	;; [unrolled: 1-line block ×3, first 2 shown]
	s_delay_alu instid0(VALU_DEP_4) | instskip(NEXT) | instid1(VALU_DEP_4)
	v_dual_fmac_f32 v152, v16, v3 :: v_dual_add_f32 v21, v21, v201
	v_fmac_f32_e32 v149, v14, v1
	s_delay_alu instid0(VALU_DEP_4)
	v_fma_f32 v153, v13, v1, -v2
	v_add_f32_e32 v14, v22, v206
	v_fma_f32 v154, v15, v3, -v4
	v_add_f32_e32 v13, v21, v203
	ds_load_b128 v[1:4], v139 offset:864
	v_dual_add_f32 v144, v14, v208 :: v_dual_add_f32 v21, v13, v205
	ds_load_b128 v[13:16], v139 offset:880
	v_add_f32_e32 v155, v144, v210
	v_add_f32_e32 v145, v21, v207
	ds_load_b128 v[21:24], v139 offset:896
	v_dual_add_f32 v147, v155, v147 :: v_dual_add_f32 v156, v145, v209
	ds_load_b64 v[144:145], v139 offset:912
	v_add_f32_e32 v147, v147, v148
	s_wait_loadcnt_dscnt 0x203
	v_dual_add_f32 v140, v156, v140 :: v_dual_mul_f32 v155, v1, v6
	v_mul_f32_e32 v6, v2, v6
	s_delay_alu instid0(VALU_DEP_2) | instskip(SKIP_2) | instid1(VALU_DEP_4)
	v_dual_add_f32 v140, v140, v146 :: v_dual_add_f32 v147, v147, v153
	v_mul_f32_e32 v146, v3, v8
	v_mul_f32_e32 v8, v4, v8
	v_fma_f32 v1, v1, v5, -v6
	s_delay_alu instid0(VALU_DEP_4) | instskip(SKIP_3) | instid1(VALU_DEP_3)
	v_dual_add_f32 v140, v140, v149 :: v_dual_add_f32 v147, v147, v154
	s_wait_loadcnt_dscnt 0x102
	v_dual_fmac_f32 v155, v2, v5 :: v_dual_mul_f32 v148, v13, v10
	v_fmac_f32_e32 v146, v4, v7
	v_add_f32_e32 v140, v140, v152
	v_fma_f32 v2, v3, v7, -v8
	v_mul_f32_e32 v3, v14, v10
	v_add_f32_e32 v1, v147, v1
	s_delay_alu instid0(VALU_DEP_4) | instskip(SKIP_1) | instid1(VALU_DEP_4)
	v_dual_mul_f32 v149, v15, v12 :: v_dual_add_f32 v4, v140, v155
	v_dual_mul_f32 v5, v16, v12 :: v_dual_fmac_f32 v148, v14, v9
	v_fma_f32 v3, v13, v9, -v3
	s_delay_alu instid0(VALU_DEP_4) | instskip(NEXT) | instid1(VALU_DEP_4)
	v_add_f32_e32 v1, v1, v2
	v_add_f32_e32 v2, v4, v146
	s_wait_loadcnt_dscnt 0x1
	v_mul_f32_e32 v153, v21, v18
	v_dual_mul_f32 v4, v22, v18 :: v_dual_fmac_f32 v149, v16, v11
	v_fma_f32 v5, v15, v11, -v5
	v_dual_add_f32 v1, v1, v3 :: v_dual_add_f32 v2, v2, v148
	v_mul_f32_e32 v154, v23, v20
	v_mul_f32_e32 v3, v24, v20
	v_fmac_f32_e32 v153, v22, v17
	v_fma_f32 v4, v21, v17, -v4
	v_add_f32_e32 v1, v1, v5
	v_add_f32_e32 v2, v2, v149
	s_wait_dscnt 0x0
	v_mul_f32_e32 v152, v144, v143
	v_mul_f32_e32 v5, v145, v143
	v_fmac_f32_e32 v154, v24, v19
	v_fma_f32 v3, v23, v19, -v3
	v_dual_add_f32 v1, v1, v4 :: v_dual_add_f32 v2, v2, v153
	v_fmac_f32_e32 v152, v145, v142
	v_fma_f32 v4, v144, v142, -v5
	s_delay_alu instid0(VALU_DEP_3) | instskip(NEXT) | instid1(VALU_DEP_1)
	v_dual_add_f32 v1, v1, v3 :: v_dual_add_f32 v2, v2, v154
	v_add_f32_e32 v1, v1, v4
	s_delay_alu instid0(VALU_DEP_2) | instskip(NEXT) | instid1(VALU_DEP_1)
	v_add_f32_e32 v2, v2, v152
	v_dual_sub_f32 v1, v150, v1 :: v_dual_sub_f32 v2, v151, v2
	scratch_store_b64 off, v[1:2], off offset:40
	v_cmpx_lt_u32_e32 4, v0
	s_cbranch_execz .LBB120_347
; %bb.346:
	scratch_load_b64 v[1:2], off, off offset:32
	v_mov_b32_e32 v140, v139
	scratch_store_b64 off, v[139:140], off offset:32
	s_wait_loadcnt 0x0
	ds_store_b64 v141, v[1:2]
.LBB120_347:
	s_wait_alu 0xfffe
	s_or_b32 exec_lo, exec_lo, s0
	s_wait_storecnt_dscnt 0x0
	s_barrier_signal -1
	s_barrier_wait -1
	global_inv scope:SCOPE_SE
	s_clause 0x4
	scratch_load_b128 v[5:8], off, off offset:40
	scratch_load_b128 v[1:4], off, off offset:56
	;; [unrolled: 1-line block ×5, first 2 shown]
	ds_load_2addr_b64 v[21:24], v139 offset0:63 offset1:64
	ds_load_2addr_b64 v[142:145], v139 offset0:65 offset1:66
	ds_load_2addr_b64 v[146:149], v139 offset0:67 offset1:68
	scratch_load_b64 v[150:151], off, off offset:32
	s_mov_b32 s0, exec_lo
	s_wait_loadcnt_dscnt 0x502
	v_mul_f32_e32 v140, v21, v6
	v_mul_f32_e32 v152, v23, v8
	s_wait_loadcnt_dscnt 0x300
	v_dual_mul_f32 v8, v24, v8 :: v_dual_mul_f32 v153, v146, v10
	v_mul_f32_e32 v6, v22, v6
	v_fmac_f32_e32 v140, v22, v5
	v_mul_f32_e32 v10, v147, v10
	s_delay_alu instid0(VALU_DEP_4)
	v_fma_f32 v22, v23, v7, -v8
	v_dual_mul_f32 v23, v142, v2 :: v_dual_fmac_f32 v152, v24, v7
	v_fmac_f32_e32 v153, v147, v9
	v_fma_f32 v21, v21, v5, -v6
	ds_load_2addr_b64 v[5:8], v139 offset0:69 offset1:70
	v_mul_f32_e32 v24, v144, v4
	v_mul_f32_e32 v4, v145, v4
	;; [unrolled: 1-line block ×5, first 2 shown]
	v_dual_fmac_f32 v23, v143, v1 :: v_dual_fmac_f32 v24, v145, v3
	v_fma_f32 v143, v144, v3, -v4
	v_fma_f32 v144, v146, v9, -v10
	v_fmac_f32_e32 v154, v149, v11
	v_fma_f32 v145, v148, v11, -v12
	ds_load_2addr_b64 v[9:12], v139 offset0:71 offset1:72
	s_wait_loadcnt_dscnt 0x201
	v_dual_mul_f32 v147, v7, v16 :: v_dual_mul_f32 v146, v5, v14
	v_mul_f32_e32 v14, v6, v14
	v_mul_f32_e32 v16, v8, v16
	s_delay_alu instid0(VALU_DEP_3)
	v_fmac_f32_e32 v147, v8, v15
	v_fma_f32 v142, v142, v1, -v2
	scratch_load_b128 v[1:4], off, off offset:120
	v_fmac_f32_e32 v146, v6, v13
	v_fma_f32 v13, v5, v13, -v14
	v_fma_f32 v14, v7, v15, -v16
	ds_load_2addr_b64 v[5:8], v139 offset0:73 offset1:74
	s_wait_loadcnt_dscnt 0x201
	v_mul_f32_e32 v15, v9, v18
	v_mul_f32_e32 v16, v10, v18
	v_mul_f32_e32 v18, v11, v20
	s_delay_alu instid0(VALU_DEP_3) | instskip(NEXT) | instid1(VALU_DEP_3)
	v_dual_mul_f32 v20, v12, v20 :: v_dual_fmac_f32 v15, v10, v17
	v_fma_f32 v16, v9, v17, -v16
	s_delay_alu instid0(VALU_DEP_3) | instskip(NEXT) | instid1(VALU_DEP_3)
	v_fmac_f32_e32 v18, v12, v19
	v_fma_f32 v17, v11, v19, -v20
	scratch_load_b128 v[9:12], off, off offset:136
	s_wait_loadcnt_dscnt 0x100
	v_mul_f32_e32 v19, v5, v2
	v_mul_f32_e32 v2, v6, v2
	;; [unrolled: 1-line block ×3, first 2 shown]
	s_delay_alu instid0(VALU_DEP_3) | instskip(NEXT) | instid1(VALU_DEP_3)
	v_dual_mul_f32 v4, v8, v4 :: v_dual_fmac_f32 v19, v6, v1
	v_fma_f32 v148, v5, v1, -v2
	s_delay_alu instid0(VALU_DEP_3) | instskip(NEXT) | instid1(VALU_DEP_3)
	v_fmac_f32_e32 v20, v8, v3
	v_fma_f32 v149, v7, v3, -v4
	ds_load_2addr_b64 v[1:4], v139 offset0:75 offset1:76
	ds_load_2addr_b64 v[5:8], v139 offset0:77 offset1:78
	s_wait_loadcnt_dscnt 0x1
	v_mul_f32_e32 v155, v1, v10
	v_mul_f32_e32 v10, v2, v10
	s_delay_alu instid0(VALU_DEP_2) | instskip(NEXT) | instid1(VALU_DEP_2)
	v_dual_mul_f32 v156, v3, v12 :: v_dual_fmac_f32 v155, v2, v9
	v_fma_f32 v157, v1, v9, -v10
	v_mul_f32_e32 v1, v4, v12
	s_delay_alu instid0(VALU_DEP_3) | instskip(NEXT) | instid1(VALU_DEP_2)
	v_fmac_f32_e32 v156, v4, v11
	v_fma_f32 v158, v3, v11, -v1
	s_clause 0x1
	scratch_load_b128 v[1:4], off, off offset:152
	scratch_load_b128 v[9:12], off, off offset:168
	s_wait_loadcnt_dscnt 0x100
	v_mul_f32_e32 v159, v5, v2
	v_dual_mul_f32 v2, v6, v2 :: v_dual_mul_f32 v161, v7, v4
	s_delay_alu instid0(VALU_DEP_2) | instskip(NEXT) | instid1(VALU_DEP_2)
	v_fmac_f32_e32 v159, v6, v1
	v_fma_f32 v160, v5, v1, -v2
	v_mul_f32_e32 v1, v8, v4
	s_delay_alu instid0(VALU_DEP_4) | instskip(NEXT) | instid1(VALU_DEP_2)
	v_fmac_f32_e32 v161, v8, v3
	v_fma_f32 v162, v7, v3, -v1
	ds_load_2addr_b64 v[1:4], v139 offset0:79 offset1:80
	ds_load_2addr_b64 v[5:8], v139 offset0:81 offset1:82
	s_wait_loadcnt_dscnt 0x1
	v_mul_f32_e32 v163, v1, v10
	v_mul_f32_e32 v165, v3, v12
	s_delay_alu instid0(VALU_DEP_2) | instskip(NEXT) | instid1(VALU_DEP_2)
	v_fmac_f32_e32 v163, v2, v9
	v_dual_mul_f32 v2, v2, v10 :: v_dual_fmac_f32 v165, v4, v11
	s_delay_alu instid0(VALU_DEP_1) | instskip(SKIP_1) | instid1(VALU_DEP_1)
	v_fma_f32 v164, v1, v9, -v2
	v_mul_f32_e32 v1, v4, v12
	v_fma_f32 v166, v3, v11, -v1
	s_clause 0x1
	scratch_load_b128 v[1:4], off, off offset:184
	scratch_load_b128 v[9:12], off, off offset:200
	s_wait_loadcnt_dscnt 0x100
	v_mul_f32_e32 v167, v5, v2
	v_dual_mul_f32 v2, v6, v2 :: v_dual_mul_f32 v169, v7, v4
	s_delay_alu instid0(VALU_DEP_2) | instskip(NEXT) | instid1(VALU_DEP_2)
	v_fmac_f32_e32 v167, v6, v1
	v_fma_f32 v168, v5, v1, -v2
	v_mul_f32_e32 v1, v8, v4
	s_delay_alu instid0(VALU_DEP_4) | instskip(NEXT) | instid1(VALU_DEP_2)
	v_fmac_f32_e32 v169, v8, v3
	v_fma_f32 v170, v7, v3, -v1
	ds_load_2addr_b64 v[1:4], v139 offset0:83 offset1:84
	ds_load_2addr_b64 v[5:8], v139 offset0:85 offset1:86
	s_wait_loadcnt_dscnt 0x1
	v_mul_f32_e32 v171, v1, v10
	v_mul_f32_e32 v173, v3, v12
	s_delay_alu instid0(VALU_DEP_2) | instskip(NEXT) | instid1(VALU_DEP_2)
	v_fmac_f32_e32 v171, v2, v9
	v_dual_mul_f32 v2, v2, v10 :: v_dual_fmac_f32 v173, v4, v11
	s_delay_alu instid0(VALU_DEP_1) | instskip(SKIP_1) | instid1(VALU_DEP_1)
	v_fma_f32 v172, v1, v9, -v2
	v_mul_f32_e32 v1, v4, v12
	;; [unrolled: 25-line block ×7, first 2 shown]
	v_fma_f32 v214, v3, v11, -v1
	s_clause 0x1
	scratch_load_b128 v[1:4], off, off offset:376
	scratch_load_b128 v[9:12], off, off offset:392
	s_wait_loadcnt_dscnt 0x100
	v_mul_f32_e32 v215, v5, v2
	v_mul_f32_e32 v2, v6, v2
	s_delay_alu instid0(VALU_DEP_2) | instskip(NEXT) | instid1(VALU_DEP_2)
	v_fmac_f32_e32 v215, v6, v1
	v_fma_f32 v216, v5, v1, -v2
	v_add_f32_e32 v2, 0, v140
	v_mul_f32_e32 v1, v8, v4
	s_delay_alu instid0(VALU_DEP_2) | instskip(NEXT) | instid1(VALU_DEP_2)
	v_add_f32_e32 v2, v2, v152
	v_fma_f32 v218, v7, v3, -v1
	s_delay_alu instid0(VALU_DEP_2) | instskip(NEXT) | instid1(VALU_DEP_1)
	v_dual_add_f32 v1, 0, v21 :: v_dual_add_f32 v2, v2, v23
	v_add_f32_e32 v2, v2, v24
	s_delay_alu instid0(VALU_DEP_1) | instskip(NEXT) | instid1(VALU_DEP_1)
	v_add_f32_e32 v2, v2, v153
	v_add_f32_e32 v2, v2, v154
	s_delay_alu instid0(VALU_DEP_1) | instskip(NEXT) | instid1(VALU_DEP_1)
	v_add_f32_e32 v2, v2, v146
	;; [unrolled: 3-line block ×4, first 2 shown]
	v_dual_add_f32 v2, v2, v20 :: v_dual_add_f32 v1, v1, v22
	s_delay_alu instid0(VALU_DEP_1) | instskip(NEXT) | instid1(VALU_DEP_1)
	v_dual_add_f32 v2, v2, v155 :: v_dual_add_f32 v1, v1, v142
	v_dual_add_f32 v2, v2, v156 :: v_dual_add_f32 v1, v1, v143
	s_delay_alu instid0(VALU_DEP_1) | instskip(NEXT) | instid1(VALU_DEP_1)
	v_dual_add_f32 v2, v2, v159 :: v_dual_add_f32 v1, v1, v144
	v_add_f32_e32 v2, v2, v161
	s_delay_alu instid0(VALU_DEP_1) | instskip(NEXT) | instid1(VALU_DEP_1)
	v_dual_add_f32 v1, v1, v145 :: v_dual_add_f32 v2, v2, v163
	v_add_f32_e32 v1, v1, v13
	s_delay_alu instid0(VALU_DEP_1) | instskip(NEXT) | instid1(VALU_DEP_1)
	v_dual_add_f32 v2, v2, v165 :: v_dual_add_f32 v1, v1, v14
	v_dual_add_f32 v2, v2, v167 :: v_dual_add_f32 v1, v1, v16
	s_delay_alu instid0(VALU_DEP_1) | instskip(NEXT) | instid1(VALU_DEP_1)
	v_add_f32_e32 v2, v2, v169
	v_dual_add_f32 v1, v1, v17 :: v_dual_add_f32 v2, v2, v171
	s_delay_alu instid0(VALU_DEP_1) | instskip(NEXT) | instid1(VALU_DEP_1)
	v_dual_add_f32 v1, v1, v148 :: v_dual_add_f32 v2, v2, v173
	v_add_f32_e32 v1, v1, v149
	s_delay_alu instid0(VALU_DEP_1) | instskip(NEXT) | instid1(VALU_DEP_1)
	v_add_f32_e32 v1, v1, v157
	v_add_f32_e32 v1, v1, v158
	s_delay_alu instid0(VALU_DEP_1) | instskip(NEXT) | instid1(VALU_DEP_1)
	v_add_f32_e32 v1, v1, v160
	;; [unrolled: 3-line block ×9, first 2 shown]
	v_add_f32_e32 v6, v1, v190
	v_add_f32_e32 v2, v2, v175
	s_delay_alu instid0(VALU_DEP_2) | instskip(NEXT) | instid1(VALU_DEP_2)
	v_add_f32_e32 v6, v6, v192
	v_add_f32_e32 v2, v2, v177
	s_delay_alu instid0(VALU_DEP_2) | instskip(NEXT) | instid1(VALU_DEP_1)
	v_add_f32_e32 v13, v6, v194
	v_dual_add_f32 v2, v2, v179 :: v_dual_add_f32 v13, v13, v196
	s_delay_alu instid0(VALU_DEP_1) | instskip(NEXT) | instid1(VALU_DEP_1)
	v_dual_add_f32 v2, v2, v181 :: v_dual_add_f32 v13, v13, v198
	v_dual_add_f32 v2, v2, v183 :: v_dual_add_f32 v13, v13, v200
	s_delay_alu instid0(VALU_DEP_1) | instskip(NEXT) | instid1(VALU_DEP_1)
	v_add_f32_e32 v2, v2, v185
	v_dual_add_f32 v18, v13, v202 :: v_dual_add_f32 v5, v2, v187
	s_delay_alu instid0(VALU_DEP_1) | instskip(NEXT) | instid1(VALU_DEP_1)
	v_dual_add_f32 v18, v18, v204 :: v_dual_add_f32 v5, v5, v189
	v_dual_add_f32 v18, v18, v206 :: v_dual_add_f32 v5, v5, v191
	s_delay_alu instid0(VALU_DEP_1) | instskip(SKIP_1) | instid1(VALU_DEP_2)
	v_dual_add_f32 v21, v18, v208 :: v_dual_add_f32 v14, v5, v193
	v_mul_f32_e32 v217, v7, v4
	v_dual_add_f32 v145, v21, v210 :: v_dual_add_f32 v14, v14, v195
	s_delay_alu instid0(VALU_DEP_2) | instskip(SKIP_3) | instid1(VALU_DEP_1)
	v_fmac_f32_e32 v217, v8, v3
	ds_load_2addr_b64 v[1:4], v139 offset0:107 offset1:108
	ds_load_2addr_b64 v[5:8], v139 offset0:109 offset1:110
	v_add_f32_e32 v14, v14, v197
	v_add_f32_e32 v17, v14, v199
	scratch_load_b128 v[13:16], off, off offset:440
	v_add_f32_e32 v17, v17, v201
	s_delay_alu instid0(VALU_DEP_1)
	v_add_f32_e32 v17, v17, v203
	s_wait_loadcnt_dscnt 0x101
	v_mul_f32_e32 v140, v1, v10
	v_mul_f32_e32 v142, v3, v12
	;; [unrolled: 1-line block ×3, first 2 shown]
	v_dual_mul_f32 v12, v4, v12 :: v_dual_add_f32 v17, v17, v205
	s_delay_alu instid0(VALU_DEP_4) | instskip(NEXT) | instid1(VALU_DEP_4)
	v_fmac_f32_e32 v140, v2, v9
	v_fmac_f32_e32 v142, v4, v11
	s_delay_alu instid0(VALU_DEP_4) | instskip(NEXT) | instid1(VALU_DEP_4)
	v_fma_f32 v143, v1, v9, -v10
	v_fma_f32 v144, v3, v11, -v12
	s_clause 0x1
	scratch_load_b128 v[1:4], off, off offset:408
	scratch_load_b128 v[9:12], off, off offset:424
	v_add_f32_e32 v22, v17, v207
	ds_load_2addr_b64 v[17:20], v139 offset0:111 offset1:112
	v_add_f32_e32 v146, v22, v209
	ds_load_2addr_b64 v[21:24], v139 offset0:113 offset1:114
	v_add_f32_e32 v139, v145, v212
	s_delay_alu instid0(VALU_DEP_1) | instskip(NEXT) | instid1(VALU_DEP_1)
	v_add_f32_e32 v139, v139, v214
	v_add_f32_e32 v139, v139, v216
	s_delay_alu instid0(VALU_DEP_1) | instskip(SKIP_1) | instid1(VALU_DEP_1)
	v_add_f32_e32 v139, v139, v218
	s_wait_loadcnt_dscnt 0x200
	v_dual_add_f32 v139, v139, v143 :: v_dual_mul_f32 v152, v21, v14
	v_add_f32_e32 v145, v146, v211
	s_delay_alu instid0(VALU_DEP_2) | instskip(NEXT) | instid1(VALU_DEP_2)
	v_dual_mul_f32 v143, v23, v16 :: v_dual_fmac_f32 v152, v22, v13
	v_add_f32_e32 v145, v145, v213
	s_delay_alu instid0(VALU_DEP_2) | instskip(SKIP_2) | instid1(VALU_DEP_3)
	v_fmac_f32_e32 v143, v24, v15
	s_wait_loadcnt 0x1
	v_mul_f32_e32 v147, v7, v4
	v_dual_mul_f32 v4, v8, v4 :: v_dual_add_f32 v145, v145, v215
	v_mul_f32_e32 v146, v5, v2
	v_mul_f32_e32 v2, v6, v2
	s_wait_loadcnt 0x0
	v_dual_mul_f32 v148, v17, v10 :: v_dual_fmac_f32 v147, v8, v3
	v_add_f32_e32 v145, v145, v217
	v_fmac_f32_e32 v146, v6, v1
	v_fma_f32 v2, v5, v1, -v2
	v_dual_add_f32 v1, v139, v144 :: v_dual_mul_f32 v6, v18, v10
	s_delay_alu instid0(VALU_DEP_4) | instskip(SKIP_2) | instid1(VALU_DEP_4)
	v_add_f32_e32 v140, v145, v140
	v_fma_f32 v3, v7, v3, -v4
	v_mul_f32_e32 v149, v19, v12
	v_dual_add_f32 v1, v1, v2 :: v_dual_mul_f32 v4, v20, v12
	s_delay_alu instid0(VALU_DEP_4) | instskip(NEXT) | instid1(VALU_DEP_3)
	v_dual_add_f32 v5, v140, v142 :: v_dual_fmac_f32 v148, v18, v9
	v_fmac_f32_e32 v149, v20, v11
	s_delay_alu instid0(VALU_DEP_3) | instskip(SKIP_1) | instid1(VALU_DEP_4)
	v_add_f32_e32 v1, v1, v3
	v_mul_f32_e32 v3, v22, v14
	v_add_f32_e32 v2, v5, v146
	v_fma_f32 v5, v17, v9, -v6
	v_fma_f32 v4, v19, v11, -v4
	s_delay_alu instid0(VALU_DEP_4) | instskip(NEXT) | instid1(VALU_DEP_3)
	v_fma_f32 v3, v21, v13, -v3
	v_dual_add_f32 v2, v2, v147 :: v_dual_add_f32 v1, v1, v5
	v_mul_f32_e32 v5, v24, v16
	s_delay_alu instid0(VALU_DEP_2) | instskip(NEXT) | instid1(VALU_DEP_3)
	v_add_f32_e32 v2, v2, v148
	v_add_f32_e32 v1, v1, v4
	s_delay_alu instid0(VALU_DEP_3) | instskip(NEXT) | instid1(VALU_DEP_2)
	v_fma_f32 v4, v23, v15, -v5
	v_dual_add_f32 v2, v2, v149 :: v_dual_add_f32 v1, v1, v3
	s_delay_alu instid0(VALU_DEP_1) | instskip(NEXT) | instid1(VALU_DEP_1)
	v_add_f32_e32 v2, v2, v152
	v_dual_add_f32 v1, v1, v4 :: v_dual_add_f32 v2, v2, v143
	s_delay_alu instid0(VALU_DEP_1)
	v_dual_sub_f32 v1, v150, v1 :: v_dual_sub_f32 v2, v151, v2
	scratch_store_b64 off, v[1:2], off offset:32
	v_cmpx_lt_u32_e32 3, v0
	s_cbranch_execz .LBB120_349
; %bb.348:
	scratch_load_b64 v[1:2], off, off offset:24
	v_mov_b32_e32 v3, 0
	s_delay_alu instid0(VALU_DEP_1)
	v_mov_b32_e32 v4, v3
	scratch_store_b64 off, v[3:4], off offset:24
	s_wait_loadcnt 0x0
	ds_store_b64 v141, v[1:2]
.LBB120_349:
	s_wait_alu 0xfffe
	s_or_b32 exec_lo, exec_lo, s0
	s_wait_storecnt_dscnt 0x0
	s_barrier_signal -1
	s_barrier_wait -1
	global_inv scope:SCOPE_SE
	s_clause 0x4
	scratch_load_b128 v[5:8], off, off offset:32
	scratch_load_b128 v[1:4], off, off offset:48
	;; [unrolled: 1-line block ×5, first 2 shown]
	v_mov_b32_e32 v139, 0
	ds_load_b128 v[21:24], v139 offset:496
	ds_load_b128 v[142:145], v139 offset:512
	ds_load_b128 v[146:149], v139 offset:528
	scratch_load_b64 v[150:151], off, off offset:24
	s_mov_b32 s0, exec_lo
	s_wait_loadcnt_dscnt 0x502
	v_mul_f32_e32 v140, v21, v6
	v_mul_f32_e32 v152, v23, v8
	s_wait_loadcnt_dscnt 0x300
	v_dual_mul_f32 v8, v24, v8 :: v_dual_mul_f32 v153, v146, v10
	v_mul_f32_e32 v6, v22, v6
	v_fmac_f32_e32 v140, v22, v5
	v_mul_f32_e32 v154, v148, v12
	s_delay_alu instid0(VALU_DEP_4) | instskip(SKIP_2) | instid1(VALU_DEP_2)
	v_fma_f32 v22, v23, v7, -v8
	v_dual_mul_f32 v23, v142, v2 :: v_dual_fmac_f32 v152, v24, v7
	v_dual_fmac_f32 v153, v147, v9 :: v_dual_mul_f32 v24, v144, v4
	v_dual_mul_f32 v4, v145, v4 :: v_dual_fmac_f32 v23, v143, v1
	v_fma_f32 v21, v21, v5, -v6
	ds_load_b128 v[5:8], v139 offset:544
	v_mul_f32_e32 v10, v147, v10
	v_mul_f32_e32 v12, v149, v12
	;; [unrolled: 1-line block ×3, first 2 shown]
	v_fmac_f32_e32 v24, v145, v3
	v_fma_f32 v143, v144, v3, -v4
	v_fmac_f32_e32 v154, v149, v11
	v_fma_f32 v144, v146, v9, -v10
	v_fma_f32 v145, v148, v11, -v12
	ds_load_b128 v[9:12], v139 offset:560
	s_wait_loadcnt_dscnt 0x201
	v_dual_mul_f32 v147, v7, v16 :: v_dual_mul_f32 v146, v5, v14
	v_mul_f32_e32 v14, v6, v14
	v_mul_f32_e32 v16, v8, v16
	s_delay_alu instid0(VALU_DEP_3)
	v_fmac_f32_e32 v147, v8, v15
	v_fma_f32 v142, v142, v1, -v2
	scratch_load_b128 v[1:4], off, off offset:112
	v_fmac_f32_e32 v146, v6, v13
	v_fma_f32 v13, v5, v13, -v14
	v_fma_f32 v14, v7, v15, -v16
	s_wait_loadcnt_dscnt 0x200
	v_mul_f32_e32 v15, v9, v18
	v_mul_f32_e32 v16, v10, v18
	;; [unrolled: 1-line block ×4, first 2 shown]
	ds_load_b128 v[5:8], v139 offset:576
	v_fmac_f32_e32 v15, v10, v17
	v_fma_f32 v16, v9, v17, -v16
	v_fmac_f32_e32 v18, v12, v19
	v_fma_f32 v17, v11, v19, -v20
	scratch_load_b128 v[9:12], off, off offset:128
	s_wait_loadcnt_dscnt 0x100
	v_mul_f32_e32 v19, v5, v2
	v_mul_f32_e32 v2, v6, v2
	;; [unrolled: 1-line block ×3, first 2 shown]
	s_delay_alu instid0(VALU_DEP_3) | instskip(NEXT) | instid1(VALU_DEP_3)
	v_dual_mul_f32 v4, v8, v4 :: v_dual_fmac_f32 v19, v6, v1
	v_fma_f32 v148, v5, v1, -v2
	s_delay_alu instid0(VALU_DEP_3) | instskip(NEXT) | instid1(VALU_DEP_3)
	v_fmac_f32_e32 v20, v8, v3
	v_fma_f32 v149, v7, v3, -v4
	ds_load_b128 v[1:4], v139 offset:592
	ds_load_b128 v[5:8], v139 offset:608
	s_wait_loadcnt_dscnt 0x1
	v_mul_f32_e32 v155, v1, v10
	v_mul_f32_e32 v10, v2, v10
	s_delay_alu instid0(VALU_DEP_2) | instskip(NEXT) | instid1(VALU_DEP_2)
	v_dual_mul_f32 v156, v3, v12 :: v_dual_fmac_f32 v155, v2, v9
	v_fma_f32 v157, v1, v9, -v10
	v_mul_f32_e32 v1, v4, v12
	s_delay_alu instid0(VALU_DEP_3) | instskip(NEXT) | instid1(VALU_DEP_2)
	v_fmac_f32_e32 v156, v4, v11
	v_fma_f32 v158, v3, v11, -v1
	s_clause 0x1
	scratch_load_b128 v[1:4], off, off offset:144
	scratch_load_b128 v[9:12], off, off offset:160
	s_wait_loadcnt_dscnt 0x100
	v_mul_f32_e32 v159, v5, v2
	v_dual_mul_f32 v2, v6, v2 :: v_dual_mul_f32 v161, v7, v4
	s_delay_alu instid0(VALU_DEP_2) | instskip(NEXT) | instid1(VALU_DEP_2)
	v_fmac_f32_e32 v159, v6, v1
	v_fma_f32 v160, v5, v1, -v2
	v_mul_f32_e32 v1, v8, v4
	s_delay_alu instid0(VALU_DEP_4) | instskip(NEXT) | instid1(VALU_DEP_2)
	v_fmac_f32_e32 v161, v8, v3
	v_fma_f32 v162, v7, v3, -v1
	ds_load_b128 v[1:4], v139 offset:624
	ds_load_b128 v[5:8], v139 offset:640
	s_wait_loadcnt_dscnt 0x1
	v_mul_f32_e32 v163, v1, v10
	v_mul_f32_e32 v165, v3, v12
	s_delay_alu instid0(VALU_DEP_2) | instskip(NEXT) | instid1(VALU_DEP_2)
	v_fmac_f32_e32 v163, v2, v9
	v_dual_mul_f32 v2, v2, v10 :: v_dual_fmac_f32 v165, v4, v11
	s_delay_alu instid0(VALU_DEP_1) | instskip(SKIP_1) | instid1(VALU_DEP_1)
	v_fma_f32 v164, v1, v9, -v2
	v_mul_f32_e32 v1, v4, v12
	v_fma_f32 v166, v3, v11, -v1
	s_clause 0x1
	scratch_load_b128 v[1:4], off, off offset:176
	scratch_load_b128 v[9:12], off, off offset:192
	s_wait_loadcnt_dscnt 0x100
	v_mul_f32_e32 v167, v5, v2
	v_dual_mul_f32 v2, v6, v2 :: v_dual_mul_f32 v169, v7, v4
	s_delay_alu instid0(VALU_DEP_2) | instskip(NEXT) | instid1(VALU_DEP_2)
	v_fmac_f32_e32 v167, v6, v1
	v_fma_f32 v168, v5, v1, -v2
	v_mul_f32_e32 v1, v8, v4
	s_delay_alu instid0(VALU_DEP_4) | instskip(NEXT) | instid1(VALU_DEP_2)
	v_fmac_f32_e32 v169, v8, v3
	v_fma_f32 v170, v7, v3, -v1
	ds_load_b128 v[1:4], v139 offset:656
	ds_load_b128 v[5:8], v139 offset:672
	s_wait_loadcnt_dscnt 0x1
	v_mul_f32_e32 v171, v1, v10
	v_mul_f32_e32 v173, v3, v12
	s_delay_alu instid0(VALU_DEP_2) | instskip(NEXT) | instid1(VALU_DEP_2)
	v_fmac_f32_e32 v171, v2, v9
	v_dual_mul_f32 v2, v2, v10 :: v_dual_fmac_f32 v173, v4, v11
	s_delay_alu instid0(VALU_DEP_1) | instskip(SKIP_1) | instid1(VALU_DEP_1)
	v_fma_f32 v172, v1, v9, -v2
	v_mul_f32_e32 v1, v4, v12
	;; [unrolled: 25-line block ×7, first 2 shown]
	v_fma_f32 v214, v3, v11, -v1
	s_clause 0x1
	scratch_load_b128 v[1:4], off, off offset:368
	scratch_load_b128 v[9:12], off, off offset:384
	s_wait_loadcnt_dscnt 0x100
	v_mul_f32_e32 v215, v5, v2
	v_dual_mul_f32 v2, v6, v2 :: v_dual_mul_f32 v217, v7, v4
	s_delay_alu instid0(VALU_DEP_2) | instskip(NEXT) | instid1(VALU_DEP_2)
	v_fmac_f32_e32 v215, v6, v1
	v_fma_f32 v216, v5, v1, -v2
	s_delay_alu instid0(VALU_DEP_3) | instskip(NEXT) | instid1(VALU_DEP_1)
	v_dual_add_f32 v2, 0, v140 :: v_dual_fmac_f32 v217, v8, v3
	v_add_f32_e32 v2, v2, v152
	s_delay_alu instid0(VALU_DEP_1) | instskip(NEXT) | instid1(VALU_DEP_1)
	v_add_f32_e32 v2, v2, v23
	v_add_f32_e32 v2, v2, v24
	s_delay_alu instid0(VALU_DEP_1) | instskip(NEXT) | instid1(VALU_DEP_1)
	v_add_f32_e32 v2, v2, v153
	v_add_f32_e32 v2, v2, v154
	s_delay_alu instid0(VALU_DEP_1) | instskip(NEXT) | instid1(VALU_DEP_1)
	v_add_f32_e32 v2, v2, v146
	v_add_f32_e32 v2, v2, v147
	s_delay_alu instid0(VALU_DEP_1) | instskip(NEXT) | instid1(VALU_DEP_1)
	v_add_f32_e32 v2, v2, v15
	v_add_f32_e32 v2, v2, v18
	s_delay_alu instid0(VALU_DEP_1) | instskip(NEXT) | instid1(VALU_DEP_1)
	v_add_f32_e32 v2, v2, v19
	v_add_f32_e32 v2, v2, v20
	s_delay_alu instid0(VALU_DEP_1) | instskip(NEXT) | instid1(VALU_DEP_1)
	v_dual_mul_f32 v1, v8, v4 :: v_dual_add_f32 v2, v2, v155
	v_fma_f32 v218, v7, v3, -v1
	s_delay_alu instid0(VALU_DEP_2) | instskip(NEXT) | instid1(VALU_DEP_1)
	v_dual_add_f32 v1, 0, v21 :: v_dual_add_f32 v2, v2, v156
	v_dual_add_f32 v1, v1, v22 :: v_dual_add_f32 v2, v2, v159
	s_delay_alu instid0(VALU_DEP_1) | instskip(NEXT) | instid1(VALU_DEP_1)
	v_dual_add_f32 v1, v1, v142 :: v_dual_add_f32 v2, v2, v161
	v_add_f32_e32 v1, v1, v143
	scratch_load_b64 v[142:143], off, off offset:448
	v_dual_add_f32 v2, v2, v163 :: v_dual_add_f32 v1, v1, v144
	s_delay_alu instid0(VALU_DEP_1) | instskip(NEXT) | instid1(VALU_DEP_1)
	v_add_f32_e32 v2, v2, v165
	v_dual_add_f32 v1, v1, v145 :: v_dual_add_f32 v2, v2, v167
	s_delay_alu instid0(VALU_DEP_1) | instskip(NEXT) | instid1(VALU_DEP_1)
	v_add_f32_e32 v1, v1, v13
	v_dual_add_f32 v2, v2, v169 :: v_dual_add_f32 v1, v1, v14
	s_delay_alu instid0(VALU_DEP_1) | instskip(NEXT) | instid1(VALU_DEP_1)
	v_dual_add_f32 v2, v2, v171 :: v_dual_add_f32 v1, v1, v16
	v_add_f32_e32 v2, v2, v173
	s_delay_alu instid0(VALU_DEP_2) | instskip(NEXT) | instid1(VALU_DEP_1)
	v_add_f32_e32 v1, v1, v17
	v_add_f32_e32 v1, v1, v148
	s_delay_alu instid0(VALU_DEP_1) | instskip(NEXT) | instid1(VALU_DEP_1)
	v_add_f32_e32 v1, v1, v149
	v_add_f32_e32 v1, v1, v157
	s_delay_alu instid0(VALU_DEP_1) | instskip(NEXT) | instid1(VALU_DEP_1)
	;; [unrolled: 3-line block ×9, first 2 shown]
	v_add_f32_e32 v1, v1, v186
	v_add_f32_e32 v1, v1, v188
	s_delay_alu instid0(VALU_DEP_1) | instskip(SKIP_1) | instid1(VALU_DEP_2)
	v_add_f32_e32 v6, v1, v190
	v_add_f32_e32 v2, v2, v175
	;; [unrolled: 1-line block ×3, first 2 shown]
	s_delay_alu instid0(VALU_DEP_2) | instskip(NEXT) | instid1(VALU_DEP_2)
	v_add_f32_e32 v2, v2, v177
	v_add_f32_e32 v13, v6, v194
	s_delay_alu instid0(VALU_DEP_1) | instskip(NEXT) | instid1(VALU_DEP_1)
	v_dual_add_f32 v2, v2, v179 :: v_dual_add_f32 v13, v13, v196
	v_dual_add_f32 v2, v2, v181 :: v_dual_add_f32 v13, v13, v198
	s_delay_alu instid0(VALU_DEP_1) | instskip(NEXT) | instid1(VALU_DEP_1)
	v_dual_add_f32 v2, v2, v183 :: v_dual_add_f32 v13, v13, v200
	v_add_f32_e32 v2, v2, v185
	s_delay_alu instid0(VALU_DEP_1) | instskip(SKIP_2) | instid1(VALU_DEP_1)
	v_dual_add_f32 v18, v13, v202 :: v_dual_add_f32 v5, v2, v187
	ds_load_b128 v[1:4], v139 offset:848
	v_dual_add_f32 v18, v18, v204 :: v_dual_add_f32 v5, v5, v189
	v_dual_add_f32 v18, v18, v206 :: v_dual_add_f32 v5, v5, v191
	s_delay_alu instid0(VALU_DEP_1) | instskip(NEXT) | instid1(VALU_DEP_2)
	v_add_f32_e32 v18, v18, v208
	v_add_f32_e32 v14, v5, v193
	ds_load_b128 v[5:8], v139 offset:864
	v_add_f32_e32 v18, v18, v210
	v_add_f32_e32 v14, v14, v195
	s_wait_loadcnt_dscnt 0x101
	v_mul_f32_e32 v140, v1, v10
	v_mul_f32_e32 v10, v2, v10
	;; [unrolled: 1-line block ×4, first 2 shown]
	v_add_f32_e32 v14, v14, v197
	v_fmac_f32_e32 v140, v2, v9
	v_fma_f32 v147, v1, v9, -v10
	v_fmac_f32_e32 v146, v4, v11
	v_fma_f32 v148, v3, v11, -v12
	s_clause 0x1
	scratch_load_b128 v[1:4], off, off offset:400
	scratch_load_b128 v[9:12], off, off offset:416
	v_add_f32_e32 v17, v14, v199
	scratch_load_b128 v[13:16], off, off offset:432
	v_dual_add_f32 v144, v18, v212 :: v_dual_add_f32 v17, v17, v201
	s_delay_alu instid0(VALU_DEP_1) | instskip(NEXT) | instid1(VALU_DEP_1)
	v_add_f32_e32 v149, v144, v214
	v_add_f32_e32 v149, v149, v216
	s_delay_alu instid0(VALU_DEP_1) | instskip(NEXT) | instid1(VALU_DEP_1)
	v_add_f32_e32 v149, v149, v218
	v_add_f32_e32 v147, v149, v147
	s_delay_alu instid0(VALU_DEP_1) | instskip(SKIP_4) | instid1(VALU_DEP_3)
	v_add_f32_e32 v147, v147, v148
	s_wait_loadcnt_dscnt 0x200
	v_dual_mul_f32 v154, v7, v4 :: v_dual_add_f32 v17, v17, v203
	v_dual_mul_f32 v4, v8, v4 :: v_dual_mul_f32 v153, v5, v2
	v_mul_f32_e32 v2, v6, v2
	v_dual_fmac_f32 v154, v8, v3 :: v_dual_add_f32 v17, v17, v205
	s_delay_alu instid0(VALU_DEP_3) | instskip(NEXT) | instid1(VALU_DEP_3)
	v_fmac_f32_e32 v153, v6, v1
	v_fma_f32 v2, v5, v1, -v2
	v_fma_f32 v1, v7, v3, -v4
	s_delay_alu instid0(VALU_DEP_2) | instskip(NEXT) | instid1(VALU_DEP_1)
	v_dual_add_f32 v17, v17, v207 :: v_dual_add_f32 v2, v147, v2
	v_add_f32_e32 v21, v17, v209
	ds_load_b128 v[17:20], v139 offset:880
	v_add_f32_e32 v1, v2, v1
	v_add_f32_e32 v145, v21, v211
	ds_load_b128 v[21:24], v139 offset:896
	v_add_f32_e32 v152, v145, v213
	ds_load_b64 v[144:145], v139 offset:912
	v_add_f32_e32 v152, v152, v215
	s_wait_loadcnt_dscnt 0x102
	s_delay_alu instid0(VALU_DEP_1) | instskip(SKIP_2) | instid1(VALU_DEP_3)
	v_dual_add_f32 v152, v152, v217 :: v_dual_mul_f32 v149, v17, v10
	v_mul_f32_e32 v3, v18, v10
	v_mul_f32_e32 v5, v20, v12
	v_add_f32_e32 v140, v152, v140
	s_delay_alu instid0(VALU_DEP_4) | instskip(NEXT) | instid1(VALU_DEP_4)
	v_dual_mul_f32 v152, v19, v12 :: v_dual_fmac_f32 v149, v18, v9
	v_fma_f32 v3, v17, v9, -v3
	s_wait_loadcnt_dscnt 0x1
	v_mul_f32_e32 v155, v21, v14
	v_add_f32_e32 v140, v140, v146
	v_fmac_f32_e32 v152, v20, v11
	v_fma_f32 v5, v19, v11, -v5
	v_dual_add_f32 v1, v1, v3 :: v_dual_mul_f32 v148, v23, v16
	s_delay_alu instid0(VALU_DEP_4)
	v_add_f32_e32 v4, v140, v153
	v_mul_f32_e32 v3, v24, v16
	v_fmac_f32_e32 v155, v22, v13
	s_wait_dscnt 0x0
	v_dual_add_f32 v1, v1, v5 :: v_dual_mul_f32 v146, v144, v143
	v_add_f32_e32 v2, v4, v154
	v_dual_mul_f32 v4, v22, v14 :: v_dual_mul_f32 v5, v145, v143
	v_fmac_f32_e32 v148, v24, v15
	v_fma_f32 v3, v23, v15, -v3
	s_delay_alu instid0(VALU_DEP_4) | instskip(NEXT) | instid1(VALU_DEP_4)
	v_add_f32_e32 v2, v2, v149
	v_fma_f32 v4, v21, v13, -v4
	v_fmac_f32_e32 v146, v145, v142
	s_delay_alu instid0(VALU_DEP_3) | instskip(NEXT) | instid1(VALU_DEP_3)
	v_add_f32_e32 v2, v2, v152
	v_add_f32_e32 v1, v1, v4
	v_fma_f32 v4, v144, v142, -v5
	s_delay_alu instid0(VALU_DEP_3) | instskip(NEXT) | instid1(VALU_DEP_1)
	v_add_f32_e32 v2, v2, v155
	v_dual_add_f32 v1, v1, v3 :: v_dual_add_f32 v2, v2, v148
	s_delay_alu instid0(VALU_DEP_1) | instskip(NEXT) | instid1(VALU_DEP_1)
	v_dual_add_f32 v1, v1, v4 :: v_dual_add_f32 v2, v2, v146
	v_dual_sub_f32 v1, v150, v1 :: v_dual_sub_f32 v2, v151, v2
	scratch_store_b64 off, v[1:2], off offset:24
	v_cmpx_lt_u32_e32 2, v0
	s_cbranch_execz .LBB120_351
; %bb.350:
	scratch_load_b64 v[1:2], off, off offset:16
	v_mov_b32_e32 v140, v139
	scratch_store_b64 off, v[139:140], off offset:16
	s_wait_loadcnt 0x0
	ds_store_b64 v141, v[1:2]
.LBB120_351:
	s_wait_alu 0xfffe
	s_or_b32 exec_lo, exec_lo, s0
	s_wait_storecnt_dscnt 0x0
	s_barrier_signal -1
	s_barrier_wait -1
	global_inv scope:SCOPE_SE
	s_clause 0x4
	scratch_load_b128 v[5:8], off, off offset:24
	scratch_load_b128 v[1:4], off, off offset:40
	;; [unrolled: 1-line block ×5, first 2 shown]
	ds_load_2addr_b64 v[21:24], v139 offset0:61 offset1:62
	ds_load_2addr_b64 v[142:145], v139 offset0:63 offset1:64
	;; [unrolled: 1-line block ×3, first 2 shown]
	scratch_load_b64 v[150:151], off, off offset:16
	s_mov_b32 s0, exec_lo
	s_wait_loadcnt_dscnt 0x502
	v_mul_f32_e32 v140, v21, v6
	v_mul_f32_e32 v152, v23, v8
	s_wait_loadcnt_dscnt 0x300
	v_dual_mul_f32 v8, v24, v8 :: v_dual_mul_f32 v153, v146, v10
	v_mul_f32_e32 v6, v22, v6
	v_fmac_f32_e32 v140, v22, v5
	v_mul_f32_e32 v154, v148, v12
	s_delay_alu instid0(VALU_DEP_4)
	v_fma_f32 v22, v23, v7, -v8
	v_dual_mul_f32 v23, v142, v2 :: v_dual_fmac_f32 v152, v24, v7
	v_fmac_f32_e32 v153, v147, v9
	v_fma_f32 v21, v21, v5, -v6
	ds_load_2addr_b64 v[5:8], v139 offset0:67 offset1:68
	v_mul_f32_e32 v24, v144, v4
	v_mul_f32_e32 v4, v145, v4
	;; [unrolled: 1-line block ×5, first 2 shown]
	v_dual_fmac_f32 v23, v143, v1 :: v_dual_fmac_f32 v24, v145, v3
	v_fma_f32 v143, v144, v3, -v4
	v_fmac_f32_e32 v154, v149, v11
	v_fma_f32 v144, v146, v9, -v10
	v_fma_f32 v145, v148, v11, -v12
	ds_load_2addr_b64 v[9:12], v139 offset0:69 offset1:70
	s_wait_loadcnt_dscnt 0x201
	v_dual_mul_f32 v147, v7, v16 :: v_dual_mul_f32 v146, v5, v14
	v_mul_f32_e32 v14, v6, v14
	v_mul_f32_e32 v16, v8, v16
	s_delay_alu instid0(VALU_DEP_3)
	v_fmac_f32_e32 v147, v8, v15
	v_fma_f32 v142, v142, v1, -v2
	scratch_load_b128 v[1:4], off, off offset:104
	v_fmac_f32_e32 v146, v6, v13
	v_fma_f32 v13, v5, v13, -v14
	v_fma_f32 v14, v7, v15, -v16
	ds_load_2addr_b64 v[5:8], v139 offset0:71 offset1:72
	s_wait_loadcnt_dscnt 0x201
	v_mul_f32_e32 v15, v9, v18
	v_mul_f32_e32 v16, v10, v18
	;; [unrolled: 1-line block ×3, first 2 shown]
	s_delay_alu instid0(VALU_DEP_3) | instskip(NEXT) | instid1(VALU_DEP_3)
	v_dual_mul_f32 v20, v12, v20 :: v_dual_fmac_f32 v15, v10, v17
	v_fma_f32 v16, v9, v17, -v16
	s_delay_alu instid0(VALU_DEP_3) | instskip(NEXT) | instid1(VALU_DEP_3)
	v_fmac_f32_e32 v18, v12, v19
	v_fma_f32 v17, v11, v19, -v20
	scratch_load_b128 v[9:12], off, off offset:120
	s_wait_loadcnt_dscnt 0x100
	v_mul_f32_e32 v19, v5, v2
	v_mul_f32_e32 v2, v6, v2
	;; [unrolled: 1-line block ×3, first 2 shown]
	s_delay_alu instid0(VALU_DEP_3) | instskip(NEXT) | instid1(VALU_DEP_3)
	v_dual_mul_f32 v4, v8, v4 :: v_dual_fmac_f32 v19, v6, v1
	v_fma_f32 v148, v5, v1, -v2
	s_delay_alu instid0(VALU_DEP_3) | instskip(NEXT) | instid1(VALU_DEP_3)
	v_fmac_f32_e32 v20, v8, v3
	v_fma_f32 v149, v7, v3, -v4
	ds_load_2addr_b64 v[1:4], v139 offset0:73 offset1:74
	ds_load_2addr_b64 v[5:8], v139 offset0:75 offset1:76
	s_wait_loadcnt_dscnt 0x1
	v_mul_f32_e32 v155, v1, v10
	v_mul_f32_e32 v10, v2, v10
	s_delay_alu instid0(VALU_DEP_2) | instskip(NEXT) | instid1(VALU_DEP_2)
	v_dual_mul_f32 v156, v3, v12 :: v_dual_fmac_f32 v155, v2, v9
	v_fma_f32 v157, v1, v9, -v10
	v_mul_f32_e32 v1, v4, v12
	s_delay_alu instid0(VALU_DEP_3) | instskip(NEXT) | instid1(VALU_DEP_2)
	v_fmac_f32_e32 v156, v4, v11
	v_fma_f32 v158, v3, v11, -v1
	s_clause 0x1
	scratch_load_b128 v[1:4], off, off offset:136
	scratch_load_b128 v[9:12], off, off offset:152
	s_wait_loadcnt_dscnt 0x100
	v_mul_f32_e32 v159, v5, v2
	v_dual_mul_f32 v2, v6, v2 :: v_dual_mul_f32 v161, v7, v4
	s_delay_alu instid0(VALU_DEP_2) | instskip(NEXT) | instid1(VALU_DEP_2)
	v_fmac_f32_e32 v159, v6, v1
	v_fma_f32 v160, v5, v1, -v2
	v_mul_f32_e32 v1, v8, v4
	s_delay_alu instid0(VALU_DEP_4) | instskip(NEXT) | instid1(VALU_DEP_2)
	v_fmac_f32_e32 v161, v8, v3
	v_fma_f32 v162, v7, v3, -v1
	ds_load_2addr_b64 v[1:4], v139 offset0:77 offset1:78
	ds_load_2addr_b64 v[5:8], v139 offset0:79 offset1:80
	s_wait_loadcnt_dscnt 0x1
	v_mul_f32_e32 v163, v1, v10
	v_mul_f32_e32 v165, v3, v12
	s_delay_alu instid0(VALU_DEP_2) | instskip(NEXT) | instid1(VALU_DEP_2)
	v_fmac_f32_e32 v163, v2, v9
	v_dual_mul_f32 v2, v2, v10 :: v_dual_fmac_f32 v165, v4, v11
	s_delay_alu instid0(VALU_DEP_1) | instskip(SKIP_1) | instid1(VALU_DEP_1)
	v_fma_f32 v164, v1, v9, -v2
	v_mul_f32_e32 v1, v4, v12
	v_fma_f32 v166, v3, v11, -v1
	s_clause 0x1
	scratch_load_b128 v[1:4], off, off offset:168
	scratch_load_b128 v[9:12], off, off offset:184
	s_wait_loadcnt_dscnt 0x100
	v_mul_f32_e32 v167, v5, v2
	v_dual_mul_f32 v2, v6, v2 :: v_dual_mul_f32 v169, v7, v4
	s_delay_alu instid0(VALU_DEP_2) | instskip(NEXT) | instid1(VALU_DEP_2)
	v_fmac_f32_e32 v167, v6, v1
	v_fma_f32 v168, v5, v1, -v2
	v_mul_f32_e32 v1, v8, v4
	s_delay_alu instid0(VALU_DEP_4) | instskip(NEXT) | instid1(VALU_DEP_2)
	v_fmac_f32_e32 v169, v8, v3
	v_fma_f32 v170, v7, v3, -v1
	ds_load_2addr_b64 v[1:4], v139 offset0:81 offset1:82
	ds_load_2addr_b64 v[5:8], v139 offset0:83 offset1:84
	s_wait_loadcnt_dscnt 0x1
	v_mul_f32_e32 v171, v1, v10
	v_mul_f32_e32 v173, v3, v12
	s_delay_alu instid0(VALU_DEP_2) | instskip(NEXT) | instid1(VALU_DEP_2)
	v_fmac_f32_e32 v171, v2, v9
	v_dual_mul_f32 v2, v2, v10 :: v_dual_fmac_f32 v173, v4, v11
	s_delay_alu instid0(VALU_DEP_1) | instskip(SKIP_1) | instid1(VALU_DEP_1)
	v_fma_f32 v172, v1, v9, -v2
	v_mul_f32_e32 v1, v4, v12
	;; [unrolled: 25-line block ×7, first 2 shown]
	v_fma_f32 v214, v3, v11, -v1
	s_clause 0x1
	scratch_load_b128 v[1:4], off, off offset:360
	scratch_load_b128 v[9:12], off, off offset:376
	s_wait_loadcnt_dscnt 0x100
	v_mul_f32_e32 v215, v5, v2
	v_mul_f32_e32 v2, v6, v2
	s_delay_alu instid0(VALU_DEP_2) | instskip(NEXT) | instid1(VALU_DEP_2)
	v_fmac_f32_e32 v215, v6, v1
	v_fma_f32 v216, v5, v1, -v2
	v_add_f32_e32 v2, 0, v140
	v_mul_f32_e32 v1, v8, v4
	s_delay_alu instid0(VALU_DEP_2) | instskip(NEXT) | instid1(VALU_DEP_2)
	v_add_f32_e32 v2, v2, v152
	v_fma_f32 v218, v7, v3, -v1
	s_delay_alu instid0(VALU_DEP_2) | instskip(NEXT) | instid1(VALU_DEP_1)
	v_dual_add_f32 v1, 0, v21 :: v_dual_add_f32 v2, v2, v23
	v_dual_add_f32 v1, v1, v22 :: v_dual_add_f32 v2, v2, v24
	s_delay_alu instid0(VALU_DEP_1) | instskip(NEXT) | instid1(VALU_DEP_1)
	v_add_f32_e32 v2, v2, v153
	v_add_f32_e32 v2, v2, v154
	s_delay_alu instid0(VALU_DEP_1) | instskip(NEXT) | instid1(VALU_DEP_1)
	v_add_f32_e32 v2, v2, v146
	v_add_f32_e32 v2, v2, v147
	;; [unrolled: 3-line block ×5, first 2 shown]
	s_delay_alu instid0(VALU_DEP_1) | instskip(NEXT) | instid1(VALU_DEP_1)
	v_add_f32_e32 v2, v2, v159
	v_dual_add_f32 v2, v2, v161 :: v_dual_add_f32 v1, v1, v142
	s_delay_alu instid0(VALU_DEP_1) | instskip(NEXT) | instid1(VALU_DEP_1)
	v_add_f32_e32 v2, v2, v163
	v_dual_add_f32 v1, v1, v143 :: v_dual_add_f32 v2, v2, v165
	s_delay_alu instid0(VALU_DEP_1) | instskip(NEXT) | instid1(VALU_DEP_1)
	v_dual_add_f32 v1, v1, v144 :: v_dual_add_f32 v2, v2, v167
	v_add_f32_e32 v1, v1, v145
	s_delay_alu instid0(VALU_DEP_2) | instskip(NEXT) | instid1(VALU_DEP_1)
	v_add_f32_e32 v2, v2, v169
	v_dual_add_f32 v1, v1, v13 :: v_dual_add_f32 v2, v2, v171
	s_delay_alu instid0(VALU_DEP_1) | instskip(NEXT) | instid1(VALU_DEP_1)
	v_dual_add_f32 v1, v1, v14 :: v_dual_add_f32 v2, v2, v173
	v_add_f32_e32 v1, v1, v16
	s_delay_alu instid0(VALU_DEP_1) | instskip(NEXT) | instid1(VALU_DEP_1)
	v_add_f32_e32 v1, v1, v17
	v_add_f32_e32 v1, v1, v148
	s_delay_alu instid0(VALU_DEP_1) | instskip(NEXT) | instid1(VALU_DEP_1)
	v_add_f32_e32 v1, v1, v149
	;; [unrolled: 3-line block ×11, first 2 shown]
	v_add_f32_e32 v6, v1, v192
	v_dual_add_f32 v2, v2, v175 :: v_dual_mul_f32 v217, v7, v4
	s_delay_alu instid0(VALU_DEP_2) | instskip(NEXT) | instid1(VALU_DEP_2)
	v_add_f32_e32 v14, v6, v194
	v_add_f32_e32 v2, v2, v177
	s_delay_alu instid0(VALU_DEP_2) | instskip(NEXT) | instid1(VALU_DEP_2)
	v_add_f32_e32 v14, v14, v196
	v_add_f32_e32 v2, v2, v179
	s_delay_alu instid0(VALU_DEP_2) | instskip(NEXT) | instid1(VALU_DEP_1)
	v_add_f32_e32 v17, v14, v198
	v_dual_add_f32 v2, v2, v181 :: v_dual_add_f32 v17, v17, v200
	s_delay_alu instid0(VALU_DEP_1) | instskip(NEXT) | instid1(VALU_DEP_1)
	v_dual_add_f32 v2, v2, v183 :: v_dual_add_f32 v17, v17, v202
	v_dual_add_f32 v2, v2, v185 :: v_dual_add_f32 v17, v17, v204
	s_delay_alu instid0(VALU_DEP_1) | instskip(NEXT) | instid1(VALU_DEP_1)
	v_add_f32_e32 v2, v2, v187
	v_dual_add_f32 v22, v17, v206 :: v_dual_add_f32 v5, v2, v189
	s_delay_alu instid0(VALU_DEP_1) | instskip(NEXT) | instid1(VALU_DEP_1)
	v_dual_add_f32 v22, v22, v208 :: v_dual_add_f32 v13, v5, v191
	v_dual_add_f32 v22, v22, v210 :: v_dual_add_f32 v13, v13, v193
	s_delay_alu instid0(VALU_DEP_1)
	v_add_f32_e32 v13, v13, v195
	v_fmac_f32_e32 v217, v8, v3
	scratch_load_b128 v[5:8], off, off offset:392
	ds_load_2addr_b64 v[1:4], v139 offset0:105 offset1:106
	v_add_f32_e32 v18, v13, v197
	ds_load_2addr_b64 v[13:16], v139 offset0:107 offset1:108
	s_wait_loadcnt_dscnt 0x101
	v_mul_f32_e32 v140, v1, v10
	v_mul_f32_e32 v10, v2, v10
	;; [unrolled: 1-line block ×4, first 2 shown]
	s_delay_alu instid0(VALU_DEP_4) | instskip(NEXT) | instid1(VALU_DEP_4)
	v_fmac_f32_e32 v140, v2, v9
	v_fma_f32 v143, v1, v9, -v10
	s_delay_alu instid0(VALU_DEP_4) | instskip(NEXT) | instid1(VALU_DEP_4)
	v_fmac_f32_e32 v142, v4, v11
	v_fma_f32 v144, v3, v11, -v12
	s_clause 0x1
	scratch_load_b128 v[1:4], off, off offset:408
	scratch_load_b128 v[9:12], off, off offset:424
	s_wait_loadcnt_dscnt 0x200
	v_mul_f32_e32 v146, v15, v8
	v_add_f32_e32 v18, v18, v199
	v_dual_mul_f32 v8, v16, v8 :: v_dual_mul_f32 v145, v13, v6
	v_mul_f32_e32 v6, v14, v6
	s_delay_alu instid0(VALU_DEP_4) | instskip(NEXT) | instid1(VALU_DEP_4)
	v_fmac_f32_e32 v146, v16, v7
	v_add_f32_e32 v18, v18, v201
	s_delay_alu instid0(VALU_DEP_4) | instskip(NEXT) | instid1(VALU_DEP_4)
	v_fma_f32 v148, v15, v7, -v8
	v_fma_f32 v147, v13, v5, -v6
	s_delay_alu instid0(VALU_DEP_3) | instskip(SKIP_2) | instid1(VALU_DEP_1)
	v_add_f32_e32 v21, v18, v203
	scratch_load_b128 v[17:20], off, off offset:440
	v_add_f32_e32 v21, v21, v205
	v_add_f32_e32 v21, v21, v207
	s_delay_alu instid0(VALU_DEP_1) | instskip(NEXT) | instid1(VALU_DEP_1)
	v_add_f32_e32 v13, v21, v209
	v_dual_add_f32 v21, v22, v212 :: v_dual_add_f32 v22, v13, v211
	s_delay_alu instid0(VALU_DEP_1)
	v_dual_add_f32 v149, v21, v214 :: v_dual_add_f32 v152, v22, v213
	ds_load_2addr_b64 v[21:24], v139 offset0:113 offset1:114
	v_fmac_f32_e32 v145, v14, v5
	ds_load_2addr_b64 v[5:8], v139 offset0:109 offset1:110
	ds_load_2addr_b64 v[13:16], v139 offset0:111 offset1:112
	v_add_f32_e32 v139, v149, v216
	v_add_f32_e32 v149, v152, v215
	s_delay_alu instid0(VALU_DEP_2) | instskip(NEXT) | instid1(VALU_DEP_2)
	v_add_f32_e32 v139, v139, v218
	v_add_f32_e32 v149, v149, v217
	s_delay_alu instid0(VALU_DEP_1) | instskip(NEXT) | instid1(VALU_DEP_1)
	v_dual_add_f32 v139, v139, v143 :: v_dual_add_f32 v140, v149, v140
	v_dual_add_f32 v139, v139, v144 :: v_dual_add_f32 v140, v140, v142
	s_wait_loadcnt_dscnt 0x201
	v_mul_f32_e32 v152, v5, v2
	s_delay_alu instid0(VALU_DEP_2) | instskip(SKIP_2) | instid1(VALU_DEP_4)
	v_dual_mul_f32 v2, v6, v2 :: v_dual_add_f32 v139, v139, v147
	v_mul_f32_e32 v143, v7, v4
	v_mul_f32_e32 v4, v8, v4
	v_fmac_f32_e32 v152, v6, v1
	s_delay_alu instid0(VALU_DEP_4)
	v_fma_f32 v2, v5, v1, -v2
	v_add_f32_e32 v1, v139, v148
	s_wait_loadcnt_dscnt 0x100
	v_mul_f32_e32 v149, v13, v10
	v_dual_mul_f32 v6, v14, v10 :: v_dual_fmac_f32 v143, v8, v3
	v_fma_f32 v3, v7, v3, -v4
	v_add_f32_e32 v1, v1, v2
	v_mul_f32_e32 v153, v15, v12
	v_dual_mul_f32 v4, v16, v12 :: v_dual_fmac_f32 v149, v14, v9
	s_delay_alu instid0(VALU_DEP_3) | instskip(NEXT) | instid1(VALU_DEP_3)
	v_add_f32_e32 v1, v1, v3
	v_fmac_f32_e32 v153, v16, v11
	s_delay_alu instid0(VALU_DEP_3) | instskip(SKIP_4) | instid1(VALU_DEP_2)
	v_fma_f32 v4, v15, v11, -v4
	s_wait_loadcnt 0x0
	v_mul_f32_e32 v142, v21, v18
	v_dual_add_f32 v140, v140, v145 :: v_dual_mul_f32 v3, v22, v18
	v_mul_f32_e32 v144, v23, v20
	v_dual_fmac_f32 v142, v22, v17 :: v_dual_add_f32 v5, v140, v146
	s_delay_alu instid0(VALU_DEP_3) | instskip(NEXT) | instid1(VALU_DEP_3)
	v_fma_f32 v3, v21, v17, -v3
	v_fmac_f32_e32 v144, v24, v19
	s_delay_alu instid0(VALU_DEP_3) | instskip(SKIP_1) | instid1(VALU_DEP_1)
	v_add_f32_e32 v2, v5, v152
	v_fma_f32 v5, v13, v9, -v6
	v_dual_add_f32 v2, v2, v143 :: v_dual_add_f32 v1, v1, v5
	s_delay_alu instid0(VALU_DEP_1) | instskip(NEXT) | instid1(VALU_DEP_2)
	v_dual_mul_f32 v5, v24, v20 :: v_dual_add_f32 v2, v2, v149
	v_add_f32_e32 v1, v1, v4
	s_delay_alu instid0(VALU_DEP_2) | instskip(NEXT) | instid1(VALU_DEP_2)
	v_fma_f32 v4, v23, v19, -v5
	v_dual_add_f32 v2, v2, v153 :: v_dual_add_f32 v1, v1, v3
	s_delay_alu instid0(VALU_DEP_1) | instskip(NEXT) | instid1(VALU_DEP_1)
	v_dual_add_f32 v2, v2, v142 :: v_dual_add_f32 v1, v1, v4
	v_add_f32_e32 v2, v2, v144
	s_delay_alu instid0(VALU_DEP_1)
	v_dual_sub_f32 v1, v150, v1 :: v_dual_sub_f32 v2, v151, v2
	scratch_store_b64 off, v[1:2], off offset:16
	v_cmpx_lt_u32_e32 1, v0
	s_cbranch_execz .LBB120_353
; %bb.352:
	scratch_load_b64 v[1:2], off, off offset:8
	v_mov_b32_e32 v3, 0
	s_delay_alu instid0(VALU_DEP_1)
	v_mov_b32_e32 v4, v3
	scratch_store_b64 off, v[3:4], off offset:8
	s_wait_loadcnt 0x0
	ds_store_b64 v141, v[1:2]
.LBB120_353:
	s_wait_alu 0xfffe
	s_or_b32 exec_lo, exec_lo, s0
	s_wait_storecnt_dscnt 0x0
	s_barrier_signal -1
	s_barrier_wait -1
	global_inv scope:SCOPE_SE
	s_clause 0x4
	scratch_load_b128 v[5:8], off, off offset:16
	scratch_load_b128 v[1:4], off, off offset:32
	;; [unrolled: 1-line block ×5, first 2 shown]
	v_mov_b32_e32 v139, 0
	ds_load_b128 v[21:24], v139 offset:480
	ds_load_b128 v[142:145], v139 offset:496
	;; [unrolled: 1-line block ×3, first 2 shown]
	scratch_load_b64 v[150:151], off, off offset:8
	s_mov_b32 s0, exec_lo
	s_wait_loadcnt_dscnt 0x502
	v_mul_f32_e32 v140, v21, v6
	v_mul_f32_e32 v152, v23, v8
	s_wait_loadcnt_dscnt 0x300
	v_dual_mul_f32 v8, v24, v8 :: v_dual_mul_f32 v153, v146, v10
	v_mul_f32_e32 v6, v22, v6
	v_fmac_f32_e32 v140, v22, v5
	v_mul_f32_e32 v154, v148, v12
	s_delay_alu instid0(VALU_DEP_4) | instskip(SKIP_2) | instid1(VALU_DEP_2)
	v_fma_f32 v22, v23, v7, -v8
	v_dual_mul_f32 v23, v142, v2 :: v_dual_fmac_f32 v152, v24, v7
	v_dual_fmac_f32 v153, v147, v9 :: v_dual_mul_f32 v24, v144, v4
	v_dual_mul_f32 v4, v145, v4 :: v_dual_fmac_f32 v23, v143, v1
	v_fma_f32 v21, v21, v5, -v6
	ds_load_b128 v[5:8], v139 offset:528
	v_mul_f32_e32 v10, v147, v10
	v_mul_f32_e32 v12, v149, v12
	;; [unrolled: 1-line block ×3, first 2 shown]
	v_fmac_f32_e32 v24, v145, v3
	v_fma_f32 v143, v144, v3, -v4
	v_fmac_f32_e32 v154, v149, v11
	v_fma_f32 v144, v146, v9, -v10
	v_fma_f32 v145, v148, v11, -v12
	ds_load_b128 v[9:12], v139 offset:544
	s_wait_loadcnt_dscnt 0x201
	v_dual_mul_f32 v147, v7, v16 :: v_dual_mul_f32 v146, v5, v14
	v_mul_f32_e32 v14, v6, v14
	v_mul_f32_e32 v16, v8, v16
	s_delay_alu instid0(VALU_DEP_3)
	v_fmac_f32_e32 v147, v8, v15
	v_fma_f32 v142, v142, v1, -v2
	scratch_load_b128 v[1:4], off, off offset:96
	v_fmac_f32_e32 v146, v6, v13
	v_fma_f32 v13, v5, v13, -v14
	v_fma_f32 v14, v7, v15, -v16
	s_wait_loadcnt_dscnt 0x200
	v_mul_f32_e32 v15, v9, v18
	v_mul_f32_e32 v16, v10, v18
	;; [unrolled: 1-line block ×4, first 2 shown]
	ds_load_b128 v[5:8], v139 offset:560
	v_fmac_f32_e32 v15, v10, v17
	v_fma_f32 v16, v9, v17, -v16
	v_fmac_f32_e32 v18, v12, v19
	v_fma_f32 v17, v11, v19, -v20
	scratch_load_b128 v[9:12], off, off offset:112
	s_wait_loadcnt_dscnt 0x100
	v_mul_f32_e32 v19, v5, v2
	v_mul_f32_e32 v2, v6, v2
	;; [unrolled: 1-line block ×3, first 2 shown]
	s_delay_alu instid0(VALU_DEP_3) | instskip(NEXT) | instid1(VALU_DEP_3)
	v_dual_mul_f32 v4, v8, v4 :: v_dual_fmac_f32 v19, v6, v1
	v_fma_f32 v148, v5, v1, -v2
	s_delay_alu instid0(VALU_DEP_3) | instskip(NEXT) | instid1(VALU_DEP_3)
	v_fmac_f32_e32 v20, v8, v3
	v_fma_f32 v149, v7, v3, -v4
	ds_load_b128 v[1:4], v139 offset:576
	ds_load_b128 v[5:8], v139 offset:592
	s_wait_loadcnt_dscnt 0x1
	v_mul_f32_e32 v155, v1, v10
	v_mul_f32_e32 v10, v2, v10
	s_delay_alu instid0(VALU_DEP_2) | instskip(NEXT) | instid1(VALU_DEP_2)
	v_dual_mul_f32 v156, v3, v12 :: v_dual_fmac_f32 v155, v2, v9
	v_fma_f32 v157, v1, v9, -v10
	v_mul_f32_e32 v1, v4, v12
	s_delay_alu instid0(VALU_DEP_3) | instskip(NEXT) | instid1(VALU_DEP_2)
	v_fmac_f32_e32 v156, v4, v11
	v_fma_f32 v158, v3, v11, -v1
	s_clause 0x1
	scratch_load_b128 v[1:4], off, off offset:128
	scratch_load_b128 v[9:12], off, off offset:144
	s_wait_loadcnt_dscnt 0x100
	v_mul_f32_e32 v159, v5, v2
	v_dual_mul_f32 v2, v6, v2 :: v_dual_mul_f32 v161, v7, v4
	s_delay_alu instid0(VALU_DEP_2) | instskip(NEXT) | instid1(VALU_DEP_2)
	v_fmac_f32_e32 v159, v6, v1
	v_fma_f32 v160, v5, v1, -v2
	v_mul_f32_e32 v1, v8, v4
	s_delay_alu instid0(VALU_DEP_4) | instskip(NEXT) | instid1(VALU_DEP_2)
	v_fmac_f32_e32 v161, v8, v3
	v_fma_f32 v162, v7, v3, -v1
	ds_load_b128 v[1:4], v139 offset:608
	ds_load_b128 v[5:8], v139 offset:624
	s_wait_loadcnt_dscnt 0x1
	v_mul_f32_e32 v163, v1, v10
	v_mul_f32_e32 v165, v3, v12
	s_delay_alu instid0(VALU_DEP_2) | instskip(NEXT) | instid1(VALU_DEP_2)
	v_fmac_f32_e32 v163, v2, v9
	v_dual_mul_f32 v2, v2, v10 :: v_dual_fmac_f32 v165, v4, v11
	s_delay_alu instid0(VALU_DEP_1) | instskip(SKIP_1) | instid1(VALU_DEP_1)
	v_fma_f32 v164, v1, v9, -v2
	v_mul_f32_e32 v1, v4, v12
	v_fma_f32 v166, v3, v11, -v1
	s_clause 0x1
	scratch_load_b128 v[1:4], off, off offset:160
	scratch_load_b128 v[9:12], off, off offset:176
	s_wait_loadcnt_dscnt 0x100
	v_mul_f32_e32 v167, v5, v2
	v_dual_mul_f32 v2, v6, v2 :: v_dual_mul_f32 v169, v7, v4
	s_delay_alu instid0(VALU_DEP_2) | instskip(NEXT) | instid1(VALU_DEP_2)
	v_fmac_f32_e32 v167, v6, v1
	v_fma_f32 v168, v5, v1, -v2
	v_mul_f32_e32 v1, v8, v4
	s_delay_alu instid0(VALU_DEP_4) | instskip(NEXT) | instid1(VALU_DEP_2)
	v_fmac_f32_e32 v169, v8, v3
	v_fma_f32 v170, v7, v3, -v1
	ds_load_b128 v[1:4], v139 offset:640
	ds_load_b128 v[5:8], v139 offset:656
	s_wait_loadcnt_dscnt 0x1
	v_mul_f32_e32 v171, v1, v10
	v_mul_f32_e32 v173, v3, v12
	s_delay_alu instid0(VALU_DEP_2) | instskip(NEXT) | instid1(VALU_DEP_2)
	v_fmac_f32_e32 v171, v2, v9
	v_dual_mul_f32 v2, v2, v10 :: v_dual_fmac_f32 v173, v4, v11
	s_delay_alu instid0(VALU_DEP_1) | instskip(SKIP_1) | instid1(VALU_DEP_1)
	v_fma_f32 v172, v1, v9, -v2
	v_mul_f32_e32 v1, v4, v12
	v_fma_f32 v174, v3, v11, -v1
	s_clause 0x1
	scratch_load_b128 v[1:4], off, off offset:192
	scratch_load_b128 v[9:12], off, off offset:208
	s_wait_loadcnt_dscnt 0x100
	v_mul_f32_e32 v175, v5, v2
	v_dual_mul_f32 v2, v6, v2 :: v_dual_mul_f32 v177, v7, v4
	s_delay_alu instid0(VALU_DEP_2) | instskip(NEXT) | instid1(VALU_DEP_2)
	v_fmac_f32_e32 v175, v6, v1
	v_fma_f32 v176, v5, v1, -v2
	v_mul_f32_e32 v1, v8, v4
	s_delay_alu instid0(VALU_DEP_4) | instskip(NEXT) | instid1(VALU_DEP_2)
	v_fmac_f32_e32 v177, v8, v3
	v_fma_f32 v178, v7, v3, -v1
	ds_load_b128 v[1:4], v139 offset:672
	ds_load_b128 v[5:8], v139 offset:688
	s_wait_loadcnt_dscnt 0x1
	v_mul_f32_e32 v179, v1, v10
	v_mul_f32_e32 v181, v3, v12
	s_delay_alu instid0(VALU_DEP_2) | instskip(NEXT) | instid1(VALU_DEP_2)
	v_fmac_f32_e32 v179, v2, v9
	v_dual_mul_f32 v2, v2, v10 :: v_dual_fmac_f32 v181, v4, v11
	s_delay_alu instid0(VALU_DEP_1) | instskip(SKIP_1) | instid1(VALU_DEP_1)
	v_fma_f32 v180, v1, v9, -v2
	v_mul_f32_e32 v1, v4, v12
	v_fma_f32 v182, v3, v11, -v1
	s_clause 0x1
	scratch_load_b128 v[1:4], off, off offset:224
	scratch_load_b128 v[9:12], off, off offset:240
	s_wait_loadcnt_dscnt 0x100
	v_mul_f32_e32 v183, v5, v2
	v_dual_mul_f32 v2, v6, v2 :: v_dual_mul_f32 v185, v7, v4
	s_delay_alu instid0(VALU_DEP_2) | instskip(NEXT) | instid1(VALU_DEP_2)
	v_fmac_f32_e32 v183, v6, v1
	v_fma_f32 v184, v5, v1, -v2
	v_mul_f32_e32 v1, v8, v4
	s_delay_alu instid0(VALU_DEP_4) | instskip(NEXT) | instid1(VALU_DEP_2)
	v_fmac_f32_e32 v185, v8, v3
	v_fma_f32 v186, v7, v3, -v1
	ds_load_b128 v[1:4], v139 offset:704
	ds_load_b128 v[5:8], v139 offset:720
	s_wait_loadcnt_dscnt 0x1
	v_mul_f32_e32 v187, v1, v10
	v_mul_f32_e32 v189, v3, v12
	s_delay_alu instid0(VALU_DEP_2) | instskip(NEXT) | instid1(VALU_DEP_2)
	v_fmac_f32_e32 v187, v2, v9
	v_dual_mul_f32 v2, v2, v10 :: v_dual_fmac_f32 v189, v4, v11
	s_delay_alu instid0(VALU_DEP_1) | instskip(SKIP_1) | instid1(VALU_DEP_1)
	v_fma_f32 v188, v1, v9, -v2
	v_mul_f32_e32 v1, v4, v12
	v_fma_f32 v190, v3, v11, -v1
	s_clause 0x1
	scratch_load_b128 v[1:4], off, off offset:256
	scratch_load_b128 v[9:12], off, off offset:272
	s_wait_loadcnt_dscnt 0x100
	v_mul_f32_e32 v191, v5, v2
	v_dual_mul_f32 v2, v6, v2 :: v_dual_mul_f32 v193, v7, v4
	s_delay_alu instid0(VALU_DEP_2) | instskip(NEXT) | instid1(VALU_DEP_2)
	v_fmac_f32_e32 v191, v6, v1
	v_fma_f32 v192, v5, v1, -v2
	v_mul_f32_e32 v1, v8, v4
	s_delay_alu instid0(VALU_DEP_4) | instskip(NEXT) | instid1(VALU_DEP_2)
	v_fmac_f32_e32 v193, v8, v3
	v_fma_f32 v194, v7, v3, -v1
	ds_load_b128 v[1:4], v139 offset:736
	ds_load_b128 v[5:8], v139 offset:752
	s_wait_loadcnt_dscnt 0x1
	v_mul_f32_e32 v195, v1, v10
	v_mul_f32_e32 v197, v3, v12
	s_delay_alu instid0(VALU_DEP_2) | instskip(NEXT) | instid1(VALU_DEP_2)
	v_fmac_f32_e32 v195, v2, v9
	v_dual_mul_f32 v2, v2, v10 :: v_dual_fmac_f32 v197, v4, v11
	s_delay_alu instid0(VALU_DEP_1) | instskip(SKIP_1) | instid1(VALU_DEP_1)
	v_fma_f32 v196, v1, v9, -v2
	v_mul_f32_e32 v1, v4, v12
	v_fma_f32 v198, v3, v11, -v1
	s_clause 0x1
	scratch_load_b128 v[1:4], off, off offset:288
	scratch_load_b128 v[9:12], off, off offset:304
	s_wait_loadcnt_dscnt 0x100
	v_mul_f32_e32 v199, v5, v2
	v_dual_mul_f32 v2, v6, v2 :: v_dual_mul_f32 v201, v7, v4
	s_delay_alu instid0(VALU_DEP_2) | instskip(NEXT) | instid1(VALU_DEP_2)
	v_fmac_f32_e32 v199, v6, v1
	v_fma_f32 v200, v5, v1, -v2
	v_mul_f32_e32 v1, v8, v4
	s_delay_alu instid0(VALU_DEP_4) | instskip(NEXT) | instid1(VALU_DEP_2)
	v_fmac_f32_e32 v201, v8, v3
	v_fma_f32 v202, v7, v3, -v1
	ds_load_b128 v[1:4], v139 offset:768
	ds_load_b128 v[5:8], v139 offset:784
	s_wait_loadcnt_dscnt 0x1
	v_mul_f32_e32 v203, v1, v10
	v_mul_f32_e32 v205, v3, v12
	s_delay_alu instid0(VALU_DEP_2) | instskip(NEXT) | instid1(VALU_DEP_2)
	v_fmac_f32_e32 v203, v2, v9
	v_dual_mul_f32 v2, v2, v10 :: v_dual_fmac_f32 v205, v4, v11
	s_delay_alu instid0(VALU_DEP_1) | instskip(SKIP_1) | instid1(VALU_DEP_1)
	v_fma_f32 v204, v1, v9, -v2
	v_mul_f32_e32 v1, v4, v12
	v_fma_f32 v206, v3, v11, -v1
	s_clause 0x1
	scratch_load_b128 v[1:4], off, off offset:320
	scratch_load_b128 v[9:12], off, off offset:336
	s_wait_loadcnt_dscnt 0x100
	v_mul_f32_e32 v207, v5, v2
	v_dual_mul_f32 v2, v6, v2 :: v_dual_mul_f32 v209, v7, v4
	s_delay_alu instid0(VALU_DEP_2) | instskip(NEXT) | instid1(VALU_DEP_2)
	v_fmac_f32_e32 v207, v6, v1
	v_fma_f32 v208, v5, v1, -v2
	v_mul_f32_e32 v1, v8, v4
	s_delay_alu instid0(VALU_DEP_4) | instskip(NEXT) | instid1(VALU_DEP_2)
	v_fmac_f32_e32 v209, v8, v3
	v_fma_f32 v210, v7, v3, -v1
	ds_load_b128 v[1:4], v139 offset:800
	ds_load_b128 v[5:8], v139 offset:816
	s_wait_loadcnt_dscnt 0x1
	v_mul_f32_e32 v211, v1, v10
	v_mul_f32_e32 v213, v3, v12
	s_delay_alu instid0(VALU_DEP_2) | instskip(NEXT) | instid1(VALU_DEP_2)
	v_fmac_f32_e32 v211, v2, v9
	v_dual_mul_f32 v2, v2, v10 :: v_dual_fmac_f32 v213, v4, v11
	s_delay_alu instid0(VALU_DEP_1) | instskip(SKIP_1) | instid1(VALU_DEP_1)
	v_fma_f32 v212, v1, v9, -v2
	v_mul_f32_e32 v1, v4, v12
	v_fma_f32 v214, v3, v11, -v1
	s_clause 0x1
	scratch_load_b128 v[1:4], off, off offset:352
	scratch_load_b128 v[9:12], off, off offset:368
	s_wait_loadcnt_dscnt 0x100
	v_mul_f32_e32 v215, v5, v2
	v_mul_f32_e32 v2, v6, v2
	s_delay_alu instid0(VALU_DEP_2) | instskip(NEXT) | instid1(VALU_DEP_2)
	v_fmac_f32_e32 v215, v6, v1
	v_fma_f32 v216, v5, v1, -v2
	v_add_f32_e32 v2, 0, v140
	v_mul_f32_e32 v1, v8, v4
	s_delay_alu instid0(VALU_DEP_2) | instskip(NEXT) | instid1(VALU_DEP_2)
	v_add_f32_e32 v2, v2, v152
	v_fma_f32 v218, v7, v3, -v1
	s_delay_alu instid0(VALU_DEP_2) | instskip(NEXT) | instid1(VALU_DEP_1)
	v_dual_add_f32 v1, 0, v21 :: v_dual_add_f32 v2, v2, v23
	v_dual_add_f32 v1, v1, v22 :: v_dual_add_f32 v2, v2, v24
	s_delay_alu instid0(VALU_DEP_1) | instskip(NEXT) | instid1(VALU_DEP_1)
	v_add_f32_e32 v2, v2, v153
	v_add_f32_e32 v2, v2, v154
	s_delay_alu instid0(VALU_DEP_1) | instskip(NEXT) | instid1(VALU_DEP_1)
	v_add_f32_e32 v2, v2, v146
	v_add_f32_e32 v2, v2, v147
	;; [unrolled: 3-line block ×6, first 2 shown]
	s_delay_alu instid0(VALU_DEP_1) | instskip(NEXT) | instid1(VALU_DEP_1)
	v_add_f32_e32 v2, v2, v163
	v_dual_add_f32 v2, v2, v165 :: v_dual_add_f32 v1, v1, v142
	s_delay_alu instid0(VALU_DEP_1) | instskip(NEXT) | instid1(VALU_DEP_2)
	v_add_f32_e32 v2, v2, v167
	v_add_f32_e32 v1, v1, v143
	scratch_load_b64 v[142:143], off, off offset:448
	v_dual_add_f32 v2, v2, v169 :: v_dual_add_f32 v1, v1, v144
	s_delay_alu instid0(VALU_DEP_1) | instskip(NEXT) | instid1(VALU_DEP_1)
	v_dual_add_f32 v2, v2, v171 :: v_dual_add_f32 v1, v1, v145
	v_add_f32_e32 v2, v2, v173
	s_delay_alu instid0(VALU_DEP_2) | instskip(NEXT) | instid1(VALU_DEP_1)
	v_add_f32_e32 v1, v1, v13
	v_add_f32_e32 v1, v1, v14
	s_delay_alu instid0(VALU_DEP_1) | instskip(NEXT) | instid1(VALU_DEP_1)
	v_add_f32_e32 v1, v1, v16
	v_add_f32_e32 v1, v1, v17
	s_delay_alu instid0(VALU_DEP_1) | instskip(NEXT) | instid1(VALU_DEP_1)
	;; [unrolled: 3-line block ×11, first 2 shown]
	v_add_f32_e32 v1, v1, v188
	v_add_f32_e32 v1, v1, v190
	s_delay_alu instid0(VALU_DEP_1) | instskip(SKIP_1) | instid1(VALU_DEP_2)
	v_add_f32_e32 v6, v1, v192
	v_add_f32_e32 v2, v2, v175
	;; [unrolled: 1-line block ×3, first 2 shown]
	s_delay_alu instid0(VALU_DEP_2) | instskip(NEXT) | instid1(VALU_DEP_2)
	v_add_f32_e32 v2, v2, v177
	v_add_f32_e32 v14, v14, v196
	s_delay_alu instid0(VALU_DEP_2) | instskip(NEXT) | instid1(VALU_DEP_2)
	v_add_f32_e32 v2, v2, v179
	v_add_f32_e32 v17, v14, v198
	s_delay_alu instid0(VALU_DEP_1) | instskip(NEXT) | instid1(VALU_DEP_1)
	v_dual_add_f32 v2, v2, v181 :: v_dual_add_f32 v17, v17, v200
	v_dual_add_f32 v2, v2, v183 :: v_dual_add_f32 v17, v17, v202
	s_delay_alu instid0(VALU_DEP_1) | instskip(NEXT) | instid1(VALU_DEP_1)
	v_dual_add_f32 v2, v2, v185 :: v_dual_add_f32 v17, v17, v204
	v_add_f32_e32 v2, v2, v187
	s_delay_alu instid0(VALU_DEP_1) | instskip(NEXT) | instid1(VALU_DEP_1)
	v_dual_add_f32 v22, v17, v206 :: v_dual_add_f32 v5, v2, v189
	v_dual_add_f32 v22, v22, v208 :: v_dual_add_f32 v13, v5, v191
	s_delay_alu instid0(VALU_DEP_1) | instskip(NEXT) | instid1(VALU_DEP_1)
	v_dual_add_f32 v22, v22, v210 :: v_dual_add_f32 v13, v13, v193
	v_dual_add_f32 v22, v22, v212 :: v_dual_add_f32 v13, v13, v195
	s_delay_alu instid0(VALU_DEP_1) | instskip(NEXT) | instid1(VALU_DEP_1)
	v_dual_mul_f32 v217, v7, v4 :: v_dual_add_f32 v18, v13, v197
	v_fmac_f32_e32 v217, v8, v3
	scratch_load_b128 v[1:4], off, off offset:384
	ds_load_b128 v[5:8], v139 offset:832
	ds_load_b128 v[13:16], v139 offset:848
	s_wait_loadcnt_dscnt 0x201
	v_mul_f32_e32 v140, v5, v10
	v_mul_f32_e32 v10, v6, v10
	;; [unrolled: 1-line block ×4, first 2 shown]
	s_delay_alu instid0(VALU_DEP_4) | instskip(NEXT) | instid1(VALU_DEP_4)
	v_fmac_f32_e32 v140, v6, v9
	v_fma_f32 v147, v5, v9, -v10
	s_delay_alu instid0(VALU_DEP_4) | instskip(NEXT) | instid1(VALU_DEP_4)
	v_fmac_f32_e32 v146, v8, v11
	v_fma_f32 v148, v7, v11, -v12
	s_clause 0x1
	scratch_load_b128 v[5:8], off, off offset:400
	scratch_load_b128 v[9:12], off, off offset:416
	s_wait_loadcnt_dscnt 0x200
	v_mul_f32_e32 v152, v15, v4
	v_add_f32_e32 v18, v18, v199
	v_dual_mul_f32 v4, v16, v4 :: v_dual_mul_f32 v149, v13, v2
	v_mul_f32_e32 v2, v14, v2
	s_delay_alu instid0(VALU_DEP_4) | instskip(NEXT) | instid1(VALU_DEP_4)
	v_fmac_f32_e32 v152, v16, v3
	v_add_f32_e32 v18, v18, v201
	s_delay_alu instid0(VALU_DEP_4)
	v_fma_f32 v154, v15, v3, -v4
	v_fmac_f32_e32 v149, v14, v1
	v_fma_f32 v153, v13, v1, -v2
	v_add_f32_e32 v14, v22, v214
	v_add_f32_e32 v21, v18, v203
	scratch_load_b128 v[17:20], off, off offset:432
	ds_load_b128 v[1:4], v139 offset:864
	v_dual_add_f32 v144, v14, v216 :: v_dual_add_f32 v21, v21, v205
	s_delay_alu instid0(VALU_DEP_1) | instskip(NEXT) | instid1(VALU_DEP_2)
	v_add_f32_e32 v155, v144, v218
	v_add_f32_e32 v21, v21, v207
	s_delay_alu instid0(VALU_DEP_2) | instskip(NEXT) | instid1(VALU_DEP_2)
	v_add_f32_e32 v147, v155, v147
	v_add_f32_e32 v21, v21, v209
	s_delay_alu instid0(VALU_DEP_2) | instskip(NEXT) | instid1(VALU_DEP_2)
	;; [unrolled: 3-line block ×3, first 2 shown]
	v_add_f32_e32 v147, v147, v153
	v_add_f32_e32 v21, v13, v213
	ds_load_b128 v[13:16], v139 offset:880
	s_wait_loadcnt_dscnt 0x201
	v_mul_f32_e32 v155, v1, v6
	v_mul_f32_e32 v6, v2, v6
	v_add_f32_e32 v147, v147, v154
	v_add_f32_e32 v145, v21, v215
	ds_load_b128 v[21:24], v139 offset:896
	v_fmac_f32_e32 v155, v2, v5
	v_fma_f32 v1, v1, v5, -v6
	v_add_f32_e32 v156, v145, v217
	ds_load_b64 v[144:145], v139 offset:912
	v_dual_add_f32 v1, v147, v1 :: v_dual_add_f32 v140, v156, v140
	s_delay_alu instid0(VALU_DEP_1)
	v_add_f32_e32 v140, v140, v146
	v_mul_f32_e32 v146, v3, v8
	v_mul_f32_e32 v8, v4, v8
	s_wait_loadcnt_dscnt 0x102
	v_dual_mul_f32 v148, v13, v10 :: v_dual_mul_f32 v5, v16, v12
	v_add_f32_e32 v140, v140, v149
	v_fmac_f32_e32 v146, v4, v7
	v_fma_f32 v2, v3, v7, -v8
	v_mul_f32_e32 v3, v14, v10
	v_mul_f32_e32 v149, v15, v12
	v_add_f32_e32 v140, v140, v152
	s_delay_alu instid0(VALU_DEP_4) | instskip(NEXT) | instid1(VALU_DEP_4)
	v_dual_fmac_f32 v148, v14, v9 :: v_dual_add_f32 v1, v1, v2
	v_fma_f32 v3, v13, v9, -v3
	s_delay_alu instid0(VALU_DEP_4) | instskip(NEXT) | instid1(VALU_DEP_4)
	v_fmac_f32_e32 v149, v16, v11
	v_add_f32_e32 v4, v140, v155
	v_fma_f32 v5, v15, v11, -v5
	s_wait_dscnt 0x0
	v_mul_f32_e32 v152, v144, v143
	s_delay_alu instid0(VALU_DEP_3) | instskip(NEXT) | instid1(VALU_DEP_2)
	v_dual_add_f32 v1, v1, v3 :: v_dual_add_f32 v2, v4, v146
	v_fmac_f32_e32 v152, v145, v142
	s_delay_alu instid0(VALU_DEP_2) | instskip(NEXT) | instid1(VALU_DEP_3)
	v_add_f32_e32 v1, v1, v5
	v_dual_mul_f32 v5, v145, v143 :: v_dual_add_f32 v2, v2, v148
	s_wait_loadcnt 0x0
	s_delay_alu instid0(VALU_DEP_1) | instskip(SKIP_3) | instid1(VALU_DEP_4)
	v_dual_add_f32 v2, v2, v149 :: v_dual_mul_f32 v153, v21, v18
	v_mul_f32_e32 v4, v22, v18
	v_mul_f32_e32 v154, v23, v20
	v_mul_f32_e32 v3, v24, v20
	v_fmac_f32_e32 v153, v22, v17
	s_delay_alu instid0(VALU_DEP_4) | instskip(NEXT) | instid1(VALU_DEP_4)
	v_fma_f32 v4, v21, v17, -v4
	v_fmac_f32_e32 v154, v24, v19
	s_delay_alu instid0(VALU_DEP_4) | instskip(NEXT) | instid1(VALU_DEP_3)
	v_fma_f32 v3, v23, v19, -v3
	v_dual_add_f32 v2, v2, v153 :: v_dual_add_f32 v1, v1, v4
	v_fma_f32 v4, v144, v142, -v5
	s_delay_alu instid0(VALU_DEP_2) | instskip(NEXT) | instid1(VALU_DEP_1)
	v_dual_add_f32 v2, v2, v154 :: v_dual_add_f32 v1, v1, v3
	v_add_f32_e32 v2, v2, v152
	s_delay_alu instid0(VALU_DEP_1) | instskip(NEXT) | instid1(VALU_DEP_1)
	v_dual_add_f32 v1, v1, v4 :: v_dual_sub_f32 v2, v151, v2
	v_sub_f32_e32 v1, v150, v1
	scratch_store_b64 off, v[1:2], off offset:8
	v_cmpx_ne_u32_e32 0, v0
	s_cbranch_execz .LBB120_355
; %bb.354:
	scratch_load_b64 v[0:1], off, off
	v_mov_b32_e32 v140, v139
	scratch_store_b64 off, v[139:140], off
	s_wait_loadcnt 0x0
	ds_store_b64 v141, v[0:1]
.LBB120_355:
	s_wait_alu 0xfffe
	s_or_b32 exec_lo, exec_lo, s0
	s_wait_storecnt_dscnt 0x0
	s_barrier_signal -1
	s_barrier_wait -1
	global_inv scope:SCOPE_SE
	s_clause 0x6
	scratch_load_b128 v[0:3], off, off offset:8
	scratch_load_b128 v[4:7], off, off offset:24
	;; [unrolled: 1-line block ×7, first 2 shown]
	ds_load_2addr_b64 v[144:147], v139 offset0:59 offset1:60
	ds_load_2addr_b64 v[148:151], v139 offset0:61 offset1:62
	scratch_load_b64 v[152:153], off, off
	s_and_b32 vcc_lo, exec_lo, s12
	s_wait_loadcnt_dscnt 0x701
	v_mul_f32_e32 v24, v144, v1
	v_dual_mul_f32 v154, v146, v3 :: v_dual_mul_f32 v1, v145, v1
	s_delay_alu instid0(VALU_DEP_2) | instskip(NEXT) | instid1(VALU_DEP_2)
	v_dual_mul_f32 v3, v147, v3 :: v_dual_fmac_f32 v24, v145, v0
	v_fmac_f32_e32 v154, v147, v2
	s_delay_alu instid0(VALU_DEP_3) | instskip(NEXT) | instid1(VALU_DEP_3)
	v_fma_f32 v144, v144, v0, -v1
	v_fma_f32 v145, v146, v2, -v3
	ds_load_2addr_b64 v[0:3], v139 offset0:63 offset1:64
	s_wait_loadcnt_dscnt 0x601
	v_dual_mul_f32 v146, v148, v5 :: v_dual_mul_f32 v147, v150, v7
	v_mul_f32_e32 v5, v149, v5
	s_delay_alu instid0(VALU_DEP_2) | instskip(NEXT) | instid1(VALU_DEP_3)
	v_dual_mul_f32 v7, v151, v7 :: v_dual_fmac_f32 v146, v149, v4
	v_fmac_f32_e32 v147, v151, v6
	s_delay_alu instid0(VALU_DEP_3) | instskip(NEXT) | instid1(VALU_DEP_3)
	v_fma_f32 v148, v148, v4, -v5
	v_fma_f32 v149, v150, v6, -v7
	ds_load_2addr_b64 v[4:7], v139 offset0:65 offset1:66
	s_wait_loadcnt_dscnt 0x501
	v_dual_mul_f32 v150, v0, v9 :: v_dual_mul_f32 v151, v2, v11
	v_mul_f32_e32 v9, v1, v9
	s_delay_alu instid0(VALU_DEP_2) | instskip(NEXT) | instid1(VALU_DEP_3)
	v_dual_mul_f32 v11, v3, v11 :: v_dual_fmac_f32 v150, v1, v8
	v_fmac_f32_e32 v151, v3, v10
	s_delay_alu instid0(VALU_DEP_2)
	v_fma_f32 v156, v2, v10, -v11
	s_wait_loadcnt_dscnt 0x400
	v_mul_f32_e32 v158, v6, v15
	v_fma_f32 v155, v0, v8, -v9
	ds_load_2addr_b64 v[0:3], v139 offset0:67 offset1:68
	v_mul_f32_e32 v157, v4, v13
	v_dual_mul_f32 v8, v5, v13 :: v_dual_mul_f32 v9, v7, v15
	s_delay_alu instid0(VALU_DEP_2) | instskip(NEXT) | instid1(VALU_DEP_2)
	v_dual_fmac_f32 v158, v7, v14 :: v_dual_fmac_f32 v157, v5, v12
	v_fma_f32 v12, v4, v12, -v8
	s_delay_alu instid0(VALU_DEP_3) | instskip(SKIP_4) | instid1(VALU_DEP_2)
	v_fma_f32 v13, v6, v14, -v9
	ds_load_2addr_b64 v[4:7], v139 offset0:69 offset1:70
	s_wait_loadcnt_dscnt 0x301
	v_mul_f32_e32 v14, v0, v17
	v_dual_mul_f32 v8, v1, v17 :: v_dual_mul_f32 v15, v2, v19
	v_dual_mul_f32 v9, v3, v19 :: v_dual_fmac_f32 v14, v1, v16
	s_delay_alu instid0(VALU_DEP_2) | instskip(NEXT) | instid1(VALU_DEP_3)
	v_fma_f32 v16, v0, v16, -v8
	v_fmac_f32_e32 v15, v3, v18
	s_delay_alu instid0(VALU_DEP_3) | instskip(SKIP_4) | instid1(VALU_DEP_2)
	v_fma_f32 v17, v2, v18, -v9
	ds_load_2addr_b64 v[0:3], v139 offset0:71 offset1:72
	s_wait_loadcnt_dscnt 0x201
	v_mul_f32_e32 v18, v4, v21
	v_dual_mul_f32 v8, v5, v21 :: v_dual_mul_f32 v19, v6, v23
	v_dual_mul_f32 v9, v7, v23 :: v_dual_fmac_f32 v18, v5, v20
	s_delay_alu instid0(VALU_DEP_2) | instskip(NEXT) | instid1(VALU_DEP_3)
	v_fma_f32 v20, v4, v20, -v8
	v_fmac_f32_e32 v19, v7, v22
	;; [unrolled: 10-line block ×3, first 2 shown]
	s_delay_alu instid0(VALU_DEP_3)
	v_fma_f32 v141, v2, v142, -v9
	s_clause 0x1
	scratch_load_b128 v[0:3], off, off offset:120
	scratch_load_b128 v[8:11], off, off offset:136
	s_wait_loadcnt_dscnt 0x100
	v_mul_f32_e32 v142, v4, v1
	v_mul_f32_e32 v1, v5, v1
	s_delay_alu instid0(VALU_DEP_2) | instskip(NEXT) | instid1(VALU_DEP_2)
	v_dual_mul_f32 v159, v6, v3 :: v_dual_fmac_f32 v142, v5, v0
	v_fma_f32 v143, v4, v0, -v1
	v_mul_f32_e32 v0, v7, v3
	s_delay_alu instid0(VALU_DEP_3) | instskip(NEXT) | instid1(VALU_DEP_2)
	v_fmac_f32_e32 v159, v7, v2
	v_fma_f32 v160, v6, v2, -v0
	ds_load_2addr_b64 v[0:3], v139 offset0:75 offset1:76
	ds_load_2addr_b64 v[4:7], v139 offset0:77 offset1:78
	s_wait_loadcnt_dscnt 0x1
	v_mul_f32_e32 v161, v0, v9
	v_mul_f32_e32 v163, v2, v11
	s_delay_alu instid0(VALU_DEP_2) | instskip(SKIP_1) | instid1(VALU_DEP_3)
	v_fmac_f32_e32 v161, v1, v8
	v_mul_f32_e32 v1, v1, v9
	v_fmac_f32_e32 v163, v3, v10
	s_delay_alu instid0(VALU_DEP_2) | instskip(SKIP_1) | instid1(VALU_DEP_1)
	v_fma_f32 v162, v0, v8, -v1
	v_mul_f32_e32 v0, v3, v11
	v_fma_f32 v164, v2, v10, -v0
	s_clause 0x1
	scratch_load_b128 v[0:3], off, off offset:152
	scratch_load_b128 v[8:11], off, off offset:168
	s_wait_loadcnt_dscnt 0x100
	v_mul_f32_e32 v165, v4, v1
	v_mul_f32_e32 v1, v5, v1
	v_mul_f32_e32 v167, v6, v3
	s_delay_alu instid0(VALU_DEP_3) | instskip(NEXT) | instid1(VALU_DEP_3)
	v_fmac_f32_e32 v165, v5, v0
	v_fma_f32 v166, v4, v0, -v1
	v_mul_f32_e32 v0, v7, v3
	s_delay_alu instid0(VALU_DEP_4) | instskip(NEXT) | instid1(VALU_DEP_2)
	v_fmac_f32_e32 v167, v7, v2
	v_fma_f32 v168, v6, v2, -v0
	ds_load_2addr_b64 v[0:3], v139 offset0:79 offset1:80
	ds_load_2addr_b64 v[4:7], v139 offset0:81 offset1:82
	s_wait_loadcnt_dscnt 0x1
	v_mul_f32_e32 v169, v0, v9
	v_mul_f32_e32 v171, v2, v11
	s_delay_alu instid0(VALU_DEP_2) | instskip(SKIP_1) | instid1(VALU_DEP_3)
	v_fmac_f32_e32 v169, v1, v8
	v_mul_f32_e32 v1, v1, v9
	v_fmac_f32_e32 v171, v3, v10
	s_delay_alu instid0(VALU_DEP_2) | instskip(SKIP_1) | instid1(VALU_DEP_1)
	v_fma_f32 v170, v0, v8, -v1
	v_mul_f32_e32 v0, v3, v11
	v_fma_f32 v172, v2, v10, -v0
	s_clause 0x1
	scratch_load_b128 v[0:3], off, off offset:184
	scratch_load_b128 v[8:11], off, off offset:200
	s_wait_loadcnt_dscnt 0x100
	v_mul_f32_e32 v173, v4, v1
	v_mul_f32_e32 v1, v5, v1
	v_mul_f32_e32 v175, v6, v3
	s_delay_alu instid0(VALU_DEP_3) | instskip(NEXT) | instid1(VALU_DEP_3)
	v_fmac_f32_e32 v173, v5, v0
	v_fma_f32 v174, v4, v0, -v1
	v_mul_f32_e32 v0, v7, v3
	s_delay_alu instid0(VALU_DEP_4) | instskip(NEXT) | instid1(VALU_DEP_2)
	;; [unrolled: 27-line block ×5, first 2 shown]
	v_fmac_f32_e32 v199, v7, v2
	v_fma_f32 v200, v6, v2, -v0
	ds_load_2addr_b64 v[0:3], v139 offset0:95 offset1:96
	ds_load_2addr_b64 v[4:7], v139 offset0:97 offset1:98
	s_wait_loadcnt_dscnt 0x1
	v_mul_f32_e32 v201, v0, v9
	v_mul_f32_e32 v203, v2, v11
	s_delay_alu instid0(VALU_DEP_2) | instskip(SKIP_1) | instid1(VALU_DEP_3)
	v_fmac_f32_e32 v201, v1, v8
	v_mul_f32_e32 v1, v1, v9
	v_fmac_f32_e32 v203, v3, v10
	s_delay_alu instid0(VALU_DEP_2) | instskip(SKIP_1) | instid1(VALU_DEP_1)
	v_fma_f32 v202, v0, v8, -v1
	v_mul_f32_e32 v0, v3, v11
	v_fma_f32 v204, v2, v10, -v0
	s_clause 0x1
	scratch_load_b128 v[0:3], off, off offset:312
	scratch_load_b128 v[8:11], off, off offset:328
	s_wait_loadcnt_dscnt 0x100
	v_mul_f32_e32 v205, v4, v1
	v_mul_f32_e32 v1, v5, v1
	;; [unrolled: 1-line block ×3, first 2 shown]
	s_delay_alu instid0(VALU_DEP_3) | instskip(NEXT) | instid1(VALU_DEP_3)
	v_fmac_f32_e32 v205, v5, v0
	v_fma_f32 v206, v4, v0, -v1
	v_mul_f32_e32 v0, v7, v3
	s_delay_alu instid0(VALU_DEP_1)
	v_fma_f32 v208, v6, v2, -v0
	v_fmac_f32_e32 v207, v7, v2
	ds_load_2addr_b64 v[0:3], v139 offset0:99 offset1:100
	ds_load_2addr_b64 v[4:7], v139 offset0:101 offset1:102
	s_wait_loadcnt_dscnt 0x1
	v_mul_f32_e32 v209, v0, v9
	s_delay_alu instid0(VALU_DEP_1) | instskip(SKIP_1) | instid1(VALU_DEP_1)
	v_fmac_f32_e32 v209, v1, v8
	v_mul_f32_e32 v1, v1, v9
	v_fma_f32 v210, v0, v8, -v1
	v_mul_f32_e32 v0, v3, v11
	s_delay_alu instid0(VALU_DEP_1) | instskip(SKIP_1) | instid1(VALU_DEP_1)
	v_fma_f32 v212, v2, v10, -v0
	v_mul_f32_e32 v211, v2, v11
	v_fmac_f32_e32 v211, v3, v10
	s_clause 0x1
	scratch_load_b128 v[0:3], off, off offset:344
	scratch_load_b128 v[8:11], off, off offset:360
	s_wait_loadcnt_dscnt 0x100
	v_mul_f32_e32 v213, v4, v1
	v_mul_f32_e32 v1, v5, v1
	;; [unrolled: 1-line block ×3, first 2 shown]
	s_delay_alu instid0(VALU_DEP_2) | instskip(NEXT) | instid1(VALU_DEP_2)
	v_fma_f32 v214, v4, v0, -v1
	v_fmac_f32_e32 v215, v7, v2
	v_dual_fmac_f32 v213, v5, v0 :: v_dual_mul_f32 v0, v7, v3
	v_add_f32_e32 v1, 0, v24
	s_delay_alu instid0(VALU_DEP_2) | instskip(NEXT) | instid1(VALU_DEP_2)
	v_fma_f32 v216, v6, v2, -v0
	v_dual_add_f32 v0, 0, v144 :: v_dual_add_f32 v1, v1, v154
	s_delay_alu instid0(VALU_DEP_1) | instskip(NEXT) | instid1(VALU_DEP_1)
	v_dual_add_f32 v0, v0, v145 :: v_dual_add_f32 v1, v1, v146
	v_dual_add_f32 v0, v0, v148 :: v_dual_add_f32 v1, v1, v147
	s_delay_alu instid0(VALU_DEP_1) | instskip(NEXT) | instid1(VALU_DEP_1)
	v_dual_add_f32 v0, v0, v149 :: v_dual_add_f32 v1, v1, v150
	v_add_f32_e32 v0, v0, v155
	s_delay_alu instid0(VALU_DEP_1) | instskip(NEXT) | instid1(VALU_DEP_1)
	v_dual_add_f32 v1, v1, v151 :: v_dual_add_f32 v0, v0, v156
	v_dual_add_f32 v1, v1, v157 :: v_dual_add_f32 v0, v0, v12
	s_delay_alu instid0(VALU_DEP_1) | instskip(NEXT) | instid1(VALU_DEP_1)
	v_dual_add_f32 v1, v1, v158 :: v_dual_add_f32 v0, v0, v13
	v_dual_add_f32 v1, v1, v14 :: v_dual_add_f32 v0, v0, v16
	;; [unrolled: 3-line block ×12, first 2 shown]
	s_delay_alu instid0(VALU_DEP_1) | instskip(NEXT) | instid1(VALU_DEP_1)
	v_dual_add_f32 v5, v1, v187 :: v_dual_add_f32 v4, v0, v188
	v_add_f32_e32 v13, v5, v189
	ds_load_2addr_b64 v[0:3], v139 offset0:103 offset1:104
	v_add_f32_e32 v12, v4, v190
	scratch_load_b128 v[4:7], off, off offset:376
	v_dual_add_f32 v13, v13, v191 :: v_dual_add_f32 v12, v12, v192
	s_delay_alu instid0(VALU_DEP_1) | instskip(NEXT) | instid1(VALU_DEP_2)
	v_add_f32_e32 v16, v13, v193
	v_add_f32_e32 v12, v12, v194
	s_delay_alu instid0(VALU_DEP_2) | instskip(NEXT) | instid1(VALU_DEP_2)
	v_add_f32_e32 v16, v16, v195
	v_add_f32_e32 v17, v12, v196
	ds_load_2addr_b64 v[12:15], v139 offset0:105 offset1:106
	s_wait_loadcnt_dscnt 0x101
	v_mul_f32_e32 v24, v0, v9
	v_dual_mul_f32 v9, v1, v9 :: v_dual_mul_f32 v148, v2, v11
	v_mul_f32_e32 v11, v3, v11
	v_add_f32_e32 v17, v17, v198
	s_delay_alu instid0(VALU_DEP_4) | instskip(NEXT) | instid1(VALU_DEP_4)
	v_fmac_f32_e32 v24, v1, v8
	v_fma_f32 v144, v0, v8, -v9
	v_fmac_f32_e32 v148, v3, v10
	v_fma_f32 v149, v2, v10, -v11
	scratch_load_b128 v[0:3], off, off offset:392
	v_dual_add_f32 v16, v16, v197 :: v_dual_add_f32 v17, v17, v200
	scratch_load_b128 v[8:11], off, off offset:408
	v_dual_add_f32 v16, v16, v199 :: v_dual_add_f32 v17, v17, v202
	s_delay_alu instid0(VALU_DEP_1) | instskip(NEXT) | instid1(VALU_DEP_1)
	v_add_f32_e32 v16, v16, v201
	v_dual_add_f32 v20, v17, v204 :: v_dual_add_f32 v21, v16, v203
	scratch_load_b128 v[16:19], off, off offset:424
	v_dual_add_f32 v140, v20, v206 :: v_dual_add_f32 v141, v21, v205
	scratch_load_b128 v[20:23], off, off offset:440
	v_dual_add_f32 v140, v140, v208 :: v_dual_add_f32 v141, v141, v207
	s_delay_alu instid0(VALU_DEP_1) | instskip(SKIP_4) | instid1(VALU_DEP_3)
	v_add_f32_e32 v140, v140, v210
	s_wait_loadcnt_dscnt 0x400
	v_mul_f32_e32 v150, v12, v5
	v_mul_f32_e32 v5, v13, v5
	v_add_f32_e32 v141, v141, v209
	v_fmac_f32_e32 v150, v13, v4
	s_delay_alu instid0(VALU_DEP_3) | instskip(SKIP_1) | instid1(VALU_DEP_1)
	v_fma_f32 v154, v12, v4, -v5
	v_add_f32_e32 v12, v140, v212
	v_dual_add_f32 v140, v141, v211 :: v_dual_add_f32 v141, v12, v214
	s_delay_alu instid0(VALU_DEP_1) | instskip(NEXT) | instid1(VALU_DEP_1)
	v_dual_add_f32 v140, v140, v213 :: v_dual_add_f32 v145, v141, v216
	v_add_f32_e32 v156, v140, v215
	ds_load_2addr_b64 v[140:143], v139 offset0:111 offset1:112
	v_add_f32_e32 v157, v145, v144
	ds_load_2addr_b64 v[144:147], v139 offset0:113 offset1:114
	v_mul_f32_e32 v151, v14, v7
	v_dual_mul_f32 v7, v15, v7 :: v_dual_add_f32 v24, v156, v24
	v_add_f32_e32 v149, v157, v149
	s_delay_alu instid0(VALU_DEP_3) | instskip(NEXT) | instid1(VALU_DEP_3)
	v_fmac_f32_e32 v151, v15, v6
	v_fma_f32 v155, v14, v6, -v7
	ds_load_2addr_b64 v[4:7], v139 offset0:107 offset1:108
	ds_load_2addr_b64 v[12:15], v139 offset0:109 offset1:110
	v_add_f32_e32 v24, v24, v148
	v_add_f32_e32 v148, v149, v154
	s_delay_alu instid0(VALU_DEP_2)
	v_add_f32_e32 v24, v24, v150
	s_wait_loadcnt_dscnt 0x301
	v_mul_f32_e32 v139, v4, v1
	v_dual_mul_f32 v1, v5, v1 :: v_dual_mul_f32 v156, v6, v3
	v_mul_f32_e32 v3, v7, v3
	s_wait_loadcnt_dscnt 0x200
	v_mul_f32_e32 v149, v12, v9
	v_fmac_f32_e32 v139, v5, v0
	v_fma_f32 v0, v4, v0, -v1
	v_add_f32_e32 v4, v148, v155
	v_dual_add_f32 v5, v24, v151 :: v_dual_fmac_f32 v156, v7, v2
	v_fma_f32 v1, v6, v2, -v3
	s_delay_alu instid0(VALU_DEP_3) | instskip(NEXT) | instid1(VALU_DEP_3)
	v_dual_mul_f32 v7, v13, v9 :: v_dual_add_f32 v0, v4, v0
	v_add_f32_e32 v4, v5, v139
	v_mul_f32_e32 v150, v14, v11
	v_mul_f32_e32 v5, v15, v11
	v_fmac_f32_e32 v149, v13, v8
	v_fma_f32 v7, v12, v8, -v7
	v_add_f32_e32 v0, v0, v1
	v_add_f32_e32 v1, v4, v156
	s_wait_loadcnt 0x1
	v_mul_f32_e32 v2, v140, v17
	v_mul_f32_e32 v4, v141, v17
	v_fmac_f32_e32 v150, v15, v10
	v_fma_f32 v5, v14, v10, -v5
	v_dual_add_f32 v0, v0, v7 :: v_dual_add_f32 v1, v1, v149
	v_mul_f32_e32 v3, v142, v19
	v_dual_mul_f32 v7, v143, v19 :: v_dual_fmac_f32 v2, v141, v16
	v_fma_f32 v4, v140, v16, -v4
	s_delay_alu instid0(VALU_DEP_4)
	v_dual_add_f32 v0, v0, v5 :: v_dual_add_f32 v1, v1, v150
	s_wait_loadcnt 0x0
	v_mul_f32_e32 v6, v144, v21
	v_mul_f32_e32 v5, v145, v21
	v_fmac_f32_e32 v3, v143, v18
	v_fma_f32 v7, v142, v18, -v7
	v_dual_add_f32 v0, v0, v4 :: v_dual_add_f32 v1, v1, v2
	v_mul_f32_e32 v9, v146, v23
	v_mul_f32_e32 v2, v147, v23
	v_fmac_f32_e32 v6, v145, v20
	v_fma_f32 v4, v144, v20, -v5
	v_add_f32_e32 v0, v0, v7
	v_add_f32_e32 v1, v1, v3
	v_fmac_f32_e32 v9, v147, v22
	v_fma_f32 v2, v146, v22, -v2
	s_delay_alu instid0(VALU_DEP_3) | instskip(NEXT) | instid1(VALU_DEP_1)
	v_dual_add_f32 v0, v0, v4 :: v_dual_add_f32 v1, v1, v6
	v_dual_add_f32 v0, v0, v2 :: v_dual_add_f32 v1, v1, v9
	s_delay_alu instid0(VALU_DEP_1)
	v_dual_sub_f32 v0, v152, v0 :: v_dual_sub_f32 v1, v153, v1
	scratch_store_b64 off, v[0:1], off
	s_wait_alu 0xfffe
	s_cbranch_vccz .LBB120_468
; %bb.356:
	v_mov_b32_e32 v0, 0
	global_load_b32 v1, v0, s[2:3] offset:220
	s_wait_loadcnt 0x0
	v_cmp_ne_u32_e32 vcc_lo, 56, v1
	s_cbranch_vccz .LBB120_358
; %bb.357:
	v_lshlrev_b32_e32 v1, 3, v1
	s_delay_alu instid0(VALU_DEP_1)
	v_mov_b32_e32 v5, v1
	scratch_load_b64 v[1:2], v5, off offset:-8
	scratch_load_b64 v[3:4], off, off offset:440
	s_wait_loadcnt 0x1
	scratch_store_b64 off, v[1:2], off offset:440
	s_wait_loadcnt 0x0
	scratch_store_b64 v5, v[3:4], off offset:-8
.LBB120_358:
	global_load_b32 v0, v0, s[2:3] offset:216
	s_wait_loadcnt 0x0
	v_cmp_eq_u32_e32 vcc_lo, 55, v0
	s_cbranch_vccnz .LBB120_360
; %bb.359:
	v_lshlrev_b32_e32 v0, 3, v0
	s_delay_alu instid0(VALU_DEP_1)
	v_mov_b32_e32 v4, v0
	scratch_load_b64 v[0:1], v4, off offset:-8
	scratch_load_b64 v[2:3], off, off offset:432
	s_wait_loadcnt 0x1
	scratch_store_b64 off, v[0:1], off offset:432
	s_wait_loadcnt 0x0
	scratch_store_b64 v4, v[2:3], off offset:-8
.LBB120_360:
	v_mov_b32_e32 v0, 0
	global_load_b32 v1, v0, s[2:3] offset:212
	s_wait_loadcnt 0x0
	v_cmp_eq_u32_e32 vcc_lo, 54, v1
	s_cbranch_vccnz .LBB120_362
; %bb.361:
	v_lshlrev_b32_e32 v1, 3, v1
	s_delay_alu instid0(VALU_DEP_1)
	v_mov_b32_e32 v5, v1
	scratch_load_b64 v[1:2], v5, off offset:-8
	scratch_load_b64 v[3:4], off, off offset:424
	s_wait_loadcnt 0x1
	scratch_store_b64 off, v[1:2], off offset:424
	s_wait_loadcnt 0x0
	scratch_store_b64 v5, v[3:4], off offset:-8
.LBB120_362:
	global_load_b32 v0, v0, s[2:3] offset:208
	s_wait_loadcnt 0x0
	v_cmp_eq_u32_e32 vcc_lo, 53, v0
	s_cbranch_vccnz .LBB120_364
; %bb.363:
	v_lshlrev_b32_e32 v0, 3, v0
	s_delay_alu instid0(VALU_DEP_1)
	v_mov_b32_e32 v4, v0
	scratch_load_b64 v[0:1], v4, off offset:-8
	scratch_load_b64 v[2:3], off, off offset:416
	s_wait_loadcnt 0x1
	scratch_store_b64 off, v[0:1], off offset:416
	s_wait_loadcnt 0x0
	scratch_store_b64 v4, v[2:3], off offset:-8
.LBB120_364:
	v_mov_b32_e32 v0, 0
	global_load_b32 v1, v0, s[2:3] offset:204
	s_wait_loadcnt 0x0
	v_cmp_eq_u32_e32 vcc_lo, 52, v1
	s_cbranch_vccnz .LBB120_366
; %bb.365:
	v_lshlrev_b32_e32 v1, 3, v1
	s_delay_alu instid0(VALU_DEP_1)
	v_mov_b32_e32 v5, v1
	scratch_load_b64 v[1:2], v5, off offset:-8
	scratch_load_b64 v[3:4], off, off offset:408
	s_wait_loadcnt 0x1
	scratch_store_b64 off, v[1:2], off offset:408
	s_wait_loadcnt 0x0
	scratch_store_b64 v5, v[3:4], off offset:-8
.LBB120_366:
	global_load_b32 v0, v0, s[2:3] offset:200
	s_wait_loadcnt 0x0
	v_cmp_eq_u32_e32 vcc_lo, 51, v0
	s_cbranch_vccnz .LBB120_368
; %bb.367:
	v_lshlrev_b32_e32 v0, 3, v0
	s_delay_alu instid0(VALU_DEP_1)
	v_mov_b32_e32 v4, v0
	scratch_load_b64 v[0:1], v4, off offset:-8
	scratch_load_b64 v[2:3], off, off offset:400
	s_wait_loadcnt 0x1
	scratch_store_b64 off, v[0:1], off offset:400
	s_wait_loadcnt 0x0
	scratch_store_b64 v4, v[2:3], off offset:-8
.LBB120_368:
	v_mov_b32_e32 v0, 0
	global_load_b32 v1, v0, s[2:3] offset:196
	s_wait_loadcnt 0x0
	v_cmp_eq_u32_e32 vcc_lo, 50, v1
	s_cbranch_vccnz .LBB120_370
; %bb.369:
	v_lshlrev_b32_e32 v1, 3, v1
	s_delay_alu instid0(VALU_DEP_1)
	v_mov_b32_e32 v5, v1
	scratch_load_b64 v[1:2], v5, off offset:-8
	scratch_load_b64 v[3:4], off, off offset:392
	s_wait_loadcnt 0x1
	scratch_store_b64 off, v[1:2], off offset:392
	s_wait_loadcnt 0x0
	scratch_store_b64 v5, v[3:4], off offset:-8
.LBB120_370:
	global_load_b32 v0, v0, s[2:3] offset:192
	s_wait_loadcnt 0x0
	v_cmp_eq_u32_e32 vcc_lo, 49, v0
	s_cbranch_vccnz .LBB120_372
; %bb.371:
	v_lshlrev_b32_e32 v0, 3, v0
	s_delay_alu instid0(VALU_DEP_1)
	v_mov_b32_e32 v4, v0
	scratch_load_b64 v[0:1], v4, off offset:-8
	scratch_load_b64 v[2:3], off, off offset:384
	s_wait_loadcnt 0x1
	scratch_store_b64 off, v[0:1], off offset:384
	s_wait_loadcnt 0x0
	scratch_store_b64 v4, v[2:3], off offset:-8
.LBB120_372:
	v_mov_b32_e32 v0, 0
	global_load_b32 v1, v0, s[2:3] offset:188
	s_wait_loadcnt 0x0
	v_cmp_eq_u32_e32 vcc_lo, 48, v1
	s_cbranch_vccnz .LBB120_374
; %bb.373:
	v_lshlrev_b32_e32 v1, 3, v1
	s_delay_alu instid0(VALU_DEP_1)
	v_mov_b32_e32 v5, v1
	scratch_load_b64 v[1:2], v5, off offset:-8
	scratch_load_b64 v[3:4], off, off offset:376
	s_wait_loadcnt 0x1
	scratch_store_b64 off, v[1:2], off offset:376
	s_wait_loadcnt 0x0
	scratch_store_b64 v5, v[3:4], off offset:-8
.LBB120_374:
	global_load_b32 v0, v0, s[2:3] offset:184
	s_wait_loadcnt 0x0
	v_cmp_eq_u32_e32 vcc_lo, 47, v0
	s_cbranch_vccnz .LBB120_376
; %bb.375:
	v_lshlrev_b32_e32 v0, 3, v0
	s_delay_alu instid0(VALU_DEP_1)
	v_mov_b32_e32 v4, v0
	scratch_load_b64 v[0:1], v4, off offset:-8
	scratch_load_b64 v[2:3], off, off offset:368
	s_wait_loadcnt 0x1
	scratch_store_b64 off, v[0:1], off offset:368
	s_wait_loadcnt 0x0
	scratch_store_b64 v4, v[2:3], off offset:-8
.LBB120_376:
	v_mov_b32_e32 v0, 0
	global_load_b32 v1, v0, s[2:3] offset:180
	s_wait_loadcnt 0x0
	v_cmp_eq_u32_e32 vcc_lo, 46, v1
	s_cbranch_vccnz .LBB120_378
; %bb.377:
	v_lshlrev_b32_e32 v1, 3, v1
	s_delay_alu instid0(VALU_DEP_1)
	v_mov_b32_e32 v5, v1
	scratch_load_b64 v[1:2], v5, off offset:-8
	scratch_load_b64 v[3:4], off, off offset:360
	s_wait_loadcnt 0x1
	scratch_store_b64 off, v[1:2], off offset:360
	s_wait_loadcnt 0x0
	scratch_store_b64 v5, v[3:4], off offset:-8
.LBB120_378:
	global_load_b32 v0, v0, s[2:3] offset:176
	s_wait_loadcnt 0x0
	v_cmp_eq_u32_e32 vcc_lo, 45, v0
	s_cbranch_vccnz .LBB120_380
; %bb.379:
	v_lshlrev_b32_e32 v0, 3, v0
	s_delay_alu instid0(VALU_DEP_1)
	v_mov_b32_e32 v4, v0
	scratch_load_b64 v[0:1], v4, off offset:-8
	scratch_load_b64 v[2:3], off, off offset:352
	s_wait_loadcnt 0x1
	scratch_store_b64 off, v[0:1], off offset:352
	s_wait_loadcnt 0x0
	scratch_store_b64 v4, v[2:3], off offset:-8
.LBB120_380:
	v_mov_b32_e32 v0, 0
	global_load_b32 v1, v0, s[2:3] offset:172
	s_wait_loadcnt 0x0
	v_cmp_eq_u32_e32 vcc_lo, 44, v1
	s_cbranch_vccnz .LBB120_382
; %bb.381:
	v_lshlrev_b32_e32 v1, 3, v1
	s_delay_alu instid0(VALU_DEP_1)
	v_mov_b32_e32 v5, v1
	scratch_load_b64 v[1:2], v5, off offset:-8
	scratch_load_b64 v[3:4], off, off offset:344
	s_wait_loadcnt 0x1
	scratch_store_b64 off, v[1:2], off offset:344
	s_wait_loadcnt 0x0
	scratch_store_b64 v5, v[3:4], off offset:-8
.LBB120_382:
	global_load_b32 v0, v0, s[2:3] offset:168
	s_wait_loadcnt 0x0
	v_cmp_eq_u32_e32 vcc_lo, 43, v0
	s_cbranch_vccnz .LBB120_384
; %bb.383:
	v_lshlrev_b32_e32 v0, 3, v0
	s_delay_alu instid0(VALU_DEP_1)
	v_mov_b32_e32 v4, v0
	scratch_load_b64 v[0:1], v4, off offset:-8
	scratch_load_b64 v[2:3], off, off offset:336
	s_wait_loadcnt 0x1
	scratch_store_b64 off, v[0:1], off offset:336
	s_wait_loadcnt 0x0
	scratch_store_b64 v4, v[2:3], off offset:-8
.LBB120_384:
	v_mov_b32_e32 v0, 0
	global_load_b32 v1, v0, s[2:3] offset:164
	s_wait_loadcnt 0x0
	v_cmp_eq_u32_e32 vcc_lo, 42, v1
	s_cbranch_vccnz .LBB120_386
; %bb.385:
	v_lshlrev_b32_e32 v1, 3, v1
	s_delay_alu instid0(VALU_DEP_1)
	v_mov_b32_e32 v5, v1
	scratch_load_b64 v[1:2], v5, off offset:-8
	scratch_load_b64 v[3:4], off, off offset:328
	s_wait_loadcnt 0x1
	scratch_store_b64 off, v[1:2], off offset:328
	s_wait_loadcnt 0x0
	scratch_store_b64 v5, v[3:4], off offset:-8
.LBB120_386:
	global_load_b32 v0, v0, s[2:3] offset:160
	s_wait_loadcnt 0x0
	v_cmp_eq_u32_e32 vcc_lo, 41, v0
	s_cbranch_vccnz .LBB120_388
; %bb.387:
	v_lshlrev_b32_e32 v0, 3, v0
	s_delay_alu instid0(VALU_DEP_1)
	v_mov_b32_e32 v4, v0
	scratch_load_b64 v[0:1], v4, off offset:-8
	scratch_load_b64 v[2:3], off, off offset:320
	s_wait_loadcnt 0x1
	scratch_store_b64 off, v[0:1], off offset:320
	s_wait_loadcnt 0x0
	scratch_store_b64 v4, v[2:3], off offset:-8
.LBB120_388:
	v_mov_b32_e32 v0, 0
	global_load_b32 v1, v0, s[2:3] offset:156
	s_wait_loadcnt 0x0
	v_cmp_eq_u32_e32 vcc_lo, 40, v1
	s_cbranch_vccnz .LBB120_390
; %bb.389:
	v_lshlrev_b32_e32 v1, 3, v1
	s_delay_alu instid0(VALU_DEP_1)
	v_mov_b32_e32 v5, v1
	scratch_load_b64 v[1:2], v5, off offset:-8
	scratch_load_b64 v[3:4], off, off offset:312
	s_wait_loadcnt 0x1
	scratch_store_b64 off, v[1:2], off offset:312
	s_wait_loadcnt 0x0
	scratch_store_b64 v5, v[3:4], off offset:-8
.LBB120_390:
	global_load_b32 v0, v0, s[2:3] offset:152
	s_wait_loadcnt 0x0
	v_cmp_eq_u32_e32 vcc_lo, 39, v0
	s_cbranch_vccnz .LBB120_392
; %bb.391:
	v_lshlrev_b32_e32 v0, 3, v0
	s_delay_alu instid0(VALU_DEP_1)
	v_mov_b32_e32 v4, v0
	scratch_load_b64 v[0:1], v4, off offset:-8
	scratch_load_b64 v[2:3], off, off offset:304
	s_wait_loadcnt 0x1
	scratch_store_b64 off, v[0:1], off offset:304
	s_wait_loadcnt 0x0
	scratch_store_b64 v4, v[2:3], off offset:-8
.LBB120_392:
	v_mov_b32_e32 v0, 0
	global_load_b32 v1, v0, s[2:3] offset:148
	s_wait_loadcnt 0x0
	v_cmp_eq_u32_e32 vcc_lo, 38, v1
	s_cbranch_vccnz .LBB120_394
; %bb.393:
	v_lshlrev_b32_e32 v1, 3, v1
	s_delay_alu instid0(VALU_DEP_1)
	v_mov_b32_e32 v5, v1
	scratch_load_b64 v[1:2], v5, off offset:-8
	scratch_load_b64 v[3:4], off, off offset:296
	s_wait_loadcnt 0x1
	scratch_store_b64 off, v[1:2], off offset:296
	s_wait_loadcnt 0x0
	scratch_store_b64 v5, v[3:4], off offset:-8
.LBB120_394:
	global_load_b32 v0, v0, s[2:3] offset:144
	s_wait_loadcnt 0x0
	v_cmp_eq_u32_e32 vcc_lo, 37, v0
	s_cbranch_vccnz .LBB120_396
; %bb.395:
	v_lshlrev_b32_e32 v0, 3, v0
	s_delay_alu instid0(VALU_DEP_1)
	v_mov_b32_e32 v4, v0
	scratch_load_b64 v[0:1], v4, off offset:-8
	scratch_load_b64 v[2:3], off, off offset:288
	s_wait_loadcnt 0x1
	scratch_store_b64 off, v[0:1], off offset:288
	s_wait_loadcnt 0x0
	scratch_store_b64 v4, v[2:3], off offset:-8
.LBB120_396:
	v_mov_b32_e32 v0, 0
	global_load_b32 v1, v0, s[2:3] offset:140
	s_wait_loadcnt 0x0
	v_cmp_eq_u32_e32 vcc_lo, 36, v1
	s_cbranch_vccnz .LBB120_398
; %bb.397:
	v_lshlrev_b32_e32 v1, 3, v1
	s_delay_alu instid0(VALU_DEP_1)
	v_mov_b32_e32 v5, v1
	scratch_load_b64 v[1:2], v5, off offset:-8
	scratch_load_b64 v[3:4], off, off offset:280
	s_wait_loadcnt 0x1
	scratch_store_b64 off, v[1:2], off offset:280
	s_wait_loadcnt 0x0
	scratch_store_b64 v5, v[3:4], off offset:-8
.LBB120_398:
	global_load_b32 v0, v0, s[2:3] offset:136
	s_wait_loadcnt 0x0
	v_cmp_eq_u32_e32 vcc_lo, 35, v0
	s_cbranch_vccnz .LBB120_400
; %bb.399:
	v_lshlrev_b32_e32 v0, 3, v0
	s_delay_alu instid0(VALU_DEP_1)
	v_mov_b32_e32 v4, v0
	scratch_load_b64 v[0:1], v4, off offset:-8
	scratch_load_b64 v[2:3], off, off offset:272
	s_wait_loadcnt 0x1
	scratch_store_b64 off, v[0:1], off offset:272
	s_wait_loadcnt 0x0
	scratch_store_b64 v4, v[2:3], off offset:-8
.LBB120_400:
	v_mov_b32_e32 v0, 0
	global_load_b32 v1, v0, s[2:3] offset:132
	s_wait_loadcnt 0x0
	v_cmp_eq_u32_e32 vcc_lo, 34, v1
	s_cbranch_vccnz .LBB120_402
; %bb.401:
	v_lshlrev_b32_e32 v1, 3, v1
	s_delay_alu instid0(VALU_DEP_1)
	v_mov_b32_e32 v5, v1
	scratch_load_b64 v[1:2], v5, off offset:-8
	scratch_load_b64 v[3:4], off, off offset:264
	s_wait_loadcnt 0x1
	scratch_store_b64 off, v[1:2], off offset:264
	s_wait_loadcnt 0x0
	scratch_store_b64 v5, v[3:4], off offset:-8
.LBB120_402:
	global_load_b32 v0, v0, s[2:3] offset:128
	s_wait_loadcnt 0x0
	v_cmp_eq_u32_e32 vcc_lo, 33, v0
	s_cbranch_vccnz .LBB120_404
; %bb.403:
	v_lshlrev_b32_e32 v0, 3, v0
	s_delay_alu instid0(VALU_DEP_1)
	v_mov_b32_e32 v4, v0
	scratch_load_b64 v[0:1], v4, off offset:-8
	scratch_load_b64 v[2:3], off, off offset:256
	s_wait_loadcnt 0x1
	scratch_store_b64 off, v[0:1], off offset:256
	s_wait_loadcnt 0x0
	scratch_store_b64 v4, v[2:3], off offset:-8
.LBB120_404:
	v_mov_b32_e32 v0, 0
	global_load_b32 v1, v0, s[2:3] offset:124
	s_wait_loadcnt 0x0
	v_cmp_eq_u32_e32 vcc_lo, 32, v1
	s_cbranch_vccnz .LBB120_406
; %bb.405:
	v_lshlrev_b32_e32 v1, 3, v1
	s_delay_alu instid0(VALU_DEP_1)
	v_mov_b32_e32 v5, v1
	scratch_load_b64 v[1:2], v5, off offset:-8
	scratch_load_b64 v[3:4], off, off offset:248
	s_wait_loadcnt 0x1
	scratch_store_b64 off, v[1:2], off offset:248
	s_wait_loadcnt 0x0
	scratch_store_b64 v5, v[3:4], off offset:-8
.LBB120_406:
	global_load_b32 v0, v0, s[2:3] offset:120
	s_wait_loadcnt 0x0
	v_cmp_eq_u32_e32 vcc_lo, 31, v0
	s_cbranch_vccnz .LBB120_408
; %bb.407:
	v_lshlrev_b32_e32 v0, 3, v0
	s_delay_alu instid0(VALU_DEP_1)
	v_mov_b32_e32 v4, v0
	scratch_load_b64 v[0:1], v4, off offset:-8
	scratch_load_b64 v[2:3], off, off offset:240
	s_wait_loadcnt 0x1
	scratch_store_b64 off, v[0:1], off offset:240
	s_wait_loadcnt 0x0
	scratch_store_b64 v4, v[2:3], off offset:-8
.LBB120_408:
	v_mov_b32_e32 v0, 0
	global_load_b32 v1, v0, s[2:3] offset:116
	s_wait_loadcnt 0x0
	v_cmp_eq_u32_e32 vcc_lo, 30, v1
	s_cbranch_vccnz .LBB120_410
; %bb.409:
	v_lshlrev_b32_e32 v1, 3, v1
	s_delay_alu instid0(VALU_DEP_1)
	v_mov_b32_e32 v5, v1
	scratch_load_b64 v[1:2], v5, off offset:-8
	scratch_load_b64 v[3:4], off, off offset:232
	s_wait_loadcnt 0x1
	scratch_store_b64 off, v[1:2], off offset:232
	s_wait_loadcnt 0x0
	scratch_store_b64 v5, v[3:4], off offset:-8
.LBB120_410:
	global_load_b32 v0, v0, s[2:3] offset:112
	s_wait_loadcnt 0x0
	v_cmp_eq_u32_e32 vcc_lo, 29, v0
	s_cbranch_vccnz .LBB120_412
; %bb.411:
	v_lshlrev_b32_e32 v0, 3, v0
	s_delay_alu instid0(VALU_DEP_1)
	v_mov_b32_e32 v4, v0
	scratch_load_b64 v[0:1], v4, off offset:-8
	scratch_load_b64 v[2:3], off, off offset:224
	s_wait_loadcnt 0x1
	scratch_store_b64 off, v[0:1], off offset:224
	s_wait_loadcnt 0x0
	scratch_store_b64 v4, v[2:3], off offset:-8
.LBB120_412:
	v_mov_b32_e32 v0, 0
	global_load_b32 v1, v0, s[2:3] offset:108
	s_wait_loadcnt 0x0
	v_cmp_eq_u32_e32 vcc_lo, 28, v1
	s_cbranch_vccnz .LBB120_414
; %bb.413:
	v_lshlrev_b32_e32 v1, 3, v1
	s_delay_alu instid0(VALU_DEP_1)
	v_mov_b32_e32 v5, v1
	scratch_load_b64 v[1:2], v5, off offset:-8
	scratch_load_b64 v[3:4], off, off offset:216
	s_wait_loadcnt 0x1
	scratch_store_b64 off, v[1:2], off offset:216
	s_wait_loadcnt 0x0
	scratch_store_b64 v5, v[3:4], off offset:-8
.LBB120_414:
	global_load_b32 v0, v0, s[2:3] offset:104
	s_wait_loadcnt 0x0
	v_cmp_eq_u32_e32 vcc_lo, 27, v0
	s_cbranch_vccnz .LBB120_416
; %bb.415:
	v_lshlrev_b32_e32 v0, 3, v0
	s_delay_alu instid0(VALU_DEP_1)
	v_mov_b32_e32 v4, v0
	scratch_load_b64 v[0:1], v4, off offset:-8
	scratch_load_b64 v[2:3], off, off offset:208
	s_wait_loadcnt 0x1
	scratch_store_b64 off, v[0:1], off offset:208
	s_wait_loadcnt 0x0
	scratch_store_b64 v4, v[2:3], off offset:-8
.LBB120_416:
	v_mov_b32_e32 v0, 0
	global_load_b32 v1, v0, s[2:3] offset:100
	s_wait_loadcnt 0x0
	v_cmp_eq_u32_e32 vcc_lo, 26, v1
	s_cbranch_vccnz .LBB120_418
; %bb.417:
	v_lshlrev_b32_e32 v1, 3, v1
	s_delay_alu instid0(VALU_DEP_1)
	v_mov_b32_e32 v5, v1
	scratch_load_b64 v[1:2], v5, off offset:-8
	scratch_load_b64 v[3:4], off, off offset:200
	s_wait_loadcnt 0x1
	scratch_store_b64 off, v[1:2], off offset:200
	s_wait_loadcnt 0x0
	scratch_store_b64 v5, v[3:4], off offset:-8
.LBB120_418:
	global_load_b32 v0, v0, s[2:3] offset:96
	s_wait_loadcnt 0x0
	v_cmp_eq_u32_e32 vcc_lo, 25, v0
	s_cbranch_vccnz .LBB120_420
; %bb.419:
	v_lshlrev_b32_e32 v0, 3, v0
	s_delay_alu instid0(VALU_DEP_1)
	v_mov_b32_e32 v4, v0
	scratch_load_b64 v[0:1], v4, off offset:-8
	scratch_load_b64 v[2:3], off, off offset:192
	s_wait_loadcnt 0x1
	scratch_store_b64 off, v[0:1], off offset:192
	s_wait_loadcnt 0x0
	scratch_store_b64 v4, v[2:3], off offset:-8
.LBB120_420:
	v_mov_b32_e32 v0, 0
	global_load_b32 v1, v0, s[2:3] offset:92
	s_wait_loadcnt 0x0
	v_cmp_eq_u32_e32 vcc_lo, 24, v1
	s_cbranch_vccnz .LBB120_422
; %bb.421:
	v_lshlrev_b32_e32 v1, 3, v1
	s_delay_alu instid0(VALU_DEP_1)
	v_mov_b32_e32 v5, v1
	scratch_load_b64 v[1:2], v5, off offset:-8
	scratch_load_b64 v[3:4], off, off offset:184
	s_wait_loadcnt 0x1
	scratch_store_b64 off, v[1:2], off offset:184
	s_wait_loadcnt 0x0
	scratch_store_b64 v5, v[3:4], off offset:-8
.LBB120_422:
	global_load_b32 v0, v0, s[2:3] offset:88
	s_wait_loadcnt 0x0
	v_cmp_eq_u32_e32 vcc_lo, 23, v0
	s_cbranch_vccnz .LBB120_424
; %bb.423:
	v_lshlrev_b32_e32 v0, 3, v0
	s_delay_alu instid0(VALU_DEP_1)
	v_mov_b32_e32 v4, v0
	scratch_load_b64 v[0:1], v4, off offset:-8
	scratch_load_b64 v[2:3], off, off offset:176
	s_wait_loadcnt 0x1
	scratch_store_b64 off, v[0:1], off offset:176
	s_wait_loadcnt 0x0
	scratch_store_b64 v4, v[2:3], off offset:-8
.LBB120_424:
	v_mov_b32_e32 v0, 0
	global_load_b32 v1, v0, s[2:3] offset:84
	s_wait_loadcnt 0x0
	v_cmp_eq_u32_e32 vcc_lo, 22, v1
	s_cbranch_vccnz .LBB120_426
; %bb.425:
	v_lshlrev_b32_e32 v1, 3, v1
	s_delay_alu instid0(VALU_DEP_1)
	v_mov_b32_e32 v5, v1
	scratch_load_b64 v[1:2], v5, off offset:-8
	scratch_load_b64 v[3:4], off, off offset:168
	s_wait_loadcnt 0x1
	scratch_store_b64 off, v[1:2], off offset:168
	s_wait_loadcnt 0x0
	scratch_store_b64 v5, v[3:4], off offset:-8
.LBB120_426:
	global_load_b32 v0, v0, s[2:3] offset:80
	s_wait_loadcnt 0x0
	v_cmp_eq_u32_e32 vcc_lo, 21, v0
	s_cbranch_vccnz .LBB120_428
; %bb.427:
	v_lshlrev_b32_e32 v0, 3, v0
	s_delay_alu instid0(VALU_DEP_1)
	v_mov_b32_e32 v4, v0
	scratch_load_b64 v[0:1], v4, off offset:-8
	scratch_load_b64 v[2:3], off, off offset:160
	s_wait_loadcnt 0x1
	scratch_store_b64 off, v[0:1], off offset:160
	s_wait_loadcnt 0x0
	scratch_store_b64 v4, v[2:3], off offset:-8
.LBB120_428:
	v_mov_b32_e32 v0, 0
	global_load_b32 v1, v0, s[2:3] offset:76
	s_wait_loadcnt 0x0
	v_cmp_eq_u32_e32 vcc_lo, 20, v1
	s_cbranch_vccnz .LBB120_430
; %bb.429:
	v_lshlrev_b32_e32 v1, 3, v1
	s_delay_alu instid0(VALU_DEP_1)
	v_mov_b32_e32 v5, v1
	scratch_load_b64 v[1:2], v5, off offset:-8
	scratch_load_b64 v[3:4], off, off offset:152
	s_wait_loadcnt 0x1
	scratch_store_b64 off, v[1:2], off offset:152
	s_wait_loadcnt 0x0
	scratch_store_b64 v5, v[3:4], off offset:-8
.LBB120_430:
	global_load_b32 v0, v0, s[2:3] offset:72
	s_wait_loadcnt 0x0
	v_cmp_eq_u32_e32 vcc_lo, 19, v0
	s_cbranch_vccnz .LBB120_432
; %bb.431:
	v_lshlrev_b32_e32 v0, 3, v0
	s_delay_alu instid0(VALU_DEP_1)
	v_mov_b32_e32 v4, v0
	scratch_load_b64 v[0:1], v4, off offset:-8
	scratch_load_b64 v[2:3], off, off offset:144
	s_wait_loadcnt 0x1
	scratch_store_b64 off, v[0:1], off offset:144
	s_wait_loadcnt 0x0
	scratch_store_b64 v4, v[2:3], off offset:-8
.LBB120_432:
	v_mov_b32_e32 v0, 0
	global_load_b32 v1, v0, s[2:3] offset:68
	s_wait_loadcnt 0x0
	v_cmp_eq_u32_e32 vcc_lo, 18, v1
	s_cbranch_vccnz .LBB120_434
; %bb.433:
	v_lshlrev_b32_e32 v1, 3, v1
	s_delay_alu instid0(VALU_DEP_1)
	v_mov_b32_e32 v5, v1
	scratch_load_b64 v[1:2], v5, off offset:-8
	scratch_load_b64 v[3:4], off, off offset:136
	s_wait_loadcnt 0x1
	scratch_store_b64 off, v[1:2], off offset:136
	s_wait_loadcnt 0x0
	scratch_store_b64 v5, v[3:4], off offset:-8
.LBB120_434:
	global_load_b32 v0, v0, s[2:3] offset:64
	s_wait_loadcnt 0x0
	v_cmp_eq_u32_e32 vcc_lo, 17, v0
	s_cbranch_vccnz .LBB120_436
; %bb.435:
	v_lshlrev_b32_e32 v0, 3, v0
	s_delay_alu instid0(VALU_DEP_1)
	v_mov_b32_e32 v4, v0
	scratch_load_b64 v[0:1], v4, off offset:-8
	scratch_load_b64 v[2:3], off, off offset:128
	s_wait_loadcnt 0x1
	scratch_store_b64 off, v[0:1], off offset:128
	s_wait_loadcnt 0x0
	scratch_store_b64 v4, v[2:3], off offset:-8
.LBB120_436:
	v_mov_b32_e32 v0, 0
	global_load_b32 v1, v0, s[2:3] offset:60
	s_wait_loadcnt 0x0
	v_cmp_eq_u32_e32 vcc_lo, 16, v1
	s_cbranch_vccnz .LBB120_438
; %bb.437:
	v_lshlrev_b32_e32 v1, 3, v1
	s_delay_alu instid0(VALU_DEP_1)
	v_mov_b32_e32 v5, v1
	scratch_load_b64 v[1:2], v5, off offset:-8
	scratch_load_b64 v[3:4], off, off offset:120
	s_wait_loadcnt 0x1
	scratch_store_b64 off, v[1:2], off offset:120
	s_wait_loadcnt 0x0
	scratch_store_b64 v5, v[3:4], off offset:-8
.LBB120_438:
	global_load_b32 v0, v0, s[2:3] offset:56
	s_wait_loadcnt 0x0
	v_cmp_eq_u32_e32 vcc_lo, 15, v0
	s_cbranch_vccnz .LBB120_440
; %bb.439:
	v_lshlrev_b32_e32 v0, 3, v0
	s_delay_alu instid0(VALU_DEP_1)
	v_mov_b32_e32 v4, v0
	scratch_load_b64 v[0:1], v4, off offset:-8
	scratch_load_b64 v[2:3], off, off offset:112
	s_wait_loadcnt 0x1
	scratch_store_b64 off, v[0:1], off offset:112
	s_wait_loadcnt 0x0
	scratch_store_b64 v4, v[2:3], off offset:-8
.LBB120_440:
	v_mov_b32_e32 v0, 0
	global_load_b32 v1, v0, s[2:3] offset:52
	s_wait_loadcnt 0x0
	v_cmp_eq_u32_e32 vcc_lo, 14, v1
	s_cbranch_vccnz .LBB120_442
; %bb.441:
	v_lshlrev_b32_e32 v1, 3, v1
	s_delay_alu instid0(VALU_DEP_1)
	v_mov_b32_e32 v5, v1
	scratch_load_b64 v[1:2], v5, off offset:-8
	scratch_load_b64 v[3:4], off, off offset:104
	s_wait_loadcnt 0x1
	scratch_store_b64 off, v[1:2], off offset:104
	s_wait_loadcnt 0x0
	scratch_store_b64 v5, v[3:4], off offset:-8
.LBB120_442:
	global_load_b32 v0, v0, s[2:3] offset:48
	s_wait_loadcnt 0x0
	v_cmp_eq_u32_e32 vcc_lo, 13, v0
	s_cbranch_vccnz .LBB120_444
; %bb.443:
	v_lshlrev_b32_e32 v0, 3, v0
	s_delay_alu instid0(VALU_DEP_1)
	v_mov_b32_e32 v4, v0
	scratch_load_b64 v[0:1], v4, off offset:-8
	scratch_load_b64 v[2:3], off, off offset:96
	s_wait_loadcnt 0x1
	scratch_store_b64 off, v[0:1], off offset:96
	s_wait_loadcnt 0x0
	scratch_store_b64 v4, v[2:3], off offset:-8
.LBB120_444:
	v_mov_b32_e32 v0, 0
	global_load_b32 v1, v0, s[2:3] offset:44
	s_wait_loadcnt 0x0
	v_cmp_eq_u32_e32 vcc_lo, 12, v1
	s_cbranch_vccnz .LBB120_446
; %bb.445:
	v_lshlrev_b32_e32 v1, 3, v1
	s_delay_alu instid0(VALU_DEP_1)
	v_mov_b32_e32 v5, v1
	scratch_load_b64 v[1:2], v5, off offset:-8
	scratch_load_b64 v[3:4], off, off offset:88
	s_wait_loadcnt 0x1
	scratch_store_b64 off, v[1:2], off offset:88
	s_wait_loadcnt 0x0
	scratch_store_b64 v5, v[3:4], off offset:-8
.LBB120_446:
	global_load_b32 v0, v0, s[2:3] offset:40
	s_wait_loadcnt 0x0
	v_cmp_eq_u32_e32 vcc_lo, 11, v0
	s_cbranch_vccnz .LBB120_448
; %bb.447:
	v_lshlrev_b32_e32 v0, 3, v0
	s_delay_alu instid0(VALU_DEP_1)
	v_mov_b32_e32 v4, v0
	scratch_load_b64 v[0:1], v4, off offset:-8
	scratch_load_b64 v[2:3], off, off offset:80
	s_wait_loadcnt 0x1
	scratch_store_b64 off, v[0:1], off offset:80
	s_wait_loadcnt 0x0
	scratch_store_b64 v4, v[2:3], off offset:-8
.LBB120_448:
	v_mov_b32_e32 v0, 0
	global_load_b32 v1, v0, s[2:3] offset:36
	s_wait_loadcnt 0x0
	v_cmp_eq_u32_e32 vcc_lo, 10, v1
	s_cbranch_vccnz .LBB120_450
; %bb.449:
	v_lshlrev_b32_e32 v1, 3, v1
	s_delay_alu instid0(VALU_DEP_1)
	v_mov_b32_e32 v5, v1
	scratch_load_b64 v[1:2], v5, off offset:-8
	scratch_load_b64 v[3:4], off, off offset:72
	s_wait_loadcnt 0x1
	scratch_store_b64 off, v[1:2], off offset:72
	s_wait_loadcnt 0x0
	scratch_store_b64 v5, v[3:4], off offset:-8
.LBB120_450:
	global_load_b32 v0, v0, s[2:3] offset:32
	s_wait_loadcnt 0x0
	v_cmp_eq_u32_e32 vcc_lo, 9, v0
	s_cbranch_vccnz .LBB120_452
; %bb.451:
	v_lshlrev_b32_e32 v0, 3, v0
	s_delay_alu instid0(VALU_DEP_1)
	v_mov_b32_e32 v4, v0
	scratch_load_b64 v[0:1], v4, off offset:-8
	scratch_load_b64 v[2:3], off, off offset:64
	s_wait_loadcnt 0x1
	scratch_store_b64 off, v[0:1], off offset:64
	s_wait_loadcnt 0x0
	scratch_store_b64 v4, v[2:3], off offset:-8
.LBB120_452:
	v_mov_b32_e32 v0, 0
	global_load_b32 v1, v0, s[2:3] offset:28
	s_wait_loadcnt 0x0
	v_cmp_eq_u32_e32 vcc_lo, 8, v1
	s_cbranch_vccnz .LBB120_454
; %bb.453:
	v_lshlrev_b32_e32 v1, 3, v1
	s_delay_alu instid0(VALU_DEP_1)
	v_mov_b32_e32 v5, v1
	scratch_load_b64 v[1:2], v5, off offset:-8
	scratch_load_b64 v[3:4], off, off offset:56
	s_wait_loadcnt 0x1
	scratch_store_b64 off, v[1:2], off offset:56
	s_wait_loadcnt 0x0
	scratch_store_b64 v5, v[3:4], off offset:-8
.LBB120_454:
	global_load_b32 v0, v0, s[2:3] offset:24
	s_wait_loadcnt 0x0
	v_cmp_eq_u32_e32 vcc_lo, 7, v0
	s_cbranch_vccnz .LBB120_456
; %bb.455:
	v_lshlrev_b32_e32 v0, 3, v0
	s_delay_alu instid0(VALU_DEP_1)
	v_mov_b32_e32 v4, v0
	scratch_load_b64 v[0:1], v4, off offset:-8
	scratch_load_b64 v[2:3], off, off offset:48
	s_wait_loadcnt 0x1
	scratch_store_b64 off, v[0:1], off offset:48
	s_wait_loadcnt 0x0
	scratch_store_b64 v4, v[2:3], off offset:-8
.LBB120_456:
	v_mov_b32_e32 v0, 0
	global_load_b32 v1, v0, s[2:3] offset:20
	s_wait_loadcnt 0x0
	v_cmp_eq_u32_e32 vcc_lo, 6, v1
	s_cbranch_vccnz .LBB120_458
; %bb.457:
	v_lshlrev_b32_e32 v1, 3, v1
	s_delay_alu instid0(VALU_DEP_1)
	v_mov_b32_e32 v5, v1
	scratch_load_b64 v[1:2], v5, off offset:-8
	scratch_load_b64 v[3:4], off, off offset:40
	s_wait_loadcnt 0x1
	scratch_store_b64 off, v[1:2], off offset:40
	s_wait_loadcnt 0x0
	scratch_store_b64 v5, v[3:4], off offset:-8
.LBB120_458:
	global_load_b32 v0, v0, s[2:3] offset:16
	s_wait_loadcnt 0x0
	v_cmp_eq_u32_e32 vcc_lo, 5, v0
	s_cbranch_vccnz .LBB120_460
; %bb.459:
	v_lshlrev_b32_e32 v0, 3, v0
	s_delay_alu instid0(VALU_DEP_1)
	v_mov_b32_e32 v4, v0
	scratch_load_b64 v[0:1], v4, off offset:-8
	scratch_load_b64 v[2:3], off, off offset:32
	s_wait_loadcnt 0x1
	scratch_store_b64 off, v[0:1], off offset:32
	s_wait_loadcnt 0x0
	scratch_store_b64 v4, v[2:3], off offset:-8
.LBB120_460:
	v_mov_b32_e32 v0, 0
	global_load_b32 v1, v0, s[2:3] offset:12
	s_wait_loadcnt 0x0
	v_cmp_eq_u32_e32 vcc_lo, 4, v1
	s_cbranch_vccnz .LBB120_462
; %bb.461:
	v_lshlrev_b32_e32 v1, 3, v1
	s_delay_alu instid0(VALU_DEP_1)
	v_mov_b32_e32 v5, v1
	scratch_load_b64 v[1:2], v5, off offset:-8
	scratch_load_b64 v[3:4], off, off offset:24
	s_wait_loadcnt 0x1
	scratch_store_b64 off, v[1:2], off offset:24
	s_wait_loadcnt 0x0
	scratch_store_b64 v5, v[3:4], off offset:-8
.LBB120_462:
	global_load_b32 v0, v0, s[2:3] offset:8
	s_wait_loadcnt 0x0
	v_cmp_eq_u32_e32 vcc_lo, 3, v0
	s_cbranch_vccnz .LBB120_464
; %bb.463:
	v_lshlrev_b32_e32 v0, 3, v0
	s_delay_alu instid0(VALU_DEP_1)
	v_mov_b32_e32 v4, v0
	scratch_load_b64 v[0:1], v4, off offset:-8
	scratch_load_b64 v[2:3], off, off offset:16
	s_wait_loadcnt 0x1
	scratch_store_b64 off, v[0:1], off offset:16
	s_wait_loadcnt 0x0
	scratch_store_b64 v4, v[2:3], off offset:-8
.LBB120_464:
	v_mov_b32_e32 v0, 0
	global_load_b32 v1, v0, s[2:3] offset:4
	s_wait_loadcnt 0x0
	v_cmp_eq_u32_e32 vcc_lo, 2, v1
	s_cbranch_vccnz .LBB120_466
; %bb.465:
	v_lshlrev_b32_e32 v1, 3, v1
	s_delay_alu instid0(VALU_DEP_1)
	v_mov_b32_e32 v5, v1
	scratch_load_b64 v[1:2], v5, off offset:-8
	scratch_load_b64 v[3:4], off, off offset:8
	s_wait_loadcnt 0x1
	scratch_store_b64 off, v[1:2], off offset:8
	s_wait_loadcnt 0x0
	scratch_store_b64 v5, v[3:4], off offset:-8
.LBB120_466:
	global_load_b32 v0, v0, s[2:3]
	s_wait_loadcnt 0x0
	v_cmp_eq_u32_e32 vcc_lo, 1, v0
	s_cbranch_vccnz .LBB120_468
; %bb.467:
	v_lshlrev_b32_e32 v0, 3, v0
	s_delay_alu instid0(VALU_DEP_1)
	v_mov_b32_e32 v4, v0
	scratch_load_b64 v[0:1], v4, off offset:-8
	scratch_load_b64 v[2:3], off, off
	s_wait_loadcnt 0x1
	scratch_store_b64 off, v[0:1], off
	s_wait_loadcnt 0x0
	scratch_store_b64 v4, v[2:3], off offset:-8
.LBB120_468:
	scratch_load_b64 v[0:1], off, off
	s_wait_loadcnt 0x0
	flat_store_b64 v[25:26], v[0:1]
	scratch_load_b64 v[0:1], off, off offset:8
	s_wait_loadcnt 0x0
	flat_store_b64 v[27:28], v[0:1]
	scratch_load_b64 v[0:1], off, off offset:16
	;; [unrolled: 3-line block ×56, first 2 shown]
	s_wait_loadcnt 0x0
	flat_store_b64 v[137:138], v[0:1]
	s_nop 0
	s_sendmsg sendmsg(MSG_DEALLOC_VGPRS)
	s_endpgm
	.section	.rodata,"a",@progbits
	.p2align	6, 0x0
	.amdhsa_kernel _ZN9rocsolver6v33100L18getri_kernel_smallILi57E19rocblas_complex_numIfEPKPS3_EEvT1_iilPiilS8_bb
		.amdhsa_group_segment_fixed_size 920
		.amdhsa_private_segment_fixed_size 464
		.amdhsa_kernarg_size 60
		.amdhsa_user_sgpr_count 2
		.amdhsa_user_sgpr_dispatch_ptr 0
		.amdhsa_user_sgpr_queue_ptr 0
		.amdhsa_user_sgpr_kernarg_segment_ptr 1
		.amdhsa_user_sgpr_dispatch_id 0
		.amdhsa_user_sgpr_private_segment_size 0
		.amdhsa_wavefront_size32 1
		.amdhsa_uses_dynamic_stack 0
		.amdhsa_enable_private_segment 1
		.amdhsa_system_sgpr_workgroup_id_x 1
		.amdhsa_system_sgpr_workgroup_id_y 0
		.amdhsa_system_sgpr_workgroup_id_z 0
		.amdhsa_system_sgpr_workgroup_info 0
		.amdhsa_system_vgpr_workitem_id 0
		.amdhsa_next_free_vgpr 254
		.amdhsa_next_free_sgpr 19
		.amdhsa_reserve_vcc 1
		.amdhsa_float_round_mode_32 0
		.amdhsa_float_round_mode_16_64 0
		.amdhsa_float_denorm_mode_32 3
		.amdhsa_float_denorm_mode_16_64 3
		.amdhsa_fp16_overflow 0
		.amdhsa_workgroup_processor_mode 1
		.amdhsa_memory_ordered 1
		.amdhsa_forward_progress 1
		.amdhsa_inst_pref_size 255
		.amdhsa_round_robin_scheduling 0
		.amdhsa_exception_fp_ieee_invalid_op 0
		.amdhsa_exception_fp_denorm_src 0
		.amdhsa_exception_fp_ieee_div_zero 0
		.amdhsa_exception_fp_ieee_overflow 0
		.amdhsa_exception_fp_ieee_underflow 0
		.amdhsa_exception_fp_ieee_inexact 0
		.amdhsa_exception_int_div_zero 0
	.end_amdhsa_kernel
	.section	.text._ZN9rocsolver6v33100L18getri_kernel_smallILi57E19rocblas_complex_numIfEPKPS3_EEvT1_iilPiilS8_bb,"axG",@progbits,_ZN9rocsolver6v33100L18getri_kernel_smallILi57E19rocblas_complex_numIfEPKPS3_EEvT1_iilPiilS8_bb,comdat
.Lfunc_end120:
	.size	_ZN9rocsolver6v33100L18getri_kernel_smallILi57E19rocblas_complex_numIfEPKPS3_EEvT1_iilPiilS8_bb, .Lfunc_end120-_ZN9rocsolver6v33100L18getri_kernel_smallILi57E19rocblas_complex_numIfEPKPS3_EEvT1_iilPiilS8_bb
                                        ; -- End function
	.set _ZN9rocsolver6v33100L18getri_kernel_smallILi57E19rocblas_complex_numIfEPKPS3_EEvT1_iilPiilS8_bb.num_vgpr, 254
	.set _ZN9rocsolver6v33100L18getri_kernel_smallILi57E19rocblas_complex_numIfEPKPS3_EEvT1_iilPiilS8_bb.num_agpr, 0
	.set _ZN9rocsolver6v33100L18getri_kernel_smallILi57E19rocblas_complex_numIfEPKPS3_EEvT1_iilPiilS8_bb.numbered_sgpr, 19
	.set _ZN9rocsolver6v33100L18getri_kernel_smallILi57E19rocblas_complex_numIfEPKPS3_EEvT1_iilPiilS8_bb.num_named_barrier, 0
	.set _ZN9rocsolver6v33100L18getri_kernel_smallILi57E19rocblas_complex_numIfEPKPS3_EEvT1_iilPiilS8_bb.private_seg_size, 464
	.set _ZN9rocsolver6v33100L18getri_kernel_smallILi57E19rocblas_complex_numIfEPKPS3_EEvT1_iilPiilS8_bb.uses_vcc, 1
	.set _ZN9rocsolver6v33100L18getri_kernel_smallILi57E19rocblas_complex_numIfEPKPS3_EEvT1_iilPiilS8_bb.uses_flat_scratch, 1
	.set _ZN9rocsolver6v33100L18getri_kernel_smallILi57E19rocblas_complex_numIfEPKPS3_EEvT1_iilPiilS8_bb.has_dyn_sized_stack, 0
	.set _ZN9rocsolver6v33100L18getri_kernel_smallILi57E19rocblas_complex_numIfEPKPS3_EEvT1_iilPiilS8_bb.has_recursion, 0
	.set _ZN9rocsolver6v33100L18getri_kernel_smallILi57E19rocblas_complex_numIfEPKPS3_EEvT1_iilPiilS8_bb.has_indirect_call, 0
	.section	.AMDGPU.csdata,"",@progbits
; Kernel info:
; codeLenInByte = 107796
; TotalNumSgprs: 21
; NumVgprs: 254
; ScratchSize: 464
; MemoryBound: 0
; FloatMode: 240
; IeeeMode: 1
; LDSByteSize: 920 bytes/workgroup (compile time only)
; SGPRBlocks: 0
; VGPRBlocks: 31
; NumSGPRsForWavesPerEU: 21
; NumVGPRsForWavesPerEU: 254
; Occupancy: 5
; WaveLimiterHint : 1
; COMPUTE_PGM_RSRC2:SCRATCH_EN: 1
; COMPUTE_PGM_RSRC2:USER_SGPR: 2
; COMPUTE_PGM_RSRC2:TRAP_HANDLER: 0
; COMPUTE_PGM_RSRC2:TGID_X_EN: 1
; COMPUTE_PGM_RSRC2:TGID_Y_EN: 0
; COMPUTE_PGM_RSRC2:TGID_Z_EN: 0
; COMPUTE_PGM_RSRC2:TIDIG_COMP_CNT: 0
	.section	.text._ZN9rocsolver6v33100L18getri_kernel_smallILi58E19rocblas_complex_numIfEPKPS3_EEvT1_iilPiilS8_bb,"axG",@progbits,_ZN9rocsolver6v33100L18getri_kernel_smallILi58E19rocblas_complex_numIfEPKPS3_EEvT1_iilPiilS8_bb,comdat
	.globl	_ZN9rocsolver6v33100L18getri_kernel_smallILi58E19rocblas_complex_numIfEPKPS3_EEvT1_iilPiilS8_bb ; -- Begin function _ZN9rocsolver6v33100L18getri_kernel_smallILi58E19rocblas_complex_numIfEPKPS3_EEvT1_iilPiilS8_bb
	.p2align	8
	.type	_ZN9rocsolver6v33100L18getri_kernel_smallILi58E19rocblas_complex_numIfEPKPS3_EEvT1_iilPiilS8_bb,@function
_ZN9rocsolver6v33100L18getri_kernel_smallILi58E19rocblas_complex_numIfEPKPS3_EEvT1_iilPiilS8_bb: ; @_ZN9rocsolver6v33100L18getri_kernel_smallILi58E19rocblas_complex_numIfEPKPS3_EEvT1_iilPiilS8_bb
; %bb.0:
	s_mov_b32 s2, exec_lo
	v_cmpx_gt_u32_e32 58, v0
	s_cbranch_execz .LBB121_246
; %bb.1:
	s_clause 0x1
	s_load_b32 s13, s[0:1], 0x38
	s_load_b64 s[2:3], s[0:1], 0x0
	s_mov_b32 s8, ttmp9
	s_load_b128 s[4:7], s[0:1], 0x28
	s_wait_kmcnt 0x0
	s_bitcmp1_b32 s13, 8
	s_cselect_b32 s12, -1, 0
	s_ashr_i32 s9, ttmp9, 31
	s_delay_alu instid0(SALU_CYCLE_1) | instskip(NEXT) | instid1(SALU_CYCLE_1)
	s_lshl_b64 s[10:11], s[8:9], 3
	s_add_nc_u64 s[2:3], s[2:3], s[10:11]
	s_load_b64 s[10:11], s[2:3], 0x0
	s_bfe_u32 s2, s13, 0x10008
	s_delay_alu instid0(SALU_CYCLE_1)
	s_cmp_eq_u32 s2, 0
                                        ; implicit-def: $sgpr2_sgpr3
	s_cbranch_scc1 .LBB121_3
; %bb.2:
	s_load_b96 s[16:18], s[0:1], 0x18
	s_mul_u64 s[2:3], s[4:5], s[8:9]
	s_delay_alu instid0(SALU_CYCLE_1)
	s_lshl_b64 s[2:3], s[2:3], 2
	s_wait_kmcnt 0x0
	s_ashr_i32 s5, s18, 31
	s_mov_b32 s4, s18
	s_add_nc_u64 s[2:3], s[16:17], s[2:3]
	s_lshl_b64 s[4:5], s[4:5], 2
	s_delay_alu instid0(SALU_CYCLE_1)
	s_add_nc_u64 s[2:3], s[2:3], s[4:5]
.LBB121_3:
	s_clause 0x1
	s_load_b64 s[4:5], s[0:1], 0x8
	s_load_b32 s13, s[0:1], 0x38
	v_lshlrev_b32_e32 v7, 3, v0
	s_wait_kmcnt 0x0
	s_ashr_i32 s1, s4, 31
	s_mov_b32 s0, s4
	v_add3_u32 v3, s5, s5, v0
	s_lshl_b64 s[0:1], s[0:1], 3
	s_delay_alu instid0(SALU_CYCLE_1)
	s_add_nc_u64 s[0:1], s[10:11], s[0:1]
	s_ashr_i32 s11, s5, 31
	v_add_co_u32 v32, s4, s0, v7
	s_wait_alu 0xf1ff
	v_add_co_ci_u32_e64 v33, null, s1, 0, s4
	s_mov_b32 s10, s5
	v_ashrrev_i32_e32 v4, 31, v3
	s_lshl_b64 s[10:11], s[10:11], 3
	flat_load_b64 v[1:2], v[32:33]
	v_add_co_u32 v34, vcc_lo, v32, s10
	s_delay_alu instid0(VALU_DEP_1) | instskip(SKIP_3) | instid1(VALU_DEP_2)
	v_add_co_ci_u32_e64 v35, null, s11, v33, vcc_lo
	v_lshlrev_b64_e32 v[4:5], 3, v[3:4]
	v_add_nc_u32_e32 v3, s5, v3
	s_bitcmp0_b32 s13, 0
	v_add_co_u32 v36, vcc_lo, s0, v4
	s_wait_alu 0xfffd
	s_delay_alu instid0(VALU_DEP_3) | instskip(SKIP_1) | instid1(VALU_DEP_1)
	v_add_co_ci_u32_e64 v37, null, s1, v5, vcc_lo
	v_ashrrev_i32_e32 v4, 31, v3
	v_lshlrev_b64_e32 v[4:5], 3, v[3:4]
	v_add_nc_u32_e32 v3, s5, v3
	s_delay_alu instid0(VALU_DEP_2) | instskip(SKIP_1) | instid1(VALU_DEP_3)
	v_add_co_u32 v38, vcc_lo, s0, v4
	s_wait_alu 0xfffd
	v_add_co_ci_u32_e64 v39, null, s1, v5, vcc_lo
	s_delay_alu instid0(VALU_DEP_3) | instskip(NEXT) | instid1(VALU_DEP_1)
	v_ashrrev_i32_e32 v4, 31, v3
	v_lshlrev_b64_e32 v[4:5], 3, v[3:4]
	v_add_nc_u32_e32 v3, s5, v3
	s_delay_alu instid0(VALU_DEP_2) | instskip(SKIP_1) | instid1(VALU_DEP_3)
	v_add_co_u32 v40, vcc_lo, s0, v4
	s_wait_alu 0xfffd
	v_add_co_ci_u32_e64 v41, null, s1, v5, vcc_lo
	s_delay_alu instid0(VALU_DEP_3) | instskip(NEXT) | instid1(VALU_DEP_1)
	;; [unrolled: 8-line block ×20, first 2 shown]
	v_ashrrev_i32_e32 v4, 31, v3
	v_lshlrev_b64_e32 v[4:5], 3, v[3:4]
	s_wait_loadcnt_dscnt 0x0
	scratch_store_b64 off, v[1:2], off
	flat_load_b64 v[1:2], v[34:35]
	v_add_nc_u32_e32 v3, s5, v3
	v_add_co_u32 v78, vcc_lo, s0, v4
	s_wait_alu 0xfffd
	v_add_co_ci_u32_e64 v79, null, s1, v5, vcc_lo
	s_delay_alu instid0(VALU_DEP_3) | instskip(NEXT) | instid1(VALU_DEP_1)
	v_ashrrev_i32_e32 v4, 31, v3
	v_lshlrev_b64_e32 v[4:5], 3, v[3:4]
	v_add_nc_u32_e32 v3, s5, v3
	s_delay_alu instid0(VALU_DEP_2) | instskip(SKIP_1) | instid1(VALU_DEP_3)
	v_add_co_u32 v80, vcc_lo, s0, v4
	s_wait_alu 0xfffd
	v_add_co_ci_u32_e64 v81, null, s1, v5, vcc_lo
	s_delay_alu instid0(VALU_DEP_3) | instskip(NEXT) | instid1(VALU_DEP_1)
	v_ashrrev_i32_e32 v4, 31, v3
	v_lshlrev_b64_e32 v[4:5], 3, v[3:4]
	v_add_nc_u32_e32 v3, s5, v3
	s_delay_alu instid0(VALU_DEP_2) | instskip(SKIP_1) | instid1(VALU_DEP_3)
	;; [unrolled: 8-line block ×20, first 2 shown]
	v_add_co_u32 v118, vcc_lo, s0, v4
	s_wait_alu 0xfffd
	v_add_co_ci_u32_e64 v119, null, s1, v5, vcc_lo
	s_delay_alu instid0(VALU_DEP_3) | instskip(NEXT) | instid1(VALU_DEP_1)
	v_ashrrev_i32_e32 v4, 31, v3
	v_lshlrev_b64_e32 v[4:5], 3, v[3:4]
	v_add_nc_u32_e32 v3, s5, v3
	s_delay_alu instid0(VALU_DEP_2)
	v_add_co_u32 v120, vcc_lo, s0, v4
	s_wait_loadcnt_dscnt 0x0
	scratch_store_b64 off, v[1:2], off offset:8
	flat_load_b64 v[1:2], v[36:37]
	s_wait_alu 0xfffd
	v_add_co_ci_u32_e64 v121, null, s1, v5, vcc_lo
	v_ashrrev_i32_e32 v4, 31, v3
	s_delay_alu instid0(VALU_DEP_1) | instskip(SKIP_1) | instid1(VALU_DEP_2)
	v_lshlrev_b64_e32 v[4:5], 3, v[3:4]
	v_add_nc_u32_e32 v3, s5, v3
	v_add_co_u32 v122, vcc_lo, s0, v4
	s_wait_alu 0xfffd
	s_delay_alu instid0(VALU_DEP_3) | instskip(NEXT) | instid1(VALU_DEP_3)
	v_add_co_ci_u32_e64 v123, null, s1, v5, vcc_lo
	v_ashrrev_i32_e32 v4, 31, v3
	s_delay_alu instid0(VALU_DEP_1) | instskip(SKIP_1) | instid1(VALU_DEP_2)
	v_lshlrev_b64_e32 v[4:5], 3, v[3:4]
	v_add_nc_u32_e32 v3, s5, v3
	v_add_co_u32 v124, vcc_lo, s0, v4
	s_wait_alu 0xfffd
	s_delay_alu instid0(VALU_DEP_3) | instskip(NEXT) | instid1(VALU_DEP_3)
	;; [unrolled: 8-line block ×12, first 2 shown]
	v_add_co_ci_u32_e64 v145, null, s1, v5, vcc_lo
	v_ashrrev_i32_e32 v4, 31, v3
	s_delay_alu instid0(VALU_DEP_1) | instskip(NEXT) | instid1(VALU_DEP_1)
	v_lshlrev_b64_e32 v[3:4], 3, v[3:4]
	v_add_co_u32 v146, vcc_lo, s0, v3
	s_wait_alu 0xfffd
	s_delay_alu instid0(VALU_DEP_2)
	v_add_co_ci_u32_e64 v147, null, s1, v4, vcc_lo
	s_mov_b32 s1, -1
	s_wait_loadcnt_dscnt 0x0
	scratch_store_b64 off, v[1:2], off offset:16
	flat_load_b64 v[1:2], v[38:39]
	s_wait_loadcnt_dscnt 0x0
	scratch_store_b64 off, v[1:2], off offset:24
	flat_load_b64 v[1:2], v[40:41]
	;; [unrolled: 3-line block ×55, first 2 shown]
	s_wait_loadcnt_dscnt 0x0
	scratch_store_b64 off, v[1:2], off offset:456
	s_cbranch_scc1 .LBB121_244
; %bb.4:
	v_cmp_eq_u32_e64 s0, 0, v0
	s_and_saveexec_b32 s1, s0
; %bb.5:
	v_mov_b32_e32 v1, 0
	ds_store_b32 v1, v1 offset:928
; %bb.6:
	s_wait_alu 0xfffe
	s_or_b32 exec_lo, exec_lo, s1
	s_wait_storecnt_dscnt 0x0
	s_barrier_signal -1
	s_barrier_wait -1
	global_inv scope:SCOPE_SE
	scratch_load_b64 v[1:2], v7, off
	s_wait_loadcnt 0x0
	v_cmp_eq_f32_e32 vcc_lo, 0, v1
	v_cmp_eq_f32_e64 s1, 0, v2
	s_and_b32 s1, vcc_lo, s1
	s_wait_alu 0xfffe
	s_and_saveexec_b32 s4, s1
	s_cbranch_execz .LBB121_10
; %bb.7:
	v_mov_b32_e32 v1, 0
	s_mov_b32 s5, 0
	ds_load_b32 v2, v1 offset:928
	s_wait_dscnt 0x0
	v_readfirstlane_b32 s1, v2
	v_add_nc_u32_e32 v2, 1, v0
	s_cmp_eq_u32 s1, 0
	s_delay_alu instid0(VALU_DEP_1)
	v_cmp_gt_i32_e32 vcc_lo, s1, v2
	s_cselect_b32 s10, -1, 0
	s_wait_alu 0xfffe
	s_or_b32 s10, s10, vcc_lo
	s_wait_alu 0xfffe
	s_and_b32 exec_lo, exec_lo, s10
	s_cbranch_execz .LBB121_10
; %bb.8:
	v_mov_b32_e32 v3, s1
.LBB121_9:                              ; =>This Inner Loop Header: Depth=1
	ds_cmpstore_rtn_b32 v3, v1, v2, v3 offset:928
	s_wait_dscnt 0x0
	v_cmp_ne_u32_e32 vcc_lo, 0, v3
	v_cmp_le_i32_e64 s1, v3, v2
	s_and_b32 s1, vcc_lo, s1
	s_wait_alu 0xfffe
	s_and_b32 s1, exec_lo, s1
	s_wait_alu 0xfffe
	s_or_b32 s5, s1, s5
	s_wait_alu 0xfffe
	s_and_not1_b32 exec_lo, exec_lo, s5
	s_cbranch_execnz .LBB121_9
.LBB121_10:
	s_wait_alu 0xfffe
	s_or_b32 exec_lo, exec_lo, s4
	v_mov_b32_e32 v1, 0
	s_barrier_signal -1
	s_barrier_wait -1
	global_inv scope:SCOPE_SE
	ds_load_b32 v2, v1 offset:928
	s_and_saveexec_b32 s1, s0
	s_cbranch_execz .LBB121_12
; %bb.11:
	s_lshl_b64 s[4:5], s[8:9], 2
	s_wait_alu 0xfffe
	s_add_nc_u64 s[4:5], s[6:7], s[4:5]
	s_wait_dscnt 0x0
	global_store_b32 v1, v2, s[4:5]
.LBB121_12:
	s_wait_alu 0xfffe
	s_or_b32 exec_lo, exec_lo, s1
	s_wait_dscnt 0x0
	v_cmp_ne_u32_e32 vcc_lo, 0, v2
	s_mov_b32 s1, 0
	s_cbranch_vccnz .LBB121_244
; %bb.13:
	v_mov_b32_e32 v8, v7
                                        ; implicit-def: $vgpr3
                                        ; implicit-def: $vgpr5
	scratch_load_b64 v[1:2], v8, off
	s_wait_loadcnt 0x0
	v_cmp_ngt_f32_e64 s1, |v1|, |v2|
	s_wait_alu 0xfffe
	s_and_saveexec_b32 s4, s1
	s_wait_alu 0xfffe
	s_xor_b32 s1, exec_lo, s4
	s_cbranch_execz .LBB121_15
; %bb.14:
	v_div_scale_f32 v3, null, v2, v2, v1
	v_div_scale_f32 v6, vcc_lo, v1, v2, v1
	s_delay_alu instid0(VALU_DEP_2) | instskip(NEXT) | instid1(TRANS32_DEP_1)
	v_rcp_f32_e32 v4, v3
	v_fma_f32 v5, -v3, v4, 1.0
	s_delay_alu instid0(VALU_DEP_1) | instskip(NEXT) | instid1(VALU_DEP_1)
	v_fmac_f32_e32 v4, v5, v4
	v_mul_f32_e32 v5, v6, v4
	s_delay_alu instid0(VALU_DEP_1) | instskip(NEXT) | instid1(VALU_DEP_1)
	v_fma_f32 v9, -v3, v5, v6
	v_fmac_f32_e32 v5, v9, v4
	s_delay_alu instid0(VALU_DEP_1) | instskip(SKIP_1) | instid1(VALU_DEP_1)
	v_fma_f32 v3, -v3, v5, v6
	s_wait_alu 0xfffd
	v_div_fmas_f32 v3, v3, v4, v5
	s_delay_alu instid0(VALU_DEP_1) | instskip(NEXT) | instid1(VALU_DEP_1)
	v_div_fixup_f32 v3, v3, v2, v1
	v_fmac_f32_e32 v2, v1, v3
	s_delay_alu instid0(VALU_DEP_1) | instskip(NEXT) | instid1(VALU_DEP_1)
	v_div_scale_f32 v1, null, v2, v2, 1.0
	v_rcp_f32_e32 v4, v1
	s_delay_alu instid0(TRANS32_DEP_1) | instskip(NEXT) | instid1(VALU_DEP_1)
	v_fma_f32 v5, -v1, v4, 1.0
	v_fmac_f32_e32 v4, v5, v4
	v_div_scale_f32 v5, vcc_lo, 1.0, v2, 1.0
	s_delay_alu instid0(VALU_DEP_1) | instskip(NEXT) | instid1(VALU_DEP_1)
	v_mul_f32_e32 v6, v5, v4
	v_fma_f32 v9, -v1, v6, v5
	s_delay_alu instid0(VALU_DEP_1) | instskip(NEXT) | instid1(VALU_DEP_1)
	v_fmac_f32_e32 v6, v9, v4
	v_fma_f32 v1, -v1, v6, v5
	s_wait_alu 0xfffd
	s_delay_alu instid0(VALU_DEP_1) | instskip(NEXT) | instid1(VALU_DEP_1)
	v_div_fmas_f32 v1, v1, v4, v6
	v_div_fixup_f32 v1, v1, v2, 1.0
	s_delay_alu instid0(VALU_DEP_1) | instskip(SKIP_1) | instid1(VALU_DEP_2)
	v_mul_f32_e32 v3, v3, v1
	v_xor_b32_e32 v4, 0x80000000, v1
                                        ; implicit-def: $vgpr1_vgpr2
	v_xor_b32_e32 v5, 0x80000000, v3
.LBB121_15:
	s_wait_alu 0xfffe
	s_and_not1_saveexec_b32 s1, s1
	s_cbranch_execz .LBB121_17
; %bb.16:
	v_div_scale_f32 v3, null, v1, v1, v2
	v_div_scale_f32 v6, vcc_lo, v2, v1, v2
	s_delay_alu instid0(VALU_DEP_2) | instskip(NEXT) | instid1(TRANS32_DEP_1)
	v_rcp_f32_e32 v4, v3
	v_fma_f32 v5, -v3, v4, 1.0
	s_delay_alu instid0(VALU_DEP_1) | instskip(NEXT) | instid1(VALU_DEP_1)
	v_fmac_f32_e32 v4, v5, v4
	v_mul_f32_e32 v5, v6, v4
	s_delay_alu instid0(VALU_DEP_1) | instskip(NEXT) | instid1(VALU_DEP_1)
	v_fma_f32 v9, -v3, v5, v6
	v_fmac_f32_e32 v5, v9, v4
	s_delay_alu instid0(VALU_DEP_1) | instskip(SKIP_1) | instid1(VALU_DEP_1)
	v_fma_f32 v3, -v3, v5, v6
	s_wait_alu 0xfffd
	v_div_fmas_f32 v3, v3, v4, v5
	s_delay_alu instid0(VALU_DEP_1) | instskip(NEXT) | instid1(VALU_DEP_1)
	v_div_fixup_f32 v4, v3, v1, v2
	v_fmac_f32_e32 v1, v2, v4
	s_delay_alu instid0(VALU_DEP_1) | instskip(SKIP_1) | instid1(VALU_DEP_2)
	v_div_scale_f32 v2, null, v1, v1, 1.0
	v_div_scale_f32 v6, vcc_lo, 1.0, v1, 1.0
	v_rcp_f32_e32 v3, v2
	s_delay_alu instid0(TRANS32_DEP_1) | instskip(NEXT) | instid1(VALU_DEP_1)
	v_fma_f32 v5, -v2, v3, 1.0
	v_fmac_f32_e32 v3, v5, v3
	s_delay_alu instid0(VALU_DEP_1) | instskip(NEXT) | instid1(VALU_DEP_1)
	v_mul_f32_e32 v5, v6, v3
	v_fma_f32 v9, -v2, v5, v6
	s_delay_alu instid0(VALU_DEP_1) | instskip(NEXT) | instid1(VALU_DEP_1)
	v_fmac_f32_e32 v5, v9, v3
	v_fma_f32 v2, -v2, v5, v6
	s_wait_alu 0xfffd
	s_delay_alu instid0(VALU_DEP_1) | instskip(NEXT) | instid1(VALU_DEP_1)
	v_div_fmas_f32 v2, v2, v3, v5
	v_div_fixup_f32 v3, v2, v1, 1.0
	s_delay_alu instid0(VALU_DEP_1)
	v_xor_b32_e32 v5, 0x80000000, v3
	v_mul_f32_e64 v4, v4, -v3
.LBB121_17:
	s_wait_alu 0xfffe
	s_or_b32 exec_lo, exec_lo, s1
	scratch_store_b64 v8, v[3:4], off
	scratch_load_b64 v[2:3], off, off offset:8
	v_xor_b32_e32 v6, 0x80000000, v4
	v_add_nc_u32_e32 v1, 0x1d0, v7
	s_wait_loadcnt 0x0
	ds_store_2addr_b64 v7, v[5:6], v[2:3] offset1:58
	s_wait_storecnt_dscnt 0x0
	s_barrier_signal -1
	s_barrier_wait -1
	global_inv scope:SCOPE_SE
	s_and_saveexec_b32 s1, s0
	s_cbranch_execz .LBB121_19
; %bb.18:
	scratch_load_b64 v[2:3], v8, off
	ds_load_b64 v[4:5], v1
	v_mov_b32_e32 v6, 0
	ds_load_b64 v[9:10], v6 offset:8
	s_wait_loadcnt_dscnt 0x1
	v_mul_f32_e32 v6, v4, v3
	v_mul_f32_e32 v3, v5, v3
	s_delay_alu instid0(VALU_DEP_2) | instskip(NEXT) | instid1(VALU_DEP_2)
	v_fmac_f32_e32 v6, v5, v2
	v_fma_f32 v2, v4, v2, -v3
	s_delay_alu instid0(VALU_DEP_2) | instskip(NEXT) | instid1(VALU_DEP_2)
	v_add_f32_e32 v4, 0, v6
	v_add_f32_e32 v2, 0, v2
	s_wait_dscnt 0x0
	s_delay_alu instid0(VALU_DEP_2) | instskip(NEXT) | instid1(VALU_DEP_2)
	v_mul_f32_e32 v5, v4, v10
	v_mul_f32_e32 v3, v2, v10
	s_delay_alu instid0(VALU_DEP_2) | instskip(NEXT) | instid1(VALU_DEP_2)
	v_fma_f32 v2, v2, v9, -v5
	v_fmac_f32_e32 v3, v4, v9
	scratch_store_b64 off, v[2:3], off offset:8
.LBB121_19:
	s_wait_alu 0xfffe
	s_or_b32 exec_lo, exec_lo, s1
	s_wait_loadcnt 0x0
	s_wait_storecnt 0x0
	s_barrier_signal -1
	s_barrier_wait -1
	global_inv scope:SCOPE_SE
	scratch_load_b64 v[2:3], off, off offset:16
	s_mov_b32 s1, exec_lo
	s_wait_loadcnt 0x0
	ds_store_b64 v1, v[2:3]
	s_wait_dscnt 0x0
	s_barrier_signal -1
	s_barrier_wait -1
	global_inv scope:SCOPE_SE
	v_cmpx_gt_u32_e32 2, v0
	s_cbranch_execz .LBB121_23
; %bb.20:
	scratch_load_b64 v[2:3], v8, off
	ds_load_b64 v[4:5], v1
	s_wait_loadcnt_dscnt 0x0
	v_mul_f32_e32 v6, v5, v3
	v_mul_f32_e32 v9, v4, v3
	s_delay_alu instid0(VALU_DEP_2) | instskip(NEXT) | instid1(VALU_DEP_2)
	v_fma_f32 v3, v4, v2, -v6
	v_fmac_f32_e32 v9, v5, v2
	s_delay_alu instid0(VALU_DEP_1)
	v_dual_add_f32 v3, 0, v3 :: v_dual_add_f32 v2, 0, v9
	s_and_saveexec_b32 s4, s0
	s_cbranch_execz .LBB121_22
; %bb.21:
	scratch_load_b64 v[4:5], off, off offset:8
	v_mov_b32_e32 v6, 0
	ds_load_b64 v[9:10], v6 offset:472
	s_wait_loadcnt_dscnt 0x0
	v_mul_f32_e32 v6, v9, v5
	v_mul_f32_e32 v5, v10, v5
	s_delay_alu instid0(VALU_DEP_2) | instskip(NEXT) | instid1(VALU_DEP_2)
	v_fmac_f32_e32 v6, v10, v4
	v_fma_f32 v4, v9, v4, -v5
	s_delay_alu instid0(VALU_DEP_1)
	v_dual_add_f32 v2, v2, v6 :: v_dual_add_f32 v3, v3, v4
.LBB121_22:
	s_wait_alu 0xfffe
	s_or_b32 exec_lo, exec_lo, s4
	v_mov_b32_e32 v4, 0
	ds_load_b64 v[4:5], v4 offset:16
	s_wait_dscnt 0x0
	v_mul_f32_e32 v9, v2, v5
	v_mul_f32_e32 v6, v3, v5
	s_delay_alu instid0(VALU_DEP_2) | instskip(NEXT) | instid1(VALU_DEP_2)
	v_fma_f32 v5, v3, v4, -v9
	v_fmac_f32_e32 v6, v2, v4
	scratch_store_b64 off, v[5:6], off offset:16
.LBB121_23:
	s_wait_alu 0xfffe
	s_or_b32 exec_lo, exec_lo, s1
	s_wait_loadcnt 0x0
	s_wait_storecnt 0x0
	s_barrier_signal -1
	s_barrier_wait -1
	global_inv scope:SCOPE_SE
	scratch_load_b64 v[3:4], off, off offset:24
	v_add_nc_u32_e32 v2, -1, v0
	s_mov_b32 s0, exec_lo
	s_wait_loadcnt 0x0
	ds_store_b64 v1, v[3:4]
	s_wait_dscnt 0x0
	s_barrier_signal -1
	s_barrier_wait -1
	global_inv scope:SCOPE_SE
	v_cmpx_gt_u32_e32 3, v0
	s_cbranch_execz .LBB121_27
; %bb.24:
	v_dual_mov_b32 v3, 0 :: v_dual_add_nc_u32 v4, -1, v0
	v_dual_mov_b32 v6, v7 :: v_dual_add_nc_u32 v5, 0x1d0, v7
	v_mov_b32_e32 v9, 0
	s_mov_b32 s1, 0
.LBB121_25:                             ; =>This Inner Loop Header: Depth=1
	scratch_load_b64 v[10:11], v6, off
	ds_load_b64 v[12:13], v5
	v_add_nc_u32_e32 v4, 1, v4
	v_add_nc_u32_e32 v5, 8, v5
	s_delay_alu instid0(VALU_DEP_2)
	v_cmp_lt_u32_e32 vcc_lo, 1, v4
	s_wait_alu 0xfffe
	s_or_b32 s1, vcc_lo, s1
	s_wait_loadcnt_dscnt 0x0
	v_mul_f32_e32 v14, v13, v11
	v_mul_f32_e32 v11, v12, v11
	s_delay_alu instid0(VALU_DEP_2) | instskip(NEXT) | instid1(VALU_DEP_2)
	v_fma_f32 v12, v12, v10, -v14
	v_fmac_f32_e32 v11, v13, v10
	s_delay_alu instid0(VALU_DEP_2) | instskip(NEXT) | instid1(VALU_DEP_2)
	v_dual_add_f32 v9, v9, v12 :: v_dual_add_nc_u32 v6, 8, v6
	v_add_f32_e32 v3, v3, v11
	s_wait_alu 0xfffe
	s_and_not1_b32 exec_lo, exec_lo, s1
	s_cbranch_execnz .LBB121_25
; %bb.26:
	s_or_b32 exec_lo, exec_lo, s1
	v_mov_b32_e32 v4, 0
	ds_load_b64 v[4:5], v4 offset:24
	s_wait_dscnt 0x0
	v_mul_f32_e32 v10, v3, v5
	v_mul_f32_e32 v6, v9, v5
	s_delay_alu instid0(VALU_DEP_2) | instskip(NEXT) | instid1(VALU_DEP_2)
	v_fma_f32 v5, v9, v4, -v10
	v_fmac_f32_e32 v6, v3, v4
	scratch_store_b64 off, v[5:6], off offset:24
.LBB121_27:
	s_wait_alu 0xfffe
	s_or_b32 exec_lo, exec_lo, s0
	s_wait_loadcnt 0x0
	s_wait_storecnt 0x0
	s_barrier_signal -1
	s_barrier_wait -1
	global_inv scope:SCOPE_SE
	scratch_load_b64 v[3:4], off, off offset:32
	s_mov_b32 s0, exec_lo
	s_wait_loadcnt 0x0
	ds_store_b64 v1, v[3:4]
	s_wait_dscnt 0x0
	s_barrier_signal -1
	s_barrier_wait -1
	global_inv scope:SCOPE_SE
	v_cmpx_gt_u32_e32 4, v0
	s_cbranch_execz .LBB121_31
; %bb.28:
	v_dual_mov_b32 v3, 0 :: v_dual_add_nc_u32 v4, -1, v0
	v_dual_mov_b32 v6, v7 :: v_dual_add_nc_u32 v5, 0x1d0, v7
	v_mov_b32_e32 v9, 0
	s_mov_b32 s1, 0
.LBB121_29:                             ; =>This Inner Loop Header: Depth=1
	scratch_load_b64 v[10:11], v6, off
	ds_load_b64 v[12:13], v5
	v_add_nc_u32_e32 v4, 1, v4
	v_add_nc_u32_e32 v5, 8, v5
	s_delay_alu instid0(VALU_DEP_2)
	v_cmp_lt_u32_e32 vcc_lo, 2, v4
	s_wait_alu 0xfffe
	s_or_b32 s1, vcc_lo, s1
	s_wait_loadcnt_dscnt 0x0
	v_mul_f32_e32 v14, v13, v11
	v_mul_f32_e32 v11, v12, v11
	s_delay_alu instid0(VALU_DEP_2) | instskip(NEXT) | instid1(VALU_DEP_2)
	v_fma_f32 v12, v12, v10, -v14
	v_fmac_f32_e32 v11, v13, v10
	s_delay_alu instid0(VALU_DEP_2) | instskip(NEXT) | instid1(VALU_DEP_2)
	v_dual_add_f32 v9, v9, v12 :: v_dual_add_nc_u32 v6, 8, v6
	v_add_f32_e32 v3, v3, v11
	s_wait_alu 0xfffe
	s_and_not1_b32 exec_lo, exec_lo, s1
	s_cbranch_execnz .LBB121_29
; %bb.30:
	s_or_b32 exec_lo, exec_lo, s1
	v_mov_b32_e32 v4, 0
	ds_load_b64 v[4:5], v4 offset:32
	s_wait_dscnt 0x0
	v_mul_f32_e32 v10, v3, v5
	v_mul_f32_e32 v6, v9, v5
	s_delay_alu instid0(VALU_DEP_2) | instskip(NEXT) | instid1(VALU_DEP_2)
	v_fma_f32 v5, v9, v4, -v10
	v_fmac_f32_e32 v6, v3, v4
	scratch_store_b64 off, v[5:6], off offset:32
.LBB121_31:
	s_wait_alu 0xfffe
	s_or_b32 exec_lo, exec_lo, s0
	s_wait_loadcnt 0x0
	s_wait_storecnt 0x0
	s_barrier_signal -1
	s_barrier_wait -1
	global_inv scope:SCOPE_SE
	scratch_load_b64 v[3:4], off, off offset:40
	;; [unrolled: 55-line block ×19, first 2 shown]
	s_mov_b32 s0, exec_lo
	s_wait_loadcnt 0x0
	ds_store_b64 v1, v[3:4]
	s_wait_dscnt 0x0
	s_barrier_signal -1
	s_barrier_wait -1
	global_inv scope:SCOPE_SE
	v_cmpx_gt_u32_e32 22, v0
	s_cbranch_execz .LBB121_103
; %bb.100:
	v_dual_mov_b32 v3, 0 :: v_dual_add_nc_u32 v4, -1, v0
	v_dual_mov_b32 v6, v7 :: v_dual_add_nc_u32 v5, 0x1d0, v7
	v_mov_b32_e32 v9, 0
	s_mov_b32 s1, 0
.LBB121_101:                            ; =>This Inner Loop Header: Depth=1
	scratch_load_b64 v[10:11], v6, off
	ds_load_b64 v[12:13], v5
	v_add_nc_u32_e32 v4, 1, v4
	v_add_nc_u32_e32 v5, 8, v5
	s_delay_alu instid0(VALU_DEP_2)
	v_cmp_lt_u32_e32 vcc_lo, 20, v4
	s_wait_alu 0xfffe
	s_or_b32 s1, vcc_lo, s1
	s_wait_loadcnt_dscnt 0x0
	v_mul_f32_e32 v14, v13, v11
	v_mul_f32_e32 v11, v12, v11
	s_delay_alu instid0(VALU_DEP_2) | instskip(NEXT) | instid1(VALU_DEP_2)
	v_fma_f32 v12, v12, v10, -v14
	v_fmac_f32_e32 v11, v13, v10
	s_delay_alu instid0(VALU_DEP_2) | instskip(NEXT) | instid1(VALU_DEP_2)
	v_dual_add_f32 v9, v9, v12 :: v_dual_add_nc_u32 v6, 8, v6
	v_add_f32_e32 v3, v3, v11
	s_wait_alu 0xfffe
	s_and_not1_b32 exec_lo, exec_lo, s1
	s_cbranch_execnz .LBB121_101
; %bb.102:
	s_or_b32 exec_lo, exec_lo, s1
	v_mov_b32_e32 v4, 0
	ds_load_b64 v[4:5], v4 offset:176
	s_wait_dscnt 0x0
	v_mul_f32_e32 v10, v3, v5
	v_mul_f32_e32 v6, v9, v5
	s_delay_alu instid0(VALU_DEP_2) | instskip(NEXT) | instid1(VALU_DEP_2)
	v_fma_f32 v5, v9, v4, -v10
	v_fmac_f32_e32 v6, v3, v4
	scratch_store_b64 off, v[5:6], off offset:176
.LBB121_103:
	s_wait_alu 0xfffe
	s_or_b32 exec_lo, exec_lo, s0
	s_wait_loadcnt 0x0
	s_wait_storecnt 0x0
	s_barrier_signal -1
	s_barrier_wait -1
	global_inv scope:SCOPE_SE
	scratch_load_b64 v[3:4], off, off offset:184
	s_mov_b32 s0, exec_lo
	s_wait_loadcnt 0x0
	ds_store_b64 v1, v[3:4]
	s_wait_dscnt 0x0
	s_barrier_signal -1
	s_barrier_wait -1
	global_inv scope:SCOPE_SE
	v_cmpx_gt_u32_e32 23, v0
	s_cbranch_execz .LBB121_107
; %bb.104:
	v_dual_mov_b32 v3, 0 :: v_dual_add_nc_u32 v4, -1, v0
	v_dual_mov_b32 v6, v7 :: v_dual_add_nc_u32 v5, 0x1d0, v7
	v_mov_b32_e32 v9, 0
	s_mov_b32 s1, 0
.LBB121_105:                            ; =>This Inner Loop Header: Depth=1
	scratch_load_b64 v[10:11], v6, off
	ds_load_b64 v[12:13], v5
	v_add_nc_u32_e32 v4, 1, v4
	v_add_nc_u32_e32 v5, 8, v5
	s_delay_alu instid0(VALU_DEP_2)
	v_cmp_lt_u32_e32 vcc_lo, 21, v4
	s_wait_alu 0xfffe
	s_or_b32 s1, vcc_lo, s1
	s_wait_loadcnt_dscnt 0x0
	v_mul_f32_e32 v14, v13, v11
	v_mul_f32_e32 v11, v12, v11
	s_delay_alu instid0(VALU_DEP_2) | instskip(NEXT) | instid1(VALU_DEP_2)
	v_fma_f32 v12, v12, v10, -v14
	v_fmac_f32_e32 v11, v13, v10
	s_delay_alu instid0(VALU_DEP_2) | instskip(NEXT) | instid1(VALU_DEP_2)
	v_dual_add_f32 v9, v9, v12 :: v_dual_add_nc_u32 v6, 8, v6
	v_add_f32_e32 v3, v3, v11
	s_wait_alu 0xfffe
	s_and_not1_b32 exec_lo, exec_lo, s1
	s_cbranch_execnz .LBB121_105
; %bb.106:
	s_or_b32 exec_lo, exec_lo, s1
	v_mov_b32_e32 v4, 0
	ds_load_b64 v[4:5], v4 offset:184
	s_wait_dscnt 0x0
	v_mul_f32_e32 v10, v3, v5
	v_mul_f32_e32 v6, v9, v5
	s_delay_alu instid0(VALU_DEP_2) | instskip(NEXT) | instid1(VALU_DEP_2)
	v_fma_f32 v5, v9, v4, -v10
	v_fmac_f32_e32 v6, v3, v4
	scratch_store_b64 off, v[5:6], off offset:184
.LBB121_107:
	s_wait_alu 0xfffe
	s_or_b32 exec_lo, exec_lo, s0
	s_wait_loadcnt 0x0
	s_wait_storecnt 0x0
	s_barrier_signal -1
	s_barrier_wait -1
	global_inv scope:SCOPE_SE
	scratch_load_b64 v[3:4], off, off offset:192
	;; [unrolled: 55-line block ×34, first 2 shown]
	s_mov_b32 s0, exec_lo
	s_wait_loadcnt 0x0
	ds_store_b64 v1, v[3:4]
	s_wait_dscnt 0x0
	s_barrier_signal -1
	s_barrier_wait -1
	global_inv scope:SCOPE_SE
	v_cmpx_gt_u32_e32 56, v0
	s_cbranch_execz .LBB121_239
; %bb.236:
	v_dual_mov_b32 v3, 0 :: v_dual_add_nc_u32 v4, -1, v0
	v_dual_mov_b32 v6, v7 :: v_dual_add_nc_u32 v5, 0x1d0, v7
	v_mov_b32_e32 v7, 0
	s_mov_b32 s1, 0
.LBB121_237:                            ; =>This Inner Loop Header: Depth=1
	scratch_load_b64 v[9:10], v6, off
	ds_load_b64 v[11:12], v5
	v_add_nc_u32_e32 v6, 8, v6
	v_add_nc_u32_e32 v4, 1, v4
	;; [unrolled: 1-line block ×3, first 2 shown]
	s_delay_alu instid0(VALU_DEP_2)
	v_cmp_lt_u32_e32 vcc_lo, 54, v4
	s_wait_alu 0xfffe
	s_or_b32 s1, vcc_lo, s1
	s_wait_loadcnt_dscnt 0x0
	v_mul_f32_e32 v13, v12, v10
	v_mul_f32_e32 v10, v11, v10
	s_delay_alu instid0(VALU_DEP_2) | instskip(NEXT) | instid1(VALU_DEP_1)
	v_fma_f32 v11, v11, v9, -v13
	v_dual_fmac_f32 v10, v12, v9 :: v_dual_add_f32 v7, v7, v11
	s_delay_alu instid0(VALU_DEP_1)
	v_add_f32_e32 v3, v3, v10
	s_wait_alu 0xfffe
	s_and_not1_b32 exec_lo, exec_lo, s1
	s_cbranch_execnz .LBB121_237
; %bb.238:
	s_or_b32 exec_lo, exec_lo, s1
	v_mov_b32_e32 v4, 0
	ds_load_b64 v[4:5], v4 offset:448
	s_wait_dscnt 0x0
	v_mul_f32_e32 v9, v3, v5
	v_mul_f32_e32 v6, v7, v5
	s_delay_alu instid0(VALU_DEP_2) | instskip(NEXT) | instid1(VALU_DEP_2)
	v_fma_f32 v5, v7, v4, -v9
	v_fmac_f32_e32 v6, v3, v4
	scratch_store_b64 off, v[5:6], off offset:448
.LBB121_239:
	s_wait_alu 0xfffe
	s_or_b32 exec_lo, exec_lo, s0
	s_wait_loadcnt 0x0
	s_wait_storecnt 0x0
	s_barrier_signal -1
	s_barrier_wait -1
	global_inv scope:SCOPE_SE
	scratch_load_b64 v[3:4], off, off offset:456
	s_mov_b32 s0, exec_lo
	s_wait_loadcnt 0x0
	ds_store_b64 v1, v[3:4]
	s_wait_dscnt 0x0
	s_barrier_signal -1
	s_barrier_wait -1
	global_inv scope:SCOPE_SE
	v_cmpx_ne_u32_e32 57, v0
	s_cbranch_execz .LBB121_243
; %bb.240:
	v_dual_mov_b32 v3, 0 :: v_dual_mov_b32 v4, 0
	s_mov_b32 s1, 0
.LBB121_241:                            ; =>This Inner Loop Header: Depth=1
	scratch_load_b64 v[5:6], v8, off
	ds_load_b64 v[9:10], v1
	v_add_nc_u32_e32 v2, 1, v2
	v_add_nc_u32_e32 v1, 8, v1
	;; [unrolled: 1-line block ×3, first 2 shown]
	s_delay_alu instid0(VALU_DEP_3)
	v_cmp_lt_u32_e32 vcc_lo, 55, v2
	s_wait_alu 0xfffe
	s_or_b32 s1, vcc_lo, s1
	s_wait_loadcnt_dscnt 0x0
	v_mul_f32_e32 v7, v10, v6
	v_mul_f32_e32 v6, v9, v6
	s_delay_alu instid0(VALU_DEP_2) | instskip(NEXT) | instid1(VALU_DEP_2)
	v_fma_f32 v7, v9, v5, -v7
	v_fmac_f32_e32 v6, v10, v5
	s_delay_alu instid0(VALU_DEP_1)
	v_dual_add_f32 v4, v4, v7 :: v_dual_add_f32 v3, v3, v6
	s_wait_alu 0xfffe
	s_and_not1_b32 exec_lo, exec_lo, s1
	s_cbranch_execnz .LBB121_241
; %bb.242:
	s_or_b32 exec_lo, exec_lo, s1
	v_mov_b32_e32 v1, 0
	ds_load_b64 v[1:2], v1 offset:456
	s_wait_dscnt 0x0
	v_mul_f32_e32 v6, v3, v2
	v_mul_f32_e32 v5, v4, v2
	s_delay_alu instid0(VALU_DEP_2) | instskip(NEXT) | instid1(VALU_DEP_2)
	v_fma_f32 v4, v4, v1, -v6
	v_fmac_f32_e32 v5, v3, v1
	scratch_store_b64 off, v[4:5], off offset:456
.LBB121_243:
	s_wait_alu 0xfffe
	s_or_b32 exec_lo, exec_lo, s0
	s_mov_b32 s1, -1
	s_wait_loadcnt 0x0
	s_wait_storecnt 0x0
	s_barrier_signal -1
	s_barrier_wait -1
	global_inv scope:SCOPE_SE
.LBB121_244:
	s_wait_alu 0xfffe
	s_and_b32 vcc_lo, exec_lo, s1
	s_wait_alu 0xfffe
	s_cbranch_vccz .LBB121_246
; %bb.245:
	v_mov_b32_e32 v1, 0
	s_lshl_b64 s[0:1], s[8:9], 2
	s_wait_alu 0xfffe
	s_add_nc_u64 s[0:1], s[6:7], s[0:1]
	global_load_b32 v1, v1, s[0:1]
	s_wait_loadcnt 0x0
	v_cmp_ne_u32_e32 vcc_lo, 0, v1
	s_cbranch_vccz .LBB121_247
.LBB121_246:
	s_nop 0
	s_sendmsg sendmsg(MSG_DEALLOC_VGPRS)
	s_endpgm
.LBB121_247:
	v_lshl_add_u32 v31, v0, 3, 0x1d0
	s_mov_b32 s0, exec_lo
	v_cmpx_eq_u32_e32 57, v0
	s_cbranch_execz .LBB121_249
; %bb.248:
	scratch_load_b64 v[1:2], off, off offset:448
	v_mov_b32_e32 v3, 0
	s_delay_alu instid0(VALU_DEP_1)
	v_mov_b32_e32 v4, v3
	scratch_store_b64 off, v[3:4], off offset:448
	s_wait_loadcnt 0x0
	ds_store_b64 v31, v[1:2]
.LBB121_249:
	s_wait_alu 0xfffe
	s_or_b32 exec_lo, exec_lo, s0
	s_wait_storecnt_dscnt 0x0
	s_barrier_signal -1
	s_barrier_wait -1
	global_inv scope:SCOPE_SE
	s_clause 0x1
	scratch_load_b64 v[2:3], off, off offset:456
	scratch_load_b64 v[4:5], off, off offset:448
	v_mov_b32_e32 v1, 0
	s_mov_b32 s0, exec_lo
	ds_load_b64 v[6:7], v1 offset:920
	s_wait_loadcnt_dscnt 0x100
	v_mul_f32_e32 v8, v7, v3
	v_mul_f32_e32 v3, v6, v3
	s_delay_alu instid0(VALU_DEP_2) | instskip(NEXT) | instid1(VALU_DEP_2)
	v_fma_f32 v6, v6, v2, -v8
	v_fmac_f32_e32 v3, v7, v2
	s_delay_alu instid0(VALU_DEP_1) | instskip(SKIP_1) | instid1(VALU_DEP_1)
	v_dual_add_f32 v2, 0, v6 :: v_dual_add_f32 v3, 0, v3
	s_wait_loadcnt 0x0
	v_dual_sub_f32 v2, v4, v2 :: v_dual_sub_f32 v3, v5, v3
	scratch_store_b64 off, v[2:3], off offset:448
	v_cmpx_lt_u32_e32 55, v0
	s_cbranch_execz .LBB121_251
; %bb.250:
	scratch_load_b64 v[3:4], off, off offset:440
	v_mov_b32_e32 v2, v1
	scratch_store_b64 off, v[1:2], off offset:440
	s_wait_loadcnt 0x0
	ds_store_b64 v31, v[3:4]
.LBB121_251:
	s_wait_alu 0xfffe
	s_or_b32 exec_lo, exec_lo, s0
	s_wait_storecnt_dscnt 0x0
	s_barrier_signal -1
	s_barrier_wait -1
	global_inv scope:SCOPE_SE
	s_clause 0x1
	scratch_load_b128 v[2:5], off, off offset:448
	scratch_load_b64 v[10:11], off, off offset:440
	ds_load_b128 v[6:9], v1 offset:912
	s_mov_b32 s0, exec_lo
	s_wait_loadcnt_dscnt 0x100
	v_dual_mul_f32 v1, v7, v3 :: v_dual_mul_f32 v12, v8, v5
	v_mul_f32_e32 v3, v6, v3
	s_delay_alu instid0(VALU_DEP_2) | instskip(NEXT) | instid1(VALU_DEP_2)
	v_fma_f32 v1, v6, v2, -v1
	v_dual_fmac_f32 v12, v9, v4 :: v_dual_fmac_f32 v3, v7, v2
	s_delay_alu instid0(VALU_DEP_2) | instskip(NEXT) | instid1(VALU_DEP_2)
	v_add_f32_e32 v1, 0, v1
	v_add_f32_e32 v3, 0, v3
	v_mul_f32_e32 v5, v9, v5
	s_delay_alu instid0(VALU_DEP_1) | instskip(NEXT) | instid1(VALU_DEP_1)
	v_fma_f32 v2, v8, v4, -v5
	v_dual_add_f32 v1, v1, v2 :: v_dual_add_f32 v2, v3, v12
	s_wait_loadcnt 0x0
	s_delay_alu instid0(VALU_DEP_1)
	v_dual_sub_f32 v1, v10, v1 :: v_dual_sub_f32 v2, v11, v2
	scratch_store_b64 off, v[1:2], off offset:440
	v_cmpx_lt_u32_e32 54, v0
	s_cbranch_execz .LBB121_253
; %bb.252:
	scratch_load_b64 v[1:2], off, off offset:432
	v_mov_b32_e32 v3, 0
	s_delay_alu instid0(VALU_DEP_1)
	v_mov_b32_e32 v4, v3
	scratch_store_b64 off, v[3:4], off offset:432
	s_wait_loadcnt 0x0
	ds_store_b64 v31, v[1:2]
.LBB121_253:
	s_wait_alu 0xfffe
	s_or_b32 exec_lo, exec_lo, s0
	s_wait_storecnt_dscnt 0x0
	s_barrier_signal -1
	s_barrier_wait -1
	global_inv scope:SCOPE_SE
	s_clause 0x2
	scratch_load_b128 v[2:5], off, off offset:440
	scratch_load_b64 v[10:11], off, off offset:456
	scratch_load_b64 v[12:13], off, off offset:432
	v_mov_b32_e32 v1, 0
	ds_load_2addr_b64 v[6:9], v1 offset0:113 offset1:114
	ds_load_b64 v[14:15], v1 offset:920
	s_mov_b32 s0, exec_lo
	s_wait_loadcnt_dscnt 0x201
	v_dual_mul_f32 v16, v7, v3 :: v_dual_mul_f32 v17, v8, v5
	s_wait_loadcnt_dscnt 0x100
	v_mul_f32_e32 v18, v14, v11
	v_mul_f32_e32 v3, v6, v3
	;; [unrolled: 1-line block ×3, first 2 shown]
	v_fma_f32 v6, v6, v2, -v16
	s_delay_alu instid0(VALU_DEP_4) | instskip(NEXT) | instid1(VALU_DEP_4)
	v_fmac_f32_e32 v18, v15, v10
	v_fmac_f32_e32 v3, v7, v2
	v_mul_f32_e32 v2, v15, v11
	s_delay_alu instid0(VALU_DEP_1) | instskip(SKIP_3) | instid1(VALU_DEP_1)
	v_fma_f32 v2, v14, v10, -v2
	v_fmac_f32_e32 v17, v9, v4
	v_fma_f32 v4, v8, v4, -v5
	v_add_f32_e32 v5, 0, v6
	v_add_f32_e32 v4, v5, v4
	s_delay_alu instid0(VALU_DEP_1) | instskip(SKIP_1) | instid1(VALU_DEP_1)
	v_dual_add_f32 v2, v4, v2 :: v_dual_add_f32 v3, 0, v3
	s_wait_loadcnt 0x0
	v_dual_sub_f32 v2, v12, v2 :: v_dual_add_f32 v3, v3, v17
	s_delay_alu instid0(VALU_DEP_1) | instskip(NEXT) | instid1(VALU_DEP_1)
	v_add_f32_e32 v3, v3, v18
	v_sub_f32_e32 v3, v13, v3
	scratch_store_b64 off, v[2:3], off offset:432
	v_cmpx_lt_u32_e32 53, v0
	s_cbranch_execz .LBB121_255
; %bb.254:
	scratch_load_b64 v[3:4], off, off offset:424
	v_mov_b32_e32 v2, v1
	scratch_store_b64 off, v[1:2], off offset:424
	s_wait_loadcnt 0x0
	ds_store_b64 v31, v[3:4]
.LBB121_255:
	s_wait_alu 0xfffe
	s_or_b32 exec_lo, exec_lo, s0
	s_wait_storecnt_dscnt 0x0
	s_barrier_signal -1
	s_barrier_wait -1
	global_inv scope:SCOPE_SE
	s_clause 0x2
	scratch_load_b128 v[2:5], off, off offset:432
	scratch_load_b128 v[6:9], off, off offset:448
	scratch_load_b64 v[18:19], off, off offset:424
	ds_load_b128 v[10:13], v1 offset:896
	ds_load_b128 v[14:17], v1 offset:912
	s_mov_b32 s0, exec_lo
	s_wait_loadcnt_dscnt 0x201
	v_dual_mul_f32 v1, v10, v3 :: v_dual_mul_f32 v20, v12, v5
	s_wait_loadcnt_dscnt 0x100
	v_dual_mul_f32 v3, v11, v3 :: v_dual_mul_f32 v22, v16, v9
	v_mul_f32_e32 v5, v13, v5
	s_delay_alu instid0(VALU_DEP_3) | instskip(NEXT) | instid1(VALU_DEP_3)
	v_dual_mul_f32 v21, v14, v7 :: v_dual_fmac_f32 v20, v13, v4
	v_fma_f32 v3, v10, v2, -v3
	s_delay_alu instid0(VALU_DEP_4) | instskip(SKIP_2) | instid1(VALU_DEP_4)
	v_dual_fmac_f32 v1, v11, v2 :: v_dual_fmac_f32 v22, v17, v8
	v_mul_f32_e32 v2, v15, v7
	v_fma_f32 v4, v12, v4, -v5
	v_add_f32_e32 v3, 0, v3
	v_fmac_f32_e32 v21, v15, v6
	s_delay_alu instid0(VALU_DEP_4) | instskip(NEXT) | instid1(VALU_DEP_3)
	v_fma_f32 v2, v14, v6, -v2
	v_add_f32_e32 v3, v3, v4
	s_delay_alu instid0(VALU_DEP_1) | instskip(NEXT) | instid1(VALU_DEP_1)
	v_dual_add_f32 v1, 0, v1 :: v_dual_add_f32 v2, v3, v2
	v_add_f32_e32 v1, v1, v20
	s_delay_alu instid0(VALU_DEP_1) | instskip(NEXT) | instid1(VALU_DEP_1)
	v_add_f32_e32 v1, v1, v21
	v_add_f32_e32 v3, v1, v22
	v_mul_f32_e32 v5, v17, v9
	s_delay_alu instid0(VALU_DEP_1) | instskip(NEXT) | instid1(VALU_DEP_1)
	v_fma_f32 v4, v16, v8, -v5
	v_add_f32_e32 v2, v2, v4
	s_wait_loadcnt 0x0
	s_delay_alu instid0(VALU_DEP_1)
	v_dual_sub_f32 v1, v18, v2 :: v_dual_sub_f32 v2, v19, v3
	scratch_store_b64 off, v[1:2], off offset:424
	v_cmpx_lt_u32_e32 52, v0
	s_cbranch_execz .LBB121_257
; %bb.256:
	scratch_load_b64 v[1:2], off, off offset:416
	v_mov_b32_e32 v3, 0
	s_delay_alu instid0(VALU_DEP_1)
	v_mov_b32_e32 v4, v3
	scratch_store_b64 off, v[3:4], off offset:416
	s_wait_loadcnt 0x0
	ds_store_b64 v31, v[1:2]
.LBB121_257:
	s_wait_alu 0xfffe
	s_or_b32 exec_lo, exec_lo, s0
	s_wait_storecnt_dscnt 0x0
	s_barrier_signal -1
	s_barrier_wait -1
	global_inv scope:SCOPE_SE
	s_clause 0x3
	scratch_load_b128 v[2:5], off, off offset:424
	scratch_load_b128 v[6:9], off, off offset:440
	scratch_load_b64 v[18:19], off, off offset:456
	scratch_load_b64 v[20:21], off, off offset:416
	v_mov_b32_e32 v1, 0
	ds_load_2addr_b64 v[10:13], v1 offset0:111 offset1:112
	ds_load_2addr_b64 v[14:17], v1 offset0:113 offset1:114
	ds_load_b64 v[22:23], v1 offset:920
	s_mov_b32 s0, exec_lo
	s_wait_loadcnt_dscnt 0x302
	v_dual_mul_f32 v24, v10, v3 :: v_dual_mul_f32 v25, v12, v5
	s_wait_loadcnt_dscnt 0x201
	v_dual_mul_f32 v26, v14, v7 :: v_dual_mul_f32 v5, v13, v5
	;; [unrolled: 2-line block ×3, first 2 shown]
	v_dual_fmac_f32 v24, v11, v2 :: v_dual_fmac_f32 v25, v13, v4
	s_delay_alu instid0(VALU_DEP_3) | instskip(SKIP_1) | instid1(VALU_DEP_3)
	v_fmac_f32_e32 v26, v15, v6
	v_fma_f32 v4, v12, v4, -v5
	v_dual_fmac_f32 v28, v23, v18 :: v_dual_add_f32 v5, 0, v24
	v_mul_f32_e32 v3, v11, v3
	s_delay_alu instid0(VALU_DEP_1) | instskip(SKIP_1) | instid1(VALU_DEP_2)
	v_fma_f32 v3, v10, v2, -v3
	v_dual_mul_f32 v2, v15, v7 :: v_dual_mul_f32 v7, v17, v9
	v_add_f32_e32 v3, 0, v3
	s_delay_alu instid0(VALU_DEP_2) | instskip(NEXT) | instid1(VALU_DEP_3)
	v_fma_f32 v2, v14, v6, -v2
	v_fma_f32 v6, v16, v8, -v7
	s_delay_alu instid0(VALU_DEP_3) | instskip(NEXT) | instid1(VALU_DEP_1)
	v_add_f32_e32 v3, v3, v4
	v_add_f32_e32 v2, v3, v2
	;; [unrolled: 1-line block ×3, first 2 shown]
	s_delay_alu instid0(VALU_DEP_2) | instskip(NEXT) | instid1(VALU_DEP_2)
	v_dual_add_f32 v2, v2, v6 :: v_dual_mul_f32 v5, v23, v19
	v_add_f32_e32 v3, v4, v26
	s_delay_alu instid0(VALU_DEP_2) | instskip(NEXT) | instid1(VALU_DEP_1)
	v_fma_f32 v4, v22, v18, -v5
	v_add_f32_e32 v2, v2, v4
	s_wait_loadcnt 0x0
	s_delay_alu instid0(VALU_DEP_1) | instskip(NEXT) | instid1(VALU_DEP_1)
	v_dual_fmac_f32 v27, v17, v8 :: v_dual_sub_f32 v2, v20, v2
	v_add_f32_e32 v3, v3, v27
	s_delay_alu instid0(VALU_DEP_1) | instskip(NEXT) | instid1(VALU_DEP_1)
	v_add_f32_e32 v3, v3, v28
	v_sub_f32_e32 v3, v21, v3
	scratch_store_b64 off, v[2:3], off offset:416
	v_cmpx_lt_u32_e32 51, v0
	s_cbranch_execz .LBB121_259
; %bb.258:
	scratch_load_b64 v[3:4], off, off offset:408
	v_mov_b32_e32 v2, v1
	scratch_store_b64 off, v[1:2], off offset:408
	s_wait_loadcnt 0x0
	ds_store_b64 v31, v[3:4]
.LBB121_259:
	s_wait_alu 0xfffe
	s_or_b32 exec_lo, exec_lo, s0
	s_wait_storecnt_dscnt 0x0
	s_barrier_signal -1
	s_barrier_wait -1
	global_inv scope:SCOPE_SE
	s_clause 0x3
	scratch_load_b128 v[2:5], off, off offset:416
	scratch_load_b128 v[6:9], off, off offset:432
	;; [unrolled: 1-line block ×3, first 2 shown]
	scratch_load_b64 v[26:27], off, off offset:408
	ds_load_b128 v[14:17], v1 offset:880
	ds_load_b128 v[18:21], v1 offset:896
	;; [unrolled: 1-line block ×3, first 2 shown]
	s_mov_b32 s0, exec_lo
	s_wait_loadcnt_dscnt 0x302
	v_dual_mul_f32 v1, v14, v3 :: v_dual_mul_f32 v28, v16, v5
	v_mul_f32_e32 v3, v15, v3
	v_mul_f32_e32 v5, v17, v5
	s_wait_loadcnt_dscnt 0x201
	v_dual_mul_f32 v29, v18, v7 :: v_dual_mul_f32 v30, v20, v9
	v_fmac_f32_e32 v28, v17, v4
	v_fma_f32 v3, v14, v2, -v3
	s_wait_loadcnt_dscnt 0x100
	v_dual_mul_f32 v148, v22, v11 :: v_dual_mul_f32 v149, v24, v13
	v_dual_fmac_f32 v1, v15, v2 :: v_dual_fmac_f32 v30, v21, v8
	v_mul_f32_e32 v2, v19, v7
	v_fma_f32 v4, v16, v4, -v5
	s_delay_alu instid0(VALU_DEP_4) | instskip(NEXT) | instid1(VALU_DEP_4)
	v_dual_add_f32 v3, 0, v3 :: v_dual_fmac_f32 v148, v23, v10
	v_add_f32_e32 v1, 0, v1
	s_delay_alu instid0(VALU_DEP_4) | instskip(SKIP_1) | instid1(VALU_DEP_4)
	v_fma_f32 v2, v18, v6, -v2
	v_fmac_f32_e32 v149, v25, v12
	v_add_f32_e32 v3, v3, v4
	v_dual_mul_f32 v5, v21, v9 :: v_dual_mul_f32 v4, v23, v11
	s_delay_alu instid0(VALU_DEP_2) | instskip(NEXT) | instid1(VALU_DEP_2)
	v_add_f32_e32 v2, v3, v2
	v_fma_f32 v5, v20, v8, -v5
	v_fmac_f32_e32 v29, v19, v6
	s_delay_alu instid0(VALU_DEP_4) | instskip(NEXT) | instid1(VALU_DEP_3)
	v_fma_f32 v4, v22, v10, -v4
	v_add_f32_e32 v2, v2, v5
	s_delay_alu instid0(VALU_DEP_1) | instskip(NEXT) | instid1(VALU_DEP_1)
	v_dual_mul_f32 v3, v25, v13 :: v_dual_add_f32 v2, v2, v4
	v_fma_f32 v3, v24, v12, -v3
	s_delay_alu instid0(VALU_DEP_1) | instskip(NEXT) | instid1(VALU_DEP_1)
	v_dual_add_f32 v1, v1, v28 :: v_dual_add_f32 v2, v2, v3
	v_add_f32_e32 v1, v1, v29
	s_delay_alu instid0(VALU_DEP_1) | instskip(NEXT) | instid1(VALU_DEP_1)
	v_add_f32_e32 v1, v1, v30
	v_add_f32_e32 v1, v1, v148
	s_delay_alu instid0(VALU_DEP_1) | instskip(SKIP_1) | instid1(VALU_DEP_1)
	v_add_f32_e32 v3, v1, v149
	s_wait_loadcnt 0x0
	v_dual_sub_f32 v1, v26, v2 :: v_dual_sub_f32 v2, v27, v3
	scratch_store_b64 off, v[1:2], off offset:408
	v_cmpx_lt_u32_e32 50, v0
	s_cbranch_execz .LBB121_261
; %bb.260:
	scratch_load_b64 v[1:2], off, off offset:400
	v_mov_b32_e32 v3, 0
	s_delay_alu instid0(VALU_DEP_1)
	v_mov_b32_e32 v4, v3
	scratch_store_b64 off, v[3:4], off offset:400
	s_wait_loadcnt 0x0
	ds_store_b64 v31, v[1:2]
.LBB121_261:
	s_wait_alu 0xfffe
	s_or_b32 exec_lo, exec_lo, s0
	s_wait_storecnt_dscnt 0x0
	s_barrier_signal -1
	s_barrier_wait -1
	global_inv scope:SCOPE_SE
	s_clause 0x4
	scratch_load_b128 v[2:5], off, off offset:408
	scratch_load_b128 v[6:9], off, off offset:424
	;; [unrolled: 1-line block ×3, first 2 shown]
	scratch_load_b64 v[26:27], off, off offset:456
	scratch_load_b64 v[28:29], off, off offset:400
	v_mov_b32_e32 v1, 0
	ds_load_2addr_b64 v[14:17], v1 offset0:109 offset1:110
	ds_load_2addr_b64 v[18:21], v1 offset0:111 offset1:112
	;; [unrolled: 1-line block ×3, first 2 shown]
	ds_load_b64 v[148:149], v1 offset:920
	s_mov_b32 s0, exec_lo
	s_wait_loadcnt_dscnt 0x403
	v_mul_f32_e32 v30, v14, v3
	s_wait_loadcnt_dscnt 0x302
	v_dual_mul_f32 v152, v20, v9 :: v_dual_mul_f32 v3, v15, v3
	v_dual_mul_f32 v150, v16, v5 :: v_dual_mul_f32 v151, v18, v7
	s_wait_loadcnt_dscnt 0x100
	v_dual_mul_f32 v155, v148, v27 :: v_dual_fmac_f32 v30, v15, v2
	v_mul_f32_e32 v5, v17, v5
	v_fma_f32 v3, v14, v2, -v3
	v_mul_f32_e32 v2, v19, v7
	v_dual_fmac_f32 v150, v17, v4 :: v_dual_fmac_f32 v151, v19, v6
	s_delay_alu instid0(VALU_DEP_4) | instskip(NEXT) | instid1(VALU_DEP_4)
	v_fma_f32 v4, v16, v4, -v5
	v_add_f32_e32 v3, 0, v3
	v_dual_add_f32 v5, 0, v30 :: v_dual_fmac_f32 v152, v21, v8
	v_fma_f32 v2, v18, v6, -v2
	v_dual_mul_f32 v153, v22, v11 :: v_dual_mul_f32 v154, v24, v13
	s_delay_alu instid0(VALU_DEP_3) | instskip(SKIP_1) | instid1(VALU_DEP_3)
	v_dual_add_f32 v3, v3, v4 :: v_dual_add_f32 v4, v5, v150
	v_mul_f32_e32 v7, v21, v9
	v_dual_fmac_f32 v153, v23, v10 :: v_dual_fmac_f32 v154, v25, v12
	s_delay_alu instid0(VALU_DEP_3) | instskip(NEXT) | instid1(VALU_DEP_3)
	v_dual_add_f32 v2, v3, v2 :: v_dual_add_f32 v3, v4, v151
	v_fma_f32 v6, v20, v8, -v7
	v_dual_mul_f32 v5, v23, v11 :: v_dual_mul_f32 v4, v25, v13
	s_delay_alu instid0(VALU_DEP_2) | instskip(NEXT) | instid1(VALU_DEP_2)
	v_add_f32_e32 v2, v2, v6
	v_fma_f32 v5, v22, v10, -v5
	v_dual_add_f32 v3, v3, v152 :: v_dual_mul_f32 v6, v149, v27
	s_delay_alu instid0(VALU_DEP_4) | instskip(NEXT) | instid1(VALU_DEP_3)
	v_fma_f32 v4, v24, v12, -v4
	v_add_f32_e32 v2, v2, v5
	s_delay_alu instid0(VALU_DEP_3) | instskip(NEXT) | instid1(VALU_DEP_4)
	v_add_f32_e32 v3, v3, v153
	v_fma_f32 v5, v148, v26, -v6
	s_delay_alu instid0(VALU_DEP_3) | instskip(NEXT) | instid1(VALU_DEP_1)
	v_dual_add_f32 v2, v2, v4 :: v_dual_fmac_f32 v155, v149, v26
	v_dual_add_f32 v3, v3, v154 :: v_dual_add_f32 v2, v2, v5
	s_wait_loadcnt 0x0
	s_delay_alu instid0(VALU_DEP_1) | instskip(NEXT) | instid1(VALU_DEP_1)
	v_dual_add_f32 v3, v3, v155 :: v_dual_sub_f32 v2, v28, v2
	v_sub_f32_e32 v3, v29, v3
	scratch_store_b64 off, v[2:3], off offset:400
	v_cmpx_lt_u32_e32 49, v0
	s_cbranch_execz .LBB121_263
; %bb.262:
	scratch_load_b64 v[3:4], off, off offset:392
	v_mov_b32_e32 v2, v1
	scratch_store_b64 off, v[1:2], off offset:392
	s_wait_loadcnt 0x0
	ds_store_b64 v31, v[3:4]
.LBB121_263:
	s_wait_alu 0xfffe
	s_or_b32 exec_lo, exec_lo, s0
	s_wait_storecnt_dscnt 0x0
	s_barrier_signal -1
	s_barrier_wait -1
	global_inv scope:SCOPE_SE
	s_clause 0x4
	scratch_load_b128 v[2:5], off, off offset:400
	scratch_load_b128 v[6:9], off, off offset:416
	;; [unrolled: 1-line block ×4, first 2 shown]
	scratch_load_b64 v[152:153], off, off offset:392
	ds_load_b128 v[18:21], v1 offset:864
	ds_load_b128 v[22:25], v1 offset:880
	;; [unrolled: 1-line block ×4, first 2 shown]
	s_mov_b32 s0, exec_lo
	s_wait_loadcnt_dscnt 0x403
	v_dual_mul_f32 v1, v18, v3 :: v_dual_mul_f32 v30, v20, v5
	v_mul_f32_e32 v3, v19, v3
	s_wait_loadcnt_dscnt 0x302
	v_dual_mul_f32 v5, v21, v5 :: v_dual_mul_f32 v154, v22, v7
	s_delay_alu instid0(VALU_DEP_3) | instskip(NEXT) | instid1(VALU_DEP_3)
	v_dual_mul_f32 v155, v24, v9 :: v_dual_fmac_f32 v30, v21, v4
	v_fma_f32 v3, v18, v2, -v3
	s_wait_loadcnt_dscnt 0x100
	v_dual_mul_f32 v158, v148, v15 :: v_dual_mul_f32 v159, v150, v17
	v_fmac_f32_e32 v1, v19, v2
	v_mul_f32_e32 v2, v23, v7
	v_fma_f32 v4, v20, v4, -v5
	v_dual_add_f32 v3, 0, v3 :: v_dual_fmac_f32 v154, v23, v6
	v_fmac_f32_e32 v158, v149, v14
	s_delay_alu instid0(VALU_DEP_4) | instskip(SKIP_1) | instid1(VALU_DEP_4)
	v_fma_f32 v2, v22, v6, -v2
	v_dual_mul_f32 v156, v26, v11 :: v_dual_mul_f32 v157, v28, v13
	v_add_f32_e32 v3, v3, v4
	v_dual_mul_f32 v5, v25, v9 :: v_dual_mul_f32 v4, v27, v11
	s_delay_alu instid0(VALU_DEP_3) | instskip(NEXT) | instid1(VALU_DEP_3)
	v_dual_fmac_f32 v155, v25, v8 :: v_dual_fmac_f32 v156, v27, v10
	v_add_f32_e32 v2, v3, v2
	s_delay_alu instid0(VALU_DEP_3) | instskip(SKIP_2) | instid1(VALU_DEP_3)
	v_fma_f32 v5, v24, v8, -v5
	v_mul_f32_e32 v3, v29, v13
	v_fma_f32 v4, v26, v10, -v4
	v_dual_fmac_f32 v159, v151, v16 :: v_dual_add_f32 v2, v2, v5
	v_add_f32_e32 v1, 0, v1
	v_mul_f32_e32 v5, v149, v15
	v_fma_f32 v3, v28, v12, -v3
	s_delay_alu instid0(VALU_DEP_3) | instskip(SKIP_1) | instid1(VALU_DEP_4)
	v_dual_add_f32 v2, v2, v4 :: v_dual_add_f32 v1, v1, v30
	v_dual_fmac_f32 v157, v29, v12 :: v_dual_mul_f32 v4, v151, v17
	v_fma_f32 v5, v148, v14, -v5
	s_delay_alu instid0(VALU_DEP_3) | instskip(NEXT) | instid1(VALU_DEP_3)
	v_dual_add_f32 v2, v2, v3 :: v_dual_add_f32 v1, v1, v154
	v_fma_f32 v3, v150, v16, -v4
	s_delay_alu instid0(VALU_DEP_2) | instskip(NEXT) | instid1(VALU_DEP_1)
	v_dual_add_f32 v2, v2, v5 :: v_dual_add_f32 v1, v1, v155
	v_dual_add_f32 v2, v2, v3 :: v_dual_add_f32 v1, v1, v156
	s_delay_alu instid0(VALU_DEP_1) | instskip(NEXT) | instid1(VALU_DEP_1)
	v_add_f32_e32 v1, v1, v157
	v_add_f32_e32 v1, v1, v158
	s_delay_alu instid0(VALU_DEP_1) | instskip(SKIP_1) | instid1(VALU_DEP_1)
	v_add_f32_e32 v3, v1, v159
	s_wait_loadcnt 0x0
	v_dual_sub_f32 v1, v152, v2 :: v_dual_sub_f32 v2, v153, v3
	scratch_store_b64 off, v[1:2], off offset:392
	v_cmpx_lt_u32_e32 48, v0
	s_cbranch_execz .LBB121_265
; %bb.264:
	scratch_load_b64 v[1:2], off, off offset:384
	v_mov_b32_e32 v3, 0
	s_delay_alu instid0(VALU_DEP_1)
	v_mov_b32_e32 v4, v3
	scratch_store_b64 off, v[3:4], off offset:384
	s_wait_loadcnt 0x0
	ds_store_b64 v31, v[1:2]
.LBB121_265:
	s_wait_alu 0xfffe
	s_or_b32 exec_lo, exec_lo, s0
	s_wait_storecnt_dscnt 0x0
	s_barrier_signal -1
	s_barrier_wait -1
	global_inv scope:SCOPE_SE
	s_clause 0x5
	scratch_load_b128 v[2:5], off, off offset:392
	scratch_load_b128 v[6:9], off, off offset:408
	;; [unrolled: 1-line block ×4, first 2 shown]
	scratch_load_b64 v[152:153], off, off offset:456
	scratch_load_b64 v[154:155], off, off offset:384
	v_mov_b32_e32 v1, 0
	ds_load_2addr_b64 v[18:21], v1 offset0:107 offset1:108
	ds_load_2addr_b64 v[22:25], v1 offset0:109 offset1:110
	;; [unrolled: 1-line block ×4, first 2 shown]
	ds_load_b64 v[156:157], v1 offset:920
	s_mov_b32 s0, exec_lo
	s_wait_loadcnt_dscnt 0x504
	v_mul_f32_e32 v30, v18, v3
	s_wait_loadcnt_dscnt 0x302
	v_dual_mul_f32 v3, v19, v3 :: v_dual_mul_f32 v162, v28, v13
	v_dual_mul_f32 v158, v20, v5 :: v_dual_mul_f32 v159, v22, v7
	s_wait_loadcnt_dscnt 0x100
	v_dual_mul_f32 v165, v156, v153 :: v_dual_fmac_f32 v30, v19, v2
	v_mul_f32_e32 v5, v21, v5
	v_fma_f32 v3, v18, v2, -v3
	v_dual_mul_f32 v160, v24, v9 :: v_dual_mul_f32 v161, v26, v11
	v_mul_f32_e32 v2, v23, v7
	s_delay_alu instid0(VALU_DEP_3) | instskip(SKIP_1) | instid1(VALU_DEP_4)
	v_dual_fmac_f32 v158, v21, v4 :: v_dual_add_f32 v3, 0, v3
	v_fma_f32 v4, v20, v4, -v5
	v_dual_add_f32 v5, 0, v30 :: v_dual_fmac_f32 v160, v25, v8
	s_delay_alu instid0(VALU_DEP_4) | instskip(SKIP_1) | instid1(VALU_DEP_3)
	v_fma_f32 v2, v22, v6, -v2
	v_fmac_f32_e32 v159, v23, v6
	v_dual_add_f32 v3, v3, v4 :: v_dual_add_f32 v4, v5, v158
	v_mul_f32_e32 v7, v25, v9
	v_dual_fmac_f32 v161, v27, v10 :: v_dual_fmac_f32 v162, v29, v12
	s_delay_alu instid0(VALU_DEP_3) | instskip(NEXT) | instid1(VALU_DEP_3)
	v_dual_add_f32 v2, v3, v2 :: v_dual_add_f32 v3, v4, v159
	v_fma_f32 v6, v24, v8, -v7
	v_dual_mul_f32 v5, v27, v11 :: v_dual_mul_f32 v4, v29, v13
	v_dual_mul_f32 v163, v148, v15 :: v_dual_mul_f32 v164, v150, v17
	s_delay_alu instid0(VALU_DEP_3) | instskip(NEXT) | instid1(VALU_DEP_3)
	v_add_f32_e32 v2, v2, v6
	v_fma_f32 v5, v26, v10, -v5
	v_dual_add_f32 v3, v3, v160 :: v_dual_mul_f32 v6, v149, v15
	v_fma_f32 v4, v28, v12, -v4
	v_dual_fmac_f32 v163, v149, v14 :: v_dual_fmac_f32 v164, v151, v16
	s_delay_alu instid0(VALU_DEP_4) | instskip(NEXT) | instid1(VALU_DEP_4)
	v_add_f32_e32 v2, v2, v5
	v_add_f32_e32 v3, v3, v161
	v_fma_f32 v6, v148, v14, -v6
	s_delay_alu instid0(VALU_DEP_3) | instskip(NEXT) | instid1(VALU_DEP_3)
	v_dual_add_f32 v2, v2, v4 :: v_dual_mul_f32 v5, v151, v17
	v_dual_add_f32 v3, v3, v162 :: v_dual_mul_f32 v4, v157, v153
	s_delay_alu instid0(VALU_DEP_2) | instskip(NEXT) | instid1(VALU_DEP_3)
	v_add_f32_e32 v2, v2, v6
	v_fma_f32 v5, v150, v16, -v5
	s_delay_alu instid0(VALU_DEP_3) | instskip(NEXT) | instid1(VALU_DEP_4)
	v_add_f32_e32 v3, v3, v163
	v_fma_f32 v4, v156, v152, -v4
	s_delay_alu instid0(VALU_DEP_2) | instskip(NEXT) | instid1(VALU_DEP_1)
	v_dual_add_f32 v2, v2, v5 :: v_dual_add_f32 v3, v3, v164
	v_add_f32_e32 v2, v2, v4
	s_wait_loadcnt 0x0
	s_delay_alu instid0(VALU_DEP_1) | instskip(NEXT) | instid1(VALU_DEP_1)
	v_dual_fmac_f32 v165, v157, v152 :: v_dual_sub_f32 v2, v154, v2
	v_add_f32_e32 v3, v3, v165
	s_delay_alu instid0(VALU_DEP_1)
	v_sub_f32_e32 v3, v155, v3
	scratch_store_b64 off, v[2:3], off offset:384
	v_cmpx_lt_u32_e32 47, v0
	s_cbranch_execz .LBB121_267
; %bb.266:
	scratch_load_b64 v[3:4], off, off offset:376
	v_mov_b32_e32 v2, v1
	scratch_store_b64 off, v[1:2], off offset:376
	s_wait_loadcnt 0x0
	ds_store_b64 v31, v[3:4]
.LBB121_267:
	s_wait_alu 0xfffe
	s_or_b32 exec_lo, exec_lo, s0
	s_wait_storecnt_dscnt 0x0
	s_barrier_signal -1
	s_barrier_wait -1
	global_inv scope:SCOPE_SE
	s_clause 0x5
	scratch_load_b128 v[2:5], off, off offset:384
	scratch_load_b128 v[6:9], off, off offset:400
	;; [unrolled: 1-line block ×5, first 2 shown]
	scratch_load_b64 v[160:161], off, off offset:376
	ds_load_b128 v[22:25], v1 offset:848
	ds_load_b128 v[26:29], v1 offset:864
	;; [unrolled: 1-line block ×5, first 2 shown]
	s_mov_b32 s0, exec_lo
	s_wait_loadcnt_dscnt 0x504
	v_dual_mul_f32 v1, v22, v3 :: v_dual_mul_f32 v30, v24, v5
	v_mul_f32_e32 v3, v23, v3
	s_wait_loadcnt_dscnt 0x403
	v_dual_mul_f32 v5, v25, v5 :: v_dual_mul_f32 v162, v26, v7
	s_delay_alu instid0(VALU_DEP_3) | instskip(NEXT) | instid1(VALU_DEP_3)
	v_dual_mul_f32 v163, v28, v9 :: v_dual_fmac_f32 v30, v25, v4
	v_fma_f32 v3, v22, v2, -v3
	v_fmac_f32_e32 v1, v23, v2
	v_mul_f32_e32 v2, v27, v7
	v_fma_f32 v4, v24, v4, -v5
	s_wait_loadcnt_dscnt 0x302
	v_dual_mul_f32 v164, v148, v11 :: v_dual_mul_f32 v165, v150, v13
	v_dual_add_f32 v3, 0, v3 :: v_dual_fmac_f32 v162, v27, v6
	v_fma_f32 v2, v26, v6, -v2
	s_delay_alu instid0(VALU_DEP_3)
	v_fmac_f32_e32 v164, v149, v10
	s_wait_loadcnt_dscnt 0x201
	v_dual_mul_f32 v166, v152, v15 :: v_dual_mul_f32 v167, v154, v17
	v_dual_add_f32 v3, v3, v4 :: v_dual_mul_f32 v4, v149, v11
	v_add_f32_e32 v1, 0, v1
	v_fmac_f32_e32 v163, v29, v8
	s_delay_alu instid0(VALU_DEP_4) | instskip(NEXT) | instid1(VALU_DEP_4)
	v_fmac_f32_e32 v166, v153, v14
	v_add_f32_e32 v2, v3, v2
	v_fma_f32 v4, v148, v10, -v4
	v_mul_f32_e32 v5, v29, v9
	s_wait_loadcnt_dscnt 0x100
	v_dual_mul_f32 v3, v151, v13 :: v_dual_mul_f32 v168, v156, v19
	v_mul_f32_e32 v169, v158, v21
	v_fmac_f32_e32 v165, v151, v12
	v_fma_f32 v5, v28, v8, -v5
	v_add_f32_e32 v1, v1, v30
	v_fma_f32 v3, v150, v12, -v3
	v_dual_fmac_f32 v168, v157, v18 :: v_dual_fmac_f32 v167, v155, v16
	s_delay_alu instid0(VALU_DEP_4) | instskip(NEXT) | instid1(VALU_DEP_1)
	v_dual_add_f32 v2, v2, v5 :: v_dual_fmac_f32 v169, v159, v20
	v_add_f32_e32 v2, v2, v4
	v_dual_mul_f32 v4, v155, v17 :: v_dual_add_f32 v1, v1, v162
	s_delay_alu instid0(VALU_DEP_2) | instskip(NEXT) | instid1(VALU_DEP_2)
	v_add_f32_e32 v2, v2, v3
	v_fma_f32 v4, v154, v16, -v4
	v_mul_f32_e32 v5, v153, v15
	v_mul_f32_e32 v3, v157, v19
	s_delay_alu instid0(VALU_DEP_2) | instskip(SKIP_1) | instid1(VALU_DEP_3)
	v_fma_f32 v5, v152, v14, -v5
	v_add_f32_e32 v1, v1, v163
	v_fma_f32 v3, v156, v18, -v3
	s_delay_alu instid0(VALU_DEP_3) | instskip(NEXT) | instid1(VALU_DEP_1)
	v_add_f32_e32 v2, v2, v5
	v_dual_mul_f32 v5, v159, v21 :: v_dual_add_f32 v2, v2, v4
	s_delay_alu instid0(VALU_DEP_4) | instskip(NEXT) | instid1(VALU_DEP_2)
	v_add_f32_e32 v1, v1, v164
	v_fma_f32 v4, v158, v20, -v5
	s_delay_alu instid0(VALU_DEP_2) | instskip(NEXT) | instid1(VALU_DEP_1)
	v_dual_add_f32 v2, v2, v3 :: v_dual_add_f32 v1, v1, v165
	v_dual_add_f32 v2, v2, v4 :: v_dual_add_f32 v1, v1, v166
	s_delay_alu instid0(VALU_DEP_1) | instskip(NEXT) | instid1(VALU_DEP_1)
	v_add_f32_e32 v1, v1, v167
	v_add_f32_e32 v1, v1, v168
	s_delay_alu instid0(VALU_DEP_1) | instskip(SKIP_1) | instid1(VALU_DEP_1)
	v_add_f32_e32 v3, v1, v169
	s_wait_loadcnt 0x0
	v_dual_sub_f32 v1, v160, v2 :: v_dual_sub_f32 v2, v161, v3
	scratch_store_b64 off, v[1:2], off offset:376
	v_cmpx_lt_u32_e32 46, v0
	s_cbranch_execz .LBB121_269
; %bb.268:
	scratch_load_b64 v[1:2], off, off offset:368
	v_mov_b32_e32 v3, 0
	s_delay_alu instid0(VALU_DEP_1)
	v_mov_b32_e32 v4, v3
	scratch_store_b64 off, v[3:4], off offset:368
	s_wait_loadcnt 0x0
	ds_store_b64 v31, v[1:2]
.LBB121_269:
	s_wait_alu 0xfffe
	s_or_b32 exec_lo, exec_lo, s0
	s_wait_storecnt_dscnt 0x0
	s_barrier_signal -1
	s_barrier_wait -1
	global_inv scope:SCOPE_SE
	s_clause 0x6
	scratch_load_b128 v[2:5], off, off offset:376
	scratch_load_b128 v[6:9], off, off offset:392
	;; [unrolled: 1-line block ×5, first 2 shown]
	scratch_load_b64 v[160:161], off, off offset:456
	scratch_load_b64 v[162:163], off, off offset:368
	v_mov_b32_e32 v1, 0
	ds_load_2addr_b64 v[22:25], v1 offset0:105 offset1:106
	ds_load_2addr_b64 v[26:29], v1 offset0:107 offset1:108
	;; [unrolled: 1-line block ×5, first 2 shown]
	ds_load_b64 v[164:165], v1 offset:920
	s_mov_b32 s0, exec_lo
	s_wait_loadcnt_dscnt 0x605
	v_mul_f32_e32 v30, v22, v3
	s_wait_loadcnt_dscnt 0x504
	v_dual_mul_f32 v168, v28, v9 :: v_dual_mul_f32 v3, v23, v3
	v_dual_mul_f32 v166, v24, v5 :: v_dual_mul_f32 v167, v26, v7
	s_wait_loadcnt_dscnt 0x100
	v_dual_mul_f32 v175, v164, v161 :: v_dual_fmac_f32 v30, v23, v2
	v_mul_f32_e32 v5, v25, v5
	v_fma_f32 v3, v22, v2, -v3
	v_mul_f32_e32 v2, v27, v7
	v_fmac_f32_e32 v166, v25, v4
	v_fmac_f32_e32 v168, v29, v8
	v_fma_f32 v4, v24, v4, -v5
	v_add_f32_e32 v3, 0, v3
	v_add_f32_e32 v5, 0, v30
	v_fma_f32 v2, v26, v6, -v2
	v_fmac_f32_e32 v167, v27, v6
	v_dual_mul_f32 v169, v148, v11 :: v_dual_mul_f32 v170, v150, v13
	s_delay_alu instid0(VALU_DEP_4) | instskip(SKIP_1) | instid1(VALU_DEP_3)
	v_dual_add_f32 v3, v3, v4 :: v_dual_add_f32 v4, v5, v166
	v_mul_f32_e32 v7, v29, v9
	v_dual_mul_f32 v5, v149, v11 :: v_dual_fmac_f32 v170, v151, v12
	s_delay_alu instid0(VALU_DEP_3) | instskip(SKIP_1) | instid1(VALU_DEP_4)
	v_dual_add_f32 v2, v3, v2 :: v_dual_mul_f32 v171, v152, v15
	v_mul_f32_e32 v172, v154, v17
	v_fma_f32 v6, v28, v8, -v7
	v_dual_mul_f32 v173, v156, v19 :: v_dual_mul_f32 v174, v158, v21
	s_delay_alu instid0(VALU_DEP_3) | instskip(NEXT) | instid1(VALU_DEP_3)
	v_dual_fmac_f32 v171, v153, v14 :: v_dual_fmac_f32 v172, v155, v16
	v_add_f32_e32 v2, v2, v6
	v_mul_f32_e32 v6, v153, v15
	v_dual_add_f32 v3, v4, v167 :: v_dual_mul_f32 v4, v151, v13
	v_fma_f32 v5, v148, v10, -v5
	v_fmac_f32_e32 v173, v157, v18
	s_delay_alu instid0(VALU_DEP_4) | instskip(NEXT) | instid1(VALU_DEP_4)
	v_fma_f32 v6, v152, v14, -v6
	v_add_f32_e32 v3, v3, v168
	s_delay_alu instid0(VALU_DEP_4) | instskip(SKIP_3) | instid1(VALU_DEP_3)
	v_dual_fmac_f32 v169, v149, v10 :: v_dual_add_f32 v2, v2, v5
	v_fma_f32 v4, v150, v12, -v4
	v_mul_f32_e32 v5, v155, v17
	v_fmac_f32_e32 v174, v159, v20
	v_dual_add_f32 v3, v3, v169 :: v_dual_add_f32 v2, v2, v4
	v_mul_f32_e32 v4, v157, v19
	s_delay_alu instid0(VALU_DEP_4) | instskip(NEXT) | instid1(VALU_DEP_3)
	v_fma_f32 v5, v154, v16, -v5
	v_add_f32_e32 v2, v2, v6
	s_delay_alu instid0(VALU_DEP_4) | instskip(SKIP_2) | instid1(VALU_DEP_3)
	v_add_f32_e32 v3, v3, v170
	v_mul_f32_e32 v6, v159, v21
	v_fma_f32 v4, v156, v18, -v4
	v_dual_add_f32 v2, v2, v5 :: v_dual_add_f32 v3, v3, v171
	v_mul_f32_e32 v5, v165, v161
	s_delay_alu instid0(VALU_DEP_4) | instskip(NEXT) | instid1(VALU_DEP_3)
	v_fma_f32 v6, v158, v20, -v6
	v_add_f32_e32 v2, v2, v4
	s_delay_alu instid0(VALU_DEP_4) | instskip(NEXT) | instid1(VALU_DEP_4)
	v_add_f32_e32 v3, v3, v172
	v_fma_f32 v4, v164, v160, -v5
	s_delay_alu instid0(VALU_DEP_2) | instskip(NEXT) | instid1(VALU_DEP_1)
	v_dual_add_f32 v2, v2, v6 :: v_dual_add_f32 v3, v3, v173
	v_dual_add_f32 v2, v2, v4 :: v_dual_add_f32 v3, v3, v174
	s_wait_loadcnt 0x0
	s_delay_alu instid0(VALU_DEP_1) | instskip(NEXT) | instid1(VALU_DEP_1)
	v_dual_fmac_f32 v175, v165, v160 :: v_dual_sub_f32 v2, v162, v2
	v_add_f32_e32 v3, v3, v175
	s_delay_alu instid0(VALU_DEP_1)
	v_sub_f32_e32 v3, v163, v3
	scratch_store_b64 off, v[2:3], off offset:368
	v_cmpx_lt_u32_e32 45, v0
	s_cbranch_execz .LBB121_271
; %bb.270:
	scratch_load_b64 v[3:4], off, off offset:360
	v_mov_b32_e32 v2, v1
	scratch_store_b64 off, v[1:2], off offset:360
	s_wait_loadcnt 0x0
	ds_store_b64 v31, v[3:4]
.LBB121_271:
	s_wait_alu 0xfffe
	s_or_b32 exec_lo, exec_lo, s0
	s_wait_storecnt_dscnt 0x0
	s_barrier_signal -1
	s_barrier_wait -1
	global_inv scope:SCOPE_SE
	s_clause 0x6
	scratch_load_b128 v[2:5], off, off offset:368
	scratch_load_b128 v[6:9], off, off offset:384
	;; [unrolled: 1-line block ×6, first 2 shown]
	scratch_load_b64 v[168:169], off, off offset:360
	ds_load_b128 v[26:29], v1 offset:832
	ds_load_b128 v[148:151], v1 offset:848
	;; [unrolled: 1-line block ×6, first 2 shown]
	s_mov_b32 s0, exec_lo
	s_wait_loadcnt_dscnt 0x605
	v_dual_mul_f32 v1, v26, v3 :: v_dual_mul_f32 v30, v28, v5
	v_mul_f32_e32 v3, v27, v3
	s_wait_loadcnt_dscnt 0x504
	v_dual_mul_f32 v170, v148, v7 :: v_dual_mul_f32 v171, v150, v9
	s_delay_alu instid0(VALU_DEP_3) | instskip(NEXT) | instid1(VALU_DEP_3)
	v_dual_fmac_f32 v1, v27, v2 :: v_dual_fmac_f32 v30, v29, v4
	v_fma_f32 v3, v26, v2, -v3
	v_mul_f32_e32 v2, v149, v7
	s_wait_loadcnt_dscnt 0x403
	v_dual_mul_f32 v172, v152, v11 :: v_dual_mul_f32 v173, v154, v13
	s_delay_alu instid0(VALU_DEP_3) | instskip(NEXT) | instid1(VALU_DEP_3)
	v_dual_fmac_f32 v170, v149, v6 :: v_dual_add_f32 v3, 0, v3
	v_fma_f32 v2, v148, v6, -v2
	v_mul_f32_e32 v5, v29, v5
	s_delay_alu instid0(VALU_DEP_4) | instskip(SKIP_2) | instid1(VALU_DEP_3)
	v_dual_fmac_f32 v172, v153, v10 :: v_dual_add_f32 v1, 0, v1
	s_wait_loadcnt_dscnt 0x201
	v_dual_mul_f32 v176, v160, v19 :: v_dual_mul_f32 v177, v162, v21
	v_fma_f32 v4, v28, v4, -v5
	v_dual_mul_f32 v5, v151, v9 :: v_dual_mul_f32 v174, v156, v15
	s_delay_alu instid0(VALU_DEP_3) | instskip(SKIP_1) | instid1(VALU_DEP_3)
	v_dual_mul_f32 v175, v158, v17 :: v_dual_fmac_f32 v176, v161, v18
	v_fmac_f32_e32 v171, v151, v8
	v_fma_f32 v5, v150, v8, -v5
	v_dual_add_f32 v3, v3, v4 :: v_dual_mul_f32 v4, v153, v11
	s_wait_loadcnt_dscnt 0x100
	v_dual_mul_f32 v178, v164, v23 :: v_dual_mul_f32 v179, v166, v25
	v_fmac_f32_e32 v174, v157, v14
	s_delay_alu instid0(VALU_DEP_3) | instskip(SKIP_3) | instid1(VALU_DEP_4)
	v_add_f32_e32 v2, v3, v2
	v_fma_f32 v4, v152, v10, -v4
	v_mul_f32_e32 v3, v155, v13
	v_fmac_f32_e32 v175, v159, v16
	v_dual_fmac_f32 v177, v163, v20 :: v_dual_add_f32 v2, v2, v5
	v_add_f32_e32 v1, v1, v30
	s_delay_alu instid0(VALU_DEP_4) | instskip(SKIP_1) | instid1(VALU_DEP_3)
	v_fma_f32 v3, v154, v12, -v3
	v_dual_fmac_f32 v179, v167, v24 :: v_dual_fmac_f32 v178, v165, v22
	v_dual_add_f32 v2, v2, v4 :: v_dual_add_f32 v1, v1, v170
	v_mul_f32_e32 v4, v159, v17
	s_delay_alu instid0(VALU_DEP_2) | instskip(NEXT) | instid1(VALU_DEP_2)
	v_dual_fmac_f32 v173, v155, v12 :: v_dual_add_f32 v2, v2, v3
	v_fma_f32 v4, v158, v16, -v4
	v_mul_f32_e32 v5, v157, v15
	s_delay_alu instid0(VALU_DEP_1) | instskip(NEXT) | instid1(VALU_DEP_1)
	v_fma_f32 v5, v156, v14, -v5
	v_dual_add_f32 v1, v1, v171 :: v_dual_add_f32 v2, v2, v5
	s_delay_alu instid0(VALU_DEP_1) | instskip(NEXT) | instid1(VALU_DEP_1)
	v_dual_mul_f32 v5, v163, v21 :: v_dual_add_f32 v2, v2, v4
	v_fma_f32 v5, v162, v20, -v5
	v_mul_f32_e32 v3, v161, v19
	v_mul_f32_e32 v4, v165, v23
	s_delay_alu instid0(VALU_DEP_2) | instskip(SKIP_1) | instid1(VALU_DEP_3)
	v_fma_f32 v3, v160, v18, -v3
	v_add_f32_e32 v1, v1, v172
	v_fma_f32 v4, v164, v22, -v4
	s_delay_alu instid0(VALU_DEP_3) | instskip(NEXT) | instid1(VALU_DEP_1)
	v_dual_add_f32 v2, v2, v3 :: v_dual_mul_f32 v3, v167, v25
	v_add_f32_e32 v2, v2, v5
	s_delay_alu instid0(VALU_DEP_4) | instskip(NEXT) | instid1(VALU_DEP_3)
	v_add_f32_e32 v1, v1, v173
	v_fma_f32 v3, v166, v24, -v3
	s_delay_alu instid0(VALU_DEP_2) | instskip(NEXT) | instid1(VALU_DEP_1)
	v_dual_add_f32 v2, v2, v4 :: v_dual_add_f32 v1, v1, v174
	v_add_f32_e32 v2, v2, v3
	s_delay_alu instid0(VALU_DEP_2) | instskip(NEXT) | instid1(VALU_DEP_1)
	v_add_f32_e32 v1, v1, v175
	v_add_f32_e32 v1, v1, v176
	s_delay_alu instid0(VALU_DEP_1) | instskip(NEXT) | instid1(VALU_DEP_1)
	v_add_f32_e32 v1, v1, v177
	v_add_f32_e32 v1, v1, v178
	s_delay_alu instid0(VALU_DEP_1) | instskip(SKIP_1) | instid1(VALU_DEP_1)
	v_add_f32_e32 v3, v1, v179
	s_wait_loadcnt 0x0
	v_dual_sub_f32 v1, v168, v2 :: v_dual_sub_f32 v2, v169, v3
	scratch_store_b64 off, v[1:2], off offset:360
	v_cmpx_lt_u32_e32 44, v0
	s_cbranch_execz .LBB121_273
; %bb.272:
	scratch_load_b64 v[1:2], off, off offset:352
	v_mov_b32_e32 v3, 0
	s_delay_alu instid0(VALU_DEP_1)
	v_mov_b32_e32 v4, v3
	scratch_store_b64 off, v[3:4], off offset:352
	s_wait_loadcnt 0x0
	ds_store_b64 v31, v[1:2]
.LBB121_273:
	s_wait_alu 0xfffe
	s_or_b32 exec_lo, exec_lo, s0
	s_wait_storecnt_dscnt 0x0
	s_barrier_signal -1
	s_barrier_wait -1
	global_inv scope:SCOPE_SE
	s_clause 0x7
	scratch_load_b128 v[2:5], off, off offset:360
	scratch_load_b128 v[6:9], off, off offset:376
	;; [unrolled: 1-line block ×6, first 2 shown]
	scratch_load_b64 v[168:169], off, off offset:456
	scratch_load_b64 v[170:171], off, off offset:352
	v_mov_b32_e32 v1, 0
	ds_load_2addr_b64 v[26:29], v1 offset0:103 offset1:104
	ds_load_2addr_b64 v[148:151], v1 offset0:105 offset1:106
	;; [unrolled: 1-line block ×6, first 2 shown]
	ds_load_b64 v[172:173], v1 offset:920
	s_mov_b32 s0, exec_lo
	s_wait_loadcnt_dscnt 0x706
	v_mul_f32_e32 v30, v26, v3
	v_dual_mul_f32 v174, v28, v5 :: v_dual_mul_f32 v3, v27, v3
	s_wait_loadcnt_dscnt 0x605
	v_dual_mul_f32 v175, v148, v7 :: v_dual_mul_f32 v176, v150, v9
	v_mul_f32_e32 v5, v29, v5
	s_wait_loadcnt_dscnt 0x100
	v_dual_mul_f32 v185, v172, v169 :: v_dual_fmac_f32 v30, v27, v2
	v_fma_f32 v3, v26, v2, -v3
	v_mul_f32_e32 v2, v149, v7
	v_fmac_f32_e32 v174, v29, v4
	v_fmac_f32_e32 v176, v151, v8
	v_fma_f32 v4, v28, v4, -v5
	v_add_f32_e32 v3, 0, v3
	v_add_f32_e32 v5, 0, v30
	v_mul_f32_e32 v7, v151, v9
	v_fma_f32 v2, v148, v6, -v2
	v_fmac_f32_e32 v175, v149, v6
	s_delay_alu instid0(VALU_DEP_4) | instskip(SKIP_3) | instid1(VALU_DEP_4)
	v_dual_add_f32 v3, v3, v4 :: v_dual_add_f32 v4, v5, v174
	v_mul_f32_e32 v5, v153, v11
	v_fma_f32 v6, v150, v8, -v7
	v_dual_mul_f32 v177, v152, v11 :: v_dual_mul_f32 v178, v154, v13
	v_dual_add_f32 v2, v3, v2 :: v_dual_add_f32 v3, v4, v175
	v_mul_f32_e32 v4, v155, v13
	v_fma_f32 v5, v152, v10, -v5
	s_delay_alu instid0(VALU_DEP_4) | instskip(NEXT) | instid1(VALU_DEP_4)
	v_fmac_f32_e32 v178, v155, v12
	v_add_f32_e32 v2, v2, v6
	v_fmac_f32_e32 v177, v153, v10
	v_dual_add_f32 v3, v3, v176 :: v_dual_mul_f32 v6, v157, v15
	v_fma_f32 v4, v154, v12, -v4
	s_delay_alu instid0(VALU_DEP_4) | instskip(SKIP_1) | instid1(VALU_DEP_4)
	v_dual_add_f32 v2, v2, v5 :: v_dual_mul_f32 v179, v156, v15
	v_mul_f32_e32 v180, v158, v17
	v_add_f32_e32 v3, v3, v177
	v_mul_f32_e32 v5, v159, v17
	v_fma_f32 v6, v156, v14, -v6
	v_dual_add_f32 v2, v2, v4 :: v_dual_fmac_f32 v179, v157, v14
	v_fmac_f32_e32 v180, v159, v16
	v_mul_f32_e32 v4, v161, v19
	v_fma_f32 v5, v158, v16, -v5
	s_delay_alu instid0(VALU_DEP_4) | instskip(SKIP_4) | instid1(VALU_DEP_4)
	v_add_f32_e32 v2, v2, v6
	v_add_f32_e32 v3, v3, v178
	v_dual_mul_f32 v181, v160, v19 :: v_dual_mul_f32 v182, v162, v21
	v_mul_f32_e32 v6, v163, v21
	v_fma_f32 v4, v160, v18, -v4
	v_dual_add_f32 v2, v2, v5 :: v_dual_add_f32 v3, v3, v179
	s_delay_alu instid0(VALU_DEP_4) | instskip(NEXT) | instid1(VALU_DEP_4)
	v_fmac_f32_e32 v181, v161, v18
	v_fma_f32 v6, v162, v20, -v6
	v_dual_mul_f32 v183, v164, v23 :: v_dual_mul_f32 v184, v166, v25
	s_delay_alu instid0(VALU_DEP_4) | instskip(SKIP_2) | instid1(VALU_DEP_4)
	v_add_f32_e32 v2, v2, v4
	v_add_f32_e32 v3, v3, v180
	v_dual_mul_f32 v5, v165, v23 :: v_dual_fmac_f32 v182, v163, v20
	v_dual_mul_f32 v4, v167, v25 :: v_dual_fmac_f32 v183, v165, v22
	s_delay_alu instid0(VALU_DEP_3) | instskip(NEXT) | instid1(VALU_DEP_3)
	v_dual_add_f32 v2, v2, v6 :: v_dual_add_f32 v3, v3, v181
	v_fma_f32 v5, v164, v22, -v5
	v_mul_f32_e32 v6, v173, v169
	v_fmac_f32_e32 v184, v167, v24
	v_fma_f32 v4, v166, v24, -v4
	s_delay_alu instid0(VALU_DEP_4) | instskip(NEXT) | instid1(VALU_DEP_4)
	v_dual_add_f32 v3, v3, v182 :: v_dual_add_f32 v2, v2, v5
	v_fma_f32 v5, v172, v168, -v6
	s_delay_alu instid0(VALU_DEP_2) | instskip(NEXT) | instid1(VALU_DEP_1)
	v_add_f32_e32 v3, v3, v183
	v_add_f32_e32 v3, v3, v184
	s_delay_alu instid0(VALU_DEP_4) | instskip(NEXT) | instid1(VALU_DEP_1)
	v_add_f32_e32 v2, v2, v4
	v_dual_fmac_f32 v185, v173, v168 :: v_dual_add_f32 v2, v2, v5
	s_wait_loadcnt 0x0
	s_delay_alu instid0(VALU_DEP_1) | instskip(NEXT) | instid1(VALU_DEP_1)
	v_dual_sub_f32 v2, v170, v2 :: v_dual_add_f32 v3, v3, v185
	v_sub_f32_e32 v3, v171, v3
	scratch_store_b64 off, v[2:3], off offset:352
	v_cmpx_lt_u32_e32 43, v0
	s_cbranch_execz .LBB121_275
; %bb.274:
	scratch_load_b64 v[3:4], off, off offset:344
	v_mov_b32_e32 v2, v1
	scratch_store_b64 off, v[1:2], off offset:344
	s_wait_loadcnt 0x0
	ds_store_b64 v31, v[3:4]
.LBB121_275:
	s_wait_alu 0xfffe
	s_or_b32 exec_lo, exec_lo, s0
	s_wait_storecnt_dscnt 0x0
	s_barrier_signal -1
	s_barrier_wait -1
	global_inv scope:SCOPE_SE
	s_clause 0x7
	scratch_load_b128 v[2:5], off, off offset:352
	scratch_load_b128 v[6:9], off, off offset:368
	;; [unrolled: 1-line block ×7, first 2 shown]
	scratch_load_b64 v[176:177], off, off offset:344
	ds_load_b128 v[148:151], v1 offset:816
	ds_load_b128 v[152:155], v1 offset:832
	;; [unrolled: 1-line block ×7, first 2 shown]
	s_mov_b32 s0, exec_lo
	s_wait_loadcnt_dscnt 0x706
	v_dual_mul_f32 v1, v148, v3 :: v_dual_mul_f32 v30, v150, v5
	v_mul_f32_e32 v3, v149, v3
	s_wait_loadcnt_dscnt 0x605
	v_dual_mul_f32 v5, v151, v5 :: v_dual_mul_f32 v178, v152, v7
	s_delay_alu instid0(VALU_DEP_3) | instskip(NEXT) | instid1(VALU_DEP_3)
	v_dual_mul_f32 v179, v154, v9 :: v_dual_fmac_f32 v30, v151, v4
	v_fma_f32 v3, v148, v2, -v3
	v_fmac_f32_e32 v1, v149, v2
	v_mul_f32_e32 v2, v153, v7
	v_fma_f32 v4, v150, v4, -v5
	s_wait_loadcnt_dscnt 0x504
	v_dual_mul_f32 v180, v156, v11 :: v_dual_mul_f32 v181, v158, v13
	v_dual_add_f32 v3, 0, v3 :: v_dual_fmac_f32 v178, v153, v6
	s_wait_loadcnt_dscnt 0x403
	v_dual_mul_f32 v182, v160, v15 :: v_dual_mul_f32 v183, v162, v17
	s_delay_alu instid0(VALU_DEP_3) | instskip(SKIP_1) | instid1(VALU_DEP_3)
	v_dual_mul_f32 v5, v155, v9 :: v_dual_fmac_f32 v180, v157, v10
	v_fma_f32 v2, v152, v6, -v2
	v_dual_add_f32 v3, v3, v4 :: v_dual_fmac_f32 v182, v161, v14
	s_delay_alu instid0(VALU_DEP_3)
	v_fma_f32 v5, v154, v8, -v5
	v_mul_f32_e32 v4, v157, v11
	s_wait_loadcnt_dscnt 0x302
	v_dual_mul_f32 v184, v164, v19 :: v_dual_mul_f32 v185, v166, v21
	v_add_f32_e32 v2, v3, v2
	v_mul_f32_e32 v3, v159, v13
	v_fma_f32 v4, v156, v10, -v4
	s_delay_alu instid0(VALU_DEP_4)
	v_fmac_f32_e32 v184, v165, v18
	s_wait_loadcnt_dscnt 0x201
	v_dual_mul_f32 v186, v168, v23 :: v_dual_mul_f32 v187, v170, v25
	v_add_f32_e32 v2, v2, v5
	v_add_f32_e32 v1, 0, v1
	v_fma_f32 v3, v158, v12, -v3
	s_wait_loadcnt_dscnt 0x100
	v_dual_fmac_f32 v183, v163, v16 :: v_dual_mul_f32 v188, v172, v27
	v_mul_f32_e32 v189, v174, v29
	v_dual_add_f32 v1, v1, v30 :: v_dual_add_f32 v2, v2, v4
	v_mul_f32_e32 v4, v163, v17
	v_fmac_f32_e32 v179, v155, v8
	v_dual_fmac_f32 v185, v167, v20 :: v_dual_fmac_f32 v188, v173, v26
	s_delay_alu instid0(VALU_DEP_4) | instskip(NEXT) | instid1(VALU_DEP_4)
	v_add_f32_e32 v1, v1, v178
	v_fma_f32 v4, v162, v16, -v4
	v_mul_f32_e32 v5, v161, v15
	v_add_f32_e32 v2, v2, v3
	v_fmac_f32_e32 v186, v169, v22
	v_add_f32_e32 v1, v1, v179
	v_fmac_f32_e32 v189, v175, v28
	v_fma_f32 v5, v160, v14, -v5
	s_delay_alu instid0(VALU_DEP_1) | instskip(NEXT) | instid1(VALU_DEP_1)
	v_dual_fmac_f32 v181, v159, v12 :: v_dual_add_f32 v2, v2, v5
	v_dual_mul_f32 v5, v167, v21 :: v_dual_add_f32 v2, v2, v4
	s_delay_alu instid0(VALU_DEP_1) | instskip(SKIP_2) | instid1(VALU_DEP_2)
	v_fma_f32 v5, v166, v20, -v5
	v_mul_f32_e32 v3, v165, v19
	v_mul_f32_e32 v4, v169, v23
	v_fma_f32 v3, v164, v18, -v3
	v_add_f32_e32 v1, v1, v180
	s_delay_alu instid0(VALU_DEP_3) | instskip(NEXT) | instid1(VALU_DEP_3)
	v_fma_f32 v4, v168, v22, -v4
	v_dual_add_f32 v2, v2, v3 :: v_dual_mul_f32 v3, v171, v25
	s_delay_alu instid0(VALU_DEP_1) | instskip(NEXT) | instid1(VALU_DEP_4)
	v_add_f32_e32 v2, v2, v5
	v_add_f32_e32 v1, v1, v181
	v_mul_f32_e32 v5, v173, v27
	s_delay_alu instid0(VALU_DEP_4) | instskip(NEXT) | instid1(VALU_DEP_3)
	v_fma_f32 v3, v170, v24, -v3
	v_dual_add_f32 v2, v2, v4 :: v_dual_add_f32 v1, v1, v182
	v_mul_f32_e32 v4, v175, v29
	v_fmac_f32_e32 v187, v171, v24
	v_fma_f32 v5, v172, v26, -v5
	s_delay_alu instid0(VALU_DEP_4) | instskip(SKIP_2) | instid1(VALU_DEP_2)
	v_add_f32_e32 v2, v2, v3
	v_add_f32_e32 v1, v1, v183
	v_fma_f32 v3, v174, v28, -v4
	v_dual_add_f32 v2, v2, v5 :: v_dual_add_f32 v1, v1, v184
	s_delay_alu instid0(VALU_DEP_1) | instskip(NEXT) | instid1(VALU_DEP_1)
	v_dual_add_f32 v2, v2, v3 :: v_dual_add_f32 v1, v1, v185
	v_add_f32_e32 v1, v1, v186
	s_delay_alu instid0(VALU_DEP_1) | instskip(NEXT) | instid1(VALU_DEP_1)
	v_add_f32_e32 v1, v1, v187
	v_add_f32_e32 v1, v1, v188
	s_delay_alu instid0(VALU_DEP_1) | instskip(SKIP_1) | instid1(VALU_DEP_1)
	v_add_f32_e32 v3, v1, v189
	s_wait_loadcnt 0x0
	v_dual_sub_f32 v1, v176, v2 :: v_dual_sub_f32 v2, v177, v3
	scratch_store_b64 off, v[1:2], off offset:344
	v_cmpx_lt_u32_e32 42, v0
	s_cbranch_execz .LBB121_277
; %bb.276:
	scratch_load_b64 v[1:2], off, off offset:336
	v_mov_b32_e32 v3, 0
	s_delay_alu instid0(VALU_DEP_1)
	v_mov_b32_e32 v4, v3
	scratch_store_b64 off, v[3:4], off offset:336
	s_wait_loadcnt 0x0
	ds_store_b64 v31, v[1:2]
.LBB121_277:
	s_wait_alu 0xfffe
	s_or_b32 exec_lo, exec_lo, s0
	s_wait_storecnt_dscnt 0x0
	s_barrier_signal -1
	s_barrier_wait -1
	global_inv scope:SCOPE_SE
	s_clause 0x8
	scratch_load_b128 v[2:5], off, off offset:344
	scratch_load_b128 v[6:9], off, off offset:360
	;; [unrolled: 1-line block ×7, first 2 shown]
	scratch_load_b64 v[176:177], off, off offset:456
	scratch_load_b64 v[178:179], off, off offset:336
	v_mov_b32_e32 v1, 0
	ds_load_2addr_b64 v[148:151], v1 offset0:101 offset1:102
	ds_load_2addr_b64 v[152:155], v1 offset0:103 offset1:104
	;; [unrolled: 1-line block ×7, first 2 shown]
	ds_load_b64 v[180:181], v1 offset:920
	s_mov_b32 s0, exec_lo
	s_wait_loadcnt_dscnt 0x807
	v_mul_f32_e32 v30, v148, v3
	v_dual_mul_f32 v3, v149, v3 :: v_dual_mul_f32 v182, v150, v5
	s_wait_loadcnt_dscnt 0x706
	v_mul_f32_e32 v183, v152, v7
	v_mul_f32_e32 v5, v151, v5
	s_wait_loadcnt_dscnt 0x302
	v_mul_f32_e32 v192, v170, v25
	v_fma_f32 v3, v148, v2, -v3
	v_dual_mul_f32 v184, v154, v9 :: v_dual_mul_f32 v185, v156, v11
	s_wait_loadcnt_dscnt 0x100
	v_dual_mul_f32 v195, v180, v177 :: v_dual_fmac_f32 v30, v149, v2
	v_mul_f32_e32 v2, v153, v7
	v_dual_fmac_f32 v182, v151, v4 :: v_dual_add_f32 v3, 0, v3
	v_fma_f32 v4, v150, v4, -v5
	s_delay_alu instid0(VALU_DEP_4) | instskip(SKIP_2) | instid1(VALU_DEP_4)
	v_dual_add_f32 v5, 0, v30 :: v_dual_fmac_f32 v184, v155, v8
	v_mul_f32_e32 v7, v155, v9
	v_fma_f32 v2, v152, v6, -v2
	v_add_f32_e32 v3, v3, v4
	v_fmac_f32_e32 v183, v153, v6
	v_add_f32_e32 v4, v5, v182
	v_mul_f32_e32 v5, v157, v11
	v_fma_f32 v6, v154, v8, -v7
	v_add_f32_e32 v2, v3, v2
	v_dual_mul_f32 v186, v158, v13 :: v_dual_mul_f32 v187, v160, v15
	v_dual_add_f32 v3, v4, v183 :: v_dual_mul_f32 v4, v159, v13
	v_fma_f32 v5, v156, v10, -v5
	s_delay_alu instid0(VALU_DEP_4)
	v_add_f32_e32 v2, v2, v6
	v_fmac_f32_e32 v185, v157, v10
	v_mul_f32_e32 v6, v161, v15
	v_fmac_f32_e32 v186, v159, v12
	v_add_f32_e32 v3, v3, v184
	v_fma_f32 v4, v158, v12, -v4
	v_add_f32_e32 v2, v2, v5
	v_dual_mul_f32 v188, v162, v17 :: v_dual_mul_f32 v189, v164, v19
	s_delay_alu instid0(VALU_DEP_4)
	v_add_f32_e32 v3, v3, v185
	v_mul_f32_e32 v5, v163, v17
	v_fma_f32 v6, v160, v14, -v6
	v_dual_add_f32 v2, v2, v4 :: v_dual_fmac_f32 v187, v161, v14
	v_fmac_f32_e32 v188, v163, v16
	v_mul_f32_e32 v4, v165, v19
	v_fma_f32 v5, v162, v16, -v5
	s_delay_alu instid0(VALU_DEP_4) | instskip(SKIP_3) | instid1(VALU_DEP_3)
	v_add_f32_e32 v2, v2, v6
	v_add_f32_e32 v3, v3, v186
	v_dual_mul_f32 v6, v167, v21 :: v_dual_fmac_f32 v189, v165, v18
	v_fma_f32 v4, v164, v18, -v4
	v_dual_add_f32 v2, v2, v5 :: v_dual_add_f32 v3, v3, v187
	v_dual_mul_f32 v190, v166, v21 :: v_dual_mul_f32 v191, v168, v23
	s_delay_alu instid0(VALU_DEP_4) | instskip(NEXT) | instid1(VALU_DEP_3)
	v_fma_f32 v6, v166, v20, -v6
	v_add_f32_e32 v2, v2, v4
	s_delay_alu instid0(VALU_DEP_4) | instskip(NEXT) | instid1(VALU_DEP_4)
	v_add_f32_e32 v3, v3, v188
	v_dual_mul_f32 v5, v169, v23 :: v_dual_fmac_f32 v190, v167, v20
	v_dual_mul_f32 v4, v171, v25 :: v_dual_fmac_f32 v191, v169, v22
	s_delay_alu instid0(VALU_DEP_3) | instskip(NEXT) | instid1(VALU_DEP_3)
	v_dual_add_f32 v2, v2, v6 :: v_dual_add_f32 v3, v3, v189
	v_fma_f32 v5, v168, v22, -v5
	v_dual_mul_f32 v193, v172, v27 :: v_dual_mul_f32 v194, v174, v29
	s_delay_alu instid0(VALU_DEP_3) | instskip(NEXT) | instid1(VALU_DEP_2)
	v_dual_mul_f32 v6, v173, v27 :: v_dual_add_f32 v3, v3, v190
	v_dual_fmac_f32 v192, v171, v24 :: v_dual_fmac_f32 v193, v173, v26
	v_fma_f32 v4, v170, v24, -v4
	s_delay_alu instid0(VALU_DEP_3) | instskip(SKIP_3) | instid1(VALU_DEP_4)
	v_dual_add_f32 v2, v2, v5 :: v_dual_add_f32 v3, v3, v191
	v_mul_f32_e32 v5, v175, v29
	v_fma_f32 v6, v172, v26, -v6
	v_fmac_f32_e32 v194, v175, v28
	v_add_f32_e32 v2, v2, v4
	v_dual_add_f32 v3, v3, v192 :: v_dual_mul_f32 v4, v181, v177
	v_fma_f32 v5, v174, v28, -v5
	s_delay_alu instid0(VALU_DEP_2) | instskip(SKIP_1) | instid1(VALU_DEP_4)
	v_dual_add_f32 v2, v2, v6 :: v_dual_add_f32 v3, v3, v193
	v_fmac_f32_e32 v195, v181, v176
	v_fma_f32 v4, v180, v176, -v4
	s_delay_alu instid0(VALU_DEP_3) | instskip(NEXT) | instid1(VALU_DEP_1)
	v_dual_add_f32 v2, v2, v5 :: v_dual_add_f32 v3, v3, v194
	v_dual_add_f32 v2, v2, v4 :: v_dual_add_f32 v3, v3, v195
	s_wait_loadcnt 0x0
	s_delay_alu instid0(VALU_DEP_1)
	v_dual_sub_f32 v2, v178, v2 :: v_dual_sub_f32 v3, v179, v3
	scratch_store_b64 off, v[2:3], off offset:336
	v_cmpx_lt_u32_e32 41, v0
	s_cbranch_execz .LBB121_279
; %bb.278:
	scratch_load_b64 v[3:4], off, off offset:328
	v_mov_b32_e32 v2, v1
	scratch_store_b64 off, v[1:2], off offset:328
	s_wait_loadcnt 0x0
	ds_store_b64 v31, v[3:4]
.LBB121_279:
	s_wait_alu 0xfffe
	s_or_b32 exec_lo, exec_lo, s0
	s_wait_storecnt_dscnt 0x0
	s_barrier_signal -1
	s_barrier_wait -1
	global_inv scope:SCOPE_SE
	s_clause 0x8
	scratch_load_b128 v[2:5], off, off offset:336
	scratch_load_b128 v[6:9], off, off offset:352
	scratch_load_b128 v[10:13], off, off offset:368
	scratch_load_b128 v[14:17], off, off offset:384
	scratch_load_b128 v[18:21], off, off offset:400
	scratch_load_b128 v[22:25], off, off offset:416
	scratch_load_b128 v[26:29], off, off offset:432
	scratch_load_b128 v[148:151], off, off offset:448
	scratch_load_b64 v[184:185], off, off offset:328
	ds_load_b128 v[152:155], v1 offset:800
	ds_load_b128 v[156:159], v1 offset:816
	;; [unrolled: 1-line block ×8, first 2 shown]
	s_mov_b32 s0, exec_lo
	s_wait_loadcnt_dscnt 0x807
	v_dual_mul_f32 v1, v152, v3 :: v_dual_mul_f32 v30, v154, v5
	v_mul_f32_e32 v3, v153, v3
	s_wait_loadcnt_dscnt 0x706
	v_dual_mul_f32 v5, v155, v5 :: v_dual_mul_f32 v186, v156, v7
	v_mul_f32_e32 v187, v158, v9
	s_wait_loadcnt_dscnt 0x100
	v_dual_fmac_f32 v1, v153, v2 :: v_dual_mul_f32 v198, v180, v149
	v_fma_f32 v3, v152, v2, -v3
	v_dual_mul_f32 v199, v182, v151 :: v_dual_fmac_f32 v30, v155, v4
	v_mul_f32_e32 v2, v157, v7
	v_fma_f32 v4, v154, v4, -v5
	s_delay_alu instid0(VALU_DEP_4) | instskip(SKIP_2) | instid1(VALU_DEP_2)
	v_dual_add_f32 v3, 0, v3 :: v_dual_fmac_f32 v186, v157, v6
	v_dual_mul_f32 v188, v160, v11 :: v_dual_mul_f32 v189, v162, v13
	v_dual_mul_f32 v190, v164, v15 :: v_dual_mul_f32 v191, v166, v17
	v_dual_mul_f32 v5, v159, v9 :: v_dual_fmac_f32 v188, v161, v10
	v_fma_f32 v2, v156, v6, -v2
	s_delay_alu instid0(VALU_DEP_3) | instskip(NEXT) | instid1(VALU_DEP_3)
	v_dual_add_f32 v3, v3, v4 :: v_dual_fmac_f32 v190, v165, v14
	v_fma_f32 v5, v158, v8, -v5
	v_mul_f32_e32 v4, v161, v11
	v_dual_mul_f32 v192, v168, v19 :: v_dual_mul_f32 v193, v170, v21
	s_delay_alu instid0(VALU_DEP_4) | instskip(SKIP_1) | instid1(VALU_DEP_4)
	v_add_f32_e32 v2, v3, v2
	v_mul_f32_e32 v3, v163, v13
	v_fma_f32 v4, v160, v10, -v4
	s_delay_alu instid0(VALU_DEP_4)
	v_fmac_f32_e32 v192, v169, v18
	v_dual_mul_f32 v194, v172, v23 :: v_dual_mul_f32 v195, v174, v25
	v_add_f32_e32 v2, v2, v5
	v_add_f32_e32 v1, 0, v1
	v_fma_f32 v3, v162, v12, -v3
	v_dual_fmac_f32 v191, v167, v16 :: v_dual_mul_f32 v196, v176, v27
	v_mul_f32_e32 v197, v178, v29
	s_delay_alu instid0(VALU_DEP_4) | instskip(SKIP_3) | instid1(VALU_DEP_4)
	v_dual_add_f32 v1, v1, v30 :: v_dual_add_f32 v2, v2, v4
	v_mul_f32_e32 v4, v167, v17
	v_fmac_f32_e32 v187, v159, v8
	v_dual_fmac_f32 v193, v171, v20 :: v_dual_fmac_f32 v196, v177, v26
	v_add_f32_e32 v1, v1, v186
	s_delay_alu instid0(VALU_DEP_4)
	v_fma_f32 v4, v166, v16, -v4
	v_mul_f32_e32 v5, v165, v15
	v_add_f32_e32 v2, v2, v3
	v_fmac_f32_e32 v194, v173, v22
	v_add_f32_e32 v1, v1, v187
	v_fmac_f32_e32 v197, v179, v28
	v_fma_f32 v5, v164, v14, -v5
	v_fmac_f32_e32 v189, v163, v12
	v_dual_fmac_f32 v199, v183, v150 :: v_dual_fmac_f32 v198, v181, v148
	s_delay_alu instid0(VALU_DEP_3) | instskip(NEXT) | instid1(VALU_DEP_1)
	v_add_f32_e32 v2, v2, v5
	v_dual_mul_f32 v5, v171, v21 :: v_dual_add_f32 v2, v2, v4
	s_delay_alu instid0(VALU_DEP_1) | instskip(SKIP_2) | instid1(VALU_DEP_2)
	v_fma_f32 v5, v170, v20, -v5
	v_mul_f32_e32 v3, v169, v19
	v_mul_f32_e32 v4, v173, v23
	v_fma_f32 v3, v168, v18, -v3
	v_add_f32_e32 v1, v1, v188
	s_delay_alu instid0(VALU_DEP_3) | instskip(NEXT) | instid1(VALU_DEP_3)
	v_fma_f32 v4, v172, v22, -v4
	v_dual_add_f32 v2, v2, v3 :: v_dual_mul_f32 v3, v175, v25
	s_delay_alu instid0(VALU_DEP_1) | instskip(NEXT) | instid1(VALU_DEP_4)
	v_add_f32_e32 v2, v2, v5
	v_add_f32_e32 v1, v1, v189
	s_delay_alu instid0(VALU_DEP_3) | instskip(NEXT) | instid1(VALU_DEP_2)
	v_fma_f32 v3, v174, v24, -v3
	v_dual_add_f32 v2, v2, v4 :: v_dual_add_f32 v1, v1, v190
	v_mul_f32_e32 v4, v179, v29
	s_delay_alu instid0(VALU_DEP_2) | instskip(SKIP_1) | instid1(VALU_DEP_3)
	v_dual_fmac_f32 v195, v175, v24 :: v_dual_add_f32 v2, v2, v3
	v_mul_f32_e32 v3, v181, v149
	v_fma_f32 v4, v178, v28, -v4
	v_mul_f32_e32 v5, v177, v27
	s_delay_alu instid0(VALU_DEP_3) | instskip(NEXT) | instid1(VALU_DEP_2)
	v_fma_f32 v3, v180, v148, -v3
	v_fma_f32 v5, v176, v26, -v5
	s_delay_alu instid0(VALU_DEP_1) | instskip(NEXT) | instid1(VALU_DEP_1)
	v_dual_add_f32 v1, v1, v191 :: v_dual_add_f32 v2, v2, v5
	v_dual_mul_f32 v5, v183, v151 :: v_dual_add_f32 v2, v2, v4
	s_delay_alu instid0(VALU_DEP_2) | instskip(NEXT) | instid1(VALU_DEP_2)
	v_add_f32_e32 v1, v1, v192
	v_fma_f32 v4, v182, v150, -v5
	s_delay_alu instid0(VALU_DEP_2) | instskip(NEXT) | instid1(VALU_DEP_1)
	v_dual_add_f32 v2, v2, v3 :: v_dual_add_f32 v1, v1, v193
	v_dual_add_f32 v2, v2, v4 :: v_dual_add_f32 v1, v1, v194
	s_delay_alu instid0(VALU_DEP_1) | instskip(NEXT) | instid1(VALU_DEP_1)
	v_add_f32_e32 v1, v1, v195
	v_add_f32_e32 v1, v1, v196
	s_delay_alu instid0(VALU_DEP_1) | instskip(NEXT) | instid1(VALU_DEP_1)
	v_add_f32_e32 v1, v1, v197
	v_add_f32_e32 v1, v1, v198
	s_delay_alu instid0(VALU_DEP_1) | instskip(SKIP_1) | instid1(VALU_DEP_1)
	v_add_f32_e32 v3, v1, v199
	s_wait_loadcnt 0x0
	v_dual_sub_f32 v1, v184, v2 :: v_dual_sub_f32 v2, v185, v3
	scratch_store_b64 off, v[1:2], off offset:328
	v_cmpx_lt_u32_e32 40, v0
	s_cbranch_execz .LBB121_281
; %bb.280:
	scratch_load_b64 v[1:2], off, off offset:320
	v_mov_b32_e32 v3, 0
	s_delay_alu instid0(VALU_DEP_1)
	v_mov_b32_e32 v4, v3
	scratch_store_b64 off, v[3:4], off offset:320
	s_wait_loadcnt 0x0
	ds_store_b64 v31, v[1:2]
.LBB121_281:
	s_wait_alu 0xfffe
	s_or_b32 exec_lo, exec_lo, s0
	s_wait_storecnt_dscnt 0x0
	s_barrier_signal -1
	s_barrier_wait -1
	global_inv scope:SCOPE_SE
	s_clause 0x9
	scratch_load_b128 v[2:5], off, off offset:328
	scratch_load_b128 v[6:9], off, off offset:344
	scratch_load_b128 v[10:13], off, off offset:360
	scratch_load_b128 v[14:17], off, off offset:376
	scratch_load_b128 v[18:21], off, off offset:392
	scratch_load_b128 v[22:25], off, off offset:408
	scratch_load_b128 v[26:29], off, off offset:424
	scratch_load_b128 v[148:151], off, off offset:440
	scratch_load_b64 v[184:185], off, off offset:456
	scratch_load_b64 v[186:187], off, off offset:320
	v_mov_b32_e32 v1, 0
	ds_load_2addr_b64 v[152:155], v1 offset0:99 offset1:100
	ds_load_2addr_b64 v[156:159], v1 offset0:101 offset1:102
	;; [unrolled: 1-line block ×8, first 2 shown]
	ds_load_b64 v[188:189], v1 offset:920
	s_mov_b32 s0, exec_lo
	s_wait_loadcnt_dscnt 0x908
	v_mul_f32_e32 v30, v152, v3
	s_wait_loadcnt_dscnt 0x807
	v_dual_mul_f32 v190, v154, v5 :: v_dual_mul_f32 v191, v156, v7
	v_mul_f32_e32 v3, v153, v3
	v_mul_f32_e32 v5, v155, v5
	s_wait_loadcnt_dscnt 0x706
	v_dual_mul_f32 v192, v158, v9 :: v_dual_mul_f32 v193, v160, v11
	s_wait_loadcnt_dscnt 0x302
	v_mul_f32_e32 v202, v178, v29
	v_fma_f32 v3, v152, v2, -v3
	s_wait_loadcnt_dscnt 0x100
	v_dual_mul_f32 v205, v188, v185 :: v_dual_fmac_f32 v30, v153, v2
	v_mul_f32_e32 v2, v157, v7
	s_delay_alu instid0(VALU_DEP_3) | instskip(SKIP_1) | instid1(VALU_DEP_4)
	v_dual_fmac_f32 v190, v155, v4 :: v_dual_add_f32 v3, 0, v3
	v_fma_f32 v4, v154, v4, -v5
	v_dual_add_f32 v5, 0, v30 :: v_dual_fmac_f32 v192, v159, v8
	v_mul_f32_e32 v7, v159, v9
	v_fma_f32 v2, v156, v6, -v2
	s_delay_alu instid0(VALU_DEP_4)
	v_add_f32_e32 v3, v3, v4
	v_fmac_f32_e32 v191, v157, v6
	v_add_f32_e32 v4, v5, v190
	v_mul_f32_e32 v5, v161, v11
	v_fma_f32 v6, v158, v8, -v7
	v_add_f32_e32 v2, v3, v2
	v_dual_mul_f32 v194, v162, v13 :: v_dual_mul_f32 v195, v164, v15
	v_dual_add_f32 v3, v4, v191 :: v_dual_mul_f32 v4, v163, v13
	v_fma_f32 v5, v160, v10, -v5
	s_delay_alu instid0(VALU_DEP_4)
	v_add_f32_e32 v2, v2, v6
	v_fmac_f32_e32 v193, v161, v10
	v_mul_f32_e32 v6, v165, v15
	v_fmac_f32_e32 v194, v163, v12
	v_add_f32_e32 v3, v3, v192
	v_fma_f32 v4, v162, v12, -v4
	v_add_f32_e32 v2, v2, v5
	v_dual_mul_f32 v196, v166, v17 :: v_dual_mul_f32 v197, v168, v19
	s_delay_alu instid0(VALU_DEP_4)
	v_add_f32_e32 v3, v3, v193
	v_mul_f32_e32 v5, v167, v17
	v_fma_f32 v6, v164, v14, -v6
	v_dual_add_f32 v2, v2, v4 :: v_dual_fmac_f32 v195, v165, v14
	v_fmac_f32_e32 v196, v167, v16
	v_mul_f32_e32 v4, v169, v19
	v_fma_f32 v5, v166, v16, -v5
	s_delay_alu instid0(VALU_DEP_4) | instskip(SKIP_3) | instid1(VALU_DEP_3)
	v_add_f32_e32 v2, v2, v6
	v_add_f32_e32 v3, v3, v194
	v_dual_mul_f32 v6, v171, v21 :: v_dual_fmac_f32 v197, v169, v18
	v_fma_f32 v4, v168, v18, -v4
	v_dual_add_f32 v2, v2, v5 :: v_dual_add_f32 v3, v3, v195
	v_dual_mul_f32 v198, v170, v21 :: v_dual_mul_f32 v199, v172, v23
	s_delay_alu instid0(VALU_DEP_4) | instskip(NEXT) | instid1(VALU_DEP_3)
	v_fma_f32 v6, v170, v20, -v6
	v_add_f32_e32 v2, v2, v4
	s_delay_alu instid0(VALU_DEP_4) | instskip(NEXT) | instid1(VALU_DEP_4)
	v_add_f32_e32 v3, v3, v196
	v_dual_mul_f32 v5, v173, v23 :: v_dual_fmac_f32 v198, v171, v20
	v_dual_mul_f32 v200, v174, v25 :: v_dual_mul_f32 v201, v176, v27
	s_delay_alu instid0(VALU_DEP_3) | instskip(SKIP_1) | instid1(VALU_DEP_4)
	v_dual_add_f32 v2, v2, v6 :: v_dual_add_f32 v3, v3, v197
	v_dual_mul_f32 v4, v175, v25 :: v_dual_fmac_f32 v199, v173, v22
	v_fma_f32 v5, v172, v22, -v5
	s_delay_alu instid0(VALU_DEP_3) | instskip(SKIP_1) | instid1(VALU_DEP_4)
	v_dual_mul_f32 v6, v177, v27 :: v_dual_add_f32 v3, v3, v198
	v_dual_fmac_f32 v200, v175, v24 :: v_dual_fmac_f32 v201, v177, v26
	v_fma_f32 v4, v174, v24, -v4
	s_delay_alu instid0(VALU_DEP_3) | instskip(SKIP_3) | instid1(VALU_DEP_4)
	v_dual_add_f32 v2, v2, v5 :: v_dual_add_f32 v3, v3, v199
	v_mul_f32_e32 v5, v179, v29
	v_fma_f32 v6, v176, v26, -v6
	v_dual_mul_f32 v203, v180, v149 :: v_dual_mul_f32 v204, v182, v151
	v_add_f32_e32 v2, v2, v4
	v_dual_add_f32 v3, v3, v200 :: v_dual_mul_f32 v4, v181, v149
	v_fmac_f32_e32 v202, v179, v28
	v_fma_f32 v5, v178, v28, -v5
	s_delay_alu instid0(VALU_DEP_3) | instskip(SKIP_2) | instid1(VALU_DEP_3)
	v_dual_add_f32 v2, v2, v6 :: v_dual_add_f32 v3, v3, v201
	v_dual_mul_f32 v6, v183, v151 :: v_dual_fmac_f32 v203, v181, v148
	v_fma_f32 v4, v180, v148, -v4
	v_add_f32_e32 v2, v2, v5
	v_mul_f32_e32 v5, v189, v185
	v_add_f32_e32 v3, v3, v202
	v_dual_fmac_f32 v204, v183, v150 :: v_dual_fmac_f32 v205, v189, v184
	v_fma_f32 v6, v182, v150, -v6
	s_delay_alu instid0(VALU_DEP_3) | instskip(SKIP_1) | instid1(VALU_DEP_2)
	v_dual_add_f32 v2, v2, v4 :: v_dual_add_f32 v3, v3, v203
	v_fma_f32 v4, v188, v184, -v5
	v_dual_add_f32 v2, v2, v6 :: v_dual_add_f32 v3, v3, v204
	s_delay_alu instid0(VALU_DEP_1) | instskip(SKIP_1) | instid1(VALU_DEP_1)
	v_dual_add_f32 v2, v2, v4 :: v_dual_add_f32 v3, v3, v205
	s_wait_loadcnt 0x0
	v_dual_sub_f32 v2, v186, v2 :: v_dual_sub_f32 v3, v187, v3
	scratch_store_b64 off, v[2:3], off offset:320
	v_cmpx_lt_u32_e32 39, v0
	s_cbranch_execz .LBB121_283
; %bb.282:
	scratch_load_b64 v[3:4], off, off offset:312
	v_mov_b32_e32 v2, v1
	scratch_store_b64 off, v[1:2], off offset:312
	s_wait_loadcnt 0x0
	ds_store_b64 v31, v[3:4]
.LBB121_283:
	s_wait_alu 0xfffe
	s_or_b32 exec_lo, exec_lo, s0
	s_wait_storecnt_dscnt 0x0
	s_barrier_signal -1
	s_barrier_wait -1
	global_inv scope:SCOPE_SE
	s_clause 0x9
	scratch_load_b128 v[2:5], off, off offset:320
	scratch_load_b128 v[6:9], off, off offset:336
	scratch_load_b128 v[10:13], off, off offset:352
	scratch_load_b128 v[14:17], off, off offset:368
	scratch_load_b128 v[18:21], off, off offset:384
	scratch_load_b128 v[22:25], off, off offset:400
	scratch_load_b128 v[26:29], off, off offset:416
	scratch_load_b128 v[148:151], off, off offset:432
	scratch_load_b128 v[152:155], off, off offset:448
	scratch_load_b64 v[192:193], off, off offset:312
	ds_load_b128 v[156:159], v1 offset:784
	ds_load_b128 v[160:163], v1 offset:800
	;; [unrolled: 1-line block ×9, first 2 shown]
	s_mov_b32 s0, exec_lo
	s_wait_loadcnt_dscnt 0x908
	v_dual_mul_f32 v1, v156, v3 :: v_dual_mul_f32 v30, v158, v5
	v_mul_f32_e32 v5, v159, v5
	v_mul_f32_e32 v3, v157, v3
	s_wait_loadcnt_dscnt 0x807
	v_dual_mul_f32 v194, v160, v7 :: v_dual_mul_f32 v195, v162, v9
	s_wait_loadcnt_dscnt 0x201
	v_dual_fmac_f32 v1, v157, v2 :: v_dual_mul_f32 v206, v184, v149
	v_fma_f32 v3, v156, v2, -v3
	s_wait_loadcnt_dscnt 0x100
	v_dual_mul_f32 v209, v190, v155 :: v_dual_fmac_f32 v30, v159, v4
	v_mul_f32_e32 v2, v161, v7
	v_fma_f32 v4, v158, v4, -v5
	v_dual_add_f32 v3, 0, v3 :: v_dual_fmac_f32 v194, v161, v6
	v_dual_mul_f32 v196, v164, v11 :: v_dual_mul_f32 v197, v166, v13
	v_dual_mul_f32 v198, v168, v15 :: v_dual_mul_f32 v199, v170, v17
	s_delay_alu instid0(VALU_DEP_2) | instskip(SKIP_1) | instid1(VALU_DEP_3)
	v_dual_mul_f32 v5, v163, v9 :: v_dual_fmac_f32 v196, v165, v10
	v_fma_f32 v2, v160, v6, -v2
	v_dual_add_f32 v3, v3, v4 :: v_dual_fmac_f32 v198, v169, v14
	s_delay_alu instid0(VALU_DEP_3) | instskip(SKIP_1) | instid1(VALU_DEP_3)
	v_fma_f32 v5, v162, v8, -v5
	v_dual_mul_f32 v200, v172, v19 :: v_dual_mul_f32 v201, v174, v21
	v_add_f32_e32 v2, v3, v2
	v_dual_mul_f32 v4, v165, v11 :: v_dual_mul_f32 v3, v167, v13
	s_delay_alu instid0(VALU_DEP_3) | instskip(SKIP_1) | instid1(VALU_DEP_4)
	v_fmac_f32_e32 v200, v173, v18
	v_dual_mul_f32 v202, v176, v23 :: v_dual_mul_f32 v203, v178, v25
	v_add_f32_e32 v2, v2, v5
	v_add_f32_e32 v1, 0, v1
	v_fma_f32 v4, v164, v10, -v4
	v_fma_f32 v3, v166, v12, -v3
	v_dual_fmac_f32 v199, v171, v16 :: v_dual_mul_f32 v204, v180, v27
	v_mul_f32_e32 v205, v182, v29
	s_delay_alu instid0(VALU_DEP_4) | instskip(SKIP_3) | instid1(VALU_DEP_4)
	v_dual_add_f32 v1, v1, v30 :: v_dual_add_f32 v2, v2, v4
	v_mul_f32_e32 v4, v171, v17
	v_fmac_f32_e32 v195, v163, v8
	v_dual_mul_f32 v207, v186, v151 :: v_dual_mul_f32 v208, v188, v153
	v_add_f32_e32 v1, v1, v194
	s_delay_alu instid0(VALU_DEP_4) | instskip(SKIP_4) | instid1(VALU_DEP_4)
	v_fma_f32 v4, v170, v16, -v4
	v_mul_f32_e32 v5, v169, v15
	v_dual_add_f32 v2, v2, v3 :: v_dual_fmac_f32 v201, v175, v20
	v_fmac_f32_e32 v204, v181, v26
	v_add_f32_e32 v1, v1, v195
	v_fma_f32 v5, v168, v14, -v5
	v_dual_fmac_f32 v197, v167, v12 :: v_dual_fmac_f32 v202, v177, v22
	v_fmac_f32_e32 v205, v183, v28
	s_delay_alu instid0(VALU_DEP_3) | instskip(SKIP_2) | instid1(VALU_DEP_3)
	v_dual_fmac_f32 v209, v191, v154 :: v_dual_add_f32 v2, v2, v5
	v_dual_mul_f32 v5, v175, v21 :: v_dual_fmac_f32 v206, v185, v148
	v_fmac_f32_e32 v208, v189, v152
	v_add_f32_e32 v2, v2, v4
	s_delay_alu instid0(VALU_DEP_3) | instskip(SKIP_2) | instid1(VALU_DEP_2)
	v_fma_f32 v5, v174, v20, -v5
	v_mul_f32_e32 v3, v173, v19
	v_mul_f32_e32 v4, v177, v23
	v_fma_f32 v3, v172, v18, -v3
	v_add_f32_e32 v1, v1, v196
	s_delay_alu instid0(VALU_DEP_3) | instskip(NEXT) | instid1(VALU_DEP_3)
	v_fma_f32 v4, v176, v22, -v4
	v_dual_add_f32 v2, v2, v3 :: v_dual_mul_f32 v3, v179, v25
	s_delay_alu instid0(VALU_DEP_1) | instskip(NEXT) | instid1(VALU_DEP_4)
	v_add_f32_e32 v2, v2, v5
	v_add_f32_e32 v1, v1, v197
	s_delay_alu instid0(VALU_DEP_3) | instskip(NEXT) | instid1(VALU_DEP_2)
	v_fma_f32 v3, v178, v24, -v3
	v_dual_add_f32 v2, v2, v4 :: v_dual_add_f32 v1, v1, v198
	v_mul_f32_e32 v4, v183, v29
	s_delay_alu instid0(VALU_DEP_2) | instskip(SKIP_1) | instid1(VALU_DEP_3)
	v_dual_fmac_f32 v203, v179, v24 :: v_dual_add_f32 v2, v2, v3
	v_mul_f32_e32 v3, v185, v149
	v_fma_f32 v4, v182, v28, -v4
	v_mul_f32_e32 v5, v181, v27
	s_delay_alu instid0(VALU_DEP_3) | instskip(NEXT) | instid1(VALU_DEP_2)
	v_fma_f32 v3, v184, v148, -v3
	v_fma_f32 v5, v180, v26, -v5
	s_delay_alu instid0(VALU_DEP_1) | instskip(NEXT) | instid1(VALU_DEP_1)
	v_dual_add_f32 v1, v1, v199 :: v_dual_add_f32 v2, v2, v5
	v_dual_mul_f32 v5, v187, v151 :: v_dual_add_f32 v2, v2, v4
	s_delay_alu instid0(VALU_DEP_2) | instskip(SKIP_1) | instid1(VALU_DEP_3)
	v_add_f32_e32 v1, v1, v200
	v_mul_f32_e32 v4, v189, v153
	v_fma_f32 v5, v186, v150, -v5
	s_delay_alu instid0(VALU_DEP_4) | instskip(SKIP_1) | instid1(VALU_DEP_4)
	v_dual_add_f32 v2, v2, v3 :: v_dual_fmac_f32 v207, v187, v150
	v_mul_f32_e32 v3, v191, v155
	v_fma_f32 v4, v188, v152, -v4
	s_delay_alu instid0(VALU_DEP_3) | instskip(SKIP_1) | instid1(VALU_DEP_4)
	v_add_f32_e32 v2, v2, v5
	v_add_f32_e32 v1, v1, v201
	v_fma_f32 v3, v190, v154, -v3
	s_delay_alu instid0(VALU_DEP_2) | instskip(NEXT) | instid1(VALU_DEP_1)
	v_dual_add_f32 v2, v2, v4 :: v_dual_add_f32 v1, v1, v202
	v_add_f32_e32 v2, v2, v3
	s_delay_alu instid0(VALU_DEP_2) | instskip(NEXT) | instid1(VALU_DEP_1)
	v_add_f32_e32 v1, v1, v203
	v_add_f32_e32 v1, v1, v204
	s_delay_alu instid0(VALU_DEP_1) | instskip(NEXT) | instid1(VALU_DEP_1)
	v_add_f32_e32 v1, v1, v205
	v_add_f32_e32 v1, v1, v206
	s_delay_alu instid0(VALU_DEP_1) | instskip(NEXT) | instid1(VALU_DEP_1)
	v_add_f32_e32 v1, v1, v207
	v_add_f32_e32 v1, v1, v208
	s_delay_alu instid0(VALU_DEP_1) | instskip(SKIP_1) | instid1(VALU_DEP_1)
	v_add_f32_e32 v3, v1, v209
	s_wait_loadcnt 0x0
	v_dual_sub_f32 v1, v192, v2 :: v_dual_sub_f32 v2, v193, v3
	scratch_store_b64 off, v[1:2], off offset:312
	v_cmpx_lt_u32_e32 38, v0
	s_cbranch_execz .LBB121_285
; %bb.284:
	scratch_load_b64 v[1:2], off, off offset:304
	v_mov_b32_e32 v3, 0
	s_delay_alu instid0(VALU_DEP_1)
	v_mov_b32_e32 v4, v3
	scratch_store_b64 off, v[3:4], off offset:304
	s_wait_loadcnt 0x0
	ds_store_b64 v31, v[1:2]
.LBB121_285:
	s_wait_alu 0xfffe
	s_or_b32 exec_lo, exec_lo, s0
	s_wait_storecnt_dscnt 0x0
	s_barrier_signal -1
	s_barrier_wait -1
	global_inv scope:SCOPE_SE
	s_clause 0xa
	scratch_load_b128 v[2:5], off, off offset:312
	scratch_load_b128 v[6:9], off, off offset:328
	;; [unrolled: 1-line block ×9, first 2 shown]
	scratch_load_b64 v[192:193], off, off offset:456
	scratch_load_b64 v[194:195], off, off offset:304
	v_mov_b32_e32 v1, 0
	ds_load_2addr_b64 v[156:159], v1 offset0:97 offset1:98
	ds_load_2addr_b64 v[160:163], v1 offset0:99 offset1:100
	;; [unrolled: 1-line block ×9, first 2 shown]
	ds_load_b64 v[196:197], v1 offset:920
	s_mov_b32 s0, exec_lo
	s_wait_loadcnt_dscnt 0xa09
	v_mul_f32_e32 v30, v156, v3
	s_wait_loadcnt_dscnt 0x908
	v_dual_mul_f32 v198, v158, v5 :: v_dual_mul_f32 v199, v160, v7
	v_mul_f32_e32 v3, v157, v3
	v_mul_f32_e32 v5, v159, v5
	s_wait_loadcnt_dscnt 0x807
	v_dual_mul_f32 v200, v162, v9 :: v_dual_mul_f32 v201, v164, v11
	s_wait_loadcnt_dscnt 0x403
	v_mul_f32_e32 v210, v182, v29
	v_fma_f32 v3, v156, v2, -v3
	s_wait_loadcnt_dscnt 0x100
	v_dual_mul_f32 v215, v196, v193 :: v_dual_fmac_f32 v30, v157, v2
	v_mul_f32_e32 v2, v161, v7
	s_delay_alu instid0(VALU_DEP_3) | instskip(SKIP_1) | instid1(VALU_DEP_4)
	v_dual_fmac_f32 v198, v159, v4 :: v_dual_add_f32 v3, 0, v3
	v_fma_f32 v4, v158, v4, -v5
	v_dual_add_f32 v5, 0, v30 :: v_dual_fmac_f32 v200, v163, v8
	v_mul_f32_e32 v7, v163, v9
	v_fma_f32 v2, v160, v6, -v2
	s_delay_alu instid0(VALU_DEP_4)
	v_add_f32_e32 v3, v3, v4
	v_fmac_f32_e32 v199, v161, v6
	v_add_f32_e32 v4, v5, v198
	v_mul_f32_e32 v5, v165, v11
	v_fma_f32 v6, v162, v8, -v7
	v_add_f32_e32 v2, v3, v2
	v_dual_mul_f32 v202, v166, v13 :: v_dual_mul_f32 v203, v168, v15
	v_dual_add_f32 v3, v4, v199 :: v_dual_mul_f32 v4, v167, v13
	v_fma_f32 v5, v164, v10, -v5
	s_delay_alu instid0(VALU_DEP_4)
	v_add_f32_e32 v2, v2, v6
	v_fmac_f32_e32 v201, v165, v10
	v_mul_f32_e32 v6, v169, v15
	v_fmac_f32_e32 v202, v167, v12
	v_add_f32_e32 v3, v3, v200
	v_fma_f32 v4, v166, v12, -v4
	v_add_f32_e32 v2, v2, v5
	v_dual_mul_f32 v204, v170, v17 :: v_dual_mul_f32 v205, v172, v19
	s_delay_alu instid0(VALU_DEP_4)
	v_add_f32_e32 v3, v3, v201
	v_mul_f32_e32 v5, v171, v17
	v_fma_f32 v6, v168, v14, -v6
	v_dual_add_f32 v2, v2, v4 :: v_dual_fmac_f32 v203, v169, v14
	v_fmac_f32_e32 v204, v171, v16
	v_mul_f32_e32 v4, v173, v19
	v_fma_f32 v5, v170, v16, -v5
	s_delay_alu instid0(VALU_DEP_4) | instskip(SKIP_3) | instid1(VALU_DEP_3)
	v_add_f32_e32 v2, v2, v6
	v_add_f32_e32 v3, v3, v202
	v_dual_mul_f32 v6, v175, v21 :: v_dual_fmac_f32 v205, v173, v18
	v_fma_f32 v4, v172, v18, -v4
	v_dual_add_f32 v2, v2, v5 :: v_dual_add_f32 v3, v3, v203
	v_dual_mul_f32 v206, v174, v21 :: v_dual_mul_f32 v207, v176, v23
	s_delay_alu instid0(VALU_DEP_4) | instskip(NEXT) | instid1(VALU_DEP_3)
	v_fma_f32 v6, v174, v20, -v6
	v_add_f32_e32 v2, v2, v4
	s_delay_alu instid0(VALU_DEP_4) | instskip(NEXT) | instid1(VALU_DEP_4)
	v_add_f32_e32 v3, v3, v204
	v_dual_mul_f32 v5, v177, v23 :: v_dual_fmac_f32 v206, v175, v20
	v_dual_mul_f32 v208, v178, v25 :: v_dual_mul_f32 v209, v180, v27
	s_delay_alu instid0(VALU_DEP_3) | instskip(SKIP_1) | instid1(VALU_DEP_4)
	v_dual_add_f32 v2, v2, v6 :: v_dual_add_f32 v3, v3, v205
	v_dual_mul_f32 v4, v179, v25 :: v_dual_fmac_f32 v207, v177, v22
	v_fma_f32 v5, v176, v22, -v5
	s_delay_alu instid0(VALU_DEP_3) | instskip(SKIP_1) | instid1(VALU_DEP_4)
	v_dual_mul_f32 v6, v181, v27 :: v_dual_add_f32 v3, v3, v206
	v_dual_fmac_f32 v208, v179, v24 :: v_dual_fmac_f32 v209, v181, v26
	v_fma_f32 v4, v178, v24, -v4
	s_delay_alu instid0(VALU_DEP_3) | instskip(SKIP_3) | instid1(VALU_DEP_4)
	v_dual_add_f32 v2, v2, v5 :: v_dual_add_f32 v3, v3, v207
	v_mul_f32_e32 v5, v183, v29
	v_fma_f32 v6, v180, v26, -v6
	v_dual_mul_f32 v211, v184, v149 :: v_dual_mul_f32 v212, v186, v151
	v_add_f32_e32 v2, v2, v4
	v_dual_add_f32 v3, v3, v208 :: v_dual_mul_f32 v4, v185, v149
	v_fmac_f32_e32 v210, v183, v28
	v_fma_f32 v5, v182, v28, -v5
	s_delay_alu instid0(VALU_DEP_3) | instskip(SKIP_2) | instid1(VALU_DEP_3)
	v_dual_add_f32 v2, v2, v6 :: v_dual_add_f32 v3, v3, v209
	v_dual_mul_f32 v6, v187, v151 :: v_dual_fmac_f32 v211, v185, v148
	v_fma_f32 v4, v184, v148, -v4
	v_add_f32_e32 v2, v2, v5
	v_mul_f32_e32 v5, v189, v153
	v_add_f32_e32 v3, v3, v210
	v_dual_mul_f32 v213, v188, v153 :: v_dual_mul_f32 v214, v190, v155
	v_fmac_f32_e32 v212, v187, v150
	v_fma_f32 v6, v186, v150, -v6
	s_delay_alu instid0(VALU_DEP_4) | instskip(SKIP_1) | instid1(VALU_DEP_2)
	v_dual_add_f32 v2, v2, v4 :: v_dual_add_f32 v3, v3, v211
	v_dual_mul_f32 v4, v191, v155 :: v_dual_fmac_f32 v215, v197, v192
	v_dual_fmac_f32 v213, v189, v152 :: v_dual_add_f32 v2, v2, v6
	s_delay_alu instid0(VALU_DEP_3) | instskip(SKIP_3) | instid1(VALU_DEP_4)
	v_add_f32_e32 v3, v3, v212
	v_fma_f32 v5, v188, v152, -v5
	v_fmac_f32_e32 v214, v191, v154
	v_fma_f32 v4, v190, v154, -v4
	v_add_f32_e32 v3, v3, v213
	s_delay_alu instid0(VALU_DEP_1) | instskip(SKIP_1) | instid1(VALU_DEP_2)
	v_dual_mul_f32 v6, v197, v193 :: v_dual_add_f32 v3, v3, v214
	v_add_f32_e32 v2, v2, v5
	v_fma_f32 v5, v196, v192, -v6
	s_delay_alu instid0(VALU_DEP_2) | instskip(SKIP_1) | instid1(VALU_DEP_1)
	v_dual_add_f32 v3, v3, v215 :: v_dual_add_f32 v2, v2, v4
	s_wait_loadcnt 0x0
	v_dual_sub_f32 v3, v195, v3 :: v_dual_add_f32 v2, v2, v5
	s_delay_alu instid0(VALU_DEP_1)
	v_sub_f32_e32 v2, v194, v2
	scratch_store_b64 off, v[2:3], off offset:304
	v_cmpx_lt_u32_e32 37, v0
	s_cbranch_execz .LBB121_287
; %bb.286:
	scratch_load_b64 v[3:4], off, off offset:296
	v_mov_b32_e32 v2, v1
	scratch_store_b64 off, v[1:2], off offset:296
	s_wait_loadcnt 0x0
	ds_store_b64 v31, v[3:4]
.LBB121_287:
	s_wait_alu 0xfffe
	s_or_b32 exec_lo, exec_lo, s0
	s_wait_storecnt_dscnt 0x0
	s_barrier_signal -1
	s_barrier_wait -1
	global_inv scope:SCOPE_SE
	s_clause 0xa
	scratch_load_b128 v[2:5], off, off offset:304
	scratch_load_b128 v[6:9], off, off offset:320
	;; [unrolled: 1-line block ×10, first 2 shown]
	scratch_load_b64 v[200:201], off, off offset:296
	ds_load_b128 v[160:163], v1 offset:768
	ds_load_b128 v[164:167], v1 offset:784
	;; [unrolled: 1-line block ×10, first 2 shown]
	s_mov_b32 s0, exec_lo
	s_wait_loadcnt_dscnt 0xa09
	v_dual_mul_f32 v1, v160, v3 :: v_dual_mul_f32 v30, v162, v5
	s_wait_loadcnt_dscnt 0x908
	v_dual_mul_f32 v5, v163, v5 :: v_dual_mul_f32 v202, v164, v7
	v_mul_f32_e32 v203, v166, v9
	v_mul_f32_e32 v3, v161, v3
	v_dual_fmac_f32 v1, v161, v2 :: v_dual_fmac_f32 v30, v163, v4
	s_wait_loadcnt_dscnt 0x100
	v_dual_mul_f32 v216, v192, v153 :: v_dual_mul_f32 v219, v198, v159
	s_delay_alu instid0(VALU_DEP_3) | instskip(SKIP_3) | instid1(VALU_DEP_4)
	v_fma_f32 v3, v160, v2, -v3
	v_mul_f32_e32 v2, v165, v7
	v_fma_f32 v4, v162, v4, -v5
	v_dual_mul_f32 v204, v168, v11 :: v_dual_mul_f32 v205, v170, v13
	v_dual_add_f32 v3, 0, v3 :: v_dual_fmac_f32 v202, v165, v6
	v_dual_mul_f32 v206, v172, v15 :: v_dual_mul_f32 v207, v174, v17
	s_delay_alu instid0(VALU_DEP_3) | instskip(SKIP_1) | instid1(VALU_DEP_3)
	v_dual_mul_f32 v5, v167, v9 :: v_dual_fmac_f32 v204, v169, v10
	v_fma_f32 v2, v164, v6, -v2
	v_dual_add_f32 v3, v3, v4 :: v_dual_fmac_f32 v206, v173, v14
	s_delay_alu instid0(VALU_DEP_3) | instskip(SKIP_1) | instid1(VALU_DEP_3)
	v_fma_f32 v5, v166, v8, -v5
	v_dual_mul_f32 v208, v176, v19 :: v_dual_mul_f32 v209, v178, v21
	v_add_f32_e32 v2, v3, v2
	v_dual_mul_f32 v3, v171, v13 :: v_dual_mul_f32 v4, v169, v11
	s_delay_alu instid0(VALU_DEP_3) | instskip(SKIP_1) | instid1(VALU_DEP_4)
	v_fmac_f32_e32 v208, v177, v18
	v_dual_mul_f32 v210, v180, v23 :: v_dual_mul_f32 v211, v182, v25
	v_add_f32_e32 v2, v2, v5
	v_add_f32_e32 v1, 0, v1
	v_fma_f32 v4, v168, v10, -v4
	v_fma_f32 v3, v170, v12, -v3
	v_dual_fmac_f32 v207, v175, v16 :: v_dual_mul_f32 v214, v188, v149
	v_mul_f32_e32 v215, v190, v151
	s_delay_alu instid0(VALU_DEP_4) | instskip(SKIP_3) | instid1(VALU_DEP_4)
	v_dual_add_f32 v1, v1, v30 :: v_dual_add_f32 v2, v2, v4
	v_mul_f32_e32 v4, v175, v17
	v_dual_fmac_f32 v203, v167, v8 :: v_dual_mul_f32 v212, v184, v27
	v_mul_f32_e32 v213, v186, v29
	v_add_f32_e32 v1, v1, v202
	s_delay_alu instid0(VALU_DEP_4) | instskip(SKIP_4) | instid1(VALU_DEP_4)
	v_fma_f32 v4, v174, v16, -v4
	v_mul_f32_e32 v5, v173, v15
	v_dual_add_f32 v2, v2, v3 :: v_dual_fmac_f32 v209, v179, v20
	v_fmac_f32_e32 v212, v185, v26
	v_add_f32_e32 v1, v1, v203
	v_fma_f32 v5, v172, v14, -v5
	v_dual_fmac_f32 v205, v171, v12 :: v_dual_fmac_f32 v210, v181, v22
	v_fmac_f32_e32 v213, v187, v28
	v_dual_mul_f32 v217, v194, v155 :: v_dual_mul_f32 v218, v196, v157
	s_delay_alu instid0(VALU_DEP_4) | instskip(SKIP_2) | instid1(VALU_DEP_4)
	v_add_f32_e32 v2, v2, v5
	v_mul_f32_e32 v5, v179, v21
	v_fmac_f32_e32 v219, v199, v158
	v_dual_fmac_f32 v217, v195, v154 :: v_dual_fmac_f32 v214, v189, v148
	s_delay_alu instid0(VALU_DEP_4) | instskip(NEXT) | instid1(VALU_DEP_4)
	v_add_f32_e32 v2, v2, v4
	v_fma_f32 v5, v178, v20, -v5
	v_mul_f32_e32 v3, v177, v19
	v_mul_f32_e32 v4, v181, v23
	v_fmac_f32_e32 v216, v193, v152
	v_fmac_f32_e32 v218, v197, v156
	s_delay_alu instid0(VALU_DEP_4) | instskip(SKIP_2) | instid1(VALU_DEP_3)
	v_fma_f32 v3, v176, v18, -v3
	v_add_f32_e32 v1, v1, v204
	v_fma_f32 v4, v180, v22, -v4
	v_dual_add_f32 v2, v2, v3 :: v_dual_mul_f32 v3, v183, v25
	s_delay_alu instid0(VALU_DEP_1) | instskip(NEXT) | instid1(VALU_DEP_4)
	v_add_f32_e32 v2, v2, v5
	v_add_f32_e32 v1, v1, v205
	s_delay_alu instid0(VALU_DEP_3) | instskip(NEXT) | instid1(VALU_DEP_2)
	v_fma_f32 v3, v182, v24, -v3
	v_dual_add_f32 v2, v2, v4 :: v_dual_add_f32 v1, v1, v206
	v_mul_f32_e32 v4, v187, v29
	s_delay_alu instid0(VALU_DEP_2) | instskip(SKIP_1) | instid1(VALU_DEP_3)
	v_dual_fmac_f32 v211, v183, v24 :: v_dual_add_f32 v2, v2, v3
	v_mul_f32_e32 v3, v189, v149
	v_fma_f32 v4, v186, v28, -v4
	v_mul_f32_e32 v5, v185, v27
	s_delay_alu instid0(VALU_DEP_3) | instskip(NEXT) | instid1(VALU_DEP_2)
	v_fma_f32 v3, v188, v148, -v3
	v_fma_f32 v5, v184, v26, -v5
	s_delay_alu instid0(VALU_DEP_1) | instskip(NEXT) | instid1(VALU_DEP_1)
	v_dual_add_f32 v1, v1, v207 :: v_dual_add_f32 v2, v2, v5
	v_dual_mul_f32 v5, v191, v151 :: v_dual_add_f32 v2, v2, v4
	s_delay_alu instid0(VALU_DEP_2) | instskip(SKIP_1) | instid1(VALU_DEP_3)
	v_add_f32_e32 v1, v1, v208
	v_mul_f32_e32 v4, v193, v153
	v_fma_f32 v5, v190, v150, -v5
	s_delay_alu instid0(VALU_DEP_4) | instskip(SKIP_1) | instid1(VALU_DEP_4)
	v_dual_add_f32 v2, v2, v3 :: v_dual_fmac_f32 v215, v191, v150
	v_mul_f32_e32 v3, v195, v155
	v_fma_f32 v4, v192, v152, -v4
	s_delay_alu instid0(VALU_DEP_3) | instskip(SKIP_1) | instid1(VALU_DEP_4)
	v_add_f32_e32 v2, v2, v5
	v_add_f32_e32 v1, v1, v209
	v_fma_f32 v3, v194, v154, -v3
	s_delay_alu instid0(VALU_DEP_2) | instskip(SKIP_1) | instid1(VALU_DEP_2)
	v_dual_add_f32 v2, v2, v4 :: v_dual_add_f32 v1, v1, v210
	v_dual_mul_f32 v4, v199, v159 :: v_dual_mul_f32 v5, v197, v157
	v_add_f32_e32 v2, v2, v3
	s_delay_alu instid0(VALU_DEP_2) | instskip(NEXT) | instid1(VALU_DEP_3)
	v_fma_f32 v3, v198, v158, -v4
	v_fma_f32 v5, v196, v156, -v5
	s_delay_alu instid0(VALU_DEP_1) | instskip(NEXT) | instid1(VALU_DEP_1)
	v_dual_add_f32 v1, v1, v211 :: v_dual_add_f32 v2, v2, v5
	v_dual_add_f32 v1, v1, v212 :: v_dual_add_f32 v2, v2, v3
	s_delay_alu instid0(VALU_DEP_1) | instskip(NEXT) | instid1(VALU_DEP_1)
	v_add_f32_e32 v1, v1, v213
	v_add_f32_e32 v1, v1, v214
	s_delay_alu instid0(VALU_DEP_1) | instskip(NEXT) | instid1(VALU_DEP_1)
	v_add_f32_e32 v1, v1, v215
	v_add_f32_e32 v1, v1, v216
	s_delay_alu instid0(VALU_DEP_1) | instskip(NEXT) | instid1(VALU_DEP_1)
	v_add_f32_e32 v1, v1, v217
	v_add_f32_e32 v1, v1, v218
	s_delay_alu instid0(VALU_DEP_1) | instskip(SKIP_1) | instid1(VALU_DEP_1)
	v_add_f32_e32 v3, v1, v219
	s_wait_loadcnt 0x0
	v_dual_sub_f32 v1, v200, v2 :: v_dual_sub_f32 v2, v201, v3
	scratch_store_b64 off, v[1:2], off offset:296
	v_cmpx_lt_u32_e32 36, v0
	s_cbranch_execz .LBB121_289
; %bb.288:
	scratch_load_b64 v[1:2], off, off offset:288
	v_mov_b32_e32 v3, 0
	s_delay_alu instid0(VALU_DEP_1)
	v_mov_b32_e32 v4, v3
	scratch_store_b64 off, v[3:4], off offset:288
	s_wait_loadcnt 0x0
	ds_store_b64 v31, v[1:2]
.LBB121_289:
	s_wait_alu 0xfffe
	s_or_b32 exec_lo, exec_lo, s0
	s_wait_storecnt_dscnt 0x0
	s_barrier_signal -1
	s_barrier_wait -1
	global_inv scope:SCOPE_SE
	s_clause 0xb
	scratch_load_b128 v[2:5], off, off offset:296
	scratch_load_b128 v[6:9], off, off offset:312
	;; [unrolled: 1-line block ×10, first 2 shown]
	scratch_load_b64 v[200:201], off, off offset:456
	scratch_load_b64 v[202:203], off, off offset:288
	v_mov_b32_e32 v1, 0
	ds_load_2addr_b64 v[160:163], v1 offset0:95 offset1:96
	ds_load_2addr_b64 v[164:167], v1 offset0:97 offset1:98
	;; [unrolled: 1-line block ×10, first 2 shown]
	ds_load_b64 v[204:205], v1 offset:920
	s_mov_b32 s0, exec_lo
	s_wait_loadcnt_dscnt 0xb0a
	v_mul_f32_e32 v30, v160, v3
	s_wait_loadcnt_dscnt 0xa09
	v_dual_mul_f32 v206, v162, v5 :: v_dual_mul_f32 v207, v164, v7
	v_mul_f32_e32 v3, v161, v3
	v_mul_f32_e32 v5, v163, v5
	s_wait_loadcnt_dscnt 0x908
	v_dual_mul_f32 v208, v166, v9 :: v_dual_mul_f32 v209, v168, v11
	s_wait_loadcnt_dscnt 0x504
	v_mul_f32_e32 v218, v186, v29
	v_fma_f32 v3, v160, v2, -v3
	s_wait_loadcnt_dscnt 0x100
	v_dual_fmac_f32 v30, v161, v2 :: v_dual_mul_f32 v225, v204, v201
	v_mul_f32_e32 v2, v165, v7
	s_delay_alu instid0(VALU_DEP_3) | instskip(SKIP_1) | instid1(VALU_DEP_4)
	v_dual_fmac_f32 v206, v163, v4 :: v_dual_add_f32 v3, 0, v3
	v_fma_f32 v4, v162, v4, -v5
	v_dual_add_f32 v5, 0, v30 :: v_dual_fmac_f32 v208, v167, v8
	v_mul_f32_e32 v7, v167, v9
	v_fma_f32 v2, v164, v6, -v2
	s_delay_alu instid0(VALU_DEP_4)
	v_add_f32_e32 v3, v3, v4
	v_fmac_f32_e32 v207, v165, v6
	v_add_f32_e32 v4, v5, v206
	v_mul_f32_e32 v5, v169, v11
	v_fma_f32 v6, v166, v8, -v7
	v_add_f32_e32 v2, v3, v2
	v_dual_mul_f32 v210, v170, v13 :: v_dual_mul_f32 v211, v172, v15
	v_dual_add_f32 v3, v4, v207 :: v_dual_mul_f32 v4, v171, v13
	v_fma_f32 v5, v168, v10, -v5
	s_delay_alu instid0(VALU_DEP_4)
	v_add_f32_e32 v2, v2, v6
	v_fmac_f32_e32 v209, v169, v10
	v_mul_f32_e32 v6, v173, v15
	v_fmac_f32_e32 v210, v171, v12
	v_add_f32_e32 v3, v3, v208
	v_fma_f32 v4, v170, v12, -v4
	v_add_f32_e32 v2, v2, v5
	v_dual_mul_f32 v212, v174, v17 :: v_dual_mul_f32 v213, v176, v19
	s_delay_alu instid0(VALU_DEP_4)
	v_add_f32_e32 v3, v3, v209
	v_mul_f32_e32 v5, v175, v17
	v_fma_f32 v6, v172, v14, -v6
	v_dual_add_f32 v2, v2, v4 :: v_dual_fmac_f32 v211, v173, v14
	v_fmac_f32_e32 v212, v175, v16
	v_mul_f32_e32 v4, v177, v19
	v_fma_f32 v5, v174, v16, -v5
	s_delay_alu instid0(VALU_DEP_4) | instskip(SKIP_3) | instid1(VALU_DEP_3)
	v_add_f32_e32 v2, v2, v6
	v_add_f32_e32 v3, v3, v210
	v_dual_mul_f32 v6, v179, v21 :: v_dual_fmac_f32 v213, v177, v18
	v_fma_f32 v4, v176, v18, -v4
	v_dual_add_f32 v2, v2, v5 :: v_dual_add_f32 v3, v3, v211
	v_dual_mul_f32 v214, v178, v21 :: v_dual_mul_f32 v215, v180, v23
	s_delay_alu instid0(VALU_DEP_4) | instskip(NEXT) | instid1(VALU_DEP_3)
	v_fma_f32 v6, v178, v20, -v6
	v_add_f32_e32 v2, v2, v4
	s_delay_alu instid0(VALU_DEP_4) | instskip(NEXT) | instid1(VALU_DEP_4)
	v_add_f32_e32 v3, v3, v212
	v_dual_mul_f32 v5, v181, v23 :: v_dual_fmac_f32 v214, v179, v20
	v_dual_mul_f32 v216, v182, v25 :: v_dual_mul_f32 v217, v184, v27
	s_delay_alu instid0(VALU_DEP_3) | instskip(SKIP_1) | instid1(VALU_DEP_4)
	v_dual_add_f32 v2, v2, v6 :: v_dual_add_f32 v3, v3, v213
	v_dual_mul_f32 v4, v183, v25 :: v_dual_fmac_f32 v215, v181, v22
	v_fma_f32 v5, v180, v22, -v5
	s_delay_alu instid0(VALU_DEP_3) | instskip(SKIP_1) | instid1(VALU_DEP_4)
	v_dual_mul_f32 v6, v185, v27 :: v_dual_add_f32 v3, v3, v214
	v_dual_fmac_f32 v216, v183, v24 :: v_dual_fmac_f32 v217, v185, v26
	v_fma_f32 v4, v182, v24, -v4
	s_delay_alu instid0(VALU_DEP_3) | instskip(SKIP_3) | instid1(VALU_DEP_4)
	v_dual_add_f32 v2, v2, v5 :: v_dual_add_f32 v3, v3, v215
	v_mul_f32_e32 v5, v187, v29
	v_fma_f32 v6, v184, v26, -v6
	v_dual_mul_f32 v219, v188, v149 :: v_dual_mul_f32 v220, v190, v151
	v_add_f32_e32 v2, v2, v4
	v_dual_add_f32 v3, v3, v216 :: v_dual_mul_f32 v4, v189, v149
	v_fmac_f32_e32 v218, v187, v28
	v_fma_f32 v5, v186, v28, -v5
	s_delay_alu instid0(VALU_DEP_3) | instskip(SKIP_2) | instid1(VALU_DEP_3)
	v_dual_add_f32 v2, v2, v6 :: v_dual_add_f32 v3, v3, v217
	v_dual_mul_f32 v6, v191, v151 :: v_dual_fmac_f32 v219, v189, v148
	v_fma_f32 v4, v188, v148, -v4
	v_add_f32_e32 v2, v2, v5
	v_mul_f32_e32 v5, v193, v153
	v_add_f32_e32 v3, v3, v218
	v_dual_mul_f32 v221, v192, v153 :: v_dual_mul_f32 v222, v194, v155
	v_fmac_f32_e32 v220, v191, v150
	v_fma_f32 v6, v190, v150, -v6
	s_delay_alu instid0(VALU_DEP_4) | instskip(SKIP_2) | instid1(VALU_DEP_3)
	v_dual_add_f32 v2, v2, v4 :: v_dual_add_f32 v3, v3, v219
	v_dual_mul_f32 v223, v196, v157 :: v_dual_mul_f32 v224, v198, v159
	v_dual_mul_f32 v4, v195, v155 :: v_dual_fmac_f32 v221, v193, v152
	v_dual_add_f32 v2, v2, v6 :: v_dual_add_f32 v3, v3, v220
	v_fma_f32 v5, v192, v152, -v5
	v_dual_fmac_f32 v222, v195, v154 :: v_dual_fmac_f32 v225, v205, v200
	v_fmac_f32_e32 v223, v197, v156
	v_fma_f32 v4, v194, v154, -v4
	v_add_f32_e32 v3, v3, v221
	v_mul_f32_e32 v6, v197, v157
	v_dual_add_f32 v2, v2, v5 :: v_dual_mul_f32 v5, v199, v159
	v_fmac_f32_e32 v224, v199, v158
	s_delay_alu instid0(VALU_DEP_4) | instskip(NEXT) | instid1(VALU_DEP_4)
	v_add_f32_e32 v3, v3, v222
	v_fma_f32 v6, v196, v156, -v6
	s_delay_alu instid0(VALU_DEP_4) | instskip(SKIP_2) | instid1(VALU_DEP_3)
	v_add_f32_e32 v2, v2, v4
	v_mul_f32_e32 v4, v205, v201
	v_fma_f32 v5, v198, v158, -v5
	v_dual_add_f32 v3, v3, v223 :: v_dual_add_f32 v2, v2, v6
	s_delay_alu instid0(VALU_DEP_3) | instskip(NEXT) | instid1(VALU_DEP_2)
	v_fma_f32 v4, v204, v200, -v4
	v_add_f32_e32 v3, v3, v224
	s_delay_alu instid0(VALU_DEP_1) | instskip(SKIP_1) | instid1(VALU_DEP_1)
	v_add_f32_e32 v3, v3, v225
	s_wait_loadcnt 0x0
	v_dual_add_f32 v2, v2, v5 :: v_dual_sub_f32 v3, v203, v3
	s_delay_alu instid0(VALU_DEP_1) | instskip(NEXT) | instid1(VALU_DEP_1)
	v_add_f32_e32 v2, v2, v4
	v_sub_f32_e32 v2, v202, v2
	scratch_store_b64 off, v[2:3], off offset:288
	v_cmpx_lt_u32_e32 35, v0
	s_cbranch_execz .LBB121_291
; %bb.290:
	scratch_load_b64 v[3:4], off, off offset:280
	v_mov_b32_e32 v2, v1
	scratch_store_b64 off, v[1:2], off offset:280
	s_wait_loadcnt 0x0
	ds_store_b64 v31, v[3:4]
.LBB121_291:
	s_wait_alu 0xfffe
	s_or_b32 exec_lo, exec_lo, s0
	s_wait_storecnt_dscnt 0x0
	s_barrier_signal -1
	s_barrier_wait -1
	global_inv scope:SCOPE_SE
	s_clause 0xb
	scratch_load_b128 v[2:5], off, off offset:288
	scratch_load_b128 v[6:9], off, off offset:304
	;; [unrolled: 1-line block ×11, first 2 shown]
	scratch_load_b64 v[208:209], off, off offset:280
	ds_load_b128 v[164:167], v1 offset:752
	ds_load_b128 v[168:171], v1 offset:768
	;; [unrolled: 1-line block ×11, first 2 shown]
	s_mov_b32 s0, exec_lo
	s_wait_loadcnt_dscnt 0xb0a
	v_dual_mul_f32 v1, v164, v3 :: v_dual_mul_f32 v30, v166, v5
	s_wait_loadcnt_dscnt 0xa09
	v_dual_mul_f32 v5, v167, v5 :: v_dual_mul_f32 v210, v168, v7
	v_mul_f32_e32 v211, v170, v9
	v_mul_f32_e32 v3, v165, v3
	v_dual_fmac_f32 v1, v165, v2 :: v_dual_fmac_f32 v30, v167, v4
	s_wait_loadcnt_dscnt 0x908
	v_dual_mul_f32 v212, v172, v11 :: v_dual_mul_f32 v213, v174, v13
	s_wait_loadcnt_dscnt 0x201
	v_mul_f32_e32 v226, v200, v157
	v_fma_f32 v3, v164, v2, -v3
	s_wait_loadcnt_dscnt 0x100
	v_mul_f32_e32 v229, v206, v163
	v_mul_f32_e32 v2, v169, v7
	v_fma_f32 v4, v166, v4, -v5
	v_dual_mul_f32 v214, v176, v15 :: v_dual_mul_f32 v215, v178, v17
	v_dual_add_f32 v3, 0, v3 :: v_dual_fmac_f32 v210, v169, v6
	v_dual_mul_f32 v5, v171, v9 :: v_dual_fmac_f32 v212, v173, v10
	v_fma_f32 v2, v168, v6, -v2
	s_delay_alu instid0(VALU_DEP_3) | instskip(NEXT) | instid1(VALU_DEP_3)
	v_dual_add_f32 v3, v3, v4 :: v_dual_fmac_f32 v214, v177, v14
	v_fma_f32 v5, v170, v8, -v5
	v_dual_mul_f32 v216, v180, v19 :: v_dual_mul_f32 v217, v182, v21
	s_delay_alu instid0(VALU_DEP_3) | instskip(SKIP_2) | instid1(VALU_DEP_3)
	v_add_f32_e32 v2, v3, v2
	v_dual_mul_f32 v3, v175, v13 :: v_dual_mul_f32 v218, v184, v23
	v_dual_mul_f32 v219, v186, v25 :: v_dual_mul_f32 v4, v173, v11
	v_add_f32_e32 v2, v2, v5
	v_dual_add_f32 v1, 0, v1 :: v_dual_fmac_f32 v216, v181, v18
	s_delay_alu instid0(VALU_DEP_4) | instskip(NEXT) | instid1(VALU_DEP_4)
	v_fma_f32 v3, v174, v12, -v3
	v_fma_f32 v4, v172, v10, -v4
	v_fmac_f32_e32 v215, v179, v16
	s_delay_alu instid0(VALU_DEP_4) | instskip(SKIP_1) | instid1(VALU_DEP_4)
	v_dual_add_f32 v1, v1, v30 :: v_dual_mul_f32 v222, v192, v149
	v_mul_f32_e32 v223, v194, v151
	v_add_f32_e32 v2, v2, v4
	s_delay_alu instid0(VALU_DEP_3) | instskip(SKIP_2) | instid1(VALU_DEP_3)
	v_dual_mul_f32 v4, v179, v17 :: v_dual_add_f32 v1, v1, v210
	v_dual_fmac_f32 v211, v171, v8 :: v_dual_mul_f32 v220, v188, v27
	v_mul_f32_e32 v221, v190, v29
	v_fma_f32 v4, v178, v16, -v4
	v_mul_f32_e32 v5, v177, v15
	v_add_f32_e32 v2, v2, v3
	v_dual_add_f32 v1, v1, v211 :: v_dual_mul_f32 v224, v196, v153
	v_mul_f32_e32 v225, v198, v155
	s_delay_alu instid0(VALU_DEP_4) | instskip(SKIP_3) | instid1(VALU_DEP_4)
	v_fma_f32 v5, v176, v14, -v5
	v_dual_fmac_f32 v213, v175, v12 :: v_dual_fmac_f32 v218, v185, v22
	v_fmac_f32_e32 v221, v191, v28
	v_dual_fmac_f32 v217, v183, v20 :: v_dual_fmac_f32 v220, v189, v26
	v_add_f32_e32 v2, v2, v5
	v_mul_f32_e32 v5, v183, v21
	v_dual_mul_f32 v227, v202, v159 :: v_dual_mul_f32 v228, v204, v161
	s_delay_alu instid0(VALU_DEP_3) | instskip(NEXT) | instid1(VALU_DEP_3)
	v_dual_fmac_f32 v225, v199, v154 :: v_dual_add_f32 v2, v2, v4
	v_fma_f32 v5, v182, v20, -v5
	v_mul_f32_e32 v3, v181, v19
	v_mul_f32_e32 v4, v185, v23
	v_dual_fmac_f32 v228, v205, v160 :: v_dual_fmac_f32 v227, v203, v158
	v_fmac_f32_e32 v222, v193, v148
	s_delay_alu instid0(VALU_DEP_4) | instskip(SKIP_3) | instid1(VALU_DEP_4)
	v_fma_f32 v3, v180, v18, -v3
	v_add_f32_e32 v1, v1, v212
	v_fma_f32 v4, v184, v22, -v4
	v_dual_fmac_f32 v229, v207, v162 :: v_dual_fmac_f32 v224, v197, v152
	v_dual_add_f32 v2, v2, v3 :: v_dual_mul_f32 v3, v187, v25
	v_fmac_f32_e32 v226, v201, v156
	s_delay_alu instid0(VALU_DEP_2) | instskip(SKIP_1) | instid1(VALU_DEP_4)
	v_add_f32_e32 v2, v2, v5
	v_add_f32_e32 v1, v1, v213
	v_fma_f32 v3, v186, v24, -v3
	s_delay_alu instid0(VALU_DEP_2) | instskip(SKIP_1) | instid1(VALU_DEP_2)
	v_dual_add_f32 v2, v2, v4 :: v_dual_add_f32 v1, v1, v214
	v_mul_f32_e32 v4, v191, v29
	v_dual_fmac_f32 v219, v187, v24 :: v_dual_add_f32 v2, v2, v3
	v_mul_f32_e32 v3, v193, v149
	s_delay_alu instid0(VALU_DEP_3) | instskip(SKIP_1) | instid1(VALU_DEP_3)
	v_fma_f32 v4, v190, v28, -v4
	v_mul_f32_e32 v5, v189, v27
	v_fma_f32 v3, v192, v148, -v3
	s_delay_alu instid0(VALU_DEP_2) | instskip(NEXT) | instid1(VALU_DEP_1)
	v_fma_f32 v5, v188, v26, -v5
	v_dual_add_f32 v1, v1, v215 :: v_dual_add_f32 v2, v2, v5
	s_delay_alu instid0(VALU_DEP_1) | instskip(NEXT) | instid1(VALU_DEP_2)
	v_dual_mul_f32 v5, v195, v151 :: v_dual_add_f32 v2, v2, v4
	v_add_f32_e32 v1, v1, v216
	v_mul_f32_e32 v4, v197, v153
	s_delay_alu instid0(VALU_DEP_3) | instskip(NEXT) | instid1(VALU_DEP_4)
	v_fma_f32 v5, v194, v150, -v5
	v_dual_add_f32 v2, v2, v3 :: v_dual_fmac_f32 v223, v195, v150
	v_mul_f32_e32 v3, v199, v155
	s_delay_alu instid0(VALU_DEP_4) | instskip(NEXT) | instid1(VALU_DEP_3)
	v_fma_f32 v4, v196, v152, -v4
	v_add_f32_e32 v2, v2, v5
	v_add_f32_e32 v1, v1, v217
	s_delay_alu instid0(VALU_DEP_4) | instskip(NEXT) | instid1(VALU_DEP_3)
	v_fma_f32 v3, v198, v154, -v3
	v_dual_add_f32 v2, v2, v4 :: v_dual_mul_f32 v5, v201, v157
	s_delay_alu instid0(VALU_DEP_3) | instskip(NEXT) | instid1(VALU_DEP_2)
	v_dual_add_f32 v1, v1, v218 :: v_dual_mul_f32 v4, v203, v159
	v_add_f32_e32 v2, v2, v3
	s_delay_alu instid0(VALU_DEP_3) | instskip(NEXT) | instid1(VALU_DEP_3)
	v_fma_f32 v5, v200, v156, -v5
	v_add_f32_e32 v1, v1, v219
	v_mul_f32_e32 v3, v205, v161
	v_fma_f32 v4, v202, v158, -v4
	s_delay_alu instid0(VALU_DEP_4) | instskip(NEXT) | instid1(VALU_DEP_3)
	v_dual_add_f32 v2, v2, v5 :: v_dual_mul_f32 v5, v207, v163
	v_fma_f32 v3, v204, v160, -v3
	s_delay_alu instid0(VALU_DEP_2) | instskip(SKIP_1) | instid1(VALU_DEP_4)
	v_add_f32_e32 v2, v2, v4
	v_add_f32_e32 v1, v1, v220
	v_fma_f32 v4, v206, v162, -v5
	s_delay_alu instid0(VALU_DEP_2) | instskip(NEXT) | instid1(VALU_DEP_1)
	v_dual_add_f32 v2, v2, v3 :: v_dual_add_f32 v1, v1, v221
	v_dual_add_f32 v2, v2, v4 :: v_dual_add_f32 v1, v1, v222
	s_delay_alu instid0(VALU_DEP_1) | instskip(NEXT) | instid1(VALU_DEP_1)
	v_add_f32_e32 v1, v1, v223
	v_add_f32_e32 v1, v1, v224
	s_delay_alu instid0(VALU_DEP_1) | instskip(NEXT) | instid1(VALU_DEP_1)
	v_add_f32_e32 v1, v1, v225
	v_add_f32_e32 v1, v1, v226
	;; [unrolled: 3-line block ×3, first 2 shown]
	s_delay_alu instid0(VALU_DEP_1) | instskip(SKIP_1) | instid1(VALU_DEP_1)
	v_add_f32_e32 v3, v1, v229
	s_wait_loadcnt 0x0
	v_dual_sub_f32 v1, v208, v2 :: v_dual_sub_f32 v2, v209, v3
	scratch_store_b64 off, v[1:2], off offset:280
	v_cmpx_lt_u32_e32 34, v0
	s_cbranch_execz .LBB121_293
; %bb.292:
	scratch_load_b64 v[1:2], off, off offset:272
	v_mov_b32_e32 v3, 0
	s_delay_alu instid0(VALU_DEP_1)
	v_mov_b32_e32 v4, v3
	scratch_store_b64 off, v[3:4], off offset:272
	s_wait_loadcnt 0x0
	ds_store_b64 v31, v[1:2]
.LBB121_293:
	s_wait_alu 0xfffe
	s_or_b32 exec_lo, exec_lo, s0
	s_wait_storecnt_dscnt 0x0
	s_barrier_signal -1
	s_barrier_wait -1
	global_inv scope:SCOPE_SE
	s_clause 0xc
	scratch_load_b128 v[2:5], off, off offset:280
	scratch_load_b128 v[6:9], off, off offset:296
	;; [unrolled: 1-line block ×11, first 2 shown]
	scratch_load_b64 v[208:209], off, off offset:456
	scratch_load_b64 v[210:211], off, off offset:272
	v_mov_b32_e32 v1, 0
	ds_load_2addr_b64 v[164:167], v1 offset0:93 offset1:94
	ds_load_2addr_b64 v[168:171], v1 offset0:95 offset1:96
	;; [unrolled: 1-line block ×11, first 2 shown]
	ds_load_b64 v[212:213], v1 offset:920
	s_mov_b32 s0, exec_lo
	s_wait_loadcnt_dscnt 0xc0b
	v_mul_f32_e32 v30, v164, v3
	s_wait_loadcnt_dscnt 0xb0a
	v_dual_mul_f32 v214, v166, v5 :: v_dual_mul_f32 v215, v168, v7
	v_mul_f32_e32 v3, v165, v3
	v_mul_f32_e32 v5, v167, v5
	s_wait_loadcnt_dscnt 0xa09
	v_dual_mul_f32 v216, v170, v9 :: v_dual_mul_f32 v217, v172, v11
	s_wait_loadcnt_dscnt 0x605
	v_mul_f32_e32 v226, v190, v29
	v_fma_f32 v3, v164, v2, -v3
	v_fmac_f32_e32 v30, v165, v2
	s_wait_loadcnt_dscnt 0x100
	v_dual_mul_f32 v2, v169, v7 :: v_dual_mul_f32 v235, v212, v209
	s_delay_alu instid0(VALU_DEP_3) | instskip(SKIP_4) | instid1(VALU_DEP_4)
	v_dual_fmac_f32 v214, v167, v4 :: v_dual_add_f32 v3, 0, v3
	v_fma_f32 v4, v166, v4, -v5
	v_dual_add_f32 v5, 0, v30 :: v_dual_fmac_f32 v216, v171, v8
	v_mul_f32_e32 v7, v171, v9
	v_fma_f32 v2, v168, v6, -v2
	v_add_f32_e32 v3, v3, v4
	v_fmac_f32_e32 v215, v169, v6
	v_add_f32_e32 v4, v5, v214
	v_mul_f32_e32 v5, v173, v11
	v_fma_f32 v6, v170, v8, -v7
	v_add_f32_e32 v2, v3, v2
	v_dual_mul_f32 v218, v174, v13 :: v_dual_mul_f32 v219, v176, v15
	v_dual_add_f32 v3, v4, v215 :: v_dual_mul_f32 v4, v175, v13
	v_fma_f32 v5, v172, v10, -v5
	s_delay_alu instid0(VALU_DEP_4)
	v_add_f32_e32 v2, v2, v6
	v_fmac_f32_e32 v217, v173, v10
	v_mul_f32_e32 v6, v177, v15
	v_fmac_f32_e32 v218, v175, v12
	v_add_f32_e32 v3, v3, v216
	v_fma_f32 v4, v174, v12, -v4
	v_add_f32_e32 v2, v2, v5
	v_dual_mul_f32 v220, v178, v17 :: v_dual_mul_f32 v221, v180, v19
	s_delay_alu instid0(VALU_DEP_4)
	v_add_f32_e32 v3, v3, v217
	v_mul_f32_e32 v5, v179, v17
	v_fma_f32 v6, v176, v14, -v6
	v_dual_add_f32 v2, v2, v4 :: v_dual_fmac_f32 v219, v177, v14
	v_fmac_f32_e32 v220, v179, v16
	v_mul_f32_e32 v4, v181, v19
	v_fma_f32 v5, v178, v16, -v5
	s_delay_alu instid0(VALU_DEP_4) | instskip(SKIP_3) | instid1(VALU_DEP_3)
	v_add_f32_e32 v2, v2, v6
	v_add_f32_e32 v3, v3, v218
	v_dual_mul_f32 v6, v183, v21 :: v_dual_fmac_f32 v221, v181, v18
	v_fma_f32 v4, v180, v18, -v4
	v_dual_add_f32 v2, v2, v5 :: v_dual_add_f32 v3, v3, v219
	v_dual_mul_f32 v222, v182, v21 :: v_dual_mul_f32 v223, v184, v23
	s_delay_alu instid0(VALU_DEP_4) | instskip(NEXT) | instid1(VALU_DEP_3)
	v_fma_f32 v6, v182, v20, -v6
	v_add_f32_e32 v2, v2, v4
	s_delay_alu instid0(VALU_DEP_4) | instskip(NEXT) | instid1(VALU_DEP_4)
	v_add_f32_e32 v3, v3, v220
	v_dual_mul_f32 v5, v185, v23 :: v_dual_fmac_f32 v222, v183, v20
	v_dual_mul_f32 v224, v186, v25 :: v_dual_mul_f32 v225, v188, v27
	s_delay_alu instid0(VALU_DEP_3) | instskip(SKIP_1) | instid1(VALU_DEP_4)
	v_dual_add_f32 v2, v2, v6 :: v_dual_add_f32 v3, v3, v221
	v_dual_mul_f32 v4, v187, v25 :: v_dual_fmac_f32 v223, v185, v22
	v_fma_f32 v5, v184, v22, -v5
	s_delay_alu instid0(VALU_DEP_3) | instskip(SKIP_1) | instid1(VALU_DEP_4)
	v_dual_mul_f32 v6, v189, v27 :: v_dual_add_f32 v3, v3, v222
	v_dual_fmac_f32 v224, v187, v24 :: v_dual_fmac_f32 v225, v189, v26
	v_fma_f32 v4, v186, v24, -v4
	s_delay_alu instid0(VALU_DEP_3) | instskip(SKIP_3) | instid1(VALU_DEP_4)
	v_dual_add_f32 v2, v2, v5 :: v_dual_add_f32 v3, v3, v223
	v_mul_f32_e32 v5, v191, v29
	v_fma_f32 v6, v188, v26, -v6
	v_dual_mul_f32 v227, v192, v149 :: v_dual_mul_f32 v228, v194, v151
	v_add_f32_e32 v2, v2, v4
	v_dual_add_f32 v3, v3, v224 :: v_dual_mul_f32 v4, v193, v149
	v_fmac_f32_e32 v226, v191, v28
	v_fma_f32 v5, v190, v28, -v5
	s_delay_alu instid0(VALU_DEP_3) | instskip(SKIP_2) | instid1(VALU_DEP_3)
	v_dual_add_f32 v2, v2, v6 :: v_dual_add_f32 v3, v3, v225
	v_dual_mul_f32 v6, v195, v151 :: v_dual_fmac_f32 v227, v193, v148
	v_fma_f32 v4, v192, v148, -v4
	v_add_f32_e32 v2, v2, v5
	v_mul_f32_e32 v5, v197, v153
	v_add_f32_e32 v3, v3, v226
	v_dual_mul_f32 v229, v196, v153 :: v_dual_mul_f32 v230, v198, v155
	v_fmac_f32_e32 v228, v195, v150
	v_fma_f32 v6, v194, v150, -v6
	s_delay_alu instid0(VALU_DEP_4) | instskip(SKIP_2) | instid1(VALU_DEP_2)
	v_dual_add_f32 v2, v2, v4 :: v_dual_add_f32 v3, v3, v227
	v_dual_mul_f32 v231, v200, v157 :: v_dual_mul_f32 v232, v202, v159
	v_dual_mul_f32 v233, v204, v161 :: v_dual_mul_f32 v234, v206, v163
	v_dual_mul_f32 v4, v199, v155 :: v_dual_fmac_f32 v231, v201, v156
	v_fmac_f32_e32 v229, v197, v152
	v_fma_f32 v5, v196, v152, -v5
	v_dual_add_f32 v2, v2, v6 :: v_dual_add_f32 v3, v3, v228
	v_mul_f32_e32 v6, v201, v157
	v_dual_fmac_f32 v230, v199, v154 :: v_dual_fmac_f32 v233, v205, v160
	v_fma_f32 v4, v198, v154, -v4
	s_delay_alu instid0(VALU_DEP_4) | instskip(SKIP_3) | instid1(VALU_DEP_3)
	v_add_f32_e32 v3, v3, v229
	v_dual_add_f32 v2, v2, v5 :: v_dual_mul_f32 v5, v203, v159
	v_fma_f32 v6, v200, v156, -v6
	v_fmac_f32_e32 v232, v203, v158
	v_dual_add_f32 v3, v3, v230 :: v_dual_add_f32 v2, v2, v4
	v_mul_f32_e32 v4, v205, v161
	v_fma_f32 v5, v202, v158, -v5
	v_fmac_f32_e32 v234, v207, v162
	s_delay_alu instid0(VALU_DEP_4) | instskip(SKIP_2) | instid1(VALU_DEP_3)
	v_dual_add_f32 v3, v3, v231 :: v_dual_add_f32 v2, v2, v6
	v_dual_mul_f32 v6, v207, v163 :: v_dual_fmac_f32 v235, v213, v208
	v_fma_f32 v4, v204, v160, -v4
	v_add_f32_e32 v2, v2, v5
	v_mul_f32_e32 v5, v213, v209
	v_add_f32_e32 v3, v3, v232
	v_fma_f32 v6, v206, v162, -v6
	s_delay_alu instid0(VALU_DEP_2) | instskip(NEXT) | instid1(VALU_DEP_1)
	v_add_f32_e32 v3, v3, v233
	v_dual_add_f32 v3, v3, v234 :: v_dual_add_f32 v2, v2, v4
	v_fma_f32 v4, v212, v208, -v5
	s_delay_alu instid0(VALU_DEP_2) | instskip(SKIP_1) | instid1(VALU_DEP_1)
	v_dual_add_f32 v3, v3, v235 :: v_dual_add_f32 v2, v2, v6
	s_wait_loadcnt 0x0
	v_dual_sub_f32 v3, v211, v3 :: v_dual_add_f32 v2, v2, v4
	s_delay_alu instid0(VALU_DEP_1)
	v_sub_f32_e32 v2, v210, v2
	scratch_store_b64 off, v[2:3], off offset:272
	v_cmpx_lt_u32_e32 33, v0
	s_cbranch_execz .LBB121_295
; %bb.294:
	scratch_load_b64 v[3:4], off, off offset:264
	v_mov_b32_e32 v2, v1
	scratch_store_b64 off, v[1:2], off offset:264
	s_wait_loadcnt 0x0
	ds_store_b64 v31, v[3:4]
.LBB121_295:
	s_wait_alu 0xfffe
	s_or_b32 exec_lo, exec_lo, s0
	s_wait_storecnt_dscnt 0x0
	s_barrier_signal -1
	s_barrier_wait -1
	global_inv scope:SCOPE_SE
	s_clause 0xc
	scratch_load_b128 v[2:5], off, off offset:272
	scratch_load_b128 v[6:9], off, off offset:288
	;; [unrolled: 1-line block ×12, first 2 shown]
	scratch_load_b64 v[216:217], off, off offset:264
	ds_load_b128 v[168:171], v1 offset:736
	ds_load_b128 v[172:175], v1 offset:752
	;; [unrolled: 1-line block ×12, first 2 shown]
	s_mov_b32 s0, exec_lo
	s_wait_loadcnt_dscnt 0xc0b
	v_dual_mul_f32 v1, v168, v3 :: v_dual_mul_f32 v30, v170, v5
	s_wait_loadcnt_dscnt 0xb0a
	v_dual_mul_f32 v5, v171, v5 :: v_dual_mul_f32 v218, v172, v7
	v_mul_f32_e32 v219, v174, v9
	s_delay_alu instid0(VALU_DEP_3)
	v_fmac_f32_e32 v1, v169, v2
	v_dual_mul_f32 v3, v169, v3 :: v_dual_fmac_f32 v30, v171, v4
	s_wait_loadcnt_dscnt 0xa09
	v_dual_mul_f32 v220, v176, v11 :: v_dual_mul_f32 v221, v178, v13
	s_wait_loadcnt_dscnt 0x201
	v_mul_f32_e32 v236, v208, v161
	v_fma_f32 v3, v168, v2, -v3
	s_wait_loadcnt_dscnt 0x100
	v_mul_f32_e32 v239, v214, v167
	v_mul_f32_e32 v2, v173, v7
	v_fma_f32 v4, v170, v4, -v5
	v_dual_mul_f32 v222, v180, v15 :: v_dual_mul_f32 v223, v182, v17
	v_dual_add_f32 v3, 0, v3 :: v_dual_fmac_f32 v218, v173, v6
	v_dual_mul_f32 v5, v175, v9 :: v_dual_fmac_f32 v220, v177, v10
	v_fma_f32 v2, v172, v6, -v2
	s_delay_alu instid0(VALU_DEP_3) | instskip(NEXT) | instid1(VALU_DEP_3)
	v_dual_add_f32 v3, v3, v4 :: v_dual_fmac_f32 v222, v181, v14
	v_fma_f32 v5, v174, v8, -v5
	v_dual_mul_f32 v224, v184, v19 :: v_dual_mul_f32 v225, v186, v21
	s_delay_alu instid0(VALU_DEP_3) | instskip(SKIP_2) | instid1(VALU_DEP_3)
	v_add_f32_e32 v2, v3, v2
	v_dual_mul_f32 v3, v179, v13 :: v_dual_mul_f32 v226, v188, v23
	v_dual_mul_f32 v227, v190, v25 :: v_dual_mul_f32 v4, v177, v11
	v_add_f32_e32 v2, v2, v5
	v_dual_add_f32 v1, 0, v1 :: v_dual_fmac_f32 v224, v185, v18
	s_delay_alu instid0(VALU_DEP_4) | instskip(NEXT) | instid1(VALU_DEP_4)
	v_fma_f32 v3, v178, v12, -v3
	v_fma_f32 v4, v176, v10, -v4
	v_fmac_f32_e32 v223, v183, v16
	s_delay_alu instid0(VALU_DEP_4) | instskip(SKIP_1) | instid1(VALU_DEP_4)
	v_dual_add_f32 v1, v1, v30 :: v_dual_mul_f32 v230, v196, v149
	v_mul_f32_e32 v231, v198, v151
	v_add_f32_e32 v2, v2, v4
	s_delay_alu instid0(VALU_DEP_3) | instskip(SKIP_2) | instid1(VALU_DEP_3)
	v_dual_mul_f32 v4, v183, v17 :: v_dual_add_f32 v1, v1, v218
	v_dual_fmac_f32 v219, v175, v8 :: v_dual_mul_f32 v228, v192, v27
	v_mul_f32_e32 v229, v194, v29
	v_fma_f32 v4, v182, v16, -v4
	v_mul_f32_e32 v5, v181, v15
	v_add_f32_e32 v2, v2, v3
	v_dual_add_f32 v1, v1, v219 :: v_dual_mul_f32 v232, v200, v153
	v_mul_f32_e32 v233, v202, v155
	s_delay_alu instid0(VALU_DEP_4) | instskip(SKIP_3) | instid1(VALU_DEP_4)
	v_fma_f32 v5, v180, v14, -v5
	v_fmac_f32_e32 v221, v179, v12
	v_dual_fmac_f32 v229, v195, v28 :: v_dual_fmac_f32 v226, v189, v22
	v_dual_mul_f32 v234, v204, v157 :: v_dual_mul_f32 v235, v206, v159
	v_add_f32_e32 v2, v2, v5
	v_mul_f32_e32 v5, v187, v21
	v_dual_fmac_f32 v225, v187, v20 :: v_dual_fmac_f32 v228, v193, v26
	v_dual_mul_f32 v237, v210, v163 :: v_dual_mul_f32 v238, v212, v165
	s_delay_alu instid0(VALU_DEP_3) | instskip(SKIP_3) | instid1(VALU_DEP_3)
	v_fma_f32 v5, v186, v20, -v5
	v_dual_mul_f32 v3, v185, v19 :: v_dual_add_f32 v2, v2, v4
	v_dual_mul_f32 v4, v189, v23 :: v_dual_fmac_f32 v235, v207, v158
	v_dual_fmac_f32 v233, v203, v154 :: v_dual_fmac_f32 v236, v209, v160
	v_fma_f32 v3, v184, v18, -v3
	v_add_f32_e32 v1, v1, v220
	s_delay_alu instid0(VALU_DEP_4) | instskip(SKIP_1) | instid1(VALU_DEP_4)
	v_fma_f32 v4, v188, v22, -v4
	v_dual_fmac_f32 v230, v197, v148 :: v_dual_fmac_f32 v239, v215, v166
	v_dual_add_f32 v2, v2, v3 :: v_dual_mul_f32 v3, v191, v25
	v_fmac_f32_e32 v232, v201, v152
	v_fmac_f32_e32 v234, v205, v156
	;; [unrolled: 1-line block ×3, first 2 shown]
	s_delay_alu instid0(VALU_DEP_4) | instskip(SKIP_2) | instid1(VALU_DEP_2)
	v_add_f32_e32 v2, v2, v5
	v_add_f32_e32 v1, v1, v221
	v_fma_f32 v3, v190, v24, -v3
	v_dual_add_f32 v2, v2, v4 :: v_dual_add_f32 v1, v1, v222
	v_mul_f32_e32 v4, v195, v29
	s_delay_alu instid0(VALU_DEP_2) | instskip(SKIP_1) | instid1(VALU_DEP_3)
	v_dual_fmac_f32 v227, v191, v24 :: v_dual_add_f32 v2, v2, v3
	v_mul_f32_e32 v3, v197, v149
	v_fma_f32 v4, v194, v28, -v4
	v_mul_f32_e32 v5, v193, v27
	s_delay_alu instid0(VALU_DEP_3) | instskip(NEXT) | instid1(VALU_DEP_2)
	v_fma_f32 v3, v196, v148, -v3
	v_fma_f32 v5, v192, v26, -v5
	s_delay_alu instid0(VALU_DEP_1) | instskip(NEXT) | instid1(VALU_DEP_1)
	v_dual_add_f32 v1, v1, v223 :: v_dual_add_f32 v2, v2, v5
	v_dual_mul_f32 v5, v199, v151 :: v_dual_add_f32 v2, v2, v4
	s_delay_alu instid0(VALU_DEP_2) | instskip(SKIP_1) | instid1(VALU_DEP_3)
	v_add_f32_e32 v1, v1, v224
	v_mul_f32_e32 v4, v201, v153
	v_fma_f32 v5, v198, v150, -v5
	s_delay_alu instid0(VALU_DEP_4) | instskip(SKIP_1) | instid1(VALU_DEP_4)
	v_dual_add_f32 v2, v2, v3 :: v_dual_fmac_f32 v231, v199, v150
	v_mul_f32_e32 v3, v203, v155
	v_fma_f32 v4, v200, v152, -v4
	s_delay_alu instid0(VALU_DEP_3) | instskip(SKIP_1) | instid1(VALU_DEP_4)
	v_add_f32_e32 v2, v2, v5
	v_add_f32_e32 v1, v1, v225
	v_fma_f32 v3, v202, v154, -v3
	s_delay_alu instid0(VALU_DEP_3) | instskip(NEXT) | instid1(VALU_DEP_3)
	v_dual_add_f32 v2, v2, v4 :: v_dual_mul_f32 v5, v205, v157
	v_dual_add_f32 v1, v1, v226 :: v_dual_mul_f32 v4, v207, v159
	s_delay_alu instid0(VALU_DEP_2) | instskip(NEXT) | instid1(VALU_DEP_3)
	v_add_f32_e32 v2, v2, v3
	v_fma_f32 v5, v204, v156, -v5
	s_delay_alu instid0(VALU_DEP_3) | instskip(SKIP_2) | instid1(VALU_DEP_4)
	v_add_f32_e32 v1, v1, v227
	v_mul_f32_e32 v3, v209, v161
	v_fma_f32 v4, v206, v158, -v4
	v_dual_add_f32 v2, v2, v5 :: v_dual_mul_f32 v5, v211, v163
	s_delay_alu instid0(VALU_DEP_3) | instskip(NEXT) | instid1(VALU_DEP_2)
	v_fma_f32 v3, v208, v160, -v3
	v_add_f32_e32 v2, v2, v4
	v_add_f32_e32 v1, v1, v228
	v_mul_f32_e32 v4, v213, v165
	v_fma_f32 v5, v210, v162, -v5
	s_delay_alu instid0(VALU_DEP_4) | instskip(SKIP_1) | instid1(VALU_DEP_4)
	v_dual_add_f32 v2, v2, v3 :: v_dual_fmac_f32 v237, v211, v162
	v_mul_f32_e32 v3, v215, v167
	v_fma_f32 v4, v212, v164, -v4
	s_delay_alu instid0(VALU_DEP_3) | instskip(SKIP_1) | instid1(VALU_DEP_4)
	v_add_f32_e32 v2, v2, v5
	v_add_f32_e32 v1, v1, v229
	v_fma_f32 v3, v214, v166, -v3
	s_delay_alu instid0(VALU_DEP_2) | instskip(NEXT) | instid1(VALU_DEP_1)
	v_dual_add_f32 v2, v2, v4 :: v_dual_add_f32 v1, v1, v230
	v_add_f32_e32 v2, v2, v3
	s_delay_alu instid0(VALU_DEP_2) | instskip(NEXT) | instid1(VALU_DEP_1)
	v_add_f32_e32 v1, v1, v231
	v_add_f32_e32 v1, v1, v232
	s_delay_alu instid0(VALU_DEP_1) | instskip(NEXT) | instid1(VALU_DEP_1)
	v_add_f32_e32 v1, v1, v233
	v_add_f32_e32 v1, v1, v234
	s_delay_alu instid0(VALU_DEP_1) | instskip(NEXT) | instid1(VALU_DEP_1)
	;; [unrolled: 3-line block ×3, first 2 shown]
	v_add_f32_e32 v1, v1, v237
	v_add_f32_e32 v1, v1, v238
	s_delay_alu instid0(VALU_DEP_1) | instskip(SKIP_1) | instid1(VALU_DEP_1)
	v_add_f32_e32 v3, v1, v239
	s_wait_loadcnt 0x0
	v_dual_sub_f32 v1, v216, v2 :: v_dual_sub_f32 v2, v217, v3
	scratch_store_b64 off, v[1:2], off offset:264
	v_cmpx_lt_u32_e32 32, v0
	s_cbranch_execz .LBB121_297
; %bb.296:
	scratch_load_b64 v[1:2], off, off offset:256
	v_mov_b32_e32 v3, 0
	s_delay_alu instid0(VALU_DEP_1)
	v_mov_b32_e32 v4, v3
	scratch_store_b64 off, v[3:4], off offset:256
	s_wait_loadcnt 0x0
	ds_store_b64 v31, v[1:2]
.LBB121_297:
	s_wait_alu 0xfffe
	s_or_b32 exec_lo, exec_lo, s0
	s_wait_storecnt_dscnt 0x0
	s_barrier_signal -1
	s_barrier_wait -1
	global_inv scope:SCOPE_SE
	s_clause 0xd
	scratch_load_b128 v[2:5], off, off offset:264
	scratch_load_b128 v[6:9], off, off offset:280
	;; [unrolled: 1-line block ×12, first 2 shown]
	scratch_load_b64 v[216:217], off, off offset:456
	scratch_load_b64 v[218:219], off, off offset:256
	v_mov_b32_e32 v1, 0
	ds_load_2addr_b64 v[168:171], v1 offset0:91 offset1:92
	ds_load_2addr_b64 v[172:175], v1 offset0:93 offset1:94
	ds_load_2addr_b64 v[176:179], v1 offset0:95 offset1:96
	ds_load_2addr_b64 v[180:183], v1 offset0:97 offset1:98
	ds_load_2addr_b64 v[184:187], v1 offset0:99 offset1:100
	ds_load_2addr_b64 v[188:191], v1 offset0:101 offset1:102
	ds_load_2addr_b64 v[192:195], v1 offset0:103 offset1:104
	ds_load_2addr_b64 v[196:199], v1 offset0:105 offset1:106
	ds_load_2addr_b64 v[200:203], v1 offset0:107 offset1:108
	ds_load_2addr_b64 v[204:207], v1 offset0:109 offset1:110
	ds_load_2addr_b64 v[208:211], v1 offset0:111 offset1:112
	ds_load_2addr_b64 v[212:215], v1 offset0:113 offset1:114
	ds_load_b64 v[220:221], v1 offset:920
	s_mov_b32 s0, exec_lo
	s_wait_loadcnt_dscnt 0xd0c
	v_mul_f32_e32 v30, v168, v3
	s_wait_loadcnt_dscnt 0xc0b
	v_dual_mul_f32 v222, v170, v5 :: v_dual_mul_f32 v223, v172, v7
	v_mul_f32_e32 v3, v169, v3
	v_mul_f32_e32 v5, v171, v5
	s_wait_loadcnt_dscnt 0xb0a
	v_dual_mul_f32 v224, v174, v9 :: v_dual_mul_f32 v225, v176, v11
	s_wait_loadcnt_dscnt 0x706
	v_mul_f32_e32 v234, v194, v29
	v_fma_f32 v3, v168, v2, -v3
	v_fmac_f32_e32 v30, v169, v2
	v_mul_f32_e32 v2, v173, v7
	s_wait_loadcnt_dscnt 0x100
	v_dual_fmac_f32 v222, v171, v4 :: v_dual_mul_f32 v245, v220, v217
	v_fma_f32 v4, v170, v4, -v5
	v_add_f32_e32 v3, 0, v3
	v_dual_add_f32 v5, 0, v30 :: v_dual_fmac_f32 v224, v175, v8
	v_mul_f32_e32 v7, v175, v9
	v_fma_f32 v2, v172, v6, -v2
	s_delay_alu instid0(VALU_DEP_4)
	v_add_f32_e32 v3, v3, v4
	v_fmac_f32_e32 v223, v173, v6
	v_add_f32_e32 v4, v5, v222
	v_mul_f32_e32 v5, v177, v11
	v_fma_f32 v6, v174, v8, -v7
	v_add_f32_e32 v2, v3, v2
	v_dual_mul_f32 v226, v178, v13 :: v_dual_mul_f32 v227, v180, v15
	v_dual_add_f32 v3, v4, v223 :: v_dual_mul_f32 v4, v179, v13
	v_fma_f32 v5, v176, v10, -v5
	s_delay_alu instid0(VALU_DEP_4)
	v_add_f32_e32 v2, v2, v6
	v_fmac_f32_e32 v225, v177, v10
	v_mul_f32_e32 v6, v181, v15
	v_fmac_f32_e32 v226, v179, v12
	v_add_f32_e32 v3, v3, v224
	v_fma_f32 v4, v178, v12, -v4
	v_add_f32_e32 v2, v2, v5
	v_dual_mul_f32 v228, v182, v17 :: v_dual_mul_f32 v229, v184, v19
	s_delay_alu instid0(VALU_DEP_4)
	v_add_f32_e32 v3, v3, v225
	v_mul_f32_e32 v5, v183, v17
	v_fma_f32 v6, v180, v14, -v6
	v_dual_add_f32 v2, v2, v4 :: v_dual_fmac_f32 v227, v181, v14
	v_fmac_f32_e32 v228, v183, v16
	v_mul_f32_e32 v4, v185, v19
	v_fma_f32 v5, v182, v16, -v5
	s_delay_alu instid0(VALU_DEP_4) | instskip(SKIP_3) | instid1(VALU_DEP_3)
	v_add_f32_e32 v2, v2, v6
	v_add_f32_e32 v3, v3, v226
	v_dual_mul_f32 v6, v187, v21 :: v_dual_fmac_f32 v229, v185, v18
	v_fma_f32 v4, v184, v18, -v4
	v_dual_add_f32 v2, v2, v5 :: v_dual_add_f32 v3, v3, v227
	v_dual_mul_f32 v230, v186, v21 :: v_dual_mul_f32 v231, v188, v23
	s_delay_alu instid0(VALU_DEP_4) | instskip(NEXT) | instid1(VALU_DEP_3)
	v_fma_f32 v6, v186, v20, -v6
	v_add_f32_e32 v2, v2, v4
	s_delay_alu instid0(VALU_DEP_4) | instskip(NEXT) | instid1(VALU_DEP_4)
	v_add_f32_e32 v3, v3, v228
	v_dual_mul_f32 v5, v189, v23 :: v_dual_fmac_f32 v230, v187, v20
	v_dual_mul_f32 v232, v190, v25 :: v_dual_mul_f32 v233, v192, v27
	s_delay_alu instid0(VALU_DEP_3) | instskip(SKIP_1) | instid1(VALU_DEP_4)
	v_dual_add_f32 v2, v2, v6 :: v_dual_add_f32 v3, v3, v229
	v_dual_mul_f32 v4, v191, v25 :: v_dual_fmac_f32 v231, v189, v22
	v_fma_f32 v5, v188, v22, -v5
	s_delay_alu instid0(VALU_DEP_3) | instskip(SKIP_1) | instid1(VALU_DEP_4)
	v_dual_mul_f32 v6, v193, v27 :: v_dual_add_f32 v3, v3, v230
	v_dual_fmac_f32 v232, v191, v24 :: v_dual_fmac_f32 v233, v193, v26
	v_fma_f32 v4, v190, v24, -v4
	s_delay_alu instid0(VALU_DEP_3) | instskip(SKIP_3) | instid1(VALU_DEP_4)
	v_dual_add_f32 v2, v2, v5 :: v_dual_add_f32 v3, v3, v231
	v_mul_f32_e32 v5, v195, v29
	v_fma_f32 v6, v192, v26, -v6
	v_dual_mul_f32 v235, v196, v149 :: v_dual_mul_f32 v236, v198, v151
	v_add_f32_e32 v2, v2, v4
	v_dual_add_f32 v3, v3, v232 :: v_dual_mul_f32 v4, v197, v149
	v_fmac_f32_e32 v234, v195, v28
	v_fma_f32 v5, v194, v28, -v5
	s_delay_alu instid0(VALU_DEP_3) | instskip(SKIP_2) | instid1(VALU_DEP_3)
	v_dual_add_f32 v2, v2, v6 :: v_dual_add_f32 v3, v3, v233
	v_dual_mul_f32 v6, v199, v151 :: v_dual_fmac_f32 v235, v197, v148
	v_fma_f32 v4, v196, v148, -v4
	v_add_f32_e32 v2, v2, v5
	v_mul_f32_e32 v5, v201, v153
	v_add_f32_e32 v3, v3, v234
	v_dual_mul_f32 v237, v200, v153 :: v_dual_mul_f32 v238, v202, v155
	v_fmac_f32_e32 v236, v199, v150
	v_fma_f32 v6, v198, v150, -v6
	s_delay_alu instid0(VALU_DEP_4) | instskip(SKIP_2) | instid1(VALU_DEP_2)
	v_dual_add_f32 v2, v2, v4 :: v_dual_add_f32 v3, v3, v235
	v_dual_mul_f32 v239, v204, v157 :: v_dual_mul_f32 v240, v206, v159
	v_dual_mul_f32 v241, v208, v161 :: v_dual_mul_f32 v242, v210, v163
	v_dual_mul_f32 v4, v203, v155 :: v_dual_fmac_f32 v239, v205, v156
	v_fmac_f32_e32 v237, v201, v152
	v_fma_f32 v5, v200, v152, -v5
	v_dual_add_f32 v2, v2, v6 :: v_dual_add_f32 v3, v3, v236
	v_mul_f32_e32 v6, v205, v157
	v_dual_fmac_f32 v238, v203, v154 :: v_dual_fmac_f32 v241, v209, v160
	v_fma_f32 v4, v202, v154, -v4
	s_delay_alu instid0(VALU_DEP_4) | instskip(SKIP_3) | instid1(VALU_DEP_3)
	v_add_f32_e32 v3, v3, v237
	v_dual_add_f32 v2, v2, v5 :: v_dual_mul_f32 v5, v207, v159
	v_fma_f32 v6, v204, v156, -v6
	v_fmac_f32_e32 v240, v207, v158
	v_dual_add_f32 v3, v3, v238 :: v_dual_add_f32 v2, v2, v4
	v_mul_f32_e32 v4, v209, v161
	v_fma_f32 v5, v206, v158, -v5
	v_dual_mul_f32 v243, v212, v165 :: v_dual_mul_f32 v244, v214, v167
	s_delay_alu instid0(VALU_DEP_4) | instskip(NEXT) | instid1(VALU_DEP_2)
	v_dual_add_f32 v3, v3, v239 :: v_dual_add_f32 v2, v2, v6
	v_dual_mul_f32 v6, v211, v163 :: v_dual_fmac_f32 v243, v213, v164
	v_dual_fmac_f32 v242, v211, v162 :: v_dual_fmac_f32 v245, v221, v216
	s_delay_alu instid0(VALU_DEP_3)
	v_add_f32_e32 v2, v2, v5
	v_mul_f32_e32 v5, v213, v165
	v_add_f32_e32 v3, v3, v240
	v_fma_f32 v6, v210, v162, -v6
	v_fma_f32 v4, v208, v160, -v4
	v_fmac_f32_e32 v244, v215, v166
	v_fma_f32 v5, v212, v164, -v5
	v_add_f32_e32 v3, v3, v241
	s_delay_alu instid0(VALU_DEP_1) | instskip(SKIP_1) | instid1(VALU_DEP_2)
	v_dual_add_f32 v3, v3, v242 :: v_dual_add_f32 v2, v2, v4
	v_mul_f32_e32 v4, v215, v167
	v_dual_add_f32 v3, v3, v243 :: v_dual_add_f32 v2, v2, v6
	v_mul_f32_e32 v6, v221, v217
	s_delay_alu instid0(VALU_DEP_3) | instskip(NEXT) | instid1(VALU_DEP_3)
	v_fma_f32 v4, v214, v166, -v4
	v_add_f32_e32 v3, v3, v244
	s_delay_alu instid0(VALU_DEP_1) | instskip(SKIP_3) | instid1(VALU_DEP_2)
	v_add_f32_e32 v3, v3, v245
	v_add_f32_e32 v2, v2, v5
	v_fma_f32 v5, v220, v216, -v6
	s_wait_loadcnt 0x0
	v_dual_sub_f32 v3, v219, v3 :: v_dual_add_f32 v2, v2, v4
	s_delay_alu instid0(VALU_DEP_1) | instskip(NEXT) | instid1(VALU_DEP_1)
	v_add_f32_e32 v2, v2, v5
	v_sub_f32_e32 v2, v218, v2
	scratch_store_b64 off, v[2:3], off offset:256
	v_cmpx_lt_u32_e32 31, v0
	s_cbranch_execz .LBB121_299
; %bb.298:
	scratch_load_b64 v[3:4], off, off offset:248
	v_mov_b32_e32 v2, v1
	scratch_store_b64 off, v[1:2], off offset:248
	s_wait_loadcnt 0x0
	ds_store_b64 v31, v[3:4]
.LBB121_299:
	s_wait_alu 0xfffe
	s_or_b32 exec_lo, exec_lo, s0
	s_wait_storecnt_dscnt 0x0
	s_barrier_signal -1
	s_barrier_wait -1
	global_inv scope:SCOPE_SE
	s_clause 0xd
	scratch_load_b128 v[2:5], off, off offset:256
	scratch_load_b128 v[6:9], off, off offset:272
	;; [unrolled: 1-line block ×13, first 2 shown]
	scratch_load_b64 v[224:225], off, off offset:248
	ds_load_b128 v[172:175], v1 offset:720
	ds_load_b128 v[176:179], v1 offset:736
	;; [unrolled: 1-line block ×13, first 2 shown]
	s_mov_b32 s0, exec_lo
	s_wait_loadcnt_dscnt 0xd0c
	v_dual_mul_f32 v1, v172, v3 :: v_dual_mul_f32 v30, v174, v5
	s_wait_loadcnt_dscnt 0xc0b
	v_dual_mul_f32 v5, v175, v5 :: v_dual_mul_f32 v226, v176, v7
	v_mul_f32_e32 v227, v178, v9
	s_wait_loadcnt_dscnt 0xb0a
	v_dual_fmac_f32 v1, v173, v2 :: v_dual_mul_f32 v228, v180, v11
	v_mul_f32_e32 v229, v182, v13
	v_dual_mul_f32 v3, v173, v3 :: v_dual_fmac_f32 v30, v175, v4
	s_wait_loadcnt_dscnt 0xa09
	v_dual_mul_f32 v230, v184, v15 :: v_dual_mul_f32 v231, v186, v17
	s_wait_loadcnt_dscnt 0x201
	v_mul_f32_e32 v246, v216, v165
	v_fma_f32 v3, v172, v2, -v3
	s_wait_loadcnt_dscnt 0x100
	v_mul_f32_e32 v249, v222, v171
	v_mul_f32_e32 v2, v177, v7
	v_fma_f32 v4, v174, v4, -v5
	v_dual_mul_f32 v5, v179, v9 :: v_dual_fmac_f32 v228, v181, v10
	v_dual_add_f32 v3, 0, v3 :: v_dual_fmac_f32 v226, v177, v6
	s_delay_alu instid0(VALU_DEP_4) | instskip(NEXT) | instid1(VALU_DEP_3)
	v_fma_f32 v2, v176, v6, -v2
	v_fma_f32 v5, v178, v8, -v5
	s_delay_alu instid0(VALU_DEP_3) | instskip(SKIP_2) | instid1(VALU_DEP_3)
	v_dual_fmac_f32 v230, v185, v14 :: v_dual_add_f32 v3, v3, v4
	v_dual_mul_f32 v232, v188, v19 :: v_dual_mul_f32 v233, v190, v21
	v_dual_mul_f32 v234, v192, v23 :: v_dual_mul_f32 v235, v194, v25
	v_add_f32_e32 v2, v3, v2
	s_delay_alu instid0(VALU_DEP_3) | instskip(SKIP_1) | instid1(VALU_DEP_3)
	v_dual_mul_f32 v3, v183, v13 :: v_dual_fmac_f32 v232, v189, v18
	v_dual_mul_f32 v4, v181, v11 :: v_dual_fmac_f32 v231, v187, v16
	v_add_f32_e32 v2, v2, v5
	v_add_f32_e32 v1, 0, v1
	s_delay_alu instid0(VALU_DEP_4) | instskip(NEXT) | instid1(VALU_DEP_4)
	v_fma_f32 v3, v182, v12, -v3
	v_fma_f32 v4, v180, v10, -v4
	v_dual_mul_f32 v238, v200, v149 :: v_dual_mul_f32 v239, v202, v151
	s_delay_alu instid0(VALU_DEP_4) | instskip(SKIP_1) | instid1(VALU_DEP_4)
	v_dual_add_f32 v1, v1, v30 :: v_dual_mul_f32 v236, v196, v27
	v_mul_f32_e32 v237, v198, v29
	v_add_f32_e32 v2, v2, v4
	s_delay_alu instid0(VALU_DEP_3) | instskip(SKIP_2) | instid1(VALU_DEP_3)
	v_dual_mul_f32 v4, v187, v17 :: v_dual_add_f32 v1, v1, v226
	v_dual_fmac_f32 v227, v179, v8 :: v_dual_mul_f32 v240, v204, v153
	v_mul_f32_e32 v241, v206, v155
	v_fma_f32 v4, v186, v16, -v4
	v_mul_f32_e32 v5, v185, v15
	v_add_f32_e32 v2, v2, v3
	v_add_f32_e32 v1, v1, v227
	v_dual_fmac_f32 v237, v199, v28 :: v_dual_mul_f32 v242, v208, v157
	v_mul_f32_e32 v243, v210, v159
	v_fma_f32 v5, v184, v14, -v5
	v_dual_fmac_f32 v229, v183, v12 :: v_dual_fmac_f32 v234, v193, v22
	v_dual_fmac_f32 v233, v191, v20 :: v_dual_fmac_f32 v236, v197, v26
	s_delay_alu instid0(VALU_DEP_3) | instskip(SKIP_2) | instid1(VALU_DEP_3)
	v_add_f32_e32 v2, v2, v5
	v_mul_f32_e32 v5, v191, v21
	v_dual_mul_f32 v244, v212, v161 :: v_dual_mul_f32 v245, v214, v163
	v_dual_fmac_f32 v243, v211, v158 :: v_dual_add_f32 v2, v2, v4
	s_delay_alu instid0(VALU_DEP_3) | instskip(SKIP_4) | instid1(VALU_DEP_4)
	v_fma_f32 v5, v190, v20, -v5
	v_mul_f32_e32 v3, v189, v19
	v_mul_f32_e32 v4, v193, v23
	v_dual_mul_f32 v247, v218, v167 :: v_dual_mul_f32 v248, v220, v169
	v_fmac_f32_e32 v238, v201, v148
	v_fma_f32 v3, v188, v18, -v3
	v_add_f32_e32 v1, v1, v228
	v_fma_f32 v4, v192, v22, -v4
	v_dual_fmac_f32 v241, v207, v154 :: v_dual_fmac_f32 v244, v213, v160
	s_delay_alu instid0(VALU_DEP_4) | instskip(SKIP_2) | instid1(VALU_DEP_3)
	v_dual_add_f32 v2, v2, v3 :: v_dual_mul_f32 v3, v195, v25
	v_fmac_f32_e32 v247, v219, v166
	v_dual_fmac_f32 v249, v223, v170 :: v_dual_fmac_f32 v240, v205, v152
	v_add_f32_e32 v2, v2, v5
	v_add_f32_e32 v1, v1, v229
	v_fma_f32 v3, v194, v24, -v3
	v_fmac_f32_e32 v242, v209, v156
	v_fmac_f32_e32 v246, v217, v164
	s_delay_alu instid0(VALU_DEP_4) | instskip(SKIP_3) | instid1(VALU_DEP_4)
	v_dual_add_f32 v2, v2, v4 :: v_dual_add_f32 v1, v1, v230
	v_mul_f32_e32 v4, v199, v29
	v_fmac_f32_e32 v235, v195, v24
	v_fmac_f32_e32 v248, v221, v168
	v_dual_add_f32 v2, v2, v3 :: v_dual_mul_f32 v3, v201, v149
	s_delay_alu instid0(VALU_DEP_4) | instskip(SKIP_1) | instid1(VALU_DEP_3)
	v_fma_f32 v4, v198, v28, -v4
	v_mul_f32_e32 v5, v197, v27
	v_fma_f32 v3, v200, v148, -v3
	s_delay_alu instid0(VALU_DEP_2) | instskip(NEXT) | instid1(VALU_DEP_1)
	v_fma_f32 v5, v196, v26, -v5
	v_dual_add_f32 v1, v1, v231 :: v_dual_add_f32 v2, v2, v5
	s_delay_alu instid0(VALU_DEP_1) | instskip(NEXT) | instid1(VALU_DEP_2)
	v_dual_mul_f32 v5, v203, v151 :: v_dual_add_f32 v2, v2, v4
	v_add_f32_e32 v1, v1, v232
	v_mul_f32_e32 v4, v205, v153
	s_delay_alu instid0(VALU_DEP_3) | instskip(NEXT) | instid1(VALU_DEP_4)
	v_fma_f32 v5, v202, v150, -v5
	v_dual_add_f32 v2, v2, v3 :: v_dual_fmac_f32 v239, v203, v150
	v_mul_f32_e32 v3, v207, v155
	s_delay_alu instid0(VALU_DEP_4) | instskip(NEXT) | instid1(VALU_DEP_3)
	v_fma_f32 v4, v204, v152, -v4
	v_add_f32_e32 v2, v2, v5
	v_add_f32_e32 v1, v1, v233
	s_delay_alu instid0(VALU_DEP_4) | instskip(NEXT) | instid1(VALU_DEP_3)
	v_fma_f32 v3, v206, v154, -v3
	v_dual_add_f32 v2, v2, v4 :: v_dual_mul_f32 v5, v209, v157
	s_delay_alu instid0(VALU_DEP_3) | instskip(NEXT) | instid1(VALU_DEP_2)
	v_dual_add_f32 v1, v1, v234 :: v_dual_mul_f32 v4, v211, v159
	v_add_f32_e32 v2, v2, v3
	s_delay_alu instid0(VALU_DEP_3) | instskip(NEXT) | instid1(VALU_DEP_3)
	v_fma_f32 v5, v208, v156, -v5
	v_add_f32_e32 v1, v1, v235
	v_mul_f32_e32 v3, v213, v161
	v_fma_f32 v4, v210, v158, -v4
	s_delay_alu instid0(VALU_DEP_4) | instskip(NEXT) | instid1(VALU_DEP_3)
	v_dual_add_f32 v2, v2, v5 :: v_dual_mul_f32 v5, v215, v163
	v_fma_f32 v3, v212, v160, -v3
	s_delay_alu instid0(VALU_DEP_2) | instskip(SKIP_3) | instid1(VALU_DEP_4)
	v_add_f32_e32 v2, v2, v4
	v_add_f32_e32 v1, v1, v236
	v_mul_f32_e32 v4, v217, v165
	v_fma_f32 v5, v214, v162, -v5
	v_dual_add_f32 v2, v2, v3 :: v_dual_fmac_f32 v245, v215, v162
	v_mul_f32_e32 v3, v219, v167
	s_delay_alu instid0(VALU_DEP_4) | instskip(NEXT) | instid1(VALU_DEP_3)
	v_fma_f32 v4, v216, v164, -v4
	v_add_f32_e32 v2, v2, v5
	v_add_f32_e32 v1, v1, v237
	s_delay_alu instid0(VALU_DEP_4) | instskip(NEXT) | instid1(VALU_DEP_2)
	v_fma_f32 v3, v218, v166, -v3
	v_dual_add_f32 v2, v2, v4 :: v_dual_add_f32 v1, v1, v238
	v_dual_mul_f32 v4, v223, v171 :: v_dual_mul_f32 v5, v221, v169
	s_delay_alu instid0(VALU_DEP_2) | instskip(NEXT) | instid1(VALU_DEP_2)
	v_add_f32_e32 v2, v2, v3
	v_fma_f32 v3, v222, v170, -v4
	s_delay_alu instid0(VALU_DEP_3) | instskip(NEXT) | instid1(VALU_DEP_1)
	v_fma_f32 v5, v220, v168, -v5
	v_dual_add_f32 v1, v1, v239 :: v_dual_add_f32 v2, v2, v5
	s_delay_alu instid0(VALU_DEP_1) | instskip(NEXT) | instid1(VALU_DEP_1)
	v_dual_add_f32 v1, v1, v240 :: v_dual_add_f32 v2, v2, v3
	v_add_f32_e32 v1, v1, v241
	s_delay_alu instid0(VALU_DEP_1) | instskip(NEXT) | instid1(VALU_DEP_1)
	v_add_f32_e32 v1, v1, v242
	v_add_f32_e32 v1, v1, v243
	s_delay_alu instid0(VALU_DEP_1) | instskip(NEXT) | instid1(VALU_DEP_1)
	v_add_f32_e32 v1, v1, v244
	;; [unrolled: 3-line block ×4, first 2 shown]
	v_add_f32_e32 v3, v1, v249
	s_wait_loadcnt 0x0
	s_delay_alu instid0(VALU_DEP_1)
	v_dual_sub_f32 v1, v224, v2 :: v_dual_sub_f32 v2, v225, v3
	scratch_store_b64 off, v[1:2], off offset:248
	v_cmpx_lt_u32_e32 30, v0
	s_cbranch_execz .LBB121_301
; %bb.300:
	scratch_load_b64 v[1:2], off, off offset:240
	v_mov_b32_e32 v3, 0
	s_delay_alu instid0(VALU_DEP_1)
	v_mov_b32_e32 v4, v3
	scratch_store_b64 off, v[3:4], off offset:240
	s_wait_loadcnt 0x0
	ds_store_b64 v31, v[1:2]
.LBB121_301:
	s_wait_alu 0xfffe
	s_or_b32 exec_lo, exec_lo, s0
	s_wait_storecnt_dscnt 0x0
	s_barrier_signal -1
	s_barrier_wait -1
	global_inv scope:SCOPE_SE
	s_clause 0x4
	scratch_load_b128 v[2:5], off, off offset:248
	scratch_load_b128 v[6:9], off, off offset:264
	;; [unrolled: 1-line block ×5, first 2 shown]
	v_mov_b32_e32 v1, 0
	ds_load_2addr_b64 v[22:25], v1 offset0:89 offset1:90
	ds_load_2addr_b64 v[26:29], v1 offset0:91 offset1:92
	;; [unrolled: 1-line block ×3, first 2 shown]
	scratch_load_b64 v[152:153], off, off offset:240
	s_mov_b32 s0, exec_lo
	s_wait_loadcnt_dscnt 0x502
	v_mul_f32_e32 v30, v23, v3
	v_dual_mul_f32 v154, v22, v3 :: v_dual_mul_f32 v155, v24, v5
	v_mul_f32_e32 v3, v25, v5
	s_wait_loadcnt_dscnt 0x300
	v_mul_f32_e32 v156, v150, v13
	v_fma_f32 v22, v22, v2, -v30
	v_dual_fmac_f32 v154, v23, v2 :: v_dual_fmac_f32 v155, v25, v4
	v_fma_f32 v23, v24, v4, -v3
	v_mul_f32_e32 v24, v26, v7
	v_mul_f32_e32 v7, v27, v7
	v_mul_f32_e32 v25, v28, v9
	v_dual_mul_f32 v9, v29, v9 :: v_dual_mul_f32 v30, v148, v11
	ds_load_2addr_b64 v[2:5], v1 offset0:95 offset1:96
	v_fmac_f32_e32 v24, v27, v6
	v_fma_f32 v26, v26, v6, -v7
	v_fmac_f32_e32 v25, v29, v8
	v_fma_f32 v27, v28, v8, -v9
	scratch_load_b128 v[6:9], off, off offset:328
	v_dual_mul_f32 v11, v149, v11 :: v_dual_fmac_f32 v156, v151, v12
	v_dual_mul_f32 v13, v151, v13 :: v_dual_fmac_f32 v30, v149, v10
	s_delay_alu instid0(VALU_DEP_2) | instskip(NEXT) | instid1(VALU_DEP_2)
	v_fma_f32 v28, v148, v10, -v11
	v_fma_f32 v29, v150, v12, -v13
	ds_load_2addr_b64 v[10:13], v1 offset0:97 offset1:98
	s_wait_loadcnt_dscnt 0x301
	v_mul_f32_e32 v148, v2, v15
	v_mul_f32_e32 v15, v3, v15
	;; [unrolled: 1-line block ×3, first 2 shown]
	s_delay_alu instid0(VALU_DEP_3) | instskip(SKIP_1) | instid1(VALU_DEP_2)
	v_dual_mul_f32 v17, v5, v17 :: v_dual_fmac_f32 v148, v3, v14
	s_wait_loadcnt_dscnt 0x200
	v_dual_fmac_f32 v149, v5, v16 :: v_dual_mul_f32 v158, v12, v21
	v_fma_f32 v150, v2, v14, -v15
	v_mul_f32_e32 v14, v11, v19
	v_fma_f32 v151, v4, v16, -v17
	ds_load_2addr_b64 v[2:5], v1 offset0:99 offset1:100
	v_dual_mul_f32 v157, v10, v19 :: v_dual_fmac_f32 v158, v13, v20
	v_mul_f32_e32 v15, v13, v21
	s_delay_alu instid0(VALU_DEP_1) | instskip(SKIP_1) | instid1(VALU_DEP_3)
	v_fma_f32 v19, v12, v20, -v15
	s_wait_loadcnt_dscnt 0x0
	v_dual_mul_f32 v160, v4, v9 :: v_dual_fmac_f32 v157, v11, v18
	v_fma_f32 v18, v10, v18, -v14
	scratch_load_b128 v[10:13], off, off offset:344
	v_mul_f32_e32 v159, v2, v7
	v_mul_f32_e32 v7, v3, v7
	;; [unrolled: 1-line block ×3, first 2 shown]
	s_delay_alu instid0(VALU_DEP_3) | instskip(NEXT) | instid1(VALU_DEP_3)
	v_dual_fmac_f32 v160, v5, v8 :: v_dual_fmac_f32 v159, v3, v6
	v_fma_f32 v161, v2, v6, -v7
	s_delay_alu instid0(VALU_DEP_3)
	v_fma_f32 v162, v4, v8, -v9
	ds_load_2addr_b64 v[2:5], v1 offset0:101 offset1:102
	ds_load_2addr_b64 v[6:9], v1 offset0:103 offset1:104
	s_wait_loadcnt_dscnt 0x1
	v_mul_f32_e32 v163, v2, v11
	v_dual_mul_f32 v11, v3, v11 :: v_dual_mul_f32 v164, v4, v13
	s_delay_alu instid0(VALU_DEP_2) | instskip(NEXT) | instid1(VALU_DEP_2)
	v_fmac_f32_e32 v163, v3, v10
	v_fma_f32 v165, v2, v10, -v11
	v_mul_f32_e32 v2, v5, v13
	s_delay_alu instid0(VALU_DEP_4) | instskip(NEXT) | instid1(VALU_DEP_2)
	v_fmac_f32_e32 v164, v5, v12
	v_fma_f32 v166, v4, v12, -v2
	s_clause 0x1
	scratch_load_b128 v[2:5], off, off offset:360
	scratch_load_b128 v[10:13], off, off offset:376
	s_wait_loadcnt_dscnt 0x100
	v_mul_f32_e32 v167, v6, v3
	v_mul_f32_e32 v3, v7, v3
	s_delay_alu instid0(VALU_DEP_2) | instskip(NEXT) | instid1(VALU_DEP_2)
	v_fmac_f32_e32 v167, v7, v2
	v_fma_f32 v168, v6, v2, -v3
	v_dual_mul_f32 v2, v9, v5 :: v_dual_add_f32 v3, 0, v154
	v_mul_f32_e32 v169, v8, v5
	s_delay_alu instid0(VALU_DEP_2) | instskip(SKIP_1) | instid1(VALU_DEP_4)
	v_fma_f32 v170, v8, v4, -v2
	v_add_f32_e32 v2, 0, v22
	v_add_f32_e32 v6, v3, v155
	s_delay_alu instid0(VALU_DEP_2) | instskip(NEXT) | instid1(VALU_DEP_2)
	v_add_f32_e32 v2, v2, v23
	v_add_f32_e32 v14, v6, v24
	s_delay_alu instid0(VALU_DEP_2) | instskip(NEXT) | instid1(VALU_DEP_1)
	v_add_f32_e32 v7, v2, v26
	v_dual_add_f32 v14, v14, v25 :: v_dual_add_f32 v15, v7, v27
	s_delay_alu instid0(VALU_DEP_1) | instskip(SKIP_2) | instid1(VALU_DEP_1)
	v_add_f32_e32 v14, v14, v30
	scratch_load_b64 v[26:27], off, off offset:456
	v_add_f32_e32 v15, v15, v28
	v_dual_add_f32 v20, v15, v29 :: v_dual_fmac_f32 v169, v9, v4
	scratch_load_b128 v[2:5], off, off offset:392
	ds_load_2addr_b64 v[6:9], v1 offset0:105 offset1:106
	v_add_f32_e32 v21, v14, v156
	ds_load_2addr_b64 v[14:17], v1 offset0:107 offset1:108
	v_add_f32_e32 v20, v20, v150
	s_delay_alu instid0(VALU_DEP_1) | instskip(NEXT) | instid1(VALU_DEP_1)
	v_add_f32_e32 v20, v20, v151
	v_add_f32_e32 v18, v20, v18
	s_wait_loadcnt_dscnt 0x201
	v_mul_f32_e32 v30, v6, v11
	s_delay_alu instid0(VALU_DEP_1) | instskip(SKIP_1) | instid1(VALU_DEP_2)
	v_dual_fmac_f32 v30, v7, v10 :: v_dual_add_f32 v21, v21, v148
	v_mul_f32_e32 v148, v8, v13
	v_add_f32_e32 v21, v21, v149
	s_delay_alu instid0(VALU_DEP_2) | instskip(NEXT) | instid1(VALU_DEP_2)
	v_dual_mul_f32 v11, v7, v11 :: v_dual_fmac_f32 v148, v9, v12
	v_add_f32_e32 v22, v21, v157
	s_delay_alu instid0(VALU_DEP_2) | instskip(NEXT) | instid1(VALU_DEP_2)
	v_fma_f32 v150, v6, v10, -v11
	v_dual_add_f32 v22, v22, v158 :: v_dual_mul_f32 v13, v9, v13
	s_delay_alu instid0(VALU_DEP_1) | instskip(NEXT) | instid1(VALU_DEP_2)
	v_add_f32_e32 v22, v22, v159
	v_fma_f32 v151, v8, v12, -v13
	s_clause 0x1
	scratch_load_b128 v[6:9], off, off offset:408
	scratch_load_b128 v[10:13], off, off offset:424
	v_add_f32_e32 v23, v18, v19
	scratch_load_b128 v[18:21], off, off offset:440
	v_add_f32_e32 v22, v22, v160
	s_wait_loadcnt_dscnt 0x300
	v_mul_f32_e32 v149, v14, v3
	v_dual_mul_f32 v3, v15, v3 :: v_dual_mul_f32 v154, v16, v5
	v_add_f32_e32 v23, v23, v161
	s_delay_alu instid0(VALU_DEP_2) | instskip(NEXT) | instid1(VALU_DEP_2)
	v_fma_f32 v155, v14, v2, -v3
	v_dual_fmac_f32 v154, v17, v4 :: v_dual_add_f32 v23, v23, v162
	s_delay_alu instid0(VALU_DEP_1) | instskip(NEXT) | instid1(VALU_DEP_1)
	v_dual_add_f32 v14, v22, v163 :: v_dual_add_f32 v23, v23, v165
	v_add_f32_e32 v22, v14, v164
	s_delay_alu instid0(VALU_DEP_1) | instskip(SKIP_1) | instid1(VALU_DEP_4)
	v_add_f32_e32 v29, v22, v167
	v_fmac_f32_e32 v149, v15, v2
	v_add_f32_e32 v15, v23, v166
	ds_load_2addr_b64 v[22:25], v1 offset0:113 offset1:114
	v_add_f32_e32 v158, v29, v169
	v_dual_mul_f32 v5, v17, v5 :: v_dual_add_f32 v28, v15, v168
	s_delay_alu instid0(VALU_DEP_2) | instskip(NEXT) | instid1(VALU_DEP_2)
	v_add_f32_e32 v30, v158, v30
	v_fma_f32 v156, v16, v4, -v5
	ds_load_2addr_b64 v[2:5], v1 offset0:109 offset1:110
	ds_load_2addr_b64 v[14:17], v1 offset0:111 offset1:112
	v_dual_add_f32 v157, v28, v170 :: v_dual_add_f32 v30, v30, v148
	ds_load_b64 v[28:29], v1 offset:920
	v_add_f32_e32 v150, v157, v150
	v_add_f32_e32 v30, v30, v149
	s_delay_alu instid0(VALU_DEP_2) | instskip(NEXT) | instid1(VALU_DEP_1)
	v_add_f32_e32 v150, v150, v151
	v_add_f32_e32 v150, v150, v155
	s_wait_loadcnt_dscnt 0x202
	v_mul_f32_e32 v157, v2, v7
	v_dual_mul_f32 v7, v3, v7 :: v_dual_mul_f32 v148, v4, v9
	v_mul_f32_e32 v9, v5, v9
	s_wait_loadcnt_dscnt 0x101
	v_mul_f32_e32 v151, v14, v11
	v_dual_mul_f32 v149, v16, v13 :: v_dual_add_f32 v150, v150, v156
	s_wait_loadcnt 0x0
	v_mul_f32_e32 v156, v24, v21
	v_fma_f32 v2, v2, v6, -v7
	v_dual_fmac_f32 v157, v3, v6 :: v_dual_fmac_f32 v148, v5, v8
	v_add_f32_e32 v30, v30, v154
	s_wait_dscnt 0x0
	v_mul_f32_e32 v154, v28, v27
	v_fma_f32 v3, v4, v8, -v9
	v_mul_f32_e32 v4, v15, v11
	v_add_f32_e32 v2, v150, v2
	v_add_f32_e32 v5, v30, v157
	v_dual_mul_f32 v155, v22, v19 :: v_dual_mul_f32 v6, v17, v13
	s_delay_alu instid0(VALU_DEP_3) | instskip(SKIP_1) | instid1(VALU_DEP_4)
	v_dual_fmac_f32 v151, v15, v10 :: v_dual_add_f32 v2, v2, v3
	v_fma_f32 v4, v14, v10, -v4
	v_add_f32_e32 v3, v5, v148
	v_mul_f32_e32 v5, v23, v19
	v_fma_f32 v6, v16, v12, -v6
	s_delay_alu instid0(VALU_DEP_4) | instskip(NEXT) | instid1(VALU_DEP_4)
	v_dual_fmac_f32 v155, v23, v18 :: v_dual_add_f32 v2, v2, v4
	v_add_f32_e32 v3, v3, v151
	v_fmac_f32_e32 v149, v17, v12
	v_mul_f32_e32 v4, v25, v21
	v_fma_f32 v5, v22, v18, -v5
	v_add_f32_e32 v2, v2, v6
	s_delay_alu instid0(VALU_DEP_4) | instskip(SKIP_2) | instid1(VALU_DEP_3)
	v_dual_mul_f32 v6, v29, v27 :: v_dual_add_f32 v3, v3, v149
	v_fmac_f32_e32 v156, v25, v20
	v_fma_f32 v4, v24, v20, -v4
	v_dual_fmac_f32 v154, v29, v26 :: v_dual_add_f32 v3, v3, v155
	v_add_f32_e32 v2, v2, v5
	v_fma_f32 v5, v28, v26, -v6
	s_delay_alu instid0(VALU_DEP_3) | instskip(NEXT) | instid1(VALU_DEP_1)
	v_add_f32_e32 v3, v3, v156
	v_dual_add_f32 v2, v2, v4 :: v_dual_add_f32 v3, v3, v154
	s_delay_alu instid0(VALU_DEP_1) | instskip(NEXT) | instid1(VALU_DEP_1)
	v_dual_add_f32 v2, v2, v5 :: v_dual_sub_f32 v3, v153, v3
	v_sub_f32_e32 v2, v152, v2
	scratch_store_b64 off, v[2:3], off offset:240
	v_cmpx_lt_u32_e32 29, v0
	s_cbranch_execz .LBB121_303
; %bb.302:
	scratch_load_b64 v[3:4], off, off offset:232
	v_mov_b32_e32 v2, v1
	scratch_store_b64 off, v[1:2], off offset:232
	s_wait_loadcnt 0x0
	ds_store_b64 v31, v[3:4]
.LBB121_303:
	s_wait_alu 0xfffe
	s_or_b32 exec_lo, exec_lo, s0
	s_wait_storecnt_dscnt 0x0
	s_barrier_signal -1
	s_barrier_wait -1
	global_inv scope:SCOPE_SE
	s_clause 0x4
	scratch_load_b128 v[2:5], off, off offset:240
	scratch_load_b128 v[6:9], off, off offset:256
	;; [unrolled: 1-line block ×5, first 2 shown]
	ds_load_b128 v[22:25], v1 offset:704
	ds_load_b128 v[26:29], v1 offset:720
	;; [unrolled: 1-line block ×3, first 2 shown]
	scratch_load_b64 v[152:153], off, off offset:232
	s_mov_b32 s0, exec_lo
	s_wait_loadcnt_dscnt 0x502
	v_dual_mul_f32 v30, v23, v3 :: v_dual_mul_f32 v155, v24, v5
	v_dual_mul_f32 v154, v22, v3 :: v_dual_mul_f32 v3, v25, v5
	s_wait_loadcnt_dscnt 0x300
	v_mul_f32_e32 v156, v150, v13
	s_delay_alu instid0(VALU_DEP_3) | instskip(NEXT) | instid1(VALU_DEP_3)
	v_fma_f32 v22, v22, v2, -v30
	v_dual_fmac_f32 v155, v25, v4 :: v_dual_fmac_f32 v154, v23, v2
	v_fma_f32 v23, v24, v4, -v3
	ds_load_b128 v[2:5], v1 offset:752
	v_dual_mul_f32 v24, v26, v7 :: v_dual_mul_f32 v25, v28, v9
	v_mul_f32_e32 v7, v27, v7
	v_dual_mul_f32 v9, v29, v9 :: v_dual_mul_f32 v30, v148, v11
	s_delay_alu instid0(VALU_DEP_3) | instskip(SKIP_2) | instid1(VALU_DEP_4)
	v_dual_mul_f32 v11, v149, v11 :: v_dual_fmac_f32 v24, v27, v6
	v_mul_f32_e32 v13, v151, v13
	v_fmac_f32_e32 v25, v29, v8
	v_fma_f32 v27, v28, v8, -v9
	v_fmac_f32_e32 v30, v149, v10
	v_fma_f32 v28, v148, v10, -v11
	;; [unrolled: 2-line block ×3, first 2 shown]
	ds_load_b128 v[10:13], v1 offset:768
	v_fma_f32 v26, v26, v6, -v7
	scratch_load_b128 v[6:9], off, off offset:320
	s_wait_loadcnt_dscnt 0x301
	v_mul_f32_e32 v148, v2, v15
	v_mul_f32_e32 v15, v3, v15
	;; [unrolled: 1-line block ×3, first 2 shown]
	s_delay_alu instid0(VALU_DEP_3) | instskip(NEXT) | instid1(VALU_DEP_3)
	v_dual_mul_f32 v17, v5, v17 :: v_dual_fmac_f32 v148, v3, v14
	v_fma_f32 v14, v2, v14, -v15
	s_delay_alu instid0(VALU_DEP_3) | instskip(NEXT) | instid1(VALU_DEP_3)
	v_fmac_f32_e32 v149, v5, v16
	v_fma_f32 v15, v4, v16, -v17
	ds_load_b128 v[2:5], v1 offset:784
	s_wait_loadcnt_dscnt 0x201
	v_mul_f32_e32 v16, v10, v19
	v_mul_f32_e32 v17, v11, v19
	v_mul_f32_e32 v19, v12, v21
	s_delay_alu instid0(VALU_DEP_3) | instskip(NEXT) | instid1(VALU_DEP_3)
	v_dual_mul_f32 v21, v13, v21 :: v_dual_fmac_f32 v16, v11, v18
	v_fma_f32 v17, v10, v18, -v17
	s_delay_alu instid0(VALU_DEP_3) | instskip(NEXT) | instid1(VALU_DEP_3)
	v_fmac_f32_e32 v19, v13, v20
	v_fma_f32 v18, v12, v20, -v21
	scratch_load_b128 v[10:13], off, off offset:336
	s_wait_loadcnt_dscnt 0x100
	v_mul_f32_e32 v20, v2, v7
	v_mul_f32_e32 v7, v3, v7
	;; [unrolled: 1-line block ×3, first 2 shown]
	s_delay_alu instid0(VALU_DEP_3) | instskip(NEXT) | instid1(VALU_DEP_3)
	v_dual_mul_f32 v9, v5, v9 :: v_dual_fmac_f32 v20, v3, v6
	v_fma_f32 v150, v2, v6, -v7
	s_delay_alu instid0(VALU_DEP_3) | instskip(NEXT) | instid1(VALU_DEP_3)
	v_fmac_f32_e32 v21, v5, v8
	v_fma_f32 v151, v4, v8, -v9
	ds_load_b128 v[2:5], v1 offset:800
	ds_load_b128 v[6:9], v1 offset:816
	s_wait_loadcnt_dscnt 0x1
	v_mul_f32_e32 v157, v2, v11
	v_dual_mul_f32 v11, v3, v11 :: v_dual_mul_f32 v158, v4, v13
	s_delay_alu instid0(VALU_DEP_2) | instskip(NEXT) | instid1(VALU_DEP_2)
	v_fmac_f32_e32 v157, v3, v10
	v_fma_f32 v159, v2, v10, -v11
	v_mul_f32_e32 v2, v5, v13
	s_delay_alu instid0(VALU_DEP_4) | instskip(NEXT) | instid1(VALU_DEP_2)
	v_fmac_f32_e32 v158, v5, v12
	v_fma_f32 v160, v4, v12, -v2
	s_clause 0x1
	scratch_load_b128 v[2:5], off, off offset:352
	scratch_load_b128 v[10:13], off, off offset:368
	s_wait_loadcnt_dscnt 0x100
	v_mul_f32_e32 v161, v6, v3
	v_mul_f32_e32 v3, v7, v3
	;; [unrolled: 1-line block ×3, first 2 shown]
	s_delay_alu instid0(VALU_DEP_3) | instskip(NEXT) | instid1(VALU_DEP_3)
	v_fmac_f32_e32 v161, v7, v2
	v_fma_f32 v162, v6, v2, -v3
	v_mul_f32_e32 v2, v9, v5
	s_delay_alu instid0(VALU_DEP_4) | instskip(NEXT) | instid1(VALU_DEP_2)
	v_fmac_f32_e32 v163, v9, v4
	v_fma_f32 v164, v8, v4, -v2
	ds_load_b128 v[2:5], v1 offset:832
	ds_load_b128 v[6:9], v1 offset:848
	s_wait_loadcnt_dscnt 0x1
	v_mul_f32_e32 v165, v2, v11
	v_mul_f32_e32 v167, v4, v13
	s_delay_alu instid0(VALU_DEP_2) | instskip(SKIP_1) | instid1(VALU_DEP_3)
	v_fmac_f32_e32 v165, v3, v10
	v_mul_f32_e32 v3, v3, v11
	v_fmac_f32_e32 v167, v5, v12
	s_delay_alu instid0(VALU_DEP_2) | instskip(SKIP_1) | instid1(VALU_DEP_1)
	v_fma_f32 v166, v2, v10, -v3
	v_mul_f32_e32 v2, v5, v13
	v_fma_f32 v168, v4, v12, -v2
	s_clause 0x1
	scratch_load_b128 v[2:5], off, off offset:384
	scratch_load_b128 v[10:13], off, off offset:400
	s_wait_loadcnt_dscnt 0x100
	v_mul_f32_e32 v169, v6, v3
	v_mul_f32_e32 v3, v7, v3
	s_delay_alu instid0(VALU_DEP_2) | instskip(NEXT) | instid1(VALU_DEP_2)
	v_fmac_f32_e32 v169, v7, v2
	v_fma_f32 v170, v6, v2, -v3
	v_dual_mul_f32 v2, v9, v5 :: v_dual_add_f32 v3, 0, v154
	s_delay_alu instid0(VALU_DEP_1) | instskip(NEXT) | instid1(VALU_DEP_2)
	v_fma_f32 v172, v8, v4, -v2
	v_dual_add_f32 v2, 0, v22 :: v_dual_add_f32 v3, v3, v155
	s_delay_alu instid0(VALU_DEP_1) | instskip(NEXT) | instid1(VALU_DEP_1)
	v_dual_add_f32 v2, v2, v23 :: v_dual_add_f32 v3, v3, v24
	v_add_f32_e32 v2, v2, v26
	s_delay_alu instid0(VALU_DEP_1) | instskip(NEXT) | instid1(VALU_DEP_1)
	v_add_f32_e32 v2, v2, v27
	v_add_f32_e32 v2, v2, v28
	s_delay_alu instid0(VALU_DEP_1) | instskip(NEXT) | instid1(VALU_DEP_1)
	v_add_f32_e32 v7, v2, v29
	;; [unrolled: 3-line block ×3, first 2 shown]
	v_add_f32_e32 v14, v14, v17
	s_delay_alu instid0(VALU_DEP_1) | instskip(NEXT) | instid1(VALU_DEP_1)
	v_dual_add_f32 v14, v14, v18 :: v_dual_add_f32 v3, v3, v25
	v_add_f32_e32 v14, v14, v150
	s_delay_alu instid0(VALU_DEP_2) | instskip(NEXT) | instid1(VALU_DEP_1)
	v_add_f32_e32 v6, v3, v30
	v_add_f32_e32 v6, v6, v156
	s_delay_alu instid0(VALU_DEP_1) | instskip(NEXT) | instid1(VALU_DEP_1)
	v_add_f32_e32 v6, v6, v148
	v_add_f32_e32 v15, v6, v149
	s_delay_alu instid0(VALU_DEP_1) | instskip(NEXT) | instid1(VALU_DEP_1)
	;; [unrolled: 3-line block ×3, first 2 shown]
	v_dual_add_f32 v19, v14, v151 :: v_dual_add_f32 v18, v15, v20
	v_add_f32_e32 v19, v19, v159
	scratch_load_b128 v[14:17], off, off offset:448
	v_dual_add_f32 v18, v18, v21 :: v_dual_add_f32 v19, v19, v160
	s_delay_alu instid0(VALU_DEP_1) | instskip(NEXT) | instid1(VALU_DEP_2)
	v_add_f32_e32 v18, v18, v157
	v_dual_mul_f32 v171, v8, v5 :: v_dual_add_f32 v22, v19, v162
	s_delay_alu instid0(VALU_DEP_1)
	v_dual_add_f32 v18, v18, v158 :: v_dual_fmac_f32 v171, v9, v4
	ds_load_b128 v[2:5], v1 offset:864
	ds_load_b128 v[6:9], v1 offset:880
	v_add_f32_e32 v30, v22, v164
	v_add_f32_e32 v23, v18, v161
	ds_load_b128 v[18:21], v1 offset:896
	v_add_f32_e32 v148, v23, v163
	ds_load_b128 v[22:25], v1 offset:912
	v_dual_add_f32 v1, v30, v166 :: v_dual_add_f32 v30, v148, v165
	s_delay_alu instid0(VALU_DEP_1) | instskip(SKIP_2) | instid1(VALU_DEP_2)
	v_add_f32_e32 v30, v30, v167
	s_wait_loadcnt_dscnt 0x103
	v_dual_mul_f32 v26, v2, v11 :: v_dual_mul_f32 v27, v4, v13
	v_add_f32_e32 v30, v30, v169
	s_delay_alu instid0(VALU_DEP_2) | instskip(NEXT) | instid1(VALU_DEP_2)
	v_dual_mul_f32 v13, v5, v13 :: v_dual_fmac_f32 v26, v3, v10
	v_dual_fmac_f32 v27, v5, v12 :: v_dual_add_f32 v30, v30, v171
	v_mul_f32_e32 v11, v3, v11
	s_delay_alu instid0(VALU_DEP_3) | instskip(NEXT) | instid1(VALU_DEP_3)
	v_fma_f32 v29, v4, v12, -v13
	v_add_f32_e32 v26, v30, v26
	s_delay_alu instid0(VALU_DEP_3)
	v_fma_f32 v28, v2, v10, -v11
	s_clause 0x1
	scratch_load_b128 v[2:5], off, off offset:416
	scratch_load_b128 v[10:13], off, off offset:432
	s_wait_loadcnt_dscnt 0x200
	v_mul_f32_e32 v154, v22, v15
	s_delay_alu instid0(VALU_DEP_1)
	v_fmac_f32_e32 v154, v23, v14
	s_wait_loadcnt 0x1
	v_mul_f32_e32 v148, v6, v3
	s_wait_loadcnt 0x0
	v_mul_f32_e32 v150, v18, v11
	v_mul_f32_e32 v3, v7, v3
	s_delay_alu instid0(VALU_DEP_3) | instskip(NEXT) | instid1(VALU_DEP_3)
	v_dual_add_f32 v1, v1, v168 :: v_dual_fmac_f32 v148, v7, v2
	v_dual_fmac_f32 v150, v19, v10 :: v_dual_mul_f32 v149, v8, v5
	s_delay_alu instid0(VALU_DEP_3) | instskip(SKIP_1) | instid1(VALU_DEP_3)
	v_fma_f32 v3, v6, v2, -v3
	v_add_f32_e32 v2, v26, v27
	v_dual_mul_f32 v6, v19, v11 :: v_dual_fmac_f32 v149, v9, v4
	s_delay_alu instid0(VALU_DEP_2) | instskip(NEXT) | instid1(VALU_DEP_1)
	v_dual_add_f32 v2, v2, v148 :: v_dual_add_f32 v1, v1, v170
	v_add_f32_e32 v2, v2, v149
	s_delay_alu instid0(VALU_DEP_1) | instskip(NEXT) | instid1(VALU_DEP_1)
	v_dual_add_f32 v2, v2, v150 :: v_dual_add_f32 v1, v1, v172
	v_dual_add_f32 v1, v1, v28 :: v_dual_mul_f32 v28, v24, v17
	v_mul_f32_e32 v151, v20, v13
	s_delay_alu instid0(VALU_DEP_2) | instskip(NEXT) | instid1(VALU_DEP_3)
	v_add_f32_e32 v1, v1, v29
	v_fmac_f32_e32 v28, v25, v16
	s_delay_alu instid0(VALU_DEP_3) | instskip(NEXT) | instid1(VALU_DEP_3)
	v_fmac_f32_e32 v151, v21, v12
	v_add_f32_e32 v1, v1, v3
	s_delay_alu instid0(VALU_DEP_2) | instskip(NEXT) | instid1(VALU_DEP_1)
	v_dual_mul_f32 v3, v21, v13 :: v_dual_add_f32 v2, v2, v151
	v_fma_f32 v3, v20, v12, -v3
	s_delay_alu instid0(VALU_DEP_2) | instskip(NEXT) | instid1(VALU_DEP_1)
	v_dual_add_f32 v2, v2, v154 :: v_dual_mul_f32 v5, v9, v5
	v_add_f32_e32 v2, v2, v28
	s_delay_alu instid0(VALU_DEP_2) | instskip(SKIP_1) | instid1(VALU_DEP_3)
	v_fma_f32 v4, v8, v4, -v5
	v_fma_f32 v5, v18, v10, -v6
	v_sub_f32_e32 v2, v153, v2
	s_delay_alu instid0(VALU_DEP_3) | instskip(NEXT) | instid1(VALU_DEP_1)
	v_dual_add_f32 v1, v1, v4 :: v_dual_mul_f32 v4, v23, v15
	v_add_f32_e32 v1, v1, v5
	v_mul_f32_e32 v5, v25, v17
	s_delay_alu instid0(VALU_DEP_3) | instskip(NEXT) | instid1(VALU_DEP_3)
	v_fma_f32 v4, v22, v14, -v4
	v_add_f32_e32 v1, v1, v3
	s_delay_alu instid0(VALU_DEP_3) | instskip(NEXT) | instid1(VALU_DEP_2)
	v_fma_f32 v3, v24, v16, -v5
	v_add_f32_e32 v1, v1, v4
	s_delay_alu instid0(VALU_DEP_1) | instskip(NEXT) | instid1(VALU_DEP_1)
	v_add_f32_e32 v1, v1, v3
	v_sub_f32_e32 v1, v152, v1
	scratch_store_b64 off, v[1:2], off offset:232
	v_cmpx_lt_u32_e32 28, v0
	s_cbranch_execz .LBB121_305
; %bb.304:
	scratch_load_b64 v[1:2], off, off offset:224
	v_mov_b32_e32 v3, 0
	s_delay_alu instid0(VALU_DEP_1)
	v_mov_b32_e32 v4, v3
	scratch_store_b64 off, v[3:4], off offset:224
	s_wait_loadcnt 0x0
	ds_store_b64 v31, v[1:2]
.LBB121_305:
	s_wait_alu 0xfffe
	s_or_b32 exec_lo, exec_lo, s0
	s_wait_storecnt_dscnt 0x0
	s_barrier_signal -1
	s_barrier_wait -1
	global_inv scope:SCOPE_SE
	s_clause 0x4
	scratch_load_b128 v[2:5], off, off offset:232
	scratch_load_b128 v[6:9], off, off offset:248
	;; [unrolled: 1-line block ×5, first 2 shown]
	v_mov_b32_e32 v1, 0
	ds_load_2addr_b64 v[22:25], v1 offset0:87 offset1:88
	ds_load_2addr_b64 v[26:29], v1 offset0:89 offset1:90
	;; [unrolled: 1-line block ×3, first 2 shown]
	scratch_load_b64 v[152:153], off, off offset:224
	s_mov_b32 s0, exec_lo
	s_wait_loadcnt_dscnt 0x502
	v_mul_f32_e32 v30, v23, v3
	v_dual_mul_f32 v154, v22, v3 :: v_dual_mul_f32 v155, v24, v5
	v_mul_f32_e32 v3, v25, v5
	s_wait_loadcnt_dscnt 0x300
	v_mul_f32_e32 v156, v150, v13
	v_fma_f32 v22, v22, v2, -v30
	v_dual_fmac_f32 v154, v23, v2 :: v_dual_fmac_f32 v155, v25, v4
	v_fma_f32 v23, v24, v4, -v3
	ds_load_2addr_b64 v[2:5], v1 offset0:93 offset1:94
	v_mul_f32_e32 v24, v26, v7
	v_mul_f32_e32 v7, v27, v7
	;; [unrolled: 1-line block ×3, first 2 shown]
	v_dual_mul_f32 v9, v29, v9 :: v_dual_mul_f32 v30, v148, v11
	v_dual_mul_f32 v11, v149, v11 :: v_dual_fmac_f32 v156, v151, v12
	v_mul_f32_e32 v13, v151, v13
	s_delay_alu instid0(VALU_DEP_4) | instskip(NEXT) | instid1(VALU_DEP_4)
	v_dual_fmac_f32 v24, v27, v6 :: v_dual_fmac_f32 v25, v29, v8
	v_fma_f32 v27, v28, v8, -v9
	v_fmac_f32_e32 v30, v149, v10
	v_fma_f32 v28, v148, v10, -v11
	v_fma_f32 v29, v150, v12, -v13
	ds_load_2addr_b64 v[10:13], v1 offset0:95 offset1:96
	v_fma_f32 v26, v26, v6, -v7
	scratch_load_b128 v[6:9], off, off offset:312
	s_wait_loadcnt_dscnt 0x301
	v_mul_f32_e32 v148, v2, v15
	v_mul_f32_e32 v15, v3, v15
	;; [unrolled: 1-line block ×3, first 2 shown]
	s_delay_alu instid0(VALU_DEP_3) | instskip(NEXT) | instid1(VALU_DEP_3)
	v_dual_mul_f32 v17, v5, v17 :: v_dual_fmac_f32 v148, v3, v14
	v_fma_f32 v14, v2, v14, -v15
	s_delay_alu instid0(VALU_DEP_3) | instskip(NEXT) | instid1(VALU_DEP_3)
	v_fmac_f32_e32 v149, v5, v16
	v_fma_f32 v15, v4, v16, -v17
	ds_load_2addr_b64 v[2:5], v1 offset0:97 offset1:98
	s_wait_loadcnt_dscnt 0x201
	v_mul_f32_e32 v16, v10, v19
	v_mul_f32_e32 v17, v11, v19
	;; [unrolled: 1-line block ×3, first 2 shown]
	s_delay_alu instid0(VALU_DEP_3) | instskip(NEXT) | instid1(VALU_DEP_3)
	v_dual_mul_f32 v21, v13, v21 :: v_dual_fmac_f32 v16, v11, v18
	v_fma_f32 v17, v10, v18, -v17
	s_delay_alu instid0(VALU_DEP_3) | instskip(NEXT) | instid1(VALU_DEP_3)
	v_fmac_f32_e32 v19, v13, v20
	v_fma_f32 v18, v12, v20, -v21
	scratch_load_b128 v[10:13], off, off offset:328
	s_wait_loadcnt_dscnt 0x100
	v_mul_f32_e32 v20, v2, v7
	v_mul_f32_e32 v7, v3, v7
	;; [unrolled: 1-line block ×3, first 2 shown]
	s_delay_alu instid0(VALU_DEP_3) | instskip(NEXT) | instid1(VALU_DEP_3)
	v_dual_mul_f32 v9, v5, v9 :: v_dual_fmac_f32 v20, v3, v6
	v_fma_f32 v150, v2, v6, -v7
	s_delay_alu instid0(VALU_DEP_3) | instskip(NEXT) | instid1(VALU_DEP_3)
	v_fmac_f32_e32 v21, v5, v8
	v_fma_f32 v151, v4, v8, -v9
	ds_load_2addr_b64 v[2:5], v1 offset0:99 offset1:100
	ds_load_2addr_b64 v[6:9], v1 offset0:101 offset1:102
	s_wait_loadcnt_dscnt 0x1
	v_mul_f32_e32 v157, v2, v11
	v_dual_mul_f32 v11, v3, v11 :: v_dual_mul_f32 v158, v4, v13
	s_delay_alu instid0(VALU_DEP_2) | instskip(NEXT) | instid1(VALU_DEP_2)
	v_fmac_f32_e32 v157, v3, v10
	v_fma_f32 v159, v2, v10, -v11
	v_mul_f32_e32 v2, v5, v13
	s_delay_alu instid0(VALU_DEP_4) | instskip(NEXT) | instid1(VALU_DEP_2)
	v_fmac_f32_e32 v158, v5, v12
	v_fma_f32 v160, v4, v12, -v2
	s_clause 0x1
	scratch_load_b128 v[2:5], off, off offset:344
	scratch_load_b128 v[10:13], off, off offset:360
	s_wait_loadcnt_dscnt 0x100
	v_mul_f32_e32 v161, v6, v3
	v_mul_f32_e32 v3, v7, v3
	;; [unrolled: 1-line block ×3, first 2 shown]
	s_delay_alu instid0(VALU_DEP_3) | instskip(NEXT) | instid1(VALU_DEP_3)
	v_fmac_f32_e32 v161, v7, v2
	v_fma_f32 v162, v6, v2, -v3
	v_mul_f32_e32 v2, v9, v5
	s_delay_alu instid0(VALU_DEP_4) | instskip(NEXT) | instid1(VALU_DEP_2)
	v_fmac_f32_e32 v163, v9, v4
	v_fma_f32 v164, v8, v4, -v2
	ds_load_2addr_b64 v[2:5], v1 offset0:103 offset1:104
	ds_load_2addr_b64 v[6:9], v1 offset0:105 offset1:106
	s_wait_loadcnt_dscnt 0x1
	v_mul_f32_e32 v165, v2, v11
	v_mul_f32_e32 v167, v4, v13
	s_delay_alu instid0(VALU_DEP_2) | instskip(SKIP_1) | instid1(VALU_DEP_3)
	v_fmac_f32_e32 v165, v3, v10
	v_mul_f32_e32 v3, v3, v11
	v_fmac_f32_e32 v167, v5, v12
	s_delay_alu instid0(VALU_DEP_2) | instskip(SKIP_1) | instid1(VALU_DEP_1)
	v_fma_f32 v166, v2, v10, -v3
	v_mul_f32_e32 v2, v5, v13
	v_fma_f32 v168, v4, v12, -v2
	s_clause 0x1
	scratch_load_b128 v[2:5], off, off offset:376
	scratch_load_b128 v[10:13], off, off offset:392
	s_wait_loadcnt_dscnt 0x100
	v_mul_f32_e32 v169, v6, v3
	v_mul_f32_e32 v3, v7, v3
	s_delay_alu instid0(VALU_DEP_2) | instskip(NEXT) | instid1(VALU_DEP_2)
	v_fmac_f32_e32 v169, v7, v2
	v_fma_f32 v170, v6, v2, -v3
	v_mul_f32_e32 v2, v9, v5
	s_delay_alu instid0(VALU_DEP_1) | instskip(SKIP_1) | instid1(VALU_DEP_1)
	v_fma_f32 v172, v8, v4, -v2
	v_add_f32_e32 v2, 0, v22
	v_add_f32_e32 v2, v2, v23
	s_delay_alu instid0(VALU_DEP_1) | instskip(NEXT) | instid1(VALU_DEP_1)
	v_add_f32_e32 v2, v2, v26
	v_add_f32_e32 v2, v2, v27
	scratch_load_b64 v[26:27], off, off offset:456
	v_dual_add_f32 v2, v2, v28 :: v_dual_add_f32 v3, 0, v154
	s_delay_alu instid0(VALU_DEP_1) | instskip(NEXT) | instid1(VALU_DEP_2)
	v_add_f32_e32 v7, v2, v29
	v_add_f32_e32 v3, v3, v155
	s_delay_alu instid0(VALU_DEP_2) | instskip(NEXT) | instid1(VALU_DEP_1)
	v_add_f32_e32 v7, v7, v14
	v_add_f32_e32 v14, v7, v15
	s_delay_alu instid0(VALU_DEP_1) | instskip(NEXT) | instid1(VALU_DEP_1)
	v_dual_add_f32 v3, v3, v24 :: v_dual_add_f32 v14, v14, v17
	v_dual_add_f32 v3, v3, v25 :: v_dual_add_f32 v14, v14, v18
	s_delay_alu instid0(VALU_DEP_1) | instskip(NEXT) | instid1(VALU_DEP_2)
	v_add_f32_e32 v6, v3, v30
	v_add_f32_e32 v14, v14, v150
	s_delay_alu instid0(VALU_DEP_2) | instskip(NEXT) | instid1(VALU_DEP_1)
	v_add_f32_e32 v6, v6, v156
	v_add_f32_e32 v6, v6, v148
	s_delay_alu instid0(VALU_DEP_1) | instskip(NEXT) | instid1(VALU_DEP_1)
	v_add_f32_e32 v15, v6, v149
	v_add_f32_e32 v15, v15, v16
	s_delay_alu instid0(VALU_DEP_1) | instskip(NEXT) | instid1(VALU_DEP_1)
	v_add_f32_e32 v15, v15, v19
	v_dual_mul_f32 v171, v8, v5 :: v_dual_add_f32 v18, v15, v20
	s_delay_alu instid0(VALU_DEP_1)
	v_dual_add_f32 v18, v18, v21 :: v_dual_fmac_f32 v171, v9, v4
	ds_load_2addr_b64 v[2:5], v1 offset0:107 offset1:108
	ds_load_2addr_b64 v[6:9], v1 offset0:109 offset1:110
	v_add_f32_e32 v19, v14, v151
	v_add_f32_e32 v18, v18, v157
	scratch_load_b128 v[14:17], off, off offset:440
	v_add_f32_e32 v18, v18, v158
	s_delay_alu instid0(VALU_DEP_1) | instskip(NEXT) | instid1(VALU_DEP_1)
	v_add_f32_e32 v18, v18, v161
	v_add_f32_e32 v22, v18, v163
	s_wait_loadcnt_dscnt 0x201
	v_mul_f32_e32 v30, v2, v11
	v_mul_f32_e32 v148, v4, v13
	s_delay_alu instid0(VALU_DEP_3) | instskip(SKIP_4) | instid1(VALU_DEP_1)
	v_add_f32_e32 v29, v22, v165
	ds_load_2addr_b64 v[22:25], v1 offset0:113 offset1:114
	v_fmac_f32_e32 v30, v3, v10
	v_fmac_f32_e32 v148, v5, v12
	v_add_f32_e32 v151, v29, v167
	v_add_f32_e32 v151, v151, v169
	s_delay_alu instid0(VALU_DEP_1) | instskip(NEXT) | instid1(VALU_DEP_1)
	v_add_f32_e32 v151, v151, v171
	v_add_f32_e32 v30, v151, v30
	s_delay_alu instid0(VALU_DEP_1) | instskip(NEXT) | instid1(VALU_DEP_1)
	v_dual_add_f32 v19, v19, v159 :: v_dual_add_f32 v30, v30, v148
	v_add_f32_e32 v19, v19, v160
	s_delay_alu instid0(VALU_DEP_1) | instskip(NEXT) | instid1(VALU_DEP_1)
	v_add_f32_e32 v19, v19, v162
	v_add_f32_e32 v19, v19, v164
	s_delay_alu instid0(VALU_DEP_1) | instskip(SKIP_3) | instid1(VALU_DEP_2)
	v_add_f32_e32 v28, v19, v166
	ds_load_2addr_b64 v[18:21], v1 offset0:111 offset1:112
	v_dual_mul_f32 v13, v5, v13 :: v_dual_add_f32 v150, v28, v168
	v_mul_f32_e32 v11, v3, v11
	v_fma_f32 v154, v4, v12, -v13
	ds_load_b64 v[28:29], v1 offset:920
	v_add_f32_e32 v150, v150, v170
	v_fma_f32 v149, v2, v10, -v11
	s_clause 0x1
	scratch_load_b128 v[2:5], off, off offset:408
	scratch_load_b128 v[10:13], off, off offset:424
	v_add_f32_e32 v150, v150, v172
	s_delay_alu instid0(VALU_DEP_1) | instskip(SKIP_1) | instid1(VALU_DEP_1)
	v_add_f32_e32 v149, v150, v149
	s_wait_loadcnt_dscnt 0x300
	v_dual_add_f32 v149, v149, v154 :: v_dual_mul_f32 v148, v28, v27
	s_delay_alu instid0(VALU_DEP_1) | instskip(SKIP_3) | instid1(VALU_DEP_1)
	v_fmac_f32_e32 v148, v29, v26
	s_wait_loadcnt 0x2
	v_mul_f32_e32 v154, v24, v17
	s_wait_loadcnt 0x1
	v_dual_fmac_f32 v154, v25, v16 :: v_dual_mul_f32 v155, v6, v3
	v_dual_mul_f32 v3, v7, v3 :: v_dual_mul_f32 v156, v8, v5
	s_wait_loadcnt 0x0
	v_dual_mul_f32 v5, v9, v5 :: v_dual_mul_f32 v150, v18, v11
	s_delay_alu instid0(VALU_DEP_3) | instskip(NEXT) | instid1(VALU_DEP_3)
	v_fmac_f32_e32 v155, v7, v2
	v_fma_f32 v3, v6, v2, -v3
	v_fmac_f32_e32 v156, v9, v4
	s_delay_alu instid0(VALU_DEP_4)
	v_fma_f32 v2, v8, v4, -v5
	v_mul_f32_e32 v4, v19, v11
	v_add_f32_e32 v5, v30, v155
	v_add_f32_e32 v3, v149, v3
	v_mul_f32_e32 v6, v21, v13
	v_mul_f32_e32 v151, v20, v13
	v_fma_f32 v4, v18, v10, -v4
	v_fmac_f32_e32 v150, v19, v10
	v_dual_add_f32 v2, v3, v2 :: v_dual_add_f32 v3, v5, v156
	v_mul_f32_e32 v5, v23, v15
	v_fma_f32 v6, v20, v12, -v6
	v_fmac_f32_e32 v151, v21, v12
	s_delay_alu instid0(VALU_DEP_4) | instskip(SKIP_3) | instid1(VALU_DEP_4)
	v_add_f32_e32 v2, v2, v4
	v_mul_f32_e32 v4, v25, v17
	v_fma_f32 v5, v22, v14, -v5
	v_add_f32_e32 v3, v3, v150
	v_add_f32_e32 v2, v2, v6
	v_mul_f32_e32 v6, v29, v27
	v_fma_f32 v4, v24, v16, -v4
	s_delay_alu instid0(VALU_DEP_3) | instskip(NEXT) | instid1(VALU_DEP_3)
	v_dual_add_f32 v3, v3, v151 :: v_dual_add_f32 v2, v2, v5
	v_fma_f32 v5, v28, v26, -v6
	s_delay_alu instid0(VALU_DEP_2) | instskip(NEXT) | instid1(VALU_DEP_1)
	v_add_f32_e32 v2, v2, v4
	v_add_f32_e32 v2, v2, v5
	s_delay_alu instid0(VALU_DEP_1) | instskip(NEXT) | instid1(VALU_DEP_1)
	v_dual_mul_f32 v157, v22, v15 :: v_dual_sub_f32 v2, v152, v2
	v_fmac_f32_e32 v157, v23, v14
	s_delay_alu instid0(VALU_DEP_1) | instskip(NEXT) | instid1(VALU_DEP_1)
	v_add_f32_e32 v3, v3, v157
	v_add_f32_e32 v3, v3, v154
	s_delay_alu instid0(VALU_DEP_1) | instskip(NEXT) | instid1(VALU_DEP_1)
	v_add_f32_e32 v3, v3, v148
	v_sub_f32_e32 v3, v153, v3
	scratch_store_b64 off, v[2:3], off offset:224
	v_cmpx_lt_u32_e32 27, v0
	s_cbranch_execz .LBB121_307
; %bb.306:
	scratch_load_b64 v[3:4], off, off offset:216
	v_mov_b32_e32 v2, v1
	scratch_store_b64 off, v[1:2], off offset:216
	s_wait_loadcnt 0x0
	ds_store_b64 v31, v[3:4]
.LBB121_307:
	s_wait_alu 0xfffe
	s_or_b32 exec_lo, exec_lo, s0
	s_wait_storecnt_dscnt 0x0
	s_barrier_signal -1
	s_barrier_wait -1
	global_inv scope:SCOPE_SE
	s_clause 0x4
	scratch_load_b128 v[2:5], off, off offset:224
	scratch_load_b128 v[6:9], off, off offset:240
	;; [unrolled: 1-line block ×5, first 2 shown]
	ds_load_b128 v[22:25], v1 offset:688
	ds_load_b128 v[26:29], v1 offset:704
	;; [unrolled: 1-line block ×3, first 2 shown]
	scratch_load_b64 v[152:153], off, off offset:216
	s_mov_b32 s0, exec_lo
	s_wait_loadcnt_dscnt 0x502
	v_dual_mul_f32 v30, v23, v3 :: v_dual_mul_f32 v155, v24, v5
	v_dual_mul_f32 v154, v22, v3 :: v_dual_mul_f32 v3, v25, v5
	s_wait_loadcnt_dscnt 0x300
	v_mul_f32_e32 v156, v150, v13
	s_delay_alu instid0(VALU_DEP_3) | instskip(NEXT) | instid1(VALU_DEP_3)
	v_fma_f32 v22, v22, v2, -v30
	v_dual_fmac_f32 v155, v25, v4 :: v_dual_fmac_f32 v154, v23, v2
	v_fma_f32 v23, v24, v4, -v3
	ds_load_b128 v[2:5], v1 offset:736
	v_dual_mul_f32 v24, v26, v7 :: v_dual_mul_f32 v25, v28, v9
	v_mul_f32_e32 v7, v27, v7
	v_dual_mul_f32 v9, v29, v9 :: v_dual_mul_f32 v30, v148, v11
	s_delay_alu instid0(VALU_DEP_3) | instskip(SKIP_2) | instid1(VALU_DEP_4)
	v_dual_mul_f32 v11, v149, v11 :: v_dual_fmac_f32 v24, v27, v6
	v_mul_f32_e32 v13, v151, v13
	v_fmac_f32_e32 v25, v29, v8
	v_fma_f32 v27, v28, v8, -v9
	v_fmac_f32_e32 v30, v149, v10
	v_fma_f32 v28, v148, v10, -v11
	;; [unrolled: 2-line block ×3, first 2 shown]
	ds_load_b128 v[10:13], v1 offset:752
	v_fma_f32 v26, v26, v6, -v7
	scratch_load_b128 v[6:9], off, off offset:304
	s_wait_loadcnt_dscnt 0x301
	v_mul_f32_e32 v148, v2, v15
	v_mul_f32_e32 v15, v3, v15
	;; [unrolled: 1-line block ×3, first 2 shown]
	s_delay_alu instid0(VALU_DEP_3) | instskip(NEXT) | instid1(VALU_DEP_3)
	v_dual_mul_f32 v17, v5, v17 :: v_dual_fmac_f32 v148, v3, v14
	v_fma_f32 v14, v2, v14, -v15
	s_delay_alu instid0(VALU_DEP_3) | instskip(NEXT) | instid1(VALU_DEP_3)
	v_fmac_f32_e32 v149, v5, v16
	v_fma_f32 v15, v4, v16, -v17
	ds_load_b128 v[2:5], v1 offset:768
	s_wait_loadcnt_dscnt 0x201
	v_mul_f32_e32 v16, v10, v19
	v_mul_f32_e32 v17, v11, v19
	;; [unrolled: 1-line block ×3, first 2 shown]
	s_delay_alu instid0(VALU_DEP_3) | instskip(NEXT) | instid1(VALU_DEP_3)
	v_dual_mul_f32 v21, v13, v21 :: v_dual_fmac_f32 v16, v11, v18
	v_fma_f32 v17, v10, v18, -v17
	s_delay_alu instid0(VALU_DEP_3) | instskip(NEXT) | instid1(VALU_DEP_3)
	v_fmac_f32_e32 v19, v13, v20
	v_fma_f32 v18, v12, v20, -v21
	scratch_load_b128 v[10:13], off, off offset:320
	s_wait_loadcnt_dscnt 0x100
	v_mul_f32_e32 v20, v2, v7
	v_mul_f32_e32 v7, v3, v7
	;; [unrolled: 1-line block ×3, first 2 shown]
	s_delay_alu instid0(VALU_DEP_3) | instskip(NEXT) | instid1(VALU_DEP_3)
	v_dual_mul_f32 v9, v5, v9 :: v_dual_fmac_f32 v20, v3, v6
	v_fma_f32 v150, v2, v6, -v7
	s_delay_alu instid0(VALU_DEP_3) | instskip(NEXT) | instid1(VALU_DEP_3)
	v_fmac_f32_e32 v21, v5, v8
	v_fma_f32 v151, v4, v8, -v9
	ds_load_b128 v[2:5], v1 offset:784
	ds_load_b128 v[6:9], v1 offset:800
	s_wait_loadcnt_dscnt 0x1
	v_mul_f32_e32 v157, v2, v11
	v_dual_mul_f32 v11, v3, v11 :: v_dual_mul_f32 v158, v4, v13
	s_delay_alu instid0(VALU_DEP_2) | instskip(NEXT) | instid1(VALU_DEP_2)
	v_fmac_f32_e32 v157, v3, v10
	v_fma_f32 v159, v2, v10, -v11
	v_mul_f32_e32 v2, v5, v13
	s_delay_alu instid0(VALU_DEP_4) | instskip(NEXT) | instid1(VALU_DEP_2)
	v_fmac_f32_e32 v158, v5, v12
	v_fma_f32 v160, v4, v12, -v2
	s_clause 0x1
	scratch_load_b128 v[2:5], off, off offset:336
	scratch_load_b128 v[10:13], off, off offset:352
	s_wait_loadcnt_dscnt 0x100
	v_mul_f32_e32 v161, v6, v3
	v_mul_f32_e32 v3, v7, v3
	;; [unrolled: 1-line block ×3, first 2 shown]
	s_delay_alu instid0(VALU_DEP_3) | instskip(NEXT) | instid1(VALU_DEP_3)
	v_fmac_f32_e32 v161, v7, v2
	v_fma_f32 v162, v6, v2, -v3
	v_mul_f32_e32 v2, v9, v5
	s_delay_alu instid0(VALU_DEP_4) | instskip(NEXT) | instid1(VALU_DEP_2)
	v_fmac_f32_e32 v163, v9, v4
	v_fma_f32 v164, v8, v4, -v2
	ds_load_b128 v[2:5], v1 offset:816
	ds_load_b128 v[6:9], v1 offset:832
	s_wait_loadcnt_dscnt 0x1
	v_mul_f32_e32 v165, v2, v11
	v_mul_f32_e32 v167, v4, v13
	s_delay_alu instid0(VALU_DEP_2) | instskip(SKIP_1) | instid1(VALU_DEP_3)
	v_fmac_f32_e32 v165, v3, v10
	v_mul_f32_e32 v3, v3, v11
	v_fmac_f32_e32 v167, v5, v12
	s_delay_alu instid0(VALU_DEP_2) | instskip(SKIP_1) | instid1(VALU_DEP_1)
	v_fma_f32 v166, v2, v10, -v3
	v_mul_f32_e32 v2, v5, v13
	v_fma_f32 v168, v4, v12, -v2
	s_clause 0x1
	scratch_load_b128 v[2:5], off, off offset:368
	scratch_load_b128 v[10:13], off, off offset:384
	s_wait_loadcnt_dscnt 0x100
	v_mul_f32_e32 v169, v6, v3
	v_mul_f32_e32 v3, v7, v3
	s_delay_alu instid0(VALU_DEP_2) | instskip(NEXT) | instid1(VALU_DEP_2)
	v_fmac_f32_e32 v169, v7, v2
	v_fma_f32 v170, v6, v2, -v3
	v_dual_mul_f32 v2, v9, v5 :: v_dual_add_f32 v3, 0, v154
	s_delay_alu instid0(VALU_DEP_1) | instskip(SKIP_1) | instid1(VALU_DEP_1)
	v_fma_f32 v172, v8, v4, -v2
	v_add_f32_e32 v2, 0, v22
	v_add_f32_e32 v2, v2, v23
	s_delay_alu instid0(VALU_DEP_1) | instskip(NEXT) | instid1(VALU_DEP_1)
	v_add_f32_e32 v2, v2, v26
	v_add_f32_e32 v2, v2, v27
	s_delay_alu instid0(VALU_DEP_1) | instskip(NEXT) | instid1(VALU_DEP_1)
	v_dual_add_f32 v3, v3, v155 :: v_dual_add_f32 v2, v2, v28
	v_dual_add_f32 v3, v3, v24 :: v_dual_add_f32 v2, v2, v29
	s_delay_alu instid0(VALU_DEP_1) | instskip(NEXT) | instid1(VALU_DEP_2)
	v_add_f32_e32 v3, v3, v25
	v_add_f32_e32 v7, v2, v14
	s_delay_alu instid0(VALU_DEP_2) | instskip(NEXT) | instid1(VALU_DEP_2)
	v_add_f32_e32 v3, v3, v30
	v_add_f32_e32 v15, v7, v15
	s_delay_alu instid0(VALU_DEP_2) | instskip(NEXT) | instid1(VALU_DEP_1)
	v_add_f32_e32 v6, v3, v156
	v_dual_add_f32 v15, v15, v17 :: v_dual_add_f32 v14, v6, v148
	s_delay_alu instid0(VALU_DEP_1) | instskip(NEXT) | instid1(VALU_DEP_2)
	v_add_f32_e32 v18, v15, v18
	v_add_f32_e32 v14, v14, v149
	s_delay_alu instid0(VALU_DEP_2) | instskip(NEXT) | instid1(VALU_DEP_2)
	v_add_f32_e32 v18, v18, v150
	v_add_f32_e32 v14, v14, v16
	s_delay_alu instid0(VALU_DEP_2) | instskip(NEXT) | instid1(VALU_DEP_2)
	v_add_f32_e32 v18, v18, v151
	v_add_f32_e32 v19, v14, v19
	v_mul_f32_e32 v171, v8, v5
	ds_load_b128 v[14:17], v1 offset:864
	v_dual_add_f32 v18, v18, v159 :: v_dual_add_f32 v19, v19, v20
	s_delay_alu instid0(VALU_DEP_1) | instskip(NEXT) | instid1(VALU_DEP_2)
	v_add_f32_e32 v23, v18, v160
	v_add_f32_e32 v19, v19, v21
	v_fmac_f32_e32 v171, v9, v4
	ds_load_b128 v[2:5], v1 offset:848
	scratch_load_b128 v[6:9], off, off offset:400
	v_add_f32_e32 v23, v23, v162
	v_add_f32_e32 v22, v19, v157
	scratch_load_b128 v[18:21], off, off offset:448
	v_dual_add_f32 v23, v23, v164 :: v_dual_add_f32 v22, v22, v158
	s_delay_alu instid0(VALU_DEP_1) | instskip(SKIP_3) | instid1(VALU_DEP_2)
	v_add_f32_e32 v22, v22, v161
	s_wait_loadcnt_dscnt 0x200
	v_mul_f32_e32 v26, v2, v11
	v_mul_f32_e32 v11, v3, v11
	v_dual_mul_f32 v27, v4, v13 :: v_dual_fmac_f32 v26, v3, v10
	v_mul_f32_e32 v13, v5, v13
	s_delay_alu instid0(VALU_DEP_3) | instskip(NEXT) | instid1(VALU_DEP_3)
	v_fma_f32 v28, v2, v10, -v11
	v_fmac_f32_e32 v27, v5, v12
	s_delay_alu instid0(VALU_DEP_3)
	v_fma_f32 v29, v4, v12, -v13
	s_clause 0x1
	scratch_load_b128 v[10:13], off, off offset:432
	scratch_load_b128 v[2:5], off, off offset:416
	s_wait_loadcnt 0x3
	v_mul_f32_e32 v30, v14, v7
	v_dual_mul_f32 v7, v15, v7 :: v_dual_mul_f32 v148, v16, v9
	s_delay_alu instid0(VALU_DEP_2) | instskip(NEXT) | instid1(VALU_DEP_2)
	v_dual_mul_f32 v9, v17, v9 :: v_dual_fmac_f32 v30, v15, v6
	v_fma_f32 v149, v14, v6, -v7
	v_add_f32_e32 v14, v22, v163
	s_delay_alu instid0(VALU_DEP_4) | instskip(NEXT) | instid1(VALU_DEP_4)
	v_fmac_f32_e32 v148, v17, v8
	v_fma_f32 v150, v16, v8, -v9
	ds_load_b128 v[6:9], v1 offset:880
	v_dual_add_f32 v22, v23, v166 :: v_dual_add_f32 v23, v14, v165
	ds_load_b128 v[14:17], v1 offset:896
	v_dual_add_f32 v151, v22, v168 :: v_dual_add_f32 v154, v23, v167
	ds_load_b128 v[22:25], v1 offset:912
	s_wait_loadcnt_dscnt 0x101
	v_mul_f32_e32 v155, v16, v13
	s_delay_alu instid0(VALU_DEP_1)
	v_fmac_f32_e32 v155, v17, v12
	v_add_f32_e32 v1, v151, v170
	v_add_f32_e32 v151, v154, v169
	s_wait_loadcnt 0x0
	v_mul_f32_e32 v154, v6, v3
	v_mul_f32_e32 v3, v7, v3
	s_delay_alu instid0(VALU_DEP_3) | instskip(NEXT) | instid1(VALU_DEP_3)
	v_add_f32_e32 v151, v151, v171
	v_fmac_f32_e32 v154, v7, v2
	s_delay_alu instid0(VALU_DEP_3) | instskip(SKIP_1) | instid1(VALU_DEP_4)
	v_fma_f32 v3, v6, v2, -v3
	v_mul_f32_e32 v6, v15, v11
	v_dual_add_f32 v26, v151, v26 :: v_dual_mul_f32 v151, v14, v11
	s_delay_alu instid0(VALU_DEP_1) | instskip(SKIP_2) | instid1(VALU_DEP_3)
	v_add_f32_e32 v26, v26, v27
	s_wait_dscnt 0x0
	v_mul_f32_e32 v27, v22, v19
	v_fmac_f32_e32 v151, v15, v10
	s_delay_alu instid0(VALU_DEP_3) | instskip(NEXT) | instid1(VALU_DEP_3)
	v_add_f32_e32 v26, v26, v30
	v_fmac_f32_e32 v27, v23, v18
	v_add_f32_e32 v1, v1, v172
	s_delay_alu instid0(VALU_DEP_3) | instskip(NEXT) | instid1(VALU_DEP_2)
	v_add_f32_e32 v2, v26, v148
	v_dual_add_f32 v1, v1, v28 :: v_dual_mul_f32 v28, v8, v5
	s_delay_alu instid0(VALU_DEP_2) | instskip(NEXT) | instid1(VALU_DEP_2)
	v_dual_mul_f32 v5, v9, v5 :: v_dual_add_f32 v2, v2, v154
	v_add_f32_e32 v1, v1, v29
	s_delay_alu instid0(VALU_DEP_3) | instskip(NEXT) | instid1(VALU_DEP_3)
	v_fmac_f32_e32 v28, v9, v4
	v_fma_f32 v4, v8, v4, -v5
	v_fma_f32 v5, v14, v10, -v6
	v_mul_f32_e32 v29, v24, v21
	s_delay_alu instid0(VALU_DEP_4) | instskip(NEXT) | instid1(VALU_DEP_2)
	v_dual_add_f32 v1, v1, v149 :: v_dual_add_f32 v2, v2, v28
	v_fmac_f32_e32 v29, v25, v20
	s_delay_alu instid0(VALU_DEP_2) | instskip(NEXT) | instid1(VALU_DEP_1)
	v_dual_add_f32 v1, v1, v150 :: v_dual_add_f32 v2, v2, v151
	v_add_f32_e32 v1, v1, v3
	s_delay_alu instid0(VALU_DEP_2) | instskip(NEXT) | instid1(VALU_DEP_2)
	v_dual_mul_f32 v3, v17, v13 :: v_dual_add_f32 v2, v2, v155
	v_dual_add_f32 v1, v1, v4 :: v_dual_mul_f32 v4, v23, v19
	s_delay_alu instid0(VALU_DEP_2) | instskip(NEXT) | instid1(VALU_DEP_2)
	v_fma_f32 v3, v16, v12, -v3
	v_dual_add_f32 v2, v2, v27 :: v_dual_add_f32 v1, v1, v5
	v_mul_f32_e32 v5, v25, v21
	s_delay_alu instid0(VALU_DEP_4) | instskip(NEXT) | instid1(VALU_DEP_3)
	v_fma_f32 v4, v22, v18, -v4
	v_dual_add_f32 v2, v2, v29 :: v_dual_add_f32 v1, v1, v3
	s_delay_alu instid0(VALU_DEP_3) | instskip(NEXT) | instid1(VALU_DEP_2)
	v_fma_f32 v3, v24, v20, -v5
	v_sub_f32_e32 v2, v153, v2
	s_delay_alu instid0(VALU_DEP_3) | instskip(NEXT) | instid1(VALU_DEP_1)
	v_add_f32_e32 v1, v1, v4
	v_add_f32_e32 v1, v1, v3
	s_delay_alu instid0(VALU_DEP_1)
	v_sub_f32_e32 v1, v152, v1
	scratch_store_b64 off, v[1:2], off offset:216
	v_cmpx_lt_u32_e32 26, v0
	s_cbranch_execz .LBB121_309
; %bb.308:
	scratch_load_b64 v[1:2], off, off offset:208
	v_mov_b32_e32 v3, 0
	s_delay_alu instid0(VALU_DEP_1)
	v_mov_b32_e32 v4, v3
	scratch_store_b64 off, v[3:4], off offset:208
	s_wait_loadcnt 0x0
	ds_store_b64 v31, v[1:2]
.LBB121_309:
	s_wait_alu 0xfffe
	s_or_b32 exec_lo, exec_lo, s0
	s_wait_storecnt_dscnt 0x0
	s_barrier_signal -1
	s_barrier_wait -1
	global_inv scope:SCOPE_SE
	s_clause 0x4
	scratch_load_b128 v[5:8], off, off offset:216
	scratch_load_b128 v[1:4], off, off offset:232
	;; [unrolled: 1-line block ×5, first 2 shown]
	v_mov_b32_e32 v21, 0
	ds_load_2addr_b64 v[22:25], v21 offset0:85 offset1:86
	ds_load_2addr_b64 v[26:29], v21 offset0:87 offset1:88
	;; [unrolled: 1-line block ×3, first 2 shown]
	scratch_load_b64 v[152:153], off, off offset:208
	s_mov_b32 s0, exec_lo
	s_wait_loadcnt_dscnt 0x502
	v_mul_f32_e32 v30, v23, v6
	v_dual_mul_f32 v154, v22, v6 :: v_dual_mul_f32 v155, v24, v8
	v_mul_f32_e32 v6, v25, v8
	s_wait_loadcnt_dscnt 0x300
	v_mul_f32_e32 v156, v150, v12
	v_fma_f32 v22, v22, v5, -v30
	v_dual_fmac_f32 v154, v23, v5 :: v_dual_fmac_f32 v155, v25, v7
	v_fma_f32 v23, v24, v7, -v6
	v_dual_mul_f32 v24, v26, v2 :: v_dual_mul_f32 v25, v28, v4
	v_mul_f32_e32 v2, v27, v2
	v_mul_f32_e32 v4, v29, v4
	ds_load_2addr_b64 v[5:8], v21 offset0:91 offset1:92
	v_mul_f32_e32 v30, v148, v10
	v_dual_fmac_f32 v24, v27, v1 :: v_dual_fmac_f32 v25, v29, v3
	v_fma_f32 v26, v26, v1, -v2
	v_fma_f32 v27, v28, v3, -v4
	v_mul_f32_e32 v12, v151, v12
	scratch_load_b128 v[1:4], off, off offset:296
	v_mul_f32_e32 v10, v149, v10
	v_fmac_f32_e32 v30, v149, v9
	v_fmac_f32_e32 v156, v151, v11
	v_fma_f32 v29, v150, v11, -v12
	s_delay_alu instid0(VALU_DEP_4)
	v_fma_f32 v28, v148, v9, -v10
	ds_load_2addr_b64 v[9:12], v21 offset0:93 offset1:94
	s_wait_loadcnt_dscnt 0x301
	v_mul_f32_e32 v148, v5, v14
	v_dual_mul_f32 v14, v6, v14 :: v_dual_mul_f32 v149, v7, v16
	v_mul_f32_e32 v16, v8, v16
	s_delay_alu instid0(VALU_DEP_3) | instskip(NEXT) | instid1(VALU_DEP_3)
	v_fmac_f32_e32 v148, v6, v13
	v_fma_f32 v13, v5, v13, -v14
	s_delay_alu instid0(VALU_DEP_4) | instskip(NEXT) | instid1(VALU_DEP_4)
	v_fmac_f32_e32 v149, v8, v15
	v_fma_f32 v14, v7, v15, -v16
	ds_load_2addr_b64 v[5:8], v21 offset0:95 offset1:96
	s_wait_loadcnt_dscnt 0x201
	v_mul_f32_e32 v15, v9, v18
	v_mul_f32_e32 v16, v10, v18
	;; [unrolled: 1-line block ×3, first 2 shown]
	s_delay_alu instid0(VALU_DEP_3) | instskip(NEXT) | instid1(VALU_DEP_3)
	v_dual_mul_f32 v20, v12, v20 :: v_dual_fmac_f32 v15, v10, v17
	v_fma_f32 v16, v9, v17, -v16
	s_delay_alu instid0(VALU_DEP_3) | instskip(NEXT) | instid1(VALU_DEP_3)
	v_fmac_f32_e32 v18, v12, v19
	v_fma_f32 v17, v11, v19, -v20
	scratch_load_b128 v[9:12], off, off offset:312
	s_wait_loadcnt_dscnt 0x100
	v_mul_f32_e32 v19, v5, v2
	v_mul_f32_e32 v2, v6, v2
	;; [unrolled: 1-line block ×3, first 2 shown]
	s_delay_alu instid0(VALU_DEP_3) | instskip(NEXT) | instid1(VALU_DEP_3)
	v_dual_mul_f32 v4, v8, v4 :: v_dual_fmac_f32 v19, v6, v1
	v_fma_f32 v150, v5, v1, -v2
	s_delay_alu instid0(VALU_DEP_3) | instskip(NEXT) | instid1(VALU_DEP_3)
	v_fmac_f32_e32 v20, v8, v3
	v_fma_f32 v151, v7, v3, -v4
	ds_load_2addr_b64 v[1:4], v21 offset0:97 offset1:98
	ds_load_2addr_b64 v[5:8], v21 offset0:99 offset1:100
	s_wait_loadcnt_dscnt 0x1
	v_mul_f32_e32 v157, v1, v10
	v_mul_f32_e32 v10, v2, v10
	s_delay_alu instid0(VALU_DEP_2) | instskip(NEXT) | instid1(VALU_DEP_2)
	v_dual_mul_f32 v158, v3, v12 :: v_dual_fmac_f32 v157, v2, v9
	v_fma_f32 v159, v1, v9, -v10
	v_mul_f32_e32 v1, v4, v12
	s_delay_alu instid0(VALU_DEP_3) | instskip(NEXT) | instid1(VALU_DEP_2)
	v_fmac_f32_e32 v158, v4, v11
	v_fma_f32 v160, v3, v11, -v1
	s_clause 0x1
	scratch_load_b128 v[1:4], off, off offset:328
	scratch_load_b128 v[9:12], off, off offset:344
	s_wait_loadcnt_dscnt 0x100
	v_mul_f32_e32 v161, v5, v2
	v_dual_mul_f32 v2, v6, v2 :: v_dual_mul_f32 v163, v7, v4
	s_delay_alu instid0(VALU_DEP_2) | instskip(NEXT) | instid1(VALU_DEP_2)
	v_fmac_f32_e32 v161, v6, v1
	v_fma_f32 v162, v5, v1, -v2
	v_mul_f32_e32 v1, v8, v4
	s_delay_alu instid0(VALU_DEP_4) | instskip(NEXT) | instid1(VALU_DEP_2)
	v_fmac_f32_e32 v163, v8, v3
	v_fma_f32 v164, v7, v3, -v1
	ds_load_2addr_b64 v[1:4], v21 offset0:101 offset1:102
	ds_load_2addr_b64 v[5:8], v21 offset0:103 offset1:104
	s_wait_loadcnt_dscnt 0x1
	v_mul_f32_e32 v165, v1, v10
	v_mul_f32_e32 v167, v3, v12
	s_delay_alu instid0(VALU_DEP_2) | instskip(NEXT) | instid1(VALU_DEP_2)
	v_fmac_f32_e32 v165, v2, v9
	v_dual_mul_f32 v2, v2, v10 :: v_dual_fmac_f32 v167, v4, v11
	s_delay_alu instid0(VALU_DEP_1) | instskip(SKIP_1) | instid1(VALU_DEP_1)
	v_fma_f32 v166, v1, v9, -v2
	v_mul_f32_e32 v1, v4, v12
	v_fma_f32 v168, v3, v11, -v1
	s_clause 0x1
	scratch_load_b128 v[1:4], off, off offset:360
	scratch_load_b128 v[9:12], off, off offset:376
	s_wait_loadcnt_dscnt 0x100
	v_mul_f32_e32 v169, v5, v2
	v_dual_mul_f32 v2, v6, v2 :: v_dual_mul_f32 v171, v7, v4
	s_delay_alu instid0(VALU_DEP_2) | instskip(NEXT) | instid1(VALU_DEP_2)
	v_fmac_f32_e32 v169, v6, v1
	v_fma_f32 v170, v5, v1, -v2
	v_mul_f32_e32 v1, v8, v4
	s_delay_alu instid0(VALU_DEP_4) | instskip(NEXT) | instid1(VALU_DEP_2)
	v_fmac_f32_e32 v171, v8, v3
	v_fma_f32 v172, v7, v3, -v1
	v_add_f32_e32 v1, 0, v22
	s_delay_alu instid0(VALU_DEP_1) | instskip(NEXT) | instid1(VALU_DEP_1)
	v_add_f32_e32 v1, v1, v23
	v_add_f32_e32 v1, v1, v26
	s_delay_alu instid0(VALU_DEP_1) | instskip(SKIP_2) | instid1(VALU_DEP_1)
	v_dual_add_f32 v1, v1, v27 :: v_dual_add_f32 v2, 0, v154
	scratch_load_b64 v[26:27], off, off offset:456
	v_dual_add_f32 v1, v1, v28 :: v_dual_add_f32 v2, v2, v155
	v_dual_add_f32 v1, v1, v29 :: v_dual_add_f32 v2, v2, v24
	s_delay_alu instid0(VALU_DEP_1) | instskip(NEXT) | instid1(VALU_DEP_2)
	v_add_f32_e32 v6, v1, v13
	v_add_f32_e32 v2, v2, v25
	s_delay_alu instid0(VALU_DEP_1) | instskip(NEXT) | instid1(VALU_DEP_1)
	v_add_f32_e32 v2, v2, v30
	v_add_f32_e32 v5, v2, v156
	scratch_load_b128 v[1:4], off, off offset:392
	v_add_f32_e32 v13, v5, v148
	s_delay_alu instid0(VALU_DEP_1) | instskip(SKIP_2) | instid1(VALU_DEP_1)
	v_dual_add_f32 v13, v13, v149 :: v_dual_add_f32 v14, v6, v14
	ds_load_2addr_b64 v[5:8], v21 offset0:105 offset1:106
	v_dual_add_f32 v13, v13, v15 :: v_dual_add_f32 v14, v14, v16
	v_dual_add_f32 v18, v13, v18 :: v_dual_add_f32 v17, v14, v17
	ds_load_2addr_b64 v[13:16], v21 offset0:107 offset1:108
	v_add_f32_e32 v17, v17, v150
	s_wait_loadcnt_dscnt 0x201
	s_delay_alu instid0(VALU_DEP_1) | instskip(NEXT) | instid1(VALU_DEP_1)
	v_dual_add_f32 v17, v17, v151 :: v_dual_mul_f32 v148, v7, v12
	v_dual_mul_f32 v12, v8, v12 :: v_dual_add_f32 v17, v17, v159
	v_add_f32_e32 v18, v18, v19
	s_delay_alu instid0(VALU_DEP_2) | instskip(NEXT) | instid1(VALU_DEP_3)
	v_fma_f32 v150, v7, v11, -v12
	v_dual_add_f32 v23, v17, v160 :: v_dual_fmac_f32 v148, v8, v11
	s_delay_alu instid0(VALU_DEP_1) | instskip(SKIP_1) | instid1(VALU_DEP_2)
	v_add_f32_e32 v23, v23, v162
	v_mul_f32_e32 v30, v5, v10
	v_dual_mul_f32 v10, v6, v10 :: v_dual_add_f32 v23, v23, v164
	s_delay_alu instid0(VALU_DEP_2) | instskip(NEXT) | instid1(VALU_DEP_2)
	v_fmac_f32_e32 v30, v6, v9
	v_fma_f32 v149, v5, v9, -v10
	s_clause 0x1
	scratch_load_b128 v[5:8], off, off offset:408
	scratch_load_b128 v[9:12], off, off offset:424
	v_dual_add_f32 v18, v18, v20 :: v_dual_add_f32 v23, v23, v166
	s_wait_loadcnt_dscnt 0x200
	v_mul_f32_e32 v151, v13, v2
	v_mul_f32_e32 v2, v14, v2
	;; [unrolled: 1-line block ×3, first 2 shown]
	s_delay_alu instid0(VALU_DEP_3) | instskip(NEXT) | instid1(VALU_DEP_3)
	v_dual_mul_f32 v4, v16, v4 :: v_dual_fmac_f32 v151, v14, v1
	v_fma_f32 v155, v13, v1, -v2
	s_delay_alu instid0(VALU_DEP_3) | instskip(NEXT) | instid1(VALU_DEP_3)
	v_fmac_f32_e32 v154, v16, v3
	v_fma_f32 v156, v15, v3, -v4
	ds_load_2addr_b64 v[1:4], v21 offset0:109 offset1:110
	v_add_f32_e32 v22, v18, v157
	scratch_load_b128 v[17:20], off, off offset:440
	v_add_f32_e32 v14, v23, v168
	s_delay_alu instid0(VALU_DEP_1) | instskip(NEXT) | instid1(VALU_DEP_1)
	v_add_f32_e32 v28, v14, v170
	v_dual_add_f32 v157, v28, v172 :: v_dual_add_f32 v22, v22, v158
	s_delay_alu instid0(VALU_DEP_1) | instskip(NEXT) | instid1(VALU_DEP_1)
	v_add_f32_e32 v149, v157, v149
	v_dual_add_f32 v22, v22, v161 :: v_dual_add_f32 v149, v149, v150
	s_delay_alu instid0(VALU_DEP_1) | instskip(NEXT) | instid1(VALU_DEP_2)
	v_add_f32_e32 v22, v22, v163
	v_add_f32_e32 v149, v149, v155
	s_delay_alu instid0(VALU_DEP_2) | instskip(NEXT) | instid1(VALU_DEP_2)
	v_add_f32_e32 v13, v22, v165
	v_add_f32_e32 v149, v149, v156
	s_delay_alu instid0(VALU_DEP_2) | instskip(SKIP_4) | instid1(VALU_DEP_2)
	v_add_f32_e32 v22, v13, v167
	ds_load_2addr_b64 v[13:16], v21 offset0:111 offset1:112
	s_wait_loadcnt_dscnt 0x201
	v_mul_f32_e32 v157, v1, v6
	v_mul_f32_e32 v6, v2, v6
	v_fmac_f32_e32 v157, v2, v5
	v_add_f32_e32 v29, v22, v169
	ds_load_2addr_b64 v[22:25], v21 offset0:113 offset1:114
	v_fma_f32 v1, v1, v5, -v6
	v_add_f32_e32 v158, v29, v171
	ds_load_b64 v[28:29], v21 offset:920
	v_add_f32_e32 v1, v149, v1
	s_wait_loadcnt_dscnt 0x102
	v_dual_mul_f32 v5, v16, v12 :: v_dual_add_f32 v30, v158, v30
	s_delay_alu instid0(VALU_DEP_1) | instskip(NEXT) | instid1(VALU_DEP_2)
	v_fma_f32 v5, v15, v11, -v5
	v_add_f32_e32 v30, v30, v148
	v_mul_f32_e32 v148, v3, v8
	v_mul_f32_e32 v8, v4, v8
	s_delay_alu instid0(VALU_DEP_1) | instskip(SKIP_1) | instid1(VALU_DEP_2)
	v_fma_f32 v2, v3, v7, -v8
	v_mul_f32_e32 v3, v14, v10
	v_dual_add_f32 v1, v1, v2 :: v_dual_add_f32 v30, v30, v151
	s_delay_alu instid0(VALU_DEP_2) | instskip(SKIP_1) | instid1(VALU_DEP_2)
	v_fma_f32 v3, v13, v9, -v3
	v_mul_f32_e32 v151, v15, v12
	v_add_f32_e32 v1, v1, v3
	s_delay_alu instid0(VALU_DEP_2) | instskip(NEXT) | instid1(VALU_DEP_2)
	v_fmac_f32_e32 v151, v16, v11
	v_dual_fmac_f32 v148, v4, v7 :: v_dual_add_f32 v1, v1, v5
	s_wait_dscnt 0x0
	v_mul_f32_e32 v5, v29, v27
	s_wait_loadcnt 0x0
	v_dual_mul_f32 v3, v25, v20 :: v_dual_add_f32 v30, v30, v154
	v_mul_f32_e32 v155, v22, v18
	v_mul_f32_e32 v150, v13, v10
	;; [unrolled: 1-line block ×3, first 2 shown]
	s_delay_alu instid0(VALU_DEP_4) | instskip(SKIP_4) | instid1(VALU_DEP_4)
	v_fma_f32 v3, v24, v19, -v3
	v_add_f32_e32 v4, v30, v157
	v_fmac_f32_e32 v155, v23, v17
	v_fmac_f32_e32 v150, v14, v9
	;; [unrolled: 1-line block ×3, first 2 shown]
	v_add_f32_e32 v2, v4, v148
	v_mul_f32_e32 v4, v23, v18
	s_delay_alu instid0(VALU_DEP_2) | instskip(NEXT) | instid1(VALU_DEP_2)
	v_add_f32_e32 v2, v2, v150
	v_fma_f32 v4, v22, v17, -v4
	v_mul_f32_e32 v154, v28, v27
	s_delay_alu instid0(VALU_DEP_2) | instskip(NEXT) | instid1(VALU_DEP_2)
	v_dual_add_f32 v2, v2, v151 :: v_dual_add_f32 v1, v1, v4
	v_fmac_f32_e32 v154, v29, v26
	v_fma_f32 v4, v28, v26, -v5
	s_delay_alu instid0(VALU_DEP_3) | instskip(NEXT) | instid1(VALU_DEP_1)
	v_add_f32_e32 v2, v2, v155
	v_dual_add_f32 v1, v1, v3 :: v_dual_add_f32 v2, v2, v156
	s_delay_alu instid0(VALU_DEP_1) | instskip(NEXT) | instid1(VALU_DEP_1)
	v_dual_add_f32 v1, v1, v4 :: v_dual_add_f32 v2, v2, v154
	v_dual_sub_f32 v1, v152, v1 :: v_dual_sub_f32 v2, v153, v2
	scratch_store_b64 off, v[1:2], off offset:208
	v_cmpx_lt_u32_e32 25, v0
	s_cbranch_execz .LBB121_311
; %bb.310:
	scratch_load_b64 v[1:2], off, off offset:200
	v_mov_b32_e32 v22, v21
	scratch_store_b64 off, v[21:22], off offset:200
	s_wait_loadcnt 0x0
	ds_store_b64 v31, v[1:2]
.LBB121_311:
	s_wait_alu 0xfffe
	s_or_b32 exec_lo, exec_lo, s0
	s_wait_storecnt_dscnt 0x0
	s_barrier_signal -1
	s_barrier_wait -1
	global_inv scope:SCOPE_SE
	s_clause 0x4
	scratch_load_b128 v[5:8], off, off offset:208
	scratch_load_b128 v[1:4], off, off offset:224
	scratch_load_b128 v[9:12], off, off offset:240
	scratch_load_b128 v[13:16], off, off offset:256
	scratch_load_b128 v[17:20], off, off offset:272
	ds_load_b128 v[22:25], v21 offset:672
	ds_load_b128 v[26:29], v21 offset:688
	;; [unrolled: 1-line block ×3, first 2 shown]
	scratch_load_b64 v[152:153], off, off offset:200
	s_mov_b32 s0, exec_lo
	s_wait_loadcnt_dscnt 0x502
	v_dual_mul_f32 v30, v23, v6 :: v_dual_mul_f32 v155, v24, v8
	v_mul_f32_e32 v154, v22, v6
	v_mul_f32_e32 v6, v25, v8
	s_wait_loadcnt_dscnt 0x300
	v_mul_f32_e32 v156, v150, v12
	v_fma_f32 v22, v22, v5, -v30
	v_dual_fmac_f32 v155, v25, v7 :: v_dual_fmac_f32 v154, v23, v5
	v_mul_f32_e32 v25, v28, v4
	v_fma_f32 v23, v24, v7, -v6
	ds_load_b128 v[5:8], v21 offset:720
	v_mul_f32_e32 v24, v26, v2
	v_mul_f32_e32 v4, v29, v4
	;; [unrolled: 1-line block ×5, first 2 shown]
	v_dual_mul_f32 v2, v27, v2 :: v_dual_fmac_f32 v25, v29, v3
	v_fmac_f32_e32 v24, v27, v1
	v_fma_f32 v27, v28, v3, -v4
	v_fmac_f32_e32 v30, v149, v9
	v_fma_f32 v28, v148, v9, -v10
	;; [unrolled: 2-line block ×3, first 2 shown]
	ds_load_b128 v[9:12], v21 offset:736
	s_wait_loadcnt_dscnt 0x201
	v_mul_f32_e32 v148, v5, v14
	v_dual_mul_f32 v14, v6, v14 :: v_dual_mul_f32 v149, v7, v16
	v_mul_f32_e32 v16, v8, v16
	s_delay_alu instid0(VALU_DEP_3) | instskip(NEXT) | instid1(VALU_DEP_3)
	v_fmac_f32_e32 v148, v6, v13
	v_fma_f32 v13, v5, v13, -v14
	s_delay_alu instid0(VALU_DEP_4) | instskip(NEXT) | instid1(VALU_DEP_4)
	v_fmac_f32_e32 v149, v8, v15
	v_fma_f32 v14, v7, v15, -v16
	ds_load_b128 v[5:8], v21 offset:752
	s_wait_loadcnt_dscnt 0x101
	v_mul_f32_e32 v15, v9, v18
	v_mul_f32_e32 v16, v10, v18
	;; [unrolled: 1-line block ×3, first 2 shown]
	s_delay_alu instid0(VALU_DEP_3)
	v_dual_mul_f32 v20, v12, v20 :: v_dual_fmac_f32 v15, v10, v17
	v_fma_f32 v26, v26, v1, -v2
	scratch_load_b128 v[1:4], off, off offset:288
	v_fma_f32 v16, v9, v17, -v16
	v_fmac_f32_e32 v18, v12, v19
	v_fma_f32 v17, v11, v19, -v20
	scratch_load_b128 v[9:12], off, off offset:304
	s_wait_loadcnt_dscnt 0x100
	v_mul_f32_e32 v19, v5, v2
	v_mul_f32_e32 v2, v6, v2
	v_mul_f32_e32 v20, v7, v4
	s_delay_alu instid0(VALU_DEP_3) | instskip(NEXT) | instid1(VALU_DEP_3)
	v_dual_mul_f32 v4, v8, v4 :: v_dual_fmac_f32 v19, v6, v1
	v_fma_f32 v150, v5, v1, -v2
	s_delay_alu instid0(VALU_DEP_3) | instskip(NEXT) | instid1(VALU_DEP_3)
	v_fmac_f32_e32 v20, v8, v3
	v_fma_f32 v151, v7, v3, -v4
	ds_load_b128 v[1:4], v21 offset:768
	ds_load_b128 v[5:8], v21 offset:784
	s_wait_loadcnt_dscnt 0x1
	v_mul_f32_e32 v157, v1, v10
	v_mul_f32_e32 v10, v2, v10
	s_delay_alu instid0(VALU_DEP_2) | instskip(NEXT) | instid1(VALU_DEP_2)
	v_dual_mul_f32 v158, v3, v12 :: v_dual_fmac_f32 v157, v2, v9
	v_fma_f32 v159, v1, v9, -v10
	v_mul_f32_e32 v1, v4, v12
	s_delay_alu instid0(VALU_DEP_3) | instskip(NEXT) | instid1(VALU_DEP_2)
	v_fmac_f32_e32 v158, v4, v11
	v_fma_f32 v160, v3, v11, -v1
	s_clause 0x1
	scratch_load_b128 v[1:4], off, off offset:320
	scratch_load_b128 v[9:12], off, off offset:336
	s_wait_loadcnt_dscnt 0x100
	v_mul_f32_e32 v161, v5, v2
	v_dual_mul_f32 v2, v6, v2 :: v_dual_mul_f32 v163, v7, v4
	s_delay_alu instid0(VALU_DEP_2) | instskip(NEXT) | instid1(VALU_DEP_2)
	v_fmac_f32_e32 v161, v6, v1
	v_fma_f32 v162, v5, v1, -v2
	v_mul_f32_e32 v1, v8, v4
	s_delay_alu instid0(VALU_DEP_4) | instskip(NEXT) | instid1(VALU_DEP_2)
	v_fmac_f32_e32 v163, v8, v3
	v_fma_f32 v164, v7, v3, -v1
	ds_load_b128 v[1:4], v21 offset:800
	ds_load_b128 v[5:8], v21 offset:816
	s_wait_loadcnt_dscnt 0x1
	v_mul_f32_e32 v165, v1, v10
	v_mul_f32_e32 v167, v3, v12
	s_delay_alu instid0(VALU_DEP_2) | instskip(NEXT) | instid1(VALU_DEP_2)
	v_fmac_f32_e32 v165, v2, v9
	v_dual_mul_f32 v2, v2, v10 :: v_dual_fmac_f32 v167, v4, v11
	s_delay_alu instid0(VALU_DEP_1) | instskip(SKIP_1) | instid1(VALU_DEP_1)
	v_fma_f32 v166, v1, v9, -v2
	v_mul_f32_e32 v1, v4, v12
	v_fma_f32 v168, v3, v11, -v1
	s_clause 0x1
	scratch_load_b128 v[1:4], off, off offset:352
	scratch_load_b128 v[9:12], off, off offset:368
	s_wait_loadcnt_dscnt 0x100
	v_mul_f32_e32 v169, v5, v2
	v_dual_mul_f32 v2, v6, v2 :: v_dual_mul_f32 v171, v7, v4
	s_delay_alu instid0(VALU_DEP_2) | instskip(NEXT) | instid1(VALU_DEP_2)
	v_fmac_f32_e32 v169, v6, v1
	v_fma_f32 v170, v5, v1, -v2
	v_mul_f32_e32 v1, v8, v4
	s_delay_alu instid0(VALU_DEP_4) | instskip(NEXT) | instid1(VALU_DEP_2)
	v_fmac_f32_e32 v171, v8, v3
	v_fma_f32 v172, v7, v3, -v1
	ds_load_b128 v[1:4], v21 offset:832
	ds_load_b128 v[5:8], v21 offset:848
	s_wait_loadcnt_dscnt 0x1
	v_mul_f32_e32 v173, v1, v10
	v_mul_f32_e32 v175, v3, v12
	s_delay_alu instid0(VALU_DEP_2) | instskip(NEXT) | instid1(VALU_DEP_2)
	v_fmac_f32_e32 v173, v2, v9
	v_dual_mul_f32 v2, v2, v10 :: v_dual_fmac_f32 v175, v4, v11
	s_delay_alu instid0(VALU_DEP_1) | instskip(SKIP_1) | instid1(VALU_DEP_1)
	v_fma_f32 v174, v1, v9, -v2
	v_mul_f32_e32 v1, v4, v12
	v_fma_f32 v176, v3, v11, -v1
	s_clause 0x1
	scratch_load_b128 v[1:4], off, off offset:384
	scratch_load_b128 v[9:12], off, off offset:400
	s_wait_loadcnt_dscnt 0x100
	v_mul_f32_e32 v177, v5, v2
	v_dual_mul_f32 v2, v6, v2 :: v_dual_mul_f32 v179, v7, v4
	s_delay_alu instid0(VALU_DEP_1) | instskip(NEXT) | instid1(VALU_DEP_2)
	v_fma_f32 v178, v5, v1, -v2
	v_dual_fmac_f32 v179, v8, v3 :: v_dual_add_f32 v2, 0, v154
	s_delay_alu instid0(VALU_DEP_1) | instskip(NEXT) | instid1(VALU_DEP_1)
	v_add_f32_e32 v2, v2, v155
	v_add_f32_e32 v2, v2, v24
	s_delay_alu instid0(VALU_DEP_1) | instskip(NEXT) | instid1(VALU_DEP_1)
	v_add_f32_e32 v2, v2, v25
	v_add_f32_e32 v2, v2, v30
	;; [unrolled: 3-line block ×5, first 2 shown]
	v_fmac_f32_e32 v177, v6, v1
	v_mul_f32_e32 v1, v8, v4
	s_delay_alu instid0(VALU_DEP_1) | instskip(SKIP_1) | instid1(VALU_DEP_1)
	v_fma_f32 v180, v7, v3, -v1
	v_add_f32_e32 v1, 0, v22
	v_add_f32_e32 v1, v1, v23
	s_delay_alu instid0(VALU_DEP_1) | instskip(NEXT) | instid1(VALU_DEP_1)
	v_add_f32_e32 v1, v1, v26
	v_add_f32_e32 v1, v1, v27
	s_delay_alu instid0(VALU_DEP_1) | instskip(NEXT) | instid1(VALU_DEP_1)
	;; [unrolled: 3-line block ×3, first 2 shown]
	v_add_f32_e32 v1, v1, v13
	v_add_f32_e32 v1, v1, v14
	;; [unrolled: 1-line block ×3, first 2 shown]
	s_delay_alu instid0(VALU_DEP_1) | instskip(NEXT) | instid1(VALU_DEP_1)
	v_dual_add_f32 v1, v1, v16 :: v_dual_add_f32 v14, v14, v157
	v_add_f32_e32 v6, v1, v17
	ds_load_b128 v[1:4], v21 offset:864
	v_add_f32_e32 v14, v14, v158
	v_add_f32_e32 v6, v6, v150
	s_delay_alu instid0(VALU_DEP_2) | instskip(NEXT) | instid1(VALU_DEP_2)
	v_add_f32_e32 v17, v14, v161
	v_add_f32_e32 v13, v6, v151
	ds_load_b128 v[5:8], v21 offset:880
	v_add_f32_e32 v17, v17, v163
	s_delay_alu instid0(VALU_DEP_1) | instskip(SKIP_3) | instid1(VALU_DEP_3)
	v_add_f32_e32 v17, v17, v165
	s_wait_loadcnt_dscnt 0x1
	v_dual_mul_f32 v25, v1, v10 :: v_dual_mul_f32 v26, v3, v12
	v_mul_f32_e32 v10, v2, v10
	v_dual_mul_f32 v12, v4, v12 :: v_dual_add_f32 v17, v17, v167
	s_delay_alu instid0(VALU_DEP_3) | instskip(NEXT) | instid1(VALU_DEP_3)
	v_dual_fmac_f32 v25, v2, v9 :: v_dual_fmac_f32 v26, v4, v11
	v_fma_f32 v27, v1, v9, -v10
	s_delay_alu instid0(VALU_DEP_3) | instskip(SKIP_4) | instid1(VALU_DEP_1)
	v_fma_f32 v28, v3, v11, -v12
	s_clause 0x1
	scratch_load_b128 v[1:4], off, off offset:416
	scratch_load_b128 v[9:12], off, off offset:432
	v_add_f32_e32 v23, v17, v169
	v_add_f32_e32 v30, v23, v171
	s_delay_alu instid0(VALU_DEP_1) | instskip(NEXT) | instid1(VALU_DEP_1)
	v_add_f32_e32 v30, v30, v173
	v_add_f32_e32 v30, v30, v175
	s_delay_alu instid0(VALU_DEP_1) | instskip(NEXT) | instid1(VALU_DEP_1)
	v_add_f32_e32 v30, v30, v177
	v_add_f32_e32 v30, v30, v179
	s_wait_loadcnt_dscnt 0x100
	v_mul_f32_e32 v148, v5, v2
	v_dual_add_f32 v13, v13, v159 :: v_dual_mul_f32 v2, v6, v2
	v_mul_f32_e32 v149, v7, v4
	v_mul_f32_e32 v4, v8, v4
	s_delay_alu instid0(VALU_DEP_3) | instskip(NEXT) | instid1(VALU_DEP_4)
	v_dual_fmac_f32 v148, v6, v1 :: v_dual_add_f32 v13, v13, v160
	v_fma_f32 v2, v5, v1, -v2
	s_delay_alu instid0(VALU_DEP_2) | instskip(NEXT) | instid1(VALU_DEP_1)
	v_add_f32_e32 v13, v13, v162
	v_add_f32_e32 v18, v13, v164
	scratch_load_b128 v[13:16], off, off offset:448
	v_add_f32_e32 v25, v30, v25
	v_add_f32_e32 v18, v18, v166
	s_delay_alu instid0(VALU_DEP_1) | instskip(NEXT) | instid1(VALU_DEP_1)
	v_add_f32_e32 v18, v18, v168
	v_add_f32_e32 v22, v18, v170
	ds_load_b128 v[17:20], v21 offset:896
	v_add_f32_e32 v29, v22, v172
	ds_load_b128 v[21:24], v21 offset:912
	s_wait_loadcnt_dscnt 0x101
	v_mul_f32_e32 v150, v17, v10
	v_add_f32_e32 v29, v29, v174
	v_dual_mul_f32 v151, v19, v12 :: v_dual_mul_f32 v6, v18, v10
	s_delay_alu instid0(VALU_DEP_2) | instskip(NEXT) | instid1(VALU_DEP_2)
	v_dual_fmac_f32 v150, v18, v9 :: v_dual_add_f32 v29, v29, v176
	v_fmac_f32_e32 v151, v20, v11
	s_delay_alu instid0(VALU_DEP_2) | instskip(NEXT) | instid1(VALU_DEP_1)
	v_add_f32_e32 v29, v29, v178
	v_add_f32_e32 v29, v29, v180
	s_delay_alu instid0(VALU_DEP_1) | instskip(SKIP_2) | instid1(VALU_DEP_1)
	v_add_f32_e32 v27, v29, v27
	s_wait_loadcnt_dscnt 0x0
	v_mul_f32_e32 v154, v21, v14
	v_dual_add_f32 v5, v25, v26 :: v_dual_fmac_f32 v154, v22, v13
	v_fmac_f32_e32 v149, v8, v3
	v_fma_f32 v3, v7, v3, -v4
	v_mul_f32_e32 v4, v20, v12
	v_add_f32_e32 v1, v27, v28
	s_delay_alu instid0(VALU_DEP_2) | instskip(NEXT) | instid1(VALU_DEP_2)
	v_fma_f32 v4, v19, v11, -v4
	v_add_f32_e32 v1, v1, v2
	v_add_f32_e32 v2, v5, v148
	v_mul_f32_e32 v29, v23, v16
	v_fma_f32 v5, v17, v9, -v6
	s_delay_alu instid0(VALU_DEP_2) | instskip(NEXT) | instid1(VALU_DEP_1)
	v_dual_add_f32 v2, v2, v149 :: v_dual_fmac_f32 v29, v24, v15
	v_add_f32_e32 v2, v2, v150
	s_delay_alu instid0(VALU_DEP_1) | instskip(NEXT) | instid1(VALU_DEP_1)
	v_add_f32_e32 v2, v2, v151
	v_dual_add_f32 v2, v2, v154 :: v_dual_add_f32 v1, v1, v3
	v_mul_f32_e32 v3, v22, v14
	s_delay_alu instid0(VALU_DEP_2) | instskip(NEXT) | instid1(VALU_DEP_3)
	v_add_f32_e32 v2, v2, v29
	v_add_f32_e32 v1, v1, v5
	v_mul_f32_e32 v5, v24, v16
	s_delay_alu instid0(VALU_DEP_4) | instskip(NEXT) | instid1(VALU_DEP_4)
	v_fma_f32 v3, v21, v13, -v3
	v_sub_f32_e32 v2, v153, v2
	s_delay_alu instid0(VALU_DEP_4) | instskip(NEXT) | instid1(VALU_DEP_4)
	v_add_f32_e32 v1, v1, v4
	v_fma_f32 v4, v23, v15, -v5
	s_delay_alu instid0(VALU_DEP_2) | instskip(NEXT) | instid1(VALU_DEP_1)
	v_add_f32_e32 v1, v1, v3
	v_add_f32_e32 v1, v1, v4
	s_delay_alu instid0(VALU_DEP_1)
	v_sub_f32_e32 v1, v152, v1
	scratch_store_b64 off, v[1:2], off offset:200
	v_cmpx_lt_u32_e32 24, v0
	s_cbranch_execz .LBB121_313
; %bb.312:
	scratch_load_b64 v[1:2], off, off offset:192
	v_mov_b32_e32 v3, 0
	s_delay_alu instid0(VALU_DEP_1)
	v_mov_b32_e32 v4, v3
	scratch_store_b64 off, v[3:4], off offset:192
	s_wait_loadcnt 0x0
	ds_store_b64 v31, v[1:2]
.LBB121_313:
	s_wait_alu 0xfffe
	s_or_b32 exec_lo, exec_lo, s0
	s_wait_storecnt_dscnt 0x0
	s_barrier_signal -1
	s_barrier_wait -1
	global_inv scope:SCOPE_SE
	s_clause 0x4
	scratch_load_b128 v[5:8], off, off offset:200
	scratch_load_b128 v[1:4], off, off offset:216
	;; [unrolled: 1-line block ×5, first 2 shown]
	v_mov_b32_e32 v21, 0
	ds_load_2addr_b64 v[22:25], v21 offset0:83 offset1:84
	ds_load_2addr_b64 v[26:29], v21 offset0:85 offset1:86
	;; [unrolled: 1-line block ×3, first 2 shown]
	scratch_load_b64 v[152:153], off, off offset:192
	s_mov_b32 s0, exec_lo
	s_wait_loadcnt_dscnt 0x502
	v_mul_f32_e32 v30, v23, v6
	v_dual_mul_f32 v154, v22, v6 :: v_dual_mul_f32 v155, v24, v8
	v_mul_f32_e32 v6, v25, v8
	s_wait_loadcnt_dscnt 0x300
	v_mul_f32_e32 v156, v150, v12
	v_fma_f32 v22, v22, v5, -v30
	v_dual_fmac_f32 v154, v23, v5 :: v_dual_fmac_f32 v155, v25, v7
	v_fma_f32 v23, v24, v7, -v6
	v_dual_mul_f32 v24, v26, v2 :: v_dual_mul_f32 v25, v28, v4
	v_mul_f32_e32 v2, v27, v2
	v_mul_f32_e32 v4, v29, v4
	ds_load_2addr_b64 v[5:8], v21 offset0:89 offset1:90
	v_mul_f32_e32 v30, v148, v10
	v_dual_fmac_f32 v24, v27, v1 :: v_dual_fmac_f32 v25, v29, v3
	v_fma_f32 v26, v26, v1, -v2
	v_fma_f32 v27, v28, v3, -v4
	v_mul_f32_e32 v12, v151, v12
	scratch_load_b128 v[1:4], off, off offset:280
	v_mul_f32_e32 v10, v149, v10
	v_fmac_f32_e32 v30, v149, v9
	v_fmac_f32_e32 v156, v151, v11
	v_fma_f32 v29, v150, v11, -v12
	s_delay_alu instid0(VALU_DEP_4)
	v_fma_f32 v28, v148, v9, -v10
	ds_load_2addr_b64 v[9:12], v21 offset0:91 offset1:92
	s_wait_loadcnt_dscnt 0x301
	v_mul_f32_e32 v148, v5, v14
	v_dual_mul_f32 v14, v6, v14 :: v_dual_mul_f32 v149, v7, v16
	v_mul_f32_e32 v16, v8, v16
	s_delay_alu instid0(VALU_DEP_3) | instskip(NEXT) | instid1(VALU_DEP_3)
	v_fmac_f32_e32 v148, v6, v13
	v_fma_f32 v13, v5, v13, -v14
	s_delay_alu instid0(VALU_DEP_4) | instskip(NEXT) | instid1(VALU_DEP_4)
	v_fmac_f32_e32 v149, v8, v15
	v_fma_f32 v14, v7, v15, -v16
	ds_load_2addr_b64 v[5:8], v21 offset0:93 offset1:94
	s_wait_loadcnt_dscnt 0x201
	v_mul_f32_e32 v15, v9, v18
	v_mul_f32_e32 v16, v10, v18
	;; [unrolled: 1-line block ×3, first 2 shown]
	s_delay_alu instid0(VALU_DEP_3) | instskip(NEXT) | instid1(VALU_DEP_3)
	v_dual_mul_f32 v20, v12, v20 :: v_dual_fmac_f32 v15, v10, v17
	v_fma_f32 v16, v9, v17, -v16
	s_delay_alu instid0(VALU_DEP_3) | instskip(NEXT) | instid1(VALU_DEP_3)
	v_fmac_f32_e32 v18, v12, v19
	v_fma_f32 v17, v11, v19, -v20
	scratch_load_b128 v[9:12], off, off offset:296
	s_wait_loadcnt_dscnt 0x100
	v_mul_f32_e32 v19, v5, v2
	v_mul_f32_e32 v2, v6, v2
	;; [unrolled: 1-line block ×3, first 2 shown]
	s_delay_alu instid0(VALU_DEP_3) | instskip(NEXT) | instid1(VALU_DEP_3)
	v_dual_mul_f32 v4, v8, v4 :: v_dual_fmac_f32 v19, v6, v1
	v_fma_f32 v150, v5, v1, -v2
	s_delay_alu instid0(VALU_DEP_3) | instskip(NEXT) | instid1(VALU_DEP_3)
	v_fmac_f32_e32 v20, v8, v3
	v_fma_f32 v151, v7, v3, -v4
	ds_load_2addr_b64 v[1:4], v21 offset0:95 offset1:96
	ds_load_2addr_b64 v[5:8], v21 offset0:97 offset1:98
	s_wait_loadcnt_dscnt 0x1
	v_mul_f32_e32 v157, v1, v10
	v_mul_f32_e32 v10, v2, v10
	s_delay_alu instid0(VALU_DEP_2) | instskip(NEXT) | instid1(VALU_DEP_2)
	v_dual_mul_f32 v158, v3, v12 :: v_dual_fmac_f32 v157, v2, v9
	v_fma_f32 v159, v1, v9, -v10
	v_mul_f32_e32 v1, v4, v12
	s_delay_alu instid0(VALU_DEP_3) | instskip(NEXT) | instid1(VALU_DEP_2)
	v_fmac_f32_e32 v158, v4, v11
	v_fma_f32 v160, v3, v11, -v1
	s_clause 0x1
	scratch_load_b128 v[1:4], off, off offset:312
	scratch_load_b128 v[9:12], off, off offset:328
	s_wait_loadcnt_dscnt 0x100
	v_mul_f32_e32 v161, v5, v2
	v_dual_mul_f32 v2, v6, v2 :: v_dual_mul_f32 v163, v7, v4
	s_delay_alu instid0(VALU_DEP_2) | instskip(NEXT) | instid1(VALU_DEP_2)
	v_fmac_f32_e32 v161, v6, v1
	v_fma_f32 v162, v5, v1, -v2
	v_mul_f32_e32 v1, v8, v4
	s_delay_alu instid0(VALU_DEP_4) | instskip(NEXT) | instid1(VALU_DEP_2)
	v_fmac_f32_e32 v163, v8, v3
	v_fma_f32 v164, v7, v3, -v1
	ds_load_2addr_b64 v[1:4], v21 offset0:99 offset1:100
	ds_load_2addr_b64 v[5:8], v21 offset0:101 offset1:102
	s_wait_loadcnt_dscnt 0x1
	v_mul_f32_e32 v165, v1, v10
	v_mul_f32_e32 v167, v3, v12
	s_delay_alu instid0(VALU_DEP_2) | instskip(NEXT) | instid1(VALU_DEP_2)
	v_fmac_f32_e32 v165, v2, v9
	v_dual_mul_f32 v2, v2, v10 :: v_dual_fmac_f32 v167, v4, v11
	s_delay_alu instid0(VALU_DEP_1) | instskip(SKIP_1) | instid1(VALU_DEP_1)
	v_fma_f32 v166, v1, v9, -v2
	v_mul_f32_e32 v1, v4, v12
	v_fma_f32 v168, v3, v11, -v1
	s_clause 0x1
	scratch_load_b128 v[1:4], off, off offset:344
	scratch_load_b128 v[9:12], off, off offset:360
	s_wait_loadcnt_dscnt 0x100
	v_mul_f32_e32 v169, v5, v2
	v_dual_mul_f32 v2, v6, v2 :: v_dual_mul_f32 v171, v7, v4
	s_delay_alu instid0(VALU_DEP_2) | instskip(NEXT) | instid1(VALU_DEP_2)
	v_fmac_f32_e32 v169, v6, v1
	v_fma_f32 v170, v5, v1, -v2
	v_mul_f32_e32 v1, v8, v4
	s_delay_alu instid0(VALU_DEP_4) | instskip(NEXT) | instid1(VALU_DEP_2)
	v_fmac_f32_e32 v171, v8, v3
	v_fma_f32 v172, v7, v3, -v1
	ds_load_2addr_b64 v[1:4], v21 offset0:103 offset1:104
	ds_load_2addr_b64 v[5:8], v21 offset0:105 offset1:106
	s_wait_loadcnt_dscnt 0x1
	v_mul_f32_e32 v173, v1, v10
	v_mul_f32_e32 v175, v3, v12
	s_delay_alu instid0(VALU_DEP_2) | instskip(NEXT) | instid1(VALU_DEP_2)
	v_fmac_f32_e32 v173, v2, v9
	v_dual_mul_f32 v2, v2, v10 :: v_dual_fmac_f32 v175, v4, v11
	s_delay_alu instid0(VALU_DEP_1) | instskip(SKIP_1) | instid1(VALU_DEP_1)
	v_fma_f32 v174, v1, v9, -v2
	v_mul_f32_e32 v1, v4, v12
	v_fma_f32 v176, v3, v11, -v1
	s_clause 0x1
	scratch_load_b128 v[1:4], off, off offset:376
	scratch_load_b128 v[9:12], off, off offset:392
	s_wait_loadcnt_dscnt 0x100
	v_mul_f32_e32 v177, v5, v2
	v_dual_mul_f32 v2, v6, v2 :: v_dual_mul_f32 v179, v7, v4
	s_delay_alu instid0(VALU_DEP_1) | instskip(SKIP_1) | instid1(VALU_DEP_1)
	v_fma_f32 v178, v5, v1, -v2
	v_add_f32_e32 v2, 0, v154
	v_add_f32_e32 v2, v2, v155
	s_delay_alu instid0(VALU_DEP_1) | instskip(NEXT) | instid1(VALU_DEP_1)
	v_dual_fmac_f32 v179, v8, v3 :: v_dual_add_f32 v2, v2, v24
	v_add_f32_e32 v2, v2, v25
	s_delay_alu instid0(VALU_DEP_1) | instskip(NEXT) | instid1(VALU_DEP_1)
	v_add_f32_e32 v2, v2, v30
	v_add_f32_e32 v2, v2, v156
	s_delay_alu instid0(VALU_DEP_1) | instskip(NEXT) | instid1(VALU_DEP_1)
	v_add_f32_e32 v2, v2, v148
	;; [unrolled: 3-line block ×3, first 2 shown]
	v_add_f32_e32 v5, v5, v18
	s_delay_alu instid0(VALU_DEP_1) | instskip(SKIP_2) | instid1(VALU_DEP_1)
	v_add_f32_e32 v5, v5, v19
	v_fmac_f32_e32 v177, v6, v1
	v_mul_f32_e32 v1, v8, v4
	v_fma_f32 v180, v7, v3, -v1
	v_add_f32_e32 v1, 0, v22
	s_delay_alu instid0(VALU_DEP_1) | instskip(NEXT) | instid1(VALU_DEP_1)
	v_add_f32_e32 v1, v1, v23
	v_add_f32_e32 v1, v1, v26
	s_delay_alu instid0(VALU_DEP_1) | instskip(SKIP_2) | instid1(VALU_DEP_1)
	v_add_f32_e32 v1, v1, v27
	scratch_load_b64 v[26:27], off, off offset:456
	v_add_f32_e32 v1, v1, v28
	v_add_f32_e32 v1, v1, v29
	s_delay_alu instid0(VALU_DEP_1) | instskip(NEXT) | instid1(VALU_DEP_1)
	v_add_f32_e32 v1, v1, v13
	v_add_f32_e32 v1, v1, v14
	;; [unrolled: 1-line block ×3, first 2 shown]
	s_delay_alu instid0(VALU_DEP_1) | instskip(NEXT) | instid1(VALU_DEP_1)
	v_dual_add_f32 v1, v1, v16 :: v_dual_add_f32 v14, v14, v157
	v_add_f32_e32 v6, v1, v17
	ds_load_2addr_b64 v[1:4], v21 offset0:107 offset1:108
	v_add_f32_e32 v14, v14, v158
	v_add_f32_e32 v6, v6, v150
	s_delay_alu instid0(VALU_DEP_1)
	v_add_f32_e32 v13, v6, v151
	ds_load_2addr_b64 v[5:8], v21 offset0:109 offset1:110
	s_wait_loadcnt_dscnt 0x101
	v_mul_f32_e32 v30, v1, v10
	v_dual_add_f32 v13, v13, v159 :: v_dual_mul_f32 v10, v2, v10
	v_mul_f32_e32 v148, v3, v12
	v_mul_f32_e32 v12, v4, v12
	s_delay_alu instid0(VALU_DEP_3) | instskip(NEXT) | instid1(VALU_DEP_4)
	v_dual_fmac_f32 v30, v2, v9 :: v_dual_add_f32 v13, v13, v160
	v_fma_f32 v149, v1, v9, -v10
	s_delay_alu instid0(VALU_DEP_4) | instskip(NEXT) | instid1(VALU_DEP_4)
	v_fmac_f32_e32 v148, v4, v11
	v_fma_f32 v150, v3, v11, -v12
	s_clause 0x1
	scratch_load_b128 v[1:4], off, off offset:408
	scratch_load_b128 v[9:12], off, off offset:424
	v_add_f32_e32 v13, v13, v162
	s_delay_alu instid0(VALU_DEP_1) | instskip(SKIP_2) | instid1(VALU_DEP_1)
	v_dual_add_f32 v17, v14, v161 :: v_dual_add_f32 v18, v13, v164
	scratch_load_b128 v[13:16], off, off offset:440
	v_add_f32_e32 v18, v18, v166
	v_dual_add_f32 v18, v18, v168 :: v_dual_add_f32 v17, v17, v163
	s_delay_alu instid0(VALU_DEP_1) | instskip(NEXT) | instid1(VALU_DEP_1)
	v_dual_add_f32 v18, v18, v170 :: v_dual_add_f32 v17, v17, v165
	v_dual_add_f32 v18, v18, v172 :: v_dual_add_f32 v17, v17, v167
	s_delay_alu instid0(VALU_DEP_1) | instskip(NEXT) | instid1(VALU_DEP_1)
	v_dual_add_f32 v28, v18, v174 :: v_dual_add_f32 v17, v17, v169
	v_add_f32_e32 v151, v28, v176
	s_delay_alu instid0(VALU_DEP_1) | instskip(NEXT) | instid1(VALU_DEP_1)
	v_add_f32_e32 v151, v151, v178
	v_add_f32_e32 v151, v151, v180
	s_delay_alu instid0(VALU_DEP_1)
	v_add_f32_e32 v149, v151, v149
	s_wait_loadcnt_dscnt 0x200
	v_mul_f32_e32 v155, v5, v2
	v_mul_f32_e32 v2, v6, v2
	v_add_f32_e32 v22, v17, v171
	ds_load_2addr_b64 v[17:20], v21 offset0:111 offset1:112
	v_mul_f32_e32 v156, v7, v4
	v_mul_f32_e32 v4, v8, v4
	v_fma_f32 v2, v5, v1, -v2
	v_add_f32_e32 v29, v22, v173
	ds_load_2addr_b64 v[22:25], v21 offset0:113 offset1:114
	v_fmac_f32_e32 v156, v8, v3
	v_add_f32_e32 v154, v29, v175
	ds_load_b64 v[28:29], v21 offset:920
	v_add_f32_e32 v154, v154, v177
	s_wait_loadcnt_dscnt 0x102
	s_delay_alu instid0(VALU_DEP_1) | instskip(SKIP_3) | instid1(VALU_DEP_4)
	v_dual_add_f32 v154, v154, v179 :: v_dual_mul_f32 v5, v20, v12
	v_mul_f32_e32 v151, v17, v10
	v_fmac_f32_e32 v155, v6, v1
	v_fma_f32 v1, v7, v3, -v4
	v_add_f32_e32 v30, v154, v30
	v_dual_add_f32 v149, v149, v150 :: v_dual_mul_f32 v154, v19, v12
	v_mul_f32_e32 v3, v18, v10
	s_wait_loadcnt_dscnt 0x1
	v_dual_mul_f32 v157, v22, v14 :: v_dual_mul_f32 v150, v24, v16
	v_add_f32_e32 v30, v30, v148
	s_wait_dscnt 0x0
	v_mul_f32_e32 v148, v28, v27
	v_dual_add_f32 v2, v149, v2 :: v_dual_fmac_f32 v151, v18, v9
	v_fma_f32 v3, v17, v9, -v3
	v_add_f32_e32 v4, v30, v155
	v_dual_fmac_f32 v154, v20, v11 :: v_dual_fmac_f32 v157, v23, v13
	s_delay_alu instid0(VALU_DEP_4) | instskip(SKIP_2) | instid1(VALU_DEP_3)
	v_add_f32_e32 v1, v2, v1
	v_fma_f32 v5, v19, v11, -v5
	v_fmac_f32_e32 v148, v29, v26
	v_add_f32_e32 v1, v1, v3
	v_mul_f32_e32 v3, v25, v16
	v_add_f32_e32 v2, v4, v156
	s_delay_alu instid0(VALU_DEP_2) | instskip(NEXT) | instid1(VALU_DEP_2)
	v_fma_f32 v3, v24, v15, -v3
	v_add_f32_e32 v2, v2, v151
	s_delay_alu instid0(VALU_DEP_1) | instskip(SKIP_1) | instid1(VALU_DEP_2)
	v_add_f32_e32 v2, v2, v154
	v_dual_mul_f32 v4, v23, v14 :: v_dual_add_f32 v1, v1, v5
	v_dual_mul_f32 v5, v29, v27 :: v_dual_add_f32 v2, v2, v157
	s_delay_alu instid0(VALU_DEP_2) | instskip(NEXT) | instid1(VALU_DEP_1)
	v_fma_f32 v4, v22, v13, -v4
	v_add_f32_e32 v1, v1, v4
	s_delay_alu instid0(VALU_DEP_3) | instskip(NEXT) | instid1(VALU_DEP_2)
	v_fma_f32 v4, v28, v26, -v5
	v_add_f32_e32 v1, v1, v3
	s_delay_alu instid0(VALU_DEP_1) | instskip(NEXT) | instid1(VALU_DEP_1)
	v_add_f32_e32 v1, v1, v4
	v_dual_fmac_f32 v150, v25, v15 :: v_dual_sub_f32 v1, v152, v1
	s_delay_alu instid0(VALU_DEP_1) | instskip(NEXT) | instid1(VALU_DEP_1)
	v_add_f32_e32 v2, v2, v150
	v_add_f32_e32 v2, v2, v148
	s_delay_alu instid0(VALU_DEP_1)
	v_sub_f32_e32 v2, v153, v2
	scratch_store_b64 off, v[1:2], off offset:192
	v_cmpx_lt_u32_e32 23, v0
	s_cbranch_execz .LBB121_315
; %bb.314:
	scratch_load_b64 v[1:2], off, off offset:184
	v_mov_b32_e32 v22, v21
	scratch_store_b64 off, v[21:22], off offset:184
	s_wait_loadcnt 0x0
	ds_store_b64 v31, v[1:2]
.LBB121_315:
	s_wait_alu 0xfffe
	s_or_b32 exec_lo, exec_lo, s0
	s_wait_storecnt_dscnt 0x0
	s_barrier_signal -1
	s_barrier_wait -1
	global_inv scope:SCOPE_SE
	s_clause 0x4
	scratch_load_b128 v[5:8], off, off offset:192
	scratch_load_b128 v[1:4], off, off offset:208
	;; [unrolled: 1-line block ×5, first 2 shown]
	ds_load_b128 v[22:25], v21 offset:656
	ds_load_b128 v[26:29], v21 offset:672
	;; [unrolled: 1-line block ×3, first 2 shown]
	scratch_load_b64 v[152:153], off, off offset:184
	s_mov_b32 s0, exec_lo
	s_wait_loadcnt_dscnt 0x502
	v_dual_mul_f32 v30, v23, v6 :: v_dual_mul_f32 v155, v24, v8
	v_mul_f32_e32 v154, v22, v6
	v_mul_f32_e32 v6, v25, v8
	s_wait_loadcnt_dscnt 0x300
	v_mul_f32_e32 v156, v150, v12
	v_fma_f32 v22, v22, v5, -v30
	v_dual_fmac_f32 v155, v25, v7 :: v_dual_fmac_f32 v154, v23, v5
	v_mul_f32_e32 v25, v28, v4
	v_fma_f32 v23, v24, v7, -v6
	ds_load_b128 v[5:8], v21 offset:704
	v_mul_f32_e32 v24, v26, v2
	v_mul_f32_e32 v4, v29, v4
	;; [unrolled: 1-line block ×5, first 2 shown]
	v_dual_mul_f32 v2, v27, v2 :: v_dual_fmac_f32 v25, v29, v3
	v_fmac_f32_e32 v24, v27, v1
	v_fma_f32 v27, v28, v3, -v4
	v_fmac_f32_e32 v30, v149, v9
	v_fma_f32 v28, v148, v9, -v10
	;; [unrolled: 2-line block ×3, first 2 shown]
	ds_load_b128 v[9:12], v21 offset:720
	s_wait_loadcnt_dscnt 0x201
	v_mul_f32_e32 v148, v5, v14
	v_dual_mul_f32 v14, v6, v14 :: v_dual_mul_f32 v149, v7, v16
	v_mul_f32_e32 v16, v8, v16
	s_delay_alu instid0(VALU_DEP_3) | instskip(NEXT) | instid1(VALU_DEP_3)
	v_fmac_f32_e32 v148, v6, v13
	v_fma_f32 v13, v5, v13, -v14
	s_delay_alu instid0(VALU_DEP_4) | instskip(NEXT) | instid1(VALU_DEP_4)
	v_fmac_f32_e32 v149, v8, v15
	v_fma_f32 v14, v7, v15, -v16
	ds_load_b128 v[5:8], v21 offset:736
	s_wait_loadcnt_dscnt 0x101
	v_mul_f32_e32 v15, v9, v18
	v_mul_f32_e32 v16, v10, v18
	v_mul_f32_e32 v18, v11, v20
	s_delay_alu instid0(VALU_DEP_3)
	v_dual_mul_f32 v20, v12, v20 :: v_dual_fmac_f32 v15, v10, v17
	v_fma_f32 v26, v26, v1, -v2
	scratch_load_b128 v[1:4], off, off offset:272
	v_fma_f32 v16, v9, v17, -v16
	v_fmac_f32_e32 v18, v12, v19
	v_fma_f32 v17, v11, v19, -v20
	scratch_load_b128 v[9:12], off, off offset:288
	s_wait_loadcnt_dscnt 0x100
	v_mul_f32_e32 v19, v5, v2
	v_mul_f32_e32 v2, v6, v2
	;; [unrolled: 1-line block ×3, first 2 shown]
	s_delay_alu instid0(VALU_DEP_3) | instskip(NEXT) | instid1(VALU_DEP_3)
	v_dual_mul_f32 v4, v8, v4 :: v_dual_fmac_f32 v19, v6, v1
	v_fma_f32 v150, v5, v1, -v2
	s_delay_alu instid0(VALU_DEP_3) | instskip(NEXT) | instid1(VALU_DEP_3)
	v_fmac_f32_e32 v20, v8, v3
	v_fma_f32 v151, v7, v3, -v4
	ds_load_b128 v[1:4], v21 offset:752
	ds_load_b128 v[5:8], v21 offset:768
	s_wait_loadcnt_dscnt 0x1
	v_mul_f32_e32 v157, v1, v10
	v_mul_f32_e32 v10, v2, v10
	s_delay_alu instid0(VALU_DEP_2) | instskip(NEXT) | instid1(VALU_DEP_2)
	v_dual_mul_f32 v158, v3, v12 :: v_dual_fmac_f32 v157, v2, v9
	v_fma_f32 v159, v1, v9, -v10
	v_mul_f32_e32 v1, v4, v12
	s_delay_alu instid0(VALU_DEP_3) | instskip(NEXT) | instid1(VALU_DEP_2)
	v_fmac_f32_e32 v158, v4, v11
	v_fma_f32 v160, v3, v11, -v1
	s_clause 0x1
	scratch_load_b128 v[1:4], off, off offset:304
	scratch_load_b128 v[9:12], off, off offset:320
	s_wait_loadcnt_dscnt 0x100
	v_mul_f32_e32 v161, v5, v2
	v_dual_mul_f32 v2, v6, v2 :: v_dual_mul_f32 v163, v7, v4
	s_delay_alu instid0(VALU_DEP_2) | instskip(NEXT) | instid1(VALU_DEP_2)
	v_fmac_f32_e32 v161, v6, v1
	v_fma_f32 v162, v5, v1, -v2
	v_mul_f32_e32 v1, v8, v4
	s_delay_alu instid0(VALU_DEP_4) | instskip(NEXT) | instid1(VALU_DEP_2)
	v_fmac_f32_e32 v163, v8, v3
	v_fma_f32 v164, v7, v3, -v1
	ds_load_b128 v[1:4], v21 offset:784
	ds_load_b128 v[5:8], v21 offset:800
	s_wait_loadcnt_dscnt 0x1
	v_mul_f32_e32 v165, v1, v10
	v_mul_f32_e32 v167, v3, v12
	s_delay_alu instid0(VALU_DEP_2) | instskip(NEXT) | instid1(VALU_DEP_2)
	v_fmac_f32_e32 v165, v2, v9
	v_dual_mul_f32 v2, v2, v10 :: v_dual_fmac_f32 v167, v4, v11
	s_delay_alu instid0(VALU_DEP_1) | instskip(SKIP_1) | instid1(VALU_DEP_1)
	v_fma_f32 v166, v1, v9, -v2
	v_mul_f32_e32 v1, v4, v12
	v_fma_f32 v168, v3, v11, -v1
	s_clause 0x1
	scratch_load_b128 v[1:4], off, off offset:336
	scratch_load_b128 v[9:12], off, off offset:352
	s_wait_loadcnt_dscnt 0x100
	v_mul_f32_e32 v169, v5, v2
	v_dual_mul_f32 v2, v6, v2 :: v_dual_mul_f32 v171, v7, v4
	s_delay_alu instid0(VALU_DEP_2) | instskip(NEXT) | instid1(VALU_DEP_2)
	v_fmac_f32_e32 v169, v6, v1
	v_fma_f32 v170, v5, v1, -v2
	v_mul_f32_e32 v1, v8, v4
	s_delay_alu instid0(VALU_DEP_4) | instskip(NEXT) | instid1(VALU_DEP_2)
	v_fmac_f32_e32 v171, v8, v3
	v_fma_f32 v172, v7, v3, -v1
	ds_load_b128 v[1:4], v21 offset:816
	ds_load_b128 v[5:8], v21 offset:832
	s_wait_loadcnt_dscnt 0x1
	v_mul_f32_e32 v173, v1, v10
	v_mul_f32_e32 v175, v3, v12
	s_delay_alu instid0(VALU_DEP_2) | instskip(NEXT) | instid1(VALU_DEP_2)
	v_fmac_f32_e32 v173, v2, v9
	v_dual_mul_f32 v2, v2, v10 :: v_dual_fmac_f32 v175, v4, v11
	s_delay_alu instid0(VALU_DEP_1) | instskip(SKIP_1) | instid1(VALU_DEP_1)
	v_fma_f32 v174, v1, v9, -v2
	v_mul_f32_e32 v1, v4, v12
	v_fma_f32 v176, v3, v11, -v1
	s_clause 0x1
	scratch_load_b128 v[1:4], off, off offset:368
	scratch_load_b128 v[9:12], off, off offset:384
	s_wait_loadcnt_dscnt 0x100
	v_mul_f32_e32 v177, v5, v2
	v_dual_mul_f32 v2, v6, v2 :: v_dual_mul_f32 v179, v7, v4
	s_delay_alu instid0(VALU_DEP_1) | instskip(NEXT) | instid1(VALU_DEP_2)
	v_fma_f32 v178, v5, v1, -v2
	v_dual_fmac_f32 v179, v8, v3 :: v_dual_add_f32 v2, 0, v154
	s_delay_alu instid0(VALU_DEP_1) | instskip(SKIP_1) | instid1(VALU_DEP_2)
	v_add_f32_e32 v2, v2, v155
	v_fmac_f32_e32 v177, v6, v1
	v_add_f32_e32 v2, v2, v24
	s_delay_alu instid0(VALU_DEP_1) | instskip(NEXT) | instid1(VALU_DEP_1)
	v_dual_mul_f32 v1, v8, v4 :: v_dual_add_f32 v2, v2, v25
	v_fma_f32 v180, v7, v3, -v1
	s_delay_alu instid0(VALU_DEP_2) | instskip(NEXT) | instid1(VALU_DEP_1)
	v_add_f32_e32 v2, v2, v30
	v_dual_add_f32 v1, 0, v22 :: v_dual_add_f32 v2, v2, v156
	s_delay_alu instid0(VALU_DEP_1) | instskip(NEXT) | instid1(VALU_DEP_1)
	v_dual_add_f32 v1, v1, v23 :: v_dual_add_f32 v2, v2, v148
	v_dual_add_f32 v1, v1, v26 :: v_dual_add_f32 v2, v2, v149
	s_delay_alu instid0(VALU_DEP_1) | instskip(NEXT) | instid1(VALU_DEP_1)
	v_add_f32_e32 v1, v1, v27
	v_dual_add_f32 v2, v2, v15 :: v_dual_add_f32 v1, v1, v28
	s_delay_alu instid0(VALU_DEP_1) | instskip(NEXT) | instid1(VALU_DEP_2)
	v_add_f32_e32 v5, v2, v18
	v_add_f32_e32 v1, v1, v29
	s_delay_alu instid0(VALU_DEP_1) | instskip(NEXT) | instid1(VALU_DEP_3)
	v_add_f32_e32 v1, v1, v13
	v_add_f32_e32 v13, v5, v19
	s_delay_alu instid0(VALU_DEP_2) | instskip(NEXT) | instid1(VALU_DEP_1)
	v_add_f32_e32 v1, v1, v14
	v_add_f32_e32 v1, v1, v16
	s_delay_alu instid0(VALU_DEP_1) | instskip(NEXT) | instid1(VALU_DEP_1)
	v_add_f32_e32 v1, v1, v17
	v_add_f32_e32 v6, v1, v150
	ds_load_b128 v[1:4], v21 offset:848
	v_dual_add_f32 v13, v13, v20 :: v_dual_add_f32 v14, v6, v151
	scratch_load_b128 v[5:8], off, off offset:400
	v_dual_add_f32 v13, v13, v157 :: v_dual_add_f32 v14, v14, v159
	s_delay_alu instid0(VALU_DEP_1) | instskip(SKIP_4) | instid1(VALU_DEP_2)
	v_dual_add_f32 v18, v13, v158 :: v_dual_add_f32 v17, v14, v160
	ds_load_b128 v[13:16], v21 offset:864
	v_add_f32_e32 v18, v18, v161
	s_wait_loadcnt_dscnt 0x101
	v_mul_f32_e32 v26, v3, v12
	v_dual_add_f32 v18, v18, v163 :: v_dual_add_f32 v17, v17, v162
	v_mul_f32_e32 v12, v4, v12
	s_delay_alu instid0(VALU_DEP_3) | instskip(NEXT) | instid1(VALU_DEP_3)
	v_fmac_f32_e32 v26, v4, v11
	v_dual_add_f32 v22, v18, v165 :: v_dual_mul_f32 v25, v1, v10
	v_mul_f32_e32 v10, v2, v10
	s_delay_alu instid0(VALU_DEP_4) | instskip(NEXT) | instid1(VALU_DEP_3)
	v_fma_f32 v28, v3, v11, -v12
	v_add_f32_e32 v22, v22, v167
	s_delay_alu instid0(VALU_DEP_4) | instskip(NEXT) | instid1(VALU_DEP_4)
	v_fmac_f32_e32 v25, v2, v9
	v_fma_f32 v27, v1, v9, -v10
	scratch_load_b128 v[1:4], off, off offset:416
	v_add_f32_e32 v17, v17, v164
	scratch_load_b128 v[9:12], off, off offset:432
	s_wait_loadcnt_dscnt 0x200
	v_dual_add_f32 v22, v22, v169 :: v_dual_mul_f32 v29, v13, v6
	v_mul_f32_e32 v6, v14, v6
	v_dual_add_f32 v17, v17, v166 :: v_dual_mul_f32 v30, v15, v8
	v_mul_f32_e32 v8, v16, v8
	s_delay_alu instid0(VALU_DEP_3) | instskip(NEXT) | instid1(VALU_DEP_3)
	v_fma_f32 v148, v13, v5, -v6
	v_dual_add_f32 v23, v17, v168 :: v_dual_fmac_f32 v30, v16, v7
	scratch_load_b128 v[17:20], off, off offset:448
	v_fma_f32 v149, v15, v7, -v8
	v_add_f32_e32 v23, v23, v170
	s_delay_alu instid0(VALU_DEP_1) | instskip(NEXT) | instid1(VALU_DEP_1)
	v_add_f32_e32 v23, v23, v172
	v_dual_add_f32 v13, v22, v171 :: v_dual_add_f32 v22, v23, v174
	s_delay_alu instid0(VALU_DEP_1)
	v_add_f32_e32 v150, v22, v176
	v_fmac_f32_e32 v29, v14, v5
	ds_load_b128 v[5:8], v21 offset:880
	v_dual_add_f32 v150, v150, v178 :: v_dual_add_f32 v23, v13, v173
	ds_load_b128 v[13:16], v21 offset:896
	v_dual_add_f32 v150, v150, v180 :: v_dual_add_f32 v151, v23, v175
	ds_load_b128 v[21:24], v21 offset:912
	v_add_f32_e32 v27, v150, v27
	s_wait_loadcnt_dscnt 0x202
	v_dual_add_f32 v151, v151, v177 :: v_dual_mul_f32 v154, v5, v2
	s_delay_alu instid0(VALU_DEP_1)
	v_dual_mul_f32 v2, v6, v2 :: v_dual_add_f32 v151, v151, v179
	v_mul_f32_e32 v150, v7, v4
	v_mul_f32_e32 v4, v8, v4
	s_wait_loadcnt_dscnt 0x101
	v_dual_mul_f32 v155, v15, v12 :: v_dual_fmac_f32 v154, v6, v1
	v_dual_add_f32 v25, v151, v25 :: v_dual_mul_f32 v6, v14, v10
	v_dual_add_f32 v27, v27, v28 :: v_dual_fmac_f32 v150, v8, v3
	v_fma_f32 v3, v7, v3, -v4
	s_delay_alu instid0(VALU_DEP_3) | instskip(SKIP_2) | instid1(VALU_DEP_3)
	v_dual_add_f32 v25, v25, v26 :: v_dual_mul_f32 v4, v16, v12
	v_mul_f32_e32 v151, v13, v10
	v_fma_f32 v2, v5, v1, -v2
	v_add_f32_e32 v25, v25, v29
	s_delay_alu instid0(VALU_DEP_4) | instskip(SKIP_2) | instid1(VALU_DEP_3)
	v_fma_f32 v4, v15, v11, -v4
	s_wait_loadcnt_dscnt 0x0
	v_mul_f32_e32 v26, v21, v18
	v_dual_mul_f32 v28, v23, v20 :: v_dual_add_f32 v5, v25, v30
	v_fmac_f32_e32 v151, v14, v9
	s_delay_alu instid0(VALU_DEP_3) | instskip(NEXT) | instid1(VALU_DEP_3)
	v_dual_fmac_f32 v26, v22, v17 :: v_dual_add_f32 v27, v27, v148
	v_fmac_f32_e32 v28, v24, v19
	v_fmac_f32_e32 v155, v16, v11
	s_delay_alu instid0(VALU_DEP_3) | instskip(NEXT) | instid1(VALU_DEP_1)
	v_add_f32_e32 v1, v27, v149
	v_add_f32_e32 v1, v1, v2
	;; [unrolled: 1-line block ×3, first 2 shown]
	v_fma_f32 v5, v13, v9, -v6
	s_delay_alu instid0(VALU_DEP_2) | instskip(NEXT) | instid1(VALU_DEP_1)
	v_add_f32_e32 v2, v2, v150
	v_add_f32_e32 v2, v2, v151
	s_delay_alu instid0(VALU_DEP_1) | instskip(SKIP_2) | instid1(VALU_DEP_2)
	v_add_f32_e32 v2, v2, v155
	v_add_f32_e32 v1, v1, v3
	v_mul_f32_e32 v3, v22, v18
	v_dual_add_f32 v2, v2, v26 :: v_dual_add_f32 v1, v1, v5
	s_delay_alu instid0(VALU_DEP_2) | instskip(NEXT) | instid1(VALU_DEP_2)
	v_fma_f32 v3, v21, v17, -v3
	v_add_f32_e32 v2, v2, v28
	v_mul_f32_e32 v5, v24, v20
	s_delay_alu instid0(VALU_DEP_4) | instskip(NEXT) | instid1(VALU_DEP_3)
	v_add_f32_e32 v1, v1, v4
	v_sub_f32_e32 v2, v153, v2
	s_delay_alu instid0(VALU_DEP_3) | instskip(NEXT) | instid1(VALU_DEP_3)
	v_fma_f32 v4, v23, v19, -v5
	v_add_f32_e32 v1, v1, v3
	s_delay_alu instid0(VALU_DEP_1) | instskip(NEXT) | instid1(VALU_DEP_1)
	v_add_f32_e32 v1, v1, v4
	v_sub_f32_e32 v1, v152, v1
	scratch_store_b64 off, v[1:2], off offset:184
	v_cmpx_lt_u32_e32 22, v0
	s_cbranch_execz .LBB121_317
; %bb.316:
	scratch_load_b64 v[1:2], off, off offset:176
	v_mov_b32_e32 v3, 0
	s_delay_alu instid0(VALU_DEP_1)
	v_mov_b32_e32 v4, v3
	scratch_store_b64 off, v[3:4], off offset:176
	s_wait_loadcnt 0x0
	ds_store_b64 v31, v[1:2]
.LBB121_317:
	s_wait_alu 0xfffe
	s_or_b32 exec_lo, exec_lo, s0
	s_wait_storecnt_dscnt 0x0
	s_barrier_signal -1
	s_barrier_wait -1
	global_inv scope:SCOPE_SE
	s_clause 0x4
	scratch_load_b128 v[5:8], off, off offset:184
	scratch_load_b128 v[1:4], off, off offset:200
	;; [unrolled: 1-line block ×5, first 2 shown]
	v_mov_b32_e32 v21, 0
	ds_load_2addr_b64 v[22:25], v21 offset0:81 offset1:82
	ds_load_2addr_b64 v[26:29], v21 offset0:83 offset1:84
	;; [unrolled: 1-line block ×3, first 2 shown]
	scratch_load_b64 v[152:153], off, off offset:176
	s_mov_b32 s0, exec_lo
	s_wait_loadcnt_dscnt 0x502
	v_mul_f32_e32 v30, v23, v6
	v_dual_mul_f32 v154, v22, v6 :: v_dual_mul_f32 v155, v24, v8
	v_mul_f32_e32 v6, v25, v8
	s_wait_loadcnt_dscnt 0x300
	v_mul_f32_e32 v156, v150, v12
	v_fma_f32 v22, v22, v5, -v30
	v_dual_fmac_f32 v154, v23, v5 :: v_dual_fmac_f32 v155, v25, v7
	v_fma_f32 v23, v24, v7, -v6
	v_dual_mul_f32 v24, v26, v2 :: v_dual_mul_f32 v25, v28, v4
	v_mul_f32_e32 v2, v27, v2
	v_mul_f32_e32 v4, v29, v4
	ds_load_2addr_b64 v[5:8], v21 offset0:87 offset1:88
	v_mul_f32_e32 v30, v148, v10
	v_dual_fmac_f32 v24, v27, v1 :: v_dual_fmac_f32 v25, v29, v3
	v_fma_f32 v26, v26, v1, -v2
	v_fma_f32 v27, v28, v3, -v4
	v_mul_f32_e32 v12, v151, v12
	scratch_load_b128 v[1:4], off, off offset:264
	v_mul_f32_e32 v10, v149, v10
	v_fmac_f32_e32 v30, v149, v9
	v_fmac_f32_e32 v156, v151, v11
	v_fma_f32 v29, v150, v11, -v12
	s_delay_alu instid0(VALU_DEP_4)
	v_fma_f32 v28, v148, v9, -v10
	ds_load_2addr_b64 v[9:12], v21 offset0:89 offset1:90
	s_wait_loadcnt_dscnt 0x301
	v_mul_f32_e32 v148, v5, v14
	v_dual_mul_f32 v14, v6, v14 :: v_dual_mul_f32 v149, v7, v16
	v_mul_f32_e32 v16, v8, v16
	s_delay_alu instid0(VALU_DEP_3) | instskip(NEXT) | instid1(VALU_DEP_3)
	v_fmac_f32_e32 v148, v6, v13
	v_fma_f32 v13, v5, v13, -v14
	s_delay_alu instid0(VALU_DEP_4) | instskip(NEXT) | instid1(VALU_DEP_4)
	v_fmac_f32_e32 v149, v8, v15
	v_fma_f32 v14, v7, v15, -v16
	ds_load_2addr_b64 v[5:8], v21 offset0:91 offset1:92
	s_wait_loadcnt_dscnt 0x201
	v_mul_f32_e32 v15, v9, v18
	v_mul_f32_e32 v16, v10, v18
	;; [unrolled: 1-line block ×3, first 2 shown]
	s_delay_alu instid0(VALU_DEP_3) | instskip(NEXT) | instid1(VALU_DEP_3)
	v_dual_mul_f32 v20, v12, v20 :: v_dual_fmac_f32 v15, v10, v17
	v_fma_f32 v16, v9, v17, -v16
	s_delay_alu instid0(VALU_DEP_3) | instskip(NEXT) | instid1(VALU_DEP_3)
	v_fmac_f32_e32 v18, v12, v19
	v_fma_f32 v17, v11, v19, -v20
	scratch_load_b128 v[9:12], off, off offset:280
	s_wait_loadcnt_dscnt 0x100
	v_mul_f32_e32 v19, v5, v2
	v_mul_f32_e32 v2, v6, v2
	;; [unrolled: 1-line block ×3, first 2 shown]
	s_delay_alu instid0(VALU_DEP_3) | instskip(NEXT) | instid1(VALU_DEP_3)
	v_dual_mul_f32 v4, v8, v4 :: v_dual_fmac_f32 v19, v6, v1
	v_fma_f32 v150, v5, v1, -v2
	s_delay_alu instid0(VALU_DEP_3) | instskip(NEXT) | instid1(VALU_DEP_3)
	v_fmac_f32_e32 v20, v8, v3
	v_fma_f32 v151, v7, v3, -v4
	ds_load_2addr_b64 v[1:4], v21 offset0:93 offset1:94
	ds_load_2addr_b64 v[5:8], v21 offset0:95 offset1:96
	s_wait_loadcnt_dscnt 0x1
	v_mul_f32_e32 v157, v1, v10
	v_mul_f32_e32 v10, v2, v10
	s_delay_alu instid0(VALU_DEP_2) | instskip(NEXT) | instid1(VALU_DEP_2)
	v_dual_mul_f32 v158, v3, v12 :: v_dual_fmac_f32 v157, v2, v9
	v_fma_f32 v159, v1, v9, -v10
	v_mul_f32_e32 v1, v4, v12
	s_delay_alu instid0(VALU_DEP_3) | instskip(NEXT) | instid1(VALU_DEP_2)
	v_fmac_f32_e32 v158, v4, v11
	v_fma_f32 v160, v3, v11, -v1
	s_clause 0x1
	scratch_load_b128 v[1:4], off, off offset:296
	scratch_load_b128 v[9:12], off, off offset:312
	s_wait_loadcnt_dscnt 0x100
	v_mul_f32_e32 v161, v5, v2
	v_dual_mul_f32 v2, v6, v2 :: v_dual_mul_f32 v163, v7, v4
	s_delay_alu instid0(VALU_DEP_2) | instskip(NEXT) | instid1(VALU_DEP_2)
	v_fmac_f32_e32 v161, v6, v1
	v_fma_f32 v162, v5, v1, -v2
	v_mul_f32_e32 v1, v8, v4
	s_delay_alu instid0(VALU_DEP_4) | instskip(NEXT) | instid1(VALU_DEP_2)
	v_fmac_f32_e32 v163, v8, v3
	v_fma_f32 v164, v7, v3, -v1
	ds_load_2addr_b64 v[1:4], v21 offset0:97 offset1:98
	ds_load_2addr_b64 v[5:8], v21 offset0:99 offset1:100
	s_wait_loadcnt_dscnt 0x1
	v_mul_f32_e32 v165, v1, v10
	v_mul_f32_e32 v167, v3, v12
	s_delay_alu instid0(VALU_DEP_2) | instskip(NEXT) | instid1(VALU_DEP_2)
	v_fmac_f32_e32 v165, v2, v9
	v_dual_mul_f32 v2, v2, v10 :: v_dual_fmac_f32 v167, v4, v11
	s_delay_alu instid0(VALU_DEP_1) | instskip(SKIP_1) | instid1(VALU_DEP_1)
	v_fma_f32 v166, v1, v9, -v2
	v_mul_f32_e32 v1, v4, v12
	v_fma_f32 v168, v3, v11, -v1
	s_clause 0x1
	scratch_load_b128 v[1:4], off, off offset:328
	scratch_load_b128 v[9:12], off, off offset:344
	s_wait_loadcnt_dscnt 0x100
	v_mul_f32_e32 v169, v5, v2
	v_dual_mul_f32 v2, v6, v2 :: v_dual_mul_f32 v171, v7, v4
	s_delay_alu instid0(VALU_DEP_2) | instskip(NEXT) | instid1(VALU_DEP_2)
	v_fmac_f32_e32 v169, v6, v1
	v_fma_f32 v170, v5, v1, -v2
	v_mul_f32_e32 v1, v8, v4
	s_delay_alu instid0(VALU_DEP_4) | instskip(NEXT) | instid1(VALU_DEP_2)
	v_fmac_f32_e32 v171, v8, v3
	v_fma_f32 v172, v7, v3, -v1
	ds_load_2addr_b64 v[1:4], v21 offset0:101 offset1:102
	ds_load_2addr_b64 v[5:8], v21 offset0:103 offset1:104
	s_wait_loadcnt_dscnt 0x1
	v_mul_f32_e32 v173, v1, v10
	v_mul_f32_e32 v175, v3, v12
	s_delay_alu instid0(VALU_DEP_2) | instskip(NEXT) | instid1(VALU_DEP_2)
	v_fmac_f32_e32 v173, v2, v9
	v_dual_mul_f32 v2, v2, v10 :: v_dual_fmac_f32 v175, v4, v11
	s_delay_alu instid0(VALU_DEP_1) | instskip(SKIP_1) | instid1(VALU_DEP_1)
	v_fma_f32 v174, v1, v9, -v2
	v_mul_f32_e32 v1, v4, v12
	v_fma_f32 v176, v3, v11, -v1
	s_clause 0x1
	scratch_load_b128 v[1:4], off, off offset:360
	scratch_load_b128 v[9:12], off, off offset:376
	s_wait_loadcnt_dscnt 0x100
	v_mul_f32_e32 v177, v5, v2
	v_dual_mul_f32 v2, v6, v2 :: v_dual_mul_f32 v179, v7, v4
	s_delay_alu instid0(VALU_DEP_1) | instskip(SKIP_1) | instid1(VALU_DEP_1)
	v_fma_f32 v178, v5, v1, -v2
	v_add_f32_e32 v2, 0, v154
	v_add_f32_e32 v2, v2, v155
	s_delay_alu instid0(VALU_DEP_4) | instskip(SKIP_1) | instid1(VALU_DEP_3)
	v_fmac_f32_e32 v179, v8, v3
	v_fmac_f32_e32 v177, v6, v1
	v_add_f32_e32 v2, v2, v24
	s_delay_alu instid0(VALU_DEP_1) | instskip(NEXT) | instid1(VALU_DEP_1)
	v_dual_mul_f32 v1, v8, v4 :: v_dual_add_f32 v2, v2, v25
	v_fma_f32 v180, v7, v3, -v1
	s_delay_alu instid0(VALU_DEP_2) | instskip(NEXT) | instid1(VALU_DEP_1)
	v_add_f32_e32 v2, v2, v30
	v_dual_add_f32 v1, 0, v22 :: v_dual_add_f32 v2, v2, v156
	s_delay_alu instid0(VALU_DEP_1) | instskip(NEXT) | instid1(VALU_DEP_1)
	v_dual_add_f32 v1, v1, v23 :: v_dual_add_f32 v2, v2, v148
	v_dual_add_f32 v1, v1, v26 :: v_dual_add_f32 v2, v2, v149
	s_delay_alu instid0(VALU_DEP_1) | instskip(SKIP_2) | instid1(VALU_DEP_1)
	v_add_f32_e32 v1, v1, v27
	scratch_load_b64 v[26:27], off, off offset:456
	v_dual_add_f32 v2, v2, v15 :: v_dual_add_f32 v1, v1, v28
	v_add_f32_e32 v5, v2, v18
	s_delay_alu instid0(VALU_DEP_2) | instskip(NEXT) | instid1(VALU_DEP_1)
	v_add_f32_e32 v1, v1, v29
	v_add_f32_e32 v1, v1, v13
	s_delay_alu instid0(VALU_DEP_3) | instskip(NEXT) | instid1(VALU_DEP_2)
	v_add_f32_e32 v13, v5, v19
	v_add_f32_e32 v1, v1, v14
	s_delay_alu instid0(VALU_DEP_2) | instskip(NEXT) | instid1(VALU_DEP_1)
	v_add_f32_e32 v13, v13, v20
	v_add_f32_e32 v13, v13, v157
	s_delay_alu instid0(VALU_DEP_1) | instskip(NEXT) | instid1(VALU_DEP_1)
	v_add_f32_e32 v18, v13, v158
	v_dual_add_f32 v1, v1, v16 :: v_dual_add_f32 v18, v18, v161
	s_delay_alu instid0(VALU_DEP_1) | instskip(NEXT) | instid1(VALU_DEP_1)
	v_dual_add_f32 v1, v1, v17 :: v_dual_add_f32 v18, v18, v163
	v_add_f32_e32 v6, v1, v150
	scratch_load_b128 v[1:4], off, off offset:392
	v_add_f32_e32 v22, v18, v165
	v_add_f32_e32 v14, v6, v151
	ds_load_2addr_b64 v[5:8], v21 offset0:105 offset1:106
	v_add_f32_e32 v22, v22, v167
	v_add_f32_e32 v14, v14, v159
	s_delay_alu instid0(VALU_DEP_2) | instskip(NEXT) | instid1(VALU_DEP_2)
	v_add_f32_e32 v22, v22, v169
	v_add_f32_e32 v17, v14, v160
	ds_load_2addr_b64 v[13:16], v21 offset0:107 offset1:108
	v_add_f32_e32 v22, v22, v171
	s_wait_loadcnt_dscnt 0x201
	v_mul_f32_e32 v30, v5, v10
	v_mul_f32_e32 v10, v6, v10
	v_mul_f32_e32 v148, v7, v12
	v_dual_mul_f32 v12, v8, v12 :: v_dual_add_f32 v17, v17, v162
	s_delay_alu instid0(VALU_DEP_4) | instskip(NEXT) | instid1(VALU_DEP_4)
	v_fmac_f32_e32 v30, v6, v9
	v_fma_f32 v149, v5, v9, -v10
	s_delay_alu instid0(VALU_DEP_4) | instskip(NEXT) | instid1(VALU_DEP_4)
	v_fmac_f32_e32 v148, v8, v11
	v_fma_f32 v150, v7, v11, -v12
	scratch_load_b128 v[5:8], off, off offset:408
	v_add_f32_e32 v17, v17, v164
	scratch_load_b128 v[9:12], off, off offset:424
	v_add_f32_e32 v17, v17, v166
	s_delay_alu instid0(VALU_DEP_1)
	v_add_f32_e32 v23, v17, v168
	scratch_load_b128 v[17:20], off, off offset:440
	s_wait_loadcnt_dscnt 0x300
	v_dual_mul_f32 v151, v13, v2 :: v_dual_mul_f32 v154, v15, v4
	v_mul_f32_e32 v2, v14, v2
	v_dual_add_f32 v23, v23, v170 :: v_dual_mul_f32 v4, v16, v4
	s_delay_alu instid0(VALU_DEP_3) | instskip(NEXT) | instid1(VALU_DEP_3)
	v_dual_fmac_f32 v151, v14, v1 :: v_dual_fmac_f32 v154, v16, v3
	v_fma_f32 v155, v13, v1, -v2
	s_delay_alu instid0(VALU_DEP_3) | instskip(NEXT) | instid1(VALU_DEP_4)
	v_add_f32_e32 v23, v23, v172
	v_fma_f32 v156, v15, v3, -v4
	ds_load_2addr_b64 v[1:4], v21 offset0:109 offset1:110
	v_add_f32_e32 v23, v23, v174
	s_delay_alu instid0(VALU_DEP_1) | instskip(NEXT) | instid1(VALU_DEP_1)
	v_dual_add_f32 v13, v22, v173 :: v_dual_add_f32 v14, v23, v176
	v_add_f32_e32 v28, v14, v178
	s_delay_alu instid0(VALU_DEP_2)
	v_add_f32_e32 v22, v13, v175
	ds_load_2addr_b64 v[13:16], v21 offset0:111 offset1:112
	v_add_f32_e32 v157, v28, v180
	v_add_f32_e32 v29, v22, v177
	ds_load_2addr_b64 v[22:25], v21 offset0:113 offset1:114
	v_add_f32_e32 v149, v157, v149
	v_add_f32_e32 v158, v29, v179
	ds_load_b64 v[28:29], v21 offset:920
	v_add_f32_e32 v149, v149, v150
	s_delay_alu instid0(VALU_DEP_1) | instskip(SKIP_1) | instid1(VALU_DEP_1)
	v_dual_add_f32 v30, v158, v30 :: v_dual_add_f32 v149, v149, v155
	s_wait_loadcnt_dscnt 0x203
	v_dual_mul_f32 v157, v1, v6 :: v_dual_add_f32 v30, v30, v148
	v_mul_f32_e32 v6, v2, v6
	v_mul_f32_e32 v148, v3, v8
	;; [unrolled: 1-line block ×3, first 2 shown]
	v_add_f32_e32 v149, v149, v156
	s_wait_loadcnt_dscnt 0x102
	v_dual_mul_f32 v150, v13, v10 :: v_dual_fmac_f32 v157, v2, v5
	v_fma_f32 v1, v1, v5, -v6
	v_add_f32_e32 v30, v30, v151
	v_fma_f32 v2, v3, v7, -v8
	v_mul_f32_e32 v3, v14, v10
	v_mul_f32_e32 v151, v15, v12
	s_delay_alu instid0(VALU_DEP_4) | instskip(SKIP_3) | instid1(VALU_DEP_3)
	v_dual_add_f32 v1, v149, v1 :: v_dual_add_f32 v30, v30, v154
	v_mul_f32_e32 v5, v16, v12
	s_wait_dscnt 0x0
	v_mul_f32_e32 v154, v28, v27
	v_dual_fmac_f32 v148, v4, v7 :: v_dual_add_f32 v1, v1, v2
	v_dual_add_f32 v4, v30, v157 :: v_dual_fmac_f32 v151, v16, v11
	v_fma_f32 v3, v13, v9, -v3
	s_wait_loadcnt 0x0
	v_dual_mul_f32 v155, v22, v18 :: v_dual_mul_f32 v156, v24, v20
	v_fmac_f32_e32 v150, v14, v9
	v_add_f32_e32 v2, v4, v148
	v_mul_f32_e32 v4, v23, v18
	v_fma_f32 v5, v15, v11, -v5
	v_add_f32_e32 v1, v1, v3
	v_mul_f32_e32 v3, v25, v20
	v_dual_fmac_f32 v155, v23, v17 :: v_dual_add_f32 v2, v2, v150
	v_fma_f32 v4, v22, v17, -v4
	s_delay_alu instid0(VALU_DEP_4) | instskip(NEXT) | instid1(VALU_DEP_4)
	v_add_f32_e32 v1, v1, v5
	v_fma_f32 v3, v24, v19, -v3
	v_fmac_f32_e32 v156, v25, v19
	v_add_f32_e32 v2, v2, v151
	v_fmac_f32_e32 v154, v29, v26
	v_add_f32_e32 v1, v1, v4
	s_delay_alu instid0(VALU_DEP_1) | instskip(NEXT) | instid1(VALU_DEP_4)
	v_add_f32_e32 v1, v1, v3
	v_add_f32_e32 v2, v2, v155
	s_delay_alu instid0(VALU_DEP_1) | instskip(NEXT) | instid1(VALU_DEP_1)
	v_dual_mul_f32 v5, v29, v27 :: v_dual_add_f32 v2, v2, v156
	v_fma_f32 v4, v28, v26, -v5
	s_delay_alu instid0(VALU_DEP_1) | instskip(NEXT) | instid1(VALU_DEP_1)
	v_dual_add_f32 v2, v2, v154 :: v_dual_add_f32 v1, v1, v4
	v_dual_sub_f32 v2, v153, v2 :: v_dual_sub_f32 v1, v152, v1
	scratch_store_b64 off, v[1:2], off offset:176
	v_cmpx_lt_u32_e32 21, v0
	s_cbranch_execz .LBB121_319
; %bb.318:
	scratch_load_b64 v[1:2], off, off offset:168
	v_mov_b32_e32 v22, v21
	scratch_store_b64 off, v[21:22], off offset:168
	s_wait_loadcnt 0x0
	ds_store_b64 v31, v[1:2]
.LBB121_319:
	s_wait_alu 0xfffe
	s_or_b32 exec_lo, exec_lo, s0
	s_wait_storecnt_dscnt 0x0
	s_barrier_signal -1
	s_barrier_wait -1
	global_inv scope:SCOPE_SE
	s_clause 0x4
	scratch_load_b128 v[5:8], off, off offset:176
	scratch_load_b128 v[1:4], off, off offset:192
	;; [unrolled: 1-line block ×5, first 2 shown]
	ds_load_b128 v[22:25], v21 offset:640
	ds_load_b128 v[26:29], v21 offset:656
	ds_load_b128 v[148:151], v21 offset:672
	scratch_load_b64 v[152:153], off, off offset:168
	s_mov_b32 s0, exec_lo
	s_wait_loadcnt_dscnt 0x502
	v_dual_mul_f32 v30, v23, v6 :: v_dual_mul_f32 v155, v24, v8
	v_mul_f32_e32 v154, v22, v6
	v_mul_f32_e32 v6, v25, v8
	s_wait_loadcnt_dscnt 0x300
	v_mul_f32_e32 v156, v150, v12
	v_fma_f32 v22, v22, v5, -v30
	v_dual_fmac_f32 v155, v25, v7 :: v_dual_fmac_f32 v154, v23, v5
	v_mul_f32_e32 v25, v28, v4
	v_fma_f32 v23, v24, v7, -v6
	ds_load_b128 v[5:8], v21 offset:688
	v_mul_f32_e32 v24, v26, v2
	v_mul_f32_e32 v4, v29, v4
	;; [unrolled: 1-line block ×5, first 2 shown]
	v_dual_mul_f32 v2, v27, v2 :: v_dual_fmac_f32 v25, v29, v3
	v_fmac_f32_e32 v24, v27, v1
	v_fma_f32 v27, v28, v3, -v4
	v_fmac_f32_e32 v30, v149, v9
	v_fma_f32 v28, v148, v9, -v10
	;; [unrolled: 2-line block ×3, first 2 shown]
	ds_load_b128 v[9:12], v21 offset:704
	s_wait_loadcnt_dscnt 0x201
	v_mul_f32_e32 v148, v5, v14
	v_dual_mul_f32 v14, v6, v14 :: v_dual_mul_f32 v149, v7, v16
	v_mul_f32_e32 v16, v8, v16
	s_delay_alu instid0(VALU_DEP_3) | instskip(NEXT) | instid1(VALU_DEP_3)
	v_fmac_f32_e32 v148, v6, v13
	v_fma_f32 v13, v5, v13, -v14
	s_delay_alu instid0(VALU_DEP_4) | instskip(NEXT) | instid1(VALU_DEP_4)
	v_fmac_f32_e32 v149, v8, v15
	v_fma_f32 v14, v7, v15, -v16
	ds_load_b128 v[5:8], v21 offset:720
	s_wait_loadcnt_dscnt 0x101
	v_mul_f32_e32 v15, v9, v18
	v_mul_f32_e32 v16, v10, v18
	;; [unrolled: 1-line block ×3, first 2 shown]
	s_delay_alu instid0(VALU_DEP_3)
	v_dual_mul_f32 v20, v12, v20 :: v_dual_fmac_f32 v15, v10, v17
	v_fma_f32 v26, v26, v1, -v2
	scratch_load_b128 v[1:4], off, off offset:256
	v_fma_f32 v16, v9, v17, -v16
	v_fmac_f32_e32 v18, v12, v19
	v_fma_f32 v17, v11, v19, -v20
	scratch_load_b128 v[9:12], off, off offset:272
	s_wait_loadcnt_dscnt 0x100
	v_mul_f32_e32 v19, v5, v2
	v_mul_f32_e32 v2, v6, v2
	;; [unrolled: 1-line block ×3, first 2 shown]
	s_delay_alu instid0(VALU_DEP_3) | instskip(NEXT) | instid1(VALU_DEP_3)
	v_dual_mul_f32 v4, v8, v4 :: v_dual_fmac_f32 v19, v6, v1
	v_fma_f32 v150, v5, v1, -v2
	s_delay_alu instid0(VALU_DEP_3) | instskip(NEXT) | instid1(VALU_DEP_3)
	v_fmac_f32_e32 v20, v8, v3
	v_fma_f32 v151, v7, v3, -v4
	ds_load_b128 v[1:4], v21 offset:736
	ds_load_b128 v[5:8], v21 offset:752
	s_wait_loadcnt_dscnt 0x1
	v_mul_f32_e32 v157, v1, v10
	v_mul_f32_e32 v10, v2, v10
	s_delay_alu instid0(VALU_DEP_2) | instskip(NEXT) | instid1(VALU_DEP_2)
	v_dual_mul_f32 v158, v3, v12 :: v_dual_fmac_f32 v157, v2, v9
	v_fma_f32 v159, v1, v9, -v10
	v_mul_f32_e32 v1, v4, v12
	s_delay_alu instid0(VALU_DEP_3) | instskip(NEXT) | instid1(VALU_DEP_2)
	v_fmac_f32_e32 v158, v4, v11
	v_fma_f32 v160, v3, v11, -v1
	s_clause 0x1
	scratch_load_b128 v[1:4], off, off offset:288
	scratch_load_b128 v[9:12], off, off offset:304
	s_wait_loadcnt_dscnt 0x100
	v_mul_f32_e32 v161, v5, v2
	v_dual_mul_f32 v2, v6, v2 :: v_dual_mul_f32 v163, v7, v4
	s_delay_alu instid0(VALU_DEP_2) | instskip(NEXT) | instid1(VALU_DEP_2)
	v_fmac_f32_e32 v161, v6, v1
	v_fma_f32 v162, v5, v1, -v2
	v_mul_f32_e32 v1, v8, v4
	s_delay_alu instid0(VALU_DEP_4) | instskip(NEXT) | instid1(VALU_DEP_2)
	v_fmac_f32_e32 v163, v8, v3
	v_fma_f32 v164, v7, v3, -v1
	ds_load_b128 v[1:4], v21 offset:768
	ds_load_b128 v[5:8], v21 offset:784
	s_wait_loadcnt_dscnt 0x1
	v_mul_f32_e32 v165, v1, v10
	v_mul_f32_e32 v167, v3, v12
	s_delay_alu instid0(VALU_DEP_2) | instskip(NEXT) | instid1(VALU_DEP_2)
	v_fmac_f32_e32 v165, v2, v9
	v_dual_mul_f32 v2, v2, v10 :: v_dual_fmac_f32 v167, v4, v11
	s_delay_alu instid0(VALU_DEP_1) | instskip(SKIP_1) | instid1(VALU_DEP_1)
	v_fma_f32 v166, v1, v9, -v2
	v_mul_f32_e32 v1, v4, v12
	v_fma_f32 v168, v3, v11, -v1
	s_clause 0x1
	scratch_load_b128 v[1:4], off, off offset:320
	scratch_load_b128 v[9:12], off, off offset:336
	s_wait_loadcnt_dscnt 0x100
	v_mul_f32_e32 v169, v5, v2
	v_dual_mul_f32 v2, v6, v2 :: v_dual_mul_f32 v171, v7, v4
	s_delay_alu instid0(VALU_DEP_2) | instskip(NEXT) | instid1(VALU_DEP_2)
	v_fmac_f32_e32 v169, v6, v1
	v_fma_f32 v170, v5, v1, -v2
	v_mul_f32_e32 v1, v8, v4
	s_delay_alu instid0(VALU_DEP_4) | instskip(NEXT) | instid1(VALU_DEP_2)
	v_fmac_f32_e32 v171, v8, v3
	v_fma_f32 v172, v7, v3, -v1
	ds_load_b128 v[1:4], v21 offset:800
	ds_load_b128 v[5:8], v21 offset:816
	s_wait_loadcnt_dscnt 0x1
	v_mul_f32_e32 v173, v1, v10
	v_mul_f32_e32 v175, v3, v12
	s_delay_alu instid0(VALU_DEP_2) | instskip(NEXT) | instid1(VALU_DEP_2)
	v_fmac_f32_e32 v173, v2, v9
	v_dual_mul_f32 v2, v2, v10 :: v_dual_fmac_f32 v175, v4, v11
	s_delay_alu instid0(VALU_DEP_1) | instskip(SKIP_1) | instid1(VALU_DEP_1)
	v_fma_f32 v174, v1, v9, -v2
	v_mul_f32_e32 v1, v4, v12
	;; [unrolled: 25-line block ×3, first 2 shown]
	v_fma_f32 v184, v3, v11, -v1
	s_clause 0x1
	scratch_load_b128 v[1:4], off, off offset:384
	scratch_load_b128 v[9:12], off, off offset:400
	s_wait_loadcnt_dscnt 0x100
	v_mul_f32_e32 v185, v5, v2
	v_mul_f32_e32 v2, v6, v2
	s_delay_alu instid0(VALU_DEP_1) | instskip(SKIP_1) | instid1(VALU_DEP_1)
	v_fma_f32 v186, v5, v1, -v2
	v_add_f32_e32 v2, 0, v154
	v_add_f32_e32 v2, v2, v155
	s_delay_alu instid0(VALU_DEP_1) | instskip(NEXT) | instid1(VALU_DEP_1)
	v_add_f32_e32 v2, v2, v24
	v_add_f32_e32 v2, v2, v25
	s_delay_alu instid0(VALU_DEP_1) | instskip(NEXT) | instid1(VALU_DEP_1)
	;; [unrolled: 3-line block ×3, first 2 shown]
	v_add_f32_e32 v2, v2, v148
	v_dual_add_f32 v2, v2, v149 :: v_dual_mul_f32 v187, v7, v4
	s_delay_alu instid0(VALU_DEP_1) | instskip(NEXT) | instid1(VALU_DEP_1)
	v_add_f32_e32 v2, v2, v15
	v_dual_fmac_f32 v187, v8, v3 :: v_dual_add_f32 v2, v2, v18
	s_delay_alu instid0(VALU_DEP_1) | instskip(NEXT) | instid1(VALU_DEP_1)
	v_add_f32_e32 v2, v2, v19
	v_add_f32_e32 v2, v2, v20
	s_delay_alu instid0(VALU_DEP_1) | instskip(NEXT) | instid1(VALU_DEP_1)
	v_add_f32_e32 v5, v2, v157
	v_add_f32_e32 v5, v5, v158
	s_delay_alu instid0(VALU_DEP_1) | instskip(SKIP_2) | instid1(VALU_DEP_1)
	v_add_f32_e32 v5, v5, v161
	v_fmac_f32_e32 v185, v6, v1
	v_mul_f32_e32 v1, v8, v4
	v_fma_f32 v188, v7, v3, -v1
	v_add_f32_e32 v1, 0, v22
	s_delay_alu instid0(VALU_DEP_1) | instskip(NEXT) | instid1(VALU_DEP_1)
	v_add_f32_e32 v1, v1, v23
	v_add_f32_e32 v1, v1, v26
	s_delay_alu instid0(VALU_DEP_1) | instskip(NEXT) | instid1(VALU_DEP_1)
	v_add_f32_e32 v1, v1, v27
	;; [unrolled: 3-line block ×3, first 2 shown]
	v_add_f32_e32 v1, v1, v13
	s_delay_alu instid0(VALU_DEP_1) | instskip(SKIP_1) | instid1(VALU_DEP_1)
	v_add_f32_e32 v1, v1, v14
	v_add_f32_e32 v14, v5, v163
	v_dual_add_f32 v1, v1, v16 :: v_dual_add_f32 v14, v14, v165
	s_delay_alu instid0(VALU_DEP_1) | instskip(NEXT) | instid1(VALU_DEP_1)
	v_dual_add_f32 v1, v1, v17 :: v_dual_add_f32 v14, v14, v167
	v_add_f32_e32 v17, v14, v169
	s_delay_alu instid0(VALU_DEP_1) | instskip(NEXT) | instid1(VALU_DEP_1)
	v_add_f32_e32 v17, v17, v171
	v_add_f32_e32 v17, v17, v173
	s_delay_alu instid0(VALU_DEP_1) | instskip(NEXT) | instid1(VALU_DEP_1)
	v_add_f32_e32 v17, v17, v175
	v_add_f32_e32 v23, v17, v177
	s_delay_alu instid0(VALU_DEP_1) | instskip(NEXT) | instid1(VALU_DEP_1)
	v_dual_add_f32 v1, v1, v150 :: v_dual_add_f32 v30, v23, v179
	v_add_f32_e32 v1, v1, v151
	s_delay_alu instid0(VALU_DEP_1) | instskip(NEXT) | instid1(VALU_DEP_1)
	v_add_f32_e32 v1, v1, v159
	v_add_f32_e32 v6, v1, v160
	ds_load_b128 v[1:4], v21 offset:864
	v_add_f32_e32 v30, v30, v181
	v_add_f32_e32 v6, v6, v162
	s_delay_alu instid0(VALU_DEP_2) | instskip(NEXT) | instid1(VALU_DEP_2)
	v_add_f32_e32 v30, v30, v183
	v_add_f32_e32 v13, v6, v164
	ds_load_b128 v[5:8], v21 offset:880
	v_add_f32_e32 v30, v30, v185
	s_wait_loadcnt_dscnt 0x1
	s_delay_alu instid0(VALU_DEP_1) | instskip(SKIP_2) | instid1(VALU_DEP_3)
	v_dual_add_f32 v30, v30, v187 :: v_dual_mul_f32 v25, v1, v10
	v_mul_f32_e32 v26, v3, v12
	v_mul_f32_e32 v10, v2, v10
	v_dual_mul_f32 v12, v4, v12 :: v_dual_fmac_f32 v25, v2, v9
	s_delay_alu instid0(VALU_DEP_3) | instskip(NEXT) | instid1(VALU_DEP_3)
	v_fmac_f32_e32 v26, v4, v11
	v_fma_f32 v27, v1, v9, -v10
	s_delay_alu instid0(VALU_DEP_3)
	v_fma_f32 v28, v3, v11, -v12
	s_clause 0x1
	scratch_load_b128 v[1:4], off, off offset:416
	scratch_load_b128 v[9:12], off, off offset:432
	s_wait_loadcnt_dscnt 0x100
	v_mul_f32_e32 v148, v5, v2
	v_add_f32_e32 v13, v13, v166
	v_dual_mul_f32 v2, v6, v2 :: v_dual_mul_f32 v149, v7, v4
	v_mul_f32_e32 v4, v8, v4
	s_delay_alu instid0(VALU_DEP_3) | instskip(NEXT) | instid1(VALU_DEP_3)
	v_dual_fmac_f32 v148, v6, v1 :: v_dual_add_f32 v13, v13, v168
	v_fma_f32 v2, v5, v1, -v2
	s_delay_alu instid0(VALU_DEP_4) | instskip(NEXT) | instid1(VALU_DEP_4)
	v_fmac_f32_e32 v149, v8, v3
	v_fma_f32 v3, v7, v3, -v4
	s_delay_alu instid0(VALU_DEP_4) | instskip(NEXT) | instid1(VALU_DEP_1)
	v_add_f32_e32 v13, v13, v170
	v_add_f32_e32 v18, v13, v172
	scratch_load_b128 v[13:16], off, off offset:448
	v_add_f32_e32 v18, v18, v174
	s_delay_alu instid0(VALU_DEP_1) | instskip(NEXT) | instid1(VALU_DEP_1)
	v_add_f32_e32 v18, v18, v176
	v_add_f32_e32 v22, v18, v178
	ds_load_b128 v[17:20], v21 offset:896
	v_add_f32_e32 v29, v22, v180
	ds_load_b128 v[21:24], v21 offset:912
	s_wait_loadcnt_dscnt 0x101
	v_mul_f32_e32 v150, v17, v10
	v_add_f32_e32 v29, v29, v182
	v_add_f32_e32 v25, v30, v25
	v_mul_f32_e32 v6, v18, v10
	v_mul_f32_e32 v4, v20, v12
	s_delay_alu instid0(VALU_DEP_4) | instskip(NEXT) | instid1(VALU_DEP_4)
	v_dual_fmac_f32 v150, v18, v9 :: v_dual_add_f32 v29, v29, v184
	v_add_f32_e32 v5, v25, v26
	s_delay_alu instid0(VALU_DEP_3) | instskip(SKIP_2) | instid1(VALU_DEP_1)
	v_fma_f32 v4, v19, v11, -v4
	s_wait_loadcnt_dscnt 0x0
	v_mul_f32_e32 v154, v21, v14
	v_dual_add_f32 v29, v29, v186 :: v_dual_fmac_f32 v154, v22, v13
	s_delay_alu instid0(VALU_DEP_1) | instskip(SKIP_1) | instid1(VALU_DEP_2)
	v_add_f32_e32 v29, v29, v188
	v_mul_f32_e32 v151, v19, v12
	v_add_f32_e32 v27, v29, v27
	s_delay_alu instid0(VALU_DEP_2) | instskip(SKIP_1) | instid1(VALU_DEP_3)
	v_fmac_f32_e32 v151, v20, v11
	v_mul_f32_e32 v29, v23, v16
	v_add_f32_e32 v1, v27, v28
	s_delay_alu instid0(VALU_DEP_2) | instskip(NEXT) | instid1(VALU_DEP_2)
	v_fmac_f32_e32 v29, v24, v15
	v_add_f32_e32 v1, v1, v2
	v_add_f32_e32 v2, v5, v148
	v_fma_f32 v5, v17, v9, -v6
	s_delay_alu instid0(VALU_DEP_2) | instskip(SKIP_1) | instid1(VALU_DEP_2)
	v_dual_add_f32 v1, v1, v3 :: v_dual_add_f32 v2, v2, v149
	v_mul_f32_e32 v3, v22, v14
	v_dual_add_f32 v1, v1, v5 :: v_dual_add_f32 v2, v2, v150
	v_mul_f32_e32 v5, v24, v16
	s_delay_alu instid0(VALU_DEP_3) | instskip(NEXT) | instid1(VALU_DEP_3)
	v_fma_f32 v3, v21, v13, -v3
	v_dual_add_f32 v1, v1, v4 :: v_dual_add_f32 v2, v2, v151
	s_delay_alu instid0(VALU_DEP_3) | instskip(NEXT) | instid1(VALU_DEP_2)
	v_fma_f32 v4, v23, v15, -v5
	v_dual_add_f32 v1, v1, v3 :: v_dual_add_f32 v2, v2, v154
	s_delay_alu instid0(VALU_DEP_1) | instskip(NEXT) | instid1(VALU_DEP_1)
	v_dual_add_f32 v1, v1, v4 :: v_dual_add_f32 v2, v2, v29
	v_dual_sub_f32 v1, v152, v1 :: v_dual_sub_f32 v2, v153, v2
	scratch_store_b64 off, v[1:2], off offset:168
	v_cmpx_lt_u32_e32 20, v0
	s_cbranch_execz .LBB121_321
; %bb.320:
	scratch_load_b64 v[1:2], off, off offset:160
	v_mov_b32_e32 v3, 0
	s_delay_alu instid0(VALU_DEP_1)
	v_mov_b32_e32 v4, v3
	scratch_store_b64 off, v[3:4], off offset:160
	s_wait_loadcnt 0x0
	ds_store_b64 v31, v[1:2]
.LBB121_321:
	s_wait_alu 0xfffe
	s_or_b32 exec_lo, exec_lo, s0
	s_wait_storecnt_dscnt 0x0
	s_barrier_signal -1
	s_barrier_wait -1
	global_inv scope:SCOPE_SE
	s_clause 0x4
	scratch_load_b128 v[5:8], off, off offset:168
	scratch_load_b128 v[1:4], off, off offset:184
	;; [unrolled: 1-line block ×5, first 2 shown]
	v_mov_b32_e32 v21, 0
	ds_load_2addr_b64 v[22:25], v21 offset0:79 offset1:80
	ds_load_2addr_b64 v[26:29], v21 offset0:81 offset1:82
	;; [unrolled: 1-line block ×3, first 2 shown]
	scratch_load_b64 v[152:153], off, off offset:160
	s_mov_b32 s0, exec_lo
	s_wait_loadcnt_dscnt 0x502
	v_mul_f32_e32 v30, v23, v6
	v_dual_mul_f32 v154, v22, v6 :: v_dual_mul_f32 v155, v24, v8
	v_mul_f32_e32 v6, v25, v8
	s_wait_loadcnt_dscnt 0x300
	v_mul_f32_e32 v156, v150, v12
	v_fma_f32 v22, v22, v5, -v30
	v_dual_fmac_f32 v154, v23, v5 :: v_dual_fmac_f32 v155, v25, v7
	v_fma_f32 v23, v24, v7, -v6
	v_dual_mul_f32 v24, v26, v2 :: v_dual_mul_f32 v25, v28, v4
	v_mul_f32_e32 v2, v27, v2
	v_mul_f32_e32 v4, v29, v4
	ds_load_2addr_b64 v[5:8], v21 offset0:85 offset1:86
	v_mul_f32_e32 v30, v148, v10
	v_dual_fmac_f32 v24, v27, v1 :: v_dual_fmac_f32 v25, v29, v3
	v_fma_f32 v26, v26, v1, -v2
	v_fma_f32 v27, v28, v3, -v4
	v_mul_f32_e32 v12, v151, v12
	scratch_load_b128 v[1:4], off, off offset:248
	v_mul_f32_e32 v10, v149, v10
	v_fmac_f32_e32 v30, v149, v9
	v_fmac_f32_e32 v156, v151, v11
	v_fma_f32 v29, v150, v11, -v12
	s_delay_alu instid0(VALU_DEP_4)
	v_fma_f32 v28, v148, v9, -v10
	ds_load_2addr_b64 v[9:12], v21 offset0:87 offset1:88
	s_wait_loadcnt_dscnt 0x301
	v_mul_f32_e32 v148, v5, v14
	v_dual_mul_f32 v14, v6, v14 :: v_dual_mul_f32 v149, v7, v16
	v_mul_f32_e32 v16, v8, v16
	s_delay_alu instid0(VALU_DEP_3) | instskip(NEXT) | instid1(VALU_DEP_3)
	v_fmac_f32_e32 v148, v6, v13
	v_fma_f32 v13, v5, v13, -v14
	s_delay_alu instid0(VALU_DEP_4) | instskip(NEXT) | instid1(VALU_DEP_4)
	v_fmac_f32_e32 v149, v8, v15
	v_fma_f32 v14, v7, v15, -v16
	ds_load_2addr_b64 v[5:8], v21 offset0:89 offset1:90
	s_wait_loadcnt_dscnt 0x201
	v_mul_f32_e32 v15, v9, v18
	v_mul_f32_e32 v16, v10, v18
	;; [unrolled: 1-line block ×3, first 2 shown]
	s_delay_alu instid0(VALU_DEP_3) | instskip(NEXT) | instid1(VALU_DEP_3)
	v_dual_mul_f32 v20, v12, v20 :: v_dual_fmac_f32 v15, v10, v17
	v_fma_f32 v16, v9, v17, -v16
	s_delay_alu instid0(VALU_DEP_3) | instskip(NEXT) | instid1(VALU_DEP_3)
	v_fmac_f32_e32 v18, v12, v19
	v_fma_f32 v17, v11, v19, -v20
	scratch_load_b128 v[9:12], off, off offset:264
	s_wait_loadcnt_dscnt 0x100
	v_mul_f32_e32 v19, v5, v2
	v_mul_f32_e32 v2, v6, v2
	;; [unrolled: 1-line block ×3, first 2 shown]
	s_delay_alu instid0(VALU_DEP_3) | instskip(NEXT) | instid1(VALU_DEP_3)
	v_dual_mul_f32 v4, v8, v4 :: v_dual_fmac_f32 v19, v6, v1
	v_fma_f32 v150, v5, v1, -v2
	s_delay_alu instid0(VALU_DEP_3) | instskip(NEXT) | instid1(VALU_DEP_3)
	v_fmac_f32_e32 v20, v8, v3
	v_fma_f32 v151, v7, v3, -v4
	ds_load_2addr_b64 v[1:4], v21 offset0:91 offset1:92
	ds_load_2addr_b64 v[5:8], v21 offset0:93 offset1:94
	s_wait_loadcnt_dscnt 0x1
	v_mul_f32_e32 v157, v1, v10
	v_mul_f32_e32 v10, v2, v10
	s_delay_alu instid0(VALU_DEP_2) | instskip(NEXT) | instid1(VALU_DEP_2)
	v_dual_mul_f32 v158, v3, v12 :: v_dual_fmac_f32 v157, v2, v9
	v_fma_f32 v159, v1, v9, -v10
	v_mul_f32_e32 v1, v4, v12
	s_delay_alu instid0(VALU_DEP_3) | instskip(NEXT) | instid1(VALU_DEP_2)
	v_fmac_f32_e32 v158, v4, v11
	v_fma_f32 v160, v3, v11, -v1
	s_clause 0x1
	scratch_load_b128 v[1:4], off, off offset:280
	scratch_load_b128 v[9:12], off, off offset:296
	s_wait_loadcnt_dscnt 0x100
	v_mul_f32_e32 v161, v5, v2
	v_dual_mul_f32 v2, v6, v2 :: v_dual_mul_f32 v163, v7, v4
	s_delay_alu instid0(VALU_DEP_2) | instskip(NEXT) | instid1(VALU_DEP_2)
	v_fmac_f32_e32 v161, v6, v1
	v_fma_f32 v162, v5, v1, -v2
	v_mul_f32_e32 v1, v8, v4
	s_delay_alu instid0(VALU_DEP_4) | instskip(NEXT) | instid1(VALU_DEP_2)
	v_fmac_f32_e32 v163, v8, v3
	v_fma_f32 v164, v7, v3, -v1
	ds_load_2addr_b64 v[1:4], v21 offset0:95 offset1:96
	ds_load_2addr_b64 v[5:8], v21 offset0:97 offset1:98
	s_wait_loadcnt_dscnt 0x1
	v_mul_f32_e32 v165, v1, v10
	v_mul_f32_e32 v167, v3, v12
	s_delay_alu instid0(VALU_DEP_2) | instskip(NEXT) | instid1(VALU_DEP_2)
	v_fmac_f32_e32 v165, v2, v9
	v_dual_mul_f32 v2, v2, v10 :: v_dual_fmac_f32 v167, v4, v11
	s_delay_alu instid0(VALU_DEP_1) | instskip(SKIP_1) | instid1(VALU_DEP_1)
	v_fma_f32 v166, v1, v9, -v2
	v_mul_f32_e32 v1, v4, v12
	v_fma_f32 v168, v3, v11, -v1
	s_clause 0x1
	scratch_load_b128 v[1:4], off, off offset:312
	scratch_load_b128 v[9:12], off, off offset:328
	s_wait_loadcnt_dscnt 0x100
	v_mul_f32_e32 v169, v5, v2
	v_dual_mul_f32 v2, v6, v2 :: v_dual_mul_f32 v171, v7, v4
	s_delay_alu instid0(VALU_DEP_2) | instskip(NEXT) | instid1(VALU_DEP_2)
	v_fmac_f32_e32 v169, v6, v1
	v_fma_f32 v170, v5, v1, -v2
	v_mul_f32_e32 v1, v8, v4
	s_delay_alu instid0(VALU_DEP_4) | instskip(NEXT) | instid1(VALU_DEP_2)
	v_fmac_f32_e32 v171, v8, v3
	v_fma_f32 v172, v7, v3, -v1
	ds_load_2addr_b64 v[1:4], v21 offset0:99 offset1:100
	ds_load_2addr_b64 v[5:8], v21 offset0:101 offset1:102
	s_wait_loadcnt_dscnt 0x1
	v_mul_f32_e32 v173, v1, v10
	v_mul_f32_e32 v175, v3, v12
	s_delay_alu instid0(VALU_DEP_2) | instskip(NEXT) | instid1(VALU_DEP_2)
	v_fmac_f32_e32 v173, v2, v9
	v_dual_mul_f32 v2, v2, v10 :: v_dual_fmac_f32 v175, v4, v11
	s_delay_alu instid0(VALU_DEP_1) | instskip(SKIP_1) | instid1(VALU_DEP_1)
	v_fma_f32 v174, v1, v9, -v2
	v_mul_f32_e32 v1, v4, v12
	;; [unrolled: 25-line block ×3, first 2 shown]
	v_fma_f32 v184, v3, v11, -v1
	s_clause 0x1
	scratch_load_b128 v[1:4], off, off offset:376
	scratch_load_b128 v[9:12], off, off offset:392
	s_wait_loadcnt_dscnt 0x100
	v_mul_f32_e32 v185, v5, v2
	v_mul_f32_e32 v2, v6, v2
	s_delay_alu instid0(VALU_DEP_1) | instskip(SKIP_1) | instid1(VALU_DEP_1)
	v_fma_f32 v186, v5, v1, -v2
	v_add_f32_e32 v2, 0, v154
	v_add_f32_e32 v2, v2, v155
	s_delay_alu instid0(VALU_DEP_1) | instskip(NEXT) | instid1(VALU_DEP_1)
	v_add_f32_e32 v2, v2, v24
	v_add_f32_e32 v2, v2, v25
	s_delay_alu instid0(VALU_DEP_1) | instskip(NEXT) | instid1(VALU_DEP_1)
	v_add_f32_e32 v2, v2, v30
	v_add_f32_e32 v2, v2, v156
	v_fmac_f32_e32 v185, v6, v1
	s_delay_alu instid0(VALU_DEP_2) | instskip(NEXT) | instid1(VALU_DEP_1)
	v_add_f32_e32 v2, v2, v148
	v_dual_add_f32 v2, v2, v149 :: v_dual_mul_f32 v187, v7, v4
	s_delay_alu instid0(VALU_DEP_1) | instskip(NEXT) | instid1(VALU_DEP_1)
	v_add_f32_e32 v2, v2, v15
	v_dual_fmac_f32 v187, v8, v3 :: v_dual_add_f32 v2, v2, v18
	s_delay_alu instid0(VALU_DEP_1) | instskip(NEXT) | instid1(VALU_DEP_1)
	v_dual_mul_f32 v1, v8, v4 :: v_dual_add_f32 v2, v2, v19
	v_fma_f32 v188, v7, v3, -v1
	s_delay_alu instid0(VALU_DEP_2) | instskip(NEXT) | instid1(VALU_DEP_1)
	v_dual_add_f32 v1, 0, v22 :: v_dual_add_f32 v2, v2, v20
	v_add_f32_e32 v1, v1, v23
	s_delay_alu instid0(VALU_DEP_2) | instskip(NEXT) | instid1(VALU_DEP_2)
	v_add_f32_e32 v5, v2, v157
	v_add_f32_e32 v1, v1, v26
	s_delay_alu instid0(VALU_DEP_2) | instskip(NEXT) | instid1(VALU_DEP_2)
	v_add_f32_e32 v5, v5, v158
	v_add_f32_e32 v1, v1, v27
	scratch_load_b64 v[26:27], off, off offset:456
	v_add_f32_e32 v5, v5, v161
	v_add_f32_e32 v1, v1, v28
	s_delay_alu instid0(VALU_DEP_1) | instskip(NEXT) | instid1(VALU_DEP_1)
	v_add_f32_e32 v1, v1, v29
	v_add_f32_e32 v1, v1, v13
	s_delay_alu instid0(VALU_DEP_1) | instskip(SKIP_1) | instid1(VALU_DEP_1)
	v_add_f32_e32 v1, v1, v14
	v_add_f32_e32 v14, v5, v163
	v_dual_add_f32 v1, v1, v16 :: v_dual_add_f32 v14, v14, v165
	s_delay_alu instid0(VALU_DEP_1) | instskip(NEXT) | instid1(VALU_DEP_1)
	v_dual_add_f32 v1, v1, v17 :: v_dual_add_f32 v14, v14, v167
	v_add_f32_e32 v1, v1, v150
	s_delay_alu instid0(VALU_DEP_2) | instskip(NEXT) | instid1(VALU_DEP_2)
	v_add_f32_e32 v17, v14, v169
	v_add_f32_e32 v1, v1, v151
	s_delay_alu instid0(VALU_DEP_2) | instskip(NEXT) | instid1(VALU_DEP_2)
	v_add_f32_e32 v17, v17, v171
	;; [unrolled: 3-line block ×3, first 2 shown]
	v_add_f32_e32 v6, v1, v160
	ds_load_2addr_b64 v[1:4], v21 offset0:107 offset1:108
	v_dual_add_f32 v17, v17, v175 :: v_dual_add_f32 v6, v6, v162
	s_delay_alu instid0(VALU_DEP_1) | instskip(NEXT) | instid1(VALU_DEP_2)
	v_add_f32_e32 v17, v17, v177
	v_add_f32_e32 v13, v6, v164
	ds_load_2addr_b64 v[5:8], v21 offset0:109 offset1:110
	v_add_f32_e32 v22, v17, v179
	s_delay_alu instid0(VALU_DEP_1)
	v_add_f32_e32 v29, v22, v181
	ds_load_2addr_b64 v[22:25], v21 offset0:113 offset1:114
	s_wait_loadcnt_dscnt 0x102
	v_mul_f32_e32 v30, v1, v10
	v_mul_f32_e32 v10, v2, v10
	;; [unrolled: 1-line block ×4, first 2 shown]
	v_add_f32_e32 v154, v29, v183
	v_fmac_f32_e32 v30, v2, v9
	v_fma_f32 v149, v1, v9, -v10
	v_fmac_f32_e32 v148, v4, v11
	v_fma_f32 v150, v3, v11, -v12
	s_clause 0x1
	scratch_load_b128 v[1:4], off, off offset:408
	scratch_load_b128 v[9:12], off, off offset:424
	v_dual_add_f32 v13, v13, v166 :: v_dual_add_f32 v154, v154, v185
	s_delay_alu instid0(VALU_DEP_1) | instskip(NEXT) | instid1(VALU_DEP_1)
	v_dual_add_f32 v13, v13, v168 :: v_dual_add_f32 v154, v154, v187
	v_add_f32_e32 v30, v154, v30
	s_wait_loadcnt_dscnt 0x101
	s_delay_alu instid0(VALU_DEP_1) | instskip(SKIP_3) | instid1(VALU_DEP_3)
	v_dual_add_f32 v30, v30, v148 :: v_dual_mul_f32 v155, v5, v2
	v_mul_f32_e32 v2, v6, v2
	v_dual_add_f32 v13, v13, v170 :: v_dual_mul_f32 v156, v7, v4
	v_mul_f32_e32 v4, v8, v4
	v_fma_f32 v2, v5, v1, -v2
	s_delay_alu instid0(VALU_DEP_3) | instskip(SKIP_3) | instid1(VALU_DEP_1)
	v_add_f32_e32 v18, v13, v172
	scratch_load_b128 v[13:16], off, off offset:440
	v_fmac_f32_e32 v156, v8, v3
	v_add_f32_e32 v18, v18, v174
	v_add_f32_e32 v18, v18, v176
	s_delay_alu instid0(VALU_DEP_1) | instskip(NEXT) | instid1(VALU_DEP_1)
	v_add_f32_e32 v18, v18, v178
	v_add_f32_e32 v18, v18, v180
	s_delay_alu instid0(VALU_DEP_1) | instskip(SKIP_4) | instid1(VALU_DEP_1)
	v_add_f32_e32 v28, v18, v182
	ds_load_2addr_b64 v[17:20], v21 offset0:111 offset1:112
	v_add_f32_e32 v151, v28, v184
	ds_load_b64 v[28:29], v21 offset:920
	v_add_f32_e32 v151, v151, v186
	v_add_f32_e32 v151, v151, v188
	s_wait_loadcnt_dscnt 0x101
	v_mul_f32_e32 v154, v19, v12
	s_wait_dscnt 0x0
	v_dual_mul_f32 v148, v28, v27 :: v_dual_fmac_f32 v155, v6, v1
	v_add_f32_e32 v149, v151, v149
	v_fma_f32 v1, v7, v3, -v4
	v_fmac_f32_e32 v154, v20, v11
	s_delay_alu instid0(VALU_DEP_4) | instskip(NEXT) | instid1(VALU_DEP_4)
	v_fmac_f32_e32 v148, v29, v26
	v_dual_add_f32 v4, v30, v155 :: v_dual_add_f32 v149, v149, v150
	v_mul_f32_e32 v151, v17, v10
	s_delay_alu instid0(VALU_DEP_2) | instskip(NEXT) | instid1(VALU_DEP_1)
	v_add_f32_e32 v2, v149, v2
	v_dual_add_f32 v1, v2, v1 :: v_dual_add_f32 v2, v4, v156
	s_delay_alu instid0(VALU_DEP_3) | instskip(NEXT) | instid1(VALU_DEP_1)
	v_fmac_f32_e32 v151, v18, v9
	v_dual_add_f32 v2, v2, v151 :: v_dual_mul_f32 v5, v20, v12
	s_delay_alu instid0(VALU_DEP_1) | instskip(NEXT) | instid1(VALU_DEP_2)
	v_add_f32_e32 v2, v2, v154
	v_fma_f32 v5, v19, v11, -v5
	s_wait_loadcnt 0x0
	v_dual_mul_f32 v157, v22, v14 :: v_dual_mul_f32 v150, v24, v16
	v_mul_f32_e32 v3, v18, v10
	v_mul_f32_e32 v4, v23, v14
	s_delay_alu instid0(VALU_DEP_3) | instskip(NEXT) | instid1(VALU_DEP_3)
	v_dual_fmac_f32 v150, v25, v15 :: v_dual_fmac_f32 v157, v23, v13
	v_fma_f32 v3, v17, v9, -v3
	s_delay_alu instid0(VALU_DEP_3) | instskip(NEXT) | instid1(VALU_DEP_3)
	v_fma_f32 v4, v22, v13, -v4
	v_add_f32_e32 v2, v2, v157
	s_delay_alu instid0(VALU_DEP_1) | instskip(NEXT) | instid1(VALU_DEP_1)
	v_add_f32_e32 v2, v2, v150
	v_add_f32_e32 v2, v2, v148
	s_delay_alu instid0(VALU_DEP_1) | instskip(SKIP_2) | instid1(VALU_DEP_2)
	v_sub_f32_e32 v2, v153, v2
	v_add_f32_e32 v1, v1, v3
	v_mul_f32_e32 v3, v25, v16
	v_add_f32_e32 v1, v1, v5
	v_mul_f32_e32 v5, v29, v27
	s_delay_alu instid0(VALU_DEP_3) | instskip(NEXT) | instid1(VALU_DEP_3)
	v_fma_f32 v3, v24, v15, -v3
	v_add_f32_e32 v1, v1, v4
	s_delay_alu instid0(VALU_DEP_3) | instskip(NEXT) | instid1(VALU_DEP_2)
	v_fma_f32 v4, v28, v26, -v5
	v_add_f32_e32 v1, v1, v3
	s_delay_alu instid0(VALU_DEP_1) | instskip(NEXT) | instid1(VALU_DEP_1)
	v_add_f32_e32 v1, v1, v4
	v_sub_f32_e32 v1, v152, v1
	scratch_store_b64 off, v[1:2], off offset:160
	v_cmpx_lt_u32_e32 19, v0
	s_cbranch_execz .LBB121_323
; %bb.322:
	scratch_load_b64 v[1:2], off, off offset:152
	v_mov_b32_e32 v22, v21
	scratch_store_b64 off, v[21:22], off offset:152
	s_wait_loadcnt 0x0
	ds_store_b64 v31, v[1:2]
.LBB121_323:
	s_wait_alu 0xfffe
	s_or_b32 exec_lo, exec_lo, s0
	s_wait_storecnt_dscnt 0x0
	s_barrier_signal -1
	s_barrier_wait -1
	global_inv scope:SCOPE_SE
	s_clause 0x4
	scratch_load_b128 v[5:8], off, off offset:160
	scratch_load_b128 v[1:4], off, off offset:176
	;; [unrolled: 1-line block ×5, first 2 shown]
	ds_load_b128 v[22:25], v21 offset:624
	ds_load_b128 v[26:29], v21 offset:640
	;; [unrolled: 1-line block ×3, first 2 shown]
	scratch_load_b64 v[152:153], off, off offset:152
	s_mov_b32 s0, exec_lo
	s_wait_loadcnt_dscnt 0x502
	v_dual_mul_f32 v30, v23, v6 :: v_dual_mul_f32 v155, v24, v8
	v_mul_f32_e32 v154, v22, v6
	v_mul_f32_e32 v6, v25, v8
	s_wait_loadcnt_dscnt 0x300
	v_mul_f32_e32 v156, v150, v12
	v_fma_f32 v22, v22, v5, -v30
	v_dual_fmac_f32 v155, v25, v7 :: v_dual_fmac_f32 v154, v23, v5
	v_mul_f32_e32 v25, v28, v4
	v_fma_f32 v23, v24, v7, -v6
	ds_load_b128 v[5:8], v21 offset:672
	v_mul_f32_e32 v24, v26, v2
	v_mul_f32_e32 v4, v29, v4
	;; [unrolled: 1-line block ×5, first 2 shown]
	v_dual_mul_f32 v2, v27, v2 :: v_dual_fmac_f32 v25, v29, v3
	v_fmac_f32_e32 v24, v27, v1
	v_fma_f32 v27, v28, v3, -v4
	v_fmac_f32_e32 v30, v149, v9
	v_fma_f32 v28, v148, v9, -v10
	v_fmac_f32_e32 v156, v151, v11
	v_fma_f32 v29, v150, v11, -v12
	ds_load_b128 v[9:12], v21 offset:688
	s_wait_loadcnt_dscnt 0x201
	v_mul_f32_e32 v148, v5, v14
	v_dual_mul_f32 v14, v6, v14 :: v_dual_mul_f32 v149, v7, v16
	v_mul_f32_e32 v16, v8, v16
	s_delay_alu instid0(VALU_DEP_3) | instskip(NEXT) | instid1(VALU_DEP_3)
	v_fmac_f32_e32 v148, v6, v13
	v_fma_f32 v13, v5, v13, -v14
	s_delay_alu instid0(VALU_DEP_4) | instskip(NEXT) | instid1(VALU_DEP_4)
	v_fmac_f32_e32 v149, v8, v15
	v_fma_f32 v14, v7, v15, -v16
	ds_load_b128 v[5:8], v21 offset:704
	s_wait_loadcnt_dscnt 0x101
	v_mul_f32_e32 v15, v9, v18
	v_mul_f32_e32 v16, v10, v18
	;; [unrolled: 1-line block ×3, first 2 shown]
	s_delay_alu instid0(VALU_DEP_3)
	v_dual_mul_f32 v20, v12, v20 :: v_dual_fmac_f32 v15, v10, v17
	v_fma_f32 v26, v26, v1, -v2
	scratch_load_b128 v[1:4], off, off offset:240
	v_fma_f32 v16, v9, v17, -v16
	v_fmac_f32_e32 v18, v12, v19
	v_fma_f32 v17, v11, v19, -v20
	scratch_load_b128 v[9:12], off, off offset:256
	s_wait_loadcnt_dscnt 0x100
	v_mul_f32_e32 v19, v5, v2
	v_mul_f32_e32 v2, v6, v2
	;; [unrolled: 1-line block ×3, first 2 shown]
	s_delay_alu instid0(VALU_DEP_3) | instskip(NEXT) | instid1(VALU_DEP_3)
	v_dual_mul_f32 v4, v8, v4 :: v_dual_fmac_f32 v19, v6, v1
	v_fma_f32 v150, v5, v1, -v2
	s_delay_alu instid0(VALU_DEP_3) | instskip(NEXT) | instid1(VALU_DEP_3)
	v_fmac_f32_e32 v20, v8, v3
	v_fma_f32 v151, v7, v3, -v4
	ds_load_b128 v[1:4], v21 offset:720
	ds_load_b128 v[5:8], v21 offset:736
	s_wait_loadcnt_dscnt 0x1
	v_mul_f32_e32 v157, v1, v10
	v_mul_f32_e32 v10, v2, v10
	s_delay_alu instid0(VALU_DEP_2) | instskip(NEXT) | instid1(VALU_DEP_2)
	v_dual_mul_f32 v158, v3, v12 :: v_dual_fmac_f32 v157, v2, v9
	v_fma_f32 v159, v1, v9, -v10
	v_mul_f32_e32 v1, v4, v12
	s_delay_alu instid0(VALU_DEP_3) | instskip(NEXT) | instid1(VALU_DEP_2)
	v_fmac_f32_e32 v158, v4, v11
	v_fma_f32 v160, v3, v11, -v1
	s_clause 0x1
	scratch_load_b128 v[1:4], off, off offset:272
	scratch_load_b128 v[9:12], off, off offset:288
	s_wait_loadcnt_dscnt 0x100
	v_mul_f32_e32 v161, v5, v2
	v_dual_mul_f32 v2, v6, v2 :: v_dual_mul_f32 v163, v7, v4
	s_delay_alu instid0(VALU_DEP_2) | instskip(NEXT) | instid1(VALU_DEP_2)
	v_fmac_f32_e32 v161, v6, v1
	v_fma_f32 v162, v5, v1, -v2
	v_mul_f32_e32 v1, v8, v4
	s_delay_alu instid0(VALU_DEP_4) | instskip(NEXT) | instid1(VALU_DEP_2)
	v_fmac_f32_e32 v163, v8, v3
	v_fma_f32 v164, v7, v3, -v1
	ds_load_b128 v[1:4], v21 offset:752
	ds_load_b128 v[5:8], v21 offset:768
	s_wait_loadcnt_dscnt 0x1
	v_mul_f32_e32 v165, v1, v10
	v_mul_f32_e32 v167, v3, v12
	s_delay_alu instid0(VALU_DEP_2) | instskip(NEXT) | instid1(VALU_DEP_2)
	v_fmac_f32_e32 v165, v2, v9
	v_dual_mul_f32 v2, v2, v10 :: v_dual_fmac_f32 v167, v4, v11
	s_delay_alu instid0(VALU_DEP_1) | instskip(SKIP_1) | instid1(VALU_DEP_1)
	v_fma_f32 v166, v1, v9, -v2
	v_mul_f32_e32 v1, v4, v12
	v_fma_f32 v168, v3, v11, -v1
	s_clause 0x1
	scratch_load_b128 v[1:4], off, off offset:304
	scratch_load_b128 v[9:12], off, off offset:320
	s_wait_loadcnt_dscnt 0x100
	v_mul_f32_e32 v169, v5, v2
	v_dual_mul_f32 v2, v6, v2 :: v_dual_mul_f32 v171, v7, v4
	s_delay_alu instid0(VALU_DEP_2) | instskip(NEXT) | instid1(VALU_DEP_2)
	v_fmac_f32_e32 v169, v6, v1
	v_fma_f32 v170, v5, v1, -v2
	v_mul_f32_e32 v1, v8, v4
	s_delay_alu instid0(VALU_DEP_4) | instskip(NEXT) | instid1(VALU_DEP_2)
	v_fmac_f32_e32 v171, v8, v3
	v_fma_f32 v172, v7, v3, -v1
	ds_load_b128 v[1:4], v21 offset:784
	ds_load_b128 v[5:8], v21 offset:800
	s_wait_loadcnt_dscnt 0x1
	v_mul_f32_e32 v173, v1, v10
	v_mul_f32_e32 v175, v3, v12
	s_delay_alu instid0(VALU_DEP_2) | instskip(NEXT) | instid1(VALU_DEP_2)
	v_fmac_f32_e32 v173, v2, v9
	v_dual_mul_f32 v2, v2, v10 :: v_dual_fmac_f32 v175, v4, v11
	s_delay_alu instid0(VALU_DEP_1) | instskip(SKIP_1) | instid1(VALU_DEP_1)
	v_fma_f32 v174, v1, v9, -v2
	v_mul_f32_e32 v1, v4, v12
	;; [unrolled: 25-line block ×3, first 2 shown]
	v_fma_f32 v184, v3, v11, -v1
	s_clause 0x1
	scratch_load_b128 v[1:4], off, off offset:368
	scratch_load_b128 v[9:12], off, off offset:384
	s_wait_loadcnt_dscnt 0x100
	v_mul_f32_e32 v185, v5, v2
	v_mul_f32_e32 v2, v6, v2
	s_delay_alu instid0(VALU_DEP_1) | instskip(SKIP_1) | instid1(VALU_DEP_1)
	v_fma_f32 v186, v5, v1, -v2
	v_add_f32_e32 v2, 0, v154
	v_add_f32_e32 v2, v2, v155
	s_delay_alu instid0(VALU_DEP_1) | instskip(NEXT) | instid1(VALU_DEP_1)
	v_add_f32_e32 v2, v2, v24
	v_add_f32_e32 v2, v2, v25
	s_delay_alu instid0(VALU_DEP_1) | instskip(NEXT) | instid1(VALU_DEP_1)
	v_add_f32_e32 v2, v2, v30
	v_add_f32_e32 v2, v2, v156
	v_fmac_f32_e32 v185, v6, v1
	s_delay_alu instid0(VALU_DEP_2) | instskip(NEXT) | instid1(VALU_DEP_1)
	v_add_f32_e32 v2, v2, v148
	v_dual_add_f32 v2, v2, v149 :: v_dual_mul_f32 v187, v7, v4
	s_delay_alu instid0(VALU_DEP_1) | instskip(NEXT) | instid1(VALU_DEP_1)
	v_add_f32_e32 v2, v2, v15
	v_dual_fmac_f32 v187, v8, v3 :: v_dual_add_f32 v2, v2, v18
	s_delay_alu instid0(VALU_DEP_1) | instskip(NEXT) | instid1(VALU_DEP_1)
	v_dual_mul_f32 v1, v8, v4 :: v_dual_add_f32 v2, v2, v19
	v_fma_f32 v188, v7, v3, -v1
	s_delay_alu instid0(VALU_DEP_2) | instskip(NEXT) | instid1(VALU_DEP_1)
	v_dual_add_f32 v1, 0, v22 :: v_dual_add_f32 v2, v2, v20
	v_dual_add_f32 v1, v1, v23 :: v_dual_add_f32 v2, v2, v157
	s_delay_alu instid0(VALU_DEP_1) | instskip(NEXT) | instid1(VALU_DEP_2)
	v_add_f32_e32 v1, v1, v26
	v_add_f32_e32 v5, v2, v158
	s_delay_alu instid0(VALU_DEP_2) | instskip(NEXT) | instid1(VALU_DEP_1)
	v_add_f32_e32 v1, v1, v27
	v_add_f32_e32 v1, v1, v28
	s_delay_alu instid0(VALU_DEP_1) | instskip(NEXT) | instid1(VALU_DEP_1)
	v_add_f32_e32 v1, v1, v29
	v_add_f32_e32 v1, v1, v13
	;; [unrolled: 1-line block ×3, first 2 shown]
	s_delay_alu instid0(VALU_DEP_2) | instskip(NEXT) | instid1(VALU_DEP_2)
	v_add_f32_e32 v1, v1, v14
	v_add_f32_e32 v13, v13, v163
	s_delay_alu instid0(VALU_DEP_1) | instskip(NEXT) | instid1(VALU_DEP_1)
	v_add_f32_e32 v13, v13, v165
	v_add_f32_e32 v18, v13, v167
	s_delay_alu instid0(VALU_DEP_1) | instskip(NEXT) | instid1(VALU_DEP_1)
	v_dual_add_f32 v1, v1, v16 :: v_dual_add_f32 v18, v18, v169
	v_dual_add_f32 v1, v1, v17 :: v_dual_add_f32 v18, v18, v171
	s_delay_alu instid0(VALU_DEP_1) | instskip(NEXT) | instid1(VALU_DEP_1)
	v_dual_add_f32 v1, v1, v150 :: v_dual_add_f32 v22, v18, v173
	v_add_f32_e32 v1, v1, v151
	s_delay_alu instid0(VALU_DEP_2) | instskip(NEXT) | instid1(VALU_DEP_1)
	v_add_f32_e32 v22, v22, v175
	v_dual_add_f32 v1, v1, v159 :: v_dual_add_f32 v22, v22, v177
	s_delay_alu instid0(VALU_DEP_1) | instskip(NEXT) | instid1(VALU_DEP_1)
	v_add_f32_e32 v1, v1, v160
	v_add_f32_e32 v6, v1, v162
	ds_load_b128 v[1:4], v21 offset:848
	v_add_f32_e32 v14, v6, v164
	scratch_load_b128 v[5:8], off, off offset:400
	v_add_f32_e32 v14, v14, v166
	s_delay_alu instid0(VALU_DEP_1)
	v_add_f32_e32 v17, v14, v168
	ds_load_b128 v[13:16], v21 offset:864
	v_add_f32_e32 v17, v17, v170
	s_wait_loadcnt_dscnt 0x101
	v_mul_f32_e32 v25, v1, v10
	v_mul_f32_e32 v10, v2, v10
	;; [unrolled: 1-line block ×4, first 2 shown]
	v_add_f32_e32 v17, v17, v172
	v_fmac_f32_e32 v25, v2, v9
	v_fma_f32 v27, v1, v9, -v10
	v_fmac_f32_e32 v26, v4, v11
	v_fma_f32 v28, v3, v11, -v12
	s_clause 0x1
	scratch_load_b128 v[1:4], off, off offset:416
	scratch_load_b128 v[9:12], off, off offset:432
	s_wait_loadcnt_dscnt 0x200
	v_mul_f32_e32 v29, v13, v6
	v_mul_f32_e32 v6, v14, v6
	;; [unrolled: 1-line block ×3, first 2 shown]
	s_delay_alu instid0(VALU_DEP_3) | instskip(NEXT) | instid1(VALU_DEP_3)
	v_dual_mul_f32 v8, v16, v8 :: v_dual_fmac_f32 v29, v14, v5
	v_fma_f32 v148, v13, v5, -v6
	s_delay_alu instid0(VALU_DEP_3) | instskip(NEXT) | instid1(VALU_DEP_3)
	v_fmac_f32_e32 v30, v16, v7
	v_fma_f32 v149, v15, v7, -v8
	ds_load_b128 v[5:8], v21 offset:880
	v_add_f32_e32 v17, v17, v174
	v_add_f32_e32 v13, v22, v179
	s_delay_alu instid0(VALU_DEP_2) | instskip(SKIP_2) | instid1(VALU_DEP_1)
	v_add_f32_e32 v23, v17, v176
	scratch_load_b128 v[17:20], off, off offset:448
	v_add_f32_e32 v23, v23, v178
	v_add_f32_e32 v23, v23, v180
	s_delay_alu instid0(VALU_DEP_1)
	v_dual_add_f32 v22, v23, v182 :: v_dual_add_f32 v23, v13, v181
	ds_load_b128 v[13:16], v21 offset:896
	s_wait_loadcnt_dscnt 0x201
	v_mul_f32_e32 v154, v5, v2
	v_mul_f32_e32 v2, v6, v2
	v_add_f32_e32 v150, v22, v184
	s_delay_alu instid0(VALU_DEP_3) | instskip(NEXT) | instid1(VALU_DEP_3)
	v_fmac_f32_e32 v154, v6, v1
	v_fma_f32 v2, v5, v1, -v2
	s_delay_alu instid0(VALU_DEP_3) | instskip(NEXT) | instid1(VALU_DEP_1)
	v_add_f32_e32 v150, v150, v186
	v_add_f32_e32 v150, v150, v188
	s_delay_alu instid0(VALU_DEP_1)
	v_dual_add_f32 v27, v150, v27 :: v_dual_mul_f32 v150, v7, v4
	s_wait_loadcnt_dscnt 0x100
	v_dual_mul_f32 v155, v15, v12 :: v_dual_mul_f32 v6, v14, v10
	v_add_f32_e32 v151, v23, v183
	ds_load_b128 v[21:24], v21 offset:912
	v_mul_f32_e32 v4, v8, v4
	v_dual_fmac_f32 v150, v8, v3 :: v_dual_add_f32 v27, v27, v28
	v_fmac_f32_e32 v155, v16, v11
	s_delay_alu instid0(VALU_DEP_3) | instskip(SKIP_1) | instid1(VALU_DEP_1)
	v_fma_f32 v3, v7, v3, -v4
	v_dual_mul_f32 v4, v16, v12 :: v_dual_add_f32 v151, v151, v185
	v_fma_f32 v4, v15, v11, -v4
	s_delay_alu instid0(VALU_DEP_2) | instskip(NEXT) | instid1(VALU_DEP_1)
	v_add_f32_e32 v151, v151, v187
	v_add_f32_e32 v25, v151, v25
	v_mul_f32_e32 v151, v13, v10
	s_wait_loadcnt_dscnt 0x0
	s_delay_alu instid0(VALU_DEP_1) | instskip(NEXT) | instid1(VALU_DEP_1)
	v_dual_fmac_f32 v151, v14, v9 :: v_dual_mul_f32 v28, v23, v20
	v_dual_fmac_f32 v28, v24, v19 :: v_dual_add_f32 v25, v25, v26
	v_mul_f32_e32 v26, v21, v18
	s_delay_alu instid0(VALU_DEP_2) | instskip(NEXT) | instid1(VALU_DEP_2)
	v_add_f32_e32 v25, v25, v29
	v_dual_fmac_f32 v26, v22, v17 :: v_dual_add_f32 v27, v27, v148
	s_delay_alu instid0(VALU_DEP_2) | instskip(NEXT) | instid1(VALU_DEP_2)
	v_add_f32_e32 v5, v25, v30
	v_add_f32_e32 v1, v27, v149
	s_delay_alu instid0(VALU_DEP_1) | instskip(NEXT) | instid1(VALU_DEP_3)
	v_add_f32_e32 v1, v1, v2
	v_add_f32_e32 v2, v5, v154
	v_fma_f32 v5, v13, v9, -v6
	s_delay_alu instid0(VALU_DEP_2) | instskip(SKIP_1) | instid1(VALU_DEP_2)
	v_dual_add_f32 v1, v1, v3 :: v_dual_add_f32 v2, v2, v150
	v_mul_f32_e32 v3, v22, v18
	v_dual_add_f32 v1, v1, v5 :: v_dual_add_f32 v2, v2, v151
	v_mul_f32_e32 v5, v24, v20
	s_delay_alu instid0(VALU_DEP_3) | instskip(NEXT) | instid1(VALU_DEP_3)
	v_fma_f32 v3, v21, v17, -v3
	v_dual_add_f32 v1, v1, v4 :: v_dual_add_f32 v2, v2, v155
	s_delay_alu instid0(VALU_DEP_3) | instskip(NEXT) | instid1(VALU_DEP_2)
	v_fma_f32 v4, v23, v19, -v5
	v_dual_add_f32 v1, v1, v3 :: v_dual_add_f32 v2, v2, v26
	s_delay_alu instid0(VALU_DEP_1) | instskip(NEXT) | instid1(VALU_DEP_1)
	v_add_f32_e32 v1, v1, v4
	v_dual_add_f32 v2, v2, v28 :: v_dual_sub_f32 v1, v152, v1
	s_delay_alu instid0(VALU_DEP_1)
	v_sub_f32_e32 v2, v153, v2
	scratch_store_b64 off, v[1:2], off offset:152
	v_cmpx_lt_u32_e32 18, v0
	s_cbranch_execz .LBB121_325
; %bb.324:
	scratch_load_b64 v[1:2], off, off offset:144
	v_mov_b32_e32 v3, 0
	s_delay_alu instid0(VALU_DEP_1)
	v_mov_b32_e32 v4, v3
	scratch_store_b64 off, v[3:4], off offset:144
	s_wait_loadcnt 0x0
	ds_store_b64 v31, v[1:2]
.LBB121_325:
	s_wait_alu 0xfffe
	s_or_b32 exec_lo, exec_lo, s0
	s_wait_storecnt_dscnt 0x0
	s_barrier_signal -1
	s_barrier_wait -1
	global_inv scope:SCOPE_SE
	s_clause 0x4
	scratch_load_b128 v[5:8], off, off offset:152
	scratch_load_b128 v[1:4], off, off offset:168
	;; [unrolled: 1-line block ×5, first 2 shown]
	v_mov_b32_e32 v21, 0
	ds_load_2addr_b64 v[22:25], v21 offset0:77 offset1:78
	ds_load_2addr_b64 v[26:29], v21 offset0:79 offset1:80
	;; [unrolled: 1-line block ×3, first 2 shown]
	scratch_load_b64 v[152:153], off, off offset:144
	s_mov_b32 s0, exec_lo
	s_wait_loadcnt_dscnt 0x502
	v_mul_f32_e32 v30, v23, v6
	v_dual_mul_f32 v154, v22, v6 :: v_dual_mul_f32 v155, v24, v8
	v_mul_f32_e32 v6, v25, v8
	s_wait_loadcnt_dscnt 0x300
	v_mul_f32_e32 v156, v150, v12
	v_fma_f32 v22, v22, v5, -v30
	v_dual_fmac_f32 v154, v23, v5 :: v_dual_fmac_f32 v155, v25, v7
	v_fma_f32 v23, v24, v7, -v6
	v_dual_mul_f32 v24, v26, v2 :: v_dual_mul_f32 v25, v28, v4
	v_mul_f32_e32 v2, v27, v2
	v_mul_f32_e32 v4, v29, v4
	ds_load_2addr_b64 v[5:8], v21 offset0:83 offset1:84
	v_mul_f32_e32 v30, v148, v10
	v_dual_fmac_f32 v24, v27, v1 :: v_dual_fmac_f32 v25, v29, v3
	v_fma_f32 v26, v26, v1, -v2
	v_fma_f32 v27, v28, v3, -v4
	v_mul_f32_e32 v12, v151, v12
	scratch_load_b128 v[1:4], off, off offset:232
	v_mul_f32_e32 v10, v149, v10
	v_fmac_f32_e32 v30, v149, v9
	v_fmac_f32_e32 v156, v151, v11
	v_fma_f32 v29, v150, v11, -v12
	s_delay_alu instid0(VALU_DEP_4)
	v_fma_f32 v28, v148, v9, -v10
	ds_load_2addr_b64 v[9:12], v21 offset0:85 offset1:86
	s_wait_loadcnt_dscnt 0x301
	v_mul_f32_e32 v148, v5, v14
	v_dual_mul_f32 v14, v6, v14 :: v_dual_mul_f32 v149, v7, v16
	v_mul_f32_e32 v16, v8, v16
	s_delay_alu instid0(VALU_DEP_3) | instskip(NEXT) | instid1(VALU_DEP_3)
	v_fmac_f32_e32 v148, v6, v13
	v_fma_f32 v13, v5, v13, -v14
	s_delay_alu instid0(VALU_DEP_4) | instskip(NEXT) | instid1(VALU_DEP_4)
	v_fmac_f32_e32 v149, v8, v15
	v_fma_f32 v14, v7, v15, -v16
	ds_load_2addr_b64 v[5:8], v21 offset0:87 offset1:88
	s_wait_loadcnt_dscnt 0x201
	v_mul_f32_e32 v15, v9, v18
	v_mul_f32_e32 v16, v10, v18
	;; [unrolled: 1-line block ×3, first 2 shown]
	s_delay_alu instid0(VALU_DEP_3) | instskip(NEXT) | instid1(VALU_DEP_3)
	v_dual_mul_f32 v20, v12, v20 :: v_dual_fmac_f32 v15, v10, v17
	v_fma_f32 v16, v9, v17, -v16
	s_delay_alu instid0(VALU_DEP_3) | instskip(NEXT) | instid1(VALU_DEP_3)
	v_fmac_f32_e32 v18, v12, v19
	v_fma_f32 v17, v11, v19, -v20
	scratch_load_b128 v[9:12], off, off offset:248
	s_wait_loadcnt_dscnt 0x100
	v_mul_f32_e32 v19, v5, v2
	v_mul_f32_e32 v2, v6, v2
	;; [unrolled: 1-line block ×3, first 2 shown]
	s_delay_alu instid0(VALU_DEP_3) | instskip(NEXT) | instid1(VALU_DEP_3)
	v_dual_mul_f32 v4, v8, v4 :: v_dual_fmac_f32 v19, v6, v1
	v_fma_f32 v150, v5, v1, -v2
	s_delay_alu instid0(VALU_DEP_3) | instskip(NEXT) | instid1(VALU_DEP_3)
	v_fmac_f32_e32 v20, v8, v3
	v_fma_f32 v151, v7, v3, -v4
	ds_load_2addr_b64 v[1:4], v21 offset0:89 offset1:90
	ds_load_2addr_b64 v[5:8], v21 offset0:91 offset1:92
	s_wait_loadcnt_dscnt 0x1
	v_mul_f32_e32 v157, v1, v10
	v_mul_f32_e32 v10, v2, v10
	s_delay_alu instid0(VALU_DEP_2) | instskip(NEXT) | instid1(VALU_DEP_2)
	v_dual_mul_f32 v158, v3, v12 :: v_dual_fmac_f32 v157, v2, v9
	v_fma_f32 v159, v1, v9, -v10
	v_mul_f32_e32 v1, v4, v12
	s_delay_alu instid0(VALU_DEP_3) | instskip(NEXT) | instid1(VALU_DEP_2)
	v_fmac_f32_e32 v158, v4, v11
	v_fma_f32 v160, v3, v11, -v1
	s_clause 0x1
	scratch_load_b128 v[1:4], off, off offset:264
	scratch_load_b128 v[9:12], off, off offset:280
	s_wait_loadcnt_dscnt 0x100
	v_mul_f32_e32 v161, v5, v2
	v_dual_mul_f32 v2, v6, v2 :: v_dual_mul_f32 v163, v7, v4
	s_delay_alu instid0(VALU_DEP_2) | instskip(NEXT) | instid1(VALU_DEP_2)
	v_fmac_f32_e32 v161, v6, v1
	v_fma_f32 v162, v5, v1, -v2
	v_mul_f32_e32 v1, v8, v4
	s_delay_alu instid0(VALU_DEP_4) | instskip(NEXT) | instid1(VALU_DEP_2)
	v_fmac_f32_e32 v163, v8, v3
	v_fma_f32 v164, v7, v3, -v1
	ds_load_2addr_b64 v[1:4], v21 offset0:93 offset1:94
	ds_load_2addr_b64 v[5:8], v21 offset0:95 offset1:96
	s_wait_loadcnt_dscnt 0x1
	v_mul_f32_e32 v165, v1, v10
	v_mul_f32_e32 v167, v3, v12
	s_delay_alu instid0(VALU_DEP_2) | instskip(NEXT) | instid1(VALU_DEP_2)
	v_fmac_f32_e32 v165, v2, v9
	v_dual_mul_f32 v2, v2, v10 :: v_dual_fmac_f32 v167, v4, v11
	s_delay_alu instid0(VALU_DEP_1) | instskip(SKIP_1) | instid1(VALU_DEP_1)
	v_fma_f32 v166, v1, v9, -v2
	v_mul_f32_e32 v1, v4, v12
	v_fma_f32 v168, v3, v11, -v1
	s_clause 0x1
	scratch_load_b128 v[1:4], off, off offset:296
	scratch_load_b128 v[9:12], off, off offset:312
	s_wait_loadcnt_dscnt 0x100
	v_mul_f32_e32 v169, v5, v2
	v_dual_mul_f32 v2, v6, v2 :: v_dual_mul_f32 v171, v7, v4
	s_delay_alu instid0(VALU_DEP_2) | instskip(NEXT) | instid1(VALU_DEP_2)
	v_fmac_f32_e32 v169, v6, v1
	v_fma_f32 v170, v5, v1, -v2
	v_mul_f32_e32 v1, v8, v4
	s_delay_alu instid0(VALU_DEP_4) | instskip(NEXT) | instid1(VALU_DEP_2)
	v_fmac_f32_e32 v171, v8, v3
	v_fma_f32 v172, v7, v3, -v1
	ds_load_2addr_b64 v[1:4], v21 offset0:97 offset1:98
	ds_load_2addr_b64 v[5:8], v21 offset0:99 offset1:100
	s_wait_loadcnt_dscnt 0x1
	v_mul_f32_e32 v173, v1, v10
	v_mul_f32_e32 v175, v3, v12
	s_delay_alu instid0(VALU_DEP_2) | instskip(NEXT) | instid1(VALU_DEP_2)
	v_fmac_f32_e32 v173, v2, v9
	v_dual_mul_f32 v2, v2, v10 :: v_dual_fmac_f32 v175, v4, v11
	s_delay_alu instid0(VALU_DEP_1) | instskip(SKIP_1) | instid1(VALU_DEP_1)
	v_fma_f32 v174, v1, v9, -v2
	v_mul_f32_e32 v1, v4, v12
	;; [unrolled: 25-line block ×3, first 2 shown]
	v_fma_f32 v184, v3, v11, -v1
	s_clause 0x1
	scratch_load_b128 v[1:4], off, off offset:360
	scratch_load_b128 v[9:12], off, off offset:376
	s_wait_loadcnt_dscnt 0x100
	v_mul_f32_e32 v185, v5, v2
	v_mul_f32_e32 v2, v6, v2
	s_delay_alu instid0(VALU_DEP_1) | instskip(SKIP_1) | instid1(VALU_DEP_1)
	v_fma_f32 v186, v5, v1, -v2
	v_add_f32_e32 v2, 0, v154
	v_add_f32_e32 v2, v2, v155
	s_delay_alu instid0(VALU_DEP_1) | instskip(NEXT) | instid1(VALU_DEP_1)
	v_add_f32_e32 v2, v2, v24
	v_add_f32_e32 v2, v2, v25
	s_delay_alu instid0(VALU_DEP_1) | instskip(NEXT) | instid1(VALU_DEP_1)
	v_add_f32_e32 v2, v2, v30
	v_add_f32_e32 v2, v2, v156
	v_fmac_f32_e32 v185, v6, v1
	s_delay_alu instid0(VALU_DEP_2) | instskip(NEXT) | instid1(VALU_DEP_1)
	v_add_f32_e32 v2, v2, v148
	v_dual_add_f32 v2, v2, v149 :: v_dual_mul_f32 v187, v7, v4
	s_delay_alu instid0(VALU_DEP_1) | instskip(NEXT) | instid1(VALU_DEP_1)
	v_add_f32_e32 v2, v2, v15
	v_dual_fmac_f32 v187, v8, v3 :: v_dual_add_f32 v2, v2, v18
	s_delay_alu instid0(VALU_DEP_1) | instskip(NEXT) | instid1(VALU_DEP_1)
	v_dual_mul_f32 v1, v8, v4 :: v_dual_add_f32 v2, v2, v19
	v_fma_f32 v188, v7, v3, -v1
	s_delay_alu instid0(VALU_DEP_2) | instskip(NEXT) | instid1(VALU_DEP_1)
	v_dual_add_f32 v1, 0, v22 :: v_dual_add_f32 v2, v2, v20
	v_dual_add_f32 v1, v1, v23 :: v_dual_add_f32 v2, v2, v157
	s_delay_alu instid0(VALU_DEP_1) | instskip(NEXT) | instid1(VALU_DEP_2)
	v_add_f32_e32 v1, v1, v26
	v_add_f32_e32 v5, v2, v158
	s_delay_alu instid0(VALU_DEP_2) | instskip(SKIP_2) | instid1(VALU_DEP_1)
	v_add_f32_e32 v1, v1, v27
	scratch_load_b64 v[26:27], off, off offset:456
	v_add_f32_e32 v1, v1, v28
	v_add_f32_e32 v1, v1, v29
	s_delay_alu instid0(VALU_DEP_1) | instskip(SKIP_1) | instid1(VALU_DEP_2)
	v_add_f32_e32 v1, v1, v13
	v_add_f32_e32 v13, v5, v161
	;; [unrolled: 1-line block ×3, first 2 shown]
	s_delay_alu instid0(VALU_DEP_2) | instskip(NEXT) | instid1(VALU_DEP_1)
	v_add_f32_e32 v13, v13, v163
	v_add_f32_e32 v13, v13, v165
	s_delay_alu instid0(VALU_DEP_1) | instskip(NEXT) | instid1(VALU_DEP_1)
	v_add_f32_e32 v18, v13, v167
	v_dual_add_f32 v1, v1, v16 :: v_dual_add_f32 v18, v18, v169
	s_delay_alu instid0(VALU_DEP_1) | instskip(NEXT) | instid1(VALU_DEP_1)
	v_dual_add_f32 v1, v1, v17 :: v_dual_add_f32 v18, v18, v171
	v_dual_add_f32 v1, v1, v150 :: v_dual_add_f32 v22, v18, v173
	s_delay_alu instid0(VALU_DEP_1) | instskip(NEXT) | instid1(VALU_DEP_2)
	v_add_f32_e32 v1, v1, v151
	v_add_f32_e32 v22, v22, v175
	s_delay_alu instid0(VALU_DEP_2) | instskip(NEXT) | instid1(VALU_DEP_1)
	v_add_f32_e32 v1, v1, v159
	v_add_f32_e32 v1, v1, v160
	s_delay_alu instid0(VALU_DEP_1)
	v_add_f32_e32 v6, v1, v162
	scratch_load_b128 v[1:4], off, off offset:392
	v_add_f32_e32 v22, v22, v177
	v_add_f32_e32 v14, v6, v164
	ds_load_2addr_b64 v[5:8], v21 offset0:105 offset1:106
	v_add_f32_e32 v22, v22, v179
	v_add_f32_e32 v14, v14, v166
	s_delay_alu instid0(VALU_DEP_1)
	v_add_f32_e32 v17, v14, v168
	ds_load_2addr_b64 v[13:16], v21 offset0:107 offset1:108
	s_wait_loadcnt_dscnt 0x201
	v_mul_f32_e32 v30, v5, v10
	v_mul_f32_e32 v10, v6, v10
	;; [unrolled: 1-line block ×4, first 2 shown]
	s_delay_alu instid0(VALU_DEP_4) | instskip(NEXT) | instid1(VALU_DEP_4)
	v_fmac_f32_e32 v30, v6, v9
	v_fma_f32 v149, v5, v9, -v10
	s_delay_alu instid0(VALU_DEP_4) | instskip(NEXT) | instid1(VALU_DEP_4)
	v_fmac_f32_e32 v148, v8, v11
	v_fma_f32 v150, v7, v11, -v12
	s_clause 0x1
	scratch_load_b128 v[5:8], off, off offset:408
	scratch_load_b128 v[9:12], off, off offset:424
	s_wait_loadcnt_dscnt 0x200
	v_dual_mul_f32 v154, v15, v4 :: v_dual_mul_f32 v151, v13, v2
	v_mul_f32_e32 v2, v14, v2
	v_mul_f32_e32 v4, v16, v4
	s_delay_alu instid0(VALU_DEP_3) | instskip(NEXT) | instid1(VALU_DEP_3)
	v_dual_fmac_f32 v154, v16, v3 :: v_dual_add_f32 v17, v17, v170
	v_fma_f32 v155, v13, v1, -v2
	v_add_f32_e32 v13, v22, v181
	v_fmac_f32_e32 v151, v14, v1
	v_fma_f32 v156, v15, v3, -v4
	v_add_f32_e32 v17, v17, v172
	ds_load_2addr_b64 v[1:4], v21 offset0:109 offset1:110
	v_add_f32_e32 v22, v13, v183
	v_add_f32_e32 v17, v17, v174
	s_delay_alu instid0(VALU_DEP_2) | instskip(NEXT) | instid1(VALU_DEP_1)
	v_add_f32_e32 v29, v22, v185
	v_add_f32_e32 v158, v29, v187
	s_delay_alu instid0(VALU_DEP_3) | instskip(SKIP_2) | instid1(VALU_DEP_1)
	v_add_f32_e32 v23, v17, v176
	scratch_load_b128 v[17:20], off, off offset:440
	v_add_f32_e32 v30, v158, v30
	v_dual_add_f32 v23, v23, v178 :: v_dual_add_f32 v30, v30, v148
	s_delay_alu instid0(VALU_DEP_1) | instskip(NEXT) | instid1(VALU_DEP_1)
	v_dual_add_f32 v23, v23, v180 :: v_dual_add_f32 v30, v30, v151
	v_add_f32_e32 v23, v23, v182
	s_delay_alu instid0(VALU_DEP_2) | instskip(NEXT) | instid1(VALU_DEP_2)
	v_add_f32_e32 v30, v30, v154
	v_add_f32_e32 v14, v23, v184
	ds_load_2addr_b64 v[22:25], v21 offset0:113 offset1:114
	v_add_f32_e32 v28, v14, v186
	ds_load_2addr_b64 v[13:16], v21 offset0:111 offset1:112
	s_wait_loadcnt_dscnt 0x202
	v_mul_f32_e32 v148, v3, v8
	v_mul_f32_e32 v8, v4, v8
	v_add_f32_e32 v157, v28, v188
	ds_load_b64 v[28:29], v21 offset:920
	v_dual_fmac_f32 v148, v4, v7 :: v_dual_add_f32 v149, v157, v149
	v_mul_f32_e32 v157, v1, v6
	v_mul_f32_e32 v6, v2, v6
	s_delay_alu instid0(VALU_DEP_3) | instskip(NEXT) | instid1(VALU_DEP_2)
	v_add_f32_e32 v149, v149, v150
	v_fma_f32 v1, v1, v5, -v6
	s_delay_alu instid0(VALU_DEP_2) | instskip(SKIP_2) | instid1(VALU_DEP_1)
	v_add_f32_e32 v149, v149, v155
	s_wait_loadcnt_dscnt 0x101
	v_mul_f32_e32 v150, v13, v10
	v_dual_add_f32 v149, v149, v156 :: v_dual_fmac_f32 v150, v14, v9
	s_wait_dscnt 0x0
	v_dual_mul_f32 v154, v28, v27 :: v_dual_fmac_f32 v157, v2, v5
	v_mul_f32_e32 v151, v15, v12
	v_fma_f32 v2, v3, v7, -v8
	v_add_f32_e32 v1, v149, v1
	s_delay_alu instid0(VALU_DEP_4) | instskip(NEXT) | instid1(VALU_DEP_4)
	v_fmac_f32_e32 v154, v29, v26
	v_dual_add_f32 v4, v30, v157 :: v_dual_fmac_f32 v151, v16, v11
	s_delay_alu instid0(VALU_DEP_1) | instskip(NEXT) | instid1(VALU_DEP_1)
	v_dual_add_f32 v1, v1, v2 :: v_dual_add_f32 v2, v4, v148
	v_dual_add_f32 v2, v2, v150 :: v_dual_mul_f32 v5, v16, v12
	s_delay_alu instid0(VALU_DEP_1) | instskip(NEXT) | instid1(VALU_DEP_2)
	v_add_f32_e32 v2, v2, v151
	v_fma_f32 v5, v15, v11, -v5
	s_wait_loadcnt 0x0
	v_dual_mul_f32 v155, v22, v18 :: v_dual_mul_f32 v156, v24, v20
	v_mul_f32_e32 v3, v14, v10
	v_mul_f32_e32 v4, v23, v18
	s_delay_alu instid0(VALU_DEP_3) | instskip(NEXT) | instid1(VALU_DEP_3)
	v_dual_fmac_f32 v155, v23, v17 :: v_dual_fmac_f32 v156, v25, v19
	v_fma_f32 v3, v13, v9, -v3
	s_delay_alu instid0(VALU_DEP_3) | instskip(NEXT) | instid1(VALU_DEP_3)
	v_fma_f32 v4, v22, v17, -v4
	v_add_f32_e32 v2, v2, v155
	s_delay_alu instid0(VALU_DEP_1) | instskip(SKIP_1) | instid1(VALU_DEP_2)
	v_dual_add_f32 v1, v1, v3 :: v_dual_add_f32 v2, v2, v156
	v_mul_f32_e32 v3, v25, v20
	v_add_f32_e32 v1, v1, v5
	s_delay_alu instid0(VALU_DEP_3) | instskip(NEXT) | instid1(VALU_DEP_3)
	v_dual_mul_f32 v5, v29, v27 :: v_dual_add_f32 v2, v2, v154
	v_fma_f32 v3, v24, v19, -v3
	s_delay_alu instid0(VALU_DEP_3) | instskip(NEXT) | instid1(VALU_DEP_3)
	v_add_f32_e32 v1, v1, v4
	v_fma_f32 v4, v28, v26, -v5
	s_delay_alu instid0(VALU_DEP_4) | instskip(NEXT) | instid1(VALU_DEP_3)
	v_sub_f32_e32 v2, v153, v2
	v_add_f32_e32 v1, v1, v3
	s_delay_alu instid0(VALU_DEP_1) | instskip(NEXT) | instid1(VALU_DEP_1)
	v_add_f32_e32 v1, v1, v4
	v_sub_f32_e32 v1, v152, v1
	scratch_store_b64 off, v[1:2], off offset:144
	v_cmpx_lt_u32_e32 17, v0
	s_cbranch_execz .LBB121_327
; %bb.326:
	scratch_load_b64 v[1:2], off, off offset:136
	v_mov_b32_e32 v22, v21
	scratch_store_b64 off, v[21:22], off offset:136
	s_wait_loadcnt 0x0
	ds_store_b64 v31, v[1:2]
.LBB121_327:
	s_wait_alu 0xfffe
	s_or_b32 exec_lo, exec_lo, s0
	s_wait_storecnt_dscnt 0x0
	s_barrier_signal -1
	s_barrier_wait -1
	global_inv scope:SCOPE_SE
	s_clause 0x4
	scratch_load_b128 v[5:8], off, off offset:144
	scratch_load_b128 v[1:4], off, off offset:160
	;; [unrolled: 1-line block ×5, first 2 shown]
	ds_load_b128 v[22:25], v21 offset:608
	ds_load_b128 v[26:29], v21 offset:624
	ds_load_b128 v[148:151], v21 offset:640
	scratch_load_b64 v[152:153], off, off offset:136
	s_mov_b32 s0, exec_lo
	s_wait_loadcnt_dscnt 0x502
	v_dual_mul_f32 v30, v23, v6 :: v_dual_mul_f32 v155, v24, v8
	v_mul_f32_e32 v154, v22, v6
	v_mul_f32_e32 v6, v25, v8
	s_wait_loadcnt_dscnt 0x300
	v_mul_f32_e32 v156, v150, v12
	v_fma_f32 v22, v22, v5, -v30
	v_dual_fmac_f32 v155, v25, v7 :: v_dual_fmac_f32 v154, v23, v5
	v_mul_f32_e32 v25, v28, v4
	v_fma_f32 v23, v24, v7, -v6
	ds_load_b128 v[5:8], v21 offset:656
	v_mul_f32_e32 v24, v26, v2
	v_mul_f32_e32 v4, v29, v4
	;; [unrolled: 1-line block ×5, first 2 shown]
	v_dual_mul_f32 v2, v27, v2 :: v_dual_fmac_f32 v25, v29, v3
	v_fmac_f32_e32 v24, v27, v1
	v_fma_f32 v27, v28, v3, -v4
	v_fmac_f32_e32 v30, v149, v9
	v_fma_f32 v28, v148, v9, -v10
	v_fmac_f32_e32 v156, v151, v11
	v_fma_f32 v29, v150, v11, -v12
	ds_load_b128 v[9:12], v21 offset:672
	s_wait_loadcnt_dscnt 0x201
	v_mul_f32_e32 v148, v5, v14
	v_dual_mul_f32 v14, v6, v14 :: v_dual_mul_f32 v149, v7, v16
	v_mul_f32_e32 v16, v8, v16
	s_delay_alu instid0(VALU_DEP_3) | instskip(NEXT) | instid1(VALU_DEP_3)
	v_fmac_f32_e32 v148, v6, v13
	v_fma_f32 v13, v5, v13, -v14
	s_delay_alu instid0(VALU_DEP_4) | instskip(NEXT) | instid1(VALU_DEP_4)
	v_fmac_f32_e32 v149, v8, v15
	v_fma_f32 v14, v7, v15, -v16
	ds_load_b128 v[5:8], v21 offset:688
	s_wait_loadcnt_dscnt 0x101
	v_mul_f32_e32 v15, v9, v18
	v_mul_f32_e32 v16, v10, v18
	;; [unrolled: 1-line block ×3, first 2 shown]
	s_delay_alu instid0(VALU_DEP_3)
	v_dual_mul_f32 v20, v12, v20 :: v_dual_fmac_f32 v15, v10, v17
	v_fma_f32 v26, v26, v1, -v2
	scratch_load_b128 v[1:4], off, off offset:224
	v_fma_f32 v16, v9, v17, -v16
	v_fmac_f32_e32 v18, v12, v19
	v_fma_f32 v17, v11, v19, -v20
	scratch_load_b128 v[9:12], off, off offset:240
	s_wait_loadcnt_dscnt 0x100
	v_mul_f32_e32 v19, v5, v2
	v_mul_f32_e32 v2, v6, v2
	v_mul_f32_e32 v20, v7, v4
	s_delay_alu instid0(VALU_DEP_3) | instskip(NEXT) | instid1(VALU_DEP_3)
	v_dual_mul_f32 v4, v8, v4 :: v_dual_fmac_f32 v19, v6, v1
	v_fma_f32 v150, v5, v1, -v2
	s_delay_alu instid0(VALU_DEP_3) | instskip(NEXT) | instid1(VALU_DEP_3)
	v_fmac_f32_e32 v20, v8, v3
	v_fma_f32 v151, v7, v3, -v4
	ds_load_b128 v[1:4], v21 offset:704
	ds_load_b128 v[5:8], v21 offset:720
	s_wait_loadcnt_dscnt 0x1
	v_mul_f32_e32 v157, v1, v10
	v_mul_f32_e32 v10, v2, v10
	s_delay_alu instid0(VALU_DEP_2) | instskip(NEXT) | instid1(VALU_DEP_2)
	v_dual_mul_f32 v158, v3, v12 :: v_dual_fmac_f32 v157, v2, v9
	v_fma_f32 v159, v1, v9, -v10
	v_mul_f32_e32 v1, v4, v12
	s_delay_alu instid0(VALU_DEP_3) | instskip(NEXT) | instid1(VALU_DEP_2)
	v_fmac_f32_e32 v158, v4, v11
	v_fma_f32 v160, v3, v11, -v1
	s_clause 0x1
	scratch_load_b128 v[1:4], off, off offset:256
	scratch_load_b128 v[9:12], off, off offset:272
	s_wait_loadcnt_dscnt 0x100
	v_mul_f32_e32 v161, v5, v2
	v_dual_mul_f32 v2, v6, v2 :: v_dual_mul_f32 v163, v7, v4
	s_delay_alu instid0(VALU_DEP_2) | instskip(NEXT) | instid1(VALU_DEP_2)
	v_fmac_f32_e32 v161, v6, v1
	v_fma_f32 v162, v5, v1, -v2
	v_mul_f32_e32 v1, v8, v4
	s_delay_alu instid0(VALU_DEP_4) | instskip(NEXT) | instid1(VALU_DEP_2)
	v_fmac_f32_e32 v163, v8, v3
	v_fma_f32 v164, v7, v3, -v1
	ds_load_b128 v[1:4], v21 offset:736
	ds_load_b128 v[5:8], v21 offset:752
	s_wait_loadcnt_dscnt 0x1
	v_mul_f32_e32 v165, v1, v10
	v_mul_f32_e32 v167, v3, v12
	s_delay_alu instid0(VALU_DEP_2) | instskip(NEXT) | instid1(VALU_DEP_2)
	v_fmac_f32_e32 v165, v2, v9
	v_dual_mul_f32 v2, v2, v10 :: v_dual_fmac_f32 v167, v4, v11
	s_delay_alu instid0(VALU_DEP_1) | instskip(SKIP_1) | instid1(VALU_DEP_1)
	v_fma_f32 v166, v1, v9, -v2
	v_mul_f32_e32 v1, v4, v12
	v_fma_f32 v168, v3, v11, -v1
	s_clause 0x1
	scratch_load_b128 v[1:4], off, off offset:288
	scratch_load_b128 v[9:12], off, off offset:304
	s_wait_loadcnt_dscnt 0x100
	v_mul_f32_e32 v169, v5, v2
	v_dual_mul_f32 v2, v6, v2 :: v_dual_mul_f32 v171, v7, v4
	s_delay_alu instid0(VALU_DEP_2) | instskip(NEXT) | instid1(VALU_DEP_2)
	v_fmac_f32_e32 v169, v6, v1
	v_fma_f32 v170, v5, v1, -v2
	v_mul_f32_e32 v1, v8, v4
	s_delay_alu instid0(VALU_DEP_4) | instskip(NEXT) | instid1(VALU_DEP_2)
	v_fmac_f32_e32 v171, v8, v3
	v_fma_f32 v172, v7, v3, -v1
	ds_load_b128 v[1:4], v21 offset:768
	ds_load_b128 v[5:8], v21 offset:784
	s_wait_loadcnt_dscnt 0x1
	v_mul_f32_e32 v173, v1, v10
	v_mul_f32_e32 v175, v3, v12
	s_delay_alu instid0(VALU_DEP_2) | instskip(NEXT) | instid1(VALU_DEP_2)
	v_fmac_f32_e32 v173, v2, v9
	v_dual_mul_f32 v2, v2, v10 :: v_dual_fmac_f32 v175, v4, v11
	s_delay_alu instid0(VALU_DEP_1) | instskip(SKIP_1) | instid1(VALU_DEP_1)
	v_fma_f32 v174, v1, v9, -v2
	v_mul_f32_e32 v1, v4, v12
	;; [unrolled: 25-line block ×4, first 2 shown]
	v_fma_f32 v192, v3, v11, -v1
	s_clause 0x1
	scratch_load_b128 v[1:4], off, off offset:384
	scratch_load_b128 v[9:12], off, off offset:400
	s_wait_loadcnt_dscnt 0x100
	v_mul_f32_e32 v193, v5, v2
	v_mul_f32_e32 v2, v6, v2
	s_delay_alu instid0(VALU_DEP_1) | instskip(SKIP_1) | instid1(VALU_DEP_1)
	v_fma_f32 v194, v5, v1, -v2
	v_add_f32_e32 v2, 0, v154
	v_add_f32_e32 v2, v2, v155
	s_delay_alu instid0(VALU_DEP_1) | instskip(NEXT) | instid1(VALU_DEP_1)
	v_add_f32_e32 v2, v2, v24
	v_add_f32_e32 v2, v2, v25
	s_delay_alu instid0(VALU_DEP_1) | instskip(NEXT) | instid1(VALU_DEP_1)
	;; [unrolled: 3-line block ×5, first 2 shown]
	v_add_f32_e32 v2, v2, v19
	v_add_f32_e32 v2, v2, v20
	s_delay_alu instid0(VALU_DEP_1) | instskip(SKIP_1) | instid1(VALU_DEP_2)
	v_dual_add_f32 v2, v2, v157 :: v_dual_mul_f32 v195, v7, v4
	v_fmac_f32_e32 v193, v6, v1
	v_dual_add_f32 v2, v2, v158 :: v_dual_fmac_f32 v195, v8, v3
	s_delay_alu instid0(VALU_DEP_1) | instskip(NEXT) | instid1(VALU_DEP_1)
	v_dual_add_f32 v2, v2, v161 :: v_dual_mul_f32 v1, v8, v4
	v_add_f32_e32 v2, v2, v163
	s_delay_alu instid0(VALU_DEP_2) | instskip(SKIP_1) | instid1(VALU_DEP_1)
	v_fma_f32 v196, v7, v3, -v1
	v_add_f32_e32 v1, 0, v22
	v_add_f32_e32 v1, v1, v23
	s_delay_alu instid0(VALU_DEP_1) | instskip(NEXT) | instid1(VALU_DEP_1)
	v_add_f32_e32 v1, v1, v26
	v_add_f32_e32 v1, v1, v27
	s_delay_alu instid0(VALU_DEP_1) | instskip(NEXT) | instid1(VALU_DEP_1)
	;; [unrolled: 3-line block ×10, first 2 shown]
	v_add_f32_e32 v13, v13, v174
	v_add_f32_e32 v13, v13, v176
	s_delay_alu instid0(VALU_DEP_1) | instskip(SKIP_3) | instid1(VALU_DEP_1)
	v_add_f32_e32 v13, v13, v178
	v_add_f32_e32 v5, v2, v165
	ds_load_b128 v[1:4], v21 offset:864
	v_add_f32_e32 v18, v13, v180
	v_dual_add_f32 v5, v5, v167 :: v_dual_add_f32 v18, v18, v182
	s_delay_alu instid0(VALU_DEP_1) | instskip(NEXT) | instid1(VALU_DEP_1)
	v_dual_add_f32 v5, v5, v169 :: v_dual_add_f32 v18, v18, v184
	v_add_f32_e32 v14, v5, v171
	ds_load_b128 v[5:8], v21 offset:880
	v_add_f32_e32 v22, v18, v186
	s_wait_loadcnt_dscnt 0x1
	v_dual_add_f32 v14, v14, v173 :: v_dual_mul_f32 v25, v1, v10
	v_mul_f32_e32 v26, v3, v12
	v_mul_f32_e32 v10, v2, v10
	;; [unrolled: 1-line block ×3, first 2 shown]
	s_delay_alu instid0(VALU_DEP_4) | instskip(NEXT) | instid1(VALU_DEP_4)
	v_add_f32_e32 v14, v14, v175
	v_dual_add_f32 v29, v22, v188 :: v_dual_fmac_f32 v26, v4, v11
	s_delay_alu instid0(VALU_DEP_4) | instskip(NEXT) | instid1(VALU_DEP_4)
	v_fma_f32 v27, v1, v9, -v10
	v_fma_f32 v28, v3, v11, -v12
	s_delay_alu instid0(VALU_DEP_4) | instskip(SKIP_3) | instid1(VALU_DEP_2)
	v_add_f32_e32 v17, v14, v177
	scratch_load_b128 v[13:16], off, off offset:448
	v_add_f32_e32 v29, v29, v190
	v_add_f32_e32 v17, v17, v179
	;; [unrolled: 1-line block ×3, first 2 shown]
	s_delay_alu instid0(VALU_DEP_2) | instskip(NEXT) | instid1(VALU_DEP_2)
	v_add_f32_e32 v17, v17, v181
	v_add_f32_e32 v29, v29, v194
	s_delay_alu instid0(VALU_DEP_2) | instskip(NEXT) | instid1(VALU_DEP_2)
	v_add_f32_e32 v17, v17, v183
	v_add_f32_e32 v29, v29, v196
	s_delay_alu instid0(VALU_DEP_2)
	v_add_f32_e32 v23, v17, v185
	ds_load_b128 v[17:20], v21 offset:896
	v_fmac_f32_e32 v25, v2, v9
	s_clause 0x1
	scratch_load_b128 v[1:4], off, off offset:416
	scratch_load_b128 v[9:12], off, off offset:432
	v_add_f32_e32 v30, v23, v187
	ds_load_b128 v[21:24], v21 offset:912
	v_dual_add_f32 v27, v29, v27 :: v_dual_add_f32 v30, v30, v189
	s_delay_alu instid0(VALU_DEP_1) | instskip(NEXT) | instid1(VALU_DEP_1)
	v_add_f32_e32 v30, v30, v191
	v_add_f32_e32 v30, v30, v193
	s_delay_alu instid0(VALU_DEP_1) | instskip(SKIP_2) | instid1(VALU_DEP_1)
	v_add_f32_e32 v30, v30, v195
	s_wait_loadcnt_dscnt 0x200
	v_dual_mul_f32 v154, v21, v14 :: v_dual_mul_f32 v29, v23, v16
	v_dual_fmac_f32 v154, v22, v13 :: v_dual_fmac_f32 v29, v24, v15
	s_wait_loadcnt 0x1
	v_mul_f32_e32 v148, v5, v2
	s_wait_loadcnt 0x0
	v_mul_f32_e32 v150, v17, v10
	v_dual_mul_f32 v2, v6, v2 :: v_dual_mul_f32 v149, v7, v4
	v_mul_f32_e32 v4, v8, v4
	v_fmac_f32_e32 v148, v6, v1
	v_add_f32_e32 v25, v30, v25
	s_delay_alu instid0(VALU_DEP_4) | instskip(SKIP_2) | instid1(VALU_DEP_4)
	v_fma_f32 v2, v5, v1, -v2
	v_dual_add_f32 v1, v27, v28 :: v_dual_mul_f32 v6, v18, v10
	v_fmac_f32_e32 v149, v8, v3
	v_add_f32_e32 v5, v25, v26
	v_fma_f32 v3, v7, v3, -v4
	s_delay_alu instid0(VALU_DEP_4)
	v_add_f32_e32 v1, v1, v2
	v_mul_f32_e32 v151, v19, v12
	v_mul_f32_e32 v4, v20, v12
	v_add_f32_e32 v2, v5, v148
	v_fmac_f32_e32 v150, v18, v9
	v_fma_f32 v5, v17, v9, -v6
	v_add_f32_e32 v1, v1, v3
	v_mul_f32_e32 v3, v22, v14
	v_dual_add_f32 v2, v2, v149 :: v_dual_fmac_f32 v151, v20, v11
	v_fma_f32 v4, v19, v11, -v4
	s_delay_alu instid0(VALU_DEP_4) | instskip(NEXT) | instid1(VALU_DEP_3)
	v_add_f32_e32 v1, v1, v5
	v_dual_mul_f32 v5, v24, v16 :: v_dual_add_f32 v2, v2, v150
	v_fma_f32 v3, v21, v13, -v3
	s_delay_alu instid0(VALU_DEP_3) | instskip(NEXT) | instid1(VALU_DEP_3)
	v_add_f32_e32 v1, v1, v4
	v_fma_f32 v4, v23, v15, -v5
	s_delay_alu instid0(VALU_DEP_4) | instskip(NEXT) | instid1(VALU_DEP_1)
	v_add_f32_e32 v2, v2, v151
	v_dual_add_f32 v1, v1, v3 :: v_dual_add_f32 v2, v2, v154
	s_delay_alu instid0(VALU_DEP_1) | instskip(NEXT) | instid1(VALU_DEP_1)
	v_dual_add_f32 v1, v1, v4 :: v_dual_add_f32 v2, v2, v29
	v_dual_sub_f32 v1, v152, v1 :: v_dual_sub_f32 v2, v153, v2
	scratch_store_b64 off, v[1:2], off offset:136
	v_cmpx_lt_u32_e32 16, v0
	s_cbranch_execz .LBB121_329
; %bb.328:
	scratch_load_b64 v[1:2], off, off offset:128
	v_mov_b32_e32 v3, 0
	s_delay_alu instid0(VALU_DEP_1)
	v_mov_b32_e32 v4, v3
	scratch_store_b64 off, v[3:4], off offset:128
	s_wait_loadcnt 0x0
	ds_store_b64 v31, v[1:2]
.LBB121_329:
	s_wait_alu 0xfffe
	s_or_b32 exec_lo, exec_lo, s0
	s_wait_storecnt_dscnt 0x0
	s_barrier_signal -1
	s_barrier_wait -1
	global_inv scope:SCOPE_SE
	s_clause 0x4
	scratch_load_b128 v[5:8], off, off offset:136
	scratch_load_b128 v[1:4], off, off offset:152
	scratch_load_b128 v[9:12], off, off offset:168
	scratch_load_b128 v[13:16], off, off offset:184
	scratch_load_b128 v[17:20], off, off offset:200
	v_mov_b32_e32 v21, 0
	ds_load_2addr_b64 v[22:25], v21 offset0:75 offset1:76
	ds_load_2addr_b64 v[26:29], v21 offset0:77 offset1:78
	;; [unrolled: 1-line block ×3, first 2 shown]
	scratch_load_b64 v[152:153], off, off offset:128
	s_mov_b32 s0, exec_lo
	s_wait_loadcnt_dscnt 0x502
	v_mul_f32_e32 v30, v23, v6
	v_dual_mul_f32 v154, v22, v6 :: v_dual_mul_f32 v155, v24, v8
	v_mul_f32_e32 v6, v25, v8
	s_wait_loadcnt_dscnt 0x300
	v_mul_f32_e32 v156, v150, v12
	v_fma_f32 v22, v22, v5, -v30
	v_dual_fmac_f32 v154, v23, v5 :: v_dual_fmac_f32 v155, v25, v7
	v_fma_f32 v23, v24, v7, -v6
	v_dual_mul_f32 v24, v26, v2 :: v_dual_mul_f32 v25, v28, v4
	v_mul_f32_e32 v2, v27, v2
	v_mul_f32_e32 v4, v29, v4
	ds_load_2addr_b64 v[5:8], v21 offset0:81 offset1:82
	v_mul_f32_e32 v30, v148, v10
	v_dual_fmac_f32 v24, v27, v1 :: v_dual_fmac_f32 v25, v29, v3
	v_fma_f32 v26, v26, v1, -v2
	v_fma_f32 v27, v28, v3, -v4
	v_mul_f32_e32 v12, v151, v12
	scratch_load_b128 v[1:4], off, off offset:216
	v_mul_f32_e32 v10, v149, v10
	v_fmac_f32_e32 v30, v149, v9
	v_fmac_f32_e32 v156, v151, v11
	v_fma_f32 v29, v150, v11, -v12
	s_delay_alu instid0(VALU_DEP_4)
	v_fma_f32 v28, v148, v9, -v10
	ds_load_2addr_b64 v[9:12], v21 offset0:83 offset1:84
	s_wait_loadcnt_dscnt 0x301
	v_mul_f32_e32 v148, v5, v14
	v_dual_mul_f32 v14, v6, v14 :: v_dual_mul_f32 v149, v7, v16
	v_mul_f32_e32 v16, v8, v16
	s_delay_alu instid0(VALU_DEP_3) | instskip(NEXT) | instid1(VALU_DEP_3)
	v_fmac_f32_e32 v148, v6, v13
	v_fma_f32 v13, v5, v13, -v14
	s_delay_alu instid0(VALU_DEP_4) | instskip(NEXT) | instid1(VALU_DEP_4)
	v_fmac_f32_e32 v149, v8, v15
	v_fma_f32 v14, v7, v15, -v16
	ds_load_2addr_b64 v[5:8], v21 offset0:85 offset1:86
	s_wait_loadcnt_dscnt 0x201
	v_mul_f32_e32 v15, v9, v18
	v_mul_f32_e32 v16, v10, v18
	;; [unrolled: 1-line block ×3, first 2 shown]
	s_delay_alu instid0(VALU_DEP_3) | instskip(NEXT) | instid1(VALU_DEP_3)
	v_dual_mul_f32 v20, v12, v20 :: v_dual_fmac_f32 v15, v10, v17
	v_fma_f32 v16, v9, v17, -v16
	s_delay_alu instid0(VALU_DEP_3) | instskip(NEXT) | instid1(VALU_DEP_3)
	v_fmac_f32_e32 v18, v12, v19
	v_fma_f32 v17, v11, v19, -v20
	scratch_load_b128 v[9:12], off, off offset:232
	s_wait_loadcnt_dscnt 0x100
	v_mul_f32_e32 v19, v5, v2
	v_mul_f32_e32 v2, v6, v2
	;; [unrolled: 1-line block ×3, first 2 shown]
	s_delay_alu instid0(VALU_DEP_3) | instskip(NEXT) | instid1(VALU_DEP_3)
	v_dual_mul_f32 v4, v8, v4 :: v_dual_fmac_f32 v19, v6, v1
	v_fma_f32 v150, v5, v1, -v2
	s_delay_alu instid0(VALU_DEP_3) | instskip(NEXT) | instid1(VALU_DEP_3)
	v_fmac_f32_e32 v20, v8, v3
	v_fma_f32 v151, v7, v3, -v4
	ds_load_2addr_b64 v[1:4], v21 offset0:87 offset1:88
	ds_load_2addr_b64 v[5:8], v21 offset0:89 offset1:90
	s_wait_loadcnt_dscnt 0x1
	v_mul_f32_e32 v157, v1, v10
	v_mul_f32_e32 v10, v2, v10
	s_delay_alu instid0(VALU_DEP_2) | instskip(NEXT) | instid1(VALU_DEP_2)
	v_dual_mul_f32 v158, v3, v12 :: v_dual_fmac_f32 v157, v2, v9
	v_fma_f32 v159, v1, v9, -v10
	v_mul_f32_e32 v1, v4, v12
	s_delay_alu instid0(VALU_DEP_3) | instskip(NEXT) | instid1(VALU_DEP_2)
	v_fmac_f32_e32 v158, v4, v11
	v_fma_f32 v160, v3, v11, -v1
	s_clause 0x1
	scratch_load_b128 v[1:4], off, off offset:248
	scratch_load_b128 v[9:12], off, off offset:264
	s_wait_loadcnt_dscnt 0x100
	v_mul_f32_e32 v161, v5, v2
	v_dual_mul_f32 v2, v6, v2 :: v_dual_mul_f32 v163, v7, v4
	s_delay_alu instid0(VALU_DEP_2) | instskip(NEXT) | instid1(VALU_DEP_2)
	v_fmac_f32_e32 v161, v6, v1
	v_fma_f32 v162, v5, v1, -v2
	v_mul_f32_e32 v1, v8, v4
	s_delay_alu instid0(VALU_DEP_4) | instskip(NEXT) | instid1(VALU_DEP_2)
	v_fmac_f32_e32 v163, v8, v3
	v_fma_f32 v164, v7, v3, -v1
	ds_load_2addr_b64 v[1:4], v21 offset0:91 offset1:92
	ds_load_2addr_b64 v[5:8], v21 offset0:93 offset1:94
	s_wait_loadcnt_dscnt 0x1
	v_mul_f32_e32 v165, v1, v10
	v_mul_f32_e32 v167, v3, v12
	s_delay_alu instid0(VALU_DEP_2) | instskip(NEXT) | instid1(VALU_DEP_2)
	v_fmac_f32_e32 v165, v2, v9
	v_dual_mul_f32 v2, v2, v10 :: v_dual_fmac_f32 v167, v4, v11
	s_delay_alu instid0(VALU_DEP_1) | instskip(SKIP_1) | instid1(VALU_DEP_1)
	v_fma_f32 v166, v1, v9, -v2
	v_mul_f32_e32 v1, v4, v12
	v_fma_f32 v168, v3, v11, -v1
	s_clause 0x1
	scratch_load_b128 v[1:4], off, off offset:280
	scratch_load_b128 v[9:12], off, off offset:296
	s_wait_loadcnt_dscnt 0x100
	v_mul_f32_e32 v169, v5, v2
	v_dual_mul_f32 v2, v6, v2 :: v_dual_mul_f32 v171, v7, v4
	s_delay_alu instid0(VALU_DEP_2) | instskip(NEXT) | instid1(VALU_DEP_2)
	v_fmac_f32_e32 v169, v6, v1
	v_fma_f32 v170, v5, v1, -v2
	v_mul_f32_e32 v1, v8, v4
	s_delay_alu instid0(VALU_DEP_4) | instskip(NEXT) | instid1(VALU_DEP_2)
	v_fmac_f32_e32 v171, v8, v3
	v_fma_f32 v172, v7, v3, -v1
	ds_load_2addr_b64 v[1:4], v21 offset0:95 offset1:96
	ds_load_2addr_b64 v[5:8], v21 offset0:97 offset1:98
	s_wait_loadcnt_dscnt 0x1
	v_mul_f32_e32 v173, v1, v10
	v_mul_f32_e32 v175, v3, v12
	s_delay_alu instid0(VALU_DEP_2) | instskip(NEXT) | instid1(VALU_DEP_2)
	v_fmac_f32_e32 v173, v2, v9
	v_dual_mul_f32 v2, v2, v10 :: v_dual_fmac_f32 v175, v4, v11
	s_delay_alu instid0(VALU_DEP_1) | instskip(SKIP_1) | instid1(VALU_DEP_1)
	v_fma_f32 v174, v1, v9, -v2
	v_mul_f32_e32 v1, v4, v12
	;; [unrolled: 25-line block ×4, first 2 shown]
	v_fma_f32 v192, v3, v11, -v1
	s_clause 0x1
	scratch_load_b128 v[1:4], off, off offset:376
	scratch_load_b128 v[9:12], off, off offset:392
	s_wait_loadcnt_dscnt 0x100
	v_mul_f32_e32 v193, v5, v2
	v_mul_f32_e32 v2, v6, v2
	s_delay_alu instid0(VALU_DEP_1) | instskip(SKIP_1) | instid1(VALU_DEP_1)
	v_fma_f32 v194, v5, v1, -v2
	v_add_f32_e32 v2, 0, v154
	v_add_f32_e32 v2, v2, v155
	s_delay_alu instid0(VALU_DEP_1) | instskip(NEXT) | instid1(VALU_DEP_1)
	v_add_f32_e32 v2, v2, v24
	v_add_f32_e32 v2, v2, v25
	s_delay_alu instid0(VALU_DEP_1) | instskip(NEXT) | instid1(VALU_DEP_1)
	;; [unrolled: 3-line block ×5, first 2 shown]
	v_add_f32_e32 v2, v2, v19
	v_add_f32_e32 v2, v2, v20
	s_delay_alu instid0(VALU_DEP_1) | instskip(SKIP_1) | instid1(VALU_DEP_2)
	v_dual_add_f32 v2, v2, v157 :: v_dual_mul_f32 v195, v7, v4
	v_fmac_f32_e32 v193, v6, v1
	v_dual_add_f32 v2, v2, v158 :: v_dual_fmac_f32 v195, v8, v3
	s_delay_alu instid0(VALU_DEP_1) | instskip(NEXT) | instid1(VALU_DEP_1)
	v_dual_add_f32 v2, v2, v161 :: v_dual_mul_f32 v1, v8, v4
	v_add_f32_e32 v2, v2, v163
	s_delay_alu instid0(VALU_DEP_2) | instskip(SKIP_1) | instid1(VALU_DEP_1)
	v_fma_f32 v196, v7, v3, -v1
	v_add_f32_e32 v1, 0, v22
	v_add_f32_e32 v1, v1, v23
	s_delay_alu instid0(VALU_DEP_1) | instskip(NEXT) | instid1(VALU_DEP_1)
	v_add_f32_e32 v1, v1, v26
	v_add_f32_e32 v1, v1, v27
	scratch_load_b64 v[26:27], off, off offset:456
	v_add_f32_e32 v1, v1, v28
	s_delay_alu instid0(VALU_DEP_1) | instskip(NEXT) | instid1(VALU_DEP_1)
	v_add_f32_e32 v1, v1, v29
	v_add_f32_e32 v1, v1, v13
	s_delay_alu instid0(VALU_DEP_1) | instskip(NEXT) | instid1(VALU_DEP_1)
	v_add_f32_e32 v1, v1, v14
	;; [unrolled: 3-line block ×9, first 2 shown]
	v_add_f32_e32 v13, v13, v178
	v_add_f32_e32 v5, v2, v165
	ds_load_2addr_b64 v[1:4], v21 offset0:107 offset1:108
	v_add_f32_e32 v18, v13, v180
	s_delay_alu instid0(VALU_DEP_1) | instskip(NEXT) | instid1(VALU_DEP_1)
	v_dual_add_f32 v5, v5, v167 :: v_dual_add_f32 v18, v18, v182
	v_dual_add_f32 v5, v5, v169 :: v_dual_add_f32 v18, v18, v184
	s_delay_alu instid0(VALU_DEP_1)
	v_add_f32_e32 v14, v5, v171
	ds_load_2addr_b64 v[5:8], v21 offset0:109 offset1:110
	v_add_f32_e32 v18, v18, v186
	v_add_f32_e32 v14, v14, v173
	s_wait_loadcnt_dscnt 0x101
	v_mul_f32_e32 v30, v1, v10
	v_mul_f32_e32 v10, v2, v10
	;; [unrolled: 1-line block ×4, first 2 shown]
	v_add_f32_e32 v14, v14, v175
	v_fmac_f32_e32 v30, v2, v9
	v_fma_f32 v149, v1, v9, -v10
	v_fmac_f32_e32 v148, v4, v11
	v_fma_f32 v150, v3, v11, -v12
	s_clause 0x1
	scratch_load_b128 v[1:4], off, off offset:408
	scratch_load_b128 v[9:12], off, off offset:424
	v_add_f32_e32 v17, v14, v177
	scratch_load_b128 v[13:16], off, off offset:440
	v_add_f32_e32 v18, v18, v188
	s_delay_alu instid0(VALU_DEP_1) | instskip(NEXT) | instid1(VALU_DEP_1)
	v_add_f32_e32 v28, v18, v190
	v_add_f32_e32 v151, v28, v192
	s_delay_alu instid0(VALU_DEP_1) | instskip(NEXT) | instid1(VALU_DEP_1)
	v_add_f32_e32 v151, v151, v194
	v_add_f32_e32 v151, v151, v196
	s_delay_alu instid0(VALU_DEP_1) | instskip(SKIP_1) | instid1(VALU_DEP_1)
	v_add_f32_e32 v149, v151, v149
	s_wait_loadcnt_dscnt 0x200
	v_dual_add_f32 v149, v149, v150 :: v_dual_mul_f32 v156, v7, v4
	v_mul_f32_e32 v155, v5, v2
	v_mul_f32_e32 v2, v6, v2
	;; [unrolled: 1-line block ×3, first 2 shown]
	s_delay_alu instid0(VALU_DEP_4) | instskip(SKIP_4) | instid1(VALU_DEP_4)
	v_fmac_f32_e32 v156, v8, v3
	v_add_f32_e32 v17, v17, v179
	v_fmac_f32_e32 v155, v6, v1
	v_fma_f32 v2, v5, v1, -v2
	v_fma_f32 v1, v7, v3, -v4
	v_add_f32_e32 v17, v17, v181
	s_delay_alu instid0(VALU_DEP_3) | instskip(NEXT) | instid1(VALU_DEP_2)
	v_add_f32_e32 v2, v149, v2
	v_add_f32_e32 v17, v17, v183
	s_delay_alu instid0(VALU_DEP_2) | instskip(NEXT) | instid1(VALU_DEP_2)
	v_add_f32_e32 v1, v2, v1
	v_add_f32_e32 v17, v17, v185
	s_delay_alu instid0(VALU_DEP_1)
	v_add_f32_e32 v22, v17, v187
	ds_load_2addr_b64 v[17:20], v21 offset0:111 offset1:112
	v_add_f32_e32 v29, v22, v189
	ds_load_2addr_b64 v[22:25], v21 offset0:113 offset1:114
	v_add_f32_e32 v154, v29, v191
	ds_load_b64 v[28:29], v21 offset:920
	v_add_f32_e32 v154, v154, v193
	s_delay_alu instid0(VALU_DEP_1) | instskip(SKIP_2) | instid1(VALU_DEP_2)
	v_add_f32_e32 v154, v154, v195
	s_wait_loadcnt_dscnt 0x102
	v_mul_f32_e32 v3, v18, v10
	v_add_f32_e32 v30, v154, v30
	s_wait_loadcnt_dscnt 0x1
	v_dual_mul_f32 v154, v19, v12 :: v_dual_mul_f32 v157, v22, v14
	v_mul_f32_e32 v150, v24, v16
	v_fma_f32 v3, v17, v9, -v3
	v_add_f32_e32 v30, v30, v148
	s_wait_dscnt 0x0
	v_mul_f32_e32 v148, v28, v27
	v_dual_fmac_f32 v154, v20, v11 :: v_dual_fmac_f32 v157, v23, v13
	v_fmac_f32_e32 v150, v25, v15
	v_add_f32_e32 v4, v30, v155
	s_delay_alu instid0(VALU_DEP_4) | instskip(SKIP_4) | instid1(VALU_DEP_4)
	v_fmac_f32_e32 v148, v29, v26
	v_mul_f32_e32 v151, v17, v10
	v_add_f32_e32 v1, v1, v3
	v_mul_f32_e32 v3, v25, v16
	v_add_f32_e32 v2, v4, v156
	v_dual_mul_f32 v4, v23, v14 :: v_dual_fmac_f32 v151, v18, v9
	s_delay_alu instid0(VALU_DEP_3) | instskip(NEXT) | instid1(VALU_DEP_2)
	v_fma_f32 v3, v24, v15, -v3
	v_fma_f32 v4, v22, v13, -v4
	s_delay_alu instid0(VALU_DEP_3) | instskip(NEXT) | instid1(VALU_DEP_1)
	v_add_f32_e32 v2, v2, v151
	v_add_f32_e32 v2, v2, v154
	s_delay_alu instid0(VALU_DEP_1) | instskip(NEXT) | instid1(VALU_DEP_1)
	v_dual_add_f32 v2, v2, v157 :: v_dual_mul_f32 v5, v20, v12
	v_add_f32_e32 v2, v2, v150
	s_delay_alu instid0(VALU_DEP_2) | instskip(NEXT) | instid1(VALU_DEP_1)
	v_fma_f32 v5, v19, v11, -v5
	v_dual_add_f32 v2, v2, v148 :: v_dual_add_f32 v1, v1, v5
	v_mul_f32_e32 v5, v29, v27
	s_delay_alu instid0(VALU_DEP_2) | instskip(NEXT) | instid1(VALU_DEP_3)
	v_sub_f32_e32 v2, v153, v2
	v_add_f32_e32 v1, v1, v4
	s_delay_alu instid0(VALU_DEP_3) | instskip(NEXT) | instid1(VALU_DEP_2)
	v_fma_f32 v4, v28, v26, -v5
	v_add_f32_e32 v1, v1, v3
	s_delay_alu instid0(VALU_DEP_1) | instskip(NEXT) | instid1(VALU_DEP_1)
	v_add_f32_e32 v1, v1, v4
	v_sub_f32_e32 v1, v152, v1
	scratch_store_b64 off, v[1:2], off offset:128
	v_cmpx_lt_u32_e32 15, v0
	s_cbranch_execz .LBB121_331
; %bb.330:
	scratch_load_b64 v[1:2], off, off offset:120
	v_mov_b32_e32 v22, v21
	scratch_store_b64 off, v[21:22], off offset:120
	s_wait_loadcnt 0x0
	ds_store_b64 v31, v[1:2]
.LBB121_331:
	s_wait_alu 0xfffe
	s_or_b32 exec_lo, exec_lo, s0
	s_wait_storecnt_dscnt 0x0
	s_barrier_signal -1
	s_barrier_wait -1
	global_inv scope:SCOPE_SE
	s_clause 0x4
	scratch_load_b128 v[5:8], off, off offset:128
	scratch_load_b128 v[1:4], off, off offset:144
	;; [unrolled: 1-line block ×5, first 2 shown]
	ds_load_b128 v[22:25], v21 offset:592
	ds_load_b128 v[26:29], v21 offset:608
	;; [unrolled: 1-line block ×3, first 2 shown]
	scratch_load_b64 v[152:153], off, off offset:120
	s_mov_b32 s0, exec_lo
	s_wait_loadcnt_dscnt 0x502
	v_dual_mul_f32 v30, v23, v6 :: v_dual_mul_f32 v155, v24, v8
	v_mul_f32_e32 v154, v22, v6
	v_mul_f32_e32 v6, v25, v8
	s_wait_loadcnt_dscnt 0x300
	v_mul_f32_e32 v156, v150, v12
	v_fma_f32 v22, v22, v5, -v30
	v_dual_fmac_f32 v155, v25, v7 :: v_dual_fmac_f32 v154, v23, v5
	v_mul_f32_e32 v25, v28, v4
	v_fma_f32 v23, v24, v7, -v6
	ds_load_b128 v[5:8], v21 offset:640
	v_mul_f32_e32 v24, v26, v2
	v_mul_f32_e32 v4, v29, v4
	;; [unrolled: 1-line block ×5, first 2 shown]
	v_dual_mul_f32 v2, v27, v2 :: v_dual_fmac_f32 v25, v29, v3
	v_fmac_f32_e32 v24, v27, v1
	v_fma_f32 v27, v28, v3, -v4
	v_fmac_f32_e32 v30, v149, v9
	v_fma_f32 v28, v148, v9, -v10
	;; [unrolled: 2-line block ×3, first 2 shown]
	ds_load_b128 v[9:12], v21 offset:656
	s_wait_loadcnt_dscnt 0x201
	v_mul_f32_e32 v148, v5, v14
	v_dual_mul_f32 v14, v6, v14 :: v_dual_mul_f32 v149, v7, v16
	v_mul_f32_e32 v16, v8, v16
	s_delay_alu instid0(VALU_DEP_3) | instskip(NEXT) | instid1(VALU_DEP_3)
	v_fmac_f32_e32 v148, v6, v13
	v_fma_f32 v13, v5, v13, -v14
	s_delay_alu instid0(VALU_DEP_4) | instskip(NEXT) | instid1(VALU_DEP_4)
	v_fmac_f32_e32 v149, v8, v15
	v_fma_f32 v14, v7, v15, -v16
	ds_load_b128 v[5:8], v21 offset:672
	s_wait_loadcnt_dscnt 0x101
	v_mul_f32_e32 v15, v9, v18
	v_mul_f32_e32 v16, v10, v18
	;; [unrolled: 1-line block ×3, first 2 shown]
	s_delay_alu instid0(VALU_DEP_3)
	v_dual_mul_f32 v20, v12, v20 :: v_dual_fmac_f32 v15, v10, v17
	v_fma_f32 v26, v26, v1, -v2
	scratch_load_b128 v[1:4], off, off offset:208
	v_fma_f32 v16, v9, v17, -v16
	v_fmac_f32_e32 v18, v12, v19
	v_fma_f32 v17, v11, v19, -v20
	scratch_load_b128 v[9:12], off, off offset:224
	s_wait_loadcnt_dscnt 0x100
	v_mul_f32_e32 v19, v5, v2
	v_mul_f32_e32 v2, v6, v2
	;; [unrolled: 1-line block ×3, first 2 shown]
	s_delay_alu instid0(VALU_DEP_3) | instskip(NEXT) | instid1(VALU_DEP_3)
	v_dual_mul_f32 v4, v8, v4 :: v_dual_fmac_f32 v19, v6, v1
	v_fma_f32 v150, v5, v1, -v2
	s_delay_alu instid0(VALU_DEP_3) | instskip(NEXT) | instid1(VALU_DEP_3)
	v_fmac_f32_e32 v20, v8, v3
	v_fma_f32 v151, v7, v3, -v4
	ds_load_b128 v[1:4], v21 offset:688
	ds_load_b128 v[5:8], v21 offset:704
	s_wait_loadcnt_dscnt 0x1
	v_mul_f32_e32 v157, v1, v10
	v_mul_f32_e32 v10, v2, v10
	s_delay_alu instid0(VALU_DEP_2) | instskip(NEXT) | instid1(VALU_DEP_2)
	v_dual_mul_f32 v158, v3, v12 :: v_dual_fmac_f32 v157, v2, v9
	v_fma_f32 v159, v1, v9, -v10
	v_mul_f32_e32 v1, v4, v12
	s_delay_alu instid0(VALU_DEP_3) | instskip(NEXT) | instid1(VALU_DEP_2)
	v_fmac_f32_e32 v158, v4, v11
	v_fma_f32 v160, v3, v11, -v1
	s_clause 0x1
	scratch_load_b128 v[1:4], off, off offset:240
	scratch_load_b128 v[9:12], off, off offset:256
	s_wait_loadcnt_dscnt 0x100
	v_mul_f32_e32 v161, v5, v2
	v_dual_mul_f32 v2, v6, v2 :: v_dual_mul_f32 v163, v7, v4
	s_delay_alu instid0(VALU_DEP_2) | instskip(NEXT) | instid1(VALU_DEP_2)
	v_fmac_f32_e32 v161, v6, v1
	v_fma_f32 v162, v5, v1, -v2
	v_mul_f32_e32 v1, v8, v4
	s_delay_alu instid0(VALU_DEP_4) | instskip(NEXT) | instid1(VALU_DEP_2)
	v_fmac_f32_e32 v163, v8, v3
	v_fma_f32 v164, v7, v3, -v1
	ds_load_b128 v[1:4], v21 offset:720
	ds_load_b128 v[5:8], v21 offset:736
	s_wait_loadcnt_dscnt 0x1
	v_mul_f32_e32 v165, v1, v10
	v_mul_f32_e32 v167, v3, v12
	s_delay_alu instid0(VALU_DEP_2) | instskip(NEXT) | instid1(VALU_DEP_2)
	v_fmac_f32_e32 v165, v2, v9
	v_dual_mul_f32 v2, v2, v10 :: v_dual_fmac_f32 v167, v4, v11
	s_delay_alu instid0(VALU_DEP_1) | instskip(SKIP_1) | instid1(VALU_DEP_1)
	v_fma_f32 v166, v1, v9, -v2
	v_mul_f32_e32 v1, v4, v12
	v_fma_f32 v168, v3, v11, -v1
	s_clause 0x1
	scratch_load_b128 v[1:4], off, off offset:272
	scratch_load_b128 v[9:12], off, off offset:288
	s_wait_loadcnt_dscnt 0x100
	v_mul_f32_e32 v169, v5, v2
	v_dual_mul_f32 v2, v6, v2 :: v_dual_mul_f32 v171, v7, v4
	s_delay_alu instid0(VALU_DEP_2) | instskip(NEXT) | instid1(VALU_DEP_2)
	v_fmac_f32_e32 v169, v6, v1
	v_fma_f32 v170, v5, v1, -v2
	v_mul_f32_e32 v1, v8, v4
	s_delay_alu instid0(VALU_DEP_4) | instskip(NEXT) | instid1(VALU_DEP_2)
	v_fmac_f32_e32 v171, v8, v3
	v_fma_f32 v172, v7, v3, -v1
	ds_load_b128 v[1:4], v21 offset:752
	ds_load_b128 v[5:8], v21 offset:768
	s_wait_loadcnt_dscnt 0x1
	v_mul_f32_e32 v173, v1, v10
	v_mul_f32_e32 v175, v3, v12
	s_delay_alu instid0(VALU_DEP_2) | instskip(NEXT) | instid1(VALU_DEP_2)
	v_fmac_f32_e32 v173, v2, v9
	v_dual_mul_f32 v2, v2, v10 :: v_dual_fmac_f32 v175, v4, v11
	s_delay_alu instid0(VALU_DEP_1) | instskip(SKIP_1) | instid1(VALU_DEP_1)
	v_fma_f32 v174, v1, v9, -v2
	v_mul_f32_e32 v1, v4, v12
	;; [unrolled: 25-line block ×4, first 2 shown]
	v_fma_f32 v192, v3, v11, -v1
	s_clause 0x1
	scratch_load_b128 v[1:4], off, off offset:368
	scratch_load_b128 v[9:12], off, off offset:384
	s_wait_loadcnt_dscnt 0x100
	v_mul_f32_e32 v193, v5, v2
	v_mul_f32_e32 v2, v6, v2
	s_delay_alu instid0(VALU_DEP_1) | instskip(SKIP_1) | instid1(VALU_DEP_1)
	v_fma_f32 v194, v5, v1, -v2
	v_add_f32_e32 v2, 0, v154
	v_add_f32_e32 v2, v2, v155
	s_delay_alu instid0(VALU_DEP_1) | instskip(NEXT) | instid1(VALU_DEP_1)
	v_add_f32_e32 v2, v2, v24
	v_add_f32_e32 v2, v2, v25
	s_delay_alu instid0(VALU_DEP_1) | instskip(NEXT) | instid1(VALU_DEP_1)
	;; [unrolled: 3-line block ×5, first 2 shown]
	v_add_f32_e32 v2, v2, v19
	v_add_f32_e32 v2, v2, v20
	s_delay_alu instid0(VALU_DEP_1) | instskip(SKIP_1) | instid1(VALU_DEP_2)
	v_dual_add_f32 v2, v2, v157 :: v_dual_mul_f32 v195, v7, v4
	v_fmac_f32_e32 v193, v6, v1
	v_dual_add_f32 v2, v2, v158 :: v_dual_fmac_f32 v195, v8, v3
	s_delay_alu instid0(VALU_DEP_1) | instskip(NEXT) | instid1(VALU_DEP_1)
	v_dual_add_f32 v2, v2, v161 :: v_dual_mul_f32 v1, v8, v4
	v_add_f32_e32 v2, v2, v163
	s_delay_alu instid0(VALU_DEP_2) | instskip(NEXT) | instid1(VALU_DEP_2)
	v_fma_f32 v196, v7, v3, -v1
	v_dual_add_f32 v1, 0, v22 :: v_dual_add_f32 v2, v2, v165
	s_delay_alu instid0(VALU_DEP_1) | instskip(NEXT) | instid1(VALU_DEP_2)
	v_add_f32_e32 v1, v1, v23
	v_add_f32_e32 v5, v2, v167
	s_delay_alu instid0(VALU_DEP_2) | instskip(NEXT) | instid1(VALU_DEP_1)
	v_add_f32_e32 v1, v1, v26
	v_add_f32_e32 v1, v1, v27
	s_delay_alu instid0(VALU_DEP_1) | instskip(NEXT) | instid1(VALU_DEP_1)
	v_add_f32_e32 v1, v1, v28
	v_add_f32_e32 v1, v1, v29
	s_delay_alu instid0(VALU_DEP_1) | instskip(SKIP_1) | instid1(VALU_DEP_1)
	v_add_f32_e32 v1, v1, v13
	v_add_f32_e32 v13, v5, v169
	;; [unrolled: 1-line block ×3, first 2 shown]
	s_delay_alu instid0(VALU_DEP_1) | instskip(NEXT) | instid1(VALU_DEP_1)
	v_add_f32_e32 v13, v13, v173
	v_add_f32_e32 v18, v13, v175
	s_delay_alu instid0(VALU_DEP_1) | instskip(NEXT) | instid1(VALU_DEP_1)
	v_add_f32_e32 v18, v18, v177
	v_dual_add_f32 v18, v18, v179 :: v_dual_add_f32 v1, v1, v14
	s_delay_alu instid0(VALU_DEP_1) | instskip(NEXT) | instid1(VALU_DEP_1)
	v_add_f32_e32 v1, v1, v16
	v_add_f32_e32 v1, v1, v17
	s_delay_alu instid0(VALU_DEP_1) | instskip(NEXT) | instid1(VALU_DEP_1)
	v_add_f32_e32 v1, v1, v150
	v_add_f32_e32 v1, v1, v151
	;; [unrolled: 3-line block ×5, first 2 shown]
	s_delay_alu instid0(VALU_DEP_1)
	v_add_f32_e32 v6, v1, v170
	ds_load_b128 v[1:4], v21 offset:848
	v_add_f32_e32 v22, v18, v181
	v_add_f32_e32 v14, v6, v172
	scratch_load_b128 v[5:8], off, off offset:400
	v_add_f32_e32 v22, v22, v183
	v_add_f32_e32 v14, v14, v174
	s_delay_alu instid0(VALU_DEP_2) | instskip(NEXT) | instid1(VALU_DEP_2)
	v_add_f32_e32 v22, v22, v185
	v_add_f32_e32 v17, v14, v176
	ds_load_b128 v[13:16], v21 offset:864
	s_wait_loadcnt_dscnt 0x101
	v_mul_f32_e32 v25, v1, v10
	v_mul_f32_e32 v10, v2, v10
	;; [unrolled: 1-line block ×3, first 2 shown]
	s_delay_alu instid0(VALU_DEP_3) | instskip(NEXT) | instid1(VALU_DEP_3)
	v_dual_mul_f32 v12, v4, v12 :: v_dual_fmac_f32 v25, v2, v9
	v_fma_f32 v27, v1, v9, -v10
	s_delay_alu instid0(VALU_DEP_3) | instskip(NEXT) | instid1(VALU_DEP_3)
	v_fmac_f32_e32 v26, v4, v11
	v_fma_f32 v28, v3, v11, -v12
	s_clause 0x1
	scratch_load_b128 v[1:4], off, off offset:416
	scratch_load_b128 v[9:12], off, off offset:432
	s_wait_loadcnt_dscnt 0x200
	v_mul_f32_e32 v29, v13, v6
	v_mul_f32_e32 v6, v14, v6
	;; [unrolled: 1-line block ×3, first 2 shown]
	s_delay_alu instid0(VALU_DEP_3) | instskip(NEXT) | instid1(VALU_DEP_3)
	v_dual_mul_f32 v8, v16, v8 :: v_dual_fmac_f32 v29, v14, v5
	v_fma_f32 v148, v13, v5, -v6
	s_delay_alu instid0(VALU_DEP_3) | instskip(NEXT) | instid1(VALU_DEP_3)
	v_fmac_f32_e32 v30, v16, v7
	v_fma_f32 v149, v15, v7, -v8
	ds_load_b128 v[5:8], v21 offset:880
	v_add_f32_e32 v17, v17, v178
	v_add_f32_e32 v13, v22, v187
	s_delay_alu instid0(VALU_DEP_2) | instskip(NEXT) | instid1(VALU_DEP_1)
	v_add_f32_e32 v17, v17, v180
	v_add_f32_e32 v17, v17, v182
	s_delay_alu instid0(VALU_DEP_1) | instskip(SKIP_2) | instid1(VALU_DEP_1)
	v_add_f32_e32 v23, v17, v184
	scratch_load_b128 v[17:20], off, off offset:448
	v_add_f32_e32 v23, v23, v186
	v_add_f32_e32 v23, v23, v188
	s_delay_alu instid0(VALU_DEP_1)
	v_dual_add_f32 v22, v23, v190 :: v_dual_add_f32 v23, v13, v189
	ds_load_b128 v[13:16], v21 offset:896
	s_wait_loadcnt_dscnt 0x201
	v_mul_f32_e32 v154, v5, v2
	v_mul_f32_e32 v2, v6, v2
	v_dual_add_f32 v150, v22, v192 :: v_dual_add_f32 v151, v23, v191
	ds_load_b128 v[21:24], v21 offset:912
	v_fmac_f32_e32 v154, v6, v1
	v_fma_f32 v2, v5, v1, -v2
	v_add_f32_e32 v150, v150, v194
	s_delay_alu instid0(VALU_DEP_1) | instskip(NEXT) | instid1(VALU_DEP_1)
	v_add_f32_e32 v150, v150, v196
	v_dual_add_f32 v27, v150, v27 :: v_dual_mul_f32 v150, v7, v4
	v_mul_f32_e32 v4, v8, v4
	s_wait_loadcnt_dscnt 0x101
	v_dual_mul_f32 v6, v14, v10 :: v_dual_mul_f32 v155, v15, v12
	s_delay_alu instid0(VALU_DEP_3) | instskip(NEXT) | instid1(VALU_DEP_3)
	v_dual_add_f32 v27, v27, v28 :: v_dual_fmac_f32 v150, v8, v3
	v_fma_f32 v3, v7, v3, -v4
	v_mul_f32_e32 v4, v16, v12
	s_delay_alu instid0(VALU_DEP_4) | instskip(NEXT) | instid1(VALU_DEP_4)
	v_fmac_f32_e32 v155, v16, v11
	v_add_f32_e32 v27, v27, v148
	s_delay_alu instid0(VALU_DEP_3) | instskip(NEXT) | instid1(VALU_DEP_2)
	v_fma_f32 v4, v15, v11, -v4
	v_add_f32_e32 v1, v27, v149
	s_delay_alu instid0(VALU_DEP_1) | instskip(SKIP_1) | instid1(VALU_DEP_1)
	v_add_f32_e32 v1, v1, v2
	s_wait_loadcnt_dscnt 0x0
	v_dual_add_f32 v1, v1, v3 :: v_dual_mul_f32 v28, v23, v20
	s_delay_alu instid0(VALU_DEP_1) | instskip(SKIP_1) | instid1(VALU_DEP_2)
	v_dual_mul_f32 v3, v22, v18 :: v_dual_fmac_f32 v28, v24, v19
	v_add_f32_e32 v151, v151, v193
	v_fma_f32 v3, v21, v17, -v3
	s_delay_alu instid0(VALU_DEP_2) | instskip(NEXT) | instid1(VALU_DEP_1)
	v_add_f32_e32 v151, v151, v195
	v_add_f32_e32 v25, v151, v25
	v_mul_f32_e32 v151, v13, v10
	s_delay_alu instid0(VALU_DEP_2) | instskip(NEXT) | instid1(VALU_DEP_2)
	v_add_f32_e32 v25, v25, v26
	v_dual_fmac_f32 v151, v14, v9 :: v_dual_mul_f32 v26, v21, v18
	s_delay_alu instid0(VALU_DEP_2) | instskip(NEXT) | instid1(VALU_DEP_1)
	v_add_f32_e32 v25, v25, v29
	v_dual_fmac_f32 v26, v22, v17 :: v_dual_add_f32 v5, v25, v30
	s_delay_alu instid0(VALU_DEP_1) | instskip(SKIP_1) | instid1(VALU_DEP_1)
	v_add_f32_e32 v2, v5, v154
	v_fma_f32 v5, v13, v9, -v6
	v_dual_add_f32 v2, v2, v150 :: v_dual_add_f32 v1, v1, v5
	s_delay_alu instid0(VALU_DEP_1) | instskip(NEXT) | instid1(VALU_DEP_2)
	v_dual_mul_f32 v5, v24, v20 :: v_dual_add_f32 v2, v2, v151
	v_add_f32_e32 v1, v1, v4
	s_delay_alu instid0(VALU_DEP_2) | instskip(NEXT) | instid1(VALU_DEP_3)
	v_fma_f32 v4, v23, v19, -v5
	v_add_f32_e32 v2, v2, v155
	s_delay_alu instid0(VALU_DEP_1) | instskip(NEXT) | instid1(VALU_DEP_1)
	v_dual_add_f32 v1, v1, v3 :: v_dual_add_f32 v2, v2, v26
	v_add_f32_e32 v1, v1, v4
	s_delay_alu instid0(VALU_DEP_1) | instskip(NEXT) | instid1(VALU_DEP_1)
	v_dual_add_f32 v2, v2, v28 :: v_dual_sub_f32 v1, v152, v1
	v_sub_f32_e32 v2, v153, v2
	scratch_store_b64 off, v[1:2], off offset:120
	v_cmpx_lt_u32_e32 14, v0
	s_cbranch_execz .LBB121_333
; %bb.332:
	scratch_load_b64 v[1:2], off, off offset:112
	v_mov_b32_e32 v3, 0
	s_delay_alu instid0(VALU_DEP_1)
	v_mov_b32_e32 v4, v3
	scratch_store_b64 off, v[3:4], off offset:112
	s_wait_loadcnt 0x0
	ds_store_b64 v31, v[1:2]
.LBB121_333:
	s_wait_alu 0xfffe
	s_or_b32 exec_lo, exec_lo, s0
	s_wait_storecnt_dscnt 0x0
	s_barrier_signal -1
	s_barrier_wait -1
	global_inv scope:SCOPE_SE
	s_clause 0x4
	scratch_load_b128 v[5:8], off, off offset:120
	scratch_load_b128 v[1:4], off, off offset:136
	;; [unrolled: 1-line block ×5, first 2 shown]
	v_mov_b32_e32 v21, 0
	ds_load_2addr_b64 v[22:25], v21 offset0:73 offset1:74
	ds_load_2addr_b64 v[26:29], v21 offset0:75 offset1:76
	;; [unrolled: 1-line block ×3, first 2 shown]
	scratch_load_b64 v[152:153], off, off offset:112
	s_mov_b32 s0, exec_lo
	s_wait_loadcnt_dscnt 0x502
	v_mul_f32_e32 v30, v23, v6
	v_dual_mul_f32 v154, v22, v6 :: v_dual_mul_f32 v155, v24, v8
	v_mul_f32_e32 v6, v25, v8
	s_wait_loadcnt_dscnt 0x300
	v_mul_f32_e32 v156, v150, v12
	v_fma_f32 v22, v22, v5, -v30
	v_dual_fmac_f32 v154, v23, v5 :: v_dual_fmac_f32 v155, v25, v7
	v_fma_f32 v23, v24, v7, -v6
	v_dual_mul_f32 v24, v26, v2 :: v_dual_mul_f32 v25, v28, v4
	v_mul_f32_e32 v2, v27, v2
	v_mul_f32_e32 v4, v29, v4
	ds_load_2addr_b64 v[5:8], v21 offset0:79 offset1:80
	v_mul_f32_e32 v30, v148, v10
	v_dual_fmac_f32 v24, v27, v1 :: v_dual_fmac_f32 v25, v29, v3
	v_fma_f32 v26, v26, v1, -v2
	v_fma_f32 v27, v28, v3, -v4
	v_mul_f32_e32 v12, v151, v12
	scratch_load_b128 v[1:4], off, off offset:200
	v_mul_f32_e32 v10, v149, v10
	v_fmac_f32_e32 v30, v149, v9
	v_fmac_f32_e32 v156, v151, v11
	v_fma_f32 v29, v150, v11, -v12
	s_delay_alu instid0(VALU_DEP_4)
	v_fma_f32 v28, v148, v9, -v10
	ds_load_2addr_b64 v[9:12], v21 offset0:81 offset1:82
	s_wait_loadcnt_dscnt 0x301
	v_mul_f32_e32 v148, v5, v14
	v_dual_mul_f32 v14, v6, v14 :: v_dual_mul_f32 v149, v7, v16
	v_mul_f32_e32 v16, v8, v16
	s_delay_alu instid0(VALU_DEP_3) | instskip(NEXT) | instid1(VALU_DEP_3)
	v_fmac_f32_e32 v148, v6, v13
	v_fma_f32 v13, v5, v13, -v14
	s_delay_alu instid0(VALU_DEP_4) | instskip(NEXT) | instid1(VALU_DEP_4)
	v_fmac_f32_e32 v149, v8, v15
	v_fma_f32 v14, v7, v15, -v16
	ds_load_2addr_b64 v[5:8], v21 offset0:83 offset1:84
	s_wait_loadcnt_dscnt 0x201
	v_mul_f32_e32 v15, v9, v18
	v_mul_f32_e32 v16, v10, v18
	;; [unrolled: 1-line block ×3, first 2 shown]
	s_delay_alu instid0(VALU_DEP_3) | instskip(NEXT) | instid1(VALU_DEP_3)
	v_dual_mul_f32 v20, v12, v20 :: v_dual_fmac_f32 v15, v10, v17
	v_fma_f32 v16, v9, v17, -v16
	s_delay_alu instid0(VALU_DEP_3) | instskip(NEXT) | instid1(VALU_DEP_3)
	v_fmac_f32_e32 v18, v12, v19
	v_fma_f32 v17, v11, v19, -v20
	scratch_load_b128 v[9:12], off, off offset:216
	s_wait_loadcnt_dscnt 0x100
	v_mul_f32_e32 v19, v5, v2
	v_mul_f32_e32 v2, v6, v2
	;; [unrolled: 1-line block ×3, first 2 shown]
	s_delay_alu instid0(VALU_DEP_3) | instskip(NEXT) | instid1(VALU_DEP_3)
	v_dual_mul_f32 v4, v8, v4 :: v_dual_fmac_f32 v19, v6, v1
	v_fma_f32 v150, v5, v1, -v2
	s_delay_alu instid0(VALU_DEP_3) | instskip(NEXT) | instid1(VALU_DEP_3)
	v_fmac_f32_e32 v20, v8, v3
	v_fma_f32 v151, v7, v3, -v4
	ds_load_2addr_b64 v[1:4], v21 offset0:85 offset1:86
	ds_load_2addr_b64 v[5:8], v21 offset0:87 offset1:88
	s_wait_loadcnt_dscnt 0x1
	v_mul_f32_e32 v157, v1, v10
	v_mul_f32_e32 v10, v2, v10
	s_delay_alu instid0(VALU_DEP_2) | instskip(NEXT) | instid1(VALU_DEP_2)
	v_dual_mul_f32 v158, v3, v12 :: v_dual_fmac_f32 v157, v2, v9
	v_fma_f32 v159, v1, v9, -v10
	v_mul_f32_e32 v1, v4, v12
	s_delay_alu instid0(VALU_DEP_3) | instskip(NEXT) | instid1(VALU_DEP_2)
	v_fmac_f32_e32 v158, v4, v11
	v_fma_f32 v160, v3, v11, -v1
	s_clause 0x1
	scratch_load_b128 v[1:4], off, off offset:232
	scratch_load_b128 v[9:12], off, off offset:248
	s_wait_loadcnt_dscnt 0x100
	v_mul_f32_e32 v161, v5, v2
	v_dual_mul_f32 v2, v6, v2 :: v_dual_mul_f32 v163, v7, v4
	s_delay_alu instid0(VALU_DEP_2) | instskip(NEXT) | instid1(VALU_DEP_2)
	v_fmac_f32_e32 v161, v6, v1
	v_fma_f32 v162, v5, v1, -v2
	v_mul_f32_e32 v1, v8, v4
	s_delay_alu instid0(VALU_DEP_4) | instskip(NEXT) | instid1(VALU_DEP_2)
	v_fmac_f32_e32 v163, v8, v3
	v_fma_f32 v164, v7, v3, -v1
	ds_load_2addr_b64 v[1:4], v21 offset0:89 offset1:90
	ds_load_2addr_b64 v[5:8], v21 offset0:91 offset1:92
	s_wait_loadcnt_dscnt 0x1
	v_mul_f32_e32 v165, v1, v10
	v_mul_f32_e32 v167, v3, v12
	s_delay_alu instid0(VALU_DEP_2) | instskip(NEXT) | instid1(VALU_DEP_2)
	v_fmac_f32_e32 v165, v2, v9
	v_dual_mul_f32 v2, v2, v10 :: v_dual_fmac_f32 v167, v4, v11
	s_delay_alu instid0(VALU_DEP_1) | instskip(SKIP_1) | instid1(VALU_DEP_1)
	v_fma_f32 v166, v1, v9, -v2
	v_mul_f32_e32 v1, v4, v12
	v_fma_f32 v168, v3, v11, -v1
	s_clause 0x1
	scratch_load_b128 v[1:4], off, off offset:264
	scratch_load_b128 v[9:12], off, off offset:280
	s_wait_loadcnt_dscnt 0x100
	v_mul_f32_e32 v169, v5, v2
	v_dual_mul_f32 v2, v6, v2 :: v_dual_mul_f32 v171, v7, v4
	s_delay_alu instid0(VALU_DEP_2) | instskip(NEXT) | instid1(VALU_DEP_2)
	v_fmac_f32_e32 v169, v6, v1
	v_fma_f32 v170, v5, v1, -v2
	v_mul_f32_e32 v1, v8, v4
	s_delay_alu instid0(VALU_DEP_4) | instskip(NEXT) | instid1(VALU_DEP_2)
	v_fmac_f32_e32 v171, v8, v3
	v_fma_f32 v172, v7, v3, -v1
	ds_load_2addr_b64 v[1:4], v21 offset0:93 offset1:94
	ds_load_2addr_b64 v[5:8], v21 offset0:95 offset1:96
	s_wait_loadcnt_dscnt 0x1
	v_mul_f32_e32 v173, v1, v10
	v_mul_f32_e32 v175, v3, v12
	s_delay_alu instid0(VALU_DEP_2) | instskip(NEXT) | instid1(VALU_DEP_2)
	v_fmac_f32_e32 v173, v2, v9
	v_dual_mul_f32 v2, v2, v10 :: v_dual_fmac_f32 v175, v4, v11
	s_delay_alu instid0(VALU_DEP_1) | instskip(SKIP_1) | instid1(VALU_DEP_1)
	v_fma_f32 v174, v1, v9, -v2
	v_mul_f32_e32 v1, v4, v12
	;; [unrolled: 25-line block ×4, first 2 shown]
	v_fma_f32 v192, v3, v11, -v1
	s_clause 0x1
	scratch_load_b128 v[1:4], off, off offset:360
	scratch_load_b128 v[9:12], off, off offset:376
	s_wait_loadcnt_dscnt 0x100
	v_mul_f32_e32 v193, v5, v2
	v_mul_f32_e32 v2, v6, v2
	s_delay_alu instid0(VALU_DEP_1) | instskip(SKIP_1) | instid1(VALU_DEP_1)
	v_fma_f32 v194, v5, v1, -v2
	v_add_f32_e32 v2, 0, v154
	v_add_f32_e32 v2, v2, v155
	s_delay_alu instid0(VALU_DEP_1) | instskip(NEXT) | instid1(VALU_DEP_1)
	v_add_f32_e32 v2, v2, v24
	v_add_f32_e32 v2, v2, v25
	s_delay_alu instid0(VALU_DEP_1) | instskip(NEXT) | instid1(VALU_DEP_1)
	;; [unrolled: 3-line block ×5, first 2 shown]
	v_add_f32_e32 v2, v2, v19
	v_add_f32_e32 v2, v2, v20
	s_delay_alu instid0(VALU_DEP_1) | instskip(SKIP_1) | instid1(VALU_DEP_2)
	v_dual_add_f32 v2, v2, v157 :: v_dual_mul_f32 v195, v7, v4
	v_fmac_f32_e32 v193, v6, v1
	v_dual_add_f32 v2, v2, v158 :: v_dual_fmac_f32 v195, v8, v3
	s_delay_alu instid0(VALU_DEP_1) | instskip(NEXT) | instid1(VALU_DEP_1)
	v_dual_add_f32 v2, v2, v161 :: v_dual_mul_f32 v1, v8, v4
	v_add_f32_e32 v2, v2, v163
	s_delay_alu instid0(VALU_DEP_2) | instskip(NEXT) | instid1(VALU_DEP_2)
	v_fma_f32 v196, v7, v3, -v1
	v_dual_add_f32 v1, 0, v22 :: v_dual_add_f32 v2, v2, v165
	s_delay_alu instid0(VALU_DEP_1) | instskip(NEXT) | instid1(VALU_DEP_2)
	v_add_f32_e32 v1, v1, v23
	v_add_f32_e32 v5, v2, v167
	s_delay_alu instid0(VALU_DEP_2) | instskip(NEXT) | instid1(VALU_DEP_1)
	v_add_f32_e32 v1, v1, v26
	v_add_f32_e32 v1, v1, v27
	scratch_load_b64 v[26:27], off, off offset:456
	v_add_f32_e32 v1, v1, v28
	s_delay_alu instid0(VALU_DEP_1) | instskip(NEXT) | instid1(VALU_DEP_1)
	v_add_f32_e32 v1, v1, v29
	v_add_f32_e32 v1, v1, v13
	;; [unrolled: 1-line block ×3, first 2 shown]
	s_delay_alu instid0(VALU_DEP_2) | instskip(NEXT) | instid1(VALU_DEP_2)
	v_add_f32_e32 v1, v1, v14
	v_add_f32_e32 v13, v13, v171
	s_delay_alu instid0(VALU_DEP_1) | instskip(NEXT) | instid1(VALU_DEP_1)
	v_add_f32_e32 v13, v13, v173
	v_add_f32_e32 v18, v13, v175
	s_delay_alu instid0(VALU_DEP_4) | instskip(NEXT) | instid1(VALU_DEP_1)
	v_add_f32_e32 v1, v1, v16
	v_add_f32_e32 v1, v1, v17
	s_delay_alu instid0(VALU_DEP_1) | instskip(NEXT) | instid1(VALU_DEP_1)
	v_add_f32_e32 v1, v1, v150
	v_add_f32_e32 v1, v1, v151
	s_delay_alu instid0(VALU_DEP_1) | instskip(NEXT) | instid1(VALU_DEP_1)
	v_add_f32_e32 v1, v1, v159
	v_add_f32_e32 v1, v1, v160
	s_delay_alu instid0(VALU_DEP_1) | instskip(NEXT) | instid1(VALU_DEP_1)
	v_add_f32_e32 v1, v1, v162
	v_add_f32_e32 v1, v1, v164
	s_delay_alu instid0(VALU_DEP_1) | instskip(NEXT) | instid1(VALU_DEP_1)
	v_add_f32_e32 v1, v1, v166
	v_add_f32_e32 v1, v1, v168
	s_delay_alu instid0(VALU_DEP_1)
	v_add_f32_e32 v6, v1, v170
	scratch_load_b128 v[1:4], off, off offset:392
	v_add_f32_e32 v18, v18, v177
	v_add_f32_e32 v14, v6, v172
	ds_load_2addr_b64 v[5:8], v21 offset0:105 offset1:106
	v_add_f32_e32 v18, v18, v179
	v_add_f32_e32 v14, v14, v174
	s_delay_alu instid0(VALU_DEP_2) | instskip(NEXT) | instid1(VALU_DEP_2)
	v_add_f32_e32 v22, v18, v181
	v_add_f32_e32 v17, v14, v176
	ds_load_2addr_b64 v[13:16], v21 offset0:107 offset1:108
	v_add_f32_e32 v22, v22, v183
	s_wait_loadcnt_dscnt 0x201
	v_mul_f32_e32 v30, v5, v10
	v_mul_f32_e32 v10, v6, v10
	;; [unrolled: 1-line block ×4, first 2 shown]
	v_add_f32_e32 v22, v22, v185
	v_fmac_f32_e32 v30, v6, v9
	v_fma_f32 v149, v5, v9, -v10
	v_fmac_f32_e32 v148, v8, v11
	v_fma_f32 v150, v7, v11, -v12
	scratch_load_b128 v[5:8], off, off offset:408
	v_add_f32_e32 v22, v22, v187
	scratch_load_b128 v[9:12], off, off offset:424
	s_wait_loadcnt_dscnt 0x200
	v_mul_f32_e32 v151, v13, v2
	v_mul_f32_e32 v2, v14, v2
	;; [unrolled: 1-line block ×4, first 2 shown]
	s_delay_alu instid0(VALU_DEP_3) | instskip(NEXT) | instid1(VALU_DEP_3)
	v_fma_f32 v155, v13, v1, -v2
	v_dual_add_f32 v13, v22, v189 :: v_dual_fmac_f32 v154, v16, v3
	s_delay_alu instid0(VALU_DEP_3) | instskip(NEXT) | instid1(VALU_DEP_2)
	v_fma_f32 v156, v15, v3, -v4
	v_add_f32_e32 v22, v13, v191
	s_delay_alu instid0(VALU_DEP_1) | instskip(SKIP_4) | instid1(VALU_DEP_1)
	v_add_f32_e32 v29, v22, v193
	v_fmac_f32_e32 v151, v14, v1
	ds_load_2addr_b64 v[1:4], v21 offset0:109 offset1:110
	v_add_f32_e32 v17, v17, v178
	v_add_f32_e32 v158, v29, v195
	;; [unrolled: 1-line block ×3, first 2 shown]
	s_delay_alu instid0(VALU_DEP_1) | instskip(NEXT) | instid1(VALU_DEP_1)
	v_add_f32_e32 v30, v30, v148
	v_dual_add_f32 v17, v17, v180 :: v_dual_add_f32 v30, v30, v151
	s_delay_alu instid0(VALU_DEP_1) | instskip(NEXT) | instid1(VALU_DEP_1)
	v_add_f32_e32 v17, v17, v182
	v_dual_add_f32 v30, v30, v154 :: v_dual_add_f32 v23, v17, v184
	scratch_load_b128 v[17:20], off, off offset:440
	v_add_f32_e32 v23, v23, v186
	s_delay_alu instid0(VALU_DEP_1) | instskip(NEXT) | instid1(VALU_DEP_1)
	v_add_f32_e32 v23, v23, v188
	v_add_f32_e32 v23, v23, v190
	s_delay_alu instid0(VALU_DEP_1)
	v_add_f32_e32 v14, v23, v192
	ds_load_2addr_b64 v[22:25], v21 offset0:113 offset1:114
	v_add_f32_e32 v28, v14, v194
	ds_load_2addr_b64 v[13:16], v21 offset0:111 offset1:112
	s_wait_loadcnt_dscnt 0x202
	v_mul_f32_e32 v148, v3, v8
	v_mul_f32_e32 v8, v4, v8
	v_add_f32_e32 v157, v28, v196
	ds_load_b64 v[28:29], v21 offset:920
	v_dual_fmac_f32 v148, v4, v7 :: v_dual_add_f32 v149, v157, v149
	s_delay_alu instid0(VALU_DEP_1) | instskip(NEXT) | instid1(VALU_DEP_1)
	v_add_f32_e32 v149, v149, v150
	v_add_f32_e32 v149, v149, v155
	s_wait_loadcnt_dscnt 0x101
	v_mul_f32_e32 v150, v13, v10
	s_wait_dscnt 0x0
	v_mul_f32_e32 v154, v28, v27
	s_delay_alu instid0(VALU_DEP_2) | instskip(NEXT) | instid1(VALU_DEP_2)
	v_fmac_f32_e32 v150, v14, v9
	v_fmac_f32_e32 v154, v29, v26
	v_add_f32_e32 v149, v149, v156
	s_wait_loadcnt 0x0
	v_dual_mul_f32 v155, v22, v18 :: v_dual_mul_f32 v156, v24, v20
	v_mul_f32_e32 v151, v15, v12
	s_delay_alu instid0(VALU_DEP_2) | instskip(NEXT) | instid1(VALU_DEP_2)
	v_dual_fmac_f32 v155, v23, v17 :: v_dual_fmac_f32 v156, v25, v19
	v_fmac_f32_e32 v151, v16, v11
	v_mul_f32_e32 v157, v1, v6
	v_mul_f32_e32 v6, v2, v6
	s_delay_alu instid0(VALU_DEP_2) | instskip(NEXT) | instid1(VALU_DEP_2)
	v_fmac_f32_e32 v157, v2, v5
	v_fma_f32 v1, v1, v5, -v6
	v_fma_f32 v2, v3, v7, -v8
	v_mul_f32_e32 v3, v14, v10
	s_delay_alu instid0(VALU_DEP_4) | instskip(NEXT) | instid1(VALU_DEP_4)
	v_dual_mul_f32 v5, v16, v12 :: v_dual_add_f32 v4, v30, v157
	v_add_f32_e32 v1, v149, v1
	s_delay_alu instid0(VALU_DEP_3) | instskip(NEXT) | instid1(VALU_DEP_3)
	v_fma_f32 v3, v13, v9, -v3
	v_fma_f32 v5, v15, v11, -v5
	s_delay_alu instid0(VALU_DEP_3) | instskip(NEXT) | instid1(VALU_DEP_1)
	v_dual_add_f32 v1, v1, v2 :: v_dual_add_f32 v2, v4, v148
	v_dual_mul_f32 v4, v23, v18 :: v_dual_add_f32 v1, v1, v3
	s_delay_alu instid0(VALU_DEP_2) | instskip(NEXT) | instid1(VALU_DEP_2)
	v_dual_add_f32 v2, v2, v150 :: v_dual_mul_f32 v3, v25, v20
	v_fma_f32 v4, v22, v17, -v4
	s_delay_alu instid0(VALU_DEP_2) | instskip(SKIP_1) | instid1(VALU_DEP_4)
	v_dual_add_f32 v1, v1, v5 :: v_dual_add_f32 v2, v2, v151
	v_mul_f32_e32 v5, v29, v27
	v_fma_f32 v3, v24, v19, -v3
	s_delay_alu instid0(VALU_DEP_3) | instskip(NEXT) | instid1(VALU_DEP_3)
	v_dual_add_f32 v1, v1, v4 :: v_dual_add_f32 v2, v2, v155
	v_fma_f32 v4, v28, v26, -v5
	s_delay_alu instid0(VALU_DEP_2) | instskip(NEXT) | instid1(VALU_DEP_1)
	v_dual_add_f32 v1, v1, v3 :: v_dual_add_f32 v2, v2, v156
	v_dual_add_f32 v1, v1, v4 :: v_dual_add_f32 v2, v2, v154
	s_delay_alu instid0(VALU_DEP_1)
	v_dual_sub_f32 v1, v152, v1 :: v_dual_sub_f32 v2, v153, v2
	scratch_store_b64 off, v[1:2], off offset:112
	v_cmpx_lt_u32_e32 13, v0
	s_cbranch_execz .LBB121_335
; %bb.334:
	scratch_load_b64 v[1:2], off, off offset:104
	v_mov_b32_e32 v22, v21
	scratch_store_b64 off, v[21:22], off offset:104
	s_wait_loadcnt 0x0
	ds_store_b64 v31, v[1:2]
.LBB121_335:
	s_wait_alu 0xfffe
	s_or_b32 exec_lo, exec_lo, s0
	s_wait_storecnt_dscnt 0x0
	s_barrier_signal -1
	s_barrier_wait -1
	global_inv scope:SCOPE_SE
	s_clause 0x4
	scratch_load_b128 v[5:8], off, off offset:112
	scratch_load_b128 v[1:4], off, off offset:128
	;; [unrolled: 1-line block ×5, first 2 shown]
	ds_load_b128 v[22:25], v21 offset:576
	ds_load_b128 v[26:29], v21 offset:592
	ds_load_b128 v[148:151], v21 offset:608
	scratch_load_b64 v[152:153], off, off offset:104
	s_mov_b32 s0, exec_lo
	s_wait_loadcnt_dscnt 0x502
	v_dual_mul_f32 v30, v23, v6 :: v_dual_mul_f32 v155, v24, v8
	v_mul_f32_e32 v154, v22, v6
	v_mul_f32_e32 v6, v25, v8
	s_wait_loadcnt_dscnt 0x300
	v_mul_f32_e32 v156, v150, v12
	v_fma_f32 v22, v22, v5, -v30
	v_dual_fmac_f32 v155, v25, v7 :: v_dual_fmac_f32 v154, v23, v5
	v_mul_f32_e32 v25, v28, v4
	v_fma_f32 v23, v24, v7, -v6
	ds_load_b128 v[5:8], v21 offset:624
	v_mul_f32_e32 v24, v26, v2
	v_mul_f32_e32 v4, v29, v4
	;; [unrolled: 1-line block ×5, first 2 shown]
	v_dual_mul_f32 v2, v27, v2 :: v_dual_fmac_f32 v25, v29, v3
	v_fmac_f32_e32 v24, v27, v1
	v_fma_f32 v27, v28, v3, -v4
	v_fmac_f32_e32 v30, v149, v9
	v_fma_f32 v28, v148, v9, -v10
	;; [unrolled: 2-line block ×3, first 2 shown]
	ds_load_b128 v[9:12], v21 offset:640
	s_wait_loadcnt_dscnt 0x201
	v_mul_f32_e32 v148, v5, v14
	v_dual_mul_f32 v14, v6, v14 :: v_dual_mul_f32 v149, v7, v16
	v_mul_f32_e32 v16, v8, v16
	s_delay_alu instid0(VALU_DEP_3) | instskip(NEXT) | instid1(VALU_DEP_3)
	v_fmac_f32_e32 v148, v6, v13
	v_fma_f32 v13, v5, v13, -v14
	s_delay_alu instid0(VALU_DEP_4) | instskip(NEXT) | instid1(VALU_DEP_4)
	v_fmac_f32_e32 v149, v8, v15
	v_fma_f32 v14, v7, v15, -v16
	ds_load_b128 v[5:8], v21 offset:656
	s_wait_loadcnt_dscnt 0x101
	v_mul_f32_e32 v15, v9, v18
	v_mul_f32_e32 v16, v10, v18
	;; [unrolled: 1-line block ×3, first 2 shown]
	s_delay_alu instid0(VALU_DEP_3)
	v_dual_mul_f32 v20, v12, v20 :: v_dual_fmac_f32 v15, v10, v17
	v_fma_f32 v26, v26, v1, -v2
	scratch_load_b128 v[1:4], off, off offset:192
	v_fma_f32 v16, v9, v17, -v16
	v_fmac_f32_e32 v18, v12, v19
	v_fma_f32 v17, v11, v19, -v20
	scratch_load_b128 v[9:12], off, off offset:208
	s_wait_loadcnt_dscnt 0x100
	v_mul_f32_e32 v19, v5, v2
	v_mul_f32_e32 v2, v6, v2
	;; [unrolled: 1-line block ×3, first 2 shown]
	s_delay_alu instid0(VALU_DEP_3) | instskip(NEXT) | instid1(VALU_DEP_3)
	v_dual_mul_f32 v4, v8, v4 :: v_dual_fmac_f32 v19, v6, v1
	v_fma_f32 v150, v5, v1, -v2
	s_delay_alu instid0(VALU_DEP_3) | instskip(NEXT) | instid1(VALU_DEP_3)
	v_fmac_f32_e32 v20, v8, v3
	v_fma_f32 v151, v7, v3, -v4
	ds_load_b128 v[1:4], v21 offset:672
	ds_load_b128 v[5:8], v21 offset:688
	s_wait_loadcnt_dscnt 0x1
	v_mul_f32_e32 v157, v1, v10
	v_mul_f32_e32 v10, v2, v10
	s_delay_alu instid0(VALU_DEP_2) | instskip(NEXT) | instid1(VALU_DEP_2)
	v_dual_mul_f32 v158, v3, v12 :: v_dual_fmac_f32 v157, v2, v9
	v_fma_f32 v159, v1, v9, -v10
	v_mul_f32_e32 v1, v4, v12
	s_delay_alu instid0(VALU_DEP_3) | instskip(NEXT) | instid1(VALU_DEP_2)
	v_fmac_f32_e32 v158, v4, v11
	v_fma_f32 v160, v3, v11, -v1
	s_clause 0x1
	scratch_load_b128 v[1:4], off, off offset:224
	scratch_load_b128 v[9:12], off, off offset:240
	s_wait_loadcnt_dscnt 0x100
	v_mul_f32_e32 v161, v5, v2
	v_dual_mul_f32 v2, v6, v2 :: v_dual_mul_f32 v163, v7, v4
	s_delay_alu instid0(VALU_DEP_2) | instskip(NEXT) | instid1(VALU_DEP_2)
	v_fmac_f32_e32 v161, v6, v1
	v_fma_f32 v162, v5, v1, -v2
	v_mul_f32_e32 v1, v8, v4
	s_delay_alu instid0(VALU_DEP_4) | instskip(NEXT) | instid1(VALU_DEP_2)
	v_fmac_f32_e32 v163, v8, v3
	v_fma_f32 v164, v7, v3, -v1
	ds_load_b128 v[1:4], v21 offset:704
	ds_load_b128 v[5:8], v21 offset:720
	s_wait_loadcnt_dscnt 0x1
	v_mul_f32_e32 v165, v1, v10
	v_mul_f32_e32 v167, v3, v12
	s_delay_alu instid0(VALU_DEP_2) | instskip(NEXT) | instid1(VALU_DEP_2)
	v_fmac_f32_e32 v165, v2, v9
	v_dual_mul_f32 v2, v2, v10 :: v_dual_fmac_f32 v167, v4, v11
	s_delay_alu instid0(VALU_DEP_1) | instskip(SKIP_1) | instid1(VALU_DEP_1)
	v_fma_f32 v166, v1, v9, -v2
	v_mul_f32_e32 v1, v4, v12
	v_fma_f32 v168, v3, v11, -v1
	s_clause 0x1
	scratch_load_b128 v[1:4], off, off offset:256
	scratch_load_b128 v[9:12], off, off offset:272
	s_wait_loadcnt_dscnt 0x100
	v_mul_f32_e32 v169, v5, v2
	v_dual_mul_f32 v2, v6, v2 :: v_dual_mul_f32 v171, v7, v4
	s_delay_alu instid0(VALU_DEP_2) | instskip(NEXT) | instid1(VALU_DEP_2)
	v_fmac_f32_e32 v169, v6, v1
	v_fma_f32 v170, v5, v1, -v2
	v_mul_f32_e32 v1, v8, v4
	s_delay_alu instid0(VALU_DEP_4) | instskip(NEXT) | instid1(VALU_DEP_2)
	v_fmac_f32_e32 v171, v8, v3
	v_fma_f32 v172, v7, v3, -v1
	ds_load_b128 v[1:4], v21 offset:736
	ds_load_b128 v[5:8], v21 offset:752
	s_wait_loadcnt_dscnt 0x1
	v_mul_f32_e32 v173, v1, v10
	v_mul_f32_e32 v175, v3, v12
	s_delay_alu instid0(VALU_DEP_2) | instskip(NEXT) | instid1(VALU_DEP_2)
	v_fmac_f32_e32 v173, v2, v9
	v_dual_mul_f32 v2, v2, v10 :: v_dual_fmac_f32 v175, v4, v11
	s_delay_alu instid0(VALU_DEP_1) | instskip(SKIP_1) | instid1(VALU_DEP_1)
	v_fma_f32 v174, v1, v9, -v2
	v_mul_f32_e32 v1, v4, v12
	;; [unrolled: 25-line block ×5, first 2 shown]
	v_fma_f32 v200, v3, v11, -v1
	s_clause 0x1
	scratch_load_b128 v[1:4], off, off offset:384
	scratch_load_b128 v[9:12], off, off offset:400
	s_wait_loadcnt_dscnt 0x100
	v_mul_f32_e32 v201, v5, v2
	v_mul_f32_e32 v2, v6, v2
	s_delay_alu instid0(VALU_DEP_1) | instskip(SKIP_1) | instid1(VALU_DEP_1)
	v_fma_f32 v202, v5, v1, -v2
	v_add_f32_e32 v2, 0, v154
	v_add_f32_e32 v2, v2, v155
	s_delay_alu instid0(VALU_DEP_1) | instskip(NEXT) | instid1(VALU_DEP_1)
	v_add_f32_e32 v2, v2, v24
	v_add_f32_e32 v2, v2, v25
	s_delay_alu instid0(VALU_DEP_1) | instskip(NEXT) | instid1(VALU_DEP_1)
	;; [unrolled: 3-line block ×8, first 2 shown]
	v_add_f32_e32 v2, v2, v165
	v_add_f32_e32 v2, v2, v167
	s_delay_alu instid0(VALU_DEP_1) | instskip(SKIP_2) | instid1(VALU_DEP_3)
	v_add_f32_e32 v2, v2, v169
	v_fmac_f32_e32 v201, v6, v1
	v_mul_f32_e32 v1, v8, v4
	v_dual_mul_f32 v203, v7, v4 :: v_dual_add_f32 v2, v2, v171
	s_delay_alu instid0(VALU_DEP_2) | instskip(SKIP_1) | instid1(VALU_DEP_3)
	v_fma_f32 v204, v7, v3, -v1
	v_add_f32_e32 v1, 0, v22
	v_add_f32_e32 v5, v2, v173
	s_delay_alu instid0(VALU_DEP_2) | instskip(NEXT) | instid1(VALU_DEP_2)
	v_add_f32_e32 v1, v1, v23
	v_add_f32_e32 v5, v5, v175
	s_delay_alu instid0(VALU_DEP_2) | instskip(NEXT) | instid1(VALU_DEP_2)
	v_add_f32_e32 v1, v1, v26
	v_add_f32_e32 v5, v5, v177
	s_delay_alu instid0(VALU_DEP_2) | instskip(NEXT) | instid1(VALU_DEP_1)
	v_add_f32_e32 v1, v1, v27
	v_add_f32_e32 v1, v1, v28
	s_delay_alu instid0(VALU_DEP_1) | instskip(NEXT) | instid1(VALU_DEP_1)
	v_add_f32_e32 v1, v1, v29
	v_add_f32_e32 v1, v1, v13
	s_delay_alu instid0(VALU_DEP_1) | instskip(SKIP_1) | instid1(VALU_DEP_2)
	v_add_f32_e32 v1, v1, v14
	v_add_f32_e32 v14, v5, v179
	;; [unrolled: 1-line block ×3, first 2 shown]
	s_delay_alu instid0(VALU_DEP_1) | instskip(NEXT) | instid1(VALU_DEP_1)
	v_add_f32_e32 v1, v1, v17
	v_add_f32_e32 v1, v1, v150
	s_delay_alu instid0(VALU_DEP_1) | instskip(NEXT) | instid1(VALU_DEP_1)
	v_add_f32_e32 v1, v1, v151
	v_add_f32_e32 v1, v1, v159
	;; [unrolled: 3-line block ×6, first 2 shown]
	s_delay_alu instid0(VALU_DEP_1) | instskip(SKIP_3) | instid1(VALU_DEP_2)
	v_dual_add_f32 v6, v1, v176 :: v_dual_fmac_f32 v203, v8, v3
	ds_load_b128 v[1:4], v21 offset:864
	v_add_f32_e32 v14, v14, v181
	v_add_f32_e32 v6, v6, v178
	;; [unrolled: 1-line block ×3, first 2 shown]
	s_delay_alu instid0(VALU_DEP_2) | instskip(SKIP_4) | instid1(VALU_DEP_2)
	v_add_f32_e32 v13, v6, v180
	ds_load_b128 v[5:8], v21 offset:880
	s_wait_loadcnt_dscnt 0x1
	v_dual_mul_f32 v25, v1, v10 :: v_dual_mul_f32 v26, v3, v12
	v_mul_f32_e32 v10, v2, v10
	v_dual_mul_f32 v12, v4, v12 :: v_dual_fmac_f32 v25, v2, v9
	s_delay_alu instid0(VALU_DEP_3) | instskip(NEXT) | instid1(VALU_DEP_3)
	v_fmac_f32_e32 v26, v4, v11
	v_fma_f32 v27, v1, v9, -v10
	s_delay_alu instid0(VALU_DEP_3)
	v_fma_f32 v28, v3, v11, -v12
	s_clause 0x1
	scratch_load_b128 v[1:4], off, off offset:416
	scratch_load_b128 v[9:12], off, off offset:432
	s_wait_loadcnt_dscnt 0x100
	v_mul_f32_e32 v148, v5, v2
	v_add_f32_e32 v13, v13, v182
	v_dual_mul_f32 v2, v6, v2 :: v_dual_mul_f32 v149, v7, v4
	v_mul_f32_e32 v4, v8, v4
	s_delay_alu instid0(VALU_DEP_3) | instskip(SKIP_1) | instid1(VALU_DEP_4)
	v_dual_fmac_f32 v148, v6, v1 :: v_dual_add_f32 v13, v13, v184
	v_add_f32_e32 v17, v14, v185
	v_fma_f32 v2, v5, v1, -v2
	v_fmac_f32_e32 v149, v8, v3
	v_fma_f32 v3, v7, v3, -v4
	v_add_f32_e32 v13, v13, v186
	v_add_f32_e32 v17, v17, v187
	s_delay_alu instid0(VALU_DEP_2) | instskip(SKIP_2) | instid1(VALU_DEP_1)
	v_add_f32_e32 v18, v13, v188
	scratch_load_b128 v[13:16], off, off offset:448
	v_dual_add_f32 v17, v17, v189 :: v_dual_add_f32 v18, v18, v190
	v_dual_add_f32 v17, v17, v191 :: v_dual_add_f32 v18, v18, v192
	s_delay_alu instid0(VALU_DEP_1) | instskip(SKIP_4) | instid1(VALU_DEP_1)
	v_dual_add_f32 v23, v17, v193 :: v_dual_add_f32 v22, v18, v194
	ds_load_b128 v[17:20], v21 offset:896
	v_dual_add_f32 v30, v23, v195 :: v_dual_add_f32 v29, v22, v196
	ds_load_b128 v[21:24], v21 offset:912
	v_dual_add_f32 v30, v30, v197 :: v_dual_add_f32 v29, v29, v198
	v_dual_add_f32 v30, v30, v199 :: v_dual_add_f32 v29, v29, v200
	s_delay_alu instid0(VALU_DEP_1) | instskip(SKIP_2) | instid1(VALU_DEP_2)
	v_dual_add_f32 v30, v30, v201 :: v_dual_add_f32 v29, v29, v202
	s_wait_loadcnt_dscnt 0x101
	v_mul_f32_e32 v150, v17, v10
	v_add_f32_e32 v30, v30, v203
	v_dual_mul_f32 v6, v18, v10 :: v_dual_mul_f32 v151, v19, v12
	v_add_f32_e32 v29, v29, v204
	v_mul_f32_e32 v4, v20, v12
	s_delay_alu instid0(VALU_DEP_3) | instskip(NEXT) | instid1(VALU_DEP_3)
	v_dual_fmac_f32 v150, v18, v9 :: v_dual_fmac_f32 v151, v20, v11
	v_add_f32_e32 v27, v29, v27
	s_delay_alu instid0(VALU_DEP_3) | instskip(NEXT) | instid1(VALU_DEP_2)
	v_fma_f32 v4, v19, v11, -v4
	v_add_f32_e32 v1, v27, v28
	s_delay_alu instid0(VALU_DEP_1) | instskip(NEXT) | instid1(VALU_DEP_1)
	v_add_f32_e32 v1, v1, v2
	v_add_f32_e32 v1, v1, v3
	s_wait_loadcnt_dscnt 0x0
	v_dual_mul_f32 v154, v21, v14 :: v_dual_add_f32 v25, v30, v25
	v_mul_f32_e32 v3, v22, v14
	s_delay_alu instid0(VALU_DEP_2) | instskip(NEXT) | instid1(VALU_DEP_3)
	v_dual_mul_f32 v29, v23, v16 :: v_dual_fmac_f32 v154, v22, v13
	v_add_f32_e32 v5, v25, v26
	s_delay_alu instid0(VALU_DEP_3) | instskip(NEXT) | instid1(VALU_DEP_2)
	v_fma_f32 v3, v21, v13, -v3
	v_dual_fmac_f32 v29, v24, v15 :: v_dual_add_f32 v2, v5, v148
	v_fma_f32 v5, v17, v9, -v6
	s_delay_alu instid0(VALU_DEP_2) | instskip(NEXT) | instid1(VALU_DEP_2)
	v_add_f32_e32 v2, v2, v149
	v_add_f32_e32 v1, v1, v5
	s_delay_alu instid0(VALU_DEP_2) | instskip(NEXT) | instid1(VALU_DEP_2)
	v_dual_mul_f32 v5, v24, v16 :: v_dual_add_f32 v2, v2, v150
	v_add_f32_e32 v1, v1, v4
	s_delay_alu instid0(VALU_DEP_2) | instskip(NEXT) | instid1(VALU_DEP_3)
	v_fma_f32 v4, v23, v15, -v5
	v_add_f32_e32 v2, v2, v151
	s_delay_alu instid0(VALU_DEP_1) | instskip(NEXT) | instid1(VALU_DEP_1)
	v_dual_add_f32 v1, v1, v3 :: v_dual_add_f32 v2, v2, v154
	v_dual_add_f32 v1, v1, v4 :: v_dual_add_f32 v2, v2, v29
	s_delay_alu instid0(VALU_DEP_1)
	v_dual_sub_f32 v1, v152, v1 :: v_dual_sub_f32 v2, v153, v2
	scratch_store_b64 off, v[1:2], off offset:104
	v_cmpx_lt_u32_e32 12, v0
	s_cbranch_execz .LBB121_337
; %bb.336:
	scratch_load_b64 v[1:2], off, off offset:96
	v_mov_b32_e32 v3, 0
	s_delay_alu instid0(VALU_DEP_1)
	v_mov_b32_e32 v4, v3
	scratch_store_b64 off, v[3:4], off offset:96
	s_wait_loadcnt 0x0
	ds_store_b64 v31, v[1:2]
.LBB121_337:
	s_wait_alu 0xfffe
	s_or_b32 exec_lo, exec_lo, s0
	s_wait_storecnt_dscnt 0x0
	s_barrier_signal -1
	s_barrier_wait -1
	global_inv scope:SCOPE_SE
	s_clause 0x4
	scratch_load_b128 v[5:8], off, off offset:104
	scratch_load_b128 v[1:4], off, off offset:120
	scratch_load_b128 v[9:12], off, off offset:136
	scratch_load_b128 v[13:16], off, off offset:152
	scratch_load_b128 v[17:20], off, off offset:168
	v_mov_b32_e32 v21, 0
	ds_load_2addr_b64 v[22:25], v21 offset0:71 offset1:72
	ds_load_2addr_b64 v[26:29], v21 offset0:73 offset1:74
	;; [unrolled: 1-line block ×3, first 2 shown]
	scratch_load_b64 v[152:153], off, off offset:96
	s_mov_b32 s0, exec_lo
	s_wait_loadcnt_dscnt 0x502
	v_mul_f32_e32 v30, v23, v6
	v_dual_mul_f32 v154, v22, v6 :: v_dual_mul_f32 v155, v24, v8
	v_mul_f32_e32 v6, v25, v8
	s_wait_loadcnt_dscnt 0x300
	v_mul_f32_e32 v156, v150, v12
	v_fma_f32 v22, v22, v5, -v30
	v_dual_fmac_f32 v154, v23, v5 :: v_dual_fmac_f32 v155, v25, v7
	v_fma_f32 v23, v24, v7, -v6
	v_dual_mul_f32 v24, v26, v2 :: v_dual_mul_f32 v25, v28, v4
	v_mul_f32_e32 v2, v27, v2
	v_mul_f32_e32 v4, v29, v4
	ds_load_2addr_b64 v[5:8], v21 offset0:77 offset1:78
	v_mul_f32_e32 v30, v148, v10
	v_dual_fmac_f32 v24, v27, v1 :: v_dual_fmac_f32 v25, v29, v3
	v_fma_f32 v26, v26, v1, -v2
	v_fma_f32 v27, v28, v3, -v4
	v_mul_f32_e32 v12, v151, v12
	scratch_load_b128 v[1:4], off, off offset:184
	v_mul_f32_e32 v10, v149, v10
	v_fmac_f32_e32 v30, v149, v9
	v_fmac_f32_e32 v156, v151, v11
	v_fma_f32 v29, v150, v11, -v12
	s_delay_alu instid0(VALU_DEP_4)
	v_fma_f32 v28, v148, v9, -v10
	ds_load_2addr_b64 v[9:12], v21 offset0:79 offset1:80
	s_wait_loadcnt_dscnt 0x301
	v_mul_f32_e32 v148, v5, v14
	v_dual_mul_f32 v14, v6, v14 :: v_dual_mul_f32 v149, v7, v16
	v_mul_f32_e32 v16, v8, v16
	s_delay_alu instid0(VALU_DEP_3) | instskip(NEXT) | instid1(VALU_DEP_3)
	v_fmac_f32_e32 v148, v6, v13
	v_fma_f32 v13, v5, v13, -v14
	s_delay_alu instid0(VALU_DEP_4) | instskip(NEXT) | instid1(VALU_DEP_4)
	v_fmac_f32_e32 v149, v8, v15
	v_fma_f32 v14, v7, v15, -v16
	ds_load_2addr_b64 v[5:8], v21 offset0:81 offset1:82
	s_wait_loadcnt_dscnt 0x201
	v_mul_f32_e32 v15, v9, v18
	v_mul_f32_e32 v16, v10, v18
	;; [unrolled: 1-line block ×3, first 2 shown]
	s_delay_alu instid0(VALU_DEP_3) | instskip(NEXT) | instid1(VALU_DEP_3)
	v_dual_mul_f32 v20, v12, v20 :: v_dual_fmac_f32 v15, v10, v17
	v_fma_f32 v16, v9, v17, -v16
	s_delay_alu instid0(VALU_DEP_3) | instskip(NEXT) | instid1(VALU_DEP_3)
	v_fmac_f32_e32 v18, v12, v19
	v_fma_f32 v17, v11, v19, -v20
	scratch_load_b128 v[9:12], off, off offset:200
	s_wait_loadcnt_dscnt 0x100
	v_mul_f32_e32 v19, v5, v2
	v_mul_f32_e32 v2, v6, v2
	;; [unrolled: 1-line block ×3, first 2 shown]
	s_delay_alu instid0(VALU_DEP_3) | instskip(NEXT) | instid1(VALU_DEP_3)
	v_dual_mul_f32 v4, v8, v4 :: v_dual_fmac_f32 v19, v6, v1
	v_fma_f32 v150, v5, v1, -v2
	s_delay_alu instid0(VALU_DEP_3) | instskip(NEXT) | instid1(VALU_DEP_3)
	v_fmac_f32_e32 v20, v8, v3
	v_fma_f32 v151, v7, v3, -v4
	ds_load_2addr_b64 v[1:4], v21 offset0:83 offset1:84
	ds_load_2addr_b64 v[5:8], v21 offset0:85 offset1:86
	s_wait_loadcnt_dscnt 0x1
	v_mul_f32_e32 v157, v1, v10
	v_mul_f32_e32 v10, v2, v10
	s_delay_alu instid0(VALU_DEP_2) | instskip(NEXT) | instid1(VALU_DEP_2)
	v_dual_mul_f32 v158, v3, v12 :: v_dual_fmac_f32 v157, v2, v9
	v_fma_f32 v159, v1, v9, -v10
	v_mul_f32_e32 v1, v4, v12
	s_delay_alu instid0(VALU_DEP_3) | instskip(NEXT) | instid1(VALU_DEP_2)
	v_fmac_f32_e32 v158, v4, v11
	v_fma_f32 v160, v3, v11, -v1
	s_clause 0x1
	scratch_load_b128 v[1:4], off, off offset:216
	scratch_load_b128 v[9:12], off, off offset:232
	s_wait_loadcnt_dscnt 0x100
	v_mul_f32_e32 v161, v5, v2
	v_dual_mul_f32 v2, v6, v2 :: v_dual_mul_f32 v163, v7, v4
	s_delay_alu instid0(VALU_DEP_2) | instskip(NEXT) | instid1(VALU_DEP_2)
	v_fmac_f32_e32 v161, v6, v1
	v_fma_f32 v162, v5, v1, -v2
	v_mul_f32_e32 v1, v8, v4
	s_delay_alu instid0(VALU_DEP_4) | instskip(NEXT) | instid1(VALU_DEP_2)
	v_fmac_f32_e32 v163, v8, v3
	v_fma_f32 v164, v7, v3, -v1
	ds_load_2addr_b64 v[1:4], v21 offset0:87 offset1:88
	ds_load_2addr_b64 v[5:8], v21 offset0:89 offset1:90
	s_wait_loadcnt_dscnt 0x1
	v_mul_f32_e32 v165, v1, v10
	v_mul_f32_e32 v167, v3, v12
	s_delay_alu instid0(VALU_DEP_2) | instskip(NEXT) | instid1(VALU_DEP_2)
	v_fmac_f32_e32 v165, v2, v9
	v_dual_mul_f32 v2, v2, v10 :: v_dual_fmac_f32 v167, v4, v11
	s_delay_alu instid0(VALU_DEP_1) | instskip(SKIP_1) | instid1(VALU_DEP_1)
	v_fma_f32 v166, v1, v9, -v2
	v_mul_f32_e32 v1, v4, v12
	v_fma_f32 v168, v3, v11, -v1
	s_clause 0x1
	scratch_load_b128 v[1:4], off, off offset:248
	scratch_load_b128 v[9:12], off, off offset:264
	s_wait_loadcnt_dscnt 0x100
	v_mul_f32_e32 v169, v5, v2
	v_dual_mul_f32 v2, v6, v2 :: v_dual_mul_f32 v171, v7, v4
	s_delay_alu instid0(VALU_DEP_2) | instskip(NEXT) | instid1(VALU_DEP_2)
	v_fmac_f32_e32 v169, v6, v1
	v_fma_f32 v170, v5, v1, -v2
	v_mul_f32_e32 v1, v8, v4
	s_delay_alu instid0(VALU_DEP_4) | instskip(NEXT) | instid1(VALU_DEP_2)
	v_fmac_f32_e32 v171, v8, v3
	v_fma_f32 v172, v7, v3, -v1
	ds_load_2addr_b64 v[1:4], v21 offset0:91 offset1:92
	ds_load_2addr_b64 v[5:8], v21 offset0:93 offset1:94
	s_wait_loadcnt_dscnt 0x1
	v_mul_f32_e32 v173, v1, v10
	v_mul_f32_e32 v175, v3, v12
	s_delay_alu instid0(VALU_DEP_2) | instskip(NEXT) | instid1(VALU_DEP_2)
	v_fmac_f32_e32 v173, v2, v9
	v_dual_mul_f32 v2, v2, v10 :: v_dual_fmac_f32 v175, v4, v11
	s_delay_alu instid0(VALU_DEP_1) | instskip(SKIP_1) | instid1(VALU_DEP_1)
	v_fma_f32 v174, v1, v9, -v2
	v_mul_f32_e32 v1, v4, v12
	;; [unrolled: 25-line block ×5, first 2 shown]
	v_fma_f32 v200, v3, v11, -v1
	s_clause 0x1
	scratch_load_b128 v[1:4], off, off offset:376
	scratch_load_b128 v[9:12], off, off offset:392
	s_wait_loadcnt_dscnt 0x100
	v_mul_f32_e32 v201, v5, v2
	v_mul_f32_e32 v2, v6, v2
	s_delay_alu instid0(VALU_DEP_1) | instskip(SKIP_1) | instid1(VALU_DEP_1)
	v_fma_f32 v202, v5, v1, -v2
	v_add_f32_e32 v2, 0, v154
	v_add_f32_e32 v2, v2, v155
	s_delay_alu instid0(VALU_DEP_1) | instskip(NEXT) | instid1(VALU_DEP_1)
	v_add_f32_e32 v2, v2, v24
	v_add_f32_e32 v2, v2, v25
	s_delay_alu instid0(VALU_DEP_1) | instskip(NEXT) | instid1(VALU_DEP_1)
	;; [unrolled: 3-line block ×8, first 2 shown]
	v_add_f32_e32 v2, v2, v165
	v_add_f32_e32 v2, v2, v167
	s_delay_alu instid0(VALU_DEP_1) | instskip(SKIP_2) | instid1(VALU_DEP_3)
	v_add_f32_e32 v2, v2, v169
	v_fmac_f32_e32 v201, v6, v1
	v_mul_f32_e32 v1, v8, v4
	v_dual_mul_f32 v203, v7, v4 :: v_dual_add_f32 v2, v2, v171
	s_delay_alu instid0(VALU_DEP_2) | instskip(SKIP_1) | instid1(VALU_DEP_3)
	v_fma_f32 v204, v7, v3, -v1
	v_add_f32_e32 v1, 0, v22
	v_add_f32_e32 v5, v2, v173
	s_delay_alu instid0(VALU_DEP_2) | instskip(NEXT) | instid1(VALU_DEP_2)
	v_add_f32_e32 v1, v1, v23
	v_add_f32_e32 v5, v5, v175
	s_delay_alu instid0(VALU_DEP_2) | instskip(NEXT) | instid1(VALU_DEP_1)
	v_add_f32_e32 v1, v1, v26
	v_add_f32_e32 v1, v1, v27
	scratch_load_b64 v[26:27], off, off offset:456
	v_add_f32_e32 v1, v1, v28
	s_delay_alu instid0(VALU_DEP_1) | instskip(NEXT) | instid1(VALU_DEP_1)
	v_add_f32_e32 v1, v1, v29
	v_add_f32_e32 v1, v1, v13
	s_delay_alu instid0(VALU_DEP_1) | instskip(NEXT) | instid1(VALU_DEP_1)
	v_add_f32_e32 v1, v1, v14
	;; [unrolled: 3-line block ×8, first 2 shown]
	v_add_f32_e32 v1, v1, v174
	s_delay_alu instid0(VALU_DEP_1) | instskip(SKIP_2) | instid1(VALU_DEP_1)
	v_dual_add_f32 v6, v1, v176 :: v_dual_fmac_f32 v203, v8, v3
	ds_load_2addr_b64 v[1:4], v21 offset0:107 offset1:108
	v_dual_add_f32 v5, v5, v177 :: v_dual_add_f32 v6, v6, v178
	v_dual_add_f32 v14, v5, v179 :: v_dual_add_f32 v13, v6, v180
	ds_load_2addr_b64 v[5:8], v21 offset0:109 offset1:110
	v_add_f32_e32 v14, v14, v181
	s_delay_alu instid0(VALU_DEP_1)
	v_add_f32_e32 v14, v14, v183
	s_wait_loadcnt_dscnt 0x101
	v_mul_f32_e32 v30, v1, v10
	v_mul_f32_e32 v10, v2, v10
	;; [unrolled: 1-line block ×4, first 2 shown]
	s_delay_alu instid0(VALU_DEP_4) | instskip(NEXT) | instid1(VALU_DEP_4)
	v_fmac_f32_e32 v30, v2, v9
	v_fma_f32 v149, v1, v9, -v10
	s_delay_alu instid0(VALU_DEP_4) | instskip(NEXT) | instid1(VALU_DEP_4)
	v_fmac_f32_e32 v148, v4, v11
	v_fma_f32 v150, v3, v11, -v12
	s_clause 0x1
	scratch_load_b128 v[1:4], off, off offset:408
	scratch_load_b128 v[9:12], off, off offset:424
	s_wait_loadcnt_dscnt 0x100
	v_mul_f32_e32 v155, v5, v2
	v_mul_f32_e32 v2, v6, v2
	;; [unrolled: 1-line block ×3, first 2 shown]
	s_delay_alu instid0(VALU_DEP_3) | instskip(NEXT) | instid1(VALU_DEP_3)
	v_dual_mul_f32 v4, v8, v4 :: v_dual_fmac_f32 v155, v6, v1
	v_fma_f32 v2, v5, v1, -v2
	s_delay_alu instid0(VALU_DEP_3) | instskip(NEXT) | instid1(VALU_DEP_3)
	v_dual_add_f32 v17, v14, v185 :: v_dual_fmac_f32 v156, v8, v3
	v_fma_f32 v1, v7, v3, -v4
	s_delay_alu instid0(VALU_DEP_2) | instskip(NEXT) | instid1(VALU_DEP_1)
	v_add_f32_e32 v17, v17, v187
	v_add_f32_e32 v17, v17, v189
	s_delay_alu instid0(VALU_DEP_1) | instskip(NEXT) | instid1(VALU_DEP_1)
	v_add_f32_e32 v17, v17, v191
	v_add_f32_e32 v17, v17, v193
	s_delay_alu instid0(VALU_DEP_1) | instskip(NEXT) | instid1(VALU_DEP_1)
	v_add_f32_e32 v22, v17, v195
	v_add_f32_e32 v29, v22, v197
	ds_load_2addr_b64 v[22:25], v21 offset0:113 offset1:114
	v_add_f32_e32 v154, v29, v199
	v_add_f32_e32 v13, v13, v182
	s_delay_alu instid0(VALU_DEP_1) | instskip(NEXT) | instid1(VALU_DEP_1)
	v_add_f32_e32 v13, v13, v184
	v_add_f32_e32 v13, v13, v186
	s_delay_alu instid0(VALU_DEP_1) | instskip(SKIP_3) | instid1(VALU_DEP_2)
	v_add_f32_e32 v18, v13, v188
	scratch_load_b128 v[13:16], off, off offset:440
	v_add_f32_e32 v154, v154, v201
	v_add_f32_e32 v18, v18, v190
	;; [unrolled: 1-line block ×3, first 2 shown]
	s_delay_alu instid0(VALU_DEP_2) | instskip(NEXT) | instid1(VALU_DEP_2)
	v_add_f32_e32 v18, v18, v192
	v_add_f32_e32 v30, v154, v30
	s_delay_alu instid0(VALU_DEP_2) | instskip(NEXT) | instid1(VALU_DEP_2)
	v_add_f32_e32 v18, v18, v194
	v_add_f32_e32 v30, v30, v148
	s_delay_alu instid0(VALU_DEP_2) | instskip(NEXT) | instid1(VALU_DEP_2)
	v_add_f32_e32 v18, v18, v196
	v_add_f32_e32 v4, v30, v155
	s_delay_alu instid0(VALU_DEP_2)
	v_add_f32_e32 v28, v18, v198
	ds_load_2addr_b64 v[17:20], v21 offset0:111 offset1:112
	v_add_f32_e32 v151, v28, v200
	ds_load_b64 v[28:29], v21 offset:920
	s_wait_loadcnt_dscnt 0x101
	v_dual_mul_f32 v3, v18, v10 :: v_dual_mul_f32 v154, v19, v12
	v_mul_f32_e32 v5, v20, v12
	s_delay_alu instid0(VALU_DEP_2) | instskip(NEXT) | instid1(VALU_DEP_3)
	v_fma_f32 v3, v17, v9, -v3
	v_fmac_f32_e32 v154, v20, v11
	s_delay_alu instid0(VALU_DEP_3) | instskip(SKIP_2) | instid1(VALU_DEP_1)
	v_fma_f32 v5, v19, v11, -v5
	s_wait_dscnt 0x0
	v_mul_f32_e32 v148, v28, v27
	v_fmac_f32_e32 v148, v29, v26
	v_add_f32_e32 v151, v151, v202
	s_delay_alu instid0(VALU_DEP_1) | instskip(NEXT) | instid1(VALU_DEP_1)
	v_add_f32_e32 v151, v151, v204
	v_add_f32_e32 v149, v151, v149
	v_mul_f32_e32 v151, v17, v10
	s_delay_alu instid0(VALU_DEP_2) | instskip(NEXT) | instid1(VALU_DEP_1)
	v_add_f32_e32 v149, v149, v150
	v_dual_fmac_f32 v151, v18, v9 :: v_dual_add_f32 v2, v149, v2
	s_delay_alu instid0(VALU_DEP_1) | instskip(NEXT) | instid1(VALU_DEP_1)
	v_dual_add_f32 v1, v2, v1 :: v_dual_add_f32 v2, v4, v156
	v_add_f32_e32 v1, v1, v3
	s_delay_alu instid0(VALU_DEP_1) | instskip(NEXT) | instid1(VALU_DEP_1)
	v_dual_add_f32 v2, v2, v151 :: v_dual_add_f32 v1, v1, v5
	v_dual_add_f32 v2, v2, v154 :: v_dual_mul_f32 v5, v29, v27
	s_wait_loadcnt 0x0
	v_mul_f32_e32 v157, v22, v14
	v_mul_f32_e32 v4, v23, v14
	;; [unrolled: 1-line block ×4, first 2 shown]
	s_delay_alu instid0(VALU_DEP_4) | instskip(NEXT) | instid1(VALU_DEP_4)
	v_fmac_f32_e32 v157, v23, v13
	v_fma_f32 v4, v22, v13, -v4
	s_delay_alu instid0(VALU_DEP_4) | instskip(NEXT) | instid1(VALU_DEP_4)
	v_fmac_f32_e32 v150, v25, v15
	v_fma_f32 v3, v24, v15, -v3
	s_delay_alu instid0(VALU_DEP_3) | instskip(SKIP_1) | instid1(VALU_DEP_2)
	v_dual_add_f32 v2, v2, v157 :: v_dual_add_f32 v1, v1, v4
	v_fma_f32 v4, v28, v26, -v5
	v_dual_add_f32 v2, v2, v150 :: v_dual_add_f32 v1, v1, v3
	s_delay_alu instid0(VALU_DEP_1) | instskip(NEXT) | instid1(VALU_DEP_2)
	v_add_f32_e32 v2, v2, v148
	v_add_f32_e32 v1, v1, v4
	s_delay_alu instid0(VALU_DEP_1)
	v_dual_sub_f32 v2, v153, v2 :: v_dual_sub_f32 v1, v152, v1
	scratch_store_b64 off, v[1:2], off offset:96
	v_cmpx_lt_u32_e32 11, v0
	s_cbranch_execz .LBB121_339
; %bb.338:
	scratch_load_b64 v[1:2], off, off offset:88
	v_mov_b32_e32 v22, v21
	scratch_store_b64 off, v[21:22], off offset:88
	s_wait_loadcnt 0x0
	ds_store_b64 v31, v[1:2]
.LBB121_339:
	s_wait_alu 0xfffe
	s_or_b32 exec_lo, exec_lo, s0
	s_wait_storecnt_dscnt 0x0
	s_barrier_signal -1
	s_barrier_wait -1
	global_inv scope:SCOPE_SE
	s_clause 0x4
	scratch_load_b128 v[5:8], off, off offset:96
	scratch_load_b128 v[1:4], off, off offset:112
	;; [unrolled: 1-line block ×5, first 2 shown]
	ds_load_b128 v[22:25], v21 offset:560
	ds_load_b128 v[26:29], v21 offset:576
	;; [unrolled: 1-line block ×3, first 2 shown]
	scratch_load_b64 v[152:153], off, off offset:88
	s_mov_b32 s0, exec_lo
	s_wait_loadcnt_dscnt 0x502
	v_dual_mul_f32 v30, v23, v6 :: v_dual_mul_f32 v155, v24, v8
	v_mul_f32_e32 v154, v22, v6
	v_mul_f32_e32 v6, v25, v8
	s_wait_loadcnt_dscnt 0x300
	v_mul_f32_e32 v156, v150, v12
	v_fma_f32 v22, v22, v5, -v30
	v_dual_fmac_f32 v155, v25, v7 :: v_dual_fmac_f32 v154, v23, v5
	v_mul_f32_e32 v25, v28, v4
	v_fma_f32 v23, v24, v7, -v6
	ds_load_b128 v[5:8], v21 offset:608
	v_mul_f32_e32 v24, v26, v2
	v_mul_f32_e32 v4, v29, v4
	;; [unrolled: 1-line block ×5, first 2 shown]
	v_dual_mul_f32 v2, v27, v2 :: v_dual_fmac_f32 v25, v29, v3
	v_fmac_f32_e32 v24, v27, v1
	v_fma_f32 v27, v28, v3, -v4
	v_fmac_f32_e32 v30, v149, v9
	v_fma_f32 v28, v148, v9, -v10
	;; [unrolled: 2-line block ×3, first 2 shown]
	ds_load_b128 v[9:12], v21 offset:624
	s_wait_loadcnt_dscnt 0x201
	v_mul_f32_e32 v148, v5, v14
	v_dual_mul_f32 v14, v6, v14 :: v_dual_mul_f32 v149, v7, v16
	v_mul_f32_e32 v16, v8, v16
	s_delay_alu instid0(VALU_DEP_3) | instskip(NEXT) | instid1(VALU_DEP_3)
	v_fmac_f32_e32 v148, v6, v13
	v_fma_f32 v13, v5, v13, -v14
	s_delay_alu instid0(VALU_DEP_4) | instskip(NEXT) | instid1(VALU_DEP_4)
	v_fmac_f32_e32 v149, v8, v15
	v_fma_f32 v14, v7, v15, -v16
	ds_load_b128 v[5:8], v21 offset:640
	s_wait_loadcnt_dscnt 0x101
	v_mul_f32_e32 v15, v9, v18
	v_mul_f32_e32 v16, v10, v18
	;; [unrolled: 1-line block ×3, first 2 shown]
	s_delay_alu instid0(VALU_DEP_3)
	v_dual_mul_f32 v20, v12, v20 :: v_dual_fmac_f32 v15, v10, v17
	v_fma_f32 v26, v26, v1, -v2
	scratch_load_b128 v[1:4], off, off offset:176
	v_fma_f32 v16, v9, v17, -v16
	v_fmac_f32_e32 v18, v12, v19
	v_fma_f32 v17, v11, v19, -v20
	scratch_load_b128 v[9:12], off, off offset:192
	s_wait_loadcnt_dscnt 0x100
	v_mul_f32_e32 v19, v5, v2
	v_mul_f32_e32 v2, v6, v2
	;; [unrolled: 1-line block ×3, first 2 shown]
	s_delay_alu instid0(VALU_DEP_3) | instskip(NEXT) | instid1(VALU_DEP_3)
	v_dual_mul_f32 v4, v8, v4 :: v_dual_fmac_f32 v19, v6, v1
	v_fma_f32 v150, v5, v1, -v2
	s_delay_alu instid0(VALU_DEP_3) | instskip(NEXT) | instid1(VALU_DEP_3)
	v_fmac_f32_e32 v20, v8, v3
	v_fma_f32 v151, v7, v3, -v4
	ds_load_b128 v[1:4], v21 offset:656
	ds_load_b128 v[5:8], v21 offset:672
	s_wait_loadcnt_dscnt 0x1
	v_mul_f32_e32 v157, v1, v10
	v_mul_f32_e32 v10, v2, v10
	s_delay_alu instid0(VALU_DEP_2) | instskip(NEXT) | instid1(VALU_DEP_2)
	v_dual_mul_f32 v158, v3, v12 :: v_dual_fmac_f32 v157, v2, v9
	v_fma_f32 v159, v1, v9, -v10
	v_mul_f32_e32 v1, v4, v12
	s_delay_alu instid0(VALU_DEP_3) | instskip(NEXT) | instid1(VALU_DEP_2)
	v_fmac_f32_e32 v158, v4, v11
	v_fma_f32 v160, v3, v11, -v1
	s_clause 0x1
	scratch_load_b128 v[1:4], off, off offset:208
	scratch_load_b128 v[9:12], off, off offset:224
	s_wait_loadcnt_dscnt 0x100
	v_mul_f32_e32 v161, v5, v2
	v_dual_mul_f32 v2, v6, v2 :: v_dual_mul_f32 v163, v7, v4
	s_delay_alu instid0(VALU_DEP_2) | instskip(NEXT) | instid1(VALU_DEP_2)
	v_fmac_f32_e32 v161, v6, v1
	v_fma_f32 v162, v5, v1, -v2
	v_mul_f32_e32 v1, v8, v4
	s_delay_alu instid0(VALU_DEP_4) | instskip(NEXT) | instid1(VALU_DEP_2)
	v_fmac_f32_e32 v163, v8, v3
	v_fma_f32 v164, v7, v3, -v1
	ds_load_b128 v[1:4], v21 offset:688
	ds_load_b128 v[5:8], v21 offset:704
	s_wait_loadcnt_dscnt 0x1
	v_mul_f32_e32 v165, v1, v10
	v_mul_f32_e32 v167, v3, v12
	s_delay_alu instid0(VALU_DEP_2) | instskip(NEXT) | instid1(VALU_DEP_2)
	v_fmac_f32_e32 v165, v2, v9
	v_dual_mul_f32 v2, v2, v10 :: v_dual_fmac_f32 v167, v4, v11
	s_delay_alu instid0(VALU_DEP_1) | instskip(SKIP_1) | instid1(VALU_DEP_1)
	v_fma_f32 v166, v1, v9, -v2
	v_mul_f32_e32 v1, v4, v12
	v_fma_f32 v168, v3, v11, -v1
	s_clause 0x1
	scratch_load_b128 v[1:4], off, off offset:240
	scratch_load_b128 v[9:12], off, off offset:256
	s_wait_loadcnt_dscnt 0x100
	v_mul_f32_e32 v169, v5, v2
	v_dual_mul_f32 v2, v6, v2 :: v_dual_mul_f32 v171, v7, v4
	s_delay_alu instid0(VALU_DEP_2) | instskip(NEXT) | instid1(VALU_DEP_2)
	v_fmac_f32_e32 v169, v6, v1
	v_fma_f32 v170, v5, v1, -v2
	v_mul_f32_e32 v1, v8, v4
	s_delay_alu instid0(VALU_DEP_4) | instskip(NEXT) | instid1(VALU_DEP_2)
	v_fmac_f32_e32 v171, v8, v3
	v_fma_f32 v172, v7, v3, -v1
	ds_load_b128 v[1:4], v21 offset:720
	ds_load_b128 v[5:8], v21 offset:736
	s_wait_loadcnt_dscnt 0x1
	v_mul_f32_e32 v173, v1, v10
	v_mul_f32_e32 v175, v3, v12
	s_delay_alu instid0(VALU_DEP_2) | instskip(NEXT) | instid1(VALU_DEP_2)
	v_fmac_f32_e32 v173, v2, v9
	v_dual_mul_f32 v2, v2, v10 :: v_dual_fmac_f32 v175, v4, v11
	s_delay_alu instid0(VALU_DEP_1) | instskip(SKIP_1) | instid1(VALU_DEP_1)
	v_fma_f32 v174, v1, v9, -v2
	v_mul_f32_e32 v1, v4, v12
	;; [unrolled: 25-line block ×5, first 2 shown]
	v_fma_f32 v200, v3, v11, -v1
	s_clause 0x1
	scratch_load_b128 v[1:4], off, off offset:368
	scratch_load_b128 v[9:12], off, off offset:384
	s_wait_loadcnt_dscnt 0x100
	v_mul_f32_e32 v201, v5, v2
	v_mul_f32_e32 v2, v6, v2
	s_delay_alu instid0(VALU_DEP_1) | instskip(SKIP_1) | instid1(VALU_DEP_1)
	v_fma_f32 v202, v5, v1, -v2
	v_add_f32_e32 v2, 0, v154
	v_add_f32_e32 v2, v2, v155
	s_delay_alu instid0(VALU_DEP_1) | instskip(NEXT) | instid1(VALU_DEP_1)
	v_add_f32_e32 v2, v2, v24
	v_add_f32_e32 v2, v2, v25
	s_delay_alu instid0(VALU_DEP_1) | instskip(NEXT) | instid1(VALU_DEP_1)
	;; [unrolled: 3-line block ×8, first 2 shown]
	v_add_f32_e32 v2, v2, v165
	v_add_f32_e32 v2, v2, v167
	s_delay_alu instid0(VALU_DEP_1) | instskip(SKIP_2) | instid1(VALU_DEP_3)
	v_add_f32_e32 v2, v2, v169
	v_fmac_f32_e32 v201, v6, v1
	v_mul_f32_e32 v1, v8, v4
	v_dual_mul_f32 v203, v7, v4 :: v_dual_add_f32 v2, v2, v171
	s_delay_alu instid0(VALU_DEP_2) | instskip(SKIP_1) | instid1(VALU_DEP_3)
	v_fma_f32 v204, v7, v3, -v1
	v_add_f32_e32 v1, 0, v22
	v_dual_fmac_f32 v203, v8, v3 :: v_dual_add_f32 v2, v2, v173
	s_delay_alu instid0(VALU_DEP_2) | instskip(NEXT) | instid1(VALU_DEP_2)
	v_add_f32_e32 v1, v1, v23
	v_add_f32_e32 v5, v2, v175
	s_delay_alu instid0(VALU_DEP_2) | instskip(NEXT) | instid1(VALU_DEP_1)
	v_add_f32_e32 v1, v1, v26
	v_add_f32_e32 v1, v1, v27
	s_delay_alu instid0(VALU_DEP_1) | instskip(NEXT) | instid1(VALU_DEP_1)
	v_add_f32_e32 v1, v1, v28
	v_add_f32_e32 v1, v1, v29
	s_delay_alu instid0(VALU_DEP_1) | instskip(SKIP_1) | instid1(VALU_DEP_2)
	v_add_f32_e32 v1, v1, v13
	v_add_f32_e32 v13, v5, v177
	;; [unrolled: 1-line block ×3, first 2 shown]
	s_delay_alu instid0(VALU_DEP_2) | instskip(NEXT) | instid1(VALU_DEP_2)
	v_add_f32_e32 v13, v13, v179
	v_add_f32_e32 v1, v1, v16
	s_delay_alu instid0(VALU_DEP_1) | instskip(NEXT) | instid1(VALU_DEP_1)
	v_add_f32_e32 v1, v1, v17
	v_add_f32_e32 v1, v1, v150
	s_delay_alu instid0(VALU_DEP_1) | instskip(NEXT) | instid1(VALU_DEP_1)
	;; [unrolled: 3-line block ×7, first 2 shown]
	v_add_f32_e32 v1, v1, v176
	v_add_f32_e32 v6, v1, v178
	ds_load_b128 v[1:4], v21 offset:848
	v_dual_add_f32 v13, v13, v181 :: v_dual_add_f32 v14, v6, v180
	scratch_load_b128 v[5:8], off, off offset:400
	v_add_f32_e32 v18, v13, v183
	v_add_f32_e32 v14, v14, v182
	s_delay_alu instid0(VALU_DEP_2) | instskip(NEXT) | instid1(VALU_DEP_2)
	v_add_f32_e32 v18, v18, v185
	v_add_f32_e32 v17, v14, v184
	ds_load_b128 v[13:16], v21 offset:864
	v_dual_add_f32 v18, v18, v187 :: v_dual_add_f32 v17, v17, v186
	s_wait_loadcnt_dscnt 0x101
	v_mul_f32_e32 v25, v1, v10
	v_mul_f32_e32 v10, v2, v10
	;; [unrolled: 1-line block ×4, first 2 shown]
	v_add_f32_e32 v17, v17, v188
	v_fmac_f32_e32 v25, v2, v9
	v_fma_f32 v27, v1, v9, -v10
	v_fmac_f32_e32 v26, v4, v11
	v_fma_f32 v28, v3, v11, -v12
	s_clause 0x1
	scratch_load_b128 v[1:4], off, off offset:416
	scratch_load_b128 v[9:12], off, off offset:432
	v_dual_add_f32 v17, v17, v190 :: v_dual_add_f32 v22, v18, v189
	s_delay_alu instid0(VALU_DEP_1) | instskip(SKIP_2) | instid1(VALU_DEP_1)
	v_add_f32_e32 v23, v17, v192
	scratch_load_b128 v[17:20], off, off offset:448
	v_dual_add_f32 v22, v22, v191 :: v_dual_add_f32 v23, v23, v194
	v_dual_add_f32 v22, v22, v193 :: v_dual_add_f32 v23, v23, v196
	s_wait_loadcnt_dscnt 0x300
	v_mul_f32_e32 v29, v13, v6
	v_mul_f32_e32 v6, v14, v6
	;; [unrolled: 1-line block ×3, first 2 shown]
	s_delay_alu instid0(VALU_DEP_3) | instskip(NEXT) | instid1(VALU_DEP_3)
	v_dual_mul_f32 v8, v16, v8 :: v_dual_fmac_f32 v29, v14, v5
	v_fma_f32 v148, v13, v5, -v6
	v_dual_add_f32 v13, v22, v195 :: v_dual_add_f32 v22, v23, v198
	s_delay_alu instid0(VALU_DEP_4) | instskip(NEXT) | instid1(VALU_DEP_4)
	v_fmac_f32_e32 v30, v16, v7
	v_fma_f32 v149, v15, v7, -v8
	ds_load_b128 v[5:8], v21 offset:880
	v_dual_add_f32 v23, v13, v197 :: v_dual_add_f32 v150, v22, v200
	ds_load_b128 v[13:16], v21 offset:896
	v_dual_add_f32 v151, v23, v199 :: v_dual_add_f32 v150, v150, v202
	;; [unrolled: 2-line block ×3, first 2 shown]
	s_delay_alu instid0(VALU_DEP_1) | instskip(SKIP_1) | instid1(VALU_DEP_2)
	v_add_f32_e32 v151, v151, v203
	s_wait_loadcnt_dscnt 0x202
	v_dual_add_f32 v27, v150, v27 :: v_dual_mul_f32 v154, v5, v2
	s_delay_alu instid0(VALU_DEP_2) | instskip(NEXT) | instid1(VALU_DEP_2)
	v_add_f32_e32 v25, v151, v25
	v_dual_add_f32 v27, v27, v28 :: v_dual_mul_f32 v2, v6, v2
	v_mul_f32_e32 v150, v7, v4
	s_delay_alu instid0(VALU_DEP_3) | instskip(NEXT) | instid1(VALU_DEP_3)
	v_dual_mul_f32 v4, v8, v4 :: v_dual_add_f32 v25, v25, v26
	v_add_f32_e32 v27, v27, v148
	s_delay_alu instid0(VALU_DEP_4)
	v_fma_f32 v2, v5, v1, -v2
	s_wait_loadcnt_dscnt 0x101
	v_dual_fmac_f32 v154, v6, v1 :: v_dual_mul_f32 v151, v13, v10
	v_add_f32_e32 v25, v25, v29
	v_dual_add_f32 v1, v27, v149 :: v_dual_mul_f32 v6, v14, v10
	v_fmac_f32_e32 v150, v8, v3
	v_fma_f32 v3, v7, v3, -v4
	s_delay_alu instid0(VALU_DEP_4) | instskip(NEXT) | instid1(VALU_DEP_4)
	v_add_f32_e32 v5, v25, v30
	v_add_f32_e32 v1, v1, v2
	v_mul_f32_e32 v155, v15, v12
	v_dual_mul_f32 v4, v16, v12 :: v_dual_fmac_f32 v151, v14, v9
	s_delay_alu instid0(VALU_DEP_4)
	v_add_f32_e32 v2, v5, v154
	v_fma_f32 v5, v13, v9, -v6
	v_add_f32_e32 v1, v1, v3
	s_wait_loadcnt_dscnt 0x0
	v_mul_f32_e32 v26, v21, v18
	v_mul_f32_e32 v3, v22, v18
	v_dual_add_f32 v2, v2, v150 :: v_dual_fmac_f32 v155, v16, v11
	v_fma_f32 v4, v15, v11, -v4
	v_dual_add_f32 v1, v1, v5 :: v_dual_mul_f32 v28, v23, v20
	s_delay_alu instid0(VALU_DEP_3) | instskip(SKIP_2) | instid1(VALU_DEP_3)
	v_dual_add_f32 v2, v2, v151 :: v_dual_mul_f32 v5, v24, v20
	v_fmac_f32_e32 v26, v22, v17
	v_fma_f32 v3, v21, v17, -v3
	v_dual_add_f32 v1, v1, v4 :: v_dual_add_f32 v2, v2, v155
	v_fmac_f32_e32 v28, v24, v19
	v_fma_f32 v4, v23, v19, -v5
	s_delay_alu instid0(VALU_DEP_3) | instskip(NEXT) | instid1(VALU_DEP_1)
	v_dual_add_f32 v1, v1, v3 :: v_dual_add_f32 v2, v2, v26
	v_add_f32_e32 v1, v1, v4
	s_delay_alu instid0(VALU_DEP_1) | instskip(NEXT) | instid1(VALU_DEP_1)
	v_dual_add_f32 v2, v2, v28 :: v_dual_sub_f32 v1, v152, v1
	v_sub_f32_e32 v2, v153, v2
	scratch_store_b64 off, v[1:2], off offset:88
	v_cmpx_lt_u32_e32 10, v0
	s_cbranch_execz .LBB121_341
; %bb.340:
	scratch_load_b64 v[1:2], off, off offset:80
	v_mov_b32_e32 v3, 0
	s_delay_alu instid0(VALU_DEP_1)
	v_mov_b32_e32 v4, v3
	scratch_store_b64 off, v[3:4], off offset:80
	s_wait_loadcnt 0x0
	ds_store_b64 v31, v[1:2]
.LBB121_341:
	s_wait_alu 0xfffe
	s_or_b32 exec_lo, exec_lo, s0
	s_wait_storecnt_dscnt 0x0
	s_barrier_signal -1
	s_barrier_wait -1
	global_inv scope:SCOPE_SE
	s_clause 0x4
	scratch_load_b128 v[5:8], off, off offset:88
	scratch_load_b128 v[1:4], off, off offset:104
	;; [unrolled: 1-line block ×5, first 2 shown]
	v_mov_b32_e32 v21, 0
	ds_load_2addr_b64 v[22:25], v21 offset0:69 offset1:70
	ds_load_2addr_b64 v[26:29], v21 offset0:71 offset1:72
	;; [unrolled: 1-line block ×3, first 2 shown]
	scratch_load_b64 v[152:153], off, off offset:80
	s_mov_b32 s0, exec_lo
	s_wait_loadcnt_dscnt 0x502
	v_mul_f32_e32 v30, v23, v6
	v_dual_mul_f32 v154, v22, v6 :: v_dual_mul_f32 v155, v24, v8
	v_mul_f32_e32 v6, v25, v8
	s_wait_loadcnt_dscnt 0x300
	v_mul_f32_e32 v156, v150, v12
	v_fma_f32 v22, v22, v5, -v30
	v_dual_fmac_f32 v154, v23, v5 :: v_dual_fmac_f32 v155, v25, v7
	v_fma_f32 v23, v24, v7, -v6
	v_dual_mul_f32 v24, v26, v2 :: v_dual_mul_f32 v25, v28, v4
	v_mul_f32_e32 v2, v27, v2
	v_mul_f32_e32 v4, v29, v4
	ds_load_2addr_b64 v[5:8], v21 offset0:75 offset1:76
	v_mul_f32_e32 v30, v148, v10
	v_dual_fmac_f32 v24, v27, v1 :: v_dual_fmac_f32 v25, v29, v3
	v_fma_f32 v26, v26, v1, -v2
	v_fma_f32 v27, v28, v3, -v4
	v_mul_f32_e32 v12, v151, v12
	scratch_load_b128 v[1:4], off, off offset:168
	v_mul_f32_e32 v10, v149, v10
	v_fmac_f32_e32 v30, v149, v9
	v_fmac_f32_e32 v156, v151, v11
	v_fma_f32 v29, v150, v11, -v12
	s_delay_alu instid0(VALU_DEP_4)
	v_fma_f32 v28, v148, v9, -v10
	ds_load_2addr_b64 v[9:12], v21 offset0:77 offset1:78
	s_wait_loadcnt_dscnt 0x301
	v_mul_f32_e32 v148, v5, v14
	v_dual_mul_f32 v14, v6, v14 :: v_dual_mul_f32 v149, v7, v16
	v_mul_f32_e32 v16, v8, v16
	s_delay_alu instid0(VALU_DEP_3) | instskip(NEXT) | instid1(VALU_DEP_3)
	v_fmac_f32_e32 v148, v6, v13
	v_fma_f32 v13, v5, v13, -v14
	s_delay_alu instid0(VALU_DEP_4) | instskip(NEXT) | instid1(VALU_DEP_4)
	v_fmac_f32_e32 v149, v8, v15
	v_fma_f32 v14, v7, v15, -v16
	ds_load_2addr_b64 v[5:8], v21 offset0:79 offset1:80
	s_wait_loadcnt_dscnt 0x201
	v_mul_f32_e32 v15, v9, v18
	v_mul_f32_e32 v16, v10, v18
	;; [unrolled: 1-line block ×3, first 2 shown]
	s_delay_alu instid0(VALU_DEP_3) | instskip(NEXT) | instid1(VALU_DEP_3)
	v_dual_mul_f32 v20, v12, v20 :: v_dual_fmac_f32 v15, v10, v17
	v_fma_f32 v16, v9, v17, -v16
	s_delay_alu instid0(VALU_DEP_3) | instskip(NEXT) | instid1(VALU_DEP_3)
	v_fmac_f32_e32 v18, v12, v19
	v_fma_f32 v17, v11, v19, -v20
	scratch_load_b128 v[9:12], off, off offset:184
	s_wait_loadcnt_dscnt 0x100
	v_mul_f32_e32 v19, v5, v2
	v_mul_f32_e32 v2, v6, v2
	;; [unrolled: 1-line block ×3, first 2 shown]
	s_delay_alu instid0(VALU_DEP_3) | instskip(NEXT) | instid1(VALU_DEP_3)
	v_dual_mul_f32 v4, v8, v4 :: v_dual_fmac_f32 v19, v6, v1
	v_fma_f32 v150, v5, v1, -v2
	s_delay_alu instid0(VALU_DEP_3) | instskip(NEXT) | instid1(VALU_DEP_3)
	v_fmac_f32_e32 v20, v8, v3
	v_fma_f32 v151, v7, v3, -v4
	ds_load_2addr_b64 v[1:4], v21 offset0:81 offset1:82
	ds_load_2addr_b64 v[5:8], v21 offset0:83 offset1:84
	s_wait_loadcnt_dscnt 0x1
	v_mul_f32_e32 v157, v1, v10
	v_mul_f32_e32 v10, v2, v10
	s_delay_alu instid0(VALU_DEP_2) | instskip(NEXT) | instid1(VALU_DEP_2)
	v_dual_mul_f32 v158, v3, v12 :: v_dual_fmac_f32 v157, v2, v9
	v_fma_f32 v159, v1, v9, -v10
	v_mul_f32_e32 v1, v4, v12
	s_delay_alu instid0(VALU_DEP_3) | instskip(NEXT) | instid1(VALU_DEP_2)
	v_fmac_f32_e32 v158, v4, v11
	v_fma_f32 v160, v3, v11, -v1
	s_clause 0x1
	scratch_load_b128 v[1:4], off, off offset:200
	scratch_load_b128 v[9:12], off, off offset:216
	s_wait_loadcnt_dscnt 0x100
	v_mul_f32_e32 v161, v5, v2
	v_dual_mul_f32 v2, v6, v2 :: v_dual_mul_f32 v163, v7, v4
	s_delay_alu instid0(VALU_DEP_2) | instskip(NEXT) | instid1(VALU_DEP_2)
	v_fmac_f32_e32 v161, v6, v1
	v_fma_f32 v162, v5, v1, -v2
	v_mul_f32_e32 v1, v8, v4
	s_delay_alu instid0(VALU_DEP_4) | instskip(NEXT) | instid1(VALU_DEP_2)
	v_fmac_f32_e32 v163, v8, v3
	v_fma_f32 v164, v7, v3, -v1
	ds_load_2addr_b64 v[1:4], v21 offset0:85 offset1:86
	ds_load_2addr_b64 v[5:8], v21 offset0:87 offset1:88
	s_wait_loadcnt_dscnt 0x1
	v_mul_f32_e32 v165, v1, v10
	v_mul_f32_e32 v167, v3, v12
	s_delay_alu instid0(VALU_DEP_2) | instskip(NEXT) | instid1(VALU_DEP_2)
	v_fmac_f32_e32 v165, v2, v9
	v_dual_mul_f32 v2, v2, v10 :: v_dual_fmac_f32 v167, v4, v11
	s_delay_alu instid0(VALU_DEP_1) | instskip(SKIP_1) | instid1(VALU_DEP_1)
	v_fma_f32 v166, v1, v9, -v2
	v_mul_f32_e32 v1, v4, v12
	v_fma_f32 v168, v3, v11, -v1
	s_clause 0x1
	scratch_load_b128 v[1:4], off, off offset:232
	scratch_load_b128 v[9:12], off, off offset:248
	s_wait_loadcnt_dscnt 0x100
	v_mul_f32_e32 v169, v5, v2
	v_dual_mul_f32 v2, v6, v2 :: v_dual_mul_f32 v171, v7, v4
	s_delay_alu instid0(VALU_DEP_2) | instskip(NEXT) | instid1(VALU_DEP_2)
	v_fmac_f32_e32 v169, v6, v1
	v_fma_f32 v170, v5, v1, -v2
	v_mul_f32_e32 v1, v8, v4
	s_delay_alu instid0(VALU_DEP_4) | instskip(NEXT) | instid1(VALU_DEP_2)
	v_fmac_f32_e32 v171, v8, v3
	v_fma_f32 v172, v7, v3, -v1
	ds_load_2addr_b64 v[1:4], v21 offset0:89 offset1:90
	ds_load_2addr_b64 v[5:8], v21 offset0:91 offset1:92
	s_wait_loadcnt_dscnt 0x1
	v_mul_f32_e32 v173, v1, v10
	v_mul_f32_e32 v175, v3, v12
	s_delay_alu instid0(VALU_DEP_2) | instskip(NEXT) | instid1(VALU_DEP_2)
	v_fmac_f32_e32 v173, v2, v9
	v_dual_mul_f32 v2, v2, v10 :: v_dual_fmac_f32 v175, v4, v11
	s_delay_alu instid0(VALU_DEP_1) | instskip(SKIP_1) | instid1(VALU_DEP_1)
	v_fma_f32 v174, v1, v9, -v2
	v_mul_f32_e32 v1, v4, v12
	v_fma_f32 v176, v3, v11, -v1
	s_clause 0x1
	scratch_load_b128 v[1:4], off, off offset:264
	scratch_load_b128 v[9:12], off, off offset:280
	s_wait_loadcnt_dscnt 0x100
	v_mul_f32_e32 v177, v5, v2
	v_dual_mul_f32 v2, v6, v2 :: v_dual_mul_f32 v179, v7, v4
	s_delay_alu instid0(VALU_DEP_1) | instskip(NEXT) | instid1(VALU_DEP_3)
	v_fma_f32 v178, v5, v1, -v2
	v_fmac_f32_e32 v177, v6, v1
	v_mul_f32_e32 v1, v8, v4
	s_delay_alu instid0(VALU_DEP_4) | instskip(NEXT) | instid1(VALU_DEP_2)
	v_fmac_f32_e32 v179, v8, v3
	v_fma_f32 v180, v7, v3, -v1
	ds_load_2addr_b64 v[1:4], v21 offset0:93 offset1:94
	ds_load_2addr_b64 v[5:8], v21 offset0:95 offset1:96
	s_wait_loadcnt_dscnt 0x1
	v_mul_f32_e32 v181, v1, v10
	v_mul_f32_e32 v183, v3, v12
	s_delay_alu instid0(VALU_DEP_1) | instskip(NEXT) | instid1(VALU_DEP_3)
	v_fmac_f32_e32 v183, v4, v11
	v_fmac_f32_e32 v181, v2, v9
	v_mul_f32_e32 v2, v2, v10
	s_delay_alu instid0(VALU_DEP_1) | instskip(SKIP_1) | instid1(VALU_DEP_1)
	v_fma_f32 v182, v1, v9, -v2
	v_mul_f32_e32 v1, v4, v12
	v_fma_f32 v184, v3, v11, -v1
	s_clause 0x1
	scratch_load_b128 v[1:4], off, off offset:296
	scratch_load_b128 v[9:12], off, off offset:312
	s_wait_loadcnt_dscnt 0x100
	v_mul_f32_e32 v185, v5, v2
	v_dual_mul_f32 v2, v6, v2 :: v_dual_mul_f32 v187, v7, v4
	s_delay_alu instid0(VALU_DEP_2) | instskip(NEXT) | instid1(VALU_DEP_2)
	v_fmac_f32_e32 v185, v6, v1
	v_fma_f32 v186, v5, v1, -v2
	v_mul_f32_e32 v1, v8, v4
	s_delay_alu instid0(VALU_DEP_4) | instskip(NEXT) | instid1(VALU_DEP_2)
	v_fmac_f32_e32 v187, v8, v3
	v_fma_f32 v188, v7, v3, -v1
	ds_load_2addr_b64 v[1:4], v21 offset0:97 offset1:98
	ds_load_2addr_b64 v[5:8], v21 offset0:99 offset1:100
	s_wait_loadcnt_dscnt 0x1
	v_mul_f32_e32 v189, v1, v10
	v_mul_f32_e32 v191, v3, v12
	s_delay_alu instid0(VALU_DEP_2) | instskip(NEXT) | instid1(VALU_DEP_2)
	v_fmac_f32_e32 v189, v2, v9
	v_dual_mul_f32 v2, v2, v10 :: v_dual_fmac_f32 v191, v4, v11
	s_delay_alu instid0(VALU_DEP_1) | instskip(SKIP_1) | instid1(VALU_DEP_1)
	v_fma_f32 v190, v1, v9, -v2
	v_mul_f32_e32 v1, v4, v12
	v_fma_f32 v192, v3, v11, -v1
	s_clause 0x1
	scratch_load_b128 v[1:4], off, off offset:328
	scratch_load_b128 v[9:12], off, off offset:344
	s_wait_loadcnt_dscnt 0x100
	v_mul_f32_e32 v193, v5, v2
	v_dual_mul_f32 v2, v6, v2 :: v_dual_mul_f32 v195, v7, v4
	s_delay_alu instid0(VALU_DEP_2) | instskip(NEXT) | instid1(VALU_DEP_2)
	v_fmac_f32_e32 v193, v6, v1
	v_fma_f32 v194, v5, v1, -v2
	v_mul_f32_e32 v1, v8, v4
	s_delay_alu instid0(VALU_DEP_4) | instskip(NEXT) | instid1(VALU_DEP_2)
	v_fmac_f32_e32 v195, v8, v3
	v_fma_f32 v196, v7, v3, -v1
	ds_load_2addr_b64 v[1:4], v21 offset0:101 offset1:102
	ds_load_2addr_b64 v[5:8], v21 offset0:103 offset1:104
	s_wait_loadcnt_dscnt 0x1
	v_mul_f32_e32 v197, v1, v10
	v_mul_f32_e32 v199, v3, v12
	s_delay_alu instid0(VALU_DEP_2) | instskip(NEXT) | instid1(VALU_DEP_2)
	v_fmac_f32_e32 v197, v2, v9
	v_dual_mul_f32 v2, v2, v10 :: v_dual_fmac_f32 v199, v4, v11
	s_delay_alu instid0(VALU_DEP_1) | instskip(SKIP_1) | instid1(VALU_DEP_1)
	v_fma_f32 v198, v1, v9, -v2
	v_mul_f32_e32 v1, v4, v12
	v_fma_f32 v200, v3, v11, -v1
	s_clause 0x1
	scratch_load_b128 v[1:4], off, off offset:360
	scratch_load_b128 v[9:12], off, off offset:376
	s_wait_loadcnt_dscnt 0x100
	v_mul_f32_e32 v201, v5, v2
	v_mul_f32_e32 v2, v6, v2
	s_delay_alu instid0(VALU_DEP_1) | instskip(SKIP_1) | instid1(VALU_DEP_1)
	v_fma_f32 v202, v5, v1, -v2
	v_add_f32_e32 v2, 0, v154
	v_add_f32_e32 v2, v2, v155
	s_delay_alu instid0(VALU_DEP_1) | instskip(NEXT) | instid1(VALU_DEP_1)
	v_add_f32_e32 v2, v2, v24
	v_add_f32_e32 v2, v2, v25
	s_delay_alu instid0(VALU_DEP_1) | instskip(NEXT) | instid1(VALU_DEP_1)
	;; [unrolled: 3-line block ×8, first 2 shown]
	v_add_f32_e32 v2, v2, v165
	v_add_f32_e32 v2, v2, v167
	s_delay_alu instid0(VALU_DEP_1) | instskip(SKIP_2) | instid1(VALU_DEP_3)
	v_add_f32_e32 v2, v2, v169
	v_fmac_f32_e32 v201, v6, v1
	v_mul_f32_e32 v1, v8, v4
	v_dual_mul_f32 v203, v7, v4 :: v_dual_add_f32 v2, v2, v171
	s_delay_alu instid0(VALU_DEP_2) | instskip(SKIP_1) | instid1(VALU_DEP_3)
	v_fma_f32 v204, v7, v3, -v1
	v_add_f32_e32 v1, 0, v22
	v_dual_fmac_f32 v203, v8, v3 :: v_dual_add_f32 v2, v2, v173
	s_delay_alu instid0(VALU_DEP_2) | instskip(NEXT) | instid1(VALU_DEP_2)
	v_add_f32_e32 v1, v1, v23
	v_add_f32_e32 v5, v2, v175
	s_delay_alu instid0(VALU_DEP_2) | instskip(NEXT) | instid1(VALU_DEP_1)
	v_add_f32_e32 v1, v1, v26
	v_add_f32_e32 v1, v1, v27
	scratch_load_b64 v[26:27], off, off offset:456
	v_add_f32_e32 v1, v1, v28
	s_delay_alu instid0(VALU_DEP_1) | instskip(NEXT) | instid1(VALU_DEP_1)
	v_add_f32_e32 v1, v1, v29
	v_add_f32_e32 v1, v1, v13
	s_delay_alu instid0(VALU_DEP_1) | instskip(NEXT) | instid1(VALU_DEP_1)
	v_add_f32_e32 v1, v1, v14
	;; [unrolled: 3-line block ×9, first 2 shown]
	v_add_f32_e32 v6, v1, v178
	scratch_load_b128 v[1:4], off, off offset:392
	v_dual_add_f32 v13, v5, v177 :: v_dual_add_f32 v14, v6, v180
	ds_load_2addr_b64 v[5:8], v21 offset0:105 offset1:106
	v_dual_add_f32 v13, v13, v179 :: v_dual_add_f32 v14, v14, v182
	s_delay_alu instid0(VALU_DEP_1) | instskip(NEXT) | instid1(VALU_DEP_1)
	v_add_f32_e32 v13, v13, v181
	v_dual_add_f32 v17, v14, v184 :: v_dual_add_f32 v18, v13, v183
	ds_load_2addr_b64 v[13:16], v21 offset0:107 offset1:108
	s_wait_loadcnt_dscnt 0x201
	v_mul_f32_e32 v30, v5, v10
	v_add_f32_e32 v18, v18, v185
	v_mul_f32_e32 v148, v7, v12
	v_mul_f32_e32 v10, v6, v10
	;; [unrolled: 1-line block ×3, first 2 shown]
	v_fmac_f32_e32 v30, v6, v9
	v_add_f32_e32 v18, v18, v187
	v_fmac_f32_e32 v148, v8, v11
	v_fma_f32 v149, v5, v9, -v10
	v_fma_f32 v150, v7, v11, -v12
	scratch_load_b128 v[5:8], off, off offset:408
	v_add_f32_e32 v22, v18, v189
	scratch_load_b128 v[9:12], off, off offset:424
	v_add_f32_e32 v22, v22, v191
	s_delay_alu instid0(VALU_DEP_1) | instskip(SKIP_1) | instid1(VALU_DEP_1)
	v_add_f32_e32 v22, v22, v193
	s_wait_loadcnt_dscnt 0x200
	v_dual_add_f32 v22, v22, v195 :: v_dual_mul_f32 v151, v13, v2
	v_mul_f32_e32 v2, v14, v2
	v_mul_f32_e32 v154, v15, v4
	s_delay_alu instid0(VALU_DEP_3) | instskip(NEXT) | instid1(VALU_DEP_3)
	v_dual_mul_f32 v4, v16, v4 :: v_dual_fmac_f32 v151, v14, v1
	v_fma_f32 v155, v13, v1, -v2
	s_delay_alu instid0(VALU_DEP_3) | instskip(NEXT) | instid1(VALU_DEP_3)
	v_dual_add_f32 v13, v22, v197 :: v_dual_fmac_f32 v154, v16, v3
	v_fma_f32 v156, v15, v3, -v4
	ds_load_2addr_b64 v[1:4], v21 offset0:109 offset1:110
	v_add_f32_e32 v22, v13, v199
	v_add_f32_e32 v17, v17, v186
	s_delay_alu instid0(VALU_DEP_2) | instskip(NEXT) | instid1(VALU_DEP_2)
	v_add_f32_e32 v29, v22, v201
	v_add_f32_e32 v17, v17, v188
	s_delay_alu instid0(VALU_DEP_2) | instskip(NEXT) | instid1(VALU_DEP_2)
	v_add_f32_e32 v158, v29, v203
	v_add_f32_e32 v17, v17, v190
	s_delay_alu instid0(VALU_DEP_1) | instskip(SKIP_2) | instid1(VALU_DEP_1)
	v_dual_add_f32 v30, v158, v30 :: v_dual_add_f32 v23, v17, v192
	scratch_load_b128 v[17:20], off, off offset:440
	v_dual_add_f32 v30, v30, v148 :: v_dual_add_f32 v23, v23, v194
	v_dual_add_f32 v30, v30, v151 :: v_dual_add_f32 v23, v23, v196
	s_delay_alu instid0(VALU_DEP_1) | instskip(NEXT) | instid1(VALU_DEP_2)
	v_add_f32_e32 v30, v30, v154
	v_add_f32_e32 v23, v23, v198
	s_delay_alu instid0(VALU_DEP_1)
	v_add_f32_e32 v14, v23, v200
	ds_load_2addr_b64 v[22:25], v21 offset0:113 offset1:114
	v_add_f32_e32 v28, v14, v202
	ds_load_2addr_b64 v[13:16], v21 offset0:111 offset1:112
	s_wait_loadcnt_dscnt 0x202
	v_mul_f32_e32 v148, v3, v8
	v_mul_f32_e32 v8, v4, v8
	v_add_f32_e32 v157, v28, v204
	ds_load_b64 v[28:29], v21 offset:920
	v_dual_fmac_f32 v148, v4, v7 :: v_dual_add_f32 v149, v157, v149
	v_mul_f32_e32 v157, v1, v6
	v_mul_f32_e32 v6, v2, v6
	s_delay_alu instid0(VALU_DEP_3) | instskip(NEXT) | instid1(VALU_DEP_3)
	v_add_f32_e32 v149, v149, v150
	v_fmac_f32_e32 v157, v2, v5
	s_delay_alu instid0(VALU_DEP_3) | instskip(SKIP_1) | instid1(VALU_DEP_4)
	v_fma_f32 v1, v1, v5, -v6
	v_fma_f32 v2, v3, v7, -v8
	v_add_f32_e32 v149, v149, v155
	s_wait_loadcnt_dscnt 0x101
	v_mul_f32_e32 v150, v13, v10
	v_mul_f32_e32 v3, v14, v10
	v_dual_add_f32 v4, v30, v157 :: v_dual_mul_f32 v151, v15, v12
	v_add_f32_e32 v149, v149, v156
	s_delay_alu instid0(VALU_DEP_4) | instskip(NEXT) | instid1(VALU_DEP_4)
	v_dual_mul_f32 v5, v16, v12 :: v_dual_fmac_f32 v150, v14, v9
	v_fma_f32 v3, v13, v9, -v3
	s_delay_alu instid0(VALU_DEP_4) | instskip(NEXT) | instid1(VALU_DEP_4)
	v_fmac_f32_e32 v151, v16, v11
	v_add_f32_e32 v1, v149, v1
	s_delay_alu instid0(VALU_DEP_4) | instskip(SKIP_1) | instid1(VALU_DEP_2)
	v_fma_f32 v5, v15, v11, -v5
	s_wait_dscnt 0x0
	v_dual_mul_f32 v154, v28, v27 :: v_dual_add_f32 v1, v1, v2
	v_add_f32_e32 v2, v4, v148
	s_delay_alu instid0(VALU_DEP_2) | instskip(NEXT) | instid1(VALU_DEP_2)
	v_fmac_f32_e32 v154, v29, v26
	v_dual_add_f32 v1, v1, v3 :: v_dual_add_f32 v2, v2, v150
	s_delay_alu instid0(VALU_DEP_1)
	v_dual_add_f32 v1, v1, v5 :: v_dual_add_f32 v2, v2, v151
	v_mul_f32_e32 v5, v29, v27
	s_wait_loadcnt 0x0
	v_mul_f32_e32 v155, v22, v18
	v_mul_f32_e32 v4, v23, v18
	;; [unrolled: 1-line block ×4, first 2 shown]
	s_delay_alu instid0(VALU_DEP_4) | instskip(NEXT) | instid1(VALU_DEP_4)
	v_fmac_f32_e32 v155, v23, v17
	v_fma_f32 v4, v22, v17, -v4
	s_delay_alu instid0(VALU_DEP_4) | instskip(NEXT) | instid1(VALU_DEP_4)
	v_fmac_f32_e32 v156, v25, v19
	v_fma_f32 v3, v24, v19, -v3
	s_delay_alu instid0(VALU_DEP_3) | instskip(SKIP_1) | instid1(VALU_DEP_2)
	v_dual_add_f32 v2, v2, v155 :: v_dual_add_f32 v1, v1, v4
	v_fma_f32 v4, v28, v26, -v5
	v_dual_add_f32 v2, v2, v156 :: v_dual_add_f32 v1, v1, v3
	s_delay_alu instid0(VALU_DEP_1) | instskip(NEXT) | instid1(VALU_DEP_1)
	v_dual_add_f32 v2, v2, v154 :: v_dual_add_f32 v1, v1, v4
	v_dual_sub_f32 v2, v153, v2 :: v_dual_sub_f32 v1, v152, v1
	scratch_store_b64 off, v[1:2], off offset:80
	v_cmpx_lt_u32_e32 9, v0
	s_cbranch_execz .LBB121_343
; %bb.342:
	scratch_load_b64 v[1:2], off, off offset:72
	v_mov_b32_e32 v22, v21
	scratch_store_b64 off, v[21:22], off offset:72
	s_wait_loadcnt 0x0
	ds_store_b64 v31, v[1:2]
.LBB121_343:
	s_wait_alu 0xfffe
	s_or_b32 exec_lo, exec_lo, s0
	s_wait_storecnt_dscnt 0x0
	s_barrier_signal -1
	s_barrier_wait -1
	global_inv scope:SCOPE_SE
	s_clause 0x4
	scratch_load_b128 v[5:8], off, off offset:80
	scratch_load_b128 v[1:4], off, off offset:96
	;; [unrolled: 1-line block ×5, first 2 shown]
	ds_load_b128 v[22:25], v21 offset:544
	ds_load_b128 v[26:29], v21 offset:560
	;; [unrolled: 1-line block ×3, first 2 shown]
	scratch_load_b64 v[152:153], off, off offset:72
	s_mov_b32 s0, exec_lo
	s_wait_loadcnt_dscnt 0x502
	v_dual_mul_f32 v30, v23, v6 :: v_dual_mul_f32 v155, v24, v8
	v_mul_f32_e32 v154, v22, v6
	v_mul_f32_e32 v6, v25, v8
	s_wait_loadcnt_dscnt 0x300
	v_mul_f32_e32 v156, v150, v12
	v_fma_f32 v22, v22, v5, -v30
	v_dual_fmac_f32 v155, v25, v7 :: v_dual_fmac_f32 v154, v23, v5
	v_mul_f32_e32 v25, v28, v4
	v_fma_f32 v23, v24, v7, -v6
	ds_load_b128 v[5:8], v21 offset:592
	v_mul_f32_e32 v24, v26, v2
	v_mul_f32_e32 v4, v29, v4
	;; [unrolled: 1-line block ×5, first 2 shown]
	v_dual_mul_f32 v2, v27, v2 :: v_dual_fmac_f32 v25, v29, v3
	v_fmac_f32_e32 v24, v27, v1
	v_fma_f32 v27, v28, v3, -v4
	v_fmac_f32_e32 v30, v149, v9
	v_fma_f32 v28, v148, v9, -v10
	;; [unrolled: 2-line block ×3, first 2 shown]
	ds_load_b128 v[9:12], v21 offset:608
	s_wait_loadcnt_dscnt 0x201
	v_mul_f32_e32 v148, v5, v14
	v_dual_mul_f32 v14, v6, v14 :: v_dual_mul_f32 v149, v7, v16
	v_mul_f32_e32 v16, v8, v16
	s_delay_alu instid0(VALU_DEP_3) | instskip(NEXT) | instid1(VALU_DEP_3)
	v_fmac_f32_e32 v148, v6, v13
	v_fma_f32 v13, v5, v13, -v14
	s_delay_alu instid0(VALU_DEP_4) | instskip(NEXT) | instid1(VALU_DEP_4)
	v_fmac_f32_e32 v149, v8, v15
	v_fma_f32 v14, v7, v15, -v16
	ds_load_b128 v[5:8], v21 offset:624
	s_wait_loadcnt_dscnt 0x101
	v_mul_f32_e32 v15, v9, v18
	v_mul_f32_e32 v16, v10, v18
	;; [unrolled: 1-line block ×3, first 2 shown]
	s_delay_alu instid0(VALU_DEP_3)
	v_dual_mul_f32 v20, v12, v20 :: v_dual_fmac_f32 v15, v10, v17
	v_fma_f32 v26, v26, v1, -v2
	scratch_load_b128 v[1:4], off, off offset:160
	v_fma_f32 v16, v9, v17, -v16
	v_fmac_f32_e32 v18, v12, v19
	v_fma_f32 v17, v11, v19, -v20
	scratch_load_b128 v[9:12], off, off offset:176
	s_wait_loadcnt_dscnt 0x100
	v_mul_f32_e32 v19, v5, v2
	v_mul_f32_e32 v2, v6, v2
	;; [unrolled: 1-line block ×3, first 2 shown]
	s_delay_alu instid0(VALU_DEP_3) | instskip(NEXT) | instid1(VALU_DEP_3)
	v_dual_mul_f32 v4, v8, v4 :: v_dual_fmac_f32 v19, v6, v1
	v_fma_f32 v150, v5, v1, -v2
	s_delay_alu instid0(VALU_DEP_3) | instskip(NEXT) | instid1(VALU_DEP_3)
	v_fmac_f32_e32 v20, v8, v3
	v_fma_f32 v151, v7, v3, -v4
	ds_load_b128 v[1:4], v21 offset:640
	ds_load_b128 v[5:8], v21 offset:656
	s_wait_loadcnt_dscnt 0x1
	v_mul_f32_e32 v157, v1, v10
	v_mul_f32_e32 v10, v2, v10
	s_delay_alu instid0(VALU_DEP_2) | instskip(NEXT) | instid1(VALU_DEP_2)
	v_dual_mul_f32 v158, v3, v12 :: v_dual_fmac_f32 v157, v2, v9
	v_fma_f32 v159, v1, v9, -v10
	v_mul_f32_e32 v1, v4, v12
	s_delay_alu instid0(VALU_DEP_3) | instskip(NEXT) | instid1(VALU_DEP_2)
	v_fmac_f32_e32 v158, v4, v11
	v_fma_f32 v160, v3, v11, -v1
	s_clause 0x1
	scratch_load_b128 v[1:4], off, off offset:192
	scratch_load_b128 v[9:12], off, off offset:208
	s_wait_loadcnt_dscnt 0x100
	v_mul_f32_e32 v161, v5, v2
	v_dual_mul_f32 v2, v6, v2 :: v_dual_mul_f32 v163, v7, v4
	s_delay_alu instid0(VALU_DEP_2) | instskip(NEXT) | instid1(VALU_DEP_2)
	v_fmac_f32_e32 v161, v6, v1
	v_fma_f32 v162, v5, v1, -v2
	v_mul_f32_e32 v1, v8, v4
	s_delay_alu instid0(VALU_DEP_4) | instskip(NEXT) | instid1(VALU_DEP_2)
	v_fmac_f32_e32 v163, v8, v3
	v_fma_f32 v164, v7, v3, -v1
	ds_load_b128 v[1:4], v21 offset:672
	ds_load_b128 v[5:8], v21 offset:688
	s_wait_loadcnt_dscnt 0x1
	v_mul_f32_e32 v165, v1, v10
	v_mul_f32_e32 v167, v3, v12
	s_delay_alu instid0(VALU_DEP_2) | instskip(NEXT) | instid1(VALU_DEP_2)
	v_fmac_f32_e32 v165, v2, v9
	v_dual_mul_f32 v2, v2, v10 :: v_dual_fmac_f32 v167, v4, v11
	s_delay_alu instid0(VALU_DEP_1) | instskip(SKIP_1) | instid1(VALU_DEP_1)
	v_fma_f32 v166, v1, v9, -v2
	v_mul_f32_e32 v1, v4, v12
	v_fma_f32 v168, v3, v11, -v1
	s_clause 0x1
	scratch_load_b128 v[1:4], off, off offset:224
	scratch_load_b128 v[9:12], off, off offset:240
	s_wait_loadcnt_dscnt 0x100
	v_mul_f32_e32 v169, v5, v2
	v_dual_mul_f32 v2, v6, v2 :: v_dual_mul_f32 v171, v7, v4
	s_delay_alu instid0(VALU_DEP_2) | instskip(NEXT) | instid1(VALU_DEP_2)
	v_fmac_f32_e32 v169, v6, v1
	v_fma_f32 v170, v5, v1, -v2
	v_mul_f32_e32 v1, v8, v4
	s_delay_alu instid0(VALU_DEP_4) | instskip(NEXT) | instid1(VALU_DEP_2)
	v_fmac_f32_e32 v171, v8, v3
	v_fma_f32 v172, v7, v3, -v1
	ds_load_b128 v[1:4], v21 offset:704
	ds_load_b128 v[5:8], v21 offset:720
	s_wait_loadcnt_dscnt 0x1
	v_mul_f32_e32 v173, v1, v10
	v_mul_f32_e32 v175, v3, v12
	s_delay_alu instid0(VALU_DEP_2) | instskip(NEXT) | instid1(VALU_DEP_2)
	v_fmac_f32_e32 v173, v2, v9
	v_dual_mul_f32 v2, v2, v10 :: v_dual_fmac_f32 v175, v4, v11
	s_delay_alu instid0(VALU_DEP_1) | instskip(SKIP_1) | instid1(VALU_DEP_1)
	v_fma_f32 v174, v1, v9, -v2
	v_mul_f32_e32 v1, v4, v12
	;; [unrolled: 25-line block ×3, first 2 shown]
	v_fma_f32 v184, v3, v11, -v1
	s_clause 0x1
	scratch_load_b128 v[1:4], off, off offset:288
	scratch_load_b128 v[9:12], off, off offset:304
	s_wait_loadcnt_dscnt 0x100
	v_mul_f32_e32 v185, v5, v2
	v_dual_mul_f32 v2, v6, v2 :: v_dual_mul_f32 v187, v7, v4
	s_delay_alu instid0(VALU_DEP_1) | instskip(NEXT) | instid1(VALU_DEP_2)
	v_fma_f32 v186, v5, v1, -v2
	v_fmac_f32_e32 v187, v8, v3
	s_delay_alu instid0(VALU_DEP_4) | instskip(SKIP_1) | instid1(VALU_DEP_1)
	v_fmac_f32_e32 v185, v6, v1
	v_mul_f32_e32 v1, v8, v4
	v_fma_f32 v188, v7, v3, -v1
	ds_load_b128 v[1:4], v21 offset:768
	ds_load_b128 v[5:8], v21 offset:784
	s_wait_loadcnt_dscnt 0x1
	v_mul_f32_e32 v189, v1, v10
	v_mul_f32_e32 v191, v3, v12
	s_delay_alu instid0(VALU_DEP_2) | instskip(NEXT) | instid1(VALU_DEP_2)
	v_fmac_f32_e32 v189, v2, v9
	v_dual_mul_f32 v2, v2, v10 :: v_dual_fmac_f32 v191, v4, v11
	s_delay_alu instid0(VALU_DEP_1) | instskip(SKIP_1) | instid1(VALU_DEP_1)
	v_fma_f32 v190, v1, v9, -v2
	v_mul_f32_e32 v1, v4, v12
	v_fma_f32 v192, v3, v11, -v1
	s_clause 0x1
	scratch_load_b128 v[1:4], off, off offset:320
	scratch_load_b128 v[9:12], off, off offset:336
	s_wait_loadcnt_dscnt 0x100
	v_mul_f32_e32 v193, v5, v2
	v_dual_mul_f32 v2, v6, v2 :: v_dual_mul_f32 v195, v7, v4
	s_delay_alu instid0(VALU_DEP_2) | instskip(NEXT) | instid1(VALU_DEP_2)
	v_fmac_f32_e32 v193, v6, v1
	v_fma_f32 v194, v5, v1, -v2
	v_mul_f32_e32 v1, v8, v4
	s_delay_alu instid0(VALU_DEP_4) | instskip(NEXT) | instid1(VALU_DEP_2)
	v_fmac_f32_e32 v195, v8, v3
	v_fma_f32 v196, v7, v3, -v1
	ds_load_b128 v[1:4], v21 offset:800
	ds_load_b128 v[5:8], v21 offset:816
	s_wait_loadcnt_dscnt 0x1
	v_mul_f32_e32 v197, v1, v10
	v_mul_f32_e32 v199, v3, v12
	s_delay_alu instid0(VALU_DEP_2) | instskip(NEXT) | instid1(VALU_DEP_2)
	v_fmac_f32_e32 v197, v2, v9
	v_dual_mul_f32 v2, v2, v10 :: v_dual_fmac_f32 v199, v4, v11
	s_delay_alu instid0(VALU_DEP_1) | instskip(SKIP_1) | instid1(VALU_DEP_1)
	v_fma_f32 v198, v1, v9, -v2
	v_mul_f32_e32 v1, v4, v12
	v_fma_f32 v200, v3, v11, -v1
	s_clause 0x1
	scratch_load_b128 v[1:4], off, off offset:352
	scratch_load_b128 v[9:12], off, off offset:368
	s_wait_loadcnt_dscnt 0x100
	v_mul_f32_e32 v201, v5, v2
	v_dual_mul_f32 v2, v6, v2 :: v_dual_mul_f32 v203, v7, v4
	s_delay_alu instid0(VALU_DEP_2) | instskip(NEXT) | instid1(VALU_DEP_2)
	v_fmac_f32_e32 v201, v6, v1
	v_fma_f32 v202, v5, v1, -v2
	v_mul_f32_e32 v1, v8, v4
	s_delay_alu instid0(VALU_DEP_4) | instskip(NEXT) | instid1(VALU_DEP_2)
	v_fmac_f32_e32 v203, v8, v3
	v_fma_f32 v204, v7, v3, -v1
	ds_load_b128 v[1:4], v21 offset:832
	ds_load_b128 v[5:8], v21 offset:848
	s_wait_loadcnt_dscnt 0x1
	v_mul_f32_e32 v205, v1, v10
	v_mul_f32_e32 v207, v3, v12
	s_delay_alu instid0(VALU_DEP_2) | instskip(NEXT) | instid1(VALU_DEP_2)
	v_fmac_f32_e32 v205, v2, v9
	v_dual_mul_f32 v2, v2, v10 :: v_dual_fmac_f32 v207, v4, v11
	s_delay_alu instid0(VALU_DEP_1) | instskip(SKIP_1) | instid1(VALU_DEP_1)
	v_fma_f32 v206, v1, v9, -v2
	v_mul_f32_e32 v1, v4, v12
	v_fma_f32 v208, v3, v11, -v1
	s_clause 0x1
	scratch_load_b128 v[1:4], off, off offset:384
	scratch_load_b128 v[9:12], off, off offset:400
	s_wait_loadcnt_dscnt 0x100
	v_mul_f32_e32 v209, v5, v2
	v_mul_f32_e32 v2, v6, v2
	s_delay_alu instid0(VALU_DEP_2) | instskip(NEXT) | instid1(VALU_DEP_2)
	v_fmac_f32_e32 v209, v6, v1
	v_fma_f32 v210, v5, v1, -v2
	v_add_f32_e32 v2, 0, v154
	s_delay_alu instid0(VALU_DEP_1) | instskip(NEXT) | instid1(VALU_DEP_1)
	v_add_f32_e32 v2, v2, v155
	v_add_f32_e32 v2, v2, v24
	s_delay_alu instid0(VALU_DEP_1) | instskip(NEXT) | instid1(VALU_DEP_1)
	v_add_f32_e32 v2, v2, v25
	;; [unrolled: 3-line block ×3, first 2 shown]
	v_add_f32_e32 v2, v2, v148
	s_delay_alu instid0(VALU_DEP_1) | instskip(NEXT) | instid1(VALU_DEP_1)
	v_dual_mul_f32 v1, v8, v4 :: v_dual_add_f32 v2, v2, v149
	v_fma_f32 v212, v7, v3, -v1
	s_delay_alu instid0(VALU_DEP_2) | instskip(NEXT) | instid1(VALU_DEP_1)
	v_dual_add_f32 v1, 0, v22 :: v_dual_add_f32 v2, v2, v15
	v_dual_add_f32 v1, v1, v23 :: v_dual_add_f32 v2, v2, v18
	s_delay_alu instid0(VALU_DEP_1) | instskip(NEXT) | instid1(VALU_DEP_1)
	v_dual_add_f32 v1, v1, v26 :: v_dual_add_f32 v2, v2, v19
	v_dual_add_f32 v1, v1, v27 :: v_dual_add_f32 v2, v2, v20
	s_delay_alu instid0(VALU_DEP_1) | instskip(NEXT) | instid1(VALU_DEP_1)
	v_add_f32_e32 v2, v2, v157
	v_add_f32_e32 v2, v2, v158
	s_delay_alu instid0(VALU_DEP_1) | instskip(NEXT) | instid1(VALU_DEP_1)
	v_add_f32_e32 v2, v2, v161
	v_add_f32_e32 v2, v2, v163
	;; [unrolled: 3-line block ×5, first 2 shown]
	s_delay_alu instid0(VALU_DEP_1) | instskip(NEXT) | instid1(VALU_DEP_1)
	v_dual_add_f32 v2, v2, v177 :: v_dual_add_f32 v1, v1, v28
	v_dual_add_f32 v2, v2, v179 :: v_dual_add_f32 v1, v1, v29
	s_delay_alu instid0(VALU_DEP_1) | instskip(NEXT) | instid1(VALU_DEP_1)
	v_add_f32_e32 v1, v1, v13
	v_add_f32_e32 v1, v1, v14
	s_delay_alu instid0(VALU_DEP_1) | instskip(NEXT) | instid1(VALU_DEP_1)
	v_add_f32_e32 v1, v1, v16
	v_add_f32_e32 v1, v1, v17
	;; [unrolled: 3-line block ×10, first 2 shown]
	v_mul_f32_e32 v211, v7, v4
	v_add_f32_e32 v5, v2, v181
	s_delay_alu instid0(VALU_DEP_2) | instskip(SKIP_3) | instid1(VALU_DEP_2)
	v_dual_add_f32 v6, v6, v186 :: v_dual_fmac_f32 v211, v8, v3
	ds_load_b128 v[1:4], v21 offset:864
	v_add_f32_e32 v5, v5, v183
	v_add_f32_e32 v13, v6, v188
	;; [unrolled: 1-line block ×3, first 2 shown]
	s_delay_alu instid0(VALU_DEP_2) | instskip(NEXT) | instid1(VALU_DEP_2)
	v_add_f32_e32 v13, v13, v190
	v_add_f32_e32 v14, v5, v187
	ds_load_b128 v[5:8], v21 offset:880
	v_add_f32_e32 v13, v13, v192
	s_delay_alu instid0(VALU_DEP_1)
	v_add_f32_e32 v13, v13, v194
	s_wait_loadcnt_dscnt 0x1
	v_dual_mul_f32 v25, v1, v10 :: v_dual_mul_f32 v26, v3, v12
	v_mul_f32_e32 v10, v2, v10
	v_mul_f32_e32 v12, v4, v12
	v_add_f32_e32 v14, v14, v189
	s_delay_alu instid0(VALU_DEP_4) | instskip(NEXT) | instid1(VALU_DEP_4)
	v_dual_fmac_f32 v25, v2, v9 :: v_dual_fmac_f32 v26, v4, v11
	v_fma_f32 v27, v1, v9, -v10
	s_delay_alu instid0(VALU_DEP_4) | instskip(SKIP_4) | instid1(VALU_DEP_1)
	v_fma_f32 v28, v3, v11, -v12
	s_clause 0x1
	scratch_load_b128 v[1:4], off, off offset:416
	scratch_load_b128 v[9:12], off, off offset:432
	v_add_f32_e32 v14, v14, v191
	v_dual_add_f32 v18, v13, v196 :: v_dual_add_f32 v17, v14, v193
	scratch_load_b128 v[13:16], off, off offset:448
	v_dual_add_f32 v18, v18, v198 :: v_dual_add_f32 v17, v17, v195
	s_delay_alu instid0(VALU_DEP_1) | instskip(NEXT) | instid1(VALU_DEP_1)
	v_dual_add_f32 v18, v18, v200 :: v_dual_add_f32 v17, v17, v197
	v_dual_add_f32 v22, v18, v202 :: v_dual_add_f32 v17, v17, v199
	s_delay_alu instid0(VALU_DEP_1) | instskip(NEXT) | instid1(VALU_DEP_2)
	v_add_f32_e32 v29, v22, v204
	v_add_f32_e32 v23, v17, v201
	ds_load_b128 v[17:20], v21 offset:896
	v_dual_add_f32 v29, v29, v206 :: v_dual_add_f32 v30, v23, v203
	ds_load_b128 v[21:24], v21 offset:912
	v_dual_add_f32 v29, v29, v208 :: v_dual_add_f32 v30, v30, v205
	s_delay_alu instid0(VALU_DEP_1) | instskip(NEXT) | instid1(VALU_DEP_1)
	v_dual_add_f32 v29, v29, v210 :: v_dual_add_f32 v30, v30, v207
	v_add_f32_e32 v29, v29, v212
	s_delay_alu instid0(VALU_DEP_1)
	v_add_f32_e32 v27, v29, v27
	s_wait_loadcnt_dscnt 0x202
	v_mul_f32_e32 v148, v5, v2
	v_add_f32_e32 v30, v30, v209
	v_dual_mul_f32 v2, v6, v2 :: v_dual_mul_f32 v149, v7, v4
	v_mul_f32_e32 v4, v8, v4
	s_delay_alu instid0(VALU_DEP_4) | instskip(NEXT) | instid1(VALU_DEP_4)
	v_fmac_f32_e32 v148, v6, v1
	v_add_f32_e32 v30, v30, v211
	s_delay_alu instid0(VALU_DEP_4)
	v_fma_f32 v2, v5, v1, -v2
	s_wait_loadcnt_dscnt 0x101
	v_dual_add_f32 v1, v27, v28 :: v_dual_mul_f32 v150, v17, v10
	v_mul_f32_e32 v6, v18, v10
	v_add_f32_e32 v25, v30, v25
	v_fmac_f32_e32 v149, v8, v3
	v_fma_f32 v3, v7, v3, -v4
	v_add_f32_e32 v1, v1, v2
	v_mul_f32_e32 v151, v19, v12
	v_dual_add_f32 v5, v25, v26 :: v_dual_mul_f32 v4, v20, v12
	s_delay_alu instid0(VALU_DEP_3) | instskip(SKIP_2) | instid1(VALU_DEP_3)
	v_dual_fmac_f32 v150, v18, v9 :: v_dual_add_f32 v1, v1, v3
	s_wait_loadcnt_dscnt 0x0
	v_mul_f32_e32 v154, v21, v14
	v_add_f32_e32 v2, v5, v148
	v_fma_f32 v5, v17, v9, -v6
	v_mul_f32_e32 v3, v22, v14
	v_fmac_f32_e32 v151, v20, v11
	v_fma_f32 v4, v19, v11, -v4
	v_add_f32_e32 v2, v2, v149
	v_add_f32_e32 v1, v1, v5
	v_mul_f32_e32 v29, v23, v16
	v_dual_mul_f32 v5, v24, v16 :: v_dual_fmac_f32 v154, v22, v13
	s_delay_alu instid0(VALU_DEP_4)
	v_add_f32_e32 v2, v2, v150
	v_fma_f32 v3, v21, v13, -v3
	v_add_f32_e32 v1, v1, v4
	v_fmac_f32_e32 v29, v24, v15
	v_fma_f32 v4, v23, v15, -v5
	v_add_f32_e32 v2, v2, v151
	s_delay_alu instid0(VALU_DEP_1) | instskip(NEXT) | instid1(VALU_DEP_1)
	v_dual_add_f32 v1, v1, v3 :: v_dual_add_f32 v2, v2, v154
	v_dual_add_f32 v1, v1, v4 :: v_dual_add_f32 v2, v2, v29
	s_delay_alu instid0(VALU_DEP_1)
	v_dual_sub_f32 v1, v152, v1 :: v_dual_sub_f32 v2, v153, v2
	scratch_store_b64 off, v[1:2], off offset:72
	v_cmpx_lt_u32_e32 8, v0
	s_cbranch_execz .LBB121_345
; %bb.344:
	scratch_load_b64 v[1:2], off, off offset:64
	v_mov_b32_e32 v3, 0
	s_delay_alu instid0(VALU_DEP_1)
	v_mov_b32_e32 v4, v3
	scratch_store_b64 off, v[3:4], off offset:64
	s_wait_loadcnt 0x0
	ds_store_b64 v31, v[1:2]
.LBB121_345:
	s_wait_alu 0xfffe
	s_or_b32 exec_lo, exec_lo, s0
	s_wait_storecnt_dscnt 0x0
	s_barrier_signal -1
	s_barrier_wait -1
	global_inv scope:SCOPE_SE
	s_clause 0x4
	scratch_load_b128 v[5:8], off, off offset:72
	scratch_load_b128 v[1:4], off, off offset:88
	;; [unrolled: 1-line block ×5, first 2 shown]
	v_mov_b32_e32 v25, 0
	ds_load_2addr_b64 v[21:24], v25 offset0:67 offset1:68
	ds_load_2addr_b64 v[26:29], v25 offset0:69 offset1:70
	;; [unrolled: 1-line block ×3, first 2 shown]
	scratch_load_b64 v[152:153], off, off offset:64
	s_mov_b32 s0, exec_lo
	s_wait_loadcnt_dscnt 0x502
	v_mul_f32_e32 v30, v22, v6
	v_dual_mul_f32 v154, v21, v6 :: v_dual_mul_f32 v155, v23, v8
	v_mul_f32_e32 v6, v24, v8
	s_wait_loadcnt_dscnt 0x300
	v_mul_f32_e32 v156, v150, v12
	v_fma_f32 v21, v21, v5, -v30
	v_dual_fmac_f32 v154, v22, v5 :: v_dual_fmac_f32 v155, v24, v7
	v_fma_f32 v22, v23, v7, -v6
	ds_load_2addr_b64 v[5:8], v25 offset0:73 offset1:74
	v_dual_mul_f32 v23, v26, v2 :: v_dual_mul_f32 v24, v28, v4
	v_mul_f32_e32 v4, v29, v4
	v_mul_f32_e32 v30, v148, v10
	;; [unrolled: 1-line block ×5, first 2 shown]
	v_dual_fmac_f32 v23, v27, v1 :: v_dual_fmac_f32 v24, v29, v3
	v_fma_f32 v27, v28, v3, -v4
	v_fmac_f32_e32 v30, v149, v9
	v_fma_f32 v28, v148, v9, -v10
	v_fmac_f32_e32 v156, v151, v11
	v_fma_f32 v29, v150, v11, -v12
	ds_load_2addr_b64 v[9:12], v25 offset0:75 offset1:76
	s_wait_loadcnt_dscnt 0x201
	v_dual_mul_f32 v149, v7, v16 :: v_dual_mul_f32 v148, v5, v14
	v_mul_f32_e32 v14, v6, v14
	v_mul_f32_e32 v16, v8, v16
	s_delay_alu instid0(VALU_DEP_3)
	v_fmac_f32_e32 v149, v8, v15
	v_fma_f32 v26, v26, v1, -v2
	scratch_load_b128 v[1:4], off, off offset:152
	v_fmac_f32_e32 v148, v6, v13
	v_fma_f32 v13, v5, v13, -v14
	v_fma_f32 v14, v7, v15, -v16
	ds_load_2addr_b64 v[5:8], v25 offset0:77 offset1:78
	s_wait_loadcnt_dscnt 0x201
	v_mul_f32_e32 v15, v9, v18
	v_mul_f32_e32 v16, v10, v18
	;; [unrolled: 1-line block ×3, first 2 shown]
	s_delay_alu instid0(VALU_DEP_3) | instskip(NEXT) | instid1(VALU_DEP_3)
	v_dual_mul_f32 v20, v12, v20 :: v_dual_fmac_f32 v15, v10, v17
	v_fma_f32 v16, v9, v17, -v16
	s_delay_alu instid0(VALU_DEP_3) | instskip(NEXT) | instid1(VALU_DEP_3)
	v_fmac_f32_e32 v18, v12, v19
	v_fma_f32 v17, v11, v19, -v20
	scratch_load_b128 v[9:12], off, off offset:168
	s_wait_loadcnt_dscnt 0x100
	v_mul_f32_e32 v19, v5, v2
	v_mul_f32_e32 v2, v6, v2
	;; [unrolled: 1-line block ×3, first 2 shown]
	s_delay_alu instid0(VALU_DEP_3) | instskip(NEXT) | instid1(VALU_DEP_3)
	v_dual_mul_f32 v4, v8, v4 :: v_dual_fmac_f32 v19, v6, v1
	v_fma_f32 v150, v5, v1, -v2
	s_delay_alu instid0(VALU_DEP_3) | instskip(NEXT) | instid1(VALU_DEP_3)
	v_fmac_f32_e32 v20, v8, v3
	v_fma_f32 v151, v7, v3, -v4
	ds_load_2addr_b64 v[1:4], v25 offset0:79 offset1:80
	ds_load_2addr_b64 v[5:8], v25 offset0:81 offset1:82
	s_wait_loadcnt_dscnt 0x1
	v_mul_f32_e32 v157, v1, v10
	v_mul_f32_e32 v10, v2, v10
	s_delay_alu instid0(VALU_DEP_2) | instskip(NEXT) | instid1(VALU_DEP_2)
	v_dual_mul_f32 v158, v3, v12 :: v_dual_fmac_f32 v157, v2, v9
	v_fma_f32 v159, v1, v9, -v10
	v_mul_f32_e32 v1, v4, v12
	s_delay_alu instid0(VALU_DEP_3) | instskip(NEXT) | instid1(VALU_DEP_2)
	v_fmac_f32_e32 v158, v4, v11
	v_fma_f32 v160, v3, v11, -v1
	s_clause 0x1
	scratch_load_b128 v[1:4], off, off offset:184
	scratch_load_b128 v[9:12], off, off offset:200
	s_wait_loadcnt_dscnt 0x100
	v_mul_f32_e32 v161, v5, v2
	v_dual_mul_f32 v2, v6, v2 :: v_dual_mul_f32 v163, v7, v4
	s_delay_alu instid0(VALU_DEP_2) | instskip(NEXT) | instid1(VALU_DEP_2)
	v_fmac_f32_e32 v161, v6, v1
	v_fma_f32 v162, v5, v1, -v2
	v_mul_f32_e32 v1, v8, v4
	s_delay_alu instid0(VALU_DEP_4) | instskip(NEXT) | instid1(VALU_DEP_2)
	v_fmac_f32_e32 v163, v8, v3
	v_fma_f32 v164, v7, v3, -v1
	ds_load_2addr_b64 v[1:4], v25 offset0:83 offset1:84
	ds_load_2addr_b64 v[5:8], v25 offset0:85 offset1:86
	s_wait_loadcnt_dscnt 0x1
	v_mul_f32_e32 v165, v1, v10
	v_mul_f32_e32 v167, v3, v12
	s_delay_alu instid0(VALU_DEP_2) | instskip(NEXT) | instid1(VALU_DEP_2)
	v_fmac_f32_e32 v165, v2, v9
	v_dual_mul_f32 v2, v2, v10 :: v_dual_fmac_f32 v167, v4, v11
	s_delay_alu instid0(VALU_DEP_1) | instskip(SKIP_1) | instid1(VALU_DEP_1)
	v_fma_f32 v166, v1, v9, -v2
	v_mul_f32_e32 v1, v4, v12
	v_fma_f32 v168, v3, v11, -v1
	s_clause 0x1
	scratch_load_b128 v[1:4], off, off offset:216
	scratch_load_b128 v[9:12], off, off offset:232
	s_wait_loadcnt_dscnt 0x100
	v_mul_f32_e32 v169, v5, v2
	v_dual_mul_f32 v2, v6, v2 :: v_dual_mul_f32 v171, v7, v4
	s_delay_alu instid0(VALU_DEP_2) | instskip(NEXT) | instid1(VALU_DEP_2)
	v_fmac_f32_e32 v169, v6, v1
	v_fma_f32 v170, v5, v1, -v2
	v_mul_f32_e32 v1, v8, v4
	s_delay_alu instid0(VALU_DEP_4) | instskip(NEXT) | instid1(VALU_DEP_2)
	v_fmac_f32_e32 v171, v8, v3
	v_fma_f32 v172, v7, v3, -v1
	ds_load_2addr_b64 v[1:4], v25 offset0:87 offset1:88
	ds_load_2addr_b64 v[5:8], v25 offset0:89 offset1:90
	s_wait_loadcnt_dscnt 0x1
	v_mul_f32_e32 v173, v1, v10
	v_mul_f32_e32 v175, v3, v12
	s_delay_alu instid0(VALU_DEP_2) | instskip(NEXT) | instid1(VALU_DEP_2)
	v_fmac_f32_e32 v173, v2, v9
	v_dual_mul_f32 v2, v2, v10 :: v_dual_fmac_f32 v175, v4, v11
	s_delay_alu instid0(VALU_DEP_1) | instskip(SKIP_1) | instid1(VALU_DEP_1)
	v_fma_f32 v174, v1, v9, -v2
	v_mul_f32_e32 v1, v4, v12
	;; [unrolled: 25-line block ×5, first 2 shown]
	v_fma_f32 v200, v3, v11, -v1
	s_clause 0x1
	scratch_load_b128 v[1:4], off, off offset:344
	scratch_load_b128 v[9:12], off, off offset:360
	s_wait_loadcnt_dscnt 0x100
	v_mul_f32_e32 v201, v5, v2
	v_dual_mul_f32 v2, v6, v2 :: v_dual_mul_f32 v203, v7, v4
	s_delay_alu instid0(VALU_DEP_2) | instskip(NEXT) | instid1(VALU_DEP_2)
	v_fmac_f32_e32 v201, v6, v1
	v_fma_f32 v202, v5, v1, -v2
	v_mul_f32_e32 v1, v8, v4
	s_delay_alu instid0(VALU_DEP_4) | instskip(NEXT) | instid1(VALU_DEP_2)
	v_fmac_f32_e32 v203, v8, v3
	v_fma_f32 v204, v7, v3, -v1
	ds_load_2addr_b64 v[1:4], v25 offset0:103 offset1:104
	ds_load_2addr_b64 v[5:8], v25 offset0:105 offset1:106
	s_wait_loadcnt_dscnt 0x1
	v_mul_f32_e32 v205, v1, v10
	v_mul_f32_e32 v207, v3, v12
	s_delay_alu instid0(VALU_DEP_1) | instskip(NEXT) | instid1(VALU_DEP_3)
	v_fmac_f32_e32 v207, v4, v11
	v_fmac_f32_e32 v205, v2, v9
	v_mul_f32_e32 v2, v2, v10
	s_delay_alu instid0(VALU_DEP_1) | instskip(SKIP_1) | instid1(VALU_DEP_1)
	v_fma_f32 v206, v1, v9, -v2
	v_mul_f32_e32 v1, v4, v12
	v_fma_f32 v208, v3, v11, -v1
	s_clause 0x1
	scratch_load_b128 v[1:4], off, off offset:376
	scratch_load_b128 v[9:12], off, off offset:392
	s_wait_loadcnt_dscnt 0x100
	v_mul_f32_e32 v209, v5, v2
	v_mul_f32_e32 v2, v6, v2
	s_delay_alu instid0(VALU_DEP_2) | instskip(NEXT) | instid1(VALU_DEP_2)
	v_fmac_f32_e32 v209, v6, v1
	v_fma_f32 v210, v5, v1, -v2
	v_dual_add_f32 v2, 0, v154 :: v_dual_mul_f32 v1, v8, v4
	s_delay_alu instid0(VALU_DEP_1) | instskip(NEXT) | instid1(VALU_DEP_2)
	v_add_f32_e32 v2, v2, v155
	v_fma_f32 v212, v7, v3, -v1
	s_delay_alu instid0(VALU_DEP_2) | instskip(NEXT) | instid1(VALU_DEP_1)
	v_add_f32_e32 v2, v2, v23
	v_add_f32_e32 v2, v2, v24
	s_delay_alu instid0(VALU_DEP_1) | instskip(NEXT) | instid1(VALU_DEP_1)
	v_add_f32_e32 v2, v2, v30
	v_add_f32_e32 v2, v2, v156
	s_delay_alu instid0(VALU_DEP_1) | instskip(NEXT) | instid1(VALU_DEP_1)
	v_dual_add_f32 v2, v2, v148 :: v_dual_add_f32 v1, 0, v21
	v_dual_add_f32 v2, v2, v149 :: v_dual_add_f32 v1, v1, v22
	s_delay_alu instid0(VALU_DEP_1) | instskip(NEXT) | instid1(VALU_DEP_1)
	v_dual_add_f32 v2, v2, v15 :: v_dual_add_f32 v1, v1, v26
	v_dual_add_f32 v2, v2, v18 :: v_dual_add_f32 v1, v1, v27
	scratch_load_b64 v[26:27], off, off offset:456
	v_dual_add_f32 v2, v2, v19 :: v_dual_add_f32 v1, v1, v28
	s_delay_alu instid0(VALU_DEP_1) | instskip(NEXT) | instid1(VALU_DEP_1)
	v_dual_add_f32 v2, v2, v20 :: v_dual_add_f32 v1, v1, v29
	v_add_f32_e32 v2, v2, v157
	s_delay_alu instid0(VALU_DEP_1) | instskip(NEXT) | instid1(VALU_DEP_1)
	v_dual_add_f32 v1, v1, v13 :: v_dual_add_f32 v2, v2, v158
	v_dual_add_f32 v1, v1, v14 :: v_dual_add_f32 v2, v2, v161
	s_delay_alu instid0(VALU_DEP_1) | instskip(NEXT) | instid1(VALU_DEP_1)
	v_dual_add_f32 v1, v1, v16 :: v_dual_add_f32 v2, v2, v163
	v_add_f32_e32 v1, v1, v17
	s_delay_alu instid0(VALU_DEP_1) | instskip(NEXT) | instid1(VALU_DEP_1)
	v_dual_add_f32 v2, v2, v165 :: v_dual_add_f32 v1, v1, v150
	v_add_f32_e32 v2, v2, v167
	;; [unrolled: 3-line block ×3, first 2 shown]
	s_delay_alu instid0(VALU_DEP_1) | instskip(NEXT) | instid1(VALU_DEP_1)
	v_dual_add_f32 v2, v2, v171 :: v_dual_add_f32 v1, v1, v160
	v_dual_add_f32 v2, v2, v173 :: v_dual_add_f32 v1, v1, v162
	s_delay_alu instid0(VALU_DEP_1) | instskip(NEXT) | instid1(VALU_DEP_1)
	v_dual_add_f32 v2, v2, v175 :: v_dual_add_f32 v1, v1, v164
	v_add_f32_e32 v1, v1, v166
	s_delay_alu instid0(VALU_DEP_1) | instskip(NEXT) | instid1(VALU_DEP_1)
	v_add_f32_e32 v1, v1, v168
	v_add_f32_e32 v1, v1, v170
	s_delay_alu instid0(VALU_DEP_1) | instskip(NEXT) | instid1(VALU_DEP_1)
	v_add_f32_e32 v1, v1, v172
	;; [unrolled: 3-line block ×4, first 2 shown]
	v_add_f32_e32 v1, v1, v182
	s_delay_alu instid0(VALU_DEP_1) | instskip(SKIP_1) | instid1(VALU_DEP_2)
	v_add_f32_e32 v6, v1, v184
	v_dual_add_f32 v2, v2, v177 :: v_dual_mul_f32 v211, v7, v4
	v_add_f32_e32 v6, v6, v186
	s_delay_alu instid0(VALU_DEP_2) | instskip(NEXT) | instid1(VALU_DEP_3)
	v_add_f32_e32 v2, v2, v179
	v_fmac_f32_e32 v211, v8, v3
	s_delay_alu instid0(VALU_DEP_3) | instskip(NEXT) | instid1(VALU_DEP_3)
	v_add_f32_e32 v13, v6, v188
	v_add_f32_e32 v5, v2, v181
	ds_load_2addr_b64 v[1:4], v25 offset0:107 offset1:108
	v_add_f32_e32 v13, v13, v190
	v_add_f32_e32 v5, v5, v183
	s_delay_alu instid0(VALU_DEP_2) | instskip(NEXT) | instid1(VALU_DEP_2)
	v_add_f32_e32 v13, v13, v192
	v_add_f32_e32 v5, v5, v185
	s_delay_alu instid0(VALU_DEP_2) | instskip(NEXT) | instid1(VALU_DEP_2)
	v_add_f32_e32 v13, v13, v194
	v_add_f32_e32 v14, v5, v187
	ds_load_2addr_b64 v[5:8], v25 offset0:109 offset1:110
	v_add_f32_e32 v18, v13, v196
	s_wait_loadcnt_dscnt 0x101
	v_mul_f32_e32 v30, v1, v10
	v_mul_f32_e32 v10, v2, v10
	;; [unrolled: 1-line block ×4, first 2 shown]
	v_add_f32_e32 v14, v14, v189
	v_fmac_f32_e32 v30, v2, v9
	v_fma_f32 v149, v1, v9, -v10
	v_fmac_f32_e32 v148, v4, v11
	v_fma_f32 v150, v3, v11, -v12
	s_clause 0x1
	scratch_load_b128 v[1:4], off, off offset:408
	scratch_load_b128 v[9:12], off, off offset:424
	v_add_f32_e32 v14, v14, v191
	v_add_f32_e32 v18, v18, v198
	s_delay_alu instid0(VALU_DEP_2) | instskip(SKIP_2) | instid1(VALU_DEP_1)
	v_add_f32_e32 v17, v14, v193
	scratch_load_b128 v[13:16], off, off offset:440
	v_dual_add_f32 v18, v18, v200 :: v_dual_add_f32 v17, v17, v195
	v_dual_add_f32 v18, v18, v202 :: v_dual_add_f32 v17, v17, v197
	s_delay_alu instid0(VALU_DEP_1) | instskip(NEXT) | instid1(VALU_DEP_1)
	v_dual_add_f32 v18, v18, v204 :: v_dual_add_f32 v17, v17, v199
	v_dual_add_f32 v28, v18, v206 :: v_dual_add_f32 v17, v17, v201
	s_delay_alu instid0(VALU_DEP_1) | instskip(NEXT) | instid1(VALU_DEP_2)
	v_add_f32_e32 v151, v28, v208
	v_add_f32_e32 v21, v17, v203
	ds_load_2addr_b64 v[17:20], v25 offset0:111 offset1:112
	v_add_f32_e32 v151, v151, v210
	v_add_f32_e32 v29, v21, v205
	ds_load_2addr_b64 v[21:24], v25 offset0:113 offset1:114
	v_dual_add_f32 v151, v151, v212 :: v_dual_add_f32 v154, v29, v207
	ds_load_b64 v[28:29], v25 offset:920
	v_add_f32_e32 v149, v151, v149
	s_wait_loadcnt_dscnt 0x203
	s_delay_alu instid0(VALU_DEP_1) | instskip(SKIP_4) | instid1(VALU_DEP_3)
	v_dual_add_f32 v149, v149, v150 :: v_dual_mul_f32 v156, v7, v4
	v_dual_add_f32 v154, v154, v209 :: v_dual_mul_f32 v155, v5, v2
	v_mul_f32_e32 v2, v6, v2
	s_wait_loadcnt_dscnt 0x102
	v_dual_mul_f32 v4, v8, v4 :: v_dual_mul_f32 v151, v17, v10
	v_add_f32_e32 v154, v154, v211
	v_fmac_f32_e32 v155, v6, v1
	v_fma_f32 v2, v5, v1, -v2
	v_fmac_f32_e32 v156, v8, v3
	v_fma_f32 v1, v7, v3, -v4
	v_add_f32_e32 v30, v154, v30
	v_mul_f32_e32 v3, v18, v10
	v_add_f32_e32 v2, v149, v2
	v_mul_f32_e32 v154, v19, v12
	v_mul_f32_e32 v5, v20, v12
	v_add_f32_e32 v30, v30, v148
	v_fmac_f32_e32 v151, v18, v9
	v_fma_f32 v3, v17, v9, -v3
	v_add_f32_e32 v1, v2, v1
	s_wait_loadcnt_dscnt 0x1
	v_dual_mul_f32 v157, v21, v14 :: v_dual_add_f32 v4, v30, v155
	v_fmac_f32_e32 v154, v20, v11
	v_fma_f32 v5, v19, v11, -v5
	v_dual_add_f32 v1, v1, v3 :: v_dual_mul_f32 v150, v23, v16
	s_delay_alu instid0(VALU_DEP_4) | instskip(SKIP_2) | instid1(VALU_DEP_3)
	v_add_f32_e32 v2, v4, v156
	v_dual_mul_f32 v4, v22, v14 :: v_dual_mul_f32 v3, v24, v16
	v_fmac_f32_e32 v157, v22, v13
	v_dual_add_f32 v1, v1, v5 :: v_dual_add_f32 v2, v2, v151
	s_delay_alu instid0(VALU_DEP_3)
	v_fma_f32 v4, v21, v13, -v4
	s_wait_dscnt 0x0
	v_mul_f32_e32 v148, v28, v27
	v_mul_f32_e32 v5, v29, v27
	v_fmac_f32_e32 v150, v24, v15
	v_add_f32_e32 v2, v2, v154
	v_fma_f32 v3, v23, v15, -v3
	v_add_f32_e32 v1, v1, v4
	v_fmac_f32_e32 v148, v29, v26
	v_fma_f32 v4, v28, v26, -v5
	s_delay_alu instid0(VALU_DEP_3) | instskip(NEXT) | instid1(VALU_DEP_1)
	v_dual_add_f32 v2, v2, v157 :: v_dual_add_f32 v1, v1, v3
	v_dual_add_f32 v2, v2, v150 :: v_dual_add_f32 v1, v1, v4
	s_delay_alu instid0(VALU_DEP_1) | instskip(NEXT) | instid1(VALU_DEP_1)
	v_dual_add_f32 v2, v2, v148 :: v_dual_sub_f32 v1, v152, v1
	v_sub_f32_e32 v2, v153, v2
	scratch_store_b64 off, v[1:2], off offset:64
	v_cmpx_lt_u32_e32 7, v0
	s_cbranch_execz .LBB121_347
; %bb.346:
	scratch_load_b64 v[1:2], off, off offset:56
	v_mov_b32_e32 v26, v25
	scratch_store_b64 off, v[25:26], off offset:56
	s_wait_loadcnt 0x0
	ds_store_b64 v31, v[1:2]
.LBB121_347:
	s_wait_alu 0xfffe
	s_or_b32 exec_lo, exec_lo, s0
	s_wait_storecnt_dscnt 0x0
	s_barrier_signal -1
	s_barrier_wait -1
	global_inv scope:SCOPE_SE
	s_clause 0x4
	scratch_load_b128 v[5:8], off, off offset:64
	scratch_load_b128 v[1:4], off, off offset:80
	;; [unrolled: 1-line block ×5, first 2 shown]
	ds_load_b128 v[21:24], v25 offset:528
	ds_load_b128 v[26:29], v25 offset:544
	;; [unrolled: 1-line block ×3, first 2 shown]
	scratch_load_b64 v[152:153], off, off offset:56
	s_mov_b32 s0, exec_lo
	s_wait_loadcnt_dscnt 0x502
	v_mul_f32_e32 v30, v21, v6
	v_mul_f32_e32 v154, v23, v8
	;; [unrolled: 1-line block ×3, first 2 shown]
	s_wait_loadcnt_dscnt 0x300
	v_mul_f32_e32 v155, v148, v10
	v_mul_f32_e32 v6, v22, v6
	v_fmac_f32_e32 v30, v22, v5
	v_mul_f32_e32 v10, v149, v10
	v_fma_f32 v22, v23, v7, -v8
	v_dual_mul_f32 v23, v26, v2 :: v_dual_fmac_f32 v154, v24, v7
	v_fmac_f32_e32 v155, v149, v9
	v_fma_f32 v21, v21, v5, -v6
	ds_load_b128 v[5:8], v25 offset:576
	v_mul_f32_e32 v24, v28, v4
	v_mul_f32_e32 v4, v29, v4
	;; [unrolled: 1-line block ×5, first 2 shown]
	v_dual_fmac_f32 v23, v27, v1 :: v_dual_fmac_f32 v24, v29, v3
	v_fma_f32 v27, v28, v3, -v4
	v_fma_f32 v28, v148, v9, -v10
	v_fmac_f32_e32 v156, v151, v11
	v_fma_f32 v29, v150, v11, -v12
	ds_load_b128 v[9:12], v25 offset:592
	s_wait_loadcnt_dscnt 0x201
	v_dual_mul_f32 v149, v7, v16 :: v_dual_mul_f32 v148, v5, v14
	v_mul_f32_e32 v14, v6, v14
	v_mul_f32_e32 v16, v8, v16
	s_delay_alu instid0(VALU_DEP_3)
	v_fmac_f32_e32 v149, v8, v15
	v_fma_f32 v26, v26, v1, -v2
	scratch_load_b128 v[1:4], off, off offset:144
	v_fmac_f32_e32 v148, v6, v13
	v_fma_f32 v13, v5, v13, -v14
	v_fma_f32 v14, v7, v15, -v16
	ds_load_b128 v[5:8], v25 offset:608
	s_wait_loadcnt_dscnt 0x201
	v_mul_f32_e32 v15, v9, v18
	v_mul_f32_e32 v16, v10, v18
	v_mul_f32_e32 v18, v11, v20
	s_delay_alu instid0(VALU_DEP_3) | instskip(NEXT) | instid1(VALU_DEP_3)
	v_dual_mul_f32 v20, v12, v20 :: v_dual_fmac_f32 v15, v10, v17
	v_fma_f32 v16, v9, v17, -v16
	s_delay_alu instid0(VALU_DEP_3) | instskip(NEXT) | instid1(VALU_DEP_3)
	v_fmac_f32_e32 v18, v12, v19
	v_fma_f32 v17, v11, v19, -v20
	scratch_load_b128 v[9:12], off, off offset:160
	s_wait_loadcnt_dscnt 0x100
	v_mul_f32_e32 v19, v5, v2
	v_mul_f32_e32 v2, v6, v2
	v_mul_f32_e32 v20, v7, v4
	s_delay_alu instid0(VALU_DEP_3) | instskip(NEXT) | instid1(VALU_DEP_3)
	v_dual_mul_f32 v4, v8, v4 :: v_dual_fmac_f32 v19, v6, v1
	v_fma_f32 v150, v5, v1, -v2
	s_delay_alu instid0(VALU_DEP_3) | instskip(NEXT) | instid1(VALU_DEP_3)
	v_fmac_f32_e32 v20, v8, v3
	v_fma_f32 v151, v7, v3, -v4
	ds_load_b128 v[1:4], v25 offset:624
	ds_load_b128 v[5:8], v25 offset:640
	s_wait_loadcnt_dscnt 0x1
	v_mul_f32_e32 v157, v1, v10
	v_mul_f32_e32 v10, v2, v10
	s_delay_alu instid0(VALU_DEP_2) | instskip(NEXT) | instid1(VALU_DEP_2)
	v_dual_mul_f32 v158, v3, v12 :: v_dual_fmac_f32 v157, v2, v9
	v_fma_f32 v159, v1, v9, -v10
	v_mul_f32_e32 v1, v4, v12
	s_delay_alu instid0(VALU_DEP_3) | instskip(NEXT) | instid1(VALU_DEP_2)
	v_fmac_f32_e32 v158, v4, v11
	v_fma_f32 v160, v3, v11, -v1
	s_clause 0x1
	scratch_load_b128 v[1:4], off, off offset:176
	scratch_load_b128 v[9:12], off, off offset:192
	s_wait_loadcnt_dscnt 0x100
	v_mul_f32_e32 v161, v5, v2
	v_dual_mul_f32 v2, v6, v2 :: v_dual_mul_f32 v163, v7, v4
	s_delay_alu instid0(VALU_DEP_2) | instskip(NEXT) | instid1(VALU_DEP_2)
	v_fmac_f32_e32 v161, v6, v1
	v_fma_f32 v162, v5, v1, -v2
	v_mul_f32_e32 v1, v8, v4
	s_delay_alu instid0(VALU_DEP_4) | instskip(NEXT) | instid1(VALU_DEP_2)
	v_fmac_f32_e32 v163, v8, v3
	v_fma_f32 v164, v7, v3, -v1
	ds_load_b128 v[1:4], v25 offset:656
	ds_load_b128 v[5:8], v25 offset:672
	s_wait_loadcnt_dscnt 0x1
	v_mul_f32_e32 v165, v1, v10
	v_mul_f32_e32 v167, v3, v12
	s_delay_alu instid0(VALU_DEP_2) | instskip(NEXT) | instid1(VALU_DEP_2)
	v_fmac_f32_e32 v165, v2, v9
	v_dual_mul_f32 v2, v2, v10 :: v_dual_fmac_f32 v167, v4, v11
	s_delay_alu instid0(VALU_DEP_1) | instskip(SKIP_1) | instid1(VALU_DEP_1)
	v_fma_f32 v166, v1, v9, -v2
	v_mul_f32_e32 v1, v4, v12
	v_fma_f32 v168, v3, v11, -v1
	s_clause 0x1
	scratch_load_b128 v[1:4], off, off offset:208
	scratch_load_b128 v[9:12], off, off offset:224
	s_wait_loadcnt_dscnt 0x100
	v_mul_f32_e32 v169, v5, v2
	v_dual_mul_f32 v2, v6, v2 :: v_dual_mul_f32 v171, v7, v4
	s_delay_alu instid0(VALU_DEP_2) | instskip(NEXT) | instid1(VALU_DEP_2)
	v_fmac_f32_e32 v169, v6, v1
	v_fma_f32 v170, v5, v1, -v2
	v_mul_f32_e32 v1, v8, v4
	s_delay_alu instid0(VALU_DEP_4) | instskip(NEXT) | instid1(VALU_DEP_2)
	v_fmac_f32_e32 v171, v8, v3
	v_fma_f32 v172, v7, v3, -v1
	ds_load_b128 v[1:4], v25 offset:688
	ds_load_b128 v[5:8], v25 offset:704
	s_wait_loadcnt_dscnt 0x1
	v_mul_f32_e32 v173, v1, v10
	v_mul_f32_e32 v175, v3, v12
	s_delay_alu instid0(VALU_DEP_2) | instskip(NEXT) | instid1(VALU_DEP_2)
	v_fmac_f32_e32 v173, v2, v9
	v_dual_mul_f32 v2, v2, v10 :: v_dual_fmac_f32 v175, v4, v11
	s_delay_alu instid0(VALU_DEP_1) | instskip(SKIP_1) | instid1(VALU_DEP_1)
	v_fma_f32 v174, v1, v9, -v2
	v_mul_f32_e32 v1, v4, v12
	;; [unrolled: 25-line block ×6, first 2 shown]
	v_fma_f32 v208, v3, v11, -v1
	s_clause 0x1
	scratch_load_b128 v[1:4], off, off offset:368
	scratch_load_b128 v[9:12], off, off offset:384
	s_wait_loadcnt_dscnt 0x100
	v_mul_f32_e32 v209, v5, v2
	v_mul_f32_e32 v2, v6, v2
	s_delay_alu instid0(VALU_DEP_2) | instskip(NEXT) | instid1(VALU_DEP_2)
	v_fmac_f32_e32 v209, v6, v1
	v_fma_f32 v210, v5, v1, -v2
	v_dual_add_f32 v2, 0, v30 :: v_dual_mul_f32 v1, v8, v4
	s_delay_alu instid0(VALU_DEP_1) | instskip(NEXT) | instid1(VALU_DEP_2)
	v_add_f32_e32 v2, v2, v154
	v_fma_f32 v212, v7, v3, -v1
	s_delay_alu instid0(VALU_DEP_2) | instskip(NEXT) | instid1(VALU_DEP_1)
	v_dual_add_f32 v1, 0, v21 :: v_dual_add_f32 v2, v2, v23
	v_dual_add_f32 v1, v1, v22 :: v_dual_add_f32 v2, v2, v24
	s_delay_alu instid0(VALU_DEP_1) | instskip(NEXT) | instid1(VALU_DEP_1)
	v_add_f32_e32 v2, v2, v155
	v_add_f32_e32 v2, v2, v156
	s_delay_alu instid0(VALU_DEP_1) | instskip(NEXT) | instid1(VALU_DEP_1)
	v_add_f32_e32 v2, v2, v148
	v_add_f32_e32 v2, v2, v149
	s_delay_alu instid0(VALU_DEP_1) | instskip(NEXT) | instid1(VALU_DEP_1)
	v_add_f32_e32 v2, v2, v15
	v_add_f32_e32 v2, v2, v18
	s_delay_alu instid0(VALU_DEP_1) | instskip(NEXT) | instid1(VALU_DEP_1)
	v_add_f32_e32 v2, v2, v19
	v_dual_add_f32 v2, v2, v20 :: v_dual_add_f32 v1, v1, v26
	s_delay_alu instid0(VALU_DEP_1) | instskip(NEXT) | instid1(VALU_DEP_1)
	v_dual_add_f32 v2, v2, v157 :: v_dual_add_f32 v1, v1, v27
	v_dual_add_f32 v2, v2, v158 :: v_dual_add_f32 v1, v1, v28
	s_delay_alu instid0(VALU_DEP_1) | instskip(NEXT) | instid1(VALU_DEP_1)
	v_add_f32_e32 v2, v2, v161
	v_dual_add_f32 v1, v1, v29 :: v_dual_add_f32 v2, v2, v163
	s_delay_alu instid0(VALU_DEP_1) | instskip(NEXT) | instid1(VALU_DEP_1)
	v_add_f32_e32 v1, v1, v13
	;; [unrolled: 3-line block ×3, first 2 shown]
	v_add_f32_e32 v2, v2, v169
	s_delay_alu instid0(VALU_DEP_1) | instskip(NEXT) | instid1(VALU_DEP_1)
	v_add_f32_e32 v2, v2, v171
	v_add_f32_e32 v2, v2, v173
	s_delay_alu instid0(VALU_DEP_1) | instskip(NEXT) | instid1(VALU_DEP_1)
	v_add_f32_e32 v2, v2, v175
	v_dual_add_f32 v2, v2, v177 :: v_dual_add_f32 v1, v1, v16
	s_delay_alu instid0(VALU_DEP_1) | instskip(NEXT) | instid1(VALU_DEP_1)
	v_dual_add_f32 v2, v2, v179 :: v_dual_add_f32 v1, v1, v17
	v_add_f32_e32 v1, v1, v150
	s_delay_alu instid0(VALU_DEP_1) | instskip(NEXT) | instid1(VALU_DEP_1)
	v_add_f32_e32 v1, v1, v151
	v_add_f32_e32 v1, v1, v159
	s_delay_alu instid0(VALU_DEP_1) | instskip(NEXT) | instid1(VALU_DEP_1)
	v_add_f32_e32 v1, v1, v160
	;; [unrolled: 3-line block ×8, first 2 shown]
	v_add_f32_e32 v6, v1, v186
	v_add_f32_e32 v2, v2, v181
	s_delay_alu instid0(VALU_DEP_2) | instskip(SKIP_1) | instid1(VALU_DEP_3)
	v_add_f32_e32 v14, v6, v188
	v_mul_f32_e32 v211, v7, v4
	v_add_f32_e32 v5, v2, v183
	s_delay_alu instid0(VALU_DEP_2) | instskip(NEXT) | instid1(VALU_DEP_2)
	v_dual_add_f32 v14, v14, v190 :: v_dual_fmac_f32 v211, v8, v3
	v_add_f32_e32 v13, v5, v185
	scratch_load_b128 v[5:8], off, off offset:400
	ds_load_b128 v[1:4], v25 offset:848
	v_add_f32_e32 v17, v14, v192
	v_add_f32_e32 v13, v13, v187
	s_delay_alu instid0(VALU_DEP_2) | instskip(NEXT) | instid1(VALU_DEP_2)
	v_add_f32_e32 v17, v17, v194
	v_add_f32_e32 v13, v13, v189
	s_delay_alu instid0(VALU_DEP_2) | instskip(NEXT) | instid1(VALU_DEP_2)
	v_add_f32_e32 v17, v17, v196
	v_add_f32_e32 v18, v13, v191
	ds_load_b128 v[13:16], v25 offset:864
	v_add_f32_e32 v17, v17, v198
	s_wait_loadcnt_dscnt 0x101
	v_mul_f32_e32 v26, v1, v10
	v_dual_mul_f32 v10, v2, v10 :: v_dual_mul_f32 v27, v3, v12
	v_mul_f32_e32 v12, v4, v12
	v_add_f32_e32 v18, v18, v193
	s_delay_alu instid0(VALU_DEP_4) | instskip(NEXT) | instid1(VALU_DEP_4)
	v_fmac_f32_e32 v26, v2, v9
	v_fma_f32 v28, v1, v9, -v10
	v_fmac_f32_e32 v27, v4, v11
	v_fma_f32 v29, v3, v11, -v12
	s_clause 0x1
	scratch_load_b128 v[1:4], off, off offset:416
	scratch_load_b128 v[9:12], off, off offset:432
	v_add_f32_e32 v18, v18, v195
	s_delay_alu instid0(VALU_DEP_1) | instskip(SKIP_2) | instid1(VALU_DEP_1)
	v_dual_add_f32 v22, v17, v200 :: v_dual_add_f32 v21, v18, v197
	scratch_load_b128 v[17:20], off, off offset:448
	v_dual_add_f32 v22, v22, v202 :: v_dual_add_f32 v21, v21, v199
	v_add_f32_e32 v22, v22, v204
	s_wait_loadcnt_dscnt 0x300
	v_mul_f32_e32 v30, v13, v6
	s_delay_alu instid0(VALU_DEP_3) | instskip(SKIP_2) | instid1(VALU_DEP_4)
	v_dual_mul_f32 v6, v14, v6 :: v_dual_add_f32 v21, v21, v201
	v_mul_f32_e32 v148, v15, v8
	v_mul_f32_e32 v8, v16, v8
	v_fmac_f32_e32 v30, v14, v5
	s_delay_alu instid0(VALU_DEP_4)
	v_fma_f32 v149, v13, v5, -v6
	v_add_f32_e32 v13, v21, v203
	v_dual_add_f32 v21, v22, v206 :: v_dual_fmac_f32 v148, v16, v7
	v_fma_f32 v150, v15, v7, -v8
	ds_load_b128 v[5:8], v25 offset:880
	v_add_f32_e32 v22, v13, v205
	v_add_f32_e32 v151, v21, v208
	ds_load_b128 v[13:16], v25 offset:896
	v_add_f32_e32 v154, v22, v207
	ds_load_b128 v[21:24], v25 offset:912
	v_add_f32_e32 v25, v151, v210
	v_add_f32_e32 v151, v154, v209
	s_delay_alu instid0(VALU_DEP_2) | instskip(NEXT) | instid1(VALU_DEP_2)
	v_add_f32_e32 v25, v25, v212
	v_add_f32_e32 v151, v151, v211
	s_delay_alu instid0(VALU_DEP_2) | instskip(SKIP_2) | instid1(VALU_DEP_3)
	v_add_f32_e32 v25, v25, v28
	s_wait_loadcnt_dscnt 0x202
	v_mul_f32_e32 v154, v5, v2
	v_add_f32_e32 v26, v151, v26
	s_delay_alu instid0(VALU_DEP_3) | instskip(SKIP_2) | instid1(VALU_DEP_4)
	v_dual_mul_f32 v2, v6, v2 :: v_dual_add_f32 v25, v25, v29
	v_mul_f32_e32 v28, v7, v4
	v_mul_f32_e32 v4, v8, v4
	v_add_f32_e32 v26, v26, v27
	s_delay_alu instid0(VALU_DEP_4)
	v_fma_f32 v2, v5, v1, -v2
	v_add_f32_e32 v25, v25, v149
	s_wait_loadcnt_dscnt 0x101
	v_dual_fmac_f32 v154, v6, v1 :: v_dual_mul_f32 v151, v13, v10
	v_add_f32_e32 v26, v26, v30
	v_mul_f32_e32 v6, v14, v10
	v_dual_add_f32 v1, v25, v150 :: v_dual_fmac_f32 v28, v8, v3
	v_fma_f32 v3, v7, v3, -v4
	s_delay_alu instid0(VALU_DEP_4) | instskip(SKIP_1) | instid1(VALU_DEP_4)
	v_add_f32_e32 v5, v26, v148
	v_mul_f32_e32 v155, v15, v12
	v_dual_add_f32 v1, v1, v2 :: v_dual_mul_f32 v4, v16, v12
	s_delay_alu instid0(VALU_DEP_3) | instskip(SKIP_1) | instid1(VALU_DEP_3)
	v_dual_fmac_f32 v151, v14, v9 :: v_dual_add_f32 v2, v5, v154
	v_fma_f32 v5, v13, v9, -v6
	v_add_f32_e32 v1, v1, v3
	s_wait_loadcnt_dscnt 0x0
	v_mul_f32_e32 v27, v21, v18
	v_mul_f32_e32 v3, v22, v18
	v_dual_add_f32 v2, v2, v28 :: v_dual_fmac_f32 v155, v16, v11
	v_fma_f32 v4, v15, v11, -v4
	v_add_f32_e32 v1, v1, v5
	s_delay_alu instid0(VALU_DEP_3) | instskip(SKIP_3) | instid1(VALU_DEP_4)
	v_dual_mul_f32 v29, v23, v20 :: v_dual_add_f32 v2, v2, v151
	v_mul_f32_e32 v5, v24, v20
	v_fmac_f32_e32 v27, v22, v17
	v_fma_f32 v3, v21, v17, -v3
	v_dual_add_f32 v1, v1, v4 :: v_dual_add_f32 v2, v2, v155
	v_fmac_f32_e32 v29, v24, v19
	v_fma_f32 v4, v23, v19, -v5
	s_delay_alu instid0(VALU_DEP_3) | instskip(NEXT) | instid1(VALU_DEP_1)
	v_add_f32_e32 v1, v1, v3
	v_dual_add_f32 v2, v2, v27 :: v_dual_add_f32 v1, v1, v4
	s_delay_alu instid0(VALU_DEP_1) | instskip(NEXT) | instid1(VALU_DEP_1)
	v_add_f32_e32 v2, v2, v29
	v_dual_sub_f32 v1, v152, v1 :: v_dual_sub_f32 v2, v153, v2
	scratch_store_b64 off, v[1:2], off offset:56
	v_cmpx_lt_u32_e32 6, v0
	s_cbranch_execz .LBB121_349
; %bb.348:
	scratch_load_b64 v[1:2], off, off offset:48
	v_mov_b32_e32 v3, 0
	s_delay_alu instid0(VALU_DEP_1)
	v_mov_b32_e32 v4, v3
	scratch_store_b64 off, v[3:4], off offset:48
	s_wait_loadcnt 0x0
	ds_store_b64 v31, v[1:2]
.LBB121_349:
	s_wait_alu 0xfffe
	s_or_b32 exec_lo, exec_lo, s0
	s_wait_storecnt_dscnt 0x0
	s_barrier_signal -1
	s_barrier_wait -1
	global_inv scope:SCOPE_SE
	s_clause 0x4
	scratch_load_b128 v[5:8], off, off offset:56
	scratch_load_b128 v[1:4], off, off offset:72
	;; [unrolled: 1-line block ×5, first 2 shown]
	v_mov_b32_e32 v25, 0
	ds_load_2addr_b64 v[21:24], v25 offset0:65 offset1:66
	ds_load_2addr_b64 v[26:29], v25 offset0:67 offset1:68
	;; [unrolled: 1-line block ×3, first 2 shown]
	scratch_load_b64 v[152:153], off, off offset:48
	s_mov_b32 s0, exec_lo
	s_wait_loadcnt_dscnt 0x502
	v_mul_f32_e32 v30, v21, v6
	s_wait_loadcnt_dscnt 0x300
	v_dual_mul_f32 v154, v23, v8 :: v_dual_mul_f32 v155, v148, v10
	v_mul_f32_e32 v8, v24, v8
	v_mul_f32_e32 v6, v22, v6
	v_fmac_f32_e32 v30, v22, v5
	v_mul_f32_e32 v10, v149, v10
	v_fmac_f32_e32 v155, v149, v9
	v_fma_f32 v22, v23, v7, -v8
	v_dual_mul_f32 v23, v26, v2 :: v_dual_fmac_f32 v154, v24, v7
	v_mul_f32_e32 v24, v28, v4
	v_mul_f32_e32 v4, v29, v4
	s_delay_alu instid0(VALU_DEP_3)
	v_dual_mul_f32 v156, v150, v12 :: v_dual_fmac_f32 v23, v27, v1
	v_fma_f32 v21, v21, v5, -v6
	ds_load_2addr_b64 v[5:8], v25 offset0:71 offset1:72
	v_mul_f32_e32 v12, v151, v12
	v_mul_f32_e32 v2, v27, v2
	v_fmac_f32_e32 v24, v29, v3
	v_fma_f32 v27, v28, v3, -v4
	v_fma_f32 v28, v148, v9, -v10
	v_fmac_f32_e32 v156, v151, v11
	v_fma_f32 v29, v150, v11, -v12
	ds_load_2addr_b64 v[9:12], v25 offset0:73 offset1:74
	s_wait_loadcnt_dscnt 0x201
	v_dual_mul_f32 v149, v7, v16 :: v_dual_mul_f32 v148, v5, v14
	v_mul_f32_e32 v14, v6, v14
	v_mul_f32_e32 v16, v8, v16
	s_delay_alu instid0(VALU_DEP_3)
	v_fmac_f32_e32 v149, v8, v15
	v_fma_f32 v26, v26, v1, -v2
	scratch_load_b128 v[1:4], off, off offset:136
	v_fmac_f32_e32 v148, v6, v13
	v_fma_f32 v13, v5, v13, -v14
	v_fma_f32 v14, v7, v15, -v16
	s_wait_loadcnt_dscnt 0x200
	v_mul_f32_e32 v15, v9, v18
	v_mul_f32_e32 v16, v10, v18
	;; [unrolled: 1-line block ×4, first 2 shown]
	ds_load_2addr_b64 v[5:8], v25 offset0:75 offset1:76
	v_fmac_f32_e32 v15, v10, v17
	v_fma_f32 v16, v9, v17, -v16
	v_fmac_f32_e32 v18, v12, v19
	v_fma_f32 v17, v11, v19, -v20
	scratch_load_b128 v[9:12], off, off offset:152
	s_wait_loadcnt_dscnt 0x100
	v_mul_f32_e32 v19, v5, v2
	v_mul_f32_e32 v2, v6, v2
	;; [unrolled: 1-line block ×3, first 2 shown]
	s_delay_alu instid0(VALU_DEP_3) | instskip(NEXT) | instid1(VALU_DEP_3)
	v_dual_mul_f32 v4, v8, v4 :: v_dual_fmac_f32 v19, v6, v1
	v_fma_f32 v150, v5, v1, -v2
	s_delay_alu instid0(VALU_DEP_3) | instskip(NEXT) | instid1(VALU_DEP_3)
	v_fmac_f32_e32 v20, v8, v3
	v_fma_f32 v151, v7, v3, -v4
	ds_load_2addr_b64 v[1:4], v25 offset0:77 offset1:78
	ds_load_2addr_b64 v[5:8], v25 offset0:79 offset1:80
	s_wait_loadcnt_dscnt 0x1
	v_mul_f32_e32 v157, v1, v10
	v_mul_f32_e32 v10, v2, v10
	s_delay_alu instid0(VALU_DEP_2) | instskip(NEXT) | instid1(VALU_DEP_2)
	v_dual_mul_f32 v158, v3, v12 :: v_dual_fmac_f32 v157, v2, v9
	v_fma_f32 v159, v1, v9, -v10
	v_mul_f32_e32 v1, v4, v12
	s_delay_alu instid0(VALU_DEP_3) | instskip(NEXT) | instid1(VALU_DEP_2)
	v_fmac_f32_e32 v158, v4, v11
	v_fma_f32 v160, v3, v11, -v1
	s_clause 0x1
	scratch_load_b128 v[1:4], off, off offset:168
	scratch_load_b128 v[9:12], off, off offset:184
	s_wait_loadcnt_dscnt 0x100
	v_mul_f32_e32 v161, v5, v2
	v_dual_mul_f32 v2, v6, v2 :: v_dual_mul_f32 v163, v7, v4
	s_delay_alu instid0(VALU_DEP_2) | instskip(NEXT) | instid1(VALU_DEP_2)
	v_fmac_f32_e32 v161, v6, v1
	v_fma_f32 v162, v5, v1, -v2
	v_mul_f32_e32 v1, v8, v4
	s_delay_alu instid0(VALU_DEP_4) | instskip(NEXT) | instid1(VALU_DEP_2)
	v_fmac_f32_e32 v163, v8, v3
	v_fma_f32 v164, v7, v3, -v1
	ds_load_2addr_b64 v[1:4], v25 offset0:81 offset1:82
	ds_load_2addr_b64 v[5:8], v25 offset0:83 offset1:84
	s_wait_loadcnt_dscnt 0x1
	v_mul_f32_e32 v165, v1, v10
	v_mul_f32_e32 v167, v3, v12
	s_delay_alu instid0(VALU_DEP_2) | instskip(NEXT) | instid1(VALU_DEP_2)
	v_fmac_f32_e32 v165, v2, v9
	v_dual_mul_f32 v2, v2, v10 :: v_dual_fmac_f32 v167, v4, v11
	s_delay_alu instid0(VALU_DEP_1) | instskip(SKIP_1) | instid1(VALU_DEP_1)
	v_fma_f32 v166, v1, v9, -v2
	v_mul_f32_e32 v1, v4, v12
	v_fma_f32 v168, v3, v11, -v1
	s_clause 0x1
	scratch_load_b128 v[1:4], off, off offset:200
	scratch_load_b128 v[9:12], off, off offset:216
	s_wait_loadcnt_dscnt 0x100
	v_mul_f32_e32 v169, v5, v2
	v_dual_mul_f32 v2, v6, v2 :: v_dual_mul_f32 v171, v7, v4
	s_delay_alu instid0(VALU_DEP_2) | instskip(NEXT) | instid1(VALU_DEP_2)
	v_fmac_f32_e32 v169, v6, v1
	v_fma_f32 v170, v5, v1, -v2
	v_mul_f32_e32 v1, v8, v4
	s_delay_alu instid0(VALU_DEP_4) | instskip(NEXT) | instid1(VALU_DEP_2)
	v_fmac_f32_e32 v171, v8, v3
	v_fma_f32 v172, v7, v3, -v1
	ds_load_2addr_b64 v[1:4], v25 offset0:85 offset1:86
	ds_load_2addr_b64 v[5:8], v25 offset0:87 offset1:88
	s_wait_loadcnt_dscnt 0x1
	v_mul_f32_e32 v173, v1, v10
	v_mul_f32_e32 v175, v3, v12
	s_delay_alu instid0(VALU_DEP_2) | instskip(NEXT) | instid1(VALU_DEP_2)
	v_fmac_f32_e32 v173, v2, v9
	v_dual_mul_f32 v2, v2, v10 :: v_dual_fmac_f32 v175, v4, v11
	s_delay_alu instid0(VALU_DEP_1) | instskip(SKIP_1) | instid1(VALU_DEP_1)
	v_fma_f32 v174, v1, v9, -v2
	v_mul_f32_e32 v1, v4, v12
	v_fma_f32 v176, v3, v11, -v1
	s_clause 0x1
	scratch_load_b128 v[1:4], off, off offset:232
	scratch_load_b128 v[9:12], off, off offset:248
	s_wait_loadcnt_dscnt 0x100
	v_mul_f32_e32 v177, v5, v2
	v_dual_mul_f32 v2, v6, v2 :: v_dual_mul_f32 v179, v7, v4
	s_delay_alu instid0(VALU_DEP_2) | instskip(NEXT) | instid1(VALU_DEP_2)
	v_fmac_f32_e32 v177, v6, v1
	v_fma_f32 v178, v5, v1, -v2
	v_mul_f32_e32 v1, v8, v4
	s_delay_alu instid0(VALU_DEP_4) | instskip(NEXT) | instid1(VALU_DEP_2)
	v_fmac_f32_e32 v179, v8, v3
	v_fma_f32 v180, v7, v3, -v1
	ds_load_2addr_b64 v[1:4], v25 offset0:89 offset1:90
	ds_load_2addr_b64 v[5:8], v25 offset0:91 offset1:92
	s_wait_loadcnt_dscnt 0x1
	v_mul_f32_e32 v181, v1, v10
	v_mul_f32_e32 v183, v3, v12
	s_delay_alu instid0(VALU_DEP_2) | instskip(NEXT) | instid1(VALU_DEP_2)
	v_fmac_f32_e32 v181, v2, v9
	v_dual_mul_f32 v2, v2, v10 :: v_dual_fmac_f32 v183, v4, v11
	s_delay_alu instid0(VALU_DEP_1) | instskip(SKIP_1) | instid1(VALU_DEP_1)
	v_fma_f32 v182, v1, v9, -v2
	v_mul_f32_e32 v1, v4, v12
	v_fma_f32 v184, v3, v11, -v1
	s_clause 0x1
	scratch_load_b128 v[1:4], off, off offset:264
	scratch_load_b128 v[9:12], off, off offset:280
	s_wait_loadcnt_dscnt 0x100
	v_mul_f32_e32 v185, v5, v2
	v_dual_mul_f32 v2, v6, v2 :: v_dual_mul_f32 v187, v7, v4
	s_delay_alu instid0(VALU_DEP_2) | instskip(NEXT) | instid1(VALU_DEP_2)
	v_fmac_f32_e32 v185, v6, v1
	v_fma_f32 v186, v5, v1, -v2
	v_mul_f32_e32 v1, v8, v4
	s_delay_alu instid0(VALU_DEP_4) | instskip(NEXT) | instid1(VALU_DEP_2)
	v_fmac_f32_e32 v187, v8, v3
	v_fma_f32 v188, v7, v3, -v1
	ds_load_2addr_b64 v[1:4], v25 offset0:93 offset1:94
	ds_load_2addr_b64 v[5:8], v25 offset0:95 offset1:96
	s_wait_loadcnt_dscnt 0x1
	v_mul_f32_e32 v189, v1, v10
	v_mul_f32_e32 v191, v3, v12
	s_delay_alu instid0(VALU_DEP_2) | instskip(NEXT) | instid1(VALU_DEP_2)
	v_fmac_f32_e32 v189, v2, v9
	v_dual_mul_f32 v2, v2, v10 :: v_dual_fmac_f32 v191, v4, v11
	s_delay_alu instid0(VALU_DEP_1) | instskip(SKIP_1) | instid1(VALU_DEP_1)
	v_fma_f32 v190, v1, v9, -v2
	v_mul_f32_e32 v1, v4, v12
	v_fma_f32 v192, v3, v11, -v1
	s_clause 0x1
	scratch_load_b128 v[1:4], off, off offset:296
	scratch_load_b128 v[9:12], off, off offset:312
	s_wait_loadcnt_dscnt 0x100
	v_mul_f32_e32 v193, v5, v2
	v_dual_mul_f32 v2, v6, v2 :: v_dual_mul_f32 v195, v7, v4
	s_delay_alu instid0(VALU_DEP_2) | instskip(NEXT) | instid1(VALU_DEP_2)
	v_fmac_f32_e32 v193, v6, v1
	v_fma_f32 v194, v5, v1, -v2
	v_mul_f32_e32 v1, v8, v4
	s_delay_alu instid0(VALU_DEP_4) | instskip(NEXT) | instid1(VALU_DEP_2)
	v_fmac_f32_e32 v195, v8, v3
	v_fma_f32 v196, v7, v3, -v1
	ds_load_2addr_b64 v[1:4], v25 offset0:97 offset1:98
	ds_load_2addr_b64 v[5:8], v25 offset0:99 offset1:100
	s_wait_loadcnt_dscnt 0x1
	v_mul_f32_e32 v197, v1, v10
	v_mul_f32_e32 v199, v3, v12
	s_delay_alu instid0(VALU_DEP_2) | instskip(NEXT) | instid1(VALU_DEP_2)
	v_fmac_f32_e32 v197, v2, v9
	v_dual_mul_f32 v2, v2, v10 :: v_dual_fmac_f32 v199, v4, v11
	s_delay_alu instid0(VALU_DEP_1) | instskip(SKIP_1) | instid1(VALU_DEP_1)
	v_fma_f32 v198, v1, v9, -v2
	v_mul_f32_e32 v1, v4, v12
	v_fma_f32 v200, v3, v11, -v1
	s_clause 0x1
	scratch_load_b128 v[1:4], off, off offset:328
	scratch_load_b128 v[9:12], off, off offset:344
	s_wait_loadcnt_dscnt 0x100
	v_mul_f32_e32 v201, v5, v2
	v_dual_mul_f32 v2, v6, v2 :: v_dual_mul_f32 v203, v7, v4
	s_delay_alu instid0(VALU_DEP_2) | instskip(NEXT) | instid1(VALU_DEP_2)
	v_fmac_f32_e32 v201, v6, v1
	v_fma_f32 v202, v5, v1, -v2
	v_mul_f32_e32 v1, v8, v4
	s_delay_alu instid0(VALU_DEP_4) | instskip(NEXT) | instid1(VALU_DEP_2)
	v_fmac_f32_e32 v203, v8, v3
	v_fma_f32 v204, v7, v3, -v1
	ds_load_2addr_b64 v[1:4], v25 offset0:101 offset1:102
	ds_load_2addr_b64 v[5:8], v25 offset0:103 offset1:104
	s_wait_loadcnt_dscnt 0x1
	v_mul_f32_e32 v205, v1, v10
	v_mul_f32_e32 v207, v3, v12
	s_delay_alu instid0(VALU_DEP_2) | instskip(NEXT) | instid1(VALU_DEP_2)
	v_fmac_f32_e32 v205, v2, v9
	v_dual_mul_f32 v2, v2, v10 :: v_dual_fmac_f32 v207, v4, v11
	s_delay_alu instid0(VALU_DEP_1) | instskip(SKIP_1) | instid1(VALU_DEP_1)
	v_fma_f32 v206, v1, v9, -v2
	v_mul_f32_e32 v1, v4, v12
	v_fma_f32 v208, v3, v11, -v1
	s_clause 0x1
	scratch_load_b128 v[1:4], off, off offset:360
	scratch_load_b128 v[9:12], off, off offset:376
	s_wait_loadcnt_dscnt 0x100
	v_mul_f32_e32 v209, v5, v2
	v_mul_f32_e32 v2, v6, v2
	s_delay_alu instid0(VALU_DEP_2) | instskip(NEXT) | instid1(VALU_DEP_2)
	v_fmac_f32_e32 v209, v6, v1
	v_fma_f32 v210, v5, v1, -v2
	v_dual_add_f32 v2, 0, v30 :: v_dual_mul_f32 v1, v8, v4
	s_delay_alu instid0(VALU_DEP_1) | instskip(NEXT) | instid1(VALU_DEP_2)
	v_add_f32_e32 v2, v2, v154
	v_fma_f32 v212, v7, v3, -v1
	s_delay_alu instid0(VALU_DEP_2) | instskip(NEXT) | instid1(VALU_DEP_1)
	v_dual_add_f32 v1, 0, v21 :: v_dual_add_f32 v2, v2, v23
	v_dual_add_f32 v1, v1, v22 :: v_dual_add_f32 v2, v2, v24
	s_delay_alu instid0(VALU_DEP_1) | instskip(NEXT) | instid1(VALU_DEP_1)
	v_add_f32_e32 v2, v2, v155
	v_add_f32_e32 v2, v2, v156
	s_delay_alu instid0(VALU_DEP_1) | instskip(NEXT) | instid1(VALU_DEP_1)
	v_add_f32_e32 v2, v2, v148
	v_add_f32_e32 v2, v2, v149
	;; [unrolled: 3-line block ×3, first 2 shown]
	s_delay_alu instid0(VALU_DEP_1) | instskip(NEXT) | instid1(VALU_DEP_1)
	v_add_f32_e32 v2, v2, v19
	v_dual_add_f32 v2, v2, v20 :: v_dual_add_f32 v1, v1, v26
	s_delay_alu instid0(VALU_DEP_1) | instskip(SKIP_2) | instid1(VALU_DEP_1)
	v_dual_add_f32 v2, v2, v157 :: v_dual_add_f32 v1, v1, v27
	scratch_load_b64 v[26:27], off, off offset:456
	v_dual_add_f32 v2, v2, v158 :: v_dual_add_f32 v1, v1, v28
	v_add_f32_e32 v2, v2, v161
	s_delay_alu instid0(VALU_DEP_1) | instskip(NEXT) | instid1(VALU_DEP_1)
	v_dual_add_f32 v1, v1, v29 :: v_dual_add_f32 v2, v2, v163
	v_add_f32_e32 v1, v1, v13
	s_delay_alu instid0(VALU_DEP_1) | instskip(NEXT) | instid1(VALU_DEP_1)
	v_dual_add_f32 v2, v2, v165 :: v_dual_add_f32 v1, v1, v14
	v_dual_add_f32 v2, v2, v167 :: v_dual_add_f32 v1, v1, v16
	s_delay_alu instid0(VALU_DEP_1) | instskip(NEXT) | instid1(VALU_DEP_1)
	v_add_f32_e32 v2, v2, v169
	v_dual_add_f32 v1, v1, v17 :: v_dual_add_f32 v2, v2, v171
	s_delay_alu instid0(VALU_DEP_1) | instskip(NEXT) | instid1(VALU_DEP_1)
	v_dual_add_f32 v1, v1, v150 :: v_dual_add_f32 v2, v2, v173
	v_add_f32_e32 v1, v1, v151
	s_delay_alu instid0(VALU_DEP_2) | instskip(NEXT) | instid1(VALU_DEP_2)
	v_add_f32_e32 v2, v2, v175
	v_add_f32_e32 v1, v1, v159
	s_delay_alu instid0(VALU_DEP_1) | instskip(NEXT) | instid1(VALU_DEP_1)
	v_add_f32_e32 v1, v1, v160
	v_add_f32_e32 v1, v1, v162
	s_delay_alu instid0(VALU_DEP_1) | instskip(NEXT) | instid1(VALU_DEP_1)
	;; [unrolled: 3-line block ×7, first 2 shown]
	v_add_f32_e32 v1, v1, v184
	v_add_f32_e32 v6, v1, v186
	;; [unrolled: 1-line block ×3, first 2 shown]
	s_delay_alu instid0(VALU_DEP_2) | instskip(NEXT) | instid1(VALU_DEP_2)
	v_add_f32_e32 v14, v6, v188
	v_dual_add_f32 v2, v2, v179 :: v_dual_mul_f32 v211, v7, v4
	s_delay_alu instid0(VALU_DEP_2) | instskip(NEXT) | instid1(VALU_DEP_2)
	v_add_f32_e32 v14, v14, v190
	v_dual_add_f32 v2, v2, v181 :: v_dual_fmac_f32 v211, v8, v3
	s_delay_alu instid0(VALU_DEP_2) | instskip(NEXT) | instid1(VALU_DEP_2)
	v_add_f32_e32 v17, v14, v192
	v_add_f32_e32 v5, v2, v183
	scratch_load_b128 v[1:4], off, off offset:392
	v_add_f32_e32 v17, v17, v194
	v_add_f32_e32 v13, v5, v185
	ds_load_2addr_b64 v[5:8], v25 offset0:105 offset1:106
	v_add_f32_e32 v17, v17, v196
	v_add_f32_e32 v13, v13, v187
	s_delay_alu instid0(VALU_DEP_2) | instskip(NEXT) | instid1(VALU_DEP_2)
	v_add_f32_e32 v17, v17, v198
	v_add_f32_e32 v13, v13, v189
	s_delay_alu instid0(VALU_DEP_2) | instskip(NEXT) | instid1(VALU_DEP_2)
	v_add_f32_e32 v22, v17, v200
	v_add_f32_e32 v18, v13, v191
	ds_load_2addr_b64 v[13:16], v25 offset0:107 offset1:108
	v_add_f32_e32 v22, v22, v202
	s_wait_loadcnt_dscnt 0x201
	v_mul_f32_e32 v30, v5, v10
	v_mul_f32_e32 v10, v6, v10
	;; [unrolled: 1-line block ×4, first 2 shown]
	v_add_f32_e32 v18, v18, v193
	v_fmac_f32_e32 v30, v6, v9
	v_fma_f32 v149, v5, v9, -v10
	v_fmac_f32_e32 v148, v8, v11
	v_fma_f32 v150, v7, v11, -v12
	s_clause 0x1
	scratch_load_b128 v[5:8], off, off offset:408
	scratch_load_b128 v[9:12], off, off offset:424
	v_add_f32_e32 v18, v18, v195
	v_add_f32_e32 v22, v22, v204
	s_delay_alu instid0(VALU_DEP_2) | instskip(SKIP_2) | instid1(VALU_DEP_1)
	v_add_f32_e32 v21, v18, v197
	scratch_load_b128 v[17:20], off, off offset:440
	v_dual_add_f32 v22, v22, v206 :: v_dual_add_f32 v21, v21, v199
	v_add_f32_e32 v21, v21, v201
	s_delay_alu instid0(VALU_DEP_1) | instskip(SKIP_4) | instid1(VALU_DEP_3)
	v_add_f32_e32 v21, v21, v203
	s_wait_loadcnt_dscnt 0x300
	v_mul_f32_e32 v151, v13, v2
	v_mul_f32_e32 v2, v14, v2
	;; [unrolled: 1-line block ×3, first 2 shown]
	v_dual_mul_f32 v4, v16, v4 :: v_dual_fmac_f32 v151, v14, v1
	s_delay_alu instid0(VALU_DEP_3) | instskip(SKIP_1) | instid1(VALU_DEP_4)
	v_fma_f32 v155, v13, v1, -v2
	v_dual_add_f32 v13, v21, v205 :: v_dual_add_f32 v14, v22, v208
	v_fmac_f32_e32 v154, v16, v3
	s_delay_alu instid0(VALU_DEP_4)
	v_fma_f32 v156, v15, v3, -v4
	ds_load_2addr_b64 v[1:4], v25 offset0:109 offset1:110
	v_dual_add_f32 v21, v13, v207 :: v_dual_add_f32 v28, v14, v210
	ds_load_2addr_b64 v[13:16], v25 offset0:111 offset1:112
	v_add_f32_e32 v29, v21, v209
	v_add_f32_e32 v157, v28, v212
	ds_load_2addr_b64 v[21:24], v25 offset0:113 offset1:114
	v_add_f32_e32 v158, v29, v211
	v_add_f32_e32 v149, v157, v149
	ds_load_b64 v[28:29], v25 offset:920
	v_add_f32_e32 v30, v158, v30
	s_delay_alu instid0(VALU_DEP_1) | instskip(NEXT) | instid1(VALU_DEP_1)
	v_dual_add_f32 v149, v149, v150 :: v_dual_add_f32 v30, v30, v148
	v_add_f32_e32 v149, v149, v155
	s_wait_loadcnt_dscnt 0x203
	v_mul_f32_e32 v157, v1, v6
	v_mul_f32_e32 v6, v2, v6
	v_mul_f32_e32 v148, v3, v8
	v_add_f32_e32 v30, v30, v151
	v_mul_f32_e32 v8, v4, v8
	v_add_f32_e32 v149, v149, v156
	v_fma_f32 v1, v1, v5, -v6
	v_fmac_f32_e32 v157, v2, v5
	v_add_f32_e32 v30, v30, v154
	s_wait_loadcnt_dscnt 0x102
	v_mul_f32_e32 v150, v13, v10
	v_fmac_f32_e32 v148, v4, v7
	v_fma_f32 v2, v3, v7, -v8
	v_mul_f32_e32 v3, v14, v10
	v_add_f32_e32 v1, v149, v1
	v_dual_add_f32 v4, v30, v157 :: v_dual_mul_f32 v151, v15, v12
	v_dual_mul_f32 v5, v16, v12 :: v_dual_fmac_f32 v150, v14, v9
	s_delay_alu instid0(VALU_DEP_4) | instskip(NEXT) | instid1(VALU_DEP_3)
	v_fma_f32 v3, v13, v9, -v3
	v_dual_add_f32 v1, v1, v2 :: v_dual_add_f32 v2, v4, v148
	s_wait_loadcnt_dscnt 0x1
	v_mul_f32_e32 v155, v21, v18
	v_dual_mul_f32 v4, v22, v18 :: v_dual_fmac_f32 v151, v16, v11
	v_fma_f32 v5, v15, v11, -v5
	v_dual_add_f32 v1, v1, v3 :: v_dual_add_f32 v2, v2, v150
	v_mul_f32_e32 v156, v23, v20
	v_mul_f32_e32 v3, v24, v20
	v_fmac_f32_e32 v155, v22, v17
	v_fma_f32 v4, v21, v17, -v4
	v_dual_add_f32 v1, v1, v5 :: v_dual_add_f32 v2, v2, v151
	s_wait_dscnt 0x0
	v_mul_f32_e32 v154, v28, v27
	v_mul_f32_e32 v5, v29, v27
	v_fmac_f32_e32 v156, v24, v19
	v_fma_f32 v3, v23, v19, -v3
	v_dual_add_f32 v1, v1, v4 :: v_dual_add_f32 v2, v2, v155
	v_fmac_f32_e32 v154, v29, v26
	v_fma_f32 v4, v28, v26, -v5
	s_delay_alu instid0(VALU_DEP_3) | instskip(NEXT) | instid1(VALU_DEP_1)
	v_dual_add_f32 v1, v1, v3 :: v_dual_add_f32 v2, v2, v156
	v_dual_add_f32 v1, v1, v4 :: v_dual_add_f32 v2, v2, v154
	s_delay_alu instid0(VALU_DEP_1)
	v_dual_sub_f32 v1, v152, v1 :: v_dual_sub_f32 v2, v153, v2
	scratch_store_b64 off, v[1:2], off offset:48
	v_cmpx_lt_u32_e32 5, v0
	s_cbranch_execz .LBB121_351
; %bb.350:
	scratch_load_b64 v[1:2], off, off offset:40
	v_mov_b32_e32 v26, v25
	scratch_store_b64 off, v[25:26], off offset:40
	s_wait_loadcnt 0x0
	ds_store_b64 v31, v[1:2]
.LBB121_351:
	s_wait_alu 0xfffe
	s_or_b32 exec_lo, exec_lo, s0
	s_wait_storecnt_dscnt 0x0
	s_barrier_signal -1
	s_barrier_wait -1
	global_inv scope:SCOPE_SE
	s_clause 0x4
	scratch_load_b128 v[5:8], off, off offset:48
	scratch_load_b128 v[1:4], off, off offset:64
	;; [unrolled: 1-line block ×5, first 2 shown]
	ds_load_b128 v[21:24], v25 offset:512
	ds_load_b128 v[26:29], v25 offset:528
	;; [unrolled: 1-line block ×3, first 2 shown]
	scratch_load_b64 v[152:153], off, off offset:40
	s_mov_b32 s0, exec_lo
	s_wait_loadcnt_dscnt 0x502
	v_mul_f32_e32 v30, v21, v6
	v_mul_f32_e32 v154, v23, v8
	;; [unrolled: 1-line block ×3, first 2 shown]
	s_wait_loadcnt_dscnt 0x300
	v_mul_f32_e32 v155, v148, v10
	v_mul_f32_e32 v6, v22, v6
	v_fmac_f32_e32 v30, v22, v5
	v_mul_f32_e32 v10, v149, v10
	v_fma_f32 v22, v23, v7, -v8
	v_dual_mul_f32 v23, v26, v2 :: v_dual_fmac_f32 v154, v24, v7
	v_fmac_f32_e32 v155, v149, v9
	v_fma_f32 v21, v21, v5, -v6
	ds_load_b128 v[5:8], v25 offset:560
	v_mul_f32_e32 v24, v28, v4
	v_mul_f32_e32 v4, v29, v4
	v_mul_f32_e32 v156, v150, v12
	v_mul_f32_e32 v12, v151, v12
	v_mul_f32_e32 v2, v27, v2
	v_dual_fmac_f32 v23, v27, v1 :: v_dual_fmac_f32 v24, v29, v3
	v_fma_f32 v27, v28, v3, -v4
	v_fma_f32 v28, v148, v9, -v10
	v_fmac_f32_e32 v156, v151, v11
	v_fma_f32 v29, v150, v11, -v12
	ds_load_b128 v[9:12], v25 offset:576
	s_wait_loadcnt_dscnt 0x201
	v_dual_mul_f32 v149, v7, v16 :: v_dual_mul_f32 v148, v5, v14
	v_mul_f32_e32 v14, v6, v14
	v_mul_f32_e32 v16, v8, v16
	s_delay_alu instid0(VALU_DEP_3)
	v_fmac_f32_e32 v149, v8, v15
	v_fma_f32 v26, v26, v1, -v2
	scratch_load_b128 v[1:4], off, off offset:128
	v_fmac_f32_e32 v148, v6, v13
	v_fma_f32 v13, v5, v13, -v14
	v_fma_f32 v14, v7, v15, -v16
	ds_load_b128 v[5:8], v25 offset:592
	s_wait_loadcnt_dscnt 0x201
	v_mul_f32_e32 v15, v9, v18
	v_mul_f32_e32 v16, v10, v18
	;; [unrolled: 1-line block ×3, first 2 shown]
	s_delay_alu instid0(VALU_DEP_3) | instskip(NEXT) | instid1(VALU_DEP_3)
	v_dual_mul_f32 v20, v12, v20 :: v_dual_fmac_f32 v15, v10, v17
	v_fma_f32 v16, v9, v17, -v16
	s_delay_alu instid0(VALU_DEP_3) | instskip(NEXT) | instid1(VALU_DEP_3)
	v_fmac_f32_e32 v18, v12, v19
	v_fma_f32 v17, v11, v19, -v20
	scratch_load_b128 v[9:12], off, off offset:144
	s_wait_loadcnt_dscnt 0x100
	v_mul_f32_e32 v19, v5, v2
	v_mul_f32_e32 v2, v6, v2
	;; [unrolled: 1-line block ×3, first 2 shown]
	s_delay_alu instid0(VALU_DEP_3) | instskip(NEXT) | instid1(VALU_DEP_3)
	v_dual_mul_f32 v4, v8, v4 :: v_dual_fmac_f32 v19, v6, v1
	v_fma_f32 v150, v5, v1, -v2
	s_delay_alu instid0(VALU_DEP_3) | instskip(NEXT) | instid1(VALU_DEP_3)
	v_fmac_f32_e32 v20, v8, v3
	v_fma_f32 v151, v7, v3, -v4
	ds_load_b128 v[1:4], v25 offset:608
	ds_load_b128 v[5:8], v25 offset:624
	s_wait_loadcnt_dscnt 0x1
	v_mul_f32_e32 v157, v1, v10
	v_mul_f32_e32 v10, v2, v10
	s_delay_alu instid0(VALU_DEP_2) | instskip(NEXT) | instid1(VALU_DEP_2)
	v_dual_mul_f32 v158, v3, v12 :: v_dual_fmac_f32 v157, v2, v9
	v_fma_f32 v159, v1, v9, -v10
	v_mul_f32_e32 v1, v4, v12
	s_delay_alu instid0(VALU_DEP_3) | instskip(NEXT) | instid1(VALU_DEP_2)
	v_fmac_f32_e32 v158, v4, v11
	v_fma_f32 v160, v3, v11, -v1
	s_clause 0x1
	scratch_load_b128 v[1:4], off, off offset:160
	scratch_load_b128 v[9:12], off, off offset:176
	s_wait_loadcnt_dscnt 0x100
	v_mul_f32_e32 v161, v5, v2
	v_dual_mul_f32 v2, v6, v2 :: v_dual_mul_f32 v163, v7, v4
	s_delay_alu instid0(VALU_DEP_2) | instskip(NEXT) | instid1(VALU_DEP_2)
	v_fmac_f32_e32 v161, v6, v1
	v_fma_f32 v162, v5, v1, -v2
	v_mul_f32_e32 v1, v8, v4
	s_delay_alu instid0(VALU_DEP_4) | instskip(NEXT) | instid1(VALU_DEP_2)
	v_fmac_f32_e32 v163, v8, v3
	v_fma_f32 v164, v7, v3, -v1
	ds_load_b128 v[1:4], v25 offset:640
	ds_load_b128 v[5:8], v25 offset:656
	s_wait_loadcnt_dscnt 0x1
	v_mul_f32_e32 v165, v1, v10
	v_mul_f32_e32 v167, v3, v12
	s_delay_alu instid0(VALU_DEP_2) | instskip(NEXT) | instid1(VALU_DEP_2)
	v_fmac_f32_e32 v165, v2, v9
	v_dual_mul_f32 v2, v2, v10 :: v_dual_fmac_f32 v167, v4, v11
	s_delay_alu instid0(VALU_DEP_1) | instskip(SKIP_1) | instid1(VALU_DEP_1)
	v_fma_f32 v166, v1, v9, -v2
	v_mul_f32_e32 v1, v4, v12
	v_fma_f32 v168, v3, v11, -v1
	s_clause 0x1
	scratch_load_b128 v[1:4], off, off offset:192
	scratch_load_b128 v[9:12], off, off offset:208
	s_wait_loadcnt_dscnt 0x100
	v_mul_f32_e32 v169, v5, v2
	v_dual_mul_f32 v2, v6, v2 :: v_dual_mul_f32 v171, v7, v4
	s_delay_alu instid0(VALU_DEP_2) | instskip(NEXT) | instid1(VALU_DEP_2)
	v_fmac_f32_e32 v169, v6, v1
	v_fma_f32 v170, v5, v1, -v2
	v_mul_f32_e32 v1, v8, v4
	s_delay_alu instid0(VALU_DEP_4) | instskip(NEXT) | instid1(VALU_DEP_2)
	v_fmac_f32_e32 v171, v8, v3
	v_fma_f32 v172, v7, v3, -v1
	ds_load_b128 v[1:4], v25 offset:672
	ds_load_b128 v[5:8], v25 offset:688
	s_wait_loadcnt_dscnt 0x1
	v_mul_f32_e32 v173, v1, v10
	v_mul_f32_e32 v175, v3, v12
	s_delay_alu instid0(VALU_DEP_2) | instskip(NEXT) | instid1(VALU_DEP_2)
	v_fmac_f32_e32 v173, v2, v9
	v_dual_mul_f32 v2, v2, v10 :: v_dual_fmac_f32 v175, v4, v11
	s_delay_alu instid0(VALU_DEP_1) | instskip(SKIP_1) | instid1(VALU_DEP_1)
	v_fma_f32 v174, v1, v9, -v2
	v_mul_f32_e32 v1, v4, v12
	;; [unrolled: 25-line block ×7, first 2 shown]
	v_fma_f32 v216, v3, v11, -v1
	s_clause 0x1
	scratch_load_b128 v[1:4], off, off offset:384
	scratch_load_b128 v[9:12], off, off offset:400
	s_wait_loadcnt_dscnt 0x100
	v_mul_f32_e32 v217, v5, v2
	v_dual_mul_f32 v2, v6, v2 :: v_dual_mul_f32 v219, v7, v4
	s_delay_alu instid0(VALU_DEP_2) | instskip(NEXT) | instid1(VALU_DEP_2)
	v_fmac_f32_e32 v217, v6, v1
	v_fma_f32 v218, v5, v1, -v2
	v_add_f32_e32 v2, 0, v30
	s_delay_alu instid0(VALU_DEP_1) | instskip(NEXT) | instid1(VALU_DEP_1)
	v_add_f32_e32 v2, v2, v154
	v_add_f32_e32 v2, v2, v23
	s_delay_alu instid0(VALU_DEP_1) | instskip(NEXT) | instid1(VALU_DEP_1)
	v_add_f32_e32 v2, v2, v24
	;; [unrolled: 3-line block ×6, first 2 shown]
	v_dual_mul_f32 v1, v8, v4 :: v_dual_add_f32 v2, v2, v157
	s_delay_alu instid0(VALU_DEP_1) | instskip(NEXT) | instid1(VALU_DEP_2)
	v_fma_f32 v220, v7, v3, -v1
	v_dual_add_f32 v1, 0, v21 :: v_dual_add_f32 v2, v2, v158
	s_delay_alu instid0(VALU_DEP_1) | instskip(NEXT) | instid1(VALU_DEP_1)
	v_dual_add_f32 v1, v1, v22 :: v_dual_add_f32 v2, v2, v161
	v_dual_add_f32 v1, v1, v26 :: v_dual_add_f32 v2, v2, v163
	s_delay_alu instid0(VALU_DEP_1) | instskip(NEXT) | instid1(VALU_DEP_1)
	v_dual_add_f32 v1, v1, v27 :: v_dual_add_f32 v2, v2, v165
	v_dual_add_f32 v1, v1, v28 :: v_dual_add_f32 v2, v2, v167
	s_delay_alu instid0(VALU_DEP_1) | instskip(NEXT) | instid1(VALU_DEP_2)
	v_add_f32_e32 v1, v1, v29
	v_add_f32_e32 v2, v2, v169
	s_delay_alu instid0(VALU_DEP_1) | instskip(NEXT) | instid1(VALU_DEP_1)
	v_dual_add_f32 v1, v1, v13 :: v_dual_add_f32 v2, v2, v171
	v_dual_add_f32 v1, v1, v14 :: v_dual_add_f32 v2, v2, v173
	s_delay_alu instid0(VALU_DEP_1) | instskip(NEXT) | instid1(VALU_DEP_1)
	v_dual_add_f32 v1, v1, v16 :: v_dual_add_f32 v2, v2, v175
	v_add_f32_e32 v1, v1, v17
	s_delay_alu instid0(VALU_DEP_1) | instskip(NEXT) | instid1(VALU_DEP_1)
	v_dual_add_f32 v2, v2, v177 :: v_dual_add_f32 v1, v1, v150
	v_add_f32_e32 v2, v2, v179
	s_delay_alu instid0(VALU_DEP_2) | instskip(NEXT) | instid1(VALU_DEP_1)
	v_add_f32_e32 v1, v1, v151
	v_add_f32_e32 v1, v1, v159
	s_delay_alu instid0(VALU_DEP_1) | instskip(NEXT) | instid1(VALU_DEP_1)
	v_add_f32_e32 v1, v1, v160
	v_add_f32_e32 v1, v1, v162
	s_delay_alu instid0(VALU_DEP_1) | instskip(NEXT) | instid1(VALU_DEP_1)
	;; [unrolled: 3-line block ×8, first 2 shown]
	v_add_f32_e32 v1, v1, v188
	v_add_f32_e32 v1, v1, v190
	s_delay_alu instid0(VALU_DEP_1) | instskip(SKIP_1) | instid1(VALU_DEP_2)
	v_add_f32_e32 v6, v1, v192
	v_add_f32_e32 v2, v2, v181
	;; [unrolled: 1-line block ×3, first 2 shown]
	s_delay_alu instid0(VALU_DEP_2) | instskip(NEXT) | instid1(VALU_DEP_2)
	v_add_f32_e32 v2, v2, v183
	v_add_f32_e32 v13, v6, v196
	s_delay_alu instid0(VALU_DEP_1) | instskip(NEXT) | instid1(VALU_DEP_1)
	v_dual_add_f32 v2, v2, v185 :: v_dual_add_f32 v13, v13, v198
	v_dual_add_f32 v2, v2, v187 :: v_dual_add_f32 v13, v13, v200
	s_delay_alu instid0(VALU_DEP_1) | instskip(NEXT) | instid1(VALU_DEP_2)
	v_add_f32_e32 v5, v2, v189
	v_add_f32_e32 v13, v13, v202
	s_delay_alu instid0(VALU_DEP_2) | instskip(NEXT) | instid1(VALU_DEP_2)
	v_add_f32_e32 v5, v5, v191
	v_add_f32_e32 v18, v13, v204
	s_delay_alu instid0(VALU_DEP_2)
	v_add_f32_e32 v5, v5, v193
	v_fmac_f32_e32 v219, v8, v3
	ds_load_b128 v[1:4], v25 offset:864
	v_add_f32_e32 v18, v18, v206
	v_add_f32_e32 v14, v5, v195
	ds_load_b128 v[5:8], v25 offset:880
	v_add_f32_e32 v18, v18, v208
	v_add_f32_e32 v14, v14, v197
	s_delay_alu instid0(VALU_DEP_2) | instskip(NEXT) | instid1(VALU_DEP_2)
	v_add_f32_e32 v21, v18, v210
	v_add_f32_e32 v14, v14, v199
	s_delay_alu instid0(VALU_DEP_1)
	v_dual_add_f32 v30, v21, v212 :: v_dual_add_f32 v17, v14, v201
	scratch_load_b128 v[13:16], off, off offset:448
	s_wait_loadcnt_dscnt 0x101
	v_dual_mul_f32 v26, v1, v10 :: v_dual_mul_f32 v27, v3, v12
	v_mul_f32_e32 v10, v2, v10
	v_dual_mul_f32 v12, v4, v12 :: v_dual_add_f32 v17, v17, v203
	s_delay_alu instid0(VALU_DEP_3) | instskip(NEXT) | instid1(VALU_DEP_3)
	v_dual_fmac_f32 v26, v2, v9 :: v_dual_fmac_f32 v27, v4, v11
	v_fma_f32 v28, v1, v9, -v10
	s_delay_alu instid0(VALU_DEP_3) | instskip(SKIP_4) | instid1(VALU_DEP_1)
	v_fma_f32 v29, v3, v11, -v12
	s_clause 0x1
	scratch_load_b128 v[1:4], off, off offset:416
	scratch_load_b128 v[9:12], off, off offset:432
	v_add_f32_e32 v17, v17, v205
	v_add_f32_e32 v17, v17, v207
	s_delay_alu instid0(VALU_DEP_1) | instskip(SKIP_4) | instid1(VALU_DEP_1)
	v_add_f32_e32 v22, v17, v209
	ds_load_b128 v[17:20], v25 offset:896
	v_add_f32_e32 v148, v22, v211
	ds_load_b128 v[21:24], v25 offset:912
	v_add_f32_e32 v25, v30, v214
	v_add_f32_e32 v25, v25, v216
	s_delay_alu instid0(VALU_DEP_1) | instskip(NEXT) | instid1(VALU_DEP_1)
	v_add_f32_e32 v25, v25, v218
	v_add_f32_e32 v25, v25, v220
	s_delay_alu instid0(VALU_DEP_1) | instskip(SKIP_4) | instid1(VALU_DEP_3)
	v_add_f32_e32 v25, v25, v28
	s_wait_loadcnt_dscnt 0x200
	v_mul_f32_e32 v154, v21, v14
	v_add_f32_e32 v30, v148, v213
	v_mul_f32_e32 v28, v23, v16
	v_fmac_f32_e32 v154, v22, v13
	s_delay_alu instid0(VALU_DEP_3) | instskip(SKIP_1) | instid1(VALU_DEP_3)
	v_add_f32_e32 v30, v30, v215
	s_wait_loadcnt 0x1
	v_dual_fmac_f32 v28, v24, v15 :: v_dual_mul_f32 v149, v7, v4
	v_mul_f32_e32 v4, v8, v4
	s_delay_alu instid0(VALU_DEP_3)
	v_add_f32_e32 v30, v30, v217
	v_mul_f32_e32 v148, v5, v2
	v_mul_f32_e32 v2, v6, v2
	s_wait_loadcnt 0x0
	v_dual_mul_f32 v150, v17, v10 :: v_dual_fmac_f32 v149, v8, v3
	v_add_f32_e32 v30, v30, v219
	v_fmac_f32_e32 v148, v6, v1
	v_fma_f32 v2, v5, v1, -v2
	v_dual_add_f32 v1, v25, v29 :: v_dual_mul_f32 v6, v18, v10
	s_delay_alu instid0(VALU_DEP_4) | instskip(SKIP_2) | instid1(VALU_DEP_4)
	v_add_f32_e32 v26, v30, v26
	v_fma_f32 v3, v7, v3, -v4
	v_mul_f32_e32 v151, v19, v12
	v_dual_add_f32 v1, v1, v2 :: v_dual_mul_f32 v4, v20, v12
	s_delay_alu instid0(VALU_DEP_4) | instskip(NEXT) | instid1(VALU_DEP_3)
	v_add_f32_e32 v5, v26, v27
	v_dual_fmac_f32 v150, v18, v9 :: v_dual_fmac_f32 v151, v20, v11
	s_delay_alu instid0(VALU_DEP_3) | instskip(NEXT) | instid1(VALU_DEP_3)
	v_add_f32_e32 v1, v1, v3
	v_dual_mul_f32 v3, v22, v14 :: v_dual_add_f32 v2, v5, v148
	v_fma_f32 v5, v17, v9, -v6
	v_fma_f32 v4, v19, v11, -v4
	s_delay_alu instid0(VALU_DEP_3) | instskip(NEXT) | instid1(VALU_DEP_4)
	v_fma_f32 v3, v21, v13, -v3
	v_add_f32_e32 v2, v2, v149
	s_delay_alu instid0(VALU_DEP_4) | instskip(NEXT) | instid1(VALU_DEP_2)
	v_add_f32_e32 v1, v1, v5
	v_dual_mul_f32 v5, v24, v16 :: v_dual_add_f32 v2, v2, v150
	s_delay_alu instid0(VALU_DEP_2) | instskip(NEXT) | instid1(VALU_DEP_2)
	v_add_f32_e32 v1, v1, v4
	v_fma_f32 v4, v23, v15, -v5
	s_delay_alu instid0(VALU_DEP_3) | instskip(NEXT) | instid1(VALU_DEP_1)
	v_add_f32_e32 v2, v2, v151
	v_dual_add_f32 v1, v1, v3 :: v_dual_add_f32 v2, v2, v154
	s_delay_alu instid0(VALU_DEP_1) | instskip(NEXT) | instid1(VALU_DEP_1)
	v_add_f32_e32 v1, v1, v4
	v_dual_add_f32 v2, v2, v28 :: v_dual_sub_f32 v1, v152, v1
	s_delay_alu instid0(VALU_DEP_1)
	v_sub_f32_e32 v2, v153, v2
	scratch_store_b64 off, v[1:2], off offset:40
	v_cmpx_lt_u32_e32 4, v0
	s_cbranch_execz .LBB121_353
; %bb.352:
	scratch_load_b64 v[1:2], off, off offset:32
	v_mov_b32_e32 v3, 0
	s_delay_alu instid0(VALU_DEP_1)
	v_mov_b32_e32 v4, v3
	scratch_store_b64 off, v[3:4], off offset:32
	s_wait_loadcnt 0x0
	ds_store_b64 v31, v[1:2]
.LBB121_353:
	s_wait_alu 0xfffe
	s_or_b32 exec_lo, exec_lo, s0
	s_wait_storecnt_dscnt 0x0
	s_barrier_signal -1
	s_barrier_wait -1
	global_inv scope:SCOPE_SE
	s_clause 0x4
	scratch_load_b128 v[5:8], off, off offset:40
	scratch_load_b128 v[1:4], off, off offset:56
	;; [unrolled: 1-line block ×5, first 2 shown]
	v_mov_b32_e32 v25, 0
	ds_load_2addr_b64 v[21:24], v25 offset0:63 offset1:64
	ds_load_2addr_b64 v[26:29], v25 offset0:65 offset1:66
	;; [unrolled: 1-line block ×3, first 2 shown]
	scratch_load_b64 v[152:153], off, off offset:32
	s_mov_b32 s0, exec_lo
	s_wait_loadcnt_dscnt 0x502
	v_mul_f32_e32 v30, v21, v6
	s_wait_loadcnt_dscnt 0x300
	v_dual_mul_f32 v154, v23, v8 :: v_dual_mul_f32 v155, v148, v10
	v_mul_f32_e32 v8, v24, v8
	v_mul_f32_e32 v6, v22, v6
	v_fmac_f32_e32 v30, v22, v5
	s_delay_alu instid0(VALU_DEP_4) | instskip(NEXT) | instid1(VALU_DEP_4)
	v_dual_mul_f32 v156, v150, v12 :: v_dual_fmac_f32 v155, v149, v9
	v_fma_f32 v22, v23, v7, -v8
	v_dual_mul_f32 v23, v26, v2 :: v_dual_fmac_f32 v154, v24, v7
	v_mul_f32_e32 v24, v28, v4
	v_mul_f32_e32 v4, v29, v4
	s_delay_alu instid0(VALU_DEP_3)
	v_dual_mul_f32 v10, v149, v10 :: v_dual_fmac_f32 v23, v27, v1
	v_fma_f32 v21, v21, v5, -v6
	ds_load_2addr_b64 v[5:8], v25 offset0:69 offset1:70
	v_mul_f32_e32 v12, v151, v12
	v_mul_f32_e32 v2, v27, v2
	v_fmac_f32_e32 v24, v29, v3
	v_fma_f32 v27, v28, v3, -v4
	v_fmac_f32_e32 v156, v151, v11
	v_fma_f32 v28, v148, v9, -v10
	v_fma_f32 v29, v150, v11, -v12
	ds_load_2addr_b64 v[9:12], v25 offset0:71 offset1:72
	s_wait_loadcnt_dscnt 0x201
	v_dual_mul_f32 v149, v7, v16 :: v_dual_mul_f32 v148, v5, v14
	v_mul_f32_e32 v14, v6, v14
	v_mul_f32_e32 v16, v8, v16
	s_delay_alu instid0(VALU_DEP_3)
	v_fmac_f32_e32 v149, v8, v15
	v_fma_f32 v26, v26, v1, -v2
	scratch_load_b128 v[1:4], off, off offset:120
	v_fmac_f32_e32 v148, v6, v13
	v_fma_f32 v13, v5, v13, -v14
	v_fma_f32 v14, v7, v15, -v16
	s_wait_loadcnt_dscnt 0x200
	v_mul_f32_e32 v15, v9, v18
	v_mul_f32_e32 v16, v10, v18
	;; [unrolled: 1-line block ×4, first 2 shown]
	ds_load_2addr_b64 v[5:8], v25 offset0:73 offset1:74
	v_fmac_f32_e32 v15, v10, v17
	v_fma_f32 v16, v9, v17, -v16
	v_fmac_f32_e32 v18, v12, v19
	v_fma_f32 v17, v11, v19, -v20
	scratch_load_b128 v[9:12], off, off offset:136
	s_wait_loadcnt_dscnt 0x100
	v_mul_f32_e32 v19, v5, v2
	v_mul_f32_e32 v2, v6, v2
	v_mul_f32_e32 v20, v7, v4
	s_delay_alu instid0(VALU_DEP_3) | instskip(NEXT) | instid1(VALU_DEP_3)
	v_dual_mul_f32 v4, v8, v4 :: v_dual_fmac_f32 v19, v6, v1
	v_fma_f32 v150, v5, v1, -v2
	s_delay_alu instid0(VALU_DEP_3) | instskip(NEXT) | instid1(VALU_DEP_3)
	v_fmac_f32_e32 v20, v8, v3
	v_fma_f32 v151, v7, v3, -v4
	ds_load_2addr_b64 v[1:4], v25 offset0:75 offset1:76
	ds_load_2addr_b64 v[5:8], v25 offset0:77 offset1:78
	s_wait_loadcnt_dscnt 0x1
	v_mul_f32_e32 v157, v1, v10
	v_mul_f32_e32 v10, v2, v10
	s_delay_alu instid0(VALU_DEP_2) | instskip(NEXT) | instid1(VALU_DEP_2)
	v_dual_mul_f32 v158, v3, v12 :: v_dual_fmac_f32 v157, v2, v9
	v_fma_f32 v159, v1, v9, -v10
	v_mul_f32_e32 v1, v4, v12
	s_delay_alu instid0(VALU_DEP_3) | instskip(NEXT) | instid1(VALU_DEP_2)
	v_fmac_f32_e32 v158, v4, v11
	v_fma_f32 v160, v3, v11, -v1
	s_clause 0x1
	scratch_load_b128 v[1:4], off, off offset:152
	scratch_load_b128 v[9:12], off, off offset:168
	s_wait_loadcnt_dscnt 0x100
	v_mul_f32_e32 v161, v5, v2
	v_dual_mul_f32 v2, v6, v2 :: v_dual_mul_f32 v163, v7, v4
	s_delay_alu instid0(VALU_DEP_2) | instskip(NEXT) | instid1(VALU_DEP_2)
	v_fmac_f32_e32 v161, v6, v1
	v_fma_f32 v162, v5, v1, -v2
	v_mul_f32_e32 v1, v8, v4
	s_delay_alu instid0(VALU_DEP_4) | instskip(NEXT) | instid1(VALU_DEP_2)
	v_fmac_f32_e32 v163, v8, v3
	v_fma_f32 v164, v7, v3, -v1
	ds_load_2addr_b64 v[1:4], v25 offset0:79 offset1:80
	ds_load_2addr_b64 v[5:8], v25 offset0:81 offset1:82
	s_wait_loadcnt_dscnt 0x1
	v_mul_f32_e32 v165, v1, v10
	v_mul_f32_e32 v167, v3, v12
	s_delay_alu instid0(VALU_DEP_2) | instskip(NEXT) | instid1(VALU_DEP_2)
	v_fmac_f32_e32 v165, v2, v9
	v_dual_mul_f32 v2, v2, v10 :: v_dual_fmac_f32 v167, v4, v11
	s_delay_alu instid0(VALU_DEP_1) | instskip(SKIP_1) | instid1(VALU_DEP_1)
	v_fma_f32 v166, v1, v9, -v2
	v_mul_f32_e32 v1, v4, v12
	v_fma_f32 v168, v3, v11, -v1
	s_clause 0x1
	scratch_load_b128 v[1:4], off, off offset:184
	scratch_load_b128 v[9:12], off, off offset:200
	s_wait_loadcnt_dscnt 0x100
	v_mul_f32_e32 v169, v5, v2
	v_dual_mul_f32 v2, v6, v2 :: v_dual_mul_f32 v171, v7, v4
	s_delay_alu instid0(VALU_DEP_2) | instskip(NEXT) | instid1(VALU_DEP_2)
	v_fmac_f32_e32 v169, v6, v1
	v_fma_f32 v170, v5, v1, -v2
	v_mul_f32_e32 v1, v8, v4
	s_delay_alu instid0(VALU_DEP_4) | instskip(NEXT) | instid1(VALU_DEP_2)
	v_fmac_f32_e32 v171, v8, v3
	v_fma_f32 v172, v7, v3, -v1
	ds_load_2addr_b64 v[1:4], v25 offset0:83 offset1:84
	ds_load_2addr_b64 v[5:8], v25 offset0:85 offset1:86
	s_wait_loadcnt_dscnt 0x1
	v_mul_f32_e32 v173, v1, v10
	v_mul_f32_e32 v175, v3, v12
	s_delay_alu instid0(VALU_DEP_2) | instskip(NEXT) | instid1(VALU_DEP_2)
	v_fmac_f32_e32 v173, v2, v9
	v_dual_mul_f32 v2, v2, v10 :: v_dual_fmac_f32 v175, v4, v11
	s_delay_alu instid0(VALU_DEP_1) | instskip(SKIP_1) | instid1(VALU_DEP_1)
	v_fma_f32 v174, v1, v9, -v2
	v_mul_f32_e32 v1, v4, v12
	;; [unrolled: 25-line block ×7, first 2 shown]
	v_fma_f32 v216, v3, v11, -v1
	s_clause 0x1
	scratch_load_b128 v[1:4], off, off offset:376
	scratch_load_b128 v[9:12], off, off offset:392
	s_wait_loadcnt_dscnt 0x100
	v_mul_f32_e32 v217, v5, v2
	v_dual_mul_f32 v2, v6, v2 :: v_dual_mul_f32 v219, v7, v4
	s_delay_alu instid0(VALU_DEP_2) | instskip(NEXT) | instid1(VALU_DEP_2)
	v_fmac_f32_e32 v217, v6, v1
	v_fma_f32 v218, v5, v1, -v2
	v_add_f32_e32 v2, 0, v30
	s_delay_alu instid0(VALU_DEP_1) | instskip(NEXT) | instid1(VALU_DEP_1)
	v_add_f32_e32 v2, v2, v154
	v_add_f32_e32 v2, v2, v23
	s_delay_alu instid0(VALU_DEP_1) | instskip(NEXT) | instid1(VALU_DEP_1)
	v_add_f32_e32 v2, v2, v24
	;; [unrolled: 3-line block ×6, first 2 shown]
	v_dual_mul_f32 v1, v8, v4 :: v_dual_add_f32 v2, v2, v157
	s_delay_alu instid0(VALU_DEP_1) | instskip(NEXT) | instid1(VALU_DEP_2)
	v_fma_f32 v220, v7, v3, -v1
	v_dual_add_f32 v1, 0, v21 :: v_dual_add_f32 v2, v2, v158
	s_delay_alu instid0(VALU_DEP_1) | instskip(NEXT) | instid1(VALU_DEP_1)
	v_dual_add_f32 v1, v1, v22 :: v_dual_add_f32 v2, v2, v161
	v_dual_add_f32 v1, v1, v26 :: v_dual_add_f32 v2, v2, v163
	s_delay_alu instid0(VALU_DEP_1) | instskip(SKIP_2) | instid1(VALU_DEP_1)
	v_add_f32_e32 v1, v1, v27
	scratch_load_b64 v[26:27], off, off offset:456
	v_dual_add_f32 v2, v2, v165 :: v_dual_add_f32 v1, v1, v28
	v_dual_add_f32 v2, v2, v167 :: v_dual_add_f32 v1, v1, v29
	s_delay_alu instid0(VALU_DEP_1) | instskip(NEXT) | instid1(VALU_DEP_1)
	v_add_f32_e32 v2, v2, v169
	v_dual_add_f32 v1, v1, v13 :: v_dual_add_f32 v2, v2, v171
	s_delay_alu instid0(VALU_DEP_1) | instskip(NEXT) | instid1(VALU_DEP_1)
	v_dual_add_f32 v1, v1, v14 :: v_dual_add_f32 v2, v2, v173
	v_dual_add_f32 v1, v1, v16 :: v_dual_add_f32 v2, v2, v175
	s_delay_alu instid0(VALU_DEP_1) | instskip(NEXT) | instid1(VALU_DEP_1)
	v_add_f32_e32 v1, v1, v17
	v_add_f32_e32 v1, v1, v150
	s_delay_alu instid0(VALU_DEP_1) | instskip(NEXT) | instid1(VALU_DEP_1)
	v_add_f32_e32 v1, v1, v151
	v_add_f32_e32 v1, v1, v159
	;; [unrolled: 3-line block ×10, first 2 shown]
	s_delay_alu instid0(VALU_DEP_1) | instskip(SKIP_1) | instid1(VALU_DEP_2)
	v_add_f32_e32 v6, v1, v192
	v_add_f32_e32 v2, v2, v177
	;; [unrolled: 1-line block ×3, first 2 shown]
	s_delay_alu instid0(VALU_DEP_2) | instskip(NEXT) | instid1(VALU_DEP_2)
	v_add_f32_e32 v2, v2, v179
	v_add_f32_e32 v13, v6, v196
	s_delay_alu instid0(VALU_DEP_1) | instskip(NEXT) | instid1(VALU_DEP_1)
	v_dual_add_f32 v2, v2, v181 :: v_dual_add_f32 v13, v13, v198
	v_dual_add_f32 v2, v2, v183 :: v_dual_add_f32 v13, v13, v200
	s_delay_alu instid0(VALU_DEP_1) | instskip(NEXT) | instid1(VALU_DEP_1)
	v_dual_add_f32 v2, v2, v185 :: v_dual_add_f32 v13, v13, v202
	v_add_f32_e32 v2, v2, v187
	s_delay_alu instid0(VALU_DEP_2) | instskip(NEXT) | instid1(VALU_DEP_2)
	v_dual_add_f32 v18, v13, v204 :: v_dual_fmac_f32 v219, v8, v3
	v_add_f32_e32 v5, v2, v189
	ds_load_2addr_b64 v[1:4], v25 offset0:107 offset1:108
	v_dual_add_f32 v18, v18, v206 :: v_dual_add_f32 v5, v5, v191
	s_delay_alu instid0(VALU_DEP_1) | instskip(NEXT) | instid1(VALU_DEP_1)
	v_dual_add_f32 v18, v18, v208 :: v_dual_add_f32 v5, v5, v193
	v_add_f32_e32 v18, v18, v210
	s_delay_alu instid0(VALU_DEP_2)
	v_add_f32_e32 v14, v5, v195
	ds_load_2addr_b64 v[5:8], v25 offset0:109 offset1:110
	v_add_f32_e32 v18, v18, v212
	s_wait_loadcnt_dscnt 0x101
	v_mul_f32_e32 v30, v1, v10
	v_mul_f32_e32 v10, v2, v10
	;; [unrolled: 1-line block ×4, first 2 shown]
	v_add_f32_e32 v28, v18, v214
	v_fmac_f32_e32 v30, v2, v9
	v_fma_f32 v149, v1, v9, -v10
	v_fmac_f32_e32 v148, v4, v11
	v_fma_f32 v150, v3, v11, -v12
	s_clause 0x1
	scratch_load_b128 v[1:4], off, off offset:408
	scratch_load_b128 v[9:12], off, off offset:424
	v_dual_add_f32 v14, v14, v197 :: v_dual_add_f32 v151, v28, v216
	s_delay_alu instid0(VALU_DEP_1) | instskip(NEXT) | instid1(VALU_DEP_1)
	v_dual_add_f32 v14, v14, v199 :: v_dual_add_f32 v151, v151, v218
	v_add_f32_e32 v17, v14, v201
	scratch_load_b128 v[13:16], off, off offset:440
	v_add_f32_e32 v151, v151, v220
	v_add_f32_e32 v17, v17, v203
	s_delay_alu instid0(VALU_DEP_2) | instskip(NEXT) | instid1(VALU_DEP_2)
	v_add_f32_e32 v149, v151, v149
	v_add_f32_e32 v17, v17, v205
	s_delay_alu instid0(VALU_DEP_2) | instskip(SKIP_1) | instid1(VALU_DEP_2)
	v_add_f32_e32 v149, v149, v150
	s_wait_loadcnt_dscnt 0x200
	v_dual_add_f32 v17, v17, v207 :: v_dual_mul_f32 v156, v7, v4
	s_delay_alu instid0(VALU_DEP_1) | instskip(SKIP_2) | instid1(VALU_DEP_4)
	v_dual_add_f32 v17, v17, v209 :: v_dual_mul_f32 v4, v8, v4
	v_mul_f32_e32 v155, v5, v2
	v_mul_f32_e32 v2, v6, v2
	v_fmac_f32_e32 v156, v8, v3
	s_delay_alu instid0(VALU_DEP_4)
	v_add_f32_e32 v21, v17, v211
	ds_load_2addr_b64 v[17:20], v25 offset0:111 offset1:112
	v_fmac_f32_e32 v155, v6, v1
	v_fma_f32 v2, v5, v1, -v2
	v_fma_f32 v1, v7, v3, -v4
	v_add_f32_e32 v29, v21, v213
	ds_load_2addr_b64 v[21:24], v25 offset0:113 offset1:114
	v_add_f32_e32 v2, v149, v2
	v_add_f32_e32 v154, v29, v215
	ds_load_b64 v[28:29], v25 offset:920
	v_add_f32_e32 v1, v2, v1
	v_add_f32_e32 v154, v154, v217
	s_wait_loadcnt_dscnt 0x102
	s_delay_alu instid0(VALU_DEP_1) | instskip(SKIP_1) | instid1(VALU_DEP_2)
	v_dual_add_f32 v154, v154, v219 :: v_dual_mul_f32 v151, v17, v10
	v_mul_f32_e32 v3, v18, v10
	v_dual_mul_f32 v5, v20, v12 :: v_dual_add_f32 v30, v154, v30
	s_delay_alu instid0(VALU_DEP_3) | instskip(NEXT) | instid1(VALU_DEP_3)
	v_dual_mul_f32 v154, v19, v12 :: v_dual_fmac_f32 v151, v18, v9
	v_fma_f32 v3, v17, v9, -v3
	s_wait_loadcnt_dscnt 0x1
	s_delay_alu instid0(VALU_DEP_3) | instskip(NEXT) | instid1(VALU_DEP_3)
	v_dual_mul_f32 v157, v21, v14 :: v_dual_add_f32 v30, v30, v148
	v_fmac_f32_e32 v154, v20, v11
	v_fma_f32 v5, v19, v11, -v5
	v_dual_add_f32 v1, v1, v3 :: v_dual_mul_f32 v150, v23, v16
	s_delay_alu instid0(VALU_DEP_4) | instskip(SKIP_2) | instid1(VALU_DEP_3)
	v_dual_add_f32 v4, v30, v155 :: v_dual_mul_f32 v3, v24, v16
	v_fmac_f32_e32 v157, v22, v13
	s_wait_dscnt 0x0
	v_dual_add_f32 v1, v1, v5 :: v_dual_mul_f32 v148, v28, v27
	s_delay_alu instid0(VALU_DEP_3) | instskip(SKIP_3) | instid1(VALU_DEP_4)
	v_add_f32_e32 v2, v4, v156
	v_dual_mul_f32 v4, v22, v14 :: v_dual_mul_f32 v5, v29, v27
	v_fmac_f32_e32 v150, v24, v15
	v_fma_f32 v3, v23, v15, -v3
	v_add_f32_e32 v2, v2, v151
	s_delay_alu instid0(VALU_DEP_4) | instskip(SKIP_1) | instid1(VALU_DEP_2)
	v_fma_f32 v4, v21, v13, -v4
	v_fmac_f32_e32 v148, v29, v26
	v_dual_add_f32 v2, v2, v154 :: v_dual_add_f32 v1, v1, v4
	v_fma_f32 v4, v28, v26, -v5
	s_delay_alu instid0(VALU_DEP_2) | instskip(NEXT) | instid1(VALU_DEP_1)
	v_dual_add_f32 v2, v2, v157 :: v_dual_add_f32 v1, v1, v3
	v_dual_add_f32 v2, v2, v150 :: v_dual_add_f32 v1, v1, v4
	s_delay_alu instid0(VALU_DEP_1) | instskip(NEXT) | instid1(VALU_DEP_1)
	v_dual_add_f32 v2, v2, v148 :: v_dual_sub_f32 v1, v152, v1
	v_sub_f32_e32 v2, v153, v2
	scratch_store_b64 off, v[1:2], off offset:32
	v_cmpx_lt_u32_e32 3, v0
	s_cbranch_execz .LBB121_355
; %bb.354:
	scratch_load_b64 v[1:2], off, off offset:24
	v_mov_b32_e32 v26, v25
	scratch_store_b64 off, v[25:26], off offset:24
	s_wait_loadcnt 0x0
	ds_store_b64 v31, v[1:2]
.LBB121_355:
	s_wait_alu 0xfffe
	s_or_b32 exec_lo, exec_lo, s0
	s_wait_storecnt_dscnt 0x0
	s_barrier_signal -1
	s_barrier_wait -1
	global_inv scope:SCOPE_SE
	s_clause 0x4
	scratch_load_b128 v[5:8], off, off offset:32
	scratch_load_b128 v[1:4], off, off offset:48
	;; [unrolled: 1-line block ×5, first 2 shown]
	ds_load_b128 v[21:24], v25 offset:496
	ds_load_b128 v[26:29], v25 offset:512
	;; [unrolled: 1-line block ×3, first 2 shown]
	scratch_load_b64 v[152:153], off, off offset:24
	s_mov_b32 s0, exec_lo
	s_wait_loadcnt_dscnt 0x502
	v_mul_f32_e32 v30, v21, v6
	v_mul_f32_e32 v154, v23, v8
	;; [unrolled: 1-line block ×3, first 2 shown]
	s_wait_loadcnt_dscnt 0x300
	v_mul_f32_e32 v155, v148, v10
	v_mul_f32_e32 v6, v22, v6
	v_fmac_f32_e32 v30, v22, v5
	v_mul_f32_e32 v156, v150, v12
	v_fma_f32 v22, v23, v7, -v8
	v_dual_mul_f32 v23, v26, v2 :: v_dual_fmac_f32 v154, v24, v7
	v_fmac_f32_e32 v155, v149, v9
	v_fma_f32 v21, v21, v5, -v6
	ds_load_b128 v[5:8], v25 offset:544
	v_mul_f32_e32 v24, v28, v4
	v_mul_f32_e32 v4, v29, v4
	v_mul_f32_e32 v10, v149, v10
	v_mul_f32_e32 v12, v151, v12
	v_mul_f32_e32 v2, v27, v2
	v_dual_fmac_f32 v23, v27, v1 :: v_dual_fmac_f32 v24, v29, v3
	v_fma_f32 v27, v28, v3, -v4
	v_fmac_f32_e32 v156, v151, v11
	v_fma_f32 v28, v148, v9, -v10
	v_fma_f32 v29, v150, v11, -v12
	ds_load_b128 v[9:12], v25 offset:560
	s_wait_loadcnt_dscnt 0x201
	v_dual_mul_f32 v149, v7, v16 :: v_dual_mul_f32 v148, v5, v14
	v_mul_f32_e32 v14, v6, v14
	v_mul_f32_e32 v16, v8, v16
	s_delay_alu instid0(VALU_DEP_3)
	v_fmac_f32_e32 v149, v8, v15
	v_fma_f32 v26, v26, v1, -v2
	scratch_load_b128 v[1:4], off, off offset:112
	v_fmac_f32_e32 v148, v6, v13
	v_fma_f32 v13, v5, v13, -v14
	v_fma_f32 v14, v7, v15, -v16
	ds_load_b128 v[5:8], v25 offset:576
	s_wait_loadcnt_dscnt 0x201
	v_mul_f32_e32 v15, v9, v18
	v_mul_f32_e32 v16, v10, v18
	;; [unrolled: 1-line block ×3, first 2 shown]
	s_delay_alu instid0(VALU_DEP_3) | instskip(NEXT) | instid1(VALU_DEP_3)
	v_dual_mul_f32 v20, v12, v20 :: v_dual_fmac_f32 v15, v10, v17
	v_fma_f32 v16, v9, v17, -v16
	s_delay_alu instid0(VALU_DEP_3) | instskip(NEXT) | instid1(VALU_DEP_3)
	v_fmac_f32_e32 v18, v12, v19
	v_fma_f32 v17, v11, v19, -v20
	scratch_load_b128 v[9:12], off, off offset:128
	s_wait_loadcnt_dscnt 0x100
	v_mul_f32_e32 v19, v5, v2
	v_mul_f32_e32 v2, v6, v2
	;; [unrolled: 1-line block ×3, first 2 shown]
	s_delay_alu instid0(VALU_DEP_3) | instskip(NEXT) | instid1(VALU_DEP_3)
	v_dual_mul_f32 v4, v8, v4 :: v_dual_fmac_f32 v19, v6, v1
	v_fma_f32 v150, v5, v1, -v2
	s_delay_alu instid0(VALU_DEP_3) | instskip(NEXT) | instid1(VALU_DEP_3)
	v_fmac_f32_e32 v20, v8, v3
	v_fma_f32 v151, v7, v3, -v4
	ds_load_b128 v[1:4], v25 offset:592
	ds_load_b128 v[5:8], v25 offset:608
	s_wait_loadcnt_dscnt 0x1
	v_mul_f32_e32 v157, v1, v10
	v_mul_f32_e32 v10, v2, v10
	s_delay_alu instid0(VALU_DEP_2) | instskip(NEXT) | instid1(VALU_DEP_2)
	v_dual_mul_f32 v158, v3, v12 :: v_dual_fmac_f32 v157, v2, v9
	v_fma_f32 v159, v1, v9, -v10
	v_mul_f32_e32 v1, v4, v12
	s_delay_alu instid0(VALU_DEP_3) | instskip(NEXT) | instid1(VALU_DEP_2)
	v_fmac_f32_e32 v158, v4, v11
	v_fma_f32 v160, v3, v11, -v1
	s_clause 0x1
	scratch_load_b128 v[1:4], off, off offset:144
	scratch_load_b128 v[9:12], off, off offset:160
	s_wait_loadcnt_dscnt 0x100
	v_mul_f32_e32 v161, v5, v2
	v_dual_mul_f32 v2, v6, v2 :: v_dual_mul_f32 v163, v7, v4
	s_delay_alu instid0(VALU_DEP_2) | instskip(NEXT) | instid1(VALU_DEP_2)
	v_fmac_f32_e32 v161, v6, v1
	v_fma_f32 v162, v5, v1, -v2
	v_mul_f32_e32 v1, v8, v4
	s_delay_alu instid0(VALU_DEP_4) | instskip(NEXT) | instid1(VALU_DEP_2)
	v_fmac_f32_e32 v163, v8, v3
	v_fma_f32 v164, v7, v3, -v1
	ds_load_b128 v[1:4], v25 offset:624
	ds_load_b128 v[5:8], v25 offset:640
	s_wait_loadcnt_dscnt 0x1
	v_mul_f32_e32 v165, v1, v10
	v_mul_f32_e32 v167, v3, v12
	s_delay_alu instid0(VALU_DEP_2) | instskip(NEXT) | instid1(VALU_DEP_2)
	v_fmac_f32_e32 v165, v2, v9
	v_dual_mul_f32 v2, v2, v10 :: v_dual_fmac_f32 v167, v4, v11
	s_delay_alu instid0(VALU_DEP_1) | instskip(SKIP_1) | instid1(VALU_DEP_1)
	v_fma_f32 v166, v1, v9, -v2
	v_mul_f32_e32 v1, v4, v12
	v_fma_f32 v168, v3, v11, -v1
	s_clause 0x1
	scratch_load_b128 v[1:4], off, off offset:176
	scratch_load_b128 v[9:12], off, off offset:192
	s_wait_loadcnt_dscnt 0x100
	v_mul_f32_e32 v169, v5, v2
	v_dual_mul_f32 v2, v6, v2 :: v_dual_mul_f32 v171, v7, v4
	s_delay_alu instid0(VALU_DEP_2) | instskip(NEXT) | instid1(VALU_DEP_2)
	v_fmac_f32_e32 v169, v6, v1
	v_fma_f32 v170, v5, v1, -v2
	v_mul_f32_e32 v1, v8, v4
	s_delay_alu instid0(VALU_DEP_4) | instskip(NEXT) | instid1(VALU_DEP_2)
	v_fmac_f32_e32 v171, v8, v3
	v_fma_f32 v172, v7, v3, -v1
	ds_load_b128 v[1:4], v25 offset:656
	ds_load_b128 v[5:8], v25 offset:672
	s_wait_loadcnt_dscnt 0x1
	v_mul_f32_e32 v173, v1, v10
	v_mul_f32_e32 v175, v3, v12
	s_delay_alu instid0(VALU_DEP_2) | instskip(NEXT) | instid1(VALU_DEP_2)
	v_fmac_f32_e32 v173, v2, v9
	v_dual_mul_f32 v2, v2, v10 :: v_dual_fmac_f32 v175, v4, v11
	s_delay_alu instid0(VALU_DEP_1) | instskip(SKIP_1) | instid1(VALU_DEP_1)
	v_fma_f32 v174, v1, v9, -v2
	v_mul_f32_e32 v1, v4, v12
	;; [unrolled: 25-line block ×7, first 2 shown]
	v_fma_f32 v216, v3, v11, -v1
	s_clause 0x1
	scratch_load_b128 v[1:4], off, off offset:368
	scratch_load_b128 v[9:12], off, off offset:384
	s_wait_loadcnt_dscnt 0x100
	v_mul_f32_e32 v217, v5, v2
	v_dual_mul_f32 v2, v6, v2 :: v_dual_mul_f32 v219, v7, v4
	s_delay_alu instid0(VALU_DEP_2) | instskip(NEXT) | instid1(VALU_DEP_2)
	v_fmac_f32_e32 v217, v6, v1
	v_fma_f32 v218, v5, v1, -v2
	v_dual_add_f32 v2, 0, v30 :: v_dual_mul_f32 v1, v8, v4
	s_delay_alu instid0(VALU_DEP_1) | instskip(NEXT) | instid1(VALU_DEP_2)
	v_add_f32_e32 v2, v2, v154
	v_fma_f32 v220, v7, v3, -v1
	s_delay_alu instid0(VALU_DEP_2) | instskip(NEXT) | instid1(VALU_DEP_1)
	v_add_f32_e32 v2, v2, v23
	v_add_f32_e32 v2, v2, v24
	s_delay_alu instid0(VALU_DEP_1) | instskip(NEXT) | instid1(VALU_DEP_1)
	v_add_f32_e32 v2, v2, v155
	v_add_f32_e32 v2, v2, v156
	s_delay_alu instid0(VALU_DEP_1) | instskip(NEXT) | instid1(VALU_DEP_1)
	;; [unrolled: 3-line block ×7, first 2 shown]
	v_add_f32_e32 v2, v2, v165
	v_dual_add_f32 v1, 0, v21 :: v_dual_add_f32 v2, v2, v167
	s_delay_alu instid0(VALU_DEP_1) | instskip(NEXT) | instid1(VALU_DEP_1)
	v_dual_add_f32 v1, v1, v22 :: v_dual_add_f32 v2, v2, v169
	v_dual_add_f32 v1, v1, v26 :: v_dual_add_f32 v2, v2, v171
	s_delay_alu instid0(VALU_DEP_1) | instskip(NEXT) | instid1(VALU_DEP_1)
	v_dual_add_f32 v1, v1, v27 :: v_dual_add_f32 v2, v2, v173
	v_dual_add_f32 v1, v1, v28 :: v_dual_add_f32 v2, v2, v175
	s_delay_alu instid0(VALU_DEP_1) | instskip(NEXT) | instid1(VALU_DEP_2)
	v_add_f32_e32 v1, v1, v29
	v_add_f32_e32 v2, v2, v177
	s_delay_alu instid0(VALU_DEP_1) | instskip(NEXT) | instid1(VALU_DEP_1)
	v_dual_add_f32 v1, v1, v13 :: v_dual_add_f32 v2, v2, v179
	v_add_f32_e32 v1, v1, v14
	s_delay_alu instid0(VALU_DEP_1) | instskip(NEXT) | instid1(VALU_DEP_1)
	v_add_f32_e32 v1, v1, v16
	v_add_f32_e32 v1, v1, v17
	s_delay_alu instid0(VALU_DEP_1) | instskip(NEXT) | instid1(VALU_DEP_1)
	v_add_f32_e32 v1, v1, v150
	;; [unrolled: 3-line block ×11, first 2 shown]
	v_add_f32_e32 v1, v1, v192
	s_delay_alu instid0(VALU_DEP_1) | instskip(SKIP_1) | instid1(VALU_DEP_2)
	v_add_f32_e32 v6, v1, v194
	v_add_f32_e32 v2, v2, v181
	;; [unrolled: 1-line block ×3, first 2 shown]
	s_delay_alu instid0(VALU_DEP_2) | instskip(NEXT) | instid1(VALU_DEP_2)
	v_add_f32_e32 v2, v2, v183
	v_add_f32_e32 v14, v14, v198
	s_delay_alu instid0(VALU_DEP_2) | instskip(NEXT) | instid1(VALU_DEP_2)
	v_add_f32_e32 v2, v2, v185
	v_add_f32_e32 v17, v14, v200
	s_delay_alu instid0(VALU_DEP_1) | instskip(NEXT) | instid1(VALU_DEP_1)
	v_dual_add_f32 v2, v2, v187 :: v_dual_add_f32 v17, v17, v202
	v_dual_add_f32 v2, v2, v189 :: v_dual_add_f32 v17, v17, v204
	s_delay_alu instid0(VALU_DEP_1) | instskip(NEXT) | instid1(VALU_DEP_2)
	v_add_f32_e32 v5, v2, v191
	v_add_f32_e32 v17, v17, v206
	s_delay_alu instid0(VALU_DEP_2) | instskip(NEXT) | instid1(VALU_DEP_2)
	v_add_f32_e32 v13, v5, v193
	v_add_f32_e32 v22, v17, v208
	s_delay_alu instid0(VALU_DEP_1) | instskip(NEXT) | instid1(VALU_DEP_1)
	v_dual_add_f32 v13, v13, v195 :: v_dual_add_f32 v22, v22, v210
	v_dual_add_f32 v13, v13, v197 :: v_dual_add_f32 v22, v22, v212
	s_delay_alu instid0(VALU_DEP_1)
	v_add_f32_e32 v18, v13, v199
	v_fmac_f32_e32 v219, v8, v3
	scratch_load_b128 v[5:8], off, off offset:400
	ds_load_b128 v[1:4], v25 offset:848
	ds_load_b128 v[13:16], v25 offset:864
	s_wait_loadcnt_dscnt 0x101
	v_mul_f32_e32 v26, v1, v10
	v_dual_mul_f32 v10, v2, v10 :: v_dual_mul_f32 v27, v3, v12
	v_mul_f32_e32 v12, v4, v12
	s_delay_alu instid0(VALU_DEP_3) | instskip(NEXT) | instid1(VALU_DEP_3)
	v_fmac_f32_e32 v26, v2, v9
	v_fma_f32 v28, v1, v9, -v10
	s_delay_alu instid0(VALU_DEP_4) | instskip(NEXT) | instid1(VALU_DEP_4)
	v_fmac_f32_e32 v27, v4, v11
	v_fma_f32 v29, v3, v11, -v12
	s_clause 0x1
	scratch_load_b128 v[1:4], off, off offset:416
	scratch_load_b128 v[9:12], off, off offset:432
	s_wait_loadcnt_dscnt 0x200
	v_mul_f32_e32 v30, v13, v6
	v_add_f32_e32 v18, v18, v201
	v_mul_f32_e32 v148, v15, v8
	v_mul_f32_e32 v6, v14, v6
	;; [unrolled: 1-line block ×3, first 2 shown]
	v_fmac_f32_e32 v30, v14, v5
	v_add_f32_e32 v18, v18, v203
	v_fmac_f32_e32 v148, v16, v7
	v_fma_f32 v149, v13, v5, -v6
	v_fma_f32 v150, v15, v7, -v8
	ds_load_b128 v[5:8], v25 offset:880
	v_add_f32_e32 v21, v18, v205
	scratch_load_b128 v[17:20], off, off offset:448
	v_add_f32_e32 v21, v21, v207
	s_delay_alu instid0(VALU_DEP_1) | instskip(NEXT) | instid1(VALU_DEP_1)
	v_add_f32_e32 v21, v21, v209
	v_add_f32_e32 v13, v21, v211
	s_delay_alu instid0(VALU_DEP_1) | instskip(NEXT) | instid1(VALU_DEP_1)
	v_dual_add_f32 v21, v22, v214 :: v_dual_add_f32 v22, v13, v213
	v_add_f32_e32 v151, v21, v216
	ds_load_b128 v[13:16], v25 offset:896
	v_add_f32_e32 v154, v22, v215
	ds_load_b128 v[21:24], v25 offset:912
	v_add_f32_e32 v25, v151, v218
	s_wait_loadcnt_dscnt 0x202
	v_dual_add_f32 v151, v154, v217 :: v_dual_mul_f32 v154, v5, v2
	s_delay_alu instid0(VALU_DEP_2) | instskip(NEXT) | instid1(VALU_DEP_2)
	v_dual_add_f32 v25, v25, v220 :: v_dual_mul_f32 v2, v6, v2
	v_dual_add_f32 v151, v151, v219 :: v_dual_fmac_f32 v154, v6, v1
	s_delay_alu instid0(VALU_DEP_2) | instskip(SKIP_2) | instid1(VALU_DEP_4)
	v_add_f32_e32 v25, v25, v28
	v_mul_f32_e32 v28, v7, v4
	v_mul_f32_e32 v4, v8, v4
	v_add_f32_e32 v26, v151, v26
	v_fma_f32 v2, v5, v1, -v2
	v_add_f32_e32 v25, v25, v29
	s_wait_loadcnt_dscnt 0x101
	v_mul_f32_e32 v151, v13, v10
	v_mul_f32_e32 v6, v14, v10
	v_add_f32_e32 v26, v26, v27
	v_dual_fmac_f32 v28, v8, v3 :: v_dual_add_f32 v25, v25, v149
	v_fma_f32 v3, v7, v3, -v4
	s_delay_alu instid0(VALU_DEP_3) | instskip(NEXT) | instid1(VALU_DEP_3)
	v_dual_mul_f32 v155, v15, v12 :: v_dual_add_f32 v26, v26, v30
	v_dual_mul_f32 v4, v16, v12 :: v_dual_add_f32 v1, v25, v150
	v_fmac_f32_e32 v151, v14, v9
	s_delay_alu instid0(VALU_DEP_3) | instskip(NEXT) | instid1(VALU_DEP_4)
	v_fmac_f32_e32 v155, v16, v11
	v_add_f32_e32 v5, v26, v148
	s_delay_alu instid0(VALU_DEP_4) | instskip(SKIP_1) | instid1(VALU_DEP_3)
	v_fma_f32 v4, v15, v11, -v4
	v_add_f32_e32 v1, v1, v2
	v_add_f32_e32 v2, v5, v154
	v_fma_f32 v5, v13, v9, -v6
	s_delay_alu instid0(VALU_DEP_2) | instskip(NEXT) | instid1(VALU_DEP_1)
	v_dual_add_f32 v1, v1, v3 :: v_dual_add_f32 v2, v2, v28
	v_dual_add_f32 v1, v1, v5 :: v_dual_add_f32 v2, v2, v151
	s_delay_alu instid0(VALU_DEP_1)
	v_dual_add_f32 v1, v1, v4 :: v_dual_add_f32 v2, v2, v155
	s_wait_loadcnt_dscnt 0x0
	v_mul_f32_e32 v27, v21, v18
	v_mul_f32_e32 v3, v22, v18
	;; [unrolled: 1-line block ×4, first 2 shown]
	s_delay_alu instid0(VALU_DEP_4) | instskip(NEXT) | instid1(VALU_DEP_4)
	v_fmac_f32_e32 v27, v22, v17
	v_fma_f32 v3, v21, v17, -v3
	s_delay_alu instid0(VALU_DEP_4) | instskip(NEXT) | instid1(VALU_DEP_4)
	v_fmac_f32_e32 v29, v24, v19
	v_fma_f32 v4, v23, v19, -v5
	s_delay_alu instid0(VALU_DEP_4) | instskip(NEXT) | instid1(VALU_DEP_1)
	v_add_f32_e32 v2, v2, v27
	v_dual_add_f32 v1, v1, v3 :: v_dual_add_f32 v2, v2, v29
	s_delay_alu instid0(VALU_DEP_1) | instskip(NEXT) | instid1(VALU_DEP_1)
	v_add_f32_e32 v1, v1, v4
	v_dual_sub_f32 v2, v153, v2 :: v_dual_sub_f32 v1, v152, v1
	scratch_store_b64 off, v[1:2], off offset:24
	v_cmpx_lt_u32_e32 2, v0
	s_cbranch_execz .LBB121_357
; %bb.356:
	scratch_load_b64 v[1:2], off, off offset:16
	v_mov_b32_e32 v3, 0
	s_delay_alu instid0(VALU_DEP_1)
	v_mov_b32_e32 v4, v3
	scratch_store_b64 off, v[3:4], off offset:16
	s_wait_loadcnt 0x0
	ds_store_b64 v31, v[1:2]
.LBB121_357:
	s_wait_alu 0xfffe
	s_or_b32 exec_lo, exec_lo, s0
	s_wait_storecnt_dscnt 0x0
	s_barrier_signal -1
	s_barrier_wait -1
	global_inv scope:SCOPE_SE
	s_clause 0x4
	scratch_load_b128 v[5:8], off, off offset:24
	scratch_load_b128 v[1:4], off, off offset:40
	;; [unrolled: 1-line block ×5, first 2 shown]
	v_mov_b32_e32 v29, 0
	ds_load_2addr_b64 v[21:24], v29 offset0:61 offset1:62
	ds_load_2addr_b64 v[25:28], v29 offset0:63 offset1:64
	;; [unrolled: 1-line block ×3, first 2 shown]
	scratch_load_b64 v[152:153], off, off offset:16
	s_mov_b32 s0, exec_lo
	s_wait_loadcnt_dscnt 0x502
	v_mul_f32_e32 v30, v21, v6
	v_mul_f32_e32 v154, v23, v8
	;; [unrolled: 1-line block ×3, first 2 shown]
	s_wait_loadcnt_dscnt 0x300
	v_mul_f32_e32 v155, v148, v10
	v_mul_f32_e32 v6, v22, v6
	v_fmac_f32_e32 v30, v22, v5
	v_fma_f32 v22, v23, v7, -v8
	v_dual_mul_f32 v23, v25, v2 :: v_dual_fmac_f32 v154, v24, v7
	v_dual_mul_f32 v2, v26, v2 :: v_dual_fmac_f32 v155, v149, v9
	v_fma_f32 v21, v21, v5, -v6
	ds_load_2addr_b64 v[5:8], v29 offset0:67 offset1:68
	v_mul_f32_e32 v24, v27, v4
	v_dual_mul_f32 v4, v28, v4 :: v_dual_fmac_f32 v23, v26, v1
	v_fma_f32 v25, v25, v1, -v2
	s_delay_alu instid0(VALU_DEP_3) | instskip(NEXT) | instid1(VALU_DEP_3)
	v_fmac_f32_e32 v24, v28, v3
	v_fma_f32 v26, v27, v3, -v4
	scratch_load_b128 v[1:4], off, off offset:104
	v_mul_f32_e32 v156, v150, v12
	v_mul_f32_e32 v10, v149, v10
	;; [unrolled: 1-line block ×3, first 2 shown]
	s_delay_alu instid0(VALU_DEP_3) | instskip(NEXT) | instid1(VALU_DEP_3)
	v_fmac_f32_e32 v156, v151, v11
	v_fma_f32 v27, v148, v9, -v10
	s_delay_alu instid0(VALU_DEP_3)
	v_fma_f32 v28, v150, v11, -v12
	ds_load_2addr_b64 v[9:12], v29 offset0:69 offset1:70
	s_wait_loadcnt_dscnt 0x301
	v_dual_mul_f32 v148, v5, v14 :: v_dual_mul_f32 v149, v7, v16
	v_mul_f32_e32 v14, v6, v14
	v_mul_f32_e32 v16, v8, v16
	s_delay_alu instid0(VALU_DEP_3) | instskip(NEXT) | instid1(VALU_DEP_3)
	v_dual_fmac_f32 v148, v6, v13 :: v_dual_fmac_f32 v149, v8, v15
	v_fma_f32 v13, v5, v13, -v14
	s_delay_alu instid0(VALU_DEP_3)
	v_fma_f32 v14, v7, v15, -v16
	ds_load_2addr_b64 v[5:8], v29 offset0:71 offset1:72
	s_wait_loadcnt_dscnt 0x201
	v_mul_f32_e32 v15, v9, v18
	v_mul_f32_e32 v16, v10, v18
	;; [unrolled: 1-line block ×3, first 2 shown]
	s_delay_alu instid0(VALU_DEP_3) | instskip(NEXT) | instid1(VALU_DEP_3)
	v_dual_mul_f32 v20, v12, v20 :: v_dual_fmac_f32 v15, v10, v17
	v_fma_f32 v16, v9, v17, -v16
	s_delay_alu instid0(VALU_DEP_3) | instskip(NEXT) | instid1(VALU_DEP_3)
	v_fmac_f32_e32 v18, v12, v19
	v_fma_f32 v17, v11, v19, -v20
	scratch_load_b128 v[9:12], off, off offset:120
	s_wait_loadcnt_dscnt 0x100
	v_mul_f32_e32 v19, v5, v2
	v_mul_f32_e32 v2, v6, v2
	;; [unrolled: 1-line block ×3, first 2 shown]
	s_delay_alu instid0(VALU_DEP_3) | instskip(NEXT) | instid1(VALU_DEP_3)
	v_dual_mul_f32 v4, v8, v4 :: v_dual_fmac_f32 v19, v6, v1
	v_fma_f32 v150, v5, v1, -v2
	s_delay_alu instid0(VALU_DEP_3) | instskip(NEXT) | instid1(VALU_DEP_3)
	v_fmac_f32_e32 v20, v8, v3
	v_fma_f32 v151, v7, v3, -v4
	ds_load_2addr_b64 v[1:4], v29 offset0:73 offset1:74
	ds_load_2addr_b64 v[5:8], v29 offset0:75 offset1:76
	s_wait_loadcnt_dscnt 0x1
	v_mul_f32_e32 v157, v1, v10
	v_mul_f32_e32 v10, v2, v10
	s_delay_alu instid0(VALU_DEP_2) | instskip(NEXT) | instid1(VALU_DEP_2)
	v_dual_mul_f32 v158, v3, v12 :: v_dual_fmac_f32 v157, v2, v9
	v_fma_f32 v159, v1, v9, -v10
	v_mul_f32_e32 v1, v4, v12
	s_delay_alu instid0(VALU_DEP_3) | instskip(NEXT) | instid1(VALU_DEP_2)
	v_fmac_f32_e32 v158, v4, v11
	v_fma_f32 v160, v3, v11, -v1
	s_clause 0x1
	scratch_load_b128 v[1:4], off, off offset:136
	scratch_load_b128 v[9:12], off, off offset:152
	s_wait_loadcnt_dscnt 0x100
	v_mul_f32_e32 v161, v5, v2
	v_dual_mul_f32 v2, v6, v2 :: v_dual_mul_f32 v163, v7, v4
	s_delay_alu instid0(VALU_DEP_2) | instskip(NEXT) | instid1(VALU_DEP_2)
	v_fmac_f32_e32 v161, v6, v1
	v_fma_f32 v162, v5, v1, -v2
	v_mul_f32_e32 v1, v8, v4
	s_delay_alu instid0(VALU_DEP_4) | instskip(NEXT) | instid1(VALU_DEP_2)
	v_fmac_f32_e32 v163, v8, v3
	v_fma_f32 v164, v7, v3, -v1
	ds_load_2addr_b64 v[1:4], v29 offset0:77 offset1:78
	ds_load_2addr_b64 v[5:8], v29 offset0:79 offset1:80
	s_wait_loadcnt_dscnt 0x1
	v_mul_f32_e32 v165, v1, v10
	v_mul_f32_e32 v167, v3, v12
	s_delay_alu instid0(VALU_DEP_2) | instskip(NEXT) | instid1(VALU_DEP_2)
	v_fmac_f32_e32 v165, v2, v9
	v_dual_mul_f32 v2, v2, v10 :: v_dual_fmac_f32 v167, v4, v11
	s_delay_alu instid0(VALU_DEP_1) | instskip(SKIP_1) | instid1(VALU_DEP_1)
	v_fma_f32 v166, v1, v9, -v2
	v_mul_f32_e32 v1, v4, v12
	v_fma_f32 v168, v3, v11, -v1
	s_clause 0x1
	scratch_load_b128 v[1:4], off, off offset:168
	scratch_load_b128 v[9:12], off, off offset:184
	s_wait_loadcnt_dscnt 0x100
	v_mul_f32_e32 v169, v5, v2
	v_dual_mul_f32 v2, v6, v2 :: v_dual_mul_f32 v171, v7, v4
	s_delay_alu instid0(VALU_DEP_2) | instskip(NEXT) | instid1(VALU_DEP_2)
	v_fmac_f32_e32 v169, v6, v1
	v_fma_f32 v170, v5, v1, -v2
	v_mul_f32_e32 v1, v8, v4
	s_delay_alu instid0(VALU_DEP_4) | instskip(NEXT) | instid1(VALU_DEP_2)
	v_fmac_f32_e32 v171, v8, v3
	v_fma_f32 v172, v7, v3, -v1
	ds_load_2addr_b64 v[1:4], v29 offset0:81 offset1:82
	ds_load_2addr_b64 v[5:8], v29 offset0:83 offset1:84
	s_wait_loadcnt_dscnt 0x1
	v_mul_f32_e32 v173, v1, v10
	v_mul_f32_e32 v175, v3, v12
	s_delay_alu instid0(VALU_DEP_2) | instskip(NEXT) | instid1(VALU_DEP_2)
	v_fmac_f32_e32 v173, v2, v9
	v_dual_mul_f32 v2, v2, v10 :: v_dual_fmac_f32 v175, v4, v11
	s_delay_alu instid0(VALU_DEP_1) | instskip(SKIP_1) | instid1(VALU_DEP_1)
	v_fma_f32 v174, v1, v9, -v2
	v_mul_f32_e32 v1, v4, v12
	;; [unrolled: 25-line block ×7, first 2 shown]
	v_fma_f32 v216, v3, v11, -v1
	s_clause 0x1
	scratch_load_b128 v[1:4], off, off offset:360
	scratch_load_b128 v[9:12], off, off offset:376
	s_wait_loadcnt_dscnt 0x100
	v_mul_f32_e32 v217, v5, v2
	v_dual_mul_f32 v2, v6, v2 :: v_dual_mul_f32 v219, v7, v4
	s_delay_alu instid0(VALU_DEP_1) | instskip(NEXT) | instid1(VALU_DEP_2)
	v_fma_f32 v218, v5, v1, -v2
	v_dual_add_f32 v2, 0, v30 :: v_dual_fmac_f32 v219, v8, v3
	s_delay_alu instid0(VALU_DEP_4) | instskip(NEXT) | instid1(VALU_DEP_2)
	v_fmac_f32_e32 v217, v6, v1
	v_dual_mul_f32 v1, v8, v4 :: v_dual_add_f32 v2, v2, v154
	s_delay_alu instid0(VALU_DEP_1) | instskip(NEXT) | instid1(VALU_DEP_2)
	v_fma_f32 v220, v7, v3, -v1
	v_add_f32_e32 v2, v2, v23
	s_delay_alu instid0(VALU_DEP_1) | instskip(NEXT) | instid1(VALU_DEP_1)
	v_add_f32_e32 v2, v2, v24
	v_add_f32_e32 v2, v2, v155
	s_delay_alu instid0(VALU_DEP_1) | instskip(NEXT) | instid1(VALU_DEP_1)
	v_add_f32_e32 v2, v2, v156
	;; [unrolled: 3-line block ×7, first 2 shown]
	v_add_f32_e32 v2, v2, v165
	s_delay_alu instid0(VALU_DEP_1) | instskip(NEXT) | instid1(VALU_DEP_1)
	v_dual_add_f32 v1, 0, v21 :: v_dual_add_f32 v2, v2, v167
	v_dual_add_f32 v1, v1, v22 :: v_dual_add_f32 v2, v2, v169
	s_delay_alu instid0(VALU_DEP_1) | instskip(NEXT) | instid1(VALU_DEP_1)
	v_dual_add_f32 v1, v1, v25 :: v_dual_add_f32 v2, v2, v171
	v_add_f32_e32 v1, v1, v26
	scratch_load_b64 v[25:26], off, off offset:456
	v_dual_add_f32 v2, v2, v173 :: v_dual_add_f32 v1, v1, v27
	s_delay_alu instid0(VALU_DEP_1) | instskip(NEXT) | instid1(VALU_DEP_1)
	v_dual_add_f32 v2, v2, v175 :: v_dual_add_f32 v1, v1, v28
	v_add_f32_e32 v1, v1, v13
	s_delay_alu instid0(VALU_DEP_1) | instskip(NEXT) | instid1(VALU_DEP_1)
	v_add_f32_e32 v1, v1, v14
	v_add_f32_e32 v1, v1, v16
	s_delay_alu instid0(VALU_DEP_1) | instskip(NEXT) | instid1(VALU_DEP_1)
	v_add_f32_e32 v1, v1, v17
	;; [unrolled: 3-line block ×12, first 2 shown]
	v_add_f32_e32 v6, v1, v194
	v_add_f32_e32 v2, v2, v177
	s_delay_alu instid0(VALU_DEP_2) | instskip(NEXT) | instid1(VALU_DEP_2)
	v_add_f32_e32 v14, v6, v196
	v_add_f32_e32 v2, v2, v179
	s_delay_alu instid0(VALU_DEP_2) | instskip(NEXT) | instid1(VALU_DEP_2)
	v_add_f32_e32 v14, v14, v198
	v_add_f32_e32 v2, v2, v181
	s_delay_alu instid0(VALU_DEP_2) | instskip(NEXT) | instid1(VALU_DEP_1)
	v_add_f32_e32 v17, v14, v200
	v_dual_add_f32 v2, v2, v183 :: v_dual_add_f32 v17, v17, v202
	s_delay_alu instid0(VALU_DEP_1) | instskip(NEXT) | instid1(VALU_DEP_1)
	v_dual_add_f32 v2, v2, v185 :: v_dual_add_f32 v17, v17, v204
	v_dual_add_f32 v2, v2, v187 :: v_dual_add_f32 v17, v17, v206
	s_delay_alu instid0(VALU_DEP_1) | instskip(NEXT) | instid1(VALU_DEP_1)
	v_add_f32_e32 v2, v2, v189
	v_dual_add_f32 v22, v17, v208 :: v_dual_add_f32 v5, v2, v191
	scratch_load_b128 v[1:4], off, off offset:392
	v_dual_add_f32 v22, v22, v210 :: v_dual_add_f32 v13, v5, v193
	ds_load_2addr_b64 v[5:8], v29 offset0:105 offset1:106
	v_dual_add_f32 v22, v22, v212 :: v_dual_add_f32 v13, v13, v195
	s_delay_alu instid0(VALU_DEP_1) | instskip(NEXT) | instid1(VALU_DEP_1)
	v_dual_add_f32 v22, v22, v214 :: v_dual_add_f32 v13, v13, v197
	v_add_f32_e32 v18, v13, v199
	ds_load_2addr_b64 v[13:16], v29 offset0:107 offset1:108
	v_add_f32_e32 v18, v18, v201
	s_wait_loadcnt_dscnt 0x201
	v_mul_f32_e32 v30, v5, v10
	v_mul_f32_e32 v10, v6, v10
	;; [unrolled: 1-line block ×4, first 2 shown]
	v_add_f32_e32 v18, v18, v203
	v_fmac_f32_e32 v30, v6, v9
	v_fma_f32 v149, v5, v9, -v10
	v_fmac_f32_e32 v148, v8, v11
	v_fma_f32 v150, v7, v11, -v12
	s_clause 0x1
	scratch_load_b128 v[5:8], off, off offset:408
	scratch_load_b128 v[9:12], off, off offset:424
	s_wait_loadcnt_dscnt 0x200
	v_dual_mul_f32 v154, v15, v4 :: v_dual_add_f32 v21, v18, v205
	scratch_load_b128 v[17:20], off, off offset:440
	v_dual_mul_f32 v4, v16, v4 :: v_dual_mul_f32 v151, v13, v2
	v_dual_mul_f32 v2, v14, v2 :: v_dual_add_f32 v21, v21, v207
	v_fmac_f32_e32 v154, v16, v3
	s_delay_alu instid0(VALU_DEP_3) | instskip(NEXT) | instid1(VALU_DEP_4)
	v_fma_f32 v156, v15, v3, -v4
	v_fmac_f32_e32 v151, v14, v1
	s_delay_alu instid0(VALU_DEP_4) | instskip(SKIP_4) | instid1(VALU_DEP_2)
	v_fma_f32 v155, v13, v1, -v2
	v_dual_add_f32 v21, v21, v209 :: v_dual_add_f32 v14, v22, v216
	ds_load_2addr_b64 v[1:4], v29 offset0:109 offset1:110
	v_add_f32_e32 v21, v21, v211
	v_add_f32_e32 v27, v14, v218
	;; [unrolled: 1-line block ×3, first 2 shown]
	s_delay_alu instid0(VALU_DEP_2) | instskip(NEXT) | instid1(VALU_DEP_2)
	v_add_f32_e32 v157, v27, v220
	v_add_f32_e32 v21, v13, v215
	ds_load_2addr_b64 v[13:16], v29 offset0:111 offset1:112
	v_add_f32_e32 v149, v157, v149
	v_add_f32_e32 v28, v21, v217
	ds_load_2addr_b64 v[21:24], v29 offset0:113 offset1:114
	v_add_f32_e32 v149, v149, v150
	s_wait_loadcnt_dscnt 0x202
	v_mul_f32_e32 v157, v1, v6
	v_mul_f32_e32 v6, v2, v6
	v_add_f32_e32 v158, v28, v219
	ds_load_b64 v[27:28], v29 offset:920
	v_add_f32_e32 v149, v149, v155
	v_fmac_f32_e32 v157, v2, v5
	v_fma_f32 v1, v1, v5, -v6
	s_delay_alu instid0(VALU_DEP_3) | instskip(NEXT) | instid1(VALU_DEP_1)
	v_dual_add_f32 v30, v158, v30 :: v_dual_add_f32 v149, v149, v156
	v_add_f32_e32 v30, v30, v148
	v_mul_f32_e32 v148, v3, v8
	v_mul_f32_e32 v8, v4, v8
	s_wait_loadcnt_dscnt 0x102
	v_mul_f32_e32 v150, v13, v10
	v_dual_add_f32 v1, v149, v1 :: v_dual_add_f32 v30, v30, v151
	v_fmac_f32_e32 v148, v4, v7
	v_fma_f32 v2, v3, v7, -v8
	v_mul_f32_e32 v3, v14, v10
	s_delay_alu instid0(VALU_DEP_4) | instskip(SKIP_1) | instid1(VALU_DEP_3)
	v_dual_mul_f32 v151, v15, v12 :: v_dual_add_f32 v30, v30, v154
	v_dual_mul_f32 v5, v16, v12 :: v_dual_fmac_f32 v150, v14, v9
	v_fma_f32 v3, v13, v9, -v3
	s_delay_alu instid0(VALU_DEP_3) | instskip(NEXT) | instid1(VALU_DEP_4)
	v_dual_add_f32 v1, v1, v2 :: v_dual_add_f32 v4, v30, v157
	v_fmac_f32_e32 v151, v16, v11
	s_delay_alu instid0(VALU_DEP_4) | instskip(SKIP_1) | instid1(VALU_DEP_3)
	v_fma_f32 v5, v15, v11, -v5
	s_wait_dscnt 0x0
	v_dual_mul_f32 v154, v27, v26 :: v_dual_add_f32 v1, v1, v3
	v_add_f32_e32 v2, v4, v148
	s_delay_alu instid0(VALU_DEP_2) | instskip(NEXT) | instid1(VALU_DEP_2)
	v_fmac_f32_e32 v154, v28, v25
	v_dual_add_f32 v1, v1, v5 :: v_dual_add_f32 v2, v2, v150
	s_delay_alu instid0(VALU_DEP_1)
	v_dual_mul_f32 v5, v28, v26 :: v_dual_add_f32 v2, v2, v151
	s_wait_loadcnt 0x0
	v_mul_f32_e32 v155, v21, v18
	v_mul_f32_e32 v4, v22, v18
	;; [unrolled: 1-line block ×4, first 2 shown]
	s_delay_alu instid0(VALU_DEP_4) | instskip(NEXT) | instid1(VALU_DEP_4)
	v_fmac_f32_e32 v155, v22, v17
	v_fma_f32 v4, v21, v17, -v4
	s_delay_alu instid0(VALU_DEP_4) | instskip(NEXT) | instid1(VALU_DEP_4)
	v_fmac_f32_e32 v156, v24, v19
	v_fma_f32 v3, v23, v19, -v3
	s_delay_alu instid0(VALU_DEP_3) | instskip(SKIP_1) | instid1(VALU_DEP_2)
	v_dual_add_f32 v2, v2, v155 :: v_dual_add_f32 v1, v1, v4
	v_fma_f32 v4, v27, v25, -v5
	v_dual_add_f32 v2, v2, v156 :: v_dual_add_f32 v1, v1, v3
	s_delay_alu instid0(VALU_DEP_1) | instskip(NEXT) | instid1(VALU_DEP_1)
	v_dual_add_f32 v2, v2, v154 :: v_dual_add_f32 v1, v1, v4
	v_dual_sub_f32 v2, v153, v2 :: v_dual_sub_f32 v1, v152, v1
	scratch_store_b64 off, v[1:2], off offset:16
	v_cmpx_lt_u32_e32 1, v0
	s_cbranch_execz .LBB121_359
; %bb.358:
	scratch_load_b64 v[1:2], off, off offset:8
	v_mov_b32_e32 v30, v29
	scratch_store_b64 off, v[29:30], off offset:8
	s_wait_loadcnt 0x0
	ds_store_b64 v31, v[1:2]
.LBB121_359:
	s_wait_alu 0xfffe
	s_or_b32 exec_lo, exec_lo, s0
	s_wait_storecnt_dscnt 0x0
	s_barrier_signal -1
	s_barrier_wait -1
	global_inv scope:SCOPE_SE
	s_clause 0x4
	scratch_load_b128 v[5:8], off, off offset:16
	scratch_load_b128 v[1:4], off, off offset:32
	;; [unrolled: 1-line block ×5, first 2 shown]
	ds_load_b128 v[21:24], v29 offset:480
	ds_load_b128 v[25:28], v29 offset:496
	;; [unrolled: 1-line block ×3, first 2 shown]
	scratch_load_b64 v[152:153], off, off offset:8
	s_mov_b32 s0, exec_lo
	s_wait_loadcnt_dscnt 0x502
	v_mul_f32_e32 v30, v21, v6
	v_mul_f32_e32 v154, v23, v8
	;; [unrolled: 1-line block ×3, first 2 shown]
	s_wait_loadcnt_dscnt 0x300
	v_mul_f32_e32 v155, v148, v10
	v_mul_f32_e32 v6, v22, v6
	v_fmac_f32_e32 v30, v22, v5
	v_fma_f32 v22, v23, v7, -v8
	v_dual_mul_f32 v23, v25, v2 :: v_dual_fmac_f32 v154, v24, v7
	v_dual_mul_f32 v2, v26, v2 :: v_dual_fmac_f32 v155, v149, v9
	v_fma_f32 v21, v21, v5, -v6
	ds_load_b128 v[5:8], v29 offset:528
	v_mul_f32_e32 v24, v27, v4
	v_dual_mul_f32 v4, v28, v4 :: v_dual_fmac_f32 v23, v26, v1
	v_fma_f32 v25, v25, v1, -v2
	s_delay_alu instid0(VALU_DEP_3) | instskip(NEXT) | instid1(VALU_DEP_3)
	v_fmac_f32_e32 v24, v28, v3
	v_fma_f32 v26, v27, v3, -v4
	scratch_load_b128 v[1:4], off, off offset:96
	v_mul_f32_e32 v156, v150, v12
	v_mul_f32_e32 v10, v149, v10
	;; [unrolled: 1-line block ×3, first 2 shown]
	s_delay_alu instid0(VALU_DEP_3) | instskip(NEXT) | instid1(VALU_DEP_3)
	v_fmac_f32_e32 v156, v151, v11
	v_fma_f32 v27, v148, v9, -v10
	s_delay_alu instid0(VALU_DEP_3)
	v_fma_f32 v28, v150, v11, -v12
	ds_load_b128 v[9:12], v29 offset:544
	s_wait_loadcnt_dscnt 0x301
	v_dual_mul_f32 v148, v5, v14 :: v_dual_mul_f32 v149, v7, v16
	v_mul_f32_e32 v14, v6, v14
	v_mul_f32_e32 v16, v8, v16
	s_delay_alu instid0(VALU_DEP_3) | instskip(NEXT) | instid1(VALU_DEP_3)
	v_dual_fmac_f32 v148, v6, v13 :: v_dual_fmac_f32 v149, v8, v15
	v_fma_f32 v13, v5, v13, -v14
	s_delay_alu instid0(VALU_DEP_3)
	v_fma_f32 v14, v7, v15, -v16
	ds_load_b128 v[5:8], v29 offset:560
	s_wait_loadcnt_dscnt 0x201
	v_mul_f32_e32 v15, v9, v18
	v_mul_f32_e32 v16, v10, v18
	;; [unrolled: 1-line block ×3, first 2 shown]
	s_delay_alu instid0(VALU_DEP_3) | instskip(NEXT) | instid1(VALU_DEP_3)
	v_dual_mul_f32 v20, v12, v20 :: v_dual_fmac_f32 v15, v10, v17
	v_fma_f32 v16, v9, v17, -v16
	s_delay_alu instid0(VALU_DEP_3) | instskip(NEXT) | instid1(VALU_DEP_3)
	v_fmac_f32_e32 v18, v12, v19
	v_fma_f32 v17, v11, v19, -v20
	scratch_load_b128 v[9:12], off, off offset:112
	s_wait_loadcnt_dscnt 0x100
	v_mul_f32_e32 v19, v5, v2
	v_mul_f32_e32 v2, v6, v2
	;; [unrolled: 1-line block ×3, first 2 shown]
	s_delay_alu instid0(VALU_DEP_3) | instskip(NEXT) | instid1(VALU_DEP_3)
	v_dual_mul_f32 v4, v8, v4 :: v_dual_fmac_f32 v19, v6, v1
	v_fma_f32 v150, v5, v1, -v2
	s_delay_alu instid0(VALU_DEP_3) | instskip(NEXT) | instid1(VALU_DEP_3)
	v_fmac_f32_e32 v20, v8, v3
	v_fma_f32 v151, v7, v3, -v4
	ds_load_b128 v[1:4], v29 offset:576
	ds_load_b128 v[5:8], v29 offset:592
	s_wait_loadcnt_dscnt 0x1
	v_mul_f32_e32 v157, v1, v10
	v_mul_f32_e32 v10, v2, v10
	s_delay_alu instid0(VALU_DEP_2) | instskip(NEXT) | instid1(VALU_DEP_2)
	v_dual_mul_f32 v158, v3, v12 :: v_dual_fmac_f32 v157, v2, v9
	v_fma_f32 v159, v1, v9, -v10
	v_mul_f32_e32 v1, v4, v12
	s_delay_alu instid0(VALU_DEP_3) | instskip(NEXT) | instid1(VALU_DEP_2)
	v_fmac_f32_e32 v158, v4, v11
	v_fma_f32 v160, v3, v11, -v1
	s_clause 0x1
	scratch_load_b128 v[1:4], off, off offset:128
	scratch_load_b128 v[9:12], off, off offset:144
	s_wait_loadcnt_dscnt 0x100
	v_mul_f32_e32 v161, v5, v2
	v_dual_mul_f32 v2, v6, v2 :: v_dual_mul_f32 v163, v7, v4
	s_delay_alu instid0(VALU_DEP_2) | instskip(NEXT) | instid1(VALU_DEP_2)
	v_fmac_f32_e32 v161, v6, v1
	v_fma_f32 v162, v5, v1, -v2
	v_mul_f32_e32 v1, v8, v4
	s_delay_alu instid0(VALU_DEP_4) | instskip(NEXT) | instid1(VALU_DEP_2)
	v_fmac_f32_e32 v163, v8, v3
	v_fma_f32 v164, v7, v3, -v1
	ds_load_b128 v[1:4], v29 offset:608
	ds_load_b128 v[5:8], v29 offset:624
	s_wait_loadcnt_dscnt 0x1
	v_mul_f32_e32 v165, v1, v10
	v_mul_f32_e32 v167, v3, v12
	s_delay_alu instid0(VALU_DEP_2) | instskip(NEXT) | instid1(VALU_DEP_2)
	v_fmac_f32_e32 v165, v2, v9
	v_dual_mul_f32 v2, v2, v10 :: v_dual_fmac_f32 v167, v4, v11
	s_delay_alu instid0(VALU_DEP_1) | instskip(SKIP_1) | instid1(VALU_DEP_1)
	v_fma_f32 v166, v1, v9, -v2
	v_mul_f32_e32 v1, v4, v12
	v_fma_f32 v168, v3, v11, -v1
	s_clause 0x1
	scratch_load_b128 v[1:4], off, off offset:160
	scratch_load_b128 v[9:12], off, off offset:176
	s_wait_loadcnt_dscnt 0x100
	v_mul_f32_e32 v169, v5, v2
	v_dual_mul_f32 v2, v6, v2 :: v_dual_mul_f32 v171, v7, v4
	s_delay_alu instid0(VALU_DEP_2) | instskip(NEXT) | instid1(VALU_DEP_2)
	v_fmac_f32_e32 v169, v6, v1
	v_fma_f32 v170, v5, v1, -v2
	v_mul_f32_e32 v1, v8, v4
	s_delay_alu instid0(VALU_DEP_4) | instskip(NEXT) | instid1(VALU_DEP_2)
	v_fmac_f32_e32 v171, v8, v3
	v_fma_f32 v172, v7, v3, -v1
	ds_load_b128 v[1:4], v29 offset:640
	ds_load_b128 v[5:8], v29 offset:656
	s_wait_loadcnt_dscnt 0x1
	v_mul_f32_e32 v173, v1, v10
	v_mul_f32_e32 v175, v3, v12
	s_delay_alu instid0(VALU_DEP_2) | instskip(NEXT) | instid1(VALU_DEP_2)
	v_fmac_f32_e32 v173, v2, v9
	v_dual_mul_f32 v2, v2, v10 :: v_dual_fmac_f32 v175, v4, v11
	s_delay_alu instid0(VALU_DEP_1) | instskip(SKIP_1) | instid1(VALU_DEP_1)
	v_fma_f32 v174, v1, v9, -v2
	v_mul_f32_e32 v1, v4, v12
	;; [unrolled: 25-line block ×8, first 2 shown]
	v_fma_f32 v224, v3, v11, -v1
	s_clause 0x1
	scratch_load_b128 v[1:4], off, off offset:384
	scratch_load_b128 v[9:12], off, off offset:400
	s_wait_loadcnt_dscnt 0x100
	v_mul_f32_e32 v225, v5, v2
	v_mul_f32_e32 v2, v6, v2
	s_delay_alu instid0(VALU_DEP_2) | instskip(NEXT) | instid1(VALU_DEP_2)
	v_fmac_f32_e32 v225, v6, v1
	v_fma_f32 v226, v5, v1, -v2
	v_dual_mul_f32 v1, v8, v4 :: v_dual_add_f32 v2, 0, v30
	s_delay_alu instid0(VALU_DEP_1) | instskip(NEXT) | instid1(VALU_DEP_2)
	v_fma_f32 v228, v7, v3, -v1
	v_dual_add_f32 v1, 0, v21 :: v_dual_add_f32 v2, v2, v154
	s_delay_alu instid0(VALU_DEP_1) | instskip(NEXT) | instid1(VALU_DEP_1)
	v_dual_add_f32 v1, v1, v22 :: v_dual_add_f32 v2, v2, v23
	v_dual_add_f32 v1, v1, v25 :: v_dual_add_f32 v2, v2, v24
	s_delay_alu instid0(VALU_DEP_1) | instskip(NEXT) | instid1(VALU_DEP_1)
	v_dual_add_f32 v1, v1, v26 :: v_dual_add_f32 v2, v2, v155
	v_dual_add_f32 v1, v1, v27 :: v_dual_add_f32 v2, v2, v156
	s_delay_alu instid0(VALU_DEP_1) | instskip(NEXT) | instid1(VALU_DEP_1)
	v_add_f32_e32 v1, v1, v28
	v_dual_add_f32 v2, v2, v148 :: v_dual_add_f32 v1, v1, v13
	s_delay_alu instid0(VALU_DEP_1) | instskip(NEXT) | instid1(VALU_DEP_1)
	v_dual_add_f32 v2, v2, v149 :: v_dual_add_f32 v1, v1, v14
	v_dual_add_f32 v2, v2, v15 :: v_dual_add_f32 v1, v1, v16
	s_delay_alu instid0(VALU_DEP_1) | instskip(NEXT) | instid1(VALU_DEP_1)
	v_dual_add_f32 v2, v2, v18 :: v_dual_add_f32 v1, v1, v17
	;; [unrolled: 3-line block ×9, first 2 shown]
	v_add_f32_e32 v1, v1, v182
	s_delay_alu instid0(VALU_DEP_1) | instskip(NEXT) | instid1(VALU_DEP_1)
	v_add_f32_e32 v1, v1, v184
	v_add_f32_e32 v1, v1, v186
	s_delay_alu instid0(VALU_DEP_1) | instskip(NEXT) | instid1(VALU_DEP_1)
	v_add_f32_e32 v1, v1, v188
	;; [unrolled: 3-line block ×4, first 2 shown]
	v_add_f32_e32 v1, v1, v198
	s_delay_alu instid0(VALU_DEP_1) | instskip(SKIP_1) | instid1(VALU_DEP_2)
	v_add_f32_e32 v6, v1, v200
	v_add_f32_e32 v2, v2, v181
	;; [unrolled: 1-line block ×3, first 2 shown]
	s_delay_alu instid0(VALU_DEP_2) | instskip(NEXT) | instid1(VALU_DEP_2)
	v_add_f32_e32 v2, v2, v183
	v_add_f32_e32 v13, v6, v204
	s_delay_alu instid0(VALU_DEP_1) | instskip(NEXT) | instid1(VALU_DEP_1)
	v_dual_add_f32 v2, v2, v185 :: v_dual_add_f32 v13, v13, v206
	v_dual_add_f32 v2, v2, v187 :: v_dual_add_f32 v13, v13, v208
	s_delay_alu instid0(VALU_DEP_1) | instskip(NEXT) | instid1(VALU_DEP_1)
	v_dual_add_f32 v2, v2, v189 :: v_dual_add_f32 v13, v13, v210
	v_add_f32_e32 v2, v2, v191
	s_delay_alu instid0(VALU_DEP_2) | instskip(NEXT) | instid1(VALU_DEP_2)
	v_add_f32_e32 v18, v13, v212
	v_dual_add_f32 v2, v2, v193 :: v_dual_mul_f32 v227, v7, v4
	s_delay_alu instid0(VALU_DEP_2) | instskip(NEXT) | instid1(VALU_DEP_2)
	v_add_f32_e32 v18, v18, v214
	v_add_f32_e32 v2, v2, v195
	s_delay_alu instid0(VALU_DEP_2) | instskip(NEXT) | instid1(VALU_DEP_2)
	v_add_f32_e32 v18, v18, v216
	v_add_f32_e32 v5, v2, v197
	;; [unrolled: 3-line block ×4, first 2 shown]
	s_delay_alu instid0(VALU_DEP_1) | instskip(NEXT) | instid1(VALU_DEP_1)
	v_add_f32_e32 v14, v5, v203
	v_add_f32_e32 v14, v14, v205
	s_delay_alu instid0(VALU_DEP_1) | instskip(NEXT) | instid1(VALU_DEP_1)
	v_add_f32_e32 v14, v14, v207
	v_add_f32_e32 v17, v14, v209
	scratch_load_b128 v[13:16], off, off offset:448
	v_add_f32_e32 v17, v17, v211
	s_delay_alu instid0(VALU_DEP_1) | instskip(NEXT) | instid1(VALU_DEP_1)
	v_add_f32_e32 v17, v17, v213
	v_add_f32_e32 v17, v17, v215
	v_fmac_f32_e32 v227, v8, v3
	ds_load_b128 v[1:4], v29 offset:864
	ds_load_b128 v[5:8], v29 offset:880
	v_add_f32_e32 v22, v17, v217
	ds_load_b128 v[17:20], v29 offset:896
	v_add_f32_e32 v148, v22, v219
	;; [unrolled: 2-line block ×3, first 2 shown]
	s_delay_alu instid0(VALU_DEP_1) | instskip(SKIP_3) | instid1(VALU_DEP_3)
	v_add_f32_e32 v29, v29, v224
	s_wait_loadcnt_dscnt 0x103
	v_dual_mul_f32 v25, v1, v10 :: v_dual_mul_f32 v26, v3, v12
	v_mul_f32_e32 v10, v2, v10
	v_dual_mul_f32 v12, v4, v12 :: v_dual_add_f32 v29, v29, v226
	s_delay_alu instid0(VALU_DEP_3) | instskip(NEXT) | instid1(VALU_DEP_3)
	v_dual_fmac_f32 v25, v2, v9 :: v_dual_fmac_f32 v26, v4, v11
	v_fma_f32 v27, v1, v9, -v10
	s_delay_alu instid0(VALU_DEP_3) | instskip(SKIP_4) | instid1(VALU_DEP_1)
	v_fma_f32 v28, v3, v11, -v12
	s_clause 0x1
	scratch_load_b128 v[1:4], off, off offset:416
	scratch_load_b128 v[9:12], off, off offset:432
	v_add_f32_e32 v29, v29, v228
	v_add_f32_e32 v27, v29, v27
	s_wait_loadcnt_dscnt 0x200
	v_dual_mul_f32 v154, v21, v14 :: v_dual_mul_f32 v29, v23, v16
	s_delay_alu instid0(VALU_DEP_1)
	v_dual_fmac_f32 v154, v22, v13 :: v_dual_fmac_f32 v29, v24, v15
	s_wait_loadcnt 0x1
	v_mul_f32_e32 v149, v7, v4
	v_mul_f32_e32 v4, v8, v4
	v_add_f32_e32 v30, v148, v221
	v_mul_f32_e32 v148, v5, v2
	v_mul_f32_e32 v2, v6, v2
	s_wait_loadcnt 0x0
	v_dual_mul_f32 v150, v17, v10 :: v_dual_fmac_f32 v149, v8, v3
	v_add_f32_e32 v30, v30, v223
	v_fmac_f32_e32 v148, v6, v1
	v_fma_f32 v2, v5, v1, -v2
	v_dual_add_f32 v1, v27, v28 :: v_dual_mul_f32 v6, v18, v10
	s_delay_alu instid0(VALU_DEP_4) | instskip(SKIP_2) | instid1(VALU_DEP_4)
	v_add_f32_e32 v30, v30, v225
	v_fma_f32 v3, v7, v3, -v4
	v_mul_f32_e32 v151, v19, v12
	v_dual_add_f32 v1, v1, v2 :: v_dual_mul_f32 v4, v20, v12
	s_delay_alu instid0(VALU_DEP_4) | instskip(NEXT) | instid1(VALU_DEP_3)
	v_add_f32_e32 v30, v30, v227
	v_dual_fmac_f32 v150, v18, v9 :: v_dual_fmac_f32 v151, v20, v11
	s_delay_alu instid0(VALU_DEP_3) | instskip(SKIP_1) | instid1(VALU_DEP_4)
	v_add_f32_e32 v1, v1, v3
	v_mul_f32_e32 v3, v22, v14
	v_add_f32_e32 v25, v30, v25
	v_fma_f32 v4, v19, v11, -v4
	s_delay_alu instid0(VALU_DEP_3) | instskip(NEXT) | instid1(VALU_DEP_3)
	v_fma_f32 v3, v21, v13, -v3
	v_add_f32_e32 v5, v25, v26
	s_delay_alu instid0(VALU_DEP_1) | instskip(SKIP_1) | instid1(VALU_DEP_2)
	v_add_f32_e32 v2, v5, v148
	v_fma_f32 v5, v17, v9, -v6
	v_add_f32_e32 v2, v2, v149
	s_delay_alu instid0(VALU_DEP_2) | instskip(NEXT) | instid1(VALU_DEP_2)
	v_add_f32_e32 v1, v1, v5
	v_dual_mul_f32 v5, v24, v16 :: v_dual_add_f32 v2, v2, v150
	s_delay_alu instid0(VALU_DEP_2) | instskip(NEXT) | instid1(VALU_DEP_2)
	v_add_f32_e32 v1, v1, v4
	v_fma_f32 v4, v23, v15, -v5
	s_delay_alu instid0(VALU_DEP_3) | instskip(NEXT) | instid1(VALU_DEP_1)
	v_add_f32_e32 v2, v2, v151
	v_dual_add_f32 v1, v1, v3 :: v_dual_add_f32 v2, v2, v154
	s_delay_alu instid0(VALU_DEP_1) | instskip(NEXT) | instid1(VALU_DEP_1)
	v_dual_add_f32 v1, v1, v4 :: v_dual_add_f32 v2, v2, v29
	v_dual_sub_f32 v1, v152, v1 :: v_dual_sub_f32 v2, v153, v2
	scratch_store_b64 off, v[1:2], off offset:8
	v_cmpx_ne_u32_e32 0, v0
	s_cbranch_execz .LBB121_361
; %bb.360:
	scratch_load_b64 v[0:1], off, off
	v_mov_b32_e32 v2, 0
	s_delay_alu instid0(VALU_DEP_1)
	v_mov_b32_e32 v3, v2
	scratch_store_b64 off, v[2:3], off
	s_wait_loadcnt 0x0
	ds_store_b64 v31, v[0:1]
.LBB121_361:
	s_wait_alu 0xfffe
	s_or_b32 exec_lo, exec_lo, s0
	s_wait_storecnt_dscnt 0x0
	s_barrier_signal -1
	s_barrier_wait -1
	global_inv scope:SCOPE_SE
	s_clause 0x6
	scratch_load_b128 v[0:3], off, off offset:8
	scratch_load_b128 v[4:7], off, off offset:24
	;; [unrolled: 1-line block ×7, first 2 shown]
	v_mov_b32_e32 v148, 0
	scratch_load_b64 v[153:154], off, off
	s_and_b32 vcc_lo, exec_lo, s12
	ds_load_2addr_b64 v[28:31], v148 offset0:59 offset1:60
	ds_load_2addr_b64 v[149:152], v148 offset0:61 offset1:62
	s_wait_loadcnt_dscnt 0x701
	v_dual_mul_f32 v155, v28, v1 :: v_dual_mul_f32 v156, v30, v3
	v_mul_f32_e32 v1, v29, v1
	v_mul_f32_e32 v3, v31, v3
	s_delay_alu instid0(VALU_DEP_3) | instskip(NEXT) | instid1(VALU_DEP_3)
	v_dual_fmac_f32 v155, v29, v0 :: v_dual_fmac_f32 v156, v31, v2
	v_fma_f32 v28, v28, v0, -v1
	s_delay_alu instid0(VALU_DEP_3) | instskip(SKIP_4) | instid1(VALU_DEP_2)
	v_fma_f32 v29, v30, v2, -v3
	ds_load_2addr_b64 v[0:3], v148 offset0:63 offset1:64
	s_wait_loadcnt_dscnt 0x601
	v_dual_mul_f32 v30, v149, v5 :: v_dual_mul_f32 v31, v151, v7
	v_mul_f32_e32 v5, v150, v5
	v_dual_mul_f32 v7, v152, v7 :: v_dual_fmac_f32 v30, v150, v4
	s_delay_alu instid0(VALU_DEP_3) | instskip(NEXT) | instid1(VALU_DEP_3)
	v_fmac_f32_e32 v31, v152, v6
	v_fma_f32 v149, v149, v4, -v5
	s_delay_alu instid0(VALU_DEP_3) | instskip(SKIP_4) | instid1(VALU_DEP_2)
	v_fma_f32 v150, v151, v6, -v7
	ds_load_2addr_b64 v[4:7], v148 offset0:65 offset1:66
	s_wait_loadcnt_dscnt 0x501
	v_dual_mul_f32 v151, v0, v9 :: v_dual_mul_f32 v152, v2, v11
	v_mul_f32_e32 v11, v3, v11
	v_fmac_f32_e32 v152, v3, v10
	s_delay_alu instid0(VALU_DEP_2) | instskip(SKIP_2) | instid1(VALU_DEP_1)
	v_fma_f32 v158, v2, v10, -v11
	s_wait_loadcnt_dscnt 0x400
	v_dual_mul_f32 v160, v6, v15 :: v_dual_mul_f32 v9, v1, v9
	v_dual_fmac_f32 v151, v1, v8 :: v_dual_fmac_f32 v160, v7, v14
	s_delay_alu instid0(VALU_DEP_2) | instskip(SKIP_3) | instid1(VALU_DEP_2)
	v_fma_f32 v157, v0, v8, -v9
	ds_load_2addr_b64 v[0:3], v148 offset0:67 offset1:68
	v_mul_f32_e32 v159, v4, v13
	v_dual_mul_f32 v8, v5, v13 :: v_dual_mul_f32 v9, v7, v15
	v_fmac_f32_e32 v159, v5, v12
	s_delay_alu instid0(VALU_DEP_2) | instskip(NEXT) | instid1(VALU_DEP_3)
	v_fma_f32 v12, v4, v12, -v8
	v_fma_f32 v13, v6, v14, -v9
	ds_load_2addr_b64 v[4:7], v148 offset0:69 offset1:70
	s_wait_loadcnt_dscnt 0x301
	v_mul_f32_e32 v8, v1, v17
	v_dual_mul_f32 v14, v0, v17 :: v_dual_mul_f32 v15, v2, v19
	v_mul_f32_e32 v9, v3, v19
	s_delay_alu instid0(VALU_DEP_3) | instskip(NEXT) | instid1(VALU_DEP_3)
	v_fma_f32 v17, v0, v16, -v8
	v_fmac_f32_e32 v14, v1, v16
	s_delay_alu instid0(VALU_DEP_3) | instskip(SKIP_4) | instid1(VALU_DEP_1)
	v_fma_f32 v16, v2, v18, -v9
	s_wait_loadcnt_dscnt 0x200
	v_dual_mul_f32 v8, v5, v21 :: v_dual_fmac_f32 v15, v3, v18
	ds_load_2addr_b64 v[0:3], v148 offset0:71 offset1:72
	v_dual_mul_f32 v18, v4, v21 :: v_dual_mul_f32 v19, v6, v23
	v_dual_mul_f32 v9, v7, v23 :: v_dual_fmac_f32 v18, v5, v20
	v_fma_f32 v20, v4, v20, -v8
	s_delay_alu instid0(VALU_DEP_3) | instskip(NEXT) | instid1(VALU_DEP_3)
	v_fmac_f32_e32 v19, v7, v22
	v_fma_f32 v21, v6, v22, -v9
	ds_load_2addr_b64 v[4:7], v148 offset0:73 offset1:74
	s_wait_loadcnt_dscnt 0x101
	v_mul_f32_e32 v22, v0, v25
	v_dual_mul_f32 v8, v1, v25 :: v_dual_mul_f32 v23, v2, v27
	s_delay_alu instid0(VALU_DEP_2) | instskip(NEXT) | instid1(VALU_DEP_2)
	v_dual_mul_f32 v9, v3, v27 :: v_dual_fmac_f32 v22, v1, v24
	v_fma_f32 v24, v0, v24, -v8
	s_delay_alu instid0(VALU_DEP_3) | instskip(NEXT) | instid1(VALU_DEP_3)
	v_fmac_f32_e32 v23, v3, v26
	v_fma_f32 v25, v2, v26, -v9
	s_clause 0x1
	scratch_load_b128 v[0:3], off, off offset:120
	scratch_load_b128 v[8:11], off, off offset:136
	s_wait_loadcnt_dscnt 0x100
	v_mul_f32_e32 v26, v4, v1
	v_mul_f32_e32 v1, v5, v1
	s_delay_alu instid0(VALU_DEP_2) | instskip(NEXT) | instid1(VALU_DEP_2)
	v_dual_mul_f32 v161, v6, v3 :: v_dual_fmac_f32 v26, v5, v0
	v_fma_f32 v27, v4, v0, -v1
	v_mul_f32_e32 v0, v7, v3
	s_delay_alu instid0(VALU_DEP_3) | instskip(NEXT) | instid1(VALU_DEP_2)
	v_fmac_f32_e32 v161, v7, v2
	v_fma_f32 v162, v6, v2, -v0
	ds_load_2addr_b64 v[0:3], v148 offset0:75 offset1:76
	ds_load_2addr_b64 v[4:7], v148 offset0:77 offset1:78
	s_wait_loadcnt_dscnt 0x1
	v_mul_f32_e32 v163, v0, v9
	v_mul_f32_e32 v165, v2, v11
	s_delay_alu instid0(VALU_DEP_2) | instskip(SKIP_1) | instid1(VALU_DEP_3)
	v_fmac_f32_e32 v163, v1, v8
	v_mul_f32_e32 v1, v1, v9
	v_fmac_f32_e32 v165, v3, v10
	s_delay_alu instid0(VALU_DEP_2) | instskip(SKIP_1) | instid1(VALU_DEP_1)
	v_fma_f32 v164, v0, v8, -v1
	v_mul_f32_e32 v0, v3, v11
	v_fma_f32 v166, v2, v10, -v0
	s_clause 0x1
	scratch_load_b128 v[0:3], off, off offset:152
	scratch_load_b128 v[8:11], off, off offset:168
	s_wait_loadcnt_dscnt 0x100
	v_mul_f32_e32 v167, v4, v1
	v_mul_f32_e32 v1, v5, v1
	v_mul_f32_e32 v169, v6, v3
	s_delay_alu instid0(VALU_DEP_3) | instskip(NEXT) | instid1(VALU_DEP_3)
	v_fmac_f32_e32 v167, v5, v0
	v_fma_f32 v168, v4, v0, -v1
	v_mul_f32_e32 v0, v7, v3
	s_delay_alu instid0(VALU_DEP_4) | instskip(NEXT) | instid1(VALU_DEP_2)
	v_fmac_f32_e32 v169, v7, v2
	v_fma_f32 v170, v6, v2, -v0
	ds_load_2addr_b64 v[0:3], v148 offset0:79 offset1:80
	ds_load_2addr_b64 v[4:7], v148 offset0:81 offset1:82
	s_wait_loadcnt_dscnt 0x1
	v_mul_f32_e32 v171, v0, v9
	v_mul_f32_e32 v173, v2, v11
	s_delay_alu instid0(VALU_DEP_2) | instskip(SKIP_1) | instid1(VALU_DEP_3)
	v_fmac_f32_e32 v171, v1, v8
	v_mul_f32_e32 v1, v1, v9
	v_fmac_f32_e32 v173, v3, v10
	s_delay_alu instid0(VALU_DEP_2) | instskip(SKIP_1) | instid1(VALU_DEP_1)
	v_fma_f32 v172, v0, v8, -v1
	v_mul_f32_e32 v0, v3, v11
	v_fma_f32 v174, v2, v10, -v0
	s_clause 0x1
	scratch_load_b128 v[0:3], off, off offset:184
	scratch_load_b128 v[8:11], off, off offset:200
	s_wait_loadcnt_dscnt 0x100
	v_mul_f32_e32 v175, v4, v1
	v_mul_f32_e32 v1, v5, v1
	v_mul_f32_e32 v177, v6, v3
	s_delay_alu instid0(VALU_DEP_3) | instskip(NEXT) | instid1(VALU_DEP_3)
	v_fmac_f32_e32 v175, v5, v0
	v_fma_f32 v176, v4, v0, -v1
	v_mul_f32_e32 v0, v7, v3
	s_delay_alu instid0(VALU_DEP_4) | instskip(NEXT) | instid1(VALU_DEP_2)
	;; [unrolled: 27-line block ×7, first 2 shown]
	v_fmac_f32_e32 v217, v7, v2
	v_fma_f32 v218, v6, v2, -v0
	ds_load_2addr_b64 v[0:3], v148 offset0:103 offset1:104
	ds_load_2addr_b64 v[4:7], v148 offset0:105 offset1:106
	s_wait_loadcnt_dscnt 0x1
	v_mul_f32_e32 v219, v0, v9
	v_mul_f32_e32 v221, v2, v11
	s_delay_alu instid0(VALU_DEP_2) | instskip(SKIP_1) | instid1(VALU_DEP_3)
	v_fmac_f32_e32 v219, v1, v8
	v_mul_f32_e32 v1, v1, v9
	v_fmac_f32_e32 v221, v3, v10
	s_delay_alu instid0(VALU_DEP_2) | instskip(SKIP_1) | instid1(VALU_DEP_1)
	v_fma_f32 v220, v0, v8, -v1
	v_mul_f32_e32 v0, v3, v11
	v_fma_f32 v222, v2, v10, -v0
	s_clause 0x1
	scratch_load_b128 v[0:3], off, off offset:376
	scratch_load_b128 v[8:11], off, off offset:392
	s_wait_loadcnt_dscnt 0x100
	v_mul_f32_e32 v223, v4, v1
	v_mul_f32_e32 v1, v5, v1
	s_delay_alu instid0(VALU_DEP_2) | instskip(NEXT) | instid1(VALU_DEP_2)
	v_fmac_f32_e32 v223, v5, v0
	v_fma_f32 v224, v4, v0, -v1
	v_mul_f32_e32 v0, v7, v3
	v_add_f32_e32 v1, 0, v155
	s_delay_alu instid0(VALU_DEP_2) | instskip(SKIP_1) | instid1(VALU_DEP_1)
	v_fma_f32 v226, v6, v2, -v0
	v_add_f32_e32 v0, 0, v28
	v_dual_add_f32 v1, v1, v156 :: v_dual_add_f32 v0, v0, v29
	s_delay_alu instid0(VALU_DEP_1) | instskip(NEXT) | instid1(VALU_DEP_1)
	v_dual_add_f32 v1, v1, v30 :: v_dual_add_f32 v0, v0, v149
	v_dual_add_f32 v1, v1, v31 :: v_dual_add_f32 v0, v0, v150
	s_delay_alu instid0(VALU_DEP_1) | instskip(NEXT) | instid1(VALU_DEP_1)
	v_dual_add_f32 v1, v1, v151 :: v_dual_add_f32 v0, v0, v157
	;; [unrolled: 3-line block ×6, first 2 shown]
	v_dual_add_f32 v1, v1, v23 :: v_dual_add_f32 v0, v0, v25
	s_delay_alu instid0(VALU_DEP_1) | instskip(SKIP_3) | instid1(VALU_DEP_2)
	v_add_f32_e32 v1, v1, v26
	scratch_load_b64 v[24:25], off, off offset:456
	v_mul_f32_e32 v225, v6, v3
	v_dual_add_f32 v0, v0, v27 :: v_dual_add_f32 v1, v1, v161
	v_fmac_f32_e32 v225, v7, v2
	s_delay_alu instid0(VALU_DEP_2) | instskip(NEXT) | instid1(VALU_DEP_1)
	v_dual_add_f32 v0, v0, v162 :: v_dual_add_f32 v1, v1, v163
	v_dual_add_f32 v0, v0, v164 :: v_dual_add_f32 v1, v1, v165
	s_delay_alu instid0(VALU_DEP_1) | instskip(NEXT) | instid1(VALU_DEP_1)
	v_dual_add_f32 v0, v0, v166 :: v_dual_add_f32 v1, v1, v167
	v_dual_add_f32 v0, v0, v168 :: v_dual_add_f32 v1, v1, v169
	s_delay_alu instid0(VALU_DEP_1) | instskip(NEXT) | instid1(VALU_DEP_1)
	;; [unrolled: 3-line block ×7, first 2 shown]
	v_dual_add_f32 v0, v0, v190 :: v_dual_add_f32 v1, v1, v191
	v_add_f32_e32 v0, v0, v192
	s_delay_alu instid0(VALU_DEP_2) | instskip(NEXT) | instid1(VALU_DEP_2)
	v_add_f32_e32 v4, v1, v193
	v_add_f32_e32 v0, v0, v194
	s_delay_alu instid0(VALU_DEP_2) | instskip(NEXT) | instid1(VALU_DEP_2)
	v_add_f32_e32 v4, v4, v195
	v_add_f32_e32 v5, v0, v196
	s_delay_alu instid0(VALU_DEP_2) | instskip(SKIP_2) | instid1(VALU_DEP_1)
	v_add_f32_e32 v4, v4, v197
	ds_load_2addr_b64 v[0:3], v148 offset0:107 offset1:108
	v_add_f32_e32 v5, v5, v198
	v_dual_add_f32 v13, v4, v199 :: v_dual_add_f32 v12, v5, v200
	s_delay_alu instid0(VALU_DEP_1) | instskip(SKIP_2) | instid1(VALU_DEP_1)
	v_add_f32_e32 v13, v13, v201
	ds_load_2addr_b64 v[4:7], v148 offset0:109 offset1:110
	v_dual_add_f32 v12, v12, v202 :: v_dual_add_f32 v13, v13, v203
	v_add_f32_e32 v12, v12, v204
	s_delay_alu instid0(VALU_DEP_2) | instskip(SKIP_4) | instid1(VALU_DEP_3)
	v_add_f32_e32 v16, v13, v205
	s_wait_loadcnt_dscnt 0x101
	v_mul_f32_e32 v28, v0, v9
	v_mul_f32_e32 v9, v1, v9
	v_dual_mul_f32 v29, v2, v11 :: v_dual_add_f32 v12, v12, v206
	v_dual_mul_f32 v11, v3, v11 :: v_dual_fmac_f32 v28, v1, v8
	s_delay_alu instid0(VALU_DEP_3) | instskip(NEXT) | instid1(VALU_DEP_3)
	v_fma_f32 v30, v0, v8, -v9
	v_fmac_f32_e32 v29, v3, v10
	s_delay_alu instid0(VALU_DEP_4)
	v_add_f32_e32 v17, v12, v208
	scratch_load_b128 v[12:15], off, off offset:440
	v_fma_f32 v31, v2, v10, -v11
	s_clause 0x1
	scratch_load_b128 v[0:3], off, off offset:408
	scratch_load_b128 v[8:11], off, off offset:424
	v_dual_add_f32 v17, v17, v210 :: v_dual_add_f32 v16, v16, v207
	s_delay_alu instid0(VALU_DEP_1) | instskip(NEXT) | instid1(VALU_DEP_1)
	v_dual_add_f32 v17, v17, v212 :: v_dual_add_f32 v16, v16, v209
	v_dual_add_f32 v17, v17, v214 :: v_dual_add_f32 v16, v16, v211
	s_delay_alu instid0(VALU_DEP_1) | instskip(NEXT) | instid1(VALU_DEP_1)
	v_dual_add_f32 v17, v17, v216 :: v_dual_add_f32 v16, v16, v213
	v_add_f32_e32 v26, v17, v218
	s_delay_alu instid0(VALU_DEP_2)
	v_add_f32_e32 v20, v16, v215
	ds_load_2addr_b64 v[16:19], v148 offset0:111 offset1:112
	v_add_f32_e32 v149, v26, v220
	v_add_f32_e32 v27, v20, v217
	ds_load_2addr_b64 v[20:23], v148 offset0:113 offset1:114
	v_add_f32_e32 v149, v149, v222
	s_delay_alu instid0(VALU_DEP_1) | instskip(NEXT) | instid1(VALU_DEP_1)
	v_add_f32_e32 v149, v149, v224
	v_add_f32_e32 v149, v149, v226
	s_wait_loadcnt_dscnt 0x200
	s_delay_alu instid0(VALU_DEP_1)
	v_dual_add_f32 v30, v149, v30 :: v_dual_mul_f32 v157, v20, v13
	v_mul_f32_e32 v149, v22, v15
	s_wait_loadcnt 0x1
	v_mul_f32_e32 v151, v4, v1
	v_dual_mul_f32 v1, v5, v1 :: v_dual_mul_f32 v152, v6, v3
	v_mul_f32_e32 v3, v7, v3
	s_wait_loadcnt 0x0
	v_mul_f32_e32 v155, v16, v9
	v_fmac_f32_e32 v151, v5, v0
	v_fma_f32 v0, v4, v0, -v1
	v_dual_add_f32 v1, v30, v31 :: v_dual_fmac_f32 v152, v7, v2
	v_fma_f32 v2, v6, v2, -v3
	v_dual_mul_f32 v5, v17, v9 :: v_dual_mul_f32 v156, v18, v11
	s_delay_alu instid0(VALU_DEP_3) | instskip(SKIP_1) | instid1(VALU_DEP_3)
	v_dual_add_f32 v0, v1, v0 :: v_dual_mul_f32 v3, v19, v11
	v_fmac_f32_e32 v155, v17, v8
	v_dual_fmac_f32 v157, v21, v12 :: v_dual_fmac_f32 v156, v19, v10
	s_delay_alu instid0(VALU_DEP_3)
	v_add_f32_e32 v0, v0, v2
	v_add_f32_e32 v150, v27, v219
	ds_load_b64 v[26:27], v148 offset:920
	v_mul_f32_e32 v2, v21, v13
	v_fma_f32 v3, v18, v10, -v3
	v_dual_fmac_f32 v149, v23, v14 :: v_dual_add_f32 v150, v150, v221
	s_delay_alu instid0(VALU_DEP_3) | instskip(NEXT) | instid1(VALU_DEP_2)
	v_fma_f32 v2, v20, v12, -v2
	v_add_f32_e32 v150, v150, v223
	s_delay_alu instid0(VALU_DEP_1) | instskip(NEXT) | instid1(VALU_DEP_1)
	v_add_f32_e32 v150, v150, v225
	v_add_f32_e32 v28, v150, v28
	s_wait_dscnt 0x0
	v_mul_f32_e32 v150, v26, v25
	s_delay_alu instid0(VALU_DEP_2) | instskip(NEXT) | instid1(VALU_DEP_1)
	v_add_f32_e32 v4, v28, v29
	v_dual_fmac_f32 v150, v27, v24 :: v_dual_add_f32 v1, v4, v151
	v_fma_f32 v4, v16, v8, -v5
	s_delay_alu instid0(VALU_DEP_2) | instskip(NEXT) | instid1(VALU_DEP_2)
	v_add_f32_e32 v1, v1, v152
	v_add_f32_e32 v0, v0, v4
	v_mul_f32_e32 v4, v23, v15
	s_delay_alu instid0(VALU_DEP_3) | instskip(NEXT) | instid1(VALU_DEP_3)
	v_add_f32_e32 v1, v1, v155
	v_dual_add_f32 v0, v0, v3 :: v_dual_mul_f32 v3, v27, v25
	s_delay_alu instid0(VALU_DEP_3) | instskip(NEXT) | instid1(VALU_DEP_2)
	v_fma_f32 v4, v22, v14, -v4
	v_dual_add_f32 v1, v1, v156 :: v_dual_add_f32 v0, v0, v2
	s_delay_alu instid0(VALU_DEP_3) | instskip(NEXT) | instid1(VALU_DEP_2)
	v_fma_f32 v2, v26, v24, -v3
	v_dual_add_f32 v1, v1, v157 :: v_dual_add_f32 v0, v0, v4
	s_delay_alu instid0(VALU_DEP_1) | instskip(NEXT) | instid1(VALU_DEP_1)
	v_dual_add_f32 v1, v1, v149 :: v_dual_add_f32 v0, v0, v2
	v_add_f32_e32 v1, v1, v150
	s_delay_alu instid0(VALU_DEP_1)
	v_dual_sub_f32 v0, v153, v0 :: v_dual_sub_f32 v1, v154, v1
	scratch_store_b64 off, v[0:1], off
	s_wait_alu 0xfffe
	s_cbranch_vccz .LBB121_476
; %bb.362:
	global_load_b32 v0, v148, s[2:3] offset:224
	s_wait_loadcnt 0x0
	v_cmp_ne_u32_e32 vcc_lo, 57, v0
	s_cbranch_vccz .LBB121_364
; %bb.363:
	v_lshlrev_b32_e32 v0, 3, v0
	s_delay_alu instid0(VALU_DEP_1)
	v_mov_b32_e32 v4, v0
	scratch_load_b64 v[0:1], v4, off offset:-8
	scratch_load_b64 v[2:3], off, off offset:448
	s_wait_loadcnt 0x1
	scratch_store_b64 off, v[0:1], off offset:448
	s_wait_loadcnt 0x0
	scratch_store_b64 v4, v[2:3], off offset:-8
.LBB121_364:
	v_mov_b32_e32 v0, 0
	global_load_b32 v1, v0, s[2:3] offset:220
	s_wait_loadcnt 0x0
	v_cmp_eq_u32_e32 vcc_lo, 56, v1
	s_cbranch_vccnz .LBB121_366
; %bb.365:
	v_lshlrev_b32_e32 v1, 3, v1
	s_delay_alu instid0(VALU_DEP_1)
	v_mov_b32_e32 v5, v1
	scratch_load_b64 v[1:2], v5, off offset:-8
	scratch_load_b64 v[3:4], off, off offset:440
	s_wait_loadcnt 0x1
	scratch_store_b64 off, v[1:2], off offset:440
	s_wait_loadcnt 0x0
	scratch_store_b64 v5, v[3:4], off offset:-8
.LBB121_366:
	global_load_b32 v0, v0, s[2:3] offset:216
	s_wait_loadcnt 0x0
	v_cmp_eq_u32_e32 vcc_lo, 55, v0
	s_cbranch_vccnz .LBB121_368
; %bb.367:
	v_lshlrev_b32_e32 v0, 3, v0
	s_delay_alu instid0(VALU_DEP_1)
	v_mov_b32_e32 v4, v0
	scratch_load_b64 v[0:1], v4, off offset:-8
	scratch_load_b64 v[2:3], off, off offset:432
	s_wait_loadcnt 0x1
	scratch_store_b64 off, v[0:1], off offset:432
	s_wait_loadcnt 0x0
	scratch_store_b64 v4, v[2:3], off offset:-8
.LBB121_368:
	v_mov_b32_e32 v0, 0
	global_load_b32 v1, v0, s[2:3] offset:212
	s_wait_loadcnt 0x0
	v_cmp_eq_u32_e32 vcc_lo, 54, v1
	s_cbranch_vccnz .LBB121_370
; %bb.369:
	v_lshlrev_b32_e32 v1, 3, v1
	s_delay_alu instid0(VALU_DEP_1)
	v_mov_b32_e32 v5, v1
	scratch_load_b64 v[1:2], v5, off offset:-8
	scratch_load_b64 v[3:4], off, off offset:424
	s_wait_loadcnt 0x1
	scratch_store_b64 off, v[1:2], off offset:424
	s_wait_loadcnt 0x0
	scratch_store_b64 v5, v[3:4], off offset:-8
.LBB121_370:
	global_load_b32 v0, v0, s[2:3] offset:208
	s_wait_loadcnt 0x0
	v_cmp_eq_u32_e32 vcc_lo, 53, v0
	s_cbranch_vccnz .LBB121_372
; %bb.371:
	v_lshlrev_b32_e32 v0, 3, v0
	s_delay_alu instid0(VALU_DEP_1)
	v_mov_b32_e32 v4, v0
	scratch_load_b64 v[0:1], v4, off offset:-8
	scratch_load_b64 v[2:3], off, off offset:416
	s_wait_loadcnt 0x1
	scratch_store_b64 off, v[0:1], off offset:416
	s_wait_loadcnt 0x0
	scratch_store_b64 v4, v[2:3], off offset:-8
.LBB121_372:
	;; [unrolled: 31-line block ×27, first 2 shown]
	v_mov_b32_e32 v0, 0
	global_load_b32 v1, v0, s[2:3] offset:4
	s_wait_loadcnt 0x0
	v_cmp_eq_u32_e32 vcc_lo, 2, v1
	s_cbranch_vccnz .LBB121_474
; %bb.473:
	v_lshlrev_b32_e32 v1, 3, v1
	s_delay_alu instid0(VALU_DEP_1)
	v_mov_b32_e32 v5, v1
	scratch_load_b64 v[1:2], v5, off offset:-8
	scratch_load_b64 v[3:4], off, off offset:8
	s_wait_loadcnt 0x1
	scratch_store_b64 off, v[1:2], off offset:8
	s_wait_loadcnt 0x0
	scratch_store_b64 v5, v[3:4], off offset:-8
.LBB121_474:
	global_load_b32 v0, v0, s[2:3]
	s_wait_loadcnt 0x0
	v_cmp_eq_u32_e32 vcc_lo, 1, v0
	s_cbranch_vccnz .LBB121_476
; %bb.475:
	v_lshlrev_b32_e32 v0, 3, v0
	s_delay_alu instid0(VALU_DEP_1)
	v_mov_b32_e32 v4, v0
	scratch_load_b64 v[0:1], v4, off offset:-8
	scratch_load_b64 v[2:3], off, off
	s_wait_loadcnt 0x1
	scratch_store_b64 off, v[0:1], off
	s_wait_loadcnt 0x0
	scratch_store_b64 v4, v[2:3], off offset:-8
.LBB121_476:
	scratch_load_b64 v[0:1], off, off
	s_wait_loadcnt 0x0
	flat_store_b64 v[32:33], v[0:1]
	scratch_load_b64 v[0:1], off, off offset:8
	s_wait_loadcnt 0x0
	flat_store_b64 v[34:35], v[0:1]
	scratch_load_b64 v[0:1], off, off offset:16
	;; [unrolled: 3-line block ×57, first 2 shown]
	s_wait_loadcnt 0x0
	flat_store_b64 v[146:147], v[0:1]
	s_nop 0
	s_sendmsg sendmsg(MSG_DEALLOC_VGPRS)
	s_endpgm
	.section	.rodata,"a",@progbits
	.p2align	6, 0x0
	.amdhsa_kernel _ZN9rocsolver6v33100L18getri_kernel_smallILi58E19rocblas_complex_numIfEPKPS3_EEvT1_iilPiilS8_bb
		.amdhsa_group_segment_fixed_size 932
		.amdhsa_private_segment_fixed_size 480
		.amdhsa_kernarg_size 60
		.amdhsa_user_sgpr_count 2
		.amdhsa_user_sgpr_dispatch_ptr 0
		.amdhsa_user_sgpr_queue_ptr 0
		.amdhsa_user_sgpr_kernarg_segment_ptr 1
		.amdhsa_user_sgpr_dispatch_id 0
		.amdhsa_user_sgpr_private_segment_size 0
		.amdhsa_wavefront_size32 1
		.amdhsa_uses_dynamic_stack 0
		.amdhsa_enable_private_segment 1
		.amdhsa_system_sgpr_workgroup_id_x 1
		.amdhsa_system_sgpr_workgroup_id_y 0
		.amdhsa_system_sgpr_workgroup_id_z 0
		.amdhsa_system_sgpr_workgroup_info 0
		.amdhsa_system_vgpr_workitem_id 0
		.amdhsa_next_free_vgpr 250
		.amdhsa_next_free_sgpr 19
		.amdhsa_reserve_vcc 1
		.amdhsa_float_round_mode_32 0
		.amdhsa_float_round_mode_16_64 0
		.amdhsa_float_denorm_mode_32 3
		.amdhsa_float_denorm_mode_16_64 3
		.amdhsa_fp16_overflow 0
		.amdhsa_workgroup_processor_mode 1
		.amdhsa_memory_ordered 1
		.amdhsa_forward_progress 1
		.amdhsa_inst_pref_size 255
		.amdhsa_round_robin_scheduling 0
		.amdhsa_exception_fp_ieee_invalid_op 0
		.amdhsa_exception_fp_denorm_src 0
		.amdhsa_exception_fp_ieee_div_zero 0
		.amdhsa_exception_fp_ieee_overflow 0
		.amdhsa_exception_fp_ieee_underflow 0
		.amdhsa_exception_fp_ieee_inexact 0
		.amdhsa_exception_int_div_zero 0
	.end_amdhsa_kernel
	.section	.text._ZN9rocsolver6v33100L18getri_kernel_smallILi58E19rocblas_complex_numIfEPKPS3_EEvT1_iilPiilS8_bb,"axG",@progbits,_ZN9rocsolver6v33100L18getri_kernel_smallILi58E19rocblas_complex_numIfEPKPS3_EEvT1_iilPiilS8_bb,comdat
.Lfunc_end121:
	.size	_ZN9rocsolver6v33100L18getri_kernel_smallILi58E19rocblas_complex_numIfEPKPS3_EEvT1_iilPiilS8_bb, .Lfunc_end121-_ZN9rocsolver6v33100L18getri_kernel_smallILi58E19rocblas_complex_numIfEPKPS3_EEvT1_iilPiilS8_bb
                                        ; -- End function
	.set _ZN9rocsolver6v33100L18getri_kernel_smallILi58E19rocblas_complex_numIfEPKPS3_EEvT1_iilPiilS8_bb.num_vgpr, 250
	.set _ZN9rocsolver6v33100L18getri_kernel_smallILi58E19rocblas_complex_numIfEPKPS3_EEvT1_iilPiilS8_bb.num_agpr, 0
	.set _ZN9rocsolver6v33100L18getri_kernel_smallILi58E19rocblas_complex_numIfEPKPS3_EEvT1_iilPiilS8_bb.numbered_sgpr, 19
	.set _ZN9rocsolver6v33100L18getri_kernel_smallILi58E19rocblas_complex_numIfEPKPS3_EEvT1_iilPiilS8_bb.num_named_barrier, 0
	.set _ZN9rocsolver6v33100L18getri_kernel_smallILi58E19rocblas_complex_numIfEPKPS3_EEvT1_iilPiilS8_bb.private_seg_size, 480
	.set _ZN9rocsolver6v33100L18getri_kernel_smallILi58E19rocblas_complex_numIfEPKPS3_EEvT1_iilPiilS8_bb.uses_vcc, 1
	.set _ZN9rocsolver6v33100L18getri_kernel_smallILi58E19rocblas_complex_numIfEPKPS3_EEvT1_iilPiilS8_bb.uses_flat_scratch, 1
	.set _ZN9rocsolver6v33100L18getri_kernel_smallILi58E19rocblas_complex_numIfEPKPS3_EEvT1_iilPiilS8_bb.has_dyn_sized_stack, 0
	.set _ZN9rocsolver6v33100L18getri_kernel_smallILi58E19rocblas_complex_numIfEPKPS3_EEvT1_iilPiilS8_bb.has_recursion, 0
	.set _ZN9rocsolver6v33100L18getri_kernel_smallILi58E19rocblas_complex_numIfEPKPS3_EEvT1_iilPiilS8_bb.has_indirect_call, 0
	.section	.AMDGPU.csdata,"",@progbits
; Kernel info:
; codeLenInByte = 110960
; TotalNumSgprs: 21
; NumVgprs: 250
; ScratchSize: 480
; MemoryBound: 0
; FloatMode: 240
; IeeeMode: 1
; LDSByteSize: 932 bytes/workgroup (compile time only)
; SGPRBlocks: 0
; VGPRBlocks: 31
; NumSGPRsForWavesPerEU: 21
; NumVGPRsForWavesPerEU: 250
; Occupancy: 5
; WaveLimiterHint : 1
; COMPUTE_PGM_RSRC2:SCRATCH_EN: 1
; COMPUTE_PGM_RSRC2:USER_SGPR: 2
; COMPUTE_PGM_RSRC2:TRAP_HANDLER: 0
; COMPUTE_PGM_RSRC2:TGID_X_EN: 1
; COMPUTE_PGM_RSRC2:TGID_Y_EN: 0
; COMPUTE_PGM_RSRC2:TGID_Z_EN: 0
; COMPUTE_PGM_RSRC2:TIDIG_COMP_CNT: 0
	.section	.text._ZN9rocsolver6v33100L18getri_kernel_smallILi59E19rocblas_complex_numIfEPKPS3_EEvT1_iilPiilS8_bb,"axG",@progbits,_ZN9rocsolver6v33100L18getri_kernel_smallILi59E19rocblas_complex_numIfEPKPS3_EEvT1_iilPiilS8_bb,comdat
	.globl	_ZN9rocsolver6v33100L18getri_kernel_smallILi59E19rocblas_complex_numIfEPKPS3_EEvT1_iilPiilS8_bb ; -- Begin function _ZN9rocsolver6v33100L18getri_kernel_smallILi59E19rocblas_complex_numIfEPKPS3_EEvT1_iilPiilS8_bb
	.p2align	8
	.type	_ZN9rocsolver6v33100L18getri_kernel_smallILi59E19rocblas_complex_numIfEPKPS3_EEvT1_iilPiilS8_bb,@function
_ZN9rocsolver6v33100L18getri_kernel_smallILi59E19rocblas_complex_numIfEPKPS3_EEvT1_iilPiilS8_bb: ; @_ZN9rocsolver6v33100L18getri_kernel_smallILi59E19rocblas_complex_numIfEPKPS3_EEvT1_iilPiilS8_bb
; %bb.0:
	s_mov_b32 s2, exec_lo
	v_cmpx_gt_u32_e32 59, v0
	s_cbranch_execz .LBB122_250
; %bb.1:
	s_clause 0x1
	s_load_b32 s13, s[0:1], 0x38
	s_load_b64 s[2:3], s[0:1], 0x0
	s_mov_b32 s8, ttmp9
	s_load_b128 s[4:7], s[0:1], 0x28
	s_wait_kmcnt 0x0
	s_bitcmp1_b32 s13, 8
	s_cselect_b32 s12, -1, 0
	s_ashr_i32 s9, ttmp9, 31
	s_delay_alu instid0(SALU_CYCLE_1) | instskip(NEXT) | instid1(SALU_CYCLE_1)
	s_lshl_b64 s[10:11], s[8:9], 3
	s_add_nc_u64 s[2:3], s[2:3], s[10:11]
	s_load_b64 s[10:11], s[2:3], 0x0
	s_bfe_u32 s2, s13, 0x10008
	s_delay_alu instid0(SALU_CYCLE_1)
	s_cmp_eq_u32 s2, 0
                                        ; implicit-def: $sgpr2_sgpr3
	s_cbranch_scc1 .LBB122_3
; %bb.2:
	s_load_b96 s[16:18], s[0:1], 0x18
	s_mul_u64 s[2:3], s[4:5], s[8:9]
	s_delay_alu instid0(SALU_CYCLE_1)
	s_lshl_b64 s[2:3], s[2:3], 2
	s_wait_kmcnt 0x0
	s_ashr_i32 s5, s18, 31
	s_mov_b32 s4, s18
	s_add_nc_u64 s[2:3], s[16:17], s[2:3]
	s_lshl_b64 s[4:5], s[4:5], 2
	s_delay_alu instid0(SALU_CYCLE_1)
	s_add_nc_u64 s[2:3], s[2:3], s[4:5]
.LBB122_3:
	s_clause 0x1
	s_load_b64 s[4:5], s[0:1], 0x8
	s_load_b32 s13, s[0:1], 0x38
	v_lshlrev_b32_e32 v7, 3, v0
	s_wait_kmcnt 0x0
	s_ashr_i32 s1, s4, 31
	s_mov_b32 s0, s4
	v_add3_u32 v3, s5, s5, v0
	s_lshl_b64 s[0:1], s[0:1], 3
	s_delay_alu instid0(SALU_CYCLE_1)
	s_add_nc_u64 s[0:1], s[10:11], s[0:1]
	s_ashr_i32 s11, s5, 31
	v_add_co_u32 v33, s4, s0, v7
	s_wait_alu 0xf1ff
	v_add_co_ci_u32_e64 v34, null, s1, 0, s4
	s_mov_b32 s10, s5
	v_ashrrev_i32_e32 v4, 31, v3
	s_lshl_b64 s[10:11], s[10:11], 3
	flat_load_b64 v[1:2], v[33:34]
	v_add_co_u32 v35, vcc_lo, v33, s10
	s_delay_alu instid0(VALU_DEP_1) | instskip(SKIP_3) | instid1(VALU_DEP_2)
	v_add_co_ci_u32_e64 v36, null, s11, v34, vcc_lo
	v_lshlrev_b64_e32 v[4:5], 3, v[3:4]
	v_add_nc_u32_e32 v3, s5, v3
	s_bitcmp0_b32 s13, 0
	v_add_co_u32 v37, vcc_lo, s0, v4
	s_wait_alu 0xfffd
	s_delay_alu instid0(VALU_DEP_3) | instskip(SKIP_1) | instid1(VALU_DEP_1)
	v_add_co_ci_u32_e64 v38, null, s1, v5, vcc_lo
	v_ashrrev_i32_e32 v4, 31, v3
	v_lshlrev_b64_e32 v[4:5], 3, v[3:4]
	v_add_nc_u32_e32 v3, s5, v3
	s_delay_alu instid0(VALU_DEP_2) | instskip(SKIP_1) | instid1(VALU_DEP_3)
	v_add_co_u32 v39, vcc_lo, s0, v4
	s_wait_alu 0xfffd
	v_add_co_ci_u32_e64 v40, null, s1, v5, vcc_lo
	s_delay_alu instid0(VALU_DEP_3) | instskip(NEXT) | instid1(VALU_DEP_1)
	v_ashrrev_i32_e32 v4, 31, v3
	v_lshlrev_b64_e32 v[4:5], 3, v[3:4]
	v_add_nc_u32_e32 v3, s5, v3
	s_delay_alu instid0(VALU_DEP_2) | instskip(SKIP_1) | instid1(VALU_DEP_3)
	v_add_co_u32 v41, vcc_lo, s0, v4
	s_wait_alu 0xfffd
	v_add_co_ci_u32_e64 v42, null, s1, v5, vcc_lo
	s_delay_alu instid0(VALU_DEP_3) | instskip(NEXT) | instid1(VALU_DEP_1)
	;; [unrolled: 8-line block ×20, first 2 shown]
	v_ashrrev_i32_e32 v4, 31, v3
	v_lshlrev_b64_e32 v[4:5], 3, v[3:4]
	s_wait_loadcnt_dscnt 0x0
	scratch_store_b64 off, v[1:2], off
	flat_load_b64 v[1:2], v[35:36]
	v_add_nc_u32_e32 v3, s5, v3
	v_add_co_u32 v79, vcc_lo, s0, v4
	s_wait_alu 0xfffd
	v_add_co_ci_u32_e64 v80, null, s1, v5, vcc_lo
	s_delay_alu instid0(VALU_DEP_3) | instskip(NEXT) | instid1(VALU_DEP_1)
	v_ashrrev_i32_e32 v4, 31, v3
	v_lshlrev_b64_e32 v[4:5], 3, v[3:4]
	v_add_nc_u32_e32 v3, s5, v3
	s_delay_alu instid0(VALU_DEP_2) | instskip(SKIP_1) | instid1(VALU_DEP_3)
	v_add_co_u32 v81, vcc_lo, s0, v4
	s_wait_alu 0xfffd
	v_add_co_ci_u32_e64 v82, null, s1, v5, vcc_lo
	s_delay_alu instid0(VALU_DEP_3) | instskip(NEXT) | instid1(VALU_DEP_1)
	v_ashrrev_i32_e32 v4, 31, v3
	v_lshlrev_b64_e32 v[4:5], 3, v[3:4]
	v_add_nc_u32_e32 v3, s5, v3
	s_delay_alu instid0(VALU_DEP_2) | instskip(SKIP_1) | instid1(VALU_DEP_3)
	;; [unrolled: 8-line block ×20, first 2 shown]
	v_add_co_u32 v119, vcc_lo, s0, v4
	s_wait_alu 0xfffd
	v_add_co_ci_u32_e64 v120, null, s1, v5, vcc_lo
	s_delay_alu instid0(VALU_DEP_3) | instskip(NEXT) | instid1(VALU_DEP_1)
	v_ashrrev_i32_e32 v4, 31, v3
	v_lshlrev_b64_e32 v[4:5], 3, v[3:4]
	v_add_nc_u32_e32 v3, s5, v3
	s_delay_alu instid0(VALU_DEP_2)
	v_add_co_u32 v121, vcc_lo, s0, v4
	s_wait_loadcnt_dscnt 0x0
	scratch_store_b64 off, v[1:2], off offset:8
	flat_load_b64 v[1:2], v[37:38]
	s_wait_alu 0xfffd
	v_add_co_ci_u32_e64 v122, null, s1, v5, vcc_lo
	v_ashrrev_i32_e32 v4, 31, v3
	s_delay_alu instid0(VALU_DEP_1) | instskip(SKIP_1) | instid1(VALU_DEP_2)
	v_lshlrev_b64_e32 v[4:5], 3, v[3:4]
	v_add_nc_u32_e32 v3, s5, v3
	v_add_co_u32 v123, vcc_lo, s0, v4
	s_wait_alu 0xfffd
	s_delay_alu instid0(VALU_DEP_3) | instskip(NEXT) | instid1(VALU_DEP_3)
	v_add_co_ci_u32_e64 v124, null, s1, v5, vcc_lo
	v_ashrrev_i32_e32 v4, 31, v3
	s_delay_alu instid0(VALU_DEP_1) | instskip(SKIP_1) | instid1(VALU_DEP_2)
	v_lshlrev_b64_e32 v[4:5], 3, v[3:4]
	v_add_nc_u32_e32 v3, s5, v3
	v_add_co_u32 v125, vcc_lo, s0, v4
	s_wait_alu 0xfffd
	s_delay_alu instid0(VALU_DEP_3) | instskip(NEXT) | instid1(VALU_DEP_3)
	;; [unrolled: 8-line block ×13, first 2 shown]
	v_add_co_ci_u32_e64 v148, null, s1, v5, vcc_lo
	v_ashrrev_i32_e32 v4, 31, v3
	s_delay_alu instid0(VALU_DEP_1) | instskip(NEXT) | instid1(VALU_DEP_1)
	v_lshlrev_b64_e32 v[3:4], 3, v[3:4]
	v_add_co_u32 v149, vcc_lo, s0, v3
	s_wait_alu 0xfffd
	s_delay_alu instid0(VALU_DEP_2)
	v_add_co_ci_u32_e64 v150, null, s1, v4, vcc_lo
	s_mov_b32 s1, -1
	s_wait_loadcnt_dscnt 0x0
	scratch_store_b64 off, v[1:2], off offset:16
	flat_load_b64 v[1:2], v[39:40]
	s_wait_loadcnt_dscnt 0x0
	scratch_store_b64 off, v[1:2], off offset:24
	flat_load_b64 v[1:2], v[41:42]
	;; [unrolled: 3-line block ×56, first 2 shown]
	s_wait_loadcnt_dscnt 0x0
	scratch_store_b64 off, v[1:2], off offset:464
	s_cbranch_scc1 .LBB122_248
; %bb.4:
	v_cmp_eq_u32_e64 s0, 0, v0
	s_and_saveexec_b32 s1, s0
; %bb.5:
	v_mov_b32_e32 v1, 0
	ds_store_b32 v1, v1 offset:472
; %bb.6:
	s_wait_alu 0xfffe
	s_or_b32 exec_lo, exec_lo, s1
	s_wait_storecnt_dscnt 0x0
	s_barrier_signal -1
	s_barrier_wait -1
	global_inv scope:SCOPE_SE
	scratch_load_b64 v[1:2], v7, off
	s_wait_loadcnt 0x0
	v_cmp_eq_f32_e32 vcc_lo, 0, v1
	v_cmp_eq_f32_e64 s1, 0, v2
	s_and_b32 s1, vcc_lo, s1
	s_wait_alu 0xfffe
	s_and_saveexec_b32 s4, s1
	s_cbranch_execz .LBB122_10
; %bb.7:
	v_mov_b32_e32 v1, 0
	s_mov_b32 s5, 0
	ds_load_b32 v2, v1 offset:472
	s_wait_dscnt 0x0
	v_readfirstlane_b32 s1, v2
	v_add_nc_u32_e32 v2, 1, v0
	s_cmp_eq_u32 s1, 0
	s_delay_alu instid0(VALU_DEP_1)
	v_cmp_gt_i32_e32 vcc_lo, s1, v2
	s_cselect_b32 s10, -1, 0
	s_wait_alu 0xfffe
	s_or_b32 s10, s10, vcc_lo
	s_wait_alu 0xfffe
	s_and_b32 exec_lo, exec_lo, s10
	s_cbranch_execz .LBB122_10
; %bb.8:
	v_mov_b32_e32 v3, s1
.LBB122_9:                              ; =>This Inner Loop Header: Depth=1
	ds_cmpstore_rtn_b32 v3, v1, v2, v3 offset:472
	s_wait_dscnt 0x0
	v_cmp_ne_u32_e32 vcc_lo, 0, v3
	v_cmp_le_i32_e64 s1, v3, v2
	s_and_b32 s1, vcc_lo, s1
	s_wait_alu 0xfffe
	s_and_b32 s1, exec_lo, s1
	s_wait_alu 0xfffe
	s_or_b32 s5, s1, s5
	s_wait_alu 0xfffe
	s_and_not1_b32 exec_lo, exec_lo, s5
	s_cbranch_execnz .LBB122_9
.LBB122_10:
	s_wait_alu 0xfffe
	s_or_b32 exec_lo, exec_lo, s4
	v_mov_b32_e32 v1, 0
	s_barrier_signal -1
	s_barrier_wait -1
	global_inv scope:SCOPE_SE
	ds_load_b32 v2, v1 offset:472
	s_and_saveexec_b32 s1, s0
	s_cbranch_execz .LBB122_12
; %bb.11:
	s_lshl_b64 s[4:5], s[8:9], 2
	s_wait_alu 0xfffe
	s_add_nc_u64 s[4:5], s[6:7], s[4:5]
	s_wait_dscnt 0x0
	global_store_b32 v1, v2, s[4:5]
.LBB122_12:
	s_wait_alu 0xfffe
	s_or_b32 exec_lo, exec_lo, s1
	s_wait_dscnt 0x0
	v_cmp_ne_u32_e32 vcc_lo, 0, v2
	s_mov_b32 s1, 0
	s_cbranch_vccnz .LBB122_248
; %bb.13:
	v_mov_b32_e32 v8, v7
                                        ; implicit-def: $vgpr3
                                        ; implicit-def: $vgpr5
	scratch_load_b64 v[1:2], v8, off
	s_wait_loadcnt 0x0
	v_cmp_ngt_f32_e64 s1, |v1|, |v2|
	s_wait_alu 0xfffe
	s_and_saveexec_b32 s4, s1
	s_wait_alu 0xfffe
	s_xor_b32 s1, exec_lo, s4
	s_cbranch_execz .LBB122_15
; %bb.14:
	v_div_scale_f32 v3, null, v2, v2, v1
	v_div_scale_f32 v6, vcc_lo, v1, v2, v1
	s_delay_alu instid0(VALU_DEP_2) | instskip(NEXT) | instid1(TRANS32_DEP_1)
	v_rcp_f32_e32 v4, v3
	v_fma_f32 v5, -v3, v4, 1.0
	s_delay_alu instid0(VALU_DEP_1) | instskip(NEXT) | instid1(VALU_DEP_1)
	v_fmac_f32_e32 v4, v5, v4
	v_mul_f32_e32 v5, v6, v4
	s_delay_alu instid0(VALU_DEP_1) | instskip(NEXT) | instid1(VALU_DEP_1)
	v_fma_f32 v9, -v3, v5, v6
	v_fmac_f32_e32 v5, v9, v4
	s_delay_alu instid0(VALU_DEP_1) | instskip(SKIP_1) | instid1(VALU_DEP_1)
	v_fma_f32 v3, -v3, v5, v6
	s_wait_alu 0xfffd
	v_div_fmas_f32 v3, v3, v4, v5
	s_delay_alu instid0(VALU_DEP_1) | instskip(NEXT) | instid1(VALU_DEP_1)
	v_div_fixup_f32 v3, v3, v2, v1
	v_fmac_f32_e32 v2, v1, v3
	s_delay_alu instid0(VALU_DEP_1) | instskip(NEXT) | instid1(VALU_DEP_1)
	v_div_scale_f32 v1, null, v2, v2, 1.0
	v_rcp_f32_e32 v4, v1
	s_delay_alu instid0(TRANS32_DEP_1) | instskip(NEXT) | instid1(VALU_DEP_1)
	v_fma_f32 v5, -v1, v4, 1.0
	v_fmac_f32_e32 v4, v5, v4
	v_div_scale_f32 v5, vcc_lo, 1.0, v2, 1.0
	s_delay_alu instid0(VALU_DEP_1) | instskip(NEXT) | instid1(VALU_DEP_1)
	v_mul_f32_e32 v6, v5, v4
	v_fma_f32 v9, -v1, v6, v5
	s_delay_alu instid0(VALU_DEP_1) | instskip(NEXT) | instid1(VALU_DEP_1)
	v_fmac_f32_e32 v6, v9, v4
	v_fma_f32 v1, -v1, v6, v5
	s_wait_alu 0xfffd
	s_delay_alu instid0(VALU_DEP_1) | instskip(NEXT) | instid1(VALU_DEP_1)
	v_div_fmas_f32 v1, v1, v4, v6
	v_div_fixup_f32 v1, v1, v2, 1.0
	s_delay_alu instid0(VALU_DEP_1) | instskip(SKIP_1) | instid1(VALU_DEP_2)
	v_mul_f32_e32 v3, v3, v1
	v_xor_b32_e32 v4, 0x80000000, v1
                                        ; implicit-def: $vgpr1_vgpr2
	v_xor_b32_e32 v5, 0x80000000, v3
.LBB122_15:
	s_wait_alu 0xfffe
	s_and_not1_saveexec_b32 s1, s1
	s_cbranch_execz .LBB122_17
; %bb.16:
	v_div_scale_f32 v3, null, v1, v1, v2
	v_div_scale_f32 v6, vcc_lo, v2, v1, v2
	s_delay_alu instid0(VALU_DEP_2) | instskip(NEXT) | instid1(TRANS32_DEP_1)
	v_rcp_f32_e32 v4, v3
	v_fma_f32 v5, -v3, v4, 1.0
	s_delay_alu instid0(VALU_DEP_1) | instskip(NEXT) | instid1(VALU_DEP_1)
	v_fmac_f32_e32 v4, v5, v4
	v_mul_f32_e32 v5, v6, v4
	s_delay_alu instid0(VALU_DEP_1) | instskip(NEXT) | instid1(VALU_DEP_1)
	v_fma_f32 v9, -v3, v5, v6
	v_fmac_f32_e32 v5, v9, v4
	s_delay_alu instid0(VALU_DEP_1) | instskip(SKIP_1) | instid1(VALU_DEP_1)
	v_fma_f32 v3, -v3, v5, v6
	s_wait_alu 0xfffd
	v_div_fmas_f32 v3, v3, v4, v5
	s_delay_alu instid0(VALU_DEP_1) | instskip(NEXT) | instid1(VALU_DEP_1)
	v_div_fixup_f32 v4, v3, v1, v2
	v_fmac_f32_e32 v1, v2, v4
	s_delay_alu instid0(VALU_DEP_1) | instskip(SKIP_1) | instid1(VALU_DEP_2)
	v_div_scale_f32 v2, null, v1, v1, 1.0
	v_div_scale_f32 v6, vcc_lo, 1.0, v1, 1.0
	v_rcp_f32_e32 v3, v2
	s_delay_alu instid0(TRANS32_DEP_1) | instskip(NEXT) | instid1(VALU_DEP_1)
	v_fma_f32 v5, -v2, v3, 1.0
	v_fmac_f32_e32 v3, v5, v3
	s_delay_alu instid0(VALU_DEP_1) | instskip(NEXT) | instid1(VALU_DEP_1)
	v_mul_f32_e32 v5, v6, v3
	v_fma_f32 v9, -v2, v5, v6
	s_delay_alu instid0(VALU_DEP_1) | instskip(NEXT) | instid1(VALU_DEP_1)
	v_fmac_f32_e32 v5, v9, v3
	v_fma_f32 v2, -v2, v5, v6
	s_wait_alu 0xfffd
	s_delay_alu instid0(VALU_DEP_1) | instskip(NEXT) | instid1(VALU_DEP_1)
	v_div_fmas_f32 v2, v2, v3, v5
	v_div_fixup_f32 v3, v2, v1, 1.0
	s_delay_alu instid0(VALU_DEP_1)
	v_xor_b32_e32 v5, 0x80000000, v3
	v_mul_f32_e64 v4, v4, -v3
.LBB122_17:
	s_wait_alu 0xfffe
	s_or_b32 exec_lo, exec_lo, s1
	scratch_store_b64 v8, v[3:4], off
	scratch_load_b64 v[2:3], off, off offset:8
	v_xor_b32_e32 v6, 0x80000000, v4
	v_add_nc_u32_e32 v1, 0x1e0, v7
	s_wait_loadcnt 0x0
	ds_store_2addr_b64 v7, v[5:6], v[2:3] offset1:60
	s_wait_storecnt_dscnt 0x0
	s_barrier_signal -1
	s_barrier_wait -1
	global_inv scope:SCOPE_SE
	s_and_saveexec_b32 s1, s0
	s_cbranch_execz .LBB122_19
; %bb.18:
	scratch_load_b64 v[2:3], v8, off
	ds_load_b64 v[4:5], v1
	v_mov_b32_e32 v6, 0
	ds_load_b64 v[9:10], v6 offset:8
	s_wait_loadcnt_dscnt 0x1
	v_mul_f32_e32 v6, v4, v3
	v_mul_f32_e32 v3, v5, v3
	s_delay_alu instid0(VALU_DEP_2) | instskip(NEXT) | instid1(VALU_DEP_2)
	v_fmac_f32_e32 v6, v5, v2
	v_fma_f32 v2, v4, v2, -v3
	s_delay_alu instid0(VALU_DEP_2) | instskip(NEXT) | instid1(VALU_DEP_2)
	v_add_f32_e32 v4, 0, v6
	v_add_f32_e32 v2, 0, v2
	s_wait_dscnt 0x0
	s_delay_alu instid0(VALU_DEP_2) | instskip(NEXT) | instid1(VALU_DEP_2)
	v_mul_f32_e32 v5, v4, v10
	v_mul_f32_e32 v3, v2, v10
	s_delay_alu instid0(VALU_DEP_2) | instskip(NEXT) | instid1(VALU_DEP_2)
	v_fma_f32 v2, v2, v9, -v5
	v_fmac_f32_e32 v3, v4, v9
	scratch_store_b64 off, v[2:3], off offset:8
.LBB122_19:
	s_wait_alu 0xfffe
	s_or_b32 exec_lo, exec_lo, s1
	s_wait_loadcnt 0x0
	s_wait_storecnt 0x0
	s_barrier_signal -1
	s_barrier_wait -1
	global_inv scope:SCOPE_SE
	scratch_load_b64 v[2:3], off, off offset:16
	s_mov_b32 s1, exec_lo
	s_wait_loadcnt 0x0
	ds_store_b64 v1, v[2:3]
	s_wait_dscnt 0x0
	s_barrier_signal -1
	s_barrier_wait -1
	global_inv scope:SCOPE_SE
	v_cmpx_gt_u32_e32 2, v0
	s_cbranch_execz .LBB122_23
; %bb.20:
	scratch_load_b64 v[2:3], v8, off
	ds_load_b64 v[4:5], v1
	s_wait_loadcnt_dscnt 0x0
	v_mul_f32_e32 v6, v5, v3
	v_mul_f32_e32 v9, v4, v3
	s_delay_alu instid0(VALU_DEP_2) | instskip(NEXT) | instid1(VALU_DEP_2)
	v_fma_f32 v3, v4, v2, -v6
	v_fmac_f32_e32 v9, v5, v2
	s_delay_alu instid0(VALU_DEP_1)
	v_dual_add_f32 v3, 0, v3 :: v_dual_add_f32 v2, 0, v9
	s_and_saveexec_b32 s4, s0
	s_cbranch_execz .LBB122_22
; %bb.21:
	scratch_load_b64 v[4:5], off, off offset:8
	v_mov_b32_e32 v6, 0
	ds_load_b64 v[9:10], v6 offset:488
	s_wait_loadcnt_dscnt 0x0
	v_mul_f32_e32 v6, v9, v5
	v_mul_f32_e32 v5, v10, v5
	s_delay_alu instid0(VALU_DEP_2) | instskip(NEXT) | instid1(VALU_DEP_2)
	v_fmac_f32_e32 v6, v10, v4
	v_fma_f32 v4, v9, v4, -v5
	s_delay_alu instid0(VALU_DEP_1)
	v_dual_add_f32 v2, v2, v6 :: v_dual_add_f32 v3, v3, v4
.LBB122_22:
	s_wait_alu 0xfffe
	s_or_b32 exec_lo, exec_lo, s4
	v_mov_b32_e32 v4, 0
	ds_load_b64 v[4:5], v4 offset:16
	s_wait_dscnt 0x0
	v_mul_f32_e32 v9, v2, v5
	v_mul_f32_e32 v6, v3, v5
	s_delay_alu instid0(VALU_DEP_2) | instskip(NEXT) | instid1(VALU_DEP_2)
	v_fma_f32 v5, v3, v4, -v9
	v_fmac_f32_e32 v6, v2, v4
	scratch_store_b64 off, v[5:6], off offset:16
.LBB122_23:
	s_wait_alu 0xfffe
	s_or_b32 exec_lo, exec_lo, s1
	s_wait_loadcnt 0x0
	s_wait_storecnt 0x0
	s_barrier_signal -1
	s_barrier_wait -1
	global_inv scope:SCOPE_SE
	scratch_load_b64 v[3:4], off, off offset:24
	v_add_nc_u32_e32 v2, -1, v0
	s_mov_b32 s0, exec_lo
	s_wait_loadcnt 0x0
	ds_store_b64 v1, v[3:4]
	s_wait_dscnt 0x0
	s_barrier_signal -1
	s_barrier_wait -1
	global_inv scope:SCOPE_SE
	v_cmpx_gt_u32_e32 3, v0
	s_cbranch_execz .LBB122_27
; %bb.24:
	v_dual_mov_b32 v3, 0 :: v_dual_add_nc_u32 v4, -1, v0
	v_dual_mov_b32 v6, v7 :: v_dual_add_nc_u32 v5, 0x1e0, v7
	v_mov_b32_e32 v9, 0
	s_mov_b32 s1, 0
.LBB122_25:                             ; =>This Inner Loop Header: Depth=1
	scratch_load_b64 v[10:11], v6, off
	ds_load_b64 v[12:13], v5
	v_add_nc_u32_e32 v4, 1, v4
	v_add_nc_u32_e32 v5, 8, v5
	s_delay_alu instid0(VALU_DEP_2)
	v_cmp_lt_u32_e32 vcc_lo, 1, v4
	s_wait_alu 0xfffe
	s_or_b32 s1, vcc_lo, s1
	s_wait_loadcnt_dscnt 0x0
	v_mul_f32_e32 v14, v13, v11
	v_mul_f32_e32 v11, v12, v11
	s_delay_alu instid0(VALU_DEP_2) | instskip(NEXT) | instid1(VALU_DEP_2)
	v_fma_f32 v12, v12, v10, -v14
	v_fmac_f32_e32 v11, v13, v10
	s_delay_alu instid0(VALU_DEP_2) | instskip(NEXT) | instid1(VALU_DEP_2)
	v_dual_add_f32 v9, v9, v12 :: v_dual_add_nc_u32 v6, 8, v6
	v_add_f32_e32 v3, v3, v11
	s_wait_alu 0xfffe
	s_and_not1_b32 exec_lo, exec_lo, s1
	s_cbranch_execnz .LBB122_25
; %bb.26:
	s_or_b32 exec_lo, exec_lo, s1
	v_mov_b32_e32 v4, 0
	ds_load_b64 v[4:5], v4 offset:24
	s_wait_dscnt 0x0
	v_mul_f32_e32 v10, v3, v5
	v_mul_f32_e32 v6, v9, v5
	s_delay_alu instid0(VALU_DEP_2) | instskip(NEXT) | instid1(VALU_DEP_2)
	v_fma_f32 v5, v9, v4, -v10
	v_fmac_f32_e32 v6, v3, v4
	scratch_store_b64 off, v[5:6], off offset:24
.LBB122_27:
	s_wait_alu 0xfffe
	s_or_b32 exec_lo, exec_lo, s0
	s_wait_loadcnt 0x0
	s_wait_storecnt 0x0
	s_barrier_signal -1
	s_barrier_wait -1
	global_inv scope:SCOPE_SE
	scratch_load_b64 v[3:4], off, off offset:32
	s_mov_b32 s0, exec_lo
	s_wait_loadcnt 0x0
	ds_store_b64 v1, v[3:4]
	s_wait_dscnt 0x0
	s_barrier_signal -1
	s_barrier_wait -1
	global_inv scope:SCOPE_SE
	v_cmpx_gt_u32_e32 4, v0
	s_cbranch_execz .LBB122_31
; %bb.28:
	v_dual_mov_b32 v3, 0 :: v_dual_add_nc_u32 v4, -1, v0
	v_dual_mov_b32 v6, v7 :: v_dual_add_nc_u32 v5, 0x1e0, v7
	v_mov_b32_e32 v9, 0
	s_mov_b32 s1, 0
.LBB122_29:                             ; =>This Inner Loop Header: Depth=1
	scratch_load_b64 v[10:11], v6, off
	ds_load_b64 v[12:13], v5
	v_add_nc_u32_e32 v4, 1, v4
	v_add_nc_u32_e32 v5, 8, v5
	s_delay_alu instid0(VALU_DEP_2)
	v_cmp_lt_u32_e32 vcc_lo, 2, v4
	s_wait_alu 0xfffe
	s_or_b32 s1, vcc_lo, s1
	s_wait_loadcnt_dscnt 0x0
	v_mul_f32_e32 v14, v13, v11
	v_mul_f32_e32 v11, v12, v11
	s_delay_alu instid0(VALU_DEP_2) | instskip(NEXT) | instid1(VALU_DEP_2)
	v_fma_f32 v12, v12, v10, -v14
	v_fmac_f32_e32 v11, v13, v10
	s_delay_alu instid0(VALU_DEP_2) | instskip(NEXT) | instid1(VALU_DEP_2)
	v_dual_add_f32 v9, v9, v12 :: v_dual_add_nc_u32 v6, 8, v6
	v_add_f32_e32 v3, v3, v11
	s_wait_alu 0xfffe
	s_and_not1_b32 exec_lo, exec_lo, s1
	s_cbranch_execnz .LBB122_29
; %bb.30:
	s_or_b32 exec_lo, exec_lo, s1
	v_mov_b32_e32 v4, 0
	ds_load_b64 v[4:5], v4 offset:32
	s_wait_dscnt 0x0
	v_mul_f32_e32 v10, v3, v5
	v_mul_f32_e32 v6, v9, v5
	s_delay_alu instid0(VALU_DEP_2) | instskip(NEXT) | instid1(VALU_DEP_2)
	v_fma_f32 v5, v9, v4, -v10
	v_fmac_f32_e32 v6, v3, v4
	scratch_store_b64 off, v[5:6], off offset:32
.LBB122_31:
	s_wait_alu 0xfffe
	s_or_b32 exec_lo, exec_lo, s0
	s_wait_loadcnt 0x0
	s_wait_storecnt 0x0
	s_barrier_signal -1
	s_barrier_wait -1
	global_inv scope:SCOPE_SE
	scratch_load_b64 v[3:4], off, off offset:40
	;; [unrolled: 55-line block ×19, first 2 shown]
	s_mov_b32 s0, exec_lo
	s_wait_loadcnt 0x0
	ds_store_b64 v1, v[3:4]
	s_wait_dscnt 0x0
	s_barrier_signal -1
	s_barrier_wait -1
	global_inv scope:SCOPE_SE
	v_cmpx_gt_u32_e32 22, v0
	s_cbranch_execz .LBB122_103
; %bb.100:
	v_dual_mov_b32 v3, 0 :: v_dual_add_nc_u32 v4, -1, v0
	v_dual_mov_b32 v6, v7 :: v_dual_add_nc_u32 v5, 0x1e0, v7
	v_mov_b32_e32 v9, 0
	s_mov_b32 s1, 0
.LBB122_101:                            ; =>This Inner Loop Header: Depth=1
	scratch_load_b64 v[10:11], v6, off
	ds_load_b64 v[12:13], v5
	v_add_nc_u32_e32 v4, 1, v4
	v_add_nc_u32_e32 v5, 8, v5
	s_delay_alu instid0(VALU_DEP_2)
	v_cmp_lt_u32_e32 vcc_lo, 20, v4
	s_wait_alu 0xfffe
	s_or_b32 s1, vcc_lo, s1
	s_wait_loadcnt_dscnt 0x0
	v_mul_f32_e32 v14, v13, v11
	v_mul_f32_e32 v11, v12, v11
	s_delay_alu instid0(VALU_DEP_2) | instskip(NEXT) | instid1(VALU_DEP_2)
	v_fma_f32 v12, v12, v10, -v14
	v_fmac_f32_e32 v11, v13, v10
	s_delay_alu instid0(VALU_DEP_2) | instskip(NEXT) | instid1(VALU_DEP_2)
	v_dual_add_f32 v9, v9, v12 :: v_dual_add_nc_u32 v6, 8, v6
	v_add_f32_e32 v3, v3, v11
	s_wait_alu 0xfffe
	s_and_not1_b32 exec_lo, exec_lo, s1
	s_cbranch_execnz .LBB122_101
; %bb.102:
	s_or_b32 exec_lo, exec_lo, s1
	v_mov_b32_e32 v4, 0
	ds_load_b64 v[4:5], v4 offset:176
	s_wait_dscnt 0x0
	v_mul_f32_e32 v10, v3, v5
	v_mul_f32_e32 v6, v9, v5
	s_delay_alu instid0(VALU_DEP_2) | instskip(NEXT) | instid1(VALU_DEP_2)
	v_fma_f32 v5, v9, v4, -v10
	v_fmac_f32_e32 v6, v3, v4
	scratch_store_b64 off, v[5:6], off offset:176
.LBB122_103:
	s_wait_alu 0xfffe
	s_or_b32 exec_lo, exec_lo, s0
	s_wait_loadcnt 0x0
	s_wait_storecnt 0x0
	s_barrier_signal -1
	s_barrier_wait -1
	global_inv scope:SCOPE_SE
	scratch_load_b64 v[3:4], off, off offset:184
	s_mov_b32 s0, exec_lo
	s_wait_loadcnt 0x0
	ds_store_b64 v1, v[3:4]
	s_wait_dscnt 0x0
	s_barrier_signal -1
	s_barrier_wait -1
	global_inv scope:SCOPE_SE
	v_cmpx_gt_u32_e32 23, v0
	s_cbranch_execz .LBB122_107
; %bb.104:
	v_dual_mov_b32 v3, 0 :: v_dual_add_nc_u32 v4, -1, v0
	v_dual_mov_b32 v6, v7 :: v_dual_add_nc_u32 v5, 0x1e0, v7
	v_mov_b32_e32 v9, 0
	s_mov_b32 s1, 0
.LBB122_105:                            ; =>This Inner Loop Header: Depth=1
	scratch_load_b64 v[10:11], v6, off
	ds_load_b64 v[12:13], v5
	v_add_nc_u32_e32 v4, 1, v4
	v_add_nc_u32_e32 v5, 8, v5
	s_delay_alu instid0(VALU_DEP_2)
	v_cmp_lt_u32_e32 vcc_lo, 21, v4
	s_wait_alu 0xfffe
	s_or_b32 s1, vcc_lo, s1
	s_wait_loadcnt_dscnt 0x0
	v_mul_f32_e32 v14, v13, v11
	v_mul_f32_e32 v11, v12, v11
	s_delay_alu instid0(VALU_DEP_2) | instskip(NEXT) | instid1(VALU_DEP_2)
	v_fma_f32 v12, v12, v10, -v14
	v_fmac_f32_e32 v11, v13, v10
	s_delay_alu instid0(VALU_DEP_2) | instskip(NEXT) | instid1(VALU_DEP_2)
	v_dual_add_f32 v9, v9, v12 :: v_dual_add_nc_u32 v6, 8, v6
	v_add_f32_e32 v3, v3, v11
	s_wait_alu 0xfffe
	s_and_not1_b32 exec_lo, exec_lo, s1
	s_cbranch_execnz .LBB122_105
; %bb.106:
	s_or_b32 exec_lo, exec_lo, s1
	v_mov_b32_e32 v4, 0
	ds_load_b64 v[4:5], v4 offset:184
	s_wait_dscnt 0x0
	v_mul_f32_e32 v10, v3, v5
	v_mul_f32_e32 v6, v9, v5
	s_delay_alu instid0(VALU_DEP_2) | instskip(NEXT) | instid1(VALU_DEP_2)
	v_fma_f32 v5, v9, v4, -v10
	v_fmac_f32_e32 v6, v3, v4
	scratch_store_b64 off, v[5:6], off offset:184
.LBB122_107:
	s_wait_alu 0xfffe
	s_or_b32 exec_lo, exec_lo, s0
	s_wait_loadcnt 0x0
	s_wait_storecnt 0x0
	s_barrier_signal -1
	s_barrier_wait -1
	global_inv scope:SCOPE_SE
	scratch_load_b64 v[3:4], off, off offset:192
	;; [unrolled: 55-line block ×35, first 2 shown]
	s_mov_b32 s0, exec_lo
	s_wait_loadcnt 0x0
	ds_store_b64 v1, v[3:4]
	s_wait_dscnt 0x0
	s_barrier_signal -1
	s_barrier_wait -1
	global_inv scope:SCOPE_SE
	v_cmpx_gt_u32_e32 57, v0
	s_cbranch_execz .LBB122_243
; %bb.240:
	v_dual_mov_b32 v3, 0 :: v_dual_add_nc_u32 v4, -1, v0
	v_dual_mov_b32 v6, v7 :: v_dual_add_nc_u32 v5, 0x1e0, v7
	v_mov_b32_e32 v7, 0
	s_mov_b32 s1, 0
.LBB122_241:                            ; =>This Inner Loop Header: Depth=1
	scratch_load_b64 v[9:10], v6, off
	ds_load_b64 v[11:12], v5
	v_add_nc_u32_e32 v6, 8, v6
	v_add_nc_u32_e32 v4, 1, v4
	;; [unrolled: 1-line block ×3, first 2 shown]
	s_delay_alu instid0(VALU_DEP_2)
	v_cmp_lt_u32_e32 vcc_lo, 55, v4
	s_wait_alu 0xfffe
	s_or_b32 s1, vcc_lo, s1
	s_wait_loadcnt_dscnt 0x0
	v_mul_f32_e32 v13, v12, v10
	v_mul_f32_e32 v10, v11, v10
	s_delay_alu instid0(VALU_DEP_2) | instskip(NEXT) | instid1(VALU_DEP_1)
	v_fma_f32 v11, v11, v9, -v13
	v_dual_fmac_f32 v10, v12, v9 :: v_dual_add_f32 v7, v7, v11
	s_delay_alu instid0(VALU_DEP_1)
	v_add_f32_e32 v3, v3, v10
	s_wait_alu 0xfffe
	s_and_not1_b32 exec_lo, exec_lo, s1
	s_cbranch_execnz .LBB122_241
; %bb.242:
	s_or_b32 exec_lo, exec_lo, s1
	v_mov_b32_e32 v4, 0
	ds_load_b64 v[4:5], v4 offset:456
	s_wait_dscnt 0x0
	v_mul_f32_e32 v9, v3, v5
	v_mul_f32_e32 v6, v7, v5
	s_delay_alu instid0(VALU_DEP_2) | instskip(NEXT) | instid1(VALU_DEP_2)
	v_fma_f32 v5, v7, v4, -v9
	v_fmac_f32_e32 v6, v3, v4
	scratch_store_b64 off, v[5:6], off offset:456
.LBB122_243:
	s_wait_alu 0xfffe
	s_or_b32 exec_lo, exec_lo, s0
	s_wait_loadcnt 0x0
	s_wait_storecnt 0x0
	s_barrier_signal -1
	s_barrier_wait -1
	global_inv scope:SCOPE_SE
	scratch_load_b64 v[3:4], off, off offset:464
	s_mov_b32 s0, exec_lo
	s_wait_loadcnt 0x0
	ds_store_b64 v1, v[3:4]
	s_wait_dscnt 0x0
	s_barrier_signal -1
	s_barrier_wait -1
	global_inv scope:SCOPE_SE
	v_cmpx_ne_u32_e32 58, v0
	s_cbranch_execz .LBB122_247
; %bb.244:
	v_dual_mov_b32 v3, 0 :: v_dual_mov_b32 v4, 0
	s_mov_b32 s1, 0
.LBB122_245:                            ; =>This Inner Loop Header: Depth=1
	scratch_load_b64 v[5:6], v8, off
	ds_load_b64 v[9:10], v1
	v_add_nc_u32_e32 v2, 1, v2
	v_add_nc_u32_e32 v1, 8, v1
	;; [unrolled: 1-line block ×3, first 2 shown]
	s_delay_alu instid0(VALU_DEP_3)
	v_cmp_lt_u32_e32 vcc_lo, 56, v2
	s_wait_alu 0xfffe
	s_or_b32 s1, vcc_lo, s1
	s_wait_loadcnt_dscnt 0x0
	v_mul_f32_e32 v7, v10, v6
	v_mul_f32_e32 v6, v9, v6
	s_delay_alu instid0(VALU_DEP_2) | instskip(NEXT) | instid1(VALU_DEP_2)
	v_fma_f32 v7, v9, v5, -v7
	v_fmac_f32_e32 v6, v10, v5
	s_delay_alu instid0(VALU_DEP_1)
	v_dual_add_f32 v4, v4, v7 :: v_dual_add_f32 v3, v3, v6
	s_wait_alu 0xfffe
	s_and_not1_b32 exec_lo, exec_lo, s1
	s_cbranch_execnz .LBB122_245
; %bb.246:
	s_or_b32 exec_lo, exec_lo, s1
	v_mov_b32_e32 v1, 0
	ds_load_b64 v[1:2], v1 offset:464
	s_wait_dscnt 0x0
	v_mul_f32_e32 v6, v3, v2
	v_mul_f32_e32 v5, v4, v2
	s_delay_alu instid0(VALU_DEP_2) | instskip(NEXT) | instid1(VALU_DEP_2)
	v_fma_f32 v4, v4, v1, -v6
	v_fmac_f32_e32 v5, v3, v1
	scratch_store_b64 off, v[4:5], off offset:464
.LBB122_247:
	s_wait_alu 0xfffe
	s_or_b32 exec_lo, exec_lo, s0
	s_mov_b32 s1, -1
	s_wait_loadcnt 0x0
	s_wait_storecnt 0x0
	s_barrier_signal -1
	s_barrier_wait -1
	global_inv scope:SCOPE_SE
.LBB122_248:
	s_wait_alu 0xfffe
	s_and_b32 vcc_lo, exec_lo, s1
	s_wait_alu 0xfffe
	s_cbranch_vccz .LBB122_250
; %bb.249:
	v_mov_b32_e32 v1, 0
	s_lshl_b64 s[0:1], s[8:9], 2
	s_wait_alu 0xfffe
	s_add_nc_u64 s[0:1], s[6:7], s[0:1]
	global_load_b32 v1, v1, s[0:1]
	s_wait_loadcnt 0x0
	v_cmp_ne_u32_e32 vcc_lo, 0, v1
	s_cbranch_vccz .LBB122_251
.LBB122_250:
	s_nop 0
	s_sendmsg sendmsg(MSG_DEALLOC_VGPRS)
	s_endpgm
.LBB122_251:
	v_lshl_add_u32 v153, v0, 3, 0x1e0
	s_mov_b32 s0, exec_lo
	v_cmpx_eq_u32_e32 58, v0
	s_cbranch_execz .LBB122_253
; %bb.252:
	scratch_load_b64 v[1:2], off, off offset:456
	v_mov_b32_e32 v3, 0
	s_delay_alu instid0(VALU_DEP_1)
	v_mov_b32_e32 v4, v3
	scratch_store_b64 off, v[3:4], off offset:456
	s_wait_loadcnt 0x0
	ds_store_b64 v153, v[1:2]
.LBB122_253:
	s_wait_alu 0xfffe
	s_or_b32 exec_lo, exec_lo, s0
	s_wait_storecnt_dscnt 0x0
	s_barrier_signal -1
	s_barrier_wait -1
	global_inv scope:SCOPE_SE
	s_clause 0x1
	scratch_load_b64 v[2:3], off, off offset:464
	scratch_load_b64 v[4:5], off, off offset:456
	v_mov_b32_e32 v1, 0
	s_mov_b32 s0, exec_lo
	ds_load_b64 v[6:7], v1 offset:944
	s_wait_loadcnt_dscnt 0x100
	v_mul_f32_e32 v8, v7, v3
	v_mul_f32_e32 v3, v6, v3
	s_delay_alu instid0(VALU_DEP_2) | instskip(NEXT) | instid1(VALU_DEP_2)
	v_fma_f32 v6, v6, v2, -v8
	v_fmac_f32_e32 v3, v7, v2
	s_delay_alu instid0(VALU_DEP_1) | instskip(SKIP_1) | instid1(VALU_DEP_1)
	v_dual_add_f32 v2, 0, v6 :: v_dual_add_f32 v3, 0, v3
	s_wait_loadcnt 0x0
	v_dual_sub_f32 v2, v4, v2 :: v_dual_sub_f32 v3, v5, v3
	scratch_store_b64 off, v[2:3], off offset:456
	v_cmpx_lt_u32_e32 56, v0
	s_cbranch_execz .LBB122_255
; %bb.254:
	scratch_load_b64 v[3:4], off, off offset:448
	v_mov_b32_e32 v2, v1
	scratch_store_b64 off, v[1:2], off offset:448
	s_wait_loadcnt 0x0
	ds_store_b64 v153, v[3:4]
.LBB122_255:
	s_wait_alu 0xfffe
	s_or_b32 exec_lo, exec_lo, s0
	s_wait_storecnt_dscnt 0x0
	s_barrier_signal -1
	s_barrier_wait -1
	global_inv scope:SCOPE_SE
	s_clause 0x1
	scratch_load_b128 v[2:5], off, off offset:456
	scratch_load_b64 v[10:11], off, off offset:448
	ds_load_2addr_b64 v[6:9], v1 offset0:117 offset1:118
	s_mov_b32 s0, exec_lo
	s_wait_loadcnt_dscnt 0x100
	v_dual_mul_f32 v1, v7, v3 :: v_dual_mul_f32 v12, v8, v5
	v_mul_f32_e32 v3, v6, v3
	s_delay_alu instid0(VALU_DEP_2) | instskip(NEXT) | instid1(VALU_DEP_2)
	v_fma_f32 v1, v6, v2, -v1
	v_dual_fmac_f32 v12, v9, v4 :: v_dual_fmac_f32 v3, v7, v2
	s_delay_alu instid0(VALU_DEP_2) | instskip(NEXT) | instid1(VALU_DEP_2)
	v_add_f32_e32 v1, 0, v1
	v_add_f32_e32 v3, 0, v3
	v_mul_f32_e32 v5, v9, v5
	s_delay_alu instid0(VALU_DEP_1) | instskip(NEXT) | instid1(VALU_DEP_1)
	v_fma_f32 v2, v8, v4, -v5
	v_dual_add_f32 v1, v1, v2 :: v_dual_add_f32 v2, v3, v12
	s_wait_loadcnt 0x0
	s_delay_alu instid0(VALU_DEP_1)
	v_dual_sub_f32 v1, v10, v1 :: v_dual_sub_f32 v2, v11, v2
	scratch_store_b64 off, v[1:2], off offset:448
	v_cmpx_lt_u32_e32 55, v0
	s_cbranch_execz .LBB122_257
; %bb.256:
	scratch_load_b64 v[1:2], off, off offset:440
	v_mov_b32_e32 v3, 0
	s_delay_alu instid0(VALU_DEP_1)
	v_mov_b32_e32 v4, v3
	scratch_store_b64 off, v[3:4], off offset:440
	s_wait_loadcnt 0x0
	ds_store_b64 v153, v[1:2]
.LBB122_257:
	s_wait_alu 0xfffe
	s_or_b32 exec_lo, exec_lo, s0
	s_wait_storecnt_dscnt 0x0
	s_barrier_signal -1
	s_barrier_wait -1
	global_inv scope:SCOPE_SE
	s_clause 0x2
	scratch_load_b128 v[2:5], off, off offset:448
	scratch_load_b64 v[10:11], off, off offset:464
	scratch_load_b64 v[12:13], off, off offset:440
	v_mov_b32_e32 v1, 0
	ds_load_b128 v[6:9], v1 offset:928
	ds_load_b64 v[14:15], v1 offset:944
	s_mov_b32 s0, exec_lo
	s_wait_loadcnt_dscnt 0x201
	v_dual_mul_f32 v16, v7, v3 :: v_dual_mul_f32 v17, v8, v5
	s_wait_loadcnt_dscnt 0x100
	v_mul_f32_e32 v18, v14, v11
	v_mul_f32_e32 v3, v6, v3
	;; [unrolled: 1-line block ×3, first 2 shown]
	v_fma_f32 v6, v6, v2, -v16
	s_delay_alu instid0(VALU_DEP_4) | instskip(NEXT) | instid1(VALU_DEP_4)
	v_fmac_f32_e32 v18, v15, v10
	v_fmac_f32_e32 v3, v7, v2
	v_mul_f32_e32 v2, v15, v11
	s_delay_alu instid0(VALU_DEP_1) | instskip(SKIP_3) | instid1(VALU_DEP_1)
	v_fma_f32 v2, v14, v10, -v2
	v_fmac_f32_e32 v17, v9, v4
	v_fma_f32 v4, v8, v4, -v5
	v_add_f32_e32 v5, 0, v6
	v_add_f32_e32 v4, v5, v4
	s_delay_alu instid0(VALU_DEP_1) | instskip(SKIP_1) | instid1(VALU_DEP_1)
	v_dual_add_f32 v2, v4, v2 :: v_dual_add_f32 v3, 0, v3
	s_wait_loadcnt 0x0
	v_dual_sub_f32 v2, v12, v2 :: v_dual_add_f32 v3, v3, v17
	s_delay_alu instid0(VALU_DEP_1) | instskip(NEXT) | instid1(VALU_DEP_1)
	v_add_f32_e32 v3, v3, v18
	v_sub_f32_e32 v3, v13, v3
	scratch_store_b64 off, v[2:3], off offset:440
	v_cmpx_lt_u32_e32 54, v0
	s_cbranch_execz .LBB122_259
; %bb.258:
	scratch_load_b64 v[3:4], off, off offset:432
	v_mov_b32_e32 v2, v1
	scratch_store_b64 off, v[1:2], off offset:432
	s_wait_loadcnt 0x0
	ds_store_b64 v153, v[3:4]
.LBB122_259:
	s_wait_alu 0xfffe
	s_or_b32 exec_lo, exec_lo, s0
	s_wait_storecnt_dscnt 0x0
	s_barrier_signal -1
	s_barrier_wait -1
	global_inv scope:SCOPE_SE
	s_clause 0x2
	scratch_load_b128 v[2:5], off, off offset:440
	scratch_load_b128 v[6:9], off, off offset:456
	scratch_load_b64 v[18:19], off, off offset:432
	ds_load_2addr_b64 v[10:13], v1 offset0:115 offset1:116
	ds_load_2addr_b64 v[14:17], v1 offset0:117 offset1:118
	s_mov_b32 s0, exec_lo
	s_wait_loadcnt_dscnt 0x201
	v_dual_mul_f32 v1, v10, v3 :: v_dual_mul_f32 v20, v12, v5
	s_wait_loadcnt_dscnt 0x100
	v_dual_mul_f32 v3, v11, v3 :: v_dual_mul_f32 v22, v16, v9
	v_mul_f32_e32 v5, v13, v5
	s_delay_alu instid0(VALU_DEP_3) | instskip(NEXT) | instid1(VALU_DEP_3)
	v_dual_mul_f32 v21, v14, v7 :: v_dual_fmac_f32 v20, v13, v4
	v_fma_f32 v3, v10, v2, -v3
	s_delay_alu instid0(VALU_DEP_4) | instskip(SKIP_2) | instid1(VALU_DEP_4)
	v_dual_fmac_f32 v1, v11, v2 :: v_dual_fmac_f32 v22, v17, v8
	v_mul_f32_e32 v2, v15, v7
	v_fma_f32 v4, v12, v4, -v5
	v_add_f32_e32 v3, 0, v3
	v_fmac_f32_e32 v21, v15, v6
	s_delay_alu instid0(VALU_DEP_4) | instskip(NEXT) | instid1(VALU_DEP_3)
	v_fma_f32 v2, v14, v6, -v2
	v_add_f32_e32 v3, v3, v4
	s_delay_alu instid0(VALU_DEP_1) | instskip(NEXT) | instid1(VALU_DEP_1)
	v_dual_add_f32 v1, 0, v1 :: v_dual_add_f32 v2, v3, v2
	v_add_f32_e32 v1, v1, v20
	s_delay_alu instid0(VALU_DEP_1) | instskip(NEXT) | instid1(VALU_DEP_1)
	v_add_f32_e32 v1, v1, v21
	v_add_f32_e32 v3, v1, v22
	v_mul_f32_e32 v5, v17, v9
	s_delay_alu instid0(VALU_DEP_1) | instskip(NEXT) | instid1(VALU_DEP_1)
	v_fma_f32 v4, v16, v8, -v5
	v_add_f32_e32 v2, v2, v4
	s_wait_loadcnt 0x0
	s_delay_alu instid0(VALU_DEP_1)
	v_dual_sub_f32 v1, v18, v2 :: v_dual_sub_f32 v2, v19, v3
	scratch_store_b64 off, v[1:2], off offset:432
	v_cmpx_lt_u32_e32 53, v0
	s_cbranch_execz .LBB122_261
; %bb.260:
	scratch_load_b64 v[1:2], off, off offset:424
	v_mov_b32_e32 v3, 0
	s_delay_alu instid0(VALU_DEP_1)
	v_mov_b32_e32 v4, v3
	scratch_store_b64 off, v[3:4], off offset:424
	s_wait_loadcnt 0x0
	ds_store_b64 v153, v[1:2]
.LBB122_261:
	s_wait_alu 0xfffe
	s_or_b32 exec_lo, exec_lo, s0
	s_wait_storecnt_dscnt 0x0
	s_barrier_signal -1
	s_barrier_wait -1
	global_inv scope:SCOPE_SE
	s_clause 0x3
	scratch_load_b128 v[2:5], off, off offset:432
	scratch_load_b128 v[6:9], off, off offset:448
	scratch_load_b64 v[18:19], off, off offset:464
	scratch_load_b64 v[20:21], off, off offset:424
	v_mov_b32_e32 v1, 0
	ds_load_b128 v[10:13], v1 offset:912
	ds_load_b128 v[14:17], v1 offset:928
	ds_load_b64 v[22:23], v1 offset:944
	s_mov_b32 s0, exec_lo
	s_wait_loadcnt_dscnt 0x302
	v_dual_mul_f32 v24, v10, v3 :: v_dual_mul_f32 v25, v12, v5
	s_wait_loadcnt_dscnt 0x201
	v_dual_mul_f32 v26, v14, v7 :: v_dual_mul_f32 v5, v13, v5
	s_wait_loadcnt_dscnt 0x100
	v_dual_mul_f32 v27, v16, v9 :: v_dual_mul_f32 v28, v22, v19
	v_dual_fmac_f32 v24, v11, v2 :: v_dual_fmac_f32 v25, v13, v4
	s_delay_alu instid0(VALU_DEP_3) | instskip(SKIP_1) | instid1(VALU_DEP_3)
	v_fmac_f32_e32 v26, v15, v6
	v_fma_f32 v4, v12, v4, -v5
	v_dual_fmac_f32 v28, v23, v18 :: v_dual_add_f32 v5, 0, v24
	v_mul_f32_e32 v3, v11, v3
	s_delay_alu instid0(VALU_DEP_1) | instskip(SKIP_1) | instid1(VALU_DEP_2)
	v_fma_f32 v3, v10, v2, -v3
	v_dual_mul_f32 v2, v15, v7 :: v_dual_mul_f32 v7, v17, v9
	v_add_f32_e32 v3, 0, v3
	s_delay_alu instid0(VALU_DEP_2) | instskip(NEXT) | instid1(VALU_DEP_3)
	v_fma_f32 v2, v14, v6, -v2
	v_fma_f32 v6, v16, v8, -v7
	s_delay_alu instid0(VALU_DEP_3) | instskip(NEXT) | instid1(VALU_DEP_1)
	v_add_f32_e32 v3, v3, v4
	v_add_f32_e32 v2, v3, v2
	;; [unrolled: 1-line block ×3, first 2 shown]
	s_delay_alu instid0(VALU_DEP_2) | instskip(NEXT) | instid1(VALU_DEP_2)
	v_dual_add_f32 v2, v2, v6 :: v_dual_mul_f32 v5, v23, v19
	v_add_f32_e32 v3, v4, v26
	s_delay_alu instid0(VALU_DEP_2) | instskip(NEXT) | instid1(VALU_DEP_1)
	v_fma_f32 v4, v22, v18, -v5
	v_add_f32_e32 v2, v2, v4
	s_wait_loadcnt 0x0
	s_delay_alu instid0(VALU_DEP_1) | instskip(NEXT) | instid1(VALU_DEP_1)
	v_dual_fmac_f32 v27, v17, v8 :: v_dual_sub_f32 v2, v20, v2
	v_add_f32_e32 v3, v3, v27
	s_delay_alu instid0(VALU_DEP_1) | instskip(NEXT) | instid1(VALU_DEP_1)
	v_add_f32_e32 v3, v3, v28
	v_sub_f32_e32 v3, v21, v3
	scratch_store_b64 off, v[2:3], off offset:424
	v_cmpx_lt_u32_e32 52, v0
	s_cbranch_execz .LBB122_263
; %bb.262:
	scratch_load_b64 v[3:4], off, off offset:416
	v_mov_b32_e32 v2, v1
	scratch_store_b64 off, v[1:2], off offset:416
	s_wait_loadcnt 0x0
	ds_store_b64 v153, v[3:4]
.LBB122_263:
	s_wait_alu 0xfffe
	s_or_b32 exec_lo, exec_lo, s0
	s_wait_storecnt_dscnt 0x0
	s_barrier_signal -1
	s_barrier_wait -1
	global_inv scope:SCOPE_SE
	s_clause 0x3
	scratch_load_b128 v[2:5], off, off offset:424
	scratch_load_b128 v[6:9], off, off offset:440
	;; [unrolled: 1-line block ×3, first 2 shown]
	scratch_load_b64 v[26:27], off, off offset:416
	ds_load_2addr_b64 v[14:17], v1 offset0:113 offset1:114
	ds_load_2addr_b64 v[18:21], v1 offset0:115 offset1:116
	;; [unrolled: 1-line block ×3, first 2 shown]
	s_mov_b32 s0, exec_lo
	s_wait_loadcnt_dscnt 0x302
	v_dual_mul_f32 v1, v14, v3 :: v_dual_mul_f32 v28, v16, v5
	s_wait_loadcnt_dscnt 0x100
	v_dual_mul_f32 v3, v15, v3 :: v_dual_mul_f32 v32, v24, v13
	v_dual_mul_f32 v29, v18, v7 :: v_dual_mul_f32 v30, v20, v9
	v_mul_f32_e32 v5, v17, v5
	s_delay_alu instid0(VALU_DEP_3)
	v_fma_f32 v3, v14, v2, -v3
	v_fmac_f32_e32 v1, v15, v2
	v_mul_f32_e32 v2, v19, v7
	v_dual_mul_f32 v31, v22, v11 :: v_dual_fmac_f32 v28, v17, v4
	v_fma_f32 v4, v16, v4, -v5
	v_fmac_f32_e32 v30, v21, v8
	s_delay_alu instid0(VALU_DEP_4) | instskip(SKIP_4) | instid1(VALU_DEP_4)
	v_fma_f32 v2, v18, v6, -v2
	v_mul_f32_e32 v5, v21, v9
	v_add_f32_e32 v1, 0, v1
	v_dual_fmac_f32 v29, v19, v6 :: v_dual_fmac_f32 v32, v25, v12
	v_fmac_f32_e32 v31, v23, v10
	v_fma_f32 v5, v20, v8, -v5
	v_add_f32_e32 v3, 0, v3
	s_delay_alu instid0(VALU_DEP_1) | instskip(SKIP_1) | instid1(VALU_DEP_2)
	v_add_f32_e32 v3, v3, v4
	v_mul_f32_e32 v4, v23, v11
	v_add_f32_e32 v2, v3, v2
	s_delay_alu instid0(VALU_DEP_2) | instskip(NEXT) | instid1(VALU_DEP_2)
	v_fma_f32 v4, v22, v10, -v4
	v_add_f32_e32 v2, v2, v5
	s_delay_alu instid0(VALU_DEP_1) | instskip(NEXT) | instid1(VALU_DEP_1)
	v_dual_mul_f32 v3, v25, v13 :: v_dual_add_f32 v2, v2, v4
	v_fma_f32 v3, v24, v12, -v3
	s_delay_alu instid0(VALU_DEP_1) | instskip(NEXT) | instid1(VALU_DEP_1)
	v_dual_add_f32 v1, v1, v28 :: v_dual_add_f32 v2, v2, v3
	v_add_f32_e32 v1, v1, v29
	s_delay_alu instid0(VALU_DEP_1) | instskip(NEXT) | instid1(VALU_DEP_1)
	v_add_f32_e32 v1, v1, v30
	v_add_f32_e32 v1, v1, v31
	s_delay_alu instid0(VALU_DEP_1) | instskip(SKIP_1) | instid1(VALU_DEP_1)
	v_add_f32_e32 v3, v1, v32
	s_wait_loadcnt 0x0
	v_dual_sub_f32 v1, v26, v2 :: v_dual_sub_f32 v2, v27, v3
	scratch_store_b64 off, v[1:2], off offset:416
	v_cmpx_lt_u32_e32 51, v0
	s_cbranch_execz .LBB122_265
; %bb.264:
	scratch_load_b64 v[1:2], off, off offset:408
	v_mov_b32_e32 v3, 0
	s_delay_alu instid0(VALU_DEP_1)
	v_mov_b32_e32 v4, v3
	scratch_store_b64 off, v[3:4], off offset:408
	s_wait_loadcnt 0x0
	ds_store_b64 v153, v[1:2]
.LBB122_265:
	s_wait_alu 0xfffe
	s_or_b32 exec_lo, exec_lo, s0
	s_wait_storecnt_dscnt 0x0
	s_barrier_signal -1
	s_barrier_wait -1
	global_inv scope:SCOPE_SE
	s_clause 0x4
	scratch_load_b128 v[2:5], off, off offset:416
	scratch_load_b128 v[6:9], off, off offset:432
	;; [unrolled: 1-line block ×3, first 2 shown]
	scratch_load_b64 v[26:27], off, off offset:464
	scratch_load_b64 v[28:29], off, off offset:408
	v_mov_b32_e32 v1, 0
	ds_load_b128 v[14:17], v1 offset:896
	ds_load_b128 v[18:21], v1 offset:912
	;; [unrolled: 1-line block ×3, first 2 shown]
	ds_load_b64 v[30:31], v1 offset:944
	s_mov_b32 s0, exec_lo
	s_wait_loadcnt_dscnt 0x403
	v_mul_f32_e32 v32, v14, v3
	s_wait_loadcnt_dscnt 0x302
	v_dual_mul_f32 v154, v20, v9 :: v_dual_mul_f32 v3, v15, v3
	v_dual_mul_f32 v151, v16, v5 :: v_dual_mul_f32 v152, v18, v7
	v_mul_f32_e32 v5, v17, v5
	s_wait_loadcnt_dscnt 0x100
	v_dual_mul_f32 v157, v30, v27 :: v_dual_fmac_f32 v32, v15, v2
	v_fma_f32 v3, v14, v2, -v3
	v_dual_mul_f32 v2, v19, v7 :: v_dual_fmac_f32 v151, v17, v4
	v_fmac_f32_e32 v152, v19, v6
	v_fma_f32 v4, v16, v4, -v5
	s_delay_alu instid0(VALU_DEP_4) | instskip(NEXT) | instid1(VALU_DEP_4)
	v_dual_add_f32 v3, 0, v3 :: v_dual_fmac_f32 v154, v21, v8
	v_fma_f32 v2, v18, v6, -v2
	v_dual_mul_f32 v155, v22, v11 :: v_dual_mul_f32 v156, v24, v13
	s_delay_alu instid0(VALU_DEP_3) | instskip(SKIP_1) | instid1(VALU_DEP_3)
	v_add_f32_e32 v3, v3, v4
	v_add_f32_e32 v5, 0, v32
	v_dual_fmac_f32 v155, v23, v10 :: v_dual_fmac_f32 v156, v25, v12
	s_delay_alu instid0(VALU_DEP_3) | instskip(NEXT) | instid1(VALU_DEP_3)
	v_dual_add_f32 v2, v3, v2 :: v_dual_mul_f32 v7, v21, v9
	v_add_f32_e32 v4, v5, v151
	v_mul_f32_e32 v5, v23, v11
	s_delay_alu instid0(VALU_DEP_3) | instskip(NEXT) | instid1(VALU_DEP_3)
	v_fma_f32 v6, v20, v8, -v7
	v_dual_add_f32 v3, v4, v152 :: v_dual_mul_f32 v4, v25, v13
	s_delay_alu instid0(VALU_DEP_3) | instskip(NEXT) | instid1(VALU_DEP_3)
	v_fma_f32 v5, v22, v10, -v5
	v_add_f32_e32 v2, v2, v6
	v_mul_f32_e32 v6, v31, v27
	s_delay_alu instid0(VALU_DEP_4) | instskip(SKIP_1) | instid1(VALU_DEP_4)
	v_add_f32_e32 v3, v3, v154
	v_fma_f32 v4, v24, v12, -v4
	v_add_f32_e32 v2, v2, v5
	s_delay_alu instid0(VALU_DEP_4) | instskip(NEXT) | instid1(VALU_DEP_2)
	v_fma_f32 v5, v30, v26, -v6
	v_dual_add_f32 v3, v3, v155 :: v_dual_add_f32 v2, v2, v4
	s_delay_alu instid0(VALU_DEP_1) | instskip(SKIP_1) | instid1(VALU_DEP_1)
	v_dual_fmac_f32 v157, v31, v26 :: v_dual_add_f32 v2, v2, v5
	s_wait_loadcnt 0x0
	v_dual_add_f32 v3, v3, v156 :: v_dual_sub_f32 v2, v28, v2
	s_delay_alu instid0(VALU_DEP_1) | instskip(NEXT) | instid1(VALU_DEP_1)
	v_add_f32_e32 v3, v3, v157
	v_sub_f32_e32 v3, v29, v3
	scratch_store_b64 off, v[2:3], off offset:408
	v_cmpx_lt_u32_e32 50, v0
	s_cbranch_execz .LBB122_267
; %bb.266:
	scratch_load_b64 v[3:4], off, off offset:400
	v_mov_b32_e32 v2, v1
	scratch_store_b64 off, v[1:2], off offset:400
	s_wait_loadcnt 0x0
	ds_store_b64 v153, v[3:4]
.LBB122_267:
	s_wait_alu 0xfffe
	s_or_b32 exec_lo, exec_lo, s0
	s_wait_storecnt_dscnt 0x0
	s_barrier_signal -1
	s_barrier_wait -1
	global_inv scope:SCOPE_SE
	s_clause 0x4
	scratch_load_b128 v[2:5], off, off offset:408
	scratch_load_b128 v[6:9], off, off offset:424
	;; [unrolled: 1-line block ×4, first 2 shown]
	scratch_load_b64 v[30:31], off, off offset:400
	ds_load_2addr_b64 v[18:21], v1 offset0:111 offset1:112
	ds_load_2addr_b64 v[22:25], v1 offset0:113 offset1:114
	;; [unrolled: 1-line block ×4, first 2 shown]
	s_mov_b32 s0, exec_lo
	s_wait_loadcnt_dscnt 0x403
	v_dual_mul_f32 v1, v18, v3 :: v_dual_mul_f32 v32, v20, v5
	v_mul_f32_e32 v3, v19, v3
	v_mul_f32_e32 v5, v21, v5
	s_wait_loadcnt_dscnt 0x302
	v_dual_mul_f32 v151, v22, v7 :: v_dual_mul_f32 v152, v24, v9
	v_fmac_f32_e32 v32, v21, v4
	v_fma_f32 v3, v18, v2, -v3
	s_wait_loadcnt_dscnt 0x201
	v_dual_mul_f32 v158, v26, v11 :: v_dual_mul_f32 v159, v28, v13
	v_dual_fmac_f32 v1, v19, v2 :: v_dual_fmac_f32 v152, v25, v8
	v_mul_f32_e32 v2, v23, v7
	v_fma_f32 v4, v20, v4, -v5
	s_delay_alu instid0(VALU_DEP_4) | instskip(NEXT) | instid1(VALU_DEP_4)
	v_dual_add_f32 v3, 0, v3 :: v_dual_fmac_f32 v158, v27, v10
	v_add_f32_e32 v1, 0, v1
	s_delay_alu instid0(VALU_DEP_4) | instskip(SKIP_4) | instid1(VALU_DEP_3)
	v_fma_f32 v2, v22, v6, -v2
	s_wait_loadcnt_dscnt 0x100
	v_dual_mul_f32 v160, v154, v15 :: v_dual_mul_f32 v161, v156, v17
	v_add_f32_e32 v3, v3, v4
	v_dual_mul_f32 v5, v25, v9 :: v_dual_mul_f32 v4, v27, v11
	v_dual_add_f32 v1, v1, v32 :: v_dual_fmac_f32 v160, v155, v14
	s_delay_alu instid0(VALU_DEP_3) | instskip(NEXT) | instid1(VALU_DEP_3)
	v_add_f32_e32 v2, v3, v2
	v_fma_f32 v5, v24, v8, -v5
	v_fmac_f32_e32 v151, v23, v6
	v_mul_f32_e32 v3, v29, v13
	v_fma_f32 v4, v26, v10, -v4
	s_delay_alu instid0(VALU_DEP_4) | instskip(NEXT) | instid1(VALU_DEP_4)
	v_dual_fmac_f32 v161, v157, v16 :: v_dual_add_f32 v2, v2, v5
	v_add_f32_e32 v1, v1, v151
	v_mul_f32_e32 v5, v155, v15
	v_fma_f32 v3, v28, v12, -v3
	s_delay_alu instid0(VALU_DEP_4) | instskip(NEXT) | instid1(VALU_DEP_4)
	v_add_f32_e32 v2, v2, v4
	v_add_f32_e32 v1, v1, v152
	v_mul_f32_e32 v4, v157, v17
	v_fma_f32 v5, v154, v14, -v5
	s_delay_alu instid0(VALU_DEP_4) | instskip(NEXT) | instid1(VALU_DEP_3)
	v_dual_add_f32 v2, v2, v3 :: v_dual_fmac_f32 v159, v29, v12
	v_fma_f32 v3, v156, v16, -v4
	s_delay_alu instid0(VALU_DEP_2) | instskip(NEXT) | instid1(VALU_DEP_1)
	v_dual_add_f32 v2, v2, v5 :: v_dual_add_f32 v1, v1, v158
	v_add_f32_e32 v2, v2, v3
	s_delay_alu instid0(VALU_DEP_2) | instskip(NEXT) | instid1(VALU_DEP_1)
	v_add_f32_e32 v1, v1, v159
	v_add_f32_e32 v1, v1, v160
	s_delay_alu instid0(VALU_DEP_1) | instskip(SKIP_1) | instid1(VALU_DEP_1)
	v_add_f32_e32 v3, v1, v161
	s_wait_loadcnt 0x0
	v_dual_sub_f32 v1, v30, v2 :: v_dual_sub_f32 v2, v31, v3
	scratch_store_b64 off, v[1:2], off offset:400
	v_cmpx_lt_u32_e32 49, v0
	s_cbranch_execz .LBB122_269
; %bb.268:
	scratch_load_b64 v[1:2], off, off offset:392
	v_mov_b32_e32 v3, 0
	s_delay_alu instid0(VALU_DEP_1)
	v_mov_b32_e32 v4, v3
	scratch_store_b64 off, v[3:4], off offset:392
	s_wait_loadcnt 0x0
	ds_store_b64 v153, v[1:2]
.LBB122_269:
	s_wait_alu 0xfffe
	s_or_b32 exec_lo, exec_lo, s0
	s_wait_storecnt_dscnt 0x0
	s_barrier_signal -1
	s_barrier_wait -1
	global_inv scope:SCOPE_SE
	s_clause 0x5
	scratch_load_b128 v[2:5], off, off offset:400
	scratch_load_b128 v[6:9], off, off offset:416
	;; [unrolled: 1-line block ×4, first 2 shown]
	scratch_load_b64 v[30:31], off, off offset:464
	scratch_load_b64 v[151:152], off, off offset:392
	v_mov_b32_e32 v1, 0
	ds_load_b128 v[18:21], v1 offset:880
	ds_load_b128 v[22:25], v1 offset:896
	;; [unrolled: 1-line block ×4, first 2 shown]
	ds_load_b64 v[158:159], v1 offset:944
	s_mov_b32 s0, exec_lo
	s_wait_loadcnt_dscnt 0x504
	v_mul_f32_e32 v32, v18, v3
	s_wait_loadcnt_dscnt 0x302
	v_dual_mul_f32 v3, v19, v3 :: v_dual_mul_f32 v164, v28, v13
	v_dual_mul_f32 v160, v20, v5 :: v_dual_mul_f32 v161, v22, v7
	v_mul_f32_e32 v5, v21, v5
	s_delay_alu instid0(VALU_DEP_3) | instskip(SKIP_3) | instid1(VALU_DEP_3)
	v_fma_f32 v3, v18, v2, -v3
	s_wait_loadcnt_dscnt 0x100
	v_dual_mul_f32 v167, v158, v31 :: v_dual_fmac_f32 v32, v19, v2
	v_mul_f32_e32 v2, v23, v7
	v_dual_fmac_f32 v160, v21, v4 :: v_dual_add_f32 v3, 0, v3
	v_fma_f32 v4, v20, v4, -v5
	v_dual_mul_f32 v162, v24, v9 :: v_dual_mul_f32 v163, v26, v11
	s_delay_alu instid0(VALU_DEP_4) | instskip(SKIP_1) | instid1(VALU_DEP_4)
	v_fma_f32 v2, v22, v6, -v2
	v_dual_mul_f32 v165, v154, v15 :: v_dual_mul_f32 v166, v156, v17
	v_add_f32_e32 v3, v3, v4
	v_add_f32_e32 v5, 0, v32
	v_dual_fmac_f32 v162, v25, v8 :: v_dual_fmac_f32 v163, v27, v10
	v_fmac_f32_e32 v164, v29, v12
	s_delay_alu instid0(VALU_DEP_4) | instskip(NEXT) | instid1(VALU_DEP_4)
	v_dual_add_f32 v2, v3, v2 :: v_dual_mul_f32 v7, v25, v9
	v_dual_fmac_f32 v161, v23, v6 :: v_dual_add_f32 v4, v5, v160
	v_mul_f32_e32 v5, v27, v11
	v_dual_fmac_f32 v165, v155, v14 :: v_dual_fmac_f32 v166, v157, v16
	s_delay_alu instid0(VALU_DEP_4) | instskip(NEXT) | instid1(VALU_DEP_4)
	v_fma_f32 v6, v24, v8, -v7
	v_add_f32_e32 v3, v4, v161
	v_mul_f32_e32 v4, v29, v13
	v_fma_f32 v5, v26, v10, -v5
	s_delay_alu instid0(VALU_DEP_4) | instskip(SKIP_3) | instid1(VALU_DEP_4)
	v_add_f32_e32 v2, v2, v6
	v_mul_f32_e32 v6, v155, v15
	v_add_f32_e32 v3, v3, v162
	v_fma_f32 v4, v28, v12, -v4
	v_add_f32_e32 v2, v2, v5
	v_mul_f32_e32 v5, v157, v17
	s_delay_alu instid0(VALU_DEP_4) | instskip(SKIP_1) | instid1(VALU_DEP_4)
	v_add_f32_e32 v3, v3, v163
	v_fma_f32 v6, v154, v14, -v6
	v_add_f32_e32 v2, v2, v4
	v_mul_f32_e32 v4, v159, v31
	s_delay_alu instid0(VALU_DEP_4) | instskip(SKIP_1) | instid1(VALU_DEP_4)
	v_add_f32_e32 v3, v3, v164
	v_fma_f32 v5, v156, v16, -v5
	v_add_f32_e32 v2, v2, v6
	v_fmac_f32_e32 v167, v159, v30
	v_fma_f32 v4, v158, v30, -v4
	s_delay_alu instid0(VALU_DEP_3) | instskip(NEXT) | instid1(VALU_DEP_1)
	v_add_f32_e32 v2, v2, v5
	v_dual_add_f32 v3, v3, v165 :: v_dual_add_f32 v2, v2, v4
	s_delay_alu instid0(VALU_DEP_1) | instskip(NEXT) | instid1(VALU_DEP_1)
	v_add_f32_e32 v3, v3, v166
	v_add_f32_e32 v3, v3, v167
	s_wait_loadcnt 0x0
	s_delay_alu instid0(VALU_DEP_1)
	v_dual_sub_f32 v2, v151, v2 :: v_dual_sub_f32 v3, v152, v3
	scratch_store_b64 off, v[2:3], off offset:392
	v_cmpx_lt_u32_e32 48, v0
	s_cbranch_execz .LBB122_271
; %bb.270:
	scratch_load_b64 v[3:4], off, off offset:384
	v_mov_b32_e32 v2, v1
	scratch_store_b64 off, v[1:2], off offset:384
	s_wait_loadcnt 0x0
	ds_store_b64 v153, v[3:4]
.LBB122_271:
	s_wait_alu 0xfffe
	s_or_b32 exec_lo, exec_lo, s0
	s_wait_storecnt_dscnt 0x0
	s_barrier_signal -1
	s_barrier_wait -1
	global_inv scope:SCOPE_SE
	s_clause 0x5
	scratch_load_b128 v[2:5], off, off offset:392
	scratch_load_b128 v[6:9], off, off offset:408
	;; [unrolled: 1-line block ×5, first 2 shown]
	scratch_load_b64 v[30:31], off, off offset:384
	ds_load_2addr_b64 v[22:25], v1 offset0:109 offset1:110
	ds_load_2addr_b64 v[26:29], v1 offset0:111 offset1:112
	;; [unrolled: 1-line block ×5, first 2 shown]
	s_mov_b32 s0, exec_lo
	s_wait_loadcnt_dscnt 0x504
	v_dual_mul_f32 v1, v22, v3 :: v_dual_mul_f32 v32, v24, v5
	v_mul_f32_e32 v3, v23, v3
	v_mul_f32_e32 v5, v25, v5
	s_wait_loadcnt_dscnt 0x403
	v_dual_mul_f32 v151, v26, v7 :: v_dual_mul_f32 v152, v28, v9
	v_fmac_f32_e32 v32, v25, v4
	v_fma_f32 v3, v22, v2, -v3
	s_wait_loadcnt_dscnt 0x302
	v_dual_mul_f32 v166, v154, v11 :: v_dual_mul_f32 v167, v156, v13
	v_dual_fmac_f32 v1, v23, v2 :: v_dual_fmac_f32 v152, v29, v8
	v_mul_f32_e32 v2, v27, v7
	v_fma_f32 v4, v24, v4, -v5
	s_delay_alu instid0(VALU_DEP_4) | instskip(NEXT) | instid1(VALU_DEP_4)
	v_dual_add_f32 v3, 0, v3 :: v_dual_fmac_f32 v166, v155, v10
	v_add_f32_e32 v1, 0, v1
	s_delay_alu instid0(VALU_DEP_4) | instskip(SKIP_4) | instid1(VALU_DEP_3)
	v_fma_f32 v2, v26, v6, -v2
	s_wait_loadcnt_dscnt 0x201
	v_dual_mul_f32 v168, v158, v15 :: v_dual_mul_f32 v169, v160, v17
	v_add_f32_e32 v3, v3, v4
	v_dual_mul_f32 v5, v29, v9 :: v_dual_mul_f32 v4, v155, v11
	v_dual_add_f32 v1, v1, v32 :: v_dual_fmac_f32 v168, v159, v14
	s_delay_alu instid0(VALU_DEP_3) | instskip(NEXT) | instid1(VALU_DEP_3)
	v_add_f32_e32 v2, v3, v2
	v_fma_f32 v5, v28, v8, -v5
	v_fmac_f32_e32 v151, v27, v6
	v_fma_f32 v4, v154, v10, -v4
	s_wait_loadcnt_dscnt 0x100
	v_dual_mul_f32 v170, v162, v19 :: v_dual_mul_f32 v171, v164, v21
	s_delay_alu instid0(VALU_DEP_3) | instskip(NEXT) | instid1(VALU_DEP_2)
	v_dual_add_f32 v2, v2, v5 :: v_dual_add_f32 v1, v1, v151
	v_dual_mul_f32 v3, v157, v13 :: v_dual_fmac_f32 v170, v163, v18
	v_fmac_f32_e32 v169, v161, v16
	s_delay_alu instid0(VALU_DEP_3) | instskip(SKIP_1) | instid1(VALU_DEP_4)
	v_add_f32_e32 v2, v2, v4
	v_mul_f32_e32 v4, v161, v17
	v_fma_f32 v3, v156, v12, -v3
	v_add_f32_e32 v1, v1, v152
	v_fmac_f32_e32 v171, v165, v20
	s_delay_alu instid0(VALU_DEP_4) | instskip(SKIP_3) | instid1(VALU_DEP_3)
	v_fma_f32 v4, v160, v16, -v4
	v_mul_f32_e32 v5, v159, v15
	v_add_f32_e32 v2, v2, v3
	v_mul_f32_e32 v3, v163, v19
	v_fma_f32 v5, v158, v14, -v5
	v_fmac_f32_e32 v167, v157, v12
	s_delay_alu instid0(VALU_DEP_3) | instskip(NEXT) | instid1(VALU_DEP_3)
	v_fma_f32 v3, v162, v18, -v3
	v_add_f32_e32 v2, v2, v5
	s_delay_alu instid0(VALU_DEP_1) | instskip(SKIP_1) | instid1(VALU_DEP_2)
	v_dual_mul_f32 v5, v165, v21 :: v_dual_add_f32 v2, v2, v4
	v_add_f32_e32 v1, v1, v166
	v_fma_f32 v4, v164, v20, -v5
	s_delay_alu instid0(VALU_DEP_3) | instskip(NEXT) | instid1(VALU_DEP_1)
	v_add_f32_e32 v2, v2, v3
	v_dual_add_f32 v1, v1, v167 :: v_dual_add_f32 v2, v2, v4
	s_delay_alu instid0(VALU_DEP_1) | instskip(NEXT) | instid1(VALU_DEP_1)
	v_add_f32_e32 v1, v1, v168
	v_add_f32_e32 v1, v1, v169
	s_delay_alu instid0(VALU_DEP_1) | instskip(NEXT) | instid1(VALU_DEP_1)
	v_add_f32_e32 v1, v1, v170
	v_add_f32_e32 v3, v1, v171
	s_wait_loadcnt 0x0
	s_delay_alu instid0(VALU_DEP_1)
	v_dual_sub_f32 v1, v30, v2 :: v_dual_sub_f32 v2, v31, v3
	scratch_store_b64 off, v[1:2], off offset:384
	v_cmpx_lt_u32_e32 47, v0
	s_cbranch_execz .LBB122_273
; %bb.272:
	scratch_load_b64 v[1:2], off, off offset:376
	v_mov_b32_e32 v3, 0
	s_delay_alu instid0(VALU_DEP_1)
	v_mov_b32_e32 v4, v3
	scratch_store_b64 off, v[3:4], off offset:376
	s_wait_loadcnt 0x0
	ds_store_b64 v153, v[1:2]
.LBB122_273:
	s_wait_alu 0xfffe
	s_or_b32 exec_lo, exec_lo, s0
	s_wait_storecnt_dscnt 0x0
	s_barrier_signal -1
	s_barrier_wait -1
	global_inv scope:SCOPE_SE
	s_clause 0x6
	scratch_load_b128 v[2:5], off, off offset:384
	scratch_load_b128 v[6:9], off, off offset:400
	scratch_load_b128 v[10:13], off, off offset:416
	scratch_load_b128 v[14:17], off, off offset:432
	scratch_load_b128 v[18:21], off, off offset:448
	scratch_load_b64 v[30:31], off, off offset:464
	scratch_load_b64 v[151:152], off, off offset:376
	v_mov_b32_e32 v1, 0
	ds_load_b128 v[22:25], v1 offset:864
	ds_load_b128 v[26:29], v1 offset:880
	;; [unrolled: 1-line block ×5, first 2 shown]
	ds_load_b64 v[166:167], v1 offset:944
	s_mov_b32 s0, exec_lo
	s_wait_loadcnt_dscnt 0x605
	v_mul_f32_e32 v32, v22, v3
	v_dual_mul_f32 v3, v23, v3 :: v_dual_mul_f32 v168, v24, v5
	s_wait_loadcnt_dscnt 0x302
	v_dual_mul_f32 v169, v26, v7 :: v_dual_mul_f32 v174, v160, v17
	v_mul_f32_e32 v5, v25, v5
	s_delay_alu instid0(VALU_DEP_3) | instskip(SKIP_3) | instid1(VALU_DEP_3)
	v_fma_f32 v3, v22, v2, -v3
	s_wait_loadcnt_dscnt 0x100
	v_dual_mul_f32 v177, v166, v31 :: v_dual_fmac_f32 v32, v23, v2
	v_mul_f32_e32 v2, v27, v7
	v_dual_fmac_f32 v168, v25, v4 :: v_dual_add_f32 v3, 0, v3
	v_fma_f32 v4, v24, v4, -v5
	v_dual_mul_f32 v170, v28, v9 :: v_dual_mul_f32 v171, v154, v11
	s_delay_alu instid0(VALU_DEP_4) | instskip(SKIP_1) | instid1(VALU_DEP_4)
	v_fma_f32 v2, v26, v6, -v2
	v_dual_mul_f32 v172, v156, v13 :: v_dual_mul_f32 v173, v158, v15
	v_add_f32_e32 v3, v3, v4
	v_add_f32_e32 v5, 0, v32
	v_dual_fmac_f32 v170, v29, v8 :: v_dual_fmac_f32 v171, v155, v10
	s_delay_alu instid0(VALU_DEP_4) | instskip(NEXT) | instid1(VALU_DEP_4)
	v_fmac_f32_e32 v172, v157, v12
	v_dual_add_f32 v2, v3, v2 :: v_dual_mul_f32 v7, v29, v9
	s_delay_alu instid0(VALU_DEP_4) | instskip(SKIP_2) | instid1(VALU_DEP_4)
	v_dual_fmac_f32 v169, v27, v6 :: v_dual_add_f32 v4, v5, v168
	v_mul_f32_e32 v5, v155, v11
	v_dual_fmac_f32 v173, v159, v14 :: v_dual_fmac_f32 v174, v161, v16
	v_fma_f32 v6, v28, v8, -v7
	s_delay_alu instid0(VALU_DEP_4)
	v_add_f32_e32 v3, v4, v169
	v_mul_f32_e32 v4, v157, v13
	v_fma_f32 v5, v154, v10, -v5
	v_dual_mul_f32 v175, v162, v19 :: v_dual_mul_f32 v176, v164, v21
	v_add_f32_e32 v2, v2, v6
	v_mul_f32_e32 v6, v159, v15
	v_add_f32_e32 v3, v3, v170
	v_fma_f32 v4, v156, v12, -v4
	s_delay_alu instid0(VALU_DEP_4) | instskip(SKIP_1) | instid1(VALU_DEP_4)
	v_dual_fmac_f32 v175, v163, v18 :: v_dual_add_f32 v2, v2, v5
	v_mul_f32_e32 v5, v161, v17
	v_add_f32_e32 v3, v3, v171
	v_fma_f32 v6, v158, v14, -v6
	v_fmac_f32_e32 v176, v165, v20
	v_add_f32_e32 v2, v2, v4
	v_mul_f32_e32 v4, v163, v19
	v_add_f32_e32 v3, v3, v172
	v_fma_f32 v5, v160, v16, -v5
	s_delay_alu instid0(VALU_DEP_4) | instskip(SKIP_1) | instid1(VALU_DEP_4)
	v_add_f32_e32 v2, v2, v6
	v_mul_f32_e32 v6, v165, v21
	v_add_f32_e32 v3, v3, v173
	v_fma_f32 v4, v162, v18, -v4
	s_delay_alu instid0(VALU_DEP_4) | instskip(NEXT) | instid1(VALU_DEP_4)
	v_add_f32_e32 v2, v2, v5
	v_fma_f32 v6, v164, v20, -v6
	s_delay_alu instid0(VALU_DEP_4) | instskip(NEXT) | instid1(VALU_DEP_3)
	v_add_f32_e32 v3, v3, v174
	v_dual_mul_f32 v5, v167, v31 :: v_dual_add_f32 v2, v2, v4
	s_delay_alu instid0(VALU_DEP_2) | instskip(NEXT) | instid1(VALU_DEP_2)
	v_add_f32_e32 v3, v3, v175
	v_fma_f32 v4, v166, v30, -v5
	s_delay_alu instid0(VALU_DEP_3) | instskip(SKIP_1) | instid1(VALU_DEP_4)
	v_add_f32_e32 v2, v2, v6
	v_fmac_f32_e32 v177, v167, v30
	v_add_f32_e32 v3, v3, v176
	s_delay_alu instid0(VALU_DEP_1) | instskip(SKIP_1) | instid1(VALU_DEP_1)
	v_dual_add_f32 v2, v2, v4 :: v_dual_add_f32 v3, v3, v177
	s_wait_loadcnt 0x0
	v_dual_sub_f32 v2, v151, v2 :: v_dual_sub_f32 v3, v152, v3
	scratch_store_b64 off, v[2:3], off offset:376
	v_cmpx_lt_u32_e32 46, v0
	s_cbranch_execz .LBB122_275
; %bb.274:
	scratch_load_b64 v[3:4], off, off offset:368
	v_mov_b32_e32 v2, v1
	scratch_store_b64 off, v[1:2], off offset:368
	s_wait_loadcnt 0x0
	ds_store_b64 v153, v[3:4]
.LBB122_275:
	s_wait_alu 0xfffe
	s_or_b32 exec_lo, exec_lo, s0
	s_wait_storecnt_dscnt 0x0
	s_barrier_signal -1
	s_barrier_wait -1
	global_inv scope:SCOPE_SE
	s_clause 0x6
	scratch_load_b128 v[2:5], off, off offset:376
	scratch_load_b128 v[6:9], off, off offset:392
	;; [unrolled: 1-line block ×6, first 2 shown]
	scratch_load_b64 v[30:31], off, off offset:368
	ds_load_2addr_b64 v[26:29], v1 offset0:107 offset1:108
	ds_load_2addr_b64 v[154:157], v1 offset0:109 offset1:110
	;; [unrolled: 1-line block ×6, first 2 shown]
	s_mov_b32 s0, exec_lo
	s_wait_loadcnt_dscnt 0x605
	v_dual_mul_f32 v1, v26, v3 :: v_dual_mul_f32 v32, v28, v5
	v_mul_f32_e32 v3, v27, v3
	v_mul_f32_e32 v5, v29, v5
	s_wait_loadcnt_dscnt 0x504
	v_dual_mul_f32 v151, v154, v7 :: v_dual_mul_f32 v152, v156, v9
	v_fmac_f32_e32 v32, v29, v4
	v_fma_f32 v3, v26, v2, -v3
	s_wait_loadcnt_dscnt 0x403
	v_dual_mul_f32 v174, v158, v11 :: v_dual_mul_f32 v175, v160, v13
	v_dual_fmac_f32 v1, v27, v2 :: v_dual_fmac_f32 v152, v157, v8
	v_mul_f32_e32 v2, v155, v7
	v_fma_f32 v4, v28, v4, -v5
	s_delay_alu instid0(VALU_DEP_4) | instskip(NEXT) | instid1(VALU_DEP_4)
	v_dual_add_f32 v3, 0, v3 :: v_dual_fmac_f32 v174, v159, v10
	v_add_f32_e32 v1, 0, v1
	s_delay_alu instid0(VALU_DEP_4) | instskip(SKIP_4) | instid1(VALU_DEP_3)
	v_fma_f32 v2, v154, v6, -v2
	s_wait_loadcnt_dscnt 0x302
	v_dual_mul_f32 v176, v162, v15 :: v_dual_mul_f32 v177, v164, v17
	v_add_f32_e32 v3, v3, v4
	v_dual_mul_f32 v5, v157, v9 :: v_dual_mul_f32 v4, v159, v11
	v_dual_add_f32 v1, v1, v32 :: v_dual_fmac_f32 v176, v163, v14
	s_delay_alu instid0(VALU_DEP_3) | instskip(NEXT) | instid1(VALU_DEP_3)
	v_add_f32_e32 v2, v3, v2
	v_fma_f32 v5, v156, v8, -v5
	v_fmac_f32_e32 v151, v155, v6
	v_fma_f32 v4, v158, v10, -v4
	s_wait_loadcnt_dscnt 0x201
	v_dual_mul_f32 v178, v166, v19 :: v_dual_mul_f32 v179, v168, v21
	s_delay_alu instid0(VALU_DEP_3) | instskip(NEXT) | instid1(VALU_DEP_2)
	v_dual_add_f32 v2, v2, v5 :: v_dual_add_f32 v1, v1, v151
	v_dual_mul_f32 v3, v161, v13 :: v_dual_fmac_f32 v178, v167, v18
	s_wait_loadcnt_dscnt 0x100
	v_dual_mul_f32 v180, v170, v23 :: v_dual_mul_f32 v181, v172, v25
	s_delay_alu instid0(VALU_DEP_3)
	v_add_f32_e32 v2, v2, v4
	v_mul_f32_e32 v4, v165, v17
	v_fma_f32 v3, v160, v12, -v3
	v_add_f32_e32 v1, v1, v152
	v_fmac_f32_e32 v179, v169, v20
	v_fmac_f32_e32 v181, v173, v24
	v_fma_f32 v4, v164, v16, -v4
	v_mul_f32_e32 v5, v163, v15
	v_dual_add_f32 v2, v2, v3 :: v_dual_add_f32 v1, v1, v174
	v_fmac_f32_e32 v180, v171, v22
	s_delay_alu instid0(VALU_DEP_3) | instskip(NEXT) | instid1(VALU_DEP_1)
	v_fma_f32 v5, v162, v14, -v5
	v_dual_fmac_f32 v175, v161, v12 :: v_dual_add_f32 v2, v2, v5
	s_delay_alu instid0(VALU_DEP_1) | instskip(SKIP_1) | instid1(VALU_DEP_3)
	v_add_f32_e32 v2, v2, v4
	v_mul_f32_e32 v4, v171, v23
	v_add_f32_e32 v1, v1, v175
	s_delay_alu instid0(VALU_DEP_2) | instskip(SKIP_1) | instid1(VALU_DEP_1)
	v_fma_f32 v4, v170, v22, -v4
	v_mul_f32_e32 v5, v169, v21
	v_fma_f32 v5, v168, v20, -v5
	v_mul_f32_e32 v3, v167, v19
	s_delay_alu instid0(VALU_DEP_1) | instskip(NEXT) | instid1(VALU_DEP_1)
	v_fma_f32 v3, v166, v18, -v3
	v_dual_fmac_f32 v177, v165, v16 :: v_dual_add_f32 v2, v2, v3
	v_mul_f32_e32 v3, v173, v25
	s_delay_alu instid0(VALU_DEP_2) | instskip(NEXT) | instid1(VALU_DEP_2)
	v_add_f32_e32 v2, v2, v5
	v_fma_f32 v3, v172, v24, -v3
	s_delay_alu instid0(VALU_DEP_2) | instskip(NEXT) | instid1(VALU_DEP_1)
	v_add_f32_e32 v2, v2, v4
	v_dual_add_f32 v1, v1, v176 :: v_dual_add_f32 v2, v2, v3
	s_delay_alu instid0(VALU_DEP_1) | instskip(NEXT) | instid1(VALU_DEP_1)
	v_add_f32_e32 v1, v1, v177
	v_add_f32_e32 v1, v1, v178
	s_delay_alu instid0(VALU_DEP_1) | instskip(NEXT) | instid1(VALU_DEP_1)
	v_add_f32_e32 v1, v1, v179
	v_add_f32_e32 v1, v1, v180
	s_delay_alu instid0(VALU_DEP_1) | instskip(SKIP_1) | instid1(VALU_DEP_1)
	v_add_f32_e32 v3, v1, v181
	s_wait_loadcnt 0x0
	v_dual_sub_f32 v1, v30, v2 :: v_dual_sub_f32 v2, v31, v3
	scratch_store_b64 off, v[1:2], off offset:368
	v_cmpx_lt_u32_e32 45, v0
	s_cbranch_execz .LBB122_277
; %bb.276:
	scratch_load_b64 v[1:2], off, off offset:360
	v_mov_b32_e32 v3, 0
	s_delay_alu instid0(VALU_DEP_1)
	v_mov_b32_e32 v4, v3
	scratch_store_b64 off, v[3:4], off offset:360
	s_wait_loadcnt 0x0
	ds_store_b64 v153, v[1:2]
.LBB122_277:
	s_wait_alu 0xfffe
	s_or_b32 exec_lo, exec_lo, s0
	s_wait_storecnt_dscnt 0x0
	s_barrier_signal -1
	s_barrier_wait -1
	global_inv scope:SCOPE_SE
	s_clause 0x7
	scratch_load_b128 v[2:5], off, off offset:368
	scratch_load_b128 v[6:9], off, off offset:384
	;; [unrolled: 1-line block ×6, first 2 shown]
	scratch_load_b64 v[30:31], off, off offset:464
	scratch_load_b64 v[151:152], off, off offset:360
	v_mov_b32_e32 v1, 0
	ds_load_b128 v[26:29], v1 offset:848
	ds_load_b128 v[154:157], v1 offset:864
	;; [unrolled: 1-line block ×6, first 2 shown]
	ds_load_b64 v[174:175], v1 offset:944
	s_mov_b32 s0, exec_lo
	s_wait_loadcnt_dscnt 0x706
	v_mul_f32_e32 v32, v26, v3
	v_dual_mul_f32 v3, v27, v3 :: v_dual_mul_f32 v176, v28, v5
	s_wait_loadcnt_dscnt 0x302
	v_dual_mul_f32 v177, v154, v7 :: v_dual_mul_f32 v184, v168, v21
	v_mul_f32_e32 v5, v29, v5
	s_delay_alu instid0(VALU_DEP_3) | instskip(SKIP_3) | instid1(VALU_DEP_3)
	v_fma_f32 v3, v26, v2, -v3
	s_wait_loadcnt_dscnt 0x100
	v_dual_mul_f32 v187, v174, v31 :: v_dual_fmac_f32 v32, v27, v2
	v_mul_f32_e32 v2, v155, v7
	v_dual_fmac_f32 v176, v29, v4 :: v_dual_add_f32 v3, 0, v3
	v_fma_f32 v4, v28, v4, -v5
	v_dual_mul_f32 v178, v156, v9 :: v_dual_mul_f32 v179, v158, v11
	s_delay_alu instid0(VALU_DEP_4) | instskip(SKIP_1) | instid1(VALU_DEP_4)
	v_fma_f32 v2, v154, v6, -v2
	v_dual_mul_f32 v180, v160, v13 :: v_dual_mul_f32 v181, v162, v15
	v_add_f32_e32 v3, v3, v4
	v_add_f32_e32 v5, 0, v32
	v_dual_fmac_f32 v178, v157, v8 :: v_dual_fmac_f32 v179, v159, v10
	s_delay_alu instid0(VALU_DEP_4) | instskip(NEXT) | instid1(VALU_DEP_4)
	v_fmac_f32_e32 v180, v161, v12
	v_dual_add_f32 v2, v3, v2 :: v_dual_mul_f32 v7, v157, v9
	s_delay_alu instid0(VALU_DEP_4) | instskip(SKIP_2) | instid1(VALU_DEP_4)
	v_dual_fmac_f32 v177, v155, v6 :: v_dual_add_f32 v4, v5, v176
	v_dual_mul_f32 v5, v159, v11 :: v_dual_mul_f32 v182, v164, v17
	v_mul_f32_e32 v183, v166, v19
	v_fma_f32 v6, v156, v8, -v7
	s_delay_alu instid0(VALU_DEP_4)
	v_add_f32_e32 v3, v4, v177
	v_mul_f32_e32 v4, v161, v13
	v_fma_f32 v5, v158, v10, -v5
	v_dual_fmac_f32 v181, v163, v14 :: v_dual_fmac_f32 v182, v165, v16
	v_add_f32_e32 v2, v2, v6
	v_mul_f32_e32 v6, v163, v15
	v_add_f32_e32 v3, v3, v178
	v_fma_f32 v4, v160, v12, -v4
	v_dual_mul_f32 v185, v170, v23 :: v_dual_mul_f32 v186, v172, v25
	s_delay_alu instid0(VALU_DEP_3) | instskip(SKIP_2) | instid1(VALU_DEP_3)
	v_dual_add_f32 v2, v2, v5 :: v_dual_add_f32 v3, v3, v179
	v_mul_f32_e32 v5, v165, v17
	v_fma_f32 v6, v162, v14, -v6
	v_dual_fmac_f32 v183, v167, v18 :: v_dual_add_f32 v2, v2, v4
	s_delay_alu instid0(VALU_DEP_4) | instskip(SKIP_3) | instid1(VALU_DEP_4)
	v_add_f32_e32 v3, v3, v180
	v_mul_f32_e32 v4, v167, v19
	v_fma_f32 v5, v164, v16, -v5
	v_fmac_f32_e32 v184, v169, v20
	v_dual_add_f32 v2, v2, v6 :: v_dual_add_f32 v3, v3, v181
	v_mul_f32_e32 v6, v169, v21
	v_fma_f32 v4, v166, v18, -v4
	v_dual_fmac_f32 v185, v171, v22 :: v_dual_fmac_f32 v186, v173, v24
	s_delay_alu instid0(VALU_DEP_4) | instskip(SKIP_2) | instid1(VALU_DEP_3)
	v_dual_add_f32 v2, v2, v5 :: v_dual_add_f32 v3, v3, v182
	v_mul_f32_e32 v5, v171, v23
	v_fma_f32 v6, v168, v20, -v6
	v_dual_fmac_f32 v187, v175, v30 :: v_dual_add_f32 v2, v2, v4
	s_delay_alu instid0(VALU_DEP_4) | instskip(NEXT) | instid1(VALU_DEP_4)
	v_dual_add_f32 v3, v3, v183 :: v_dual_mul_f32 v4, v173, v25
	v_fma_f32 v5, v170, v22, -v5
	s_delay_alu instid0(VALU_DEP_2) | instskip(SKIP_1) | instid1(VALU_DEP_4)
	v_dual_add_f32 v2, v2, v6 :: v_dual_add_f32 v3, v3, v184
	v_mul_f32_e32 v6, v175, v31
	v_fma_f32 v4, v172, v24, -v4
	s_delay_alu instid0(VALU_DEP_3) | instskip(NEXT) | instid1(VALU_DEP_4)
	v_add_f32_e32 v2, v2, v5
	v_add_f32_e32 v3, v3, v185
	s_delay_alu instid0(VALU_DEP_4) | instskip(NEXT) | instid1(VALU_DEP_2)
	v_fma_f32 v5, v174, v30, -v6
	v_dual_add_f32 v2, v2, v4 :: v_dual_add_f32 v3, v3, v186
	s_delay_alu instid0(VALU_DEP_1) | instskip(SKIP_1) | instid1(VALU_DEP_1)
	v_dual_add_f32 v2, v2, v5 :: v_dual_add_f32 v3, v3, v187
	s_wait_loadcnt 0x0
	v_dual_sub_f32 v2, v151, v2 :: v_dual_sub_f32 v3, v152, v3
	scratch_store_b64 off, v[2:3], off offset:360
	v_cmpx_lt_u32_e32 44, v0
	s_cbranch_execz .LBB122_279
; %bb.278:
	scratch_load_b64 v[3:4], off, off offset:352
	v_mov_b32_e32 v2, v1
	scratch_store_b64 off, v[1:2], off offset:352
	s_wait_loadcnt 0x0
	ds_store_b64 v153, v[3:4]
.LBB122_279:
	s_wait_alu 0xfffe
	s_or_b32 exec_lo, exec_lo, s0
	s_wait_storecnt_dscnt 0x0
	s_barrier_signal -1
	s_barrier_wait -1
	global_inv scope:SCOPE_SE
	s_clause 0x7
	scratch_load_b128 v[2:5], off, off offset:360
	scratch_load_b128 v[6:9], off, off offset:376
	;; [unrolled: 1-line block ×7, first 2 shown]
	scratch_load_b64 v[30:31], off, off offset:352
	ds_load_2addr_b64 v[154:157], v1 offset0:105 offset1:106
	ds_load_2addr_b64 v[158:161], v1 offset0:107 offset1:108
	ds_load_2addr_b64 v[162:165], v1 offset0:109 offset1:110
	ds_load_2addr_b64 v[166:169], v1 offset0:111 offset1:112
	ds_load_2addr_b64 v[170:173], v1 offset0:113 offset1:114
	ds_load_2addr_b64 v[174:177], v1 offset0:115 offset1:116
	ds_load_2addr_b64 v[178:181], v1 offset0:117 offset1:118
	s_mov_b32 s0, exec_lo
	s_wait_loadcnt_dscnt 0x706
	v_dual_mul_f32 v1, v154, v3 :: v_dual_mul_f32 v32, v156, v5
	v_mul_f32_e32 v3, v155, v3
	v_mul_f32_e32 v5, v157, v5
	s_wait_loadcnt_dscnt 0x605
	v_dual_mul_f32 v151, v158, v7 :: v_dual_mul_f32 v152, v160, v9
	v_fmac_f32_e32 v32, v157, v4
	v_fma_f32 v3, v154, v2, -v3
	s_wait_loadcnt_dscnt 0x504
	v_dual_mul_f32 v182, v162, v11 :: v_dual_mul_f32 v183, v164, v13
	v_dual_fmac_f32 v1, v155, v2 :: v_dual_fmac_f32 v152, v161, v8
	v_mul_f32_e32 v2, v159, v7
	v_fma_f32 v4, v156, v4, -v5
	s_delay_alu instid0(VALU_DEP_4) | instskip(NEXT) | instid1(VALU_DEP_4)
	v_dual_add_f32 v3, 0, v3 :: v_dual_fmac_f32 v182, v163, v10
	v_add_f32_e32 v1, 0, v1
	s_delay_alu instid0(VALU_DEP_4) | instskip(SKIP_4) | instid1(VALU_DEP_3)
	v_fma_f32 v2, v158, v6, -v2
	s_wait_loadcnt_dscnt 0x403
	v_dual_mul_f32 v184, v166, v15 :: v_dual_mul_f32 v185, v168, v17
	v_add_f32_e32 v3, v3, v4
	v_dual_mul_f32 v5, v161, v9 :: v_dual_mul_f32 v4, v163, v11
	v_dual_add_f32 v1, v1, v32 :: v_dual_fmac_f32 v184, v167, v14
	s_delay_alu instid0(VALU_DEP_3) | instskip(NEXT) | instid1(VALU_DEP_3)
	v_add_f32_e32 v2, v3, v2
	v_fma_f32 v5, v160, v8, -v5
	v_fmac_f32_e32 v151, v159, v6
	v_fma_f32 v4, v162, v10, -v4
	s_wait_loadcnt_dscnt 0x302
	v_dual_mul_f32 v186, v170, v19 :: v_dual_mul_f32 v187, v172, v21
	s_delay_alu instid0(VALU_DEP_3) | instskip(NEXT) | instid1(VALU_DEP_2)
	v_dual_add_f32 v2, v2, v5 :: v_dual_add_f32 v1, v1, v151
	v_dual_mul_f32 v3, v165, v13 :: v_dual_fmac_f32 v186, v171, v18
	s_wait_loadcnt_dscnt 0x201
	v_dual_mul_f32 v188, v174, v23 :: v_dual_mul_f32 v189, v176, v25
	s_delay_alu instid0(VALU_DEP_3)
	v_add_f32_e32 v2, v2, v4
	v_mul_f32_e32 v4, v169, v17
	v_fma_f32 v3, v164, v12, -v3
	s_wait_loadcnt_dscnt 0x100
	v_dual_add_f32 v1, v1, v152 :: v_dual_mul_f32 v190, v178, v27
	v_mul_f32_e32 v191, v180, v29
	v_fma_f32 v4, v168, v16, -v4
	v_mul_f32_e32 v5, v167, v15
	s_delay_alu instid0(VALU_DEP_4) | instskip(SKIP_1) | instid1(VALU_DEP_3)
	v_dual_add_f32 v2, v2, v3 :: v_dual_add_f32 v1, v1, v182
	v_dual_fmac_f32 v188, v175, v22 :: v_dual_fmac_f32 v189, v177, v24
	v_fma_f32 v5, v166, v14, -v5
	v_dual_fmac_f32 v183, v165, v12 :: v_dual_fmac_f32 v190, v179, v26
	s_delay_alu instid0(VALU_DEP_2) | instskip(NEXT) | instid1(VALU_DEP_1)
	v_dual_fmac_f32 v191, v181, v28 :: v_dual_add_f32 v2, v2, v5
	v_add_f32_e32 v2, v2, v4
	v_mul_f32_e32 v4, v175, v23
	s_delay_alu instid0(VALU_DEP_4) | instskip(NEXT) | instid1(VALU_DEP_2)
	v_add_f32_e32 v1, v1, v183
	v_fma_f32 v4, v174, v22, -v4
	v_mul_f32_e32 v5, v173, v21
	s_delay_alu instid0(VALU_DEP_3) | instskip(NEXT) | instid1(VALU_DEP_2)
	v_add_f32_e32 v1, v1, v184
	v_fma_f32 v5, v172, v20, -v5
	v_mul_f32_e32 v3, v171, v19
	s_delay_alu instid0(VALU_DEP_1) | instskip(NEXT) | instid1(VALU_DEP_1)
	v_fma_f32 v3, v170, v18, -v3
	v_dual_fmac_f32 v185, v169, v16 :: v_dual_add_f32 v2, v2, v3
	v_mul_f32_e32 v3, v177, v25
	s_delay_alu instid0(VALU_DEP_2) | instskip(NEXT) | instid1(VALU_DEP_2)
	v_dual_add_f32 v2, v2, v5 :: v_dual_mul_f32 v5, v179, v27
	v_fma_f32 v3, v176, v24, -v3
	s_delay_alu instid0(VALU_DEP_2) | instskip(SKIP_1) | instid1(VALU_DEP_4)
	v_dual_add_f32 v2, v2, v4 :: v_dual_add_f32 v1, v1, v185
	v_mul_f32_e32 v4, v181, v29
	v_fma_f32 v5, v178, v26, -v5
	s_delay_alu instid0(VALU_DEP_3) | instskip(NEXT) | instid1(VALU_DEP_3)
	v_dual_add_f32 v2, v2, v3 :: v_dual_fmac_f32 v187, v173, v20
	v_fma_f32 v3, v180, v28, -v4
	s_delay_alu instid0(VALU_DEP_2) | instskip(NEXT) | instid1(VALU_DEP_1)
	v_dual_add_f32 v2, v2, v5 :: v_dual_add_f32 v1, v1, v186
	v_add_f32_e32 v2, v2, v3
	s_delay_alu instid0(VALU_DEP_2) | instskip(NEXT) | instid1(VALU_DEP_1)
	v_add_f32_e32 v1, v1, v187
	v_add_f32_e32 v1, v1, v188
	s_delay_alu instid0(VALU_DEP_1) | instskip(NEXT) | instid1(VALU_DEP_1)
	v_add_f32_e32 v1, v1, v189
	v_add_f32_e32 v1, v1, v190
	s_delay_alu instid0(VALU_DEP_1) | instskip(SKIP_1) | instid1(VALU_DEP_1)
	v_add_f32_e32 v3, v1, v191
	s_wait_loadcnt 0x0
	v_dual_sub_f32 v1, v30, v2 :: v_dual_sub_f32 v2, v31, v3
	scratch_store_b64 off, v[1:2], off offset:352
	v_cmpx_lt_u32_e32 43, v0
	s_cbranch_execz .LBB122_281
; %bb.280:
	scratch_load_b64 v[1:2], off, off offset:344
	v_mov_b32_e32 v3, 0
	s_delay_alu instid0(VALU_DEP_1)
	v_mov_b32_e32 v4, v3
	scratch_store_b64 off, v[3:4], off offset:344
	s_wait_loadcnt 0x0
	ds_store_b64 v153, v[1:2]
.LBB122_281:
	s_wait_alu 0xfffe
	s_or_b32 exec_lo, exec_lo, s0
	s_wait_storecnt_dscnt 0x0
	s_barrier_signal -1
	s_barrier_wait -1
	global_inv scope:SCOPE_SE
	s_clause 0x8
	scratch_load_b128 v[2:5], off, off offset:352
	scratch_load_b128 v[6:9], off, off offset:368
	;; [unrolled: 1-line block ×7, first 2 shown]
	scratch_load_b64 v[30:31], off, off offset:464
	scratch_load_b64 v[151:152], off, off offset:344
	v_mov_b32_e32 v1, 0
	ds_load_b128 v[154:157], v1 offset:832
	ds_load_b128 v[158:161], v1 offset:848
	;; [unrolled: 1-line block ×7, first 2 shown]
	ds_load_b64 v[182:183], v1 offset:944
	s_mov_b32 s0, exec_lo
	s_wait_loadcnt_dscnt 0x807
	v_mul_f32_e32 v32, v154, v3
	v_dual_mul_f32 v3, v155, v3 :: v_dual_mul_f32 v184, v156, v5
	s_wait_loadcnt_dscnt 0x706
	v_mul_f32_e32 v185, v158, v7
	v_mul_f32_e32 v5, v157, v5
	s_wait_loadcnt_dscnt 0x302
	v_mul_f32_e32 v194, v176, v25
	v_fma_f32 v3, v154, v2, -v3
	s_wait_loadcnt_dscnt 0x100
	v_dual_mul_f32 v197, v182, v31 :: v_dual_fmac_f32 v32, v155, v2
	v_mul_f32_e32 v2, v159, v7
	s_delay_alu instid0(VALU_DEP_3) | instskip(SKIP_2) | instid1(VALU_DEP_4)
	v_dual_fmac_f32 v184, v157, v4 :: v_dual_add_f32 v3, 0, v3
	v_fma_f32 v4, v156, v4, -v5
	v_dual_mul_f32 v186, v160, v9 :: v_dual_mul_f32 v187, v162, v11
	v_fma_f32 v2, v158, v6, -v2
	v_dual_mul_f32 v188, v164, v13 :: v_dual_mul_f32 v189, v166, v15
	s_delay_alu instid0(VALU_DEP_4) | instskip(SKIP_1) | instid1(VALU_DEP_3)
	v_add_f32_e32 v3, v3, v4
	v_add_f32_e32 v5, 0, v32
	v_dual_fmac_f32 v187, v163, v10 :: v_dual_fmac_f32 v188, v165, v12
	v_fmac_f32_e32 v186, v161, v8
	s_delay_alu instid0(VALU_DEP_4) | instskip(NEXT) | instid1(VALU_DEP_4)
	v_dual_add_f32 v2, v3, v2 :: v_dual_mul_f32 v7, v161, v9
	v_dual_fmac_f32 v185, v159, v6 :: v_dual_add_f32 v4, v5, v184
	v_dual_mul_f32 v5, v163, v11 :: v_dual_mul_f32 v190, v168, v17
	v_mul_f32_e32 v191, v170, v19
	s_delay_alu instid0(VALU_DEP_4) | instskip(NEXT) | instid1(VALU_DEP_4)
	v_fma_f32 v6, v160, v8, -v7
	v_add_f32_e32 v3, v4, v185
	v_mul_f32_e32 v4, v165, v13
	v_fma_f32 v5, v162, v10, -v5
	v_dual_fmac_f32 v189, v167, v14 :: v_dual_fmac_f32 v190, v169, v16
	v_add_f32_e32 v2, v2, v6
	v_mul_f32_e32 v6, v167, v15
	v_add_f32_e32 v3, v3, v186
	v_fma_f32 v4, v164, v12, -v4
	v_dual_mul_f32 v192, v172, v21 :: v_dual_mul_f32 v193, v174, v23
	s_delay_alu instid0(VALU_DEP_3) | instskip(SKIP_2) | instid1(VALU_DEP_3)
	v_dual_add_f32 v2, v2, v5 :: v_dual_add_f32 v3, v3, v187
	v_mul_f32_e32 v5, v169, v17
	v_fma_f32 v6, v166, v14, -v6
	v_dual_fmac_f32 v191, v171, v18 :: v_dual_add_f32 v2, v2, v4
	s_delay_alu instid0(VALU_DEP_4) | instskip(SKIP_3) | instid1(VALU_DEP_4)
	v_add_f32_e32 v3, v3, v188
	v_mul_f32_e32 v4, v171, v19
	v_fma_f32 v5, v168, v16, -v5
	v_fmac_f32_e32 v192, v173, v20
	v_dual_add_f32 v2, v2, v6 :: v_dual_add_f32 v3, v3, v189
	v_mul_f32_e32 v6, v173, v21
	v_fma_f32 v4, v170, v18, -v4
	v_dual_mul_f32 v195, v178, v27 :: v_dual_mul_f32 v196, v180, v29
	s_delay_alu instid0(VALU_DEP_4) | instskip(SKIP_3) | instid1(VALU_DEP_4)
	v_dual_add_f32 v2, v2, v5 :: v_dual_add_f32 v3, v3, v190
	v_mul_f32_e32 v5, v175, v23
	v_fma_f32 v6, v172, v20, -v6
	v_dual_fmac_f32 v193, v175, v22 :: v_dual_fmac_f32 v194, v177, v24
	v_dual_add_f32 v2, v2, v4 :: v_dual_add_f32 v3, v3, v191
	v_mul_f32_e32 v4, v177, v25
	v_fma_f32 v5, v174, v22, -v5
	v_fmac_f32_e32 v195, v179, v26
	s_delay_alu instid0(VALU_DEP_4) | instskip(SKIP_3) | instid1(VALU_DEP_4)
	v_dual_add_f32 v2, v2, v6 :: v_dual_add_f32 v3, v3, v192
	v_mul_f32_e32 v6, v179, v27
	v_fma_f32 v4, v176, v24, -v4
	v_fmac_f32_e32 v196, v181, v28
	v_add_f32_e32 v2, v2, v5
	v_add_f32_e32 v3, v3, v193
	v_mul_f32_e32 v5, v181, v29
	v_fma_f32 v6, v178, v26, -v6
	s_delay_alu instid0(VALU_DEP_3) | instskip(SKIP_1) | instid1(VALU_DEP_4)
	v_dual_add_f32 v2, v2, v4 :: v_dual_add_f32 v3, v3, v194
	v_mul_f32_e32 v4, v183, v31
	v_fma_f32 v5, v180, v28, -v5
	s_delay_alu instid0(VALU_DEP_3) | instskip(SKIP_1) | instid1(VALU_DEP_4)
	v_dual_add_f32 v2, v2, v6 :: v_dual_add_f32 v3, v3, v195
	v_fmac_f32_e32 v197, v183, v30
	v_fma_f32 v4, v182, v30, -v4
	s_delay_alu instid0(VALU_DEP_3) | instskip(NEXT) | instid1(VALU_DEP_1)
	v_dual_add_f32 v2, v2, v5 :: v_dual_add_f32 v3, v3, v196
	v_dual_add_f32 v2, v2, v4 :: v_dual_add_f32 v3, v3, v197
	s_wait_loadcnt 0x0
	s_delay_alu instid0(VALU_DEP_1)
	v_dual_sub_f32 v2, v151, v2 :: v_dual_sub_f32 v3, v152, v3
	scratch_store_b64 off, v[2:3], off offset:344
	v_cmpx_lt_u32_e32 42, v0
	s_cbranch_execz .LBB122_283
; %bb.282:
	scratch_load_b64 v[3:4], off, off offset:336
	v_mov_b32_e32 v2, v1
	scratch_store_b64 off, v[1:2], off offset:336
	s_wait_loadcnt 0x0
	ds_store_b64 v153, v[3:4]
.LBB122_283:
	s_wait_alu 0xfffe
	s_or_b32 exec_lo, exec_lo, s0
	s_wait_storecnt_dscnt 0x0
	s_barrier_signal -1
	s_barrier_wait -1
	global_inv scope:SCOPE_SE
	s_clause 0x8
	scratch_load_b128 v[2:5], off, off offset:344
	scratch_load_b128 v[6:9], off, off offset:360
	;; [unrolled: 1-line block ×8, first 2 shown]
	scratch_load_b64 v[30:31], off, off offset:336
	ds_load_2addr_b64 v[158:161], v1 offset0:103 offset1:104
	ds_load_2addr_b64 v[162:165], v1 offset0:105 offset1:106
	;; [unrolled: 1-line block ×8, first 2 shown]
	s_mov_b32 s0, exec_lo
	s_wait_loadcnt_dscnt 0x807
	v_dual_mul_f32 v1, v158, v3 :: v_dual_mul_f32 v32, v160, v5
	v_mul_f32_e32 v3, v159, v3
	v_mul_f32_e32 v5, v161, v5
	s_wait_loadcnt_dscnt 0x706
	v_dual_mul_f32 v151, v162, v7 :: v_dual_mul_f32 v152, v164, v9
	v_fmac_f32_e32 v32, v161, v4
	v_fma_f32 v3, v158, v2, -v3
	s_wait_loadcnt_dscnt 0x605
	v_dual_mul_f32 v190, v166, v11 :: v_dual_mul_f32 v191, v168, v13
	v_dual_fmac_f32 v1, v159, v2 :: v_dual_fmac_f32 v152, v165, v8
	v_mul_f32_e32 v2, v163, v7
	v_fma_f32 v4, v160, v4, -v5
	s_delay_alu instid0(VALU_DEP_4) | instskip(NEXT) | instid1(VALU_DEP_4)
	v_dual_add_f32 v3, 0, v3 :: v_dual_fmac_f32 v190, v167, v10
	v_add_f32_e32 v1, 0, v1
	s_delay_alu instid0(VALU_DEP_4) | instskip(SKIP_4) | instid1(VALU_DEP_3)
	v_fma_f32 v2, v162, v6, -v2
	s_wait_loadcnt_dscnt 0x504
	v_dual_mul_f32 v192, v170, v15 :: v_dual_mul_f32 v193, v172, v17
	v_add_f32_e32 v3, v3, v4
	v_dual_mul_f32 v5, v165, v9 :: v_dual_mul_f32 v4, v167, v11
	v_dual_add_f32 v1, v1, v32 :: v_dual_fmac_f32 v192, v171, v14
	s_delay_alu instid0(VALU_DEP_3) | instskip(NEXT) | instid1(VALU_DEP_3)
	v_add_f32_e32 v2, v3, v2
	v_fma_f32 v5, v164, v8, -v5
	v_fmac_f32_e32 v151, v163, v6
	v_fma_f32 v4, v166, v10, -v4
	s_wait_loadcnt_dscnt 0x403
	v_dual_mul_f32 v194, v174, v19 :: v_dual_mul_f32 v195, v176, v21
	s_delay_alu instid0(VALU_DEP_3) | instskip(NEXT) | instid1(VALU_DEP_2)
	v_dual_add_f32 v2, v2, v5 :: v_dual_add_f32 v1, v1, v151
	v_dual_mul_f32 v3, v169, v13 :: v_dual_fmac_f32 v194, v175, v18
	s_wait_loadcnt_dscnt 0x302
	v_dual_mul_f32 v196, v178, v23 :: v_dual_mul_f32 v197, v180, v25
	s_delay_alu instid0(VALU_DEP_3)
	v_add_f32_e32 v2, v2, v4
	v_mul_f32_e32 v4, v173, v17
	v_fma_f32 v3, v168, v12, -v3
	s_wait_loadcnt_dscnt 0x100
	v_dual_add_f32 v1, v1, v152 :: v_dual_mul_f32 v200, v186, v155
	v_mul_f32_e32 v201, v188, v157
	v_fma_f32 v4, v172, v16, -v4
	v_mul_f32_e32 v5, v171, v15
	s_delay_alu instid0(VALU_DEP_4) | instskip(SKIP_1) | instid1(VALU_DEP_3)
	v_dual_add_f32 v2, v2, v3 :: v_dual_add_f32 v1, v1, v190
	v_dual_mul_f32 v198, v182, v27 :: v_dual_mul_f32 v199, v184, v29
	v_fma_f32 v5, v170, v14, -v5
	v_dual_fmac_f32 v191, v169, v12 :: v_dual_fmac_f32 v196, v179, v22
	s_delay_alu instid0(VALU_DEP_3) | instskip(NEXT) | instid1(VALU_DEP_3)
	v_dual_fmac_f32 v198, v183, v26 :: v_dual_fmac_f32 v199, v185, v28
	v_dual_add_f32 v2, v2, v5 :: v_dual_fmac_f32 v201, v189, v156
	v_fmac_f32_e32 v200, v187, v154
	s_delay_alu instid0(VALU_DEP_2) | instskip(SKIP_2) | instid1(VALU_DEP_2)
	v_add_f32_e32 v2, v2, v4
	v_mul_f32_e32 v4, v179, v23
	v_add_f32_e32 v1, v1, v191
	v_fma_f32 v4, v178, v22, -v4
	v_mul_f32_e32 v5, v177, v21
	s_delay_alu instid0(VALU_DEP_3) | instskip(NEXT) | instid1(VALU_DEP_2)
	v_add_f32_e32 v1, v1, v192
	v_fma_f32 v5, v176, v20, -v5
	v_mul_f32_e32 v3, v175, v19
	s_delay_alu instid0(VALU_DEP_1) | instskip(NEXT) | instid1(VALU_DEP_1)
	v_fma_f32 v3, v174, v18, -v3
	v_dual_fmac_f32 v193, v173, v16 :: v_dual_add_f32 v2, v2, v3
	v_mul_f32_e32 v3, v181, v25
	s_delay_alu instid0(VALU_DEP_2) | instskip(NEXT) | instid1(VALU_DEP_2)
	v_dual_add_f32 v2, v2, v5 :: v_dual_mul_f32 v5, v183, v27
	v_fma_f32 v3, v180, v24, -v3
	s_delay_alu instid0(VALU_DEP_2) | instskip(SKIP_1) | instid1(VALU_DEP_4)
	v_dual_add_f32 v2, v2, v4 :: v_dual_add_f32 v1, v1, v193
	v_mul_f32_e32 v4, v185, v29
	v_fma_f32 v5, v182, v26, -v5
	s_delay_alu instid0(VALU_DEP_3) | instskip(SKIP_1) | instid1(VALU_DEP_4)
	v_dual_add_f32 v2, v2, v3 :: v_dual_fmac_f32 v195, v177, v20
	v_mul_f32_e32 v3, v187, v155
	v_fma_f32 v4, v184, v28, -v4
	s_delay_alu instid0(VALU_DEP_3) | instskip(SKIP_1) | instid1(VALU_DEP_4)
	v_dual_add_f32 v2, v2, v5 :: v_dual_add_f32 v1, v1, v194
	v_mul_f32_e32 v5, v189, v157
	v_fma_f32 v3, v186, v154, -v3
	s_delay_alu instid0(VALU_DEP_3) | instskip(SKIP_1) | instid1(VALU_DEP_4)
	v_add_f32_e32 v2, v2, v4
	v_fmac_f32_e32 v197, v181, v24
	v_fma_f32 v4, v188, v156, -v5
	s_delay_alu instid0(VALU_DEP_3) | instskip(NEXT) | instid1(VALU_DEP_1)
	v_add_f32_e32 v2, v2, v3
	v_dual_add_f32 v1, v1, v195 :: v_dual_add_f32 v2, v2, v4
	s_delay_alu instid0(VALU_DEP_1) | instskip(NEXT) | instid1(VALU_DEP_1)
	v_add_f32_e32 v1, v1, v196
	v_add_f32_e32 v1, v1, v197
	s_delay_alu instid0(VALU_DEP_1) | instskip(NEXT) | instid1(VALU_DEP_1)
	v_add_f32_e32 v1, v1, v198
	v_add_f32_e32 v1, v1, v199
	;; [unrolled: 3-line block ×3, first 2 shown]
	s_wait_loadcnt 0x0
	s_delay_alu instid0(VALU_DEP_1)
	v_dual_sub_f32 v1, v30, v2 :: v_dual_sub_f32 v2, v31, v3
	scratch_store_b64 off, v[1:2], off offset:336
	v_cmpx_lt_u32_e32 41, v0
	s_cbranch_execz .LBB122_285
; %bb.284:
	scratch_load_b64 v[1:2], off, off offset:328
	v_mov_b32_e32 v3, 0
	s_delay_alu instid0(VALU_DEP_1)
	v_mov_b32_e32 v4, v3
	scratch_store_b64 off, v[3:4], off offset:328
	s_wait_loadcnt 0x0
	ds_store_b64 v153, v[1:2]
.LBB122_285:
	s_wait_alu 0xfffe
	s_or_b32 exec_lo, exec_lo, s0
	s_wait_storecnt_dscnt 0x0
	s_barrier_signal -1
	s_barrier_wait -1
	global_inv scope:SCOPE_SE
	s_clause 0x9
	scratch_load_b128 v[2:5], off, off offset:336
	scratch_load_b128 v[6:9], off, off offset:352
	;; [unrolled: 1-line block ×8, first 2 shown]
	scratch_load_b64 v[30:31], off, off offset:464
	scratch_load_b64 v[151:152], off, off offset:328
	v_mov_b32_e32 v1, 0
	ds_load_b128 v[158:161], v1 offset:816
	ds_load_b128 v[162:165], v1 offset:832
	;; [unrolled: 1-line block ×8, first 2 shown]
	ds_load_b64 v[190:191], v1 offset:944
	s_mov_b32 s0, exec_lo
	s_wait_loadcnt_dscnt 0x908
	v_mul_f32_e32 v32, v158, v3
	s_wait_loadcnt_dscnt 0x807
	v_dual_mul_f32 v192, v160, v5 :: v_dual_mul_f32 v193, v162, v7
	v_mul_f32_e32 v3, v159, v3
	s_delay_alu instid0(VALU_DEP_3)
	v_dual_mul_f32 v5, v161, v5 :: v_dual_fmac_f32 v32, v159, v2
	s_wait_loadcnt_dscnt 0x302
	v_mul_f32_e32 v204, v184, v29
	v_dual_mul_f32 v194, v164, v9 :: v_dual_mul_f32 v195, v166, v11
	v_fma_f32 v3, v158, v2, -v3
	s_wait_loadcnt_dscnt 0x100
	v_mul_f32_e32 v207, v190, v31
	v_mul_f32_e32 v2, v163, v7
	v_fmac_f32_e32 v192, v161, v4
	v_fma_f32 v4, v160, v4, -v5
	v_dual_add_f32 v3, 0, v3 :: v_dual_mul_f32 v196, v168, v13
	v_mul_f32_e32 v197, v170, v15
	v_fma_f32 v2, v162, v6, -v2
	v_fmac_f32_e32 v195, v167, v10
	s_delay_alu instid0(VALU_DEP_4)
	v_add_f32_e32 v3, v3, v4
	v_add_f32_e32 v5, 0, v32
	v_fmac_f32_e32 v196, v169, v12
	v_fmac_f32_e32 v194, v165, v8
	v_dual_mul_f32 v198, v172, v17 :: v_dual_mul_f32 v199, v174, v19
	v_dual_add_f32 v2, v3, v2 :: v_dual_mul_f32 v7, v165, v9
	v_dual_fmac_f32 v193, v163, v6 :: v_dual_add_f32 v4, v5, v192
	v_mul_f32_e32 v5, v167, v11
	s_delay_alu instid0(VALU_DEP_4) | instskip(NEXT) | instid1(VALU_DEP_4)
	v_dual_fmac_f32 v197, v171, v14 :: v_dual_fmac_f32 v198, v173, v16
	v_fma_f32 v6, v164, v8, -v7
	s_delay_alu instid0(VALU_DEP_4)
	v_add_f32_e32 v3, v4, v193
	v_mul_f32_e32 v4, v169, v13
	v_fma_f32 v5, v166, v10, -v5
	v_dual_mul_f32 v200, v176, v21 :: v_dual_mul_f32 v201, v178, v23
	v_add_f32_e32 v2, v2, v6
	v_mul_f32_e32 v6, v171, v15
	v_add_f32_e32 v3, v3, v194
	v_fma_f32 v4, v168, v12, -v4
	v_dual_mul_f32 v202, v180, v25 :: v_dual_mul_f32 v203, v182, v27
	s_delay_alu instid0(VALU_DEP_3) | instskip(SKIP_2) | instid1(VALU_DEP_3)
	v_dual_add_f32 v2, v2, v5 :: v_dual_add_f32 v3, v3, v195
	v_mul_f32_e32 v5, v173, v17
	v_fma_f32 v6, v170, v14, -v6
	v_dual_fmac_f32 v199, v175, v18 :: v_dual_add_f32 v2, v2, v4
	s_delay_alu instid0(VALU_DEP_4) | instskip(SKIP_3) | instid1(VALU_DEP_4)
	v_add_f32_e32 v3, v3, v196
	v_mul_f32_e32 v4, v175, v19
	v_fma_f32 v5, v172, v16, -v5
	v_fmac_f32_e32 v200, v177, v20
	v_dual_add_f32 v2, v2, v6 :: v_dual_add_f32 v3, v3, v197
	v_mul_f32_e32 v6, v177, v21
	v_fma_f32 v4, v174, v18, -v4
	v_dual_fmac_f32 v201, v179, v22 :: v_dual_fmac_f32 v202, v181, v24
	s_delay_alu instid0(VALU_DEP_4) | instskip(SKIP_3) | instid1(VALU_DEP_4)
	v_dual_add_f32 v2, v2, v5 :: v_dual_add_f32 v3, v3, v198
	v_mul_f32_e32 v5, v179, v23
	v_fma_f32 v6, v176, v20, -v6
	v_dual_mul_f32 v205, v186, v155 :: v_dual_mul_f32 v206, v188, v157
	v_dual_add_f32 v2, v2, v4 :: v_dual_add_f32 v3, v3, v199
	v_mul_f32_e32 v4, v181, v25
	v_fma_f32 v5, v178, v22, -v5
	v_fmac_f32_e32 v203, v183, v26
	s_delay_alu instid0(VALU_DEP_4) | instskip(SKIP_3) | instid1(VALU_DEP_4)
	v_dual_add_f32 v2, v2, v6 :: v_dual_add_f32 v3, v3, v200
	v_mul_f32_e32 v6, v183, v27
	v_fma_f32 v4, v180, v24, -v4
	v_fmac_f32_e32 v204, v185, v28
	v_add_f32_e32 v2, v2, v5
	v_add_f32_e32 v3, v3, v201
	v_mul_f32_e32 v5, v185, v29
	v_fma_f32 v6, v182, v26, -v6
	s_delay_alu instid0(VALU_DEP_4) | instskip(NEXT) | instid1(VALU_DEP_4)
	v_dual_fmac_f32 v205, v187, v154 :: v_dual_add_f32 v2, v2, v4
	v_add_f32_e32 v3, v3, v202
	v_mul_f32_e32 v4, v187, v155
	v_fma_f32 v5, v184, v28, -v5
	v_fmac_f32_e32 v206, v189, v156
	s_delay_alu instid0(VALU_DEP_4) | instskip(SKIP_2) | instid1(VALU_DEP_3)
	v_dual_add_f32 v2, v2, v6 :: v_dual_add_f32 v3, v3, v203
	v_mul_f32_e32 v6, v189, v157
	v_fma_f32 v4, v186, v154, -v4
	v_dual_add_f32 v2, v2, v5 :: v_dual_add_f32 v3, v3, v204
	v_mul_f32_e32 v5, v191, v31
	s_delay_alu instid0(VALU_DEP_4) | instskip(NEXT) | instid1(VALU_DEP_3)
	v_fma_f32 v6, v188, v156, -v6
	v_dual_add_f32 v2, v2, v4 :: v_dual_add_f32 v3, v3, v205
	s_delay_alu instid0(VALU_DEP_3) | instskip(NEXT) | instid1(VALU_DEP_2)
	v_fma_f32 v4, v190, v30, -v5
	v_add_f32_e32 v3, v3, v206
	s_delay_alu instid0(VALU_DEP_3) | instskip(NEXT) | instid1(VALU_DEP_1)
	v_add_f32_e32 v2, v2, v6
	v_dual_fmac_f32 v207, v191, v30 :: v_dual_add_f32 v2, v2, v4
	s_delay_alu instid0(VALU_DEP_1) | instskip(SKIP_1) | instid1(VALU_DEP_1)
	v_add_f32_e32 v3, v3, v207
	s_wait_loadcnt 0x0
	v_dual_sub_f32 v2, v151, v2 :: v_dual_sub_f32 v3, v152, v3
	scratch_store_b64 off, v[2:3], off offset:328
	v_cmpx_lt_u32_e32 40, v0
	s_cbranch_execz .LBB122_287
; %bb.286:
	scratch_load_b64 v[3:4], off, off offset:320
	v_mov_b32_e32 v2, v1
	scratch_store_b64 off, v[1:2], off offset:320
	s_wait_loadcnt 0x0
	ds_store_b64 v153, v[3:4]
.LBB122_287:
	s_wait_alu 0xfffe
	s_or_b32 exec_lo, exec_lo, s0
	s_wait_storecnt_dscnt 0x0
	s_barrier_signal -1
	s_barrier_wait -1
	global_inv scope:SCOPE_SE
	s_clause 0x9
	scratch_load_b128 v[2:5], off, off offset:328
	scratch_load_b128 v[6:9], off, off offset:344
	;; [unrolled: 1-line block ×9, first 2 shown]
	scratch_load_b64 v[30:31], off, off offset:320
	ds_load_2addr_b64 v[162:165], v1 offset0:101 offset1:102
	ds_load_2addr_b64 v[166:169], v1 offset0:103 offset1:104
	;; [unrolled: 1-line block ×9, first 2 shown]
	s_mov_b32 s0, exec_lo
	s_wait_loadcnt_dscnt 0x908
	v_dual_mul_f32 v1, v162, v3 :: v_dual_mul_f32 v32, v164, v5
	v_mul_f32_e32 v3, v163, v3
	v_mul_f32_e32 v5, v165, v5
	s_wait_loadcnt_dscnt 0x807
	v_dual_mul_f32 v151, v166, v7 :: v_dual_mul_f32 v152, v168, v9
	v_fmac_f32_e32 v32, v165, v4
	v_fma_f32 v3, v162, v2, -v3
	s_wait_loadcnt_dscnt 0x706
	v_dual_mul_f32 v198, v170, v11 :: v_dual_mul_f32 v199, v172, v13
	v_dual_fmac_f32 v1, v163, v2 :: v_dual_fmac_f32 v152, v169, v8
	v_mul_f32_e32 v2, v167, v7
	v_fma_f32 v4, v164, v4, -v5
	s_delay_alu instid0(VALU_DEP_4) | instskip(NEXT) | instid1(VALU_DEP_4)
	v_dual_add_f32 v3, 0, v3 :: v_dual_fmac_f32 v198, v171, v10
	v_add_f32_e32 v1, 0, v1
	s_delay_alu instid0(VALU_DEP_4) | instskip(SKIP_4) | instid1(VALU_DEP_3)
	v_fma_f32 v2, v166, v6, -v2
	s_wait_loadcnt_dscnt 0x605
	v_dual_mul_f32 v200, v174, v15 :: v_dual_mul_f32 v201, v176, v17
	v_add_f32_e32 v3, v3, v4
	v_dual_mul_f32 v5, v169, v9 :: v_dual_mul_f32 v4, v171, v11
	v_dual_add_f32 v1, v1, v32 :: v_dual_fmac_f32 v200, v175, v14
	s_delay_alu instid0(VALU_DEP_3) | instskip(NEXT) | instid1(VALU_DEP_3)
	v_add_f32_e32 v2, v3, v2
	v_fma_f32 v5, v168, v8, -v5
	v_fmac_f32_e32 v151, v167, v6
	v_fma_f32 v4, v170, v10, -v4
	s_wait_loadcnt_dscnt 0x504
	v_dual_mul_f32 v202, v178, v19 :: v_dual_mul_f32 v203, v180, v21
	s_delay_alu instid0(VALU_DEP_3) | instskip(NEXT) | instid1(VALU_DEP_2)
	v_dual_add_f32 v2, v2, v5 :: v_dual_add_f32 v1, v1, v151
	v_dual_mul_f32 v3, v173, v13 :: v_dual_fmac_f32 v202, v179, v18
	s_wait_loadcnt_dscnt 0x403
	v_dual_mul_f32 v204, v182, v23 :: v_dual_mul_f32 v205, v184, v25
	s_delay_alu instid0(VALU_DEP_3)
	v_add_f32_e32 v2, v2, v4
	v_mul_f32_e32 v4, v177, v17
	v_fma_f32 v3, v172, v12, -v3
	s_wait_loadcnt_dscnt 0x201
	v_dual_add_f32 v1, v1, v152 :: v_dual_mul_f32 v208, v190, v155
	v_mul_f32_e32 v209, v192, v157
	v_fma_f32 v4, v176, v16, -v4
	v_mul_f32_e32 v5, v175, v15
	s_delay_alu instid0(VALU_DEP_4) | instskip(SKIP_1) | instid1(VALU_DEP_3)
	v_dual_add_f32 v2, v2, v3 :: v_dual_add_f32 v1, v1, v198
	v_dual_mul_f32 v206, v186, v27 :: v_dual_mul_f32 v207, v188, v29
	v_fma_f32 v5, v174, v14, -v5
	v_dual_fmac_f32 v199, v173, v12 :: v_dual_fmac_f32 v204, v183, v22
	s_delay_alu instid0(VALU_DEP_3) | instskip(SKIP_4) | instid1(VALU_DEP_3)
	v_fmac_f32_e32 v206, v187, v26
	s_wait_loadcnt_dscnt 0x100
	v_dual_mul_f32 v210, v194, v159 :: v_dual_mul_f32 v211, v196, v161
	v_dual_add_f32 v2, v2, v5 :: v_dual_fmac_f32 v205, v185, v24
	v_dual_fmac_f32 v209, v193, v156 :: v_dual_fmac_f32 v208, v191, v154
	v_fmac_f32_e32 v211, v197, v160
	s_delay_alu instid0(VALU_DEP_3) | instskip(SKIP_2) | instid1(VALU_DEP_2)
	v_add_f32_e32 v2, v2, v4
	v_mul_f32_e32 v4, v183, v23
	v_dual_add_f32 v1, v1, v199 :: v_dual_fmac_f32 v210, v195, v158
	v_fma_f32 v4, v182, v22, -v4
	v_mul_f32_e32 v5, v181, v21
	s_delay_alu instid0(VALU_DEP_3) | instskip(NEXT) | instid1(VALU_DEP_2)
	v_add_f32_e32 v1, v1, v200
	v_fma_f32 v5, v180, v20, -v5
	v_mul_f32_e32 v3, v179, v19
	s_delay_alu instid0(VALU_DEP_1) | instskip(NEXT) | instid1(VALU_DEP_1)
	v_fma_f32 v3, v178, v18, -v3
	v_dual_fmac_f32 v201, v177, v16 :: v_dual_add_f32 v2, v2, v3
	v_mul_f32_e32 v3, v185, v25
	s_delay_alu instid0(VALU_DEP_2) | instskip(NEXT) | instid1(VALU_DEP_2)
	v_dual_add_f32 v2, v2, v5 :: v_dual_mul_f32 v5, v187, v27
	v_fma_f32 v3, v184, v24, -v3
	s_delay_alu instid0(VALU_DEP_2) | instskip(SKIP_1) | instid1(VALU_DEP_4)
	v_dual_add_f32 v2, v2, v4 :: v_dual_add_f32 v1, v1, v201
	v_mul_f32_e32 v4, v189, v29
	v_fma_f32 v5, v186, v26, -v5
	s_delay_alu instid0(VALU_DEP_3) | instskip(NEXT) | instid1(VALU_DEP_3)
	v_dual_add_f32 v2, v2, v3 :: v_dual_fmac_f32 v203, v181, v20
	v_fma_f32 v4, v188, v28, -v4
	s_delay_alu instid0(VALU_DEP_2) | instskip(SKIP_1) | instid1(VALU_DEP_2)
	v_add_f32_e32 v2, v2, v5
	v_mul_f32_e32 v5, v193, v157
	v_dual_add_f32 v1, v1, v202 :: v_dual_add_f32 v2, v2, v4
	s_delay_alu instid0(VALU_DEP_2) | instskip(SKIP_1) | instid1(VALU_DEP_3)
	v_fma_f32 v5, v192, v156, -v5
	v_mul_f32_e32 v3, v191, v155
	v_add_f32_e32 v1, v1, v203
	v_mul_f32_e32 v4, v195, v159
	s_delay_alu instid0(VALU_DEP_3) | instskip(NEXT) | instid1(VALU_DEP_3)
	v_fma_f32 v3, v190, v154, -v3
	v_add_f32_e32 v1, v1, v204
	s_delay_alu instid0(VALU_DEP_3) | instskip(NEXT) | instid1(VALU_DEP_3)
	v_fma_f32 v4, v194, v158, -v4
	v_dual_add_f32 v2, v2, v3 :: v_dual_mul_f32 v3, v197, v161
	s_delay_alu instid0(VALU_DEP_1) | instskip(NEXT) | instid1(VALU_DEP_4)
	v_add_f32_e32 v2, v2, v5
	v_add_f32_e32 v1, v1, v205
	s_delay_alu instid0(VALU_DEP_3) | instskip(NEXT) | instid1(VALU_DEP_3)
	v_fma_f32 v3, v196, v160, -v3
	v_add_f32_e32 v2, v2, v4
	v_fmac_f32_e32 v207, v189, v28
	s_delay_alu instid0(VALU_DEP_2) | instskip(NEXT) | instid1(VALU_DEP_1)
	v_dual_add_f32 v1, v1, v206 :: v_dual_add_f32 v2, v2, v3
	v_add_f32_e32 v1, v1, v207
	s_delay_alu instid0(VALU_DEP_1) | instskip(NEXT) | instid1(VALU_DEP_1)
	v_add_f32_e32 v1, v1, v208
	v_add_f32_e32 v1, v1, v209
	s_delay_alu instid0(VALU_DEP_1) | instskip(NEXT) | instid1(VALU_DEP_1)
	v_add_f32_e32 v1, v1, v210
	v_add_f32_e32 v3, v1, v211
	s_wait_loadcnt 0x0
	s_delay_alu instid0(VALU_DEP_1)
	v_dual_sub_f32 v1, v30, v2 :: v_dual_sub_f32 v2, v31, v3
	scratch_store_b64 off, v[1:2], off offset:320
	v_cmpx_lt_u32_e32 39, v0
	s_cbranch_execz .LBB122_289
; %bb.288:
	scratch_load_b64 v[1:2], off, off offset:312
	v_mov_b32_e32 v3, 0
	s_delay_alu instid0(VALU_DEP_1)
	v_mov_b32_e32 v4, v3
	scratch_store_b64 off, v[3:4], off offset:312
	s_wait_loadcnt 0x0
	ds_store_b64 v153, v[1:2]
.LBB122_289:
	s_wait_alu 0xfffe
	s_or_b32 exec_lo, exec_lo, s0
	s_wait_storecnt_dscnt 0x0
	s_barrier_signal -1
	s_barrier_wait -1
	global_inv scope:SCOPE_SE
	s_clause 0xa
	scratch_load_b128 v[2:5], off, off offset:320
	scratch_load_b128 v[6:9], off, off offset:336
	;; [unrolled: 1-line block ×9, first 2 shown]
	scratch_load_b64 v[30:31], off, off offset:464
	scratch_load_b64 v[151:152], off, off offset:312
	v_mov_b32_e32 v1, 0
	ds_load_b128 v[162:165], v1 offset:800
	ds_load_b128 v[166:169], v1 offset:816
	;; [unrolled: 1-line block ×9, first 2 shown]
	ds_load_b64 v[198:199], v1 offset:944
	s_mov_b32 s0, exec_lo
	s_wait_loadcnt_dscnt 0xa09
	v_mul_f32_e32 v32, v162, v3
	s_wait_loadcnt_dscnt 0x908
	v_dual_mul_f32 v200, v164, v5 :: v_dual_mul_f32 v201, v166, v7
	v_mul_f32_e32 v3, v163, v3
	s_delay_alu instid0(VALU_DEP_3)
	v_dual_mul_f32 v5, v165, v5 :: v_dual_fmac_f32 v32, v163, v2
	s_wait_loadcnt_dscnt 0x807
	v_dual_mul_f32 v202, v168, v9 :: v_dual_mul_f32 v203, v170, v11
	s_wait_loadcnt_dscnt 0x302
	v_mul_f32_e32 v214, v192, v157
	v_fma_f32 v3, v162, v2, -v3
	s_wait_loadcnt_dscnt 0x100
	v_mul_f32_e32 v217, v198, v31
	v_mul_f32_e32 v2, v167, v7
	v_fmac_f32_e32 v200, v165, v4
	v_fma_f32 v4, v164, v4, -v5
	v_dual_add_f32 v3, 0, v3 :: v_dual_mul_f32 v204, v172, v13
	v_mul_f32_e32 v205, v174, v15
	v_fma_f32 v2, v166, v6, -v2
	v_fmac_f32_e32 v203, v171, v10
	s_delay_alu instid0(VALU_DEP_4) | instskip(SKIP_3) | instid1(VALU_DEP_4)
	v_add_f32_e32 v3, v3, v4
	v_add_f32_e32 v5, 0, v32
	v_fmac_f32_e32 v204, v173, v12
	v_dual_mul_f32 v206, v176, v17 :: v_dual_mul_f32 v207, v178, v19
	v_dual_add_f32 v2, v3, v2 :: v_dual_mul_f32 v7, v169, v9
	s_delay_alu instid0(VALU_DEP_4) | instskip(SKIP_1) | instid1(VALU_DEP_3)
	v_dual_fmac_f32 v201, v167, v6 :: v_dual_add_f32 v4, v5, v200
	v_dual_mul_f32 v5, v171, v11 :: v_dual_fmac_f32 v202, v169, v8
	v_fma_f32 v6, v168, v8, -v7
	v_dual_fmac_f32 v205, v175, v14 :: v_dual_fmac_f32 v206, v177, v16
	s_delay_alu instid0(VALU_DEP_4)
	v_add_f32_e32 v3, v4, v201
	v_mul_f32_e32 v4, v173, v13
	v_fma_f32 v5, v170, v10, -v5
	v_add_f32_e32 v2, v2, v6
	v_mul_f32_e32 v6, v175, v15
	v_add_f32_e32 v3, v3, v202
	v_fma_f32 v4, v172, v12, -v4
	v_dual_mul_f32 v208, v180, v21 :: v_dual_mul_f32 v209, v182, v23
	s_delay_alu instid0(VALU_DEP_3) | instskip(SKIP_3) | instid1(VALU_DEP_4)
	v_dual_add_f32 v2, v2, v5 :: v_dual_add_f32 v3, v3, v203
	v_mul_f32_e32 v5, v177, v17
	v_fma_f32 v6, v174, v14, -v6
	v_dual_mul_f32 v210, v184, v25 :: v_dual_mul_f32 v211, v186, v27
	v_add_f32_e32 v2, v2, v4
	v_add_f32_e32 v3, v3, v204
	v_mul_f32_e32 v4, v179, v19
	v_fma_f32 v5, v176, v16, -v5
	v_fmac_f32_e32 v207, v179, v18
	s_delay_alu instid0(VALU_DEP_4) | instskip(SKIP_3) | instid1(VALU_DEP_4)
	v_dual_add_f32 v2, v2, v6 :: v_dual_add_f32 v3, v3, v205
	v_fmac_f32_e32 v208, v181, v20
	v_mul_f32_e32 v6, v181, v21
	v_fma_f32 v4, v178, v18, -v4
	v_dual_add_f32 v2, v2, v5 :: v_dual_add_f32 v3, v3, v206
	v_mul_f32_e32 v5, v183, v23
	s_delay_alu instid0(VALU_DEP_4) | instskip(SKIP_1) | instid1(VALU_DEP_4)
	v_fma_f32 v6, v180, v20, -v6
	v_dual_fmac_f32 v209, v183, v22 :: v_dual_fmac_f32 v210, v185, v24
	v_dual_add_f32 v2, v2, v4 :: v_dual_add_f32 v3, v3, v207
	v_mul_f32_e32 v4, v185, v25
	v_fma_f32 v5, v182, v22, -v5
	v_fmac_f32_e32 v211, v187, v26
	s_delay_alu instid0(VALU_DEP_4) | instskip(SKIP_3) | instid1(VALU_DEP_4)
	v_dual_add_f32 v2, v2, v6 :: v_dual_add_f32 v3, v3, v208
	v_mul_f32_e32 v6, v187, v27
	v_fma_f32 v4, v184, v24, -v4
	v_dual_mul_f32 v212, v188, v29 :: v_dual_mul_f32 v213, v190, v155
	v_add_f32_e32 v2, v2, v5
	v_add_f32_e32 v3, v3, v209
	v_mul_f32_e32 v5, v189, v29
	v_fma_f32 v6, v186, v26, -v6
	v_fmac_f32_e32 v212, v189, v28
	s_delay_alu instid0(VALU_DEP_4) | instskip(SKIP_3) | instid1(VALU_DEP_4)
	v_dual_add_f32 v2, v2, v4 :: v_dual_add_f32 v3, v3, v210
	v_mul_f32_e32 v4, v191, v155
	v_fma_f32 v5, v188, v28, -v5
	v_fmac_f32_e32 v213, v191, v154
	v_dual_add_f32 v2, v2, v6 :: v_dual_add_f32 v3, v3, v211
	v_mul_f32_e32 v6, v193, v157
	v_fma_f32 v4, v190, v154, -v4
	v_dual_mul_f32 v215, v194, v159 :: v_dual_mul_f32 v216, v196, v161
	s_delay_alu instid0(VALU_DEP_4) | instskip(SKIP_2) | instid1(VALU_DEP_3)
	v_dual_add_f32 v2, v2, v5 :: v_dual_add_f32 v3, v3, v212
	v_dual_mul_f32 v5, v195, v159 :: v_dual_fmac_f32 v214, v193, v156
	v_fma_f32 v6, v192, v156, -v6
	v_dual_add_f32 v2, v2, v4 :: v_dual_add_f32 v3, v3, v213
	v_dual_mul_f32 v4, v197, v161 :: v_dual_fmac_f32 v215, v195, v158
	s_delay_alu instid0(VALU_DEP_4) | instskip(NEXT) | instid1(VALU_DEP_3)
	v_fma_f32 v5, v194, v158, -v5
	v_dual_fmac_f32 v216, v197, v160 :: v_dual_add_f32 v3, v3, v214
	s_delay_alu instid0(VALU_DEP_4) | instskip(SKIP_3) | instid1(VALU_DEP_4)
	v_add_f32_e32 v2, v2, v6
	v_mul_f32_e32 v6, v199, v31
	v_fma_f32 v4, v196, v160, -v4
	v_fmac_f32_e32 v217, v199, v30
	v_dual_add_f32 v3, v3, v215 :: v_dual_add_f32 v2, v2, v5
	s_delay_alu instid0(VALU_DEP_4) | instskip(NEXT) | instid1(VALU_DEP_2)
	v_fma_f32 v5, v198, v30, -v6
	v_add_f32_e32 v3, v3, v216
	s_delay_alu instid0(VALU_DEP_1) | instskip(SKIP_1) | instid1(VALU_DEP_1)
	v_dual_add_f32 v2, v2, v4 :: v_dual_add_f32 v3, v3, v217
	s_wait_loadcnt 0x0
	v_dual_add_f32 v2, v2, v5 :: v_dual_sub_f32 v3, v152, v3
	s_delay_alu instid0(VALU_DEP_1)
	v_sub_f32_e32 v2, v151, v2
	scratch_store_b64 off, v[2:3], off offset:312
	v_cmpx_lt_u32_e32 38, v0
	s_cbranch_execz .LBB122_291
; %bb.290:
	scratch_load_b64 v[3:4], off, off offset:304
	v_mov_b32_e32 v2, v1
	scratch_store_b64 off, v[1:2], off offset:304
	s_wait_loadcnt 0x0
	ds_store_b64 v153, v[3:4]
.LBB122_291:
	s_wait_alu 0xfffe
	s_or_b32 exec_lo, exec_lo, s0
	s_wait_storecnt_dscnt 0x0
	s_barrier_signal -1
	s_barrier_wait -1
	global_inv scope:SCOPE_SE
	s_clause 0xa
	scratch_load_b128 v[2:5], off, off offset:312
	scratch_load_b128 v[6:9], off, off offset:328
	;; [unrolled: 1-line block ×10, first 2 shown]
	scratch_load_b64 v[30:31], off, off offset:304
	ds_load_2addr_b64 v[166:169], v1 offset0:99 offset1:100
	ds_load_2addr_b64 v[170:173], v1 offset0:101 offset1:102
	;; [unrolled: 1-line block ×10, first 2 shown]
	s_mov_b32 s0, exec_lo
	s_wait_loadcnt_dscnt 0xa09
	v_dual_mul_f32 v1, v166, v3 :: v_dual_mul_f32 v32, v168, v5
	v_mul_f32_e32 v3, v167, v3
	v_mul_f32_e32 v5, v169, v5
	s_wait_loadcnt_dscnt 0x908
	v_dual_mul_f32 v151, v170, v7 :: v_dual_mul_f32 v152, v172, v9
	v_fmac_f32_e32 v32, v169, v4
	v_fma_f32 v3, v166, v2, -v3
	s_wait_loadcnt_dscnt 0x807
	v_dual_mul_f32 v206, v174, v11 :: v_dual_mul_f32 v207, v176, v13
	v_dual_fmac_f32 v1, v167, v2 :: v_dual_fmac_f32 v152, v173, v8
	v_mul_f32_e32 v2, v171, v7
	v_fma_f32 v4, v168, v4, -v5
	s_delay_alu instid0(VALU_DEP_4) | instskip(NEXT) | instid1(VALU_DEP_4)
	v_dual_add_f32 v3, 0, v3 :: v_dual_fmac_f32 v206, v175, v10
	v_add_f32_e32 v1, 0, v1
	s_delay_alu instid0(VALU_DEP_4) | instskip(SKIP_4) | instid1(VALU_DEP_3)
	v_fma_f32 v2, v170, v6, -v2
	s_wait_loadcnt_dscnt 0x706
	v_dual_mul_f32 v208, v178, v15 :: v_dual_mul_f32 v209, v180, v17
	v_add_f32_e32 v3, v3, v4
	v_dual_mul_f32 v5, v173, v9 :: v_dual_mul_f32 v4, v175, v11
	v_dual_add_f32 v1, v1, v32 :: v_dual_fmac_f32 v208, v179, v14
	s_delay_alu instid0(VALU_DEP_3) | instskip(NEXT) | instid1(VALU_DEP_3)
	v_add_f32_e32 v2, v3, v2
	v_fma_f32 v5, v172, v8, -v5
	v_fmac_f32_e32 v151, v171, v6
	v_fma_f32 v4, v174, v10, -v4
	s_wait_loadcnt_dscnt 0x605
	v_dual_mul_f32 v210, v182, v19 :: v_dual_mul_f32 v211, v184, v21
	s_delay_alu instid0(VALU_DEP_3) | instskip(NEXT) | instid1(VALU_DEP_2)
	v_dual_add_f32 v2, v2, v5 :: v_dual_add_f32 v1, v1, v151
	v_dual_mul_f32 v3, v177, v13 :: v_dual_fmac_f32 v210, v183, v18
	s_wait_loadcnt_dscnt 0x504
	v_dual_mul_f32 v212, v186, v23 :: v_dual_mul_f32 v213, v188, v25
	s_delay_alu instid0(VALU_DEP_3)
	v_add_f32_e32 v2, v2, v4
	v_mul_f32_e32 v4, v181, v17
	v_fma_f32 v3, v176, v12, -v3
	s_wait_loadcnt_dscnt 0x302
	v_dual_add_f32 v1, v1, v152 :: v_dual_mul_f32 v216, v194, v155
	v_mul_f32_e32 v217, v196, v157
	v_fma_f32 v4, v180, v16, -v4
	v_mul_f32_e32 v5, v179, v15
	s_delay_alu instid0(VALU_DEP_4) | instskip(SKIP_1) | instid1(VALU_DEP_3)
	v_dual_add_f32 v2, v2, v3 :: v_dual_add_f32 v1, v1, v206
	v_dual_mul_f32 v214, v190, v27 :: v_dual_mul_f32 v215, v192, v29
	v_fma_f32 v5, v178, v14, -v5
	v_dual_fmac_f32 v207, v177, v12 :: v_dual_fmac_f32 v212, v187, v22
	s_delay_alu instid0(VALU_DEP_3)
	v_fmac_f32_e32 v214, v191, v26
	s_wait_loadcnt_dscnt 0x201
	v_dual_mul_f32 v218, v198, v159 :: v_dual_mul_f32 v219, v200, v161
	v_dual_add_f32 v2, v2, v5 :: v_dual_fmac_f32 v213, v189, v24
	s_wait_loadcnt_dscnt 0x100
	v_dual_mul_f32 v220, v202, v163 :: v_dual_mul_f32 v221, v204, v165
	v_fmac_f32_e32 v215, v193, v28
	s_delay_alu instid0(VALU_DEP_3) | instskip(SKIP_1) | instid1(VALU_DEP_4)
	v_add_f32_e32 v2, v2, v4
	v_mul_f32_e32 v4, v187, v23
	v_dual_add_f32 v1, v1, v207 :: v_dual_fmac_f32 v220, v203, v162
	v_fmac_f32_e32 v217, v197, v156
	v_fmac_f32_e32 v219, v201, v160
	s_delay_alu instid0(VALU_DEP_4) | instskip(SKIP_3) | instid1(VALU_DEP_3)
	v_fma_f32 v4, v186, v22, -v4
	v_mul_f32_e32 v5, v185, v21
	v_dual_add_f32 v1, v1, v208 :: v_dual_fmac_f32 v216, v195, v154
	v_dual_fmac_f32 v221, v205, v164 :: v_dual_fmac_f32 v218, v199, v158
	v_fma_f32 v5, v184, v20, -v5
	v_mul_f32_e32 v3, v183, v19
	s_delay_alu instid0(VALU_DEP_1) | instskip(NEXT) | instid1(VALU_DEP_1)
	v_fma_f32 v3, v182, v18, -v3
	v_dual_fmac_f32 v209, v181, v16 :: v_dual_add_f32 v2, v2, v3
	v_mul_f32_e32 v3, v189, v25
	s_delay_alu instid0(VALU_DEP_2) | instskip(NEXT) | instid1(VALU_DEP_2)
	v_dual_add_f32 v2, v2, v5 :: v_dual_mul_f32 v5, v191, v27
	v_fma_f32 v3, v188, v24, -v3
	s_delay_alu instid0(VALU_DEP_2) | instskip(SKIP_1) | instid1(VALU_DEP_4)
	v_dual_add_f32 v2, v2, v4 :: v_dual_add_f32 v1, v1, v209
	v_mul_f32_e32 v4, v193, v29
	v_fma_f32 v5, v190, v26, -v5
	s_delay_alu instid0(VALU_DEP_3) | instskip(NEXT) | instid1(VALU_DEP_3)
	v_dual_add_f32 v2, v2, v3 :: v_dual_fmac_f32 v211, v185, v20
	v_fma_f32 v4, v192, v28, -v4
	s_delay_alu instid0(VALU_DEP_2) | instskip(SKIP_1) | instid1(VALU_DEP_2)
	v_add_f32_e32 v2, v2, v5
	v_mul_f32_e32 v5, v197, v157
	v_dual_add_f32 v1, v1, v210 :: v_dual_add_f32 v2, v2, v4
	s_delay_alu instid0(VALU_DEP_2) | instskip(SKIP_1) | instid1(VALU_DEP_3)
	v_fma_f32 v5, v196, v156, -v5
	v_mul_f32_e32 v3, v195, v155
	v_add_f32_e32 v1, v1, v211
	v_mul_f32_e32 v4, v199, v159
	s_delay_alu instid0(VALU_DEP_3) | instskip(NEXT) | instid1(VALU_DEP_3)
	v_fma_f32 v3, v194, v154, -v3
	v_add_f32_e32 v1, v1, v212
	s_delay_alu instid0(VALU_DEP_3) | instskip(NEXT) | instid1(VALU_DEP_3)
	v_fma_f32 v4, v198, v158, -v4
	v_dual_add_f32 v2, v2, v3 :: v_dual_mul_f32 v3, v201, v161
	s_delay_alu instid0(VALU_DEP_1) | instskip(NEXT) | instid1(VALU_DEP_4)
	v_add_f32_e32 v2, v2, v5
	v_add_f32_e32 v1, v1, v213
	v_mul_f32_e32 v5, v203, v163
	s_delay_alu instid0(VALU_DEP_4) | instskip(NEXT) | instid1(VALU_DEP_3)
	v_fma_f32 v3, v200, v160, -v3
	v_dual_add_f32 v2, v2, v4 :: v_dual_add_f32 v1, v1, v214
	v_mul_f32_e32 v4, v205, v165
	s_delay_alu instid0(VALU_DEP_4) | instskip(NEXT) | instid1(VALU_DEP_3)
	v_fma_f32 v5, v202, v162, -v5
	v_add_f32_e32 v2, v2, v3
	s_delay_alu instid0(VALU_DEP_4) | instskip(NEXT) | instid1(VALU_DEP_4)
	v_add_f32_e32 v1, v1, v215
	v_fma_f32 v3, v204, v164, -v4
	s_delay_alu instid0(VALU_DEP_2) | instskip(NEXT) | instid1(VALU_DEP_1)
	v_dual_add_f32 v2, v2, v5 :: v_dual_add_f32 v1, v1, v216
	v_dual_add_f32 v2, v2, v3 :: v_dual_add_f32 v1, v1, v217
	s_delay_alu instid0(VALU_DEP_1) | instskip(NEXT) | instid1(VALU_DEP_1)
	v_add_f32_e32 v1, v1, v218
	v_add_f32_e32 v1, v1, v219
	s_delay_alu instid0(VALU_DEP_1) | instskip(NEXT) | instid1(VALU_DEP_1)
	v_add_f32_e32 v1, v1, v220
	v_add_f32_e32 v3, v1, v221
	s_wait_loadcnt 0x0
	s_delay_alu instid0(VALU_DEP_1)
	v_dual_sub_f32 v1, v30, v2 :: v_dual_sub_f32 v2, v31, v3
	scratch_store_b64 off, v[1:2], off offset:304
	v_cmpx_lt_u32_e32 37, v0
	s_cbranch_execz .LBB122_293
; %bb.292:
	scratch_load_b64 v[1:2], off, off offset:296
	v_mov_b32_e32 v3, 0
	s_delay_alu instid0(VALU_DEP_1)
	v_mov_b32_e32 v4, v3
	scratch_store_b64 off, v[3:4], off offset:296
	s_wait_loadcnt 0x0
	ds_store_b64 v153, v[1:2]
.LBB122_293:
	s_wait_alu 0xfffe
	s_or_b32 exec_lo, exec_lo, s0
	s_wait_storecnt_dscnt 0x0
	s_barrier_signal -1
	s_barrier_wait -1
	global_inv scope:SCOPE_SE
	s_clause 0xb
	scratch_load_b128 v[2:5], off, off offset:304
	scratch_load_b128 v[6:9], off, off offset:320
	;; [unrolled: 1-line block ×10, first 2 shown]
	scratch_load_b64 v[30:31], off, off offset:464
	scratch_load_b64 v[151:152], off, off offset:296
	v_mov_b32_e32 v1, 0
	ds_load_b128 v[166:169], v1 offset:784
	ds_load_b128 v[170:173], v1 offset:800
	;; [unrolled: 1-line block ×10, first 2 shown]
	ds_load_b64 v[206:207], v1 offset:944
	s_mov_b32 s0, exec_lo
	s_wait_loadcnt_dscnt 0xb0a
	v_mul_f32_e32 v32, v166, v3
	s_wait_loadcnt_dscnt 0xa09
	v_dual_mul_f32 v208, v168, v5 :: v_dual_mul_f32 v209, v170, v7
	v_mul_f32_e32 v5, v169, v5
	v_dual_mul_f32 v3, v167, v3 :: v_dual_mul_f32 v210, v172, v9
	s_wait_loadcnt_dscnt 0x908
	v_dual_mul_f32 v211, v174, v11 :: v_dual_fmac_f32 v32, v167, v2
	s_wait_loadcnt_dscnt 0x302
	v_mul_f32_e32 v224, v200, v161
	v_fma_f32 v3, v166, v2, -v3
	s_wait_loadcnt_dscnt 0x100
	v_mul_f32_e32 v227, v206, v31
	v_mul_f32_e32 v2, v171, v7
	v_fmac_f32_e32 v208, v169, v4
	v_fma_f32 v4, v168, v4, -v5
	v_dual_add_f32 v3, 0, v3 :: v_dual_mul_f32 v212, v176, v13
	v_mul_f32_e32 v213, v178, v15
	v_fma_f32 v2, v170, v6, -v2
	v_fmac_f32_e32 v211, v175, v10
	s_delay_alu instid0(VALU_DEP_4) | instskip(SKIP_3) | instid1(VALU_DEP_4)
	v_add_f32_e32 v3, v3, v4
	v_add_f32_e32 v5, 0, v32
	v_fmac_f32_e32 v212, v177, v12
	v_dual_mul_f32 v214, v180, v17 :: v_dual_mul_f32 v215, v182, v19
	v_dual_add_f32 v2, v3, v2 :: v_dual_mul_f32 v7, v173, v9
	s_delay_alu instid0(VALU_DEP_4) | instskip(SKIP_1) | instid1(VALU_DEP_3)
	v_dual_fmac_f32 v209, v171, v6 :: v_dual_add_f32 v4, v5, v208
	v_dual_mul_f32 v5, v175, v11 :: v_dual_fmac_f32 v210, v173, v8
	v_fma_f32 v6, v172, v8, -v7
	v_dual_fmac_f32 v213, v179, v14 :: v_dual_fmac_f32 v214, v181, v16
	s_delay_alu instid0(VALU_DEP_4)
	v_add_f32_e32 v3, v4, v209
	v_mul_f32_e32 v4, v177, v13
	v_fma_f32 v5, v174, v10, -v5
	v_add_f32_e32 v2, v2, v6
	v_mul_f32_e32 v6, v179, v15
	v_add_f32_e32 v3, v3, v210
	v_fma_f32 v4, v176, v12, -v4
	v_dual_mul_f32 v216, v184, v21 :: v_dual_mul_f32 v217, v186, v23
	s_delay_alu instid0(VALU_DEP_3) | instskip(SKIP_3) | instid1(VALU_DEP_4)
	v_dual_add_f32 v2, v2, v5 :: v_dual_add_f32 v3, v3, v211
	v_mul_f32_e32 v5, v181, v17
	v_fma_f32 v6, v178, v14, -v6
	v_dual_mul_f32 v218, v188, v25 :: v_dual_mul_f32 v219, v190, v27
	v_add_f32_e32 v2, v2, v4
	v_add_f32_e32 v3, v3, v212
	v_mul_f32_e32 v4, v183, v19
	v_fma_f32 v5, v180, v16, -v5
	v_fmac_f32_e32 v215, v183, v18
	s_delay_alu instid0(VALU_DEP_4) | instskip(SKIP_3) | instid1(VALU_DEP_4)
	v_dual_add_f32 v2, v2, v6 :: v_dual_add_f32 v3, v3, v213
	v_fmac_f32_e32 v216, v185, v20
	v_mul_f32_e32 v6, v185, v21
	v_fma_f32 v4, v182, v18, -v4
	v_dual_add_f32 v2, v2, v5 :: v_dual_add_f32 v3, v3, v214
	v_mul_f32_e32 v5, v187, v23
	s_delay_alu instid0(VALU_DEP_4) | instskip(SKIP_1) | instid1(VALU_DEP_4)
	v_fma_f32 v6, v184, v20, -v6
	v_dual_fmac_f32 v217, v187, v22 :: v_dual_fmac_f32 v218, v189, v24
	v_dual_add_f32 v2, v2, v4 :: v_dual_add_f32 v3, v3, v215
	v_mul_f32_e32 v4, v189, v25
	v_fma_f32 v5, v186, v22, -v5
	v_dual_mul_f32 v220, v192, v29 :: v_dual_mul_f32 v221, v194, v155
	s_delay_alu instid0(VALU_DEP_4) | instskip(SKIP_2) | instid1(VALU_DEP_3)
	v_dual_add_f32 v2, v2, v6 :: v_dual_add_f32 v3, v3, v216
	v_mul_f32_e32 v6, v191, v27
	v_fma_f32 v4, v188, v24, -v4
	v_dual_fmac_f32 v219, v191, v26 :: v_dual_add_f32 v2, v2, v5
	s_delay_alu instid0(VALU_DEP_4) | instskip(SKIP_3) | instid1(VALU_DEP_4)
	v_add_f32_e32 v3, v3, v217
	v_mul_f32_e32 v5, v193, v29
	v_fma_f32 v6, v190, v26, -v6
	v_fmac_f32_e32 v220, v193, v28
	v_dual_add_f32 v2, v2, v4 :: v_dual_add_f32 v3, v3, v218
	v_mul_f32_e32 v4, v195, v155
	v_fma_f32 v5, v192, v28, -v5
	v_dual_mul_f32 v222, v196, v157 :: v_dual_mul_f32 v223, v198, v159
	s_delay_alu instid0(VALU_DEP_4) | instskip(SKIP_2) | instid1(VALU_DEP_3)
	v_dual_add_f32 v2, v2, v6 :: v_dual_add_f32 v3, v3, v219
	v_dual_mul_f32 v6, v197, v157 :: v_dual_fmac_f32 v221, v195, v154
	v_fma_f32 v4, v194, v154, -v4
	v_dual_add_f32 v2, v2, v5 :: v_dual_add_f32 v3, v3, v220
	v_dual_mul_f32 v5, v199, v159 :: v_dual_fmac_f32 v222, v197, v156
	s_delay_alu instid0(VALU_DEP_4) | instskip(NEXT) | instid1(VALU_DEP_3)
	v_fma_f32 v6, v196, v156, -v6
	v_dual_add_f32 v2, v2, v4 :: v_dual_add_f32 v3, v3, v221
	v_dual_mul_f32 v4, v201, v161 :: v_dual_fmac_f32 v223, v199, v158
	s_delay_alu instid0(VALU_DEP_4) | instskip(NEXT) | instid1(VALU_DEP_3)
	v_fma_f32 v5, v198, v158, -v5
	v_dual_fmac_f32 v224, v201, v160 :: v_dual_add_f32 v3, v3, v222
	s_delay_alu instid0(VALU_DEP_4) | instskip(SKIP_3) | instid1(VALU_DEP_4)
	v_add_f32_e32 v2, v2, v6
	v_dual_mul_f32 v225, v202, v163 :: v_dual_mul_f32 v226, v204, v165
	v_mul_f32_e32 v6, v203, v163
	v_fma_f32 v4, v200, v160, -v4
	v_dual_add_f32 v3, v3, v223 :: v_dual_add_f32 v2, v2, v5
	s_delay_alu instid0(VALU_DEP_4) | instskip(SKIP_2) | instid1(VALU_DEP_4)
	v_fmac_f32_e32 v225, v203, v162
	v_mul_f32_e32 v5, v205, v165
	v_fma_f32 v6, v202, v162, -v6
	v_add_f32_e32 v3, v3, v224
	v_add_f32_e32 v2, v2, v4
	v_mul_f32_e32 v4, v207, v31
	v_dual_fmac_f32 v226, v205, v164 :: v_dual_fmac_f32 v227, v207, v30
	v_fma_f32 v5, v204, v164, -v5
	s_delay_alu instid0(VALU_DEP_4) | instskip(NEXT) | instid1(VALU_DEP_4)
	v_dual_add_f32 v3, v3, v225 :: v_dual_add_f32 v2, v2, v6
	v_fma_f32 v4, v206, v30, -v4
	s_delay_alu instid0(VALU_DEP_2) | instskip(NEXT) | instid1(VALU_DEP_1)
	v_dual_add_f32 v3, v3, v226 :: v_dual_add_f32 v2, v2, v5
	v_dual_add_f32 v3, v3, v227 :: v_dual_add_f32 v2, v2, v4
	s_wait_loadcnt 0x0
	s_delay_alu instid0(VALU_DEP_1)
	v_dual_sub_f32 v3, v152, v3 :: v_dual_sub_f32 v2, v151, v2
	scratch_store_b64 off, v[2:3], off offset:296
	v_cmpx_lt_u32_e32 36, v0
	s_cbranch_execz .LBB122_295
; %bb.294:
	scratch_load_b64 v[3:4], off, off offset:288
	v_mov_b32_e32 v2, v1
	scratch_store_b64 off, v[1:2], off offset:288
	s_wait_loadcnt 0x0
	ds_store_b64 v153, v[3:4]
.LBB122_295:
	s_wait_alu 0xfffe
	s_or_b32 exec_lo, exec_lo, s0
	s_wait_storecnt_dscnt 0x0
	s_barrier_signal -1
	s_barrier_wait -1
	global_inv scope:SCOPE_SE
	s_clause 0xb
	scratch_load_b128 v[2:5], off, off offset:296
	scratch_load_b128 v[6:9], off, off offset:312
	;; [unrolled: 1-line block ×11, first 2 shown]
	scratch_load_b64 v[30:31], off, off offset:288
	ds_load_2addr_b64 v[170:173], v1 offset0:97 offset1:98
	ds_load_2addr_b64 v[174:177], v1 offset0:99 offset1:100
	;; [unrolled: 1-line block ×11, first 2 shown]
	s_mov_b32 s0, exec_lo
	s_wait_loadcnt_dscnt 0xb0a
	v_dual_mul_f32 v1, v170, v3 :: v_dual_mul_f32 v32, v172, v5
	v_mul_f32_e32 v3, v171, v3
	v_mul_f32_e32 v5, v173, v5
	s_wait_loadcnt_dscnt 0xa09
	v_dual_mul_f32 v151, v174, v7 :: v_dual_mul_f32 v152, v176, v9
	v_fmac_f32_e32 v32, v173, v4
	v_fma_f32 v3, v170, v2, -v3
	s_wait_loadcnt_dscnt 0x908
	v_dual_mul_f32 v214, v178, v11 :: v_dual_mul_f32 v215, v180, v13
	v_dual_fmac_f32 v1, v171, v2 :: v_dual_fmac_f32 v152, v177, v8
	v_mul_f32_e32 v2, v175, v7
	v_fma_f32 v4, v172, v4, -v5
	s_delay_alu instid0(VALU_DEP_4) | instskip(NEXT) | instid1(VALU_DEP_4)
	v_dual_add_f32 v3, 0, v3 :: v_dual_fmac_f32 v214, v179, v10
	v_add_f32_e32 v1, 0, v1
	s_delay_alu instid0(VALU_DEP_4) | instskip(SKIP_4) | instid1(VALU_DEP_3)
	v_fma_f32 v2, v174, v6, -v2
	s_wait_loadcnt_dscnt 0x807
	v_dual_mul_f32 v216, v182, v15 :: v_dual_mul_f32 v217, v184, v17
	v_add_f32_e32 v3, v3, v4
	v_dual_mul_f32 v5, v177, v9 :: v_dual_mul_f32 v4, v179, v11
	v_dual_add_f32 v1, v1, v32 :: v_dual_fmac_f32 v216, v183, v14
	s_delay_alu instid0(VALU_DEP_3) | instskip(NEXT) | instid1(VALU_DEP_3)
	v_add_f32_e32 v2, v3, v2
	v_fma_f32 v5, v176, v8, -v5
	v_fmac_f32_e32 v151, v175, v6
	v_fma_f32 v4, v178, v10, -v4
	s_wait_loadcnt_dscnt 0x706
	v_dual_mul_f32 v218, v186, v19 :: v_dual_mul_f32 v219, v188, v21
	s_delay_alu instid0(VALU_DEP_3) | instskip(NEXT) | instid1(VALU_DEP_2)
	v_dual_add_f32 v2, v2, v5 :: v_dual_add_f32 v1, v1, v151
	v_dual_mul_f32 v3, v181, v13 :: v_dual_fmac_f32 v218, v187, v18
	s_wait_loadcnt_dscnt 0x605
	v_dual_mul_f32 v220, v190, v23 :: v_dual_mul_f32 v221, v192, v25
	s_delay_alu instid0(VALU_DEP_3)
	v_add_f32_e32 v2, v2, v4
	v_mul_f32_e32 v4, v185, v17
	v_fma_f32 v3, v180, v12, -v3
	s_wait_loadcnt_dscnt 0x403
	v_dual_add_f32 v1, v1, v152 :: v_dual_mul_f32 v224, v198, v155
	v_mul_f32_e32 v225, v200, v157
	v_fma_f32 v4, v184, v16, -v4
	v_mul_f32_e32 v5, v183, v15
	s_delay_alu instid0(VALU_DEP_4) | instskip(SKIP_1) | instid1(VALU_DEP_3)
	v_dual_add_f32 v2, v2, v3 :: v_dual_add_f32 v1, v1, v214
	v_dual_mul_f32 v222, v194, v27 :: v_dual_mul_f32 v223, v196, v29
	v_fma_f32 v5, v182, v14, -v5
	v_dual_fmac_f32 v215, v181, v12 :: v_dual_fmac_f32 v220, v191, v22
	s_delay_alu instid0(VALU_DEP_3)
	v_fmac_f32_e32 v222, v195, v26
	s_wait_loadcnt_dscnt 0x100
	v_dual_mul_f32 v230, v210, v167 :: v_dual_mul_f32 v231, v212, v169
	v_add_f32_e32 v2, v2, v5
	v_dual_mul_f32 v226, v202, v159 :: v_dual_mul_f32 v227, v204, v161
	v_dual_fmac_f32 v221, v193, v24 :: v_dual_mul_f32 v228, v206, v163
	s_delay_alu instid0(VALU_DEP_3) | instskip(SKIP_2) | instid1(VALU_DEP_4)
	v_dual_mul_f32 v229, v208, v165 :: v_dual_add_f32 v2, v2, v4
	v_mul_f32_e32 v4, v191, v23
	v_add_f32_e32 v1, v1, v215
	v_dual_fmac_f32 v223, v197, v28 :: v_dual_fmac_f32 v228, v207, v162
	v_fmac_f32_e32 v224, v199, v154
	s_delay_alu instid0(VALU_DEP_4)
	v_fma_f32 v4, v190, v22, -v4
	v_mul_f32_e32 v5, v189, v21
	v_add_f32_e32 v1, v1, v216
	v_fmac_f32_e32 v227, v205, v160
	v_fmac_f32_e32 v229, v209, v164
	;; [unrolled: 1-line block ×3, first 2 shown]
	v_fma_f32 v5, v188, v20, -v5
	v_mul_f32_e32 v3, v187, v19
	v_fmac_f32_e32 v230, v211, v166
	v_fmac_f32_e32 v226, v203, v158
	s_delay_alu instid0(VALU_DEP_3) | instskip(NEXT) | instid1(VALU_DEP_1)
	v_fma_f32 v3, v186, v18, -v3
	v_dual_fmac_f32 v217, v185, v16 :: v_dual_add_f32 v2, v2, v3
	v_mul_f32_e32 v3, v193, v25
	s_delay_alu instid0(VALU_DEP_2) | instskip(NEXT) | instid1(VALU_DEP_2)
	v_dual_add_f32 v2, v2, v5 :: v_dual_mul_f32 v5, v195, v27
	v_fma_f32 v3, v192, v24, -v3
	s_delay_alu instid0(VALU_DEP_2) | instskip(SKIP_1) | instid1(VALU_DEP_4)
	v_dual_add_f32 v2, v2, v4 :: v_dual_add_f32 v1, v1, v217
	v_mul_f32_e32 v4, v197, v29
	v_fma_f32 v5, v194, v26, -v5
	s_delay_alu instid0(VALU_DEP_3) | instskip(NEXT) | instid1(VALU_DEP_3)
	v_dual_add_f32 v2, v2, v3 :: v_dual_fmac_f32 v219, v189, v20
	v_fma_f32 v4, v196, v28, -v4
	s_delay_alu instid0(VALU_DEP_2) | instskip(SKIP_1) | instid1(VALU_DEP_2)
	v_add_f32_e32 v2, v2, v5
	v_mul_f32_e32 v5, v201, v157
	v_dual_add_f32 v1, v1, v218 :: v_dual_add_f32 v2, v2, v4
	s_delay_alu instid0(VALU_DEP_2) | instskip(SKIP_1) | instid1(VALU_DEP_3)
	v_fma_f32 v5, v200, v156, -v5
	v_mul_f32_e32 v3, v199, v155
	v_add_f32_e32 v1, v1, v219
	v_mul_f32_e32 v4, v203, v159
	s_delay_alu instid0(VALU_DEP_3) | instskip(NEXT) | instid1(VALU_DEP_3)
	v_fma_f32 v3, v198, v154, -v3
	v_add_f32_e32 v1, v1, v220
	s_delay_alu instid0(VALU_DEP_3) | instskip(NEXT) | instid1(VALU_DEP_3)
	v_fma_f32 v4, v202, v158, -v4
	v_add_f32_e32 v2, v2, v3
	s_delay_alu instid0(VALU_DEP_1) | instskip(NEXT) | instid1(VALU_DEP_4)
	v_add_f32_e32 v2, v2, v5
	v_add_f32_e32 v1, v1, v221
	s_delay_alu instid0(VALU_DEP_2) | instskip(SKIP_1) | instid1(VALU_DEP_2)
	v_dual_mul_f32 v5, v207, v163 :: v_dual_add_f32 v2, v2, v4
	v_mul_f32_e32 v4, v209, v165
	v_fma_f32 v5, v206, v162, -v5
	s_delay_alu instid0(VALU_DEP_2) | instskip(SKIP_1) | instid1(VALU_DEP_1)
	v_fma_f32 v4, v208, v164, -v4
	v_mul_f32_e32 v3, v205, v161
	v_fma_f32 v3, v204, v160, -v3
	s_delay_alu instid0(VALU_DEP_1) | instskip(NEXT) | instid1(VALU_DEP_1)
	v_dual_add_f32 v1, v1, v222 :: v_dual_add_f32 v2, v2, v3
	v_add_f32_e32 v1, v1, v223
	s_delay_alu instid0(VALU_DEP_2) | instskip(NEXT) | instid1(VALU_DEP_2)
	v_dual_mul_f32 v3, v211, v167 :: v_dual_add_f32 v2, v2, v5
	v_add_f32_e32 v1, v1, v224
	v_mul_f32_e32 v5, v213, v169
	s_delay_alu instid0(VALU_DEP_3) | instskip(NEXT) | instid1(VALU_DEP_4)
	v_fma_f32 v3, v210, v166, -v3
	v_add_f32_e32 v2, v2, v4
	v_fmac_f32_e32 v225, v201, v156
	s_delay_alu instid0(VALU_DEP_4) | instskip(NEXT) | instid1(VALU_DEP_2)
	v_fma_f32 v4, v212, v168, -v5
	v_dual_add_f32 v2, v2, v3 :: v_dual_add_f32 v1, v1, v225
	s_delay_alu instid0(VALU_DEP_1) | instskip(NEXT) | instid1(VALU_DEP_1)
	v_dual_add_f32 v2, v2, v4 :: v_dual_add_f32 v1, v1, v226
	v_add_f32_e32 v1, v1, v227
	s_delay_alu instid0(VALU_DEP_1) | instskip(NEXT) | instid1(VALU_DEP_1)
	v_add_f32_e32 v1, v1, v228
	v_add_f32_e32 v1, v1, v229
	s_delay_alu instid0(VALU_DEP_1) | instskip(NEXT) | instid1(VALU_DEP_1)
	v_add_f32_e32 v1, v1, v230
	v_add_f32_e32 v3, v1, v231
	s_wait_loadcnt 0x0
	s_delay_alu instid0(VALU_DEP_1)
	v_dual_sub_f32 v1, v30, v2 :: v_dual_sub_f32 v2, v31, v3
	scratch_store_b64 off, v[1:2], off offset:288
	v_cmpx_lt_u32_e32 35, v0
	s_cbranch_execz .LBB122_297
; %bb.296:
	scratch_load_b64 v[1:2], off, off offset:280
	v_mov_b32_e32 v3, 0
	s_delay_alu instid0(VALU_DEP_1)
	v_mov_b32_e32 v4, v3
	scratch_store_b64 off, v[3:4], off offset:280
	s_wait_loadcnt 0x0
	ds_store_b64 v153, v[1:2]
.LBB122_297:
	s_wait_alu 0xfffe
	s_or_b32 exec_lo, exec_lo, s0
	s_wait_storecnt_dscnt 0x0
	s_barrier_signal -1
	s_barrier_wait -1
	global_inv scope:SCOPE_SE
	s_clause 0xc
	scratch_load_b128 v[2:5], off, off offset:288
	scratch_load_b128 v[6:9], off, off offset:304
	;; [unrolled: 1-line block ×11, first 2 shown]
	scratch_load_b64 v[30:31], off, off offset:464
	scratch_load_b64 v[151:152], off, off offset:280
	v_mov_b32_e32 v1, 0
	ds_load_b128 v[170:173], v1 offset:768
	ds_load_b128 v[174:177], v1 offset:784
	;; [unrolled: 1-line block ×11, first 2 shown]
	ds_load_b64 v[214:215], v1 offset:944
	s_mov_b32 s0, exec_lo
	s_wait_loadcnt_dscnt 0xc0b
	v_mul_f32_e32 v32, v170, v3
	s_wait_loadcnt_dscnt 0xb0a
	v_dual_mul_f32 v216, v172, v5 :: v_dual_mul_f32 v217, v174, v7
	v_mul_f32_e32 v5, v173, v5
	s_wait_loadcnt_dscnt 0xa09
	v_dual_mul_f32 v218, v176, v9 :: v_dual_mul_f32 v219, v178, v11
	v_mul_f32_e32 v3, v171, v3
	v_fmac_f32_e32 v32, v171, v2
	s_wait_loadcnt_dscnt 0x908
	v_dual_mul_f32 v220, v180, v13 :: v_dual_mul_f32 v221, v182, v15
	s_wait_loadcnt_dscnt 0x302
	v_mul_f32_e32 v234, v208, v165
	v_fma_f32 v3, v170, v2, -v3
	s_wait_loadcnt_dscnt 0x100
	v_mul_f32_e32 v237, v214, v31
	v_mul_f32_e32 v2, v175, v7
	v_fmac_f32_e32 v216, v173, v4
	v_fma_f32 v4, v172, v4, -v5
	v_add_f32_e32 v3, 0, v3
	v_dual_fmac_f32 v219, v179, v10 :: v_dual_fmac_f32 v220, v181, v12
	v_fma_f32 v2, v174, v6, -v2
	v_dual_mul_f32 v222, v184, v17 :: v_dual_mul_f32 v223, v186, v19
	s_delay_alu instid0(VALU_DEP_4) | instskip(SKIP_1) | instid1(VALU_DEP_3)
	v_add_f32_e32 v3, v3, v4
	v_add_f32_e32 v5, 0, v32
	v_dual_fmac_f32 v221, v183, v14 :: v_dual_fmac_f32 v222, v185, v16
	v_fmac_f32_e32 v218, v177, v8
	s_delay_alu instid0(VALU_DEP_4) | instskip(NEXT) | instid1(VALU_DEP_4)
	v_dual_add_f32 v2, v3, v2 :: v_dual_mul_f32 v7, v177, v9
	v_dual_fmac_f32 v217, v175, v6 :: v_dual_add_f32 v4, v5, v216
	v_dual_mul_f32 v5, v179, v11 :: v_dual_mul_f32 v224, v188, v21
	v_mul_f32_e32 v225, v190, v23
	s_delay_alu instid0(VALU_DEP_4) | instskip(NEXT) | instid1(VALU_DEP_4)
	v_fma_f32 v6, v176, v8, -v7
	v_add_f32_e32 v3, v4, v217
	v_mul_f32_e32 v4, v181, v13
	v_fma_f32 v5, v178, v10, -v5
	v_dual_mul_f32 v226, v192, v25 :: v_dual_mul_f32 v227, v194, v27
	v_add_f32_e32 v2, v2, v6
	v_mul_f32_e32 v6, v183, v15
	v_add_f32_e32 v3, v3, v218
	v_fma_f32 v4, v180, v12, -v4
	v_dual_fmac_f32 v225, v191, v22 :: v_dual_fmac_f32 v226, v193, v24
	s_delay_alu instid0(VALU_DEP_3) | instskip(SKIP_2) | instid1(VALU_DEP_3)
	v_dual_add_f32 v2, v2, v5 :: v_dual_add_f32 v3, v3, v219
	v_mul_f32_e32 v5, v185, v17
	v_fma_f32 v6, v182, v14, -v6
	v_dual_fmac_f32 v223, v187, v18 :: v_dual_add_f32 v2, v2, v4
	s_delay_alu instid0(VALU_DEP_4) | instskip(SKIP_3) | instid1(VALU_DEP_4)
	v_add_f32_e32 v3, v3, v220
	v_mul_f32_e32 v4, v187, v19
	v_fma_f32 v5, v184, v16, -v5
	v_fmac_f32_e32 v224, v189, v20
	v_dual_add_f32 v2, v2, v6 :: v_dual_add_f32 v3, v3, v221
	v_mul_f32_e32 v6, v189, v21
	v_fma_f32 v4, v186, v18, -v4
	v_dual_mul_f32 v228, v196, v29 :: v_dual_mul_f32 v229, v198, v155
	s_delay_alu instid0(VALU_DEP_4) | instskip(SKIP_3) | instid1(VALU_DEP_4)
	v_dual_add_f32 v2, v2, v5 :: v_dual_add_f32 v3, v3, v222
	v_mul_f32_e32 v5, v191, v23
	v_fma_f32 v6, v188, v20, -v6
	v_dual_mul_f32 v230, v200, v157 :: v_dual_mul_f32 v231, v202, v159
	v_dual_add_f32 v2, v2, v4 :: v_dual_add_f32 v3, v3, v223
	v_mul_f32_e32 v4, v193, v25
	v_fma_f32 v5, v190, v22, -v5
	v_fmac_f32_e32 v227, v195, v26
	s_delay_alu instid0(VALU_DEP_4) | instskip(SKIP_3) | instid1(VALU_DEP_4)
	v_dual_add_f32 v2, v2, v6 :: v_dual_add_f32 v3, v3, v224
	v_mul_f32_e32 v6, v195, v27
	v_fma_f32 v4, v192, v24, -v4
	v_fmac_f32_e32 v228, v197, v28
	v_add_f32_e32 v2, v2, v5
	v_add_f32_e32 v3, v3, v225
	v_mul_f32_e32 v5, v197, v29
	v_fma_f32 v6, v194, v26, -v6
	s_delay_alu instid0(VALU_DEP_4) | instskip(NEXT) | instid1(VALU_DEP_4)
	v_dual_fmac_f32 v229, v199, v154 :: v_dual_add_f32 v2, v2, v4
	v_add_f32_e32 v3, v3, v226
	v_mul_f32_e32 v4, v199, v155
	v_fma_f32 v5, v196, v28, -v5
	v_dual_mul_f32 v232, v204, v161 :: v_dual_mul_f32 v233, v206, v163
	s_delay_alu instid0(VALU_DEP_4) | instskip(SKIP_3) | instid1(VALU_DEP_4)
	v_dual_add_f32 v2, v2, v6 :: v_dual_add_f32 v3, v3, v227
	v_mul_f32_e32 v6, v201, v157
	v_fma_f32 v4, v198, v154, -v4
	v_fmac_f32_e32 v230, v201, v156
	v_dual_add_f32 v2, v2, v5 :: v_dual_add_f32 v3, v3, v228
	v_mul_f32_e32 v5, v203, v159
	v_fma_f32 v6, v200, v156, -v6
	s_delay_alu instid0(VALU_DEP_3) | instskip(NEXT) | instid1(VALU_DEP_4)
	v_dual_fmac_f32 v231, v203, v158 :: v_dual_add_f32 v2, v2, v4
	v_add_f32_e32 v3, v3, v229
	v_mul_f32_e32 v4, v205, v161
	v_fma_f32 v5, v202, v158, -v5
	v_dual_fmac_f32 v232, v205, v160 :: v_dual_fmac_f32 v233, v207, v162
	s_delay_alu instid0(VALU_DEP_4) | instskip(SKIP_4) | instid1(VALU_DEP_4)
	v_add_f32_e32 v3, v3, v230
	v_add_f32_e32 v2, v2, v6
	v_mul_f32_e32 v6, v207, v163
	v_fma_f32 v4, v204, v160, -v4
	v_dual_mul_f32 v235, v210, v167 :: v_dual_mul_f32 v236, v212, v169
	v_dual_add_f32 v3, v3, v231 :: v_dual_add_f32 v2, v2, v5
	v_mul_f32_e32 v5, v209, v165
	v_fma_f32 v6, v206, v162, -v6
	s_delay_alu instid0(VALU_DEP_4) | instskip(NEXT) | instid1(VALU_DEP_4)
	v_dual_fmac_f32 v234, v209, v164 :: v_dual_fmac_f32 v235, v211, v166
	v_add_f32_e32 v3, v3, v232
	v_add_f32_e32 v2, v2, v4
	v_mul_f32_e32 v4, v211, v167
	v_fma_f32 v5, v208, v164, -v5
	v_fmac_f32_e32 v237, v215, v30
	s_delay_alu instid0(VALU_DEP_4) | instskip(SKIP_2) | instid1(VALU_DEP_3)
	v_dual_add_f32 v3, v3, v233 :: v_dual_add_f32 v2, v2, v6
	v_mul_f32_e32 v6, v213, v169
	v_fma_f32 v4, v210, v166, -v4
	v_dual_add_f32 v3, v3, v234 :: v_dual_add_f32 v2, v2, v5
	v_dual_mul_f32 v5, v215, v31 :: v_dual_fmac_f32 v236, v213, v168
	s_delay_alu instid0(VALU_DEP_4) | instskip(NEXT) | instid1(VALU_DEP_3)
	v_fma_f32 v6, v212, v168, -v6
	v_dual_add_f32 v3, v3, v235 :: v_dual_add_f32 v2, v2, v4
	s_delay_alu instid0(VALU_DEP_3) | instskip(NEXT) | instid1(VALU_DEP_2)
	v_fma_f32 v4, v214, v30, -v5
	v_dual_add_f32 v3, v3, v236 :: v_dual_add_f32 v2, v2, v6
	s_delay_alu instid0(VALU_DEP_1) | instskip(SKIP_1) | instid1(VALU_DEP_1)
	v_dual_add_f32 v3, v3, v237 :: v_dual_add_f32 v2, v2, v4
	s_wait_loadcnt 0x0
	v_dual_sub_f32 v3, v152, v3 :: v_dual_sub_f32 v2, v151, v2
	scratch_store_b64 off, v[2:3], off offset:280
	v_cmpx_lt_u32_e32 34, v0
	s_cbranch_execz .LBB122_299
; %bb.298:
	scratch_load_b64 v[3:4], off, off offset:272
	v_mov_b32_e32 v2, v1
	scratch_store_b64 off, v[1:2], off offset:272
	s_wait_loadcnt 0x0
	ds_store_b64 v153, v[3:4]
.LBB122_299:
	s_wait_alu 0xfffe
	s_or_b32 exec_lo, exec_lo, s0
	s_wait_storecnt_dscnt 0x0
	s_barrier_signal -1
	s_barrier_wait -1
	global_inv scope:SCOPE_SE
	s_clause 0xc
	scratch_load_b128 v[2:5], off, off offset:280
	scratch_load_b128 v[6:9], off, off offset:296
	;; [unrolled: 1-line block ×12, first 2 shown]
	scratch_load_b64 v[30:31], off, off offset:272
	ds_load_2addr_b64 v[174:177], v1 offset0:95 offset1:96
	ds_load_2addr_b64 v[178:181], v1 offset0:97 offset1:98
	;; [unrolled: 1-line block ×12, first 2 shown]
	s_mov_b32 s0, exec_lo
	s_wait_loadcnt_dscnt 0xc0b
	v_dual_mul_f32 v1, v174, v3 :: v_dual_mul_f32 v32, v176, v5
	v_mul_f32_e32 v3, v175, v3
	v_mul_f32_e32 v5, v177, v5
	s_wait_loadcnt_dscnt 0xb0a
	v_dual_mul_f32 v151, v178, v7 :: v_dual_mul_f32 v152, v180, v9
	v_fmac_f32_e32 v32, v177, v4
	v_fma_f32 v3, v174, v2, -v3
	s_wait_loadcnt_dscnt 0xa09
	v_dual_mul_f32 v222, v182, v11 :: v_dual_mul_f32 v223, v184, v13
	v_dual_fmac_f32 v1, v175, v2 :: v_dual_fmac_f32 v152, v181, v8
	v_mul_f32_e32 v2, v179, v7
	v_fma_f32 v4, v176, v4, -v5
	s_delay_alu instid0(VALU_DEP_4) | instskip(NEXT) | instid1(VALU_DEP_4)
	v_dual_add_f32 v3, 0, v3 :: v_dual_fmac_f32 v222, v183, v10
	v_add_f32_e32 v1, 0, v1
	s_delay_alu instid0(VALU_DEP_4) | instskip(SKIP_4) | instid1(VALU_DEP_3)
	v_fma_f32 v2, v178, v6, -v2
	s_wait_loadcnt_dscnt 0x908
	v_dual_mul_f32 v224, v186, v15 :: v_dual_mul_f32 v225, v188, v17
	v_add_f32_e32 v3, v3, v4
	v_dual_mul_f32 v5, v181, v9 :: v_dual_mul_f32 v4, v183, v11
	v_dual_add_f32 v1, v1, v32 :: v_dual_fmac_f32 v224, v187, v14
	s_delay_alu instid0(VALU_DEP_3) | instskip(NEXT) | instid1(VALU_DEP_3)
	v_add_f32_e32 v2, v3, v2
	v_fma_f32 v5, v180, v8, -v5
	v_fmac_f32_e32 v151, v179, v6
	v_fma_f32 v4, v182, v10, -v4
	s_wait_loadcnt_dscnt 0x807
	v_dual_mul_f32 v226, v190, v19 :: v_dual_mul_f32 v227, v192, v21
	s_delay_alu instid0(VALU_DEP_3) | instskip(NEXT) | instid1(VALU_DEP_2)
	v_dual_add_f32 v2, v2, v5 :: v_dual_add_f32 v1, v1, v151
	v_dual_mul_f32 v3, v185, v13 :: v_dual_fmac_f32 v226, v191, v18
	s_wait_loadcnt_dscnt 0x706
	v_dual_mul_f32 v228, v194, v23 :: v_dual_mul_f32 v229, v196, v25
	s_delay_alu instid0(VALU_DEP_3)
	v_add_f32_e32 v2, v2, v4
	v_mul_f32_e32 v4, v189, v17
	v_fma_f32 v3, v184, v12, -v3
	s_wait_loadcnt_dscnt 0x504
	v_dual_add_f32 v1, v1, v152 :: v_dual_mul_f32 v232, v202, v155
	v_mul_f32_e32 v233, v204, v157
	v_fma_f32 v4, v188, v16, -v4
	v_mul_f32_e32 v5, v187, v15
	s_delay_alu instid0(VALU_DEP_4) | instskip(SKIP_1) | instid1(VALU_DEP_3)
	v_dual_add_f32 v2, v2, v3 :: v_dual_add_f32 v1, v1, v222
	v_dual_mul_f32 v230, v198, v27 :: v_dual_mul_f32 v231, v200, v29
	v_fma_f32 v5, v186, v14, -v5
	v_dual_fmac_f32 v223, v185, v12 :: v_dual_fmac_f32 v228, v195, v22
	s_delay_alu instid0(VALU_DEP_3)
	v_fmac_f32_e32 v230, v199, v26
	s_wait_loadcnt_dscnt 0x201
	v_dual_mul_f32 v238, v214, v167 :: v_dual_mul_f32 v239, v216, v169
	v_add_f32_e32 v2, v2, v5
	v_dual_mul_f32 v234, v206, v159 :: v_dual_mul_f32 v235, v208, v161
	v_dual_fmac_f32 v229, v197, v24 :: v_dual_mul_f32 v236, v210, v163
	s_delay_alu instid0(VALU_DEP_3) | instskip(SKIP_2) | instid1(VALU_DEP_4)
	v_dual_mul_f32 v237, v212, v165 :: v_dual_add_f32 v2, v2, v4
	v_mul_f32_e32 v4, v195, v23
	v_add_f32_e32 v1, v1, v223
	v_dual_fmac_f32 v231, v201, v28 :: v_dual_fmac_f32 v236, v211, v162
	v_fmac_f32_e32 v232, v203, v154
	s_delay_alu instid0(VALU_DEP_4)
	v_fma_f32 v4, v194, v22, -v4
	v_mul_f32_e32 v5, v193, v21
	v_add_f32_e32 v1, v1, v224
	s_wait_loadcnt_dscnt 0x100
	v_dual_fmac_f32 v233, v205, v156 :: v_dual_mul_f32 v240, v218, v171
	v_mul_f32_e32 v241, v220, v173
	v_fma_f32 v5, v192, v20, -v5
	v_mul_f32_e32 v3, v191, v19
	v_dual_fmac_f32 v239, v217, v168 :: v_dual_fmac_f32 v238, v215, v166
	s_delay_alu instid0(VALU_DEP_4) | instskip(NEXT) | instid1(VALU_DEP_3)
	v_dual_fmac_f32 v241, v221, v172 :: v_dual_fmac_f32 v234, v207, v158
	v_fma_f32 v3, v190, v18, -v3
	v_dual_fmac_f32 v225, v189, v16 :: v_dual_fmac_f32 v240, v219, v170
	s_delay_alu instid0(VALU_DEP_2) | instskip(NEXT) | instid1(VALU_DEP_1)
	v_dual_add_f32 v2, v2, v3 :: v_dual_mul_f32 v3, v197, v25
	v_dual_add_f32 v2, v2, v5 :: v_dual_mul_f32 v5, v199, v27
	s_delay_alu instid0(VALU_DEP_2) | instskip(NEXT) | instid1(VALU_DEP_2)
	v_fma_f32 v3, v196, v24, -v3
	v_dual_add_f32 v2, v2, v4 :: v_dual_add_f32 v1, v1, v225
	v_mul_f32_e32 v4, v201, v29
	s_delay_alu instid0(VALU_DEP_4) | instskip(NEXT) | instid1(VALU_DEP_3)
	v_fma_f32 v5, v198, v26, -v5
	v_dual_add_f32 v2, v2, v3 :: v_dual_fmac_f32 v227, v193, v20
	s_delay_alu instid0(VALU_DEP_3) | instskip(NEXT) | instid1(VALU_DEP_2)
	v_fma_f32 v4, v200, v28, -v4
	v_add_f32_e32 v2, v2, v5
	v_mul_f32_e32 v5, v205, v157
	s_delay_alu instid0(VALU_DEP_2) | instskip(NEXT) | instid1(VALU_DEP_2)
	v_dual_add_f32 v1, v1, v226 :: v_dual_add_f32 v2, v2, v4
	v_fma_f32 v5, v204, v156, -v5
	v_mul_f32_e32 v3, v203, v155
	s_delay_alu instid0(VALU_DEP_3) | instskip(SKIP_1) | instid1(VALU_DEP_3)
	v_add_f32_e32 v1, v1, v227
	v_mul_f32_e32 v4, v207, v159
	v_fma_f32 v3, v202, v154, -v3
	s_delay_alu instid0(VALU_DEP_3) | instskip(NEXT) | instid1(VALU_DEP_3)
	v_add_f32_e32 v1, v1, v228
	v_fma_f32 v4, v206, v158, -v4
	s_delay_alu instid0(VALU_DEP_3) | instskip(NEXT) | instid1(VALU_DEP_1)
	v_add_f32_e32 v2, v2, v3
	v_add_f32_e32 v2, v2, v5
	s_delay_alu instid0(VALU_DEP_4) | instskip(NEXT) | instid1(VALU_DEP_2)
	v_add_f32_e32 v1, v1, v229
	v_dual_mul_f32 v5, v211, v163 :: v_dual_add_f32 v2, v2, v4
	v_mul_f32_e32 v4, v213, v165
	s_delay_alu instid0(VALU_DEP_2) | instskip(NEXT) | instid1(VALU_DEP_2)
	v_fma_f32 v5, v210, v162, -v5
	v_fma_f32 v4, v212, v164, -v4
	v_mul_f32_e32 v3, v209, v161
	s_delay_alu instid0(VALU_DEP_1) | instskip(NEXT) | instid1(VALU_DEP_1)
	v_fma_f32 v3, v208, v160, -v3
	v_dual_add_f32 v1, v1, v230 :: v_dual_add_f32 v2, v2, v3
	s_delay_alu instid0(VALU_DEP_1) | instskip(NEXT) | instid1(VALU_DEP_2)
	v_add_f32_e32 v1, v1, v231
	v_dual_mul_f32 v3, v215, v167 :: v_dual_add_f32 v2, v2, v5
	v_mul_f32_e32 v5, v217, v169
	s_delay_alu instid0(VALU_DEP_2) | instskip(NEXT) | instid1(VALU_DEP_3)
	v_fma_f32 v3, v214, v166, -v3
	v_add_f32_e32 v2, v2, v4
	v_dual_add_f32 v1, v1, v232 :: v_dual_mul_f32 v4, v219, v171
	s_delay_alu instid0(VALU_DEP_4) | instskip(NEXT) | instid1(VALU_DEP_2)
	v_fma_f32 v5, v216, v168, -v5
	v_dual_add_f32 v2, v2, v3 :: v_dual_add_f32 v1, v1, v233
	v_fmac_f32_e32 v235, v209, v160
	s_delay_alu instid0(VALU_DEP_4) | instskip(SKIP_1) | instid1(VALU_DEP_4)
	v_fma_f32 v4, v218, v170, -v4
	v_mul_f32_e32 v3, v221, v173
	v_dual_add_f32 v2, v2, v5 :: v_dual_add_f32 v1, v1, v234
	s_delay_alu instid0(VALU_DEP_2) | instskip(NEXT) | instid1(VALU_DEP_2)
	v_fma_f32 v3, v220, v172, -v3
	v_dual_add_f32 v2, v2, v4 :: v_dual_add_f32 v1, v1, v235
	s_delay_alu instid0(VALU_DEP_1) | instskip(NEXT) | instid1(VALU_DEP_2)
	v_dual_fmac_f32 v237, v213, v164 :: v_dual_add_f32 v2, v2, v3
	v_add_f32_e32 v1, v1, v236
	s_delay_alu instid0(VALU_DEP_1) | instskip(NEXT) | instid1(VALU_DEP_1)
	v_add_f32_e32 v1, v1, v237
	v_add_f32_e32 v1, v1, v238
	s_delay_alu instid0(VALU_DEP_1) | instskip(NEXT) | instid1(VALU_DEP_1)
	v_add_f32_e32 v1, v1, v239
	v_add_f32_e32 v1, v1, v240
	s_delay_alu instid0(VALU_DEP_1) | instskip(SKIP_1) | instid1(VALU_DEP_1)
	v_add_f32_e32 v3, v1, v241
	s_wait_loadcnt 0x0
	v_dual_sub_f32 v1, v30, v2 :: v_dual_sub_f32 v2, v31, v3
	scratch_store_b64 off, v[1:2], off offset:272
	v_cmpx_lt_u32_e32 33, v0
	s_cbranch_execz .LBB122_301
; %bb.300:
	scratch_load_b64 v[1:2], off, off offset:264
	v_mov_b32_e32 v3, 0
	s_delay_alu instid0(VALU_DEP_1)
	v_mov_b32_e32 v4, v3
	scratch_store_b64 off, v[3:4], off offset:264
	s_wait_loadcnt 0x0
	ds_store_b64 v153, v[1:2]
.LBB122_301:
	s_wait_alu 0xfffe
	s_or_b32 exec_lo, exec_lo, s0
	s_wait_storecnt_dscnt 0x0
	s_barrier_signal -1
	s_barrier_wait -1
	global_inv scope:SCOPE_SE
	s_clause 0xd
	scratch_load_b128 v[2:5], off, off offset:272
	scratch_load_b128 v[6:9], off, off offset:288
	scratch_load_b128 v[10:13], off, off offset:304
	scratch_load_b128 v[14:17], off, off offset:320
	scratch_load_b128 v[18:21], off, off offset:336
	scratch_load_b128 v[22:25], off, off offset:352
	scratch_load_b128 v[26:29], off, off offset:368
	scratch_load_b128 v[154:157], off, off offset:384
	scratch_load_b128 v[158:161], off, off offset:400
	scratch_load_b128 v[162:165], off, off offset:416
	scratch_load_b128 v[166:169], off, off offset:432
	scratch_load_b128 v[170:173], off, off offset:448
	scratch_load_b64 v[30:31], off, off offset:464
	scratch_load_b64 v[151:152], off, off offset:264
	v_mov_b32_e32 v1, 0
	ds_load_b128 v[174:177], v1 offset:752
	ds_load_b128 v[178:181], v1 offset:768
	;; [unrolled: 1-line block ×12, first 2 shown]
	ds_load_b64 v[222:223], v1 offset:944
	s_mov_b32 s0, exec_lo
	s_wait_loadcnt_dscnt 0xd0c
	v_mul_f32_e32 v32, v174, v3
	s_wait_loadcnt_dscnt 0xc0b
	v_dual_mul_f32 v224, v176, v5 :: v_dual_mul_f32 v225, v178, v7
	v_mul_f32_e32 v5, v177, v5
	s_wait_loadcnt_dscnt 0xb0a
	v_dual_mul_f32 v226, v180, v9 :: v_dual_mul_f32 v227, v182, v11
	v_dual_mul_f32 v3, v175, v3 :: v_dual_mul_f32 v228, v184, v13
	s_wait_loadcnt_dscnt 0xa09
	v_dual_mul_f32 v229, v186, v15 :: v_dual_fmac_f32 v32, v175, v2
	s_wait_loadcnt_dscnt 0x302
	v_mul_f32_e32 v244, v216, v169
	v_fma_f32 v3, v174, v2, -v3
	s_wait_loadcnt_dscnt 0x100
	v_mul_f32_e32 v247, v222, v31
	v_mul_f32_e32 v2, v179, v7
	v_fmac_f32_e32 v224, v177, v4
	v_fma_f32 v4, v176, v4, -v5
	v_add_f32_e32 v3, 0, v3
	v_dual_fmac_f32 v227, v183, v10 :: v_dual_fmac_f32 v228, v185, v12
	v_fma_f32 v2, v178, v6, -v2
	v_dual_mul_f32 v230, v188, v17 :: v_dual_mul_f32 v231, v190, v19
	s_delay_alu instid0(VALU_DEP_4) | instskip(SKIP_1) | instid1(VALU_DEP_3)
	v_add_f32_e32 v3, v3, v4
	v_add_f32_e32 v5, 0, v32
	v_dual_fmac_f32 v229, v187, v14 :: v_dual_fmac_f32 v230, v189, v16
	v_fmac_f32_e32 v226, v181, v8
	s_delay_alu instid0(VALU_DEP_4) | instskip(NEXT) | instid1(VALU_DEP_4)
	v_dual_add_f32 v2, v3, v2 :: v_dual_mul_f32 v7, v181, v9
	v_dual_fmac_f32 v225, v179, v6 :: v_dual_add_f32 v4, v5, v224
	v_dual_mul_f32 v5, v183, v11 :: v_dual_mul_f32 v232, v192, v21
	v_mul_f32_e32 v233, v194, v23
	s_delay_alu instid0(VALU_DEP_4) | instskip(NEXT) | instid1(VALU_DEP_4)
	v_fma_f32 v6, v180, v8, -v7
	v_add_f32_e32 v3, v4, v225
	v_mul_f32_e32 v4, v185, v13
	v_fma_f32 v5, v182, v10, -v5
	v_dual_mul_f32 v234, v196, v25 :: v_dual_mul_f32 v235, v198, v27
	v_add_f32_e32 v2, v2, v6
	v_mul_f32_e32 v6, v187, v15
	v_add_f32_e32 v3, v3, v226
	v_fma_f32 v4, v184, v12, -v4
	v_dual_fmac_f32 v233, v195, v22 :: v_dual_fmac_f32 v234, v197, v24
	s_delay_alu instid0(VALU_DEP_3) | instskip(SKIP_3) | instid1(VALU_DEP_4)
	v_dual_add_f32 v2, v2, v5 :: v_dual_add_f32 v3, v3, v227
	v_mul_f32_e32 v5, v189, v17
	v_fma_f32 v6, v186, v14, -v6
	v_dual_mul_f32 v236, v200, v29 :: v_dual_mul_f32 v237, v202, v155
	v_add_f32_e32 v2, v2, v4
	v_add_f32_e32 v3, v3, v228
	v_mul_f32_e32 v4, v191, v19
	v_fma_f32 v5, v188, v16, -v5
	v_fmac_f32_e32 v231, v191, v18
	s_delay_alu instid0(VALU_DEP_4) | instskip(SKIP_3) | instid1(VALU_DEP_4)
	v_dual_add_f32 v2, v2, v6 :: v_dual_add_f32 v3, v3, v229
	v_fmac_f32_e32 v232, v193, v20
	v_mul_f32_e32 v6, v193, v21
	v_fma_f32 v4, v190, v18, -v4
	v_dual_add_f32 v2, v2, v5 :: v_dual_add_f32 v3, v3, v230
	v_mul_f32_e32 v5, v195, v23
	s_delay_alu instid0(VALU_DEP_4) | instskip(SKIP_1) | instid1(VALU_DEP_4)
	v_fma_f32 v6, v192, v20, -v6
	v_dual_mul_f32 v238, v204, v157 :: v_dual_mul_f32 v239, v206, v159
	v_dual_add_f32 v2, v2, v4 :: v_dual_add_f32 v3, v3, v231
	v_mul_f32_e32 v4, v197, v25
	v_fma_f32 v5, v194, v22, -v5
	v_fmac_f32_e32 v235, v199, v26
	s_delay_alu instid0(VALU_DEP_4) | instskip(SKIP_3) | instid1(VALU_DEP_4)
	v_dual_add_f32 v2, v2, v6 :: v_dual_add_f32 v3, v3, v232
	v_mul_f32_e32 v6, v199, v27
	v_fma_f32 v4, v196, v24, -v4
	v_fmac_f32_e32 v236, v201, v28
	v_add_f32_e32 v2, v2, v5
	v_add_f32_e32 v3, v3, v233
	v_mul_f32_e32 v5, v201, v29
	v_fma_f32 v6, v198, v26, -v6
	s_delay_alu instid0(VALU_DEP_4) | instskip(NEXT) | instid1(VALU_DEP_4)
	v_dual_fmac_f32 v237, v203, v154 :: v_dual_add_f32 v2, v2, v4
	v_add_f32_e32 v3, v3, v234
	v_mul_f32_e32 v4, v203, v155
	v_fma_f32 v5, v200, v28, -v5
	v_dual_mul_f32 v240, v208, v161 :: v_dual_mul_f32 v241, v210, v163
	s_delay_alu instid0(VALU_DEP_4) | instskip(SKIP_3) | instid1(VALU_DEP_4)
	v_dual_add_f32 v2, v2, v6 :: v_dual_add_f32 v3, v3, v235
	v_mul_f32_e32 v6, v205, v157
	v_fma_f32 v4, v202, v154, -v4
	v_fmac_f32_e32 v238, v205, v156
	v_dual_add_f32 v2, v2, v5 :: v_dual_add_f32 v3, v3, v236
	v_mul_f32_e32 v5, v207, v159
	v_fma_f32 v6, v204, v156, -v6
	s_delay_alu instid0(VALU_DEP_3) | instskip(NEXT) | instid1(VALU_DEP_4)
	v_dual_fmac_f32 v239, v207, v158 :: v_dual_add_f32 v2, v2, v4
	v_add_f32_e32 v3, v3, v237
	v_mul_f32_e32 v4, v209, v161
	v_fma_f32 v5, v206, v158, -v5
	v_fmac_f32_e32 v240, v209, v160
	v_dual_mul_f32 v242, v212, v165 :: v_dual_mul_f32 v243, v214, v167
	v_add_f32_e32 v3, v3, v238
	v_add_f32_e32 v2, v2, v6
	v_mul_f32_e32 v6, v211, v163
	v_fma_f32 v4, v208, v160, -v4
	v_fmac_f32_e32 v241, v211, v162
	s_delay_alu instid0(VALU_DEP_4) | instskip(SKIP_3) | instid1(VALU_DEP_4)
	v_dual_add_f32 v3, v3, v239 :: v_dual_add_f32 v2, v2, v5
	v_mul_f32_e32 v5, v213, v165
	v_fma_f32 v6, v210, v162, -v6
	v_dual_fmac_f32 v242, v213, v164 :: v_dual_fmac_f32 v243, v215, v166
	v_add_f32_e32 v3, v3, v240
	v_add_f32_e32 v2, v2, v4
	v_mul_f32_e32 v4, v215, v167
	v_fma_f32 v5, v212, v164, -v5
	v_dual_mul_f32 v245, v218, v171 :: v_dual_mul_f32 v246, v220, v173
	s_delay_alu instid0(VALU_DEP_4) | instskip(SKIP_2) | instid1(VALU_DEP_4)
	v_dual_add_f32 v3, v3, v241 :: v_dual_add_f32 v2, v2, v6
	v_mul_f32_e32 v6, v217, v169
	v_fma_f32 v4, v214, v166, -v4
	v_fmac_f32_e32 v245, v219, v170
	s_delay_alu instid0(VALU_DEP_4) | instskip(SKIP_2) | instid1(VALU_DEP_3)
	v_dual_add_f32 v3, v3, v242 :: v_dual_add_f32 v2, v2, v5
	v_dual_mul_f32 v5, v219, v171 :: v_dual_fmac_f32 v244, v217, v168
	v_fma_f32 v6, v216, v168, -v6
	v_dual_add_f32 v3, v3, v243 :: v_dual_add_f32 v2, v2, v4
	v_mul_f32_e32 v4, v221, v173
	s_delay_alu instid0(VALU_DEP_4) | instskip(SKIP_1) | instid1(VALU_DEP_4)
	v_fma_f32 v5, v218, v170, -v5
	v_dual_fmac_f32 v246, v221, v172 :: v_dual_fmac_f32 v247, v223, v30
	v_dual_add_f32 v3, v3, v244 :: v_dual_add_f32 v2, v2, v6
	v_mul_f32_e32 v6, v223, v31
	v_fma_f32 v4, v220, v172, -v4
	s_delay_alu instid0(VALU_DEP_3) | instskip(NEXT) | instid1(VALU_DEP_4)
	v_add_f32_e32 v3, v3, v245
	v_add_f32_e32 v2, v2, v5
	s_delay_alu instid0(VALU_DEP_4) | instskip(NEXT) | instid1(VALU_DEP_2)
	v_fma_f32 v5, v222, v30, -v6
	v_dual_add_f32 v3, v3, v246 :: v_dual_add_f32 v2, v2, v4
	s_delay_alu instid0(VALU_DEP_1) | instskip(SKIP_1) | instid1(VALU_DEP_1)
	v_dual_add_f32 v3, v3, v247 :: v_dual_add_f32 v2, v2, v5
	s_wait_loadcnt 0x0
	v_dual_sub_f32 v3, v152, v3 :: v_dual_sub_f32 v2, v151, v2
	scratch_store_b64 off, v[2:3], off offset:264
	v_cmpx_lt_u32_e32 32, v0
	s_cbranch_execz .LBB122_303
; %bb.302:
	scratch_load_b64 v[3:4], off, off offset:256
	v_mov_b32_e32 v2, v1
	scratch_store_b64 off, v[1:2], off offset:256
	s_wait_loadcnt 0x0
	ds_store_b64 v153, v[3:4]
.LBB122_303:
	s_wait_alu 0xfffe
	s_or_b32 exec_lo, exec_lo, s0
	s_wait_storecnt_dscnt 0x0
	s_barrier_signal -1
	s_barrier_wait -1
	global_inv scope:SCOPE_SE
	s_clause 0xd
	scratch_load_b128 v[2:5], off, off offset:264
	scratch_load_b128 v[6:9], off, off offset:280
	;; [unrolled: 1-line block ×13, first 2 shown]
	scratch_load_b64 v[30:31], off, off offset:256
	ds_load_2addr_b64 v[178:181], v1 offset0:93 offset1:94
	ds_load_2addr_b64 v[182:185], v1 offset0:95 offset1:96
	;; [unrolled: 1-line block ×13, first 2 shown]
	s_mov_b32 s0, exec_lo
	s_wait_loadcnt_dscnt 0xd0c
	v_dual_mul_f32 v1, v178, v3 :: v_dual_mul_f32 v32, v180, v5
	v_mul_f32_e32 v3, v179, v3
	v_mul_f32_e32 v5, v181, v5
	s_wait_loadcnt_dscnt 0xc0b
	v_dual_mul_f32 v151, v182, v7 :: v_dual_mul_f32 v152, v184, v9
	v_fmac_f32_e32 v32, v181, v4
	v_fma_f32 v3, v178, v2, -v3
	s_wait_loadcnt_dscnt 0xb0a
	v_dual_mul_f32 v230, v186, v11 :: v_dual_mul_f32 v231, v188, v13
	v_dual_fmac_f32 v1, v179, v2 :: v_dual_fmac_f32 v152, v185, v8
	v_mul_f32_e32 v2, v183, v7
	v_fma_f32 v4, v180, v4, -v5
	s_delay_alu instid0(VALU_DEP_4) | instskip(NEXT) | instid1(VALU_DEP_4)
	v_dual_add_f32 v3, 0, v3 :: v_dual_fmac_f32 v230, v187, v10
	v_add_f32_e32 v1, 0, v1
	s_delay_alu instid0(VALU_DEP_4) | instskip(SKIP_4) | instid1(VALU_DEP_3)
	v_fma_f32 v2, v182, v6, -v2
	s_wait_loadcnt_dscnt 0xa09
	v_dual_mul_f32 v232, v190, v15 :: v_dual_mul_f32 v233, v192, v17
	v_add_f32_e32 v3, v3, v4
	v_dual_mul_f32 v5, v185, v9 :: v_dual_mul_f32 v4, v187, v11
	v_dual_add_f32 v1, v1, v32 :: v_dual_fmac_f32 v232, v191, v14
	s_delay_alu instid0(VALU_DEP_3) | instskip(NEXT) | instid1(VALU_DEP_3)
	v_add_f32_e32 v2, v3, v2
	v_fma_f32 v5, v184, v8, -v5
	v_fmac_f32_e32 v151, v183, v6
	v_fma_f32 v4, v186, v10, -v4
	s_wait_loadcnt_dscnt 0x908
	v_dual_mul_f32 v234, v194, v19 :: v_dual_mul_f32 v235, v196, v21
	s_delay_alu instid0(VALU_DEP_3) | instskip(NEXT) | instid1(VALU_DEP_2)
	v_dual_add_f32 v2, v2, v5 :: v_dual_add_f32 v1, v1, v151
	v_dual_mul_f32 v3, v189, v13 :: v_dual_fmac_f32 v234, v195, v18
	s_wait_loadcnt_dscnt 0x807
	v_dual_mul_f32 v236, v198, v23 :: v_dual_mul_f32 v237, v200, v25
	s_delay_alu instid0(VALU_DEP_3)
	v_add_f32_e32 v2, v2, v4
	v_mul_f32_e32 v4, v193, v17
	v_fma_f32 v3, v188, v12, -v3
	s_wait_loadcnt_dscnt 0x605
	v_dual_add_f32 v1, v1, v152 :: v_dual_mul_f32 v240, v206, v155
	v_mul_f32_e32 v241, v208, v157
	v_fma_f32 v4, v192, v16, -v4
	v_mul_f32_e32 v5, v191, v15
	s_delay_alu instid0(VALU_DEP_4) | instskip(SKIP_1) | instid1(VALU_DEP_3)
	v_dual_add_f32 v2, v2, v3 :: v_dual_add_f32 v1, v1, v230
	v_dual_mul_f32 v238, v202, v27 :: v_dual_mul_f32 v239, v204, v29
	v_fma_f32 v5, v190, v14, -v5
	v_dual_fmac_f32 v231, v189, v12 :: v_dual_fmac_f32 v236, v199, v22
	s_delay_alu instid0(VALU_DEP_3)
	v_fmac_f32_e32 v238, v203, v26
	s_wait_loadcnt_dscnt 0x302
	v_dual_mul_f32 v246, v218, v167 :: v_dual_mul_f32 v247, v220, v169
	v_add_f32_e32 v2, v2, v5
	v_dual_mul_f32 v242, v210, v159 :: v_dual_mul_f32 v243, v212, v161
	v_dual_fmac_f32 v237, v201, v24 :: v_dual_mul_f32 v244, v214, v163
	s_delay_alu instid0(VALU_DEP_3) | instskip(SKIP_2) | instid1(VALU_DEP_4)
	v_dual_mul_f32 v245, v216, v165 :: v_dual_add_f32 v2, v2, v4
	v_mul_f32_e32 v4, v199, v23
	v_add_f32_e32 v1, v1, v231
	v_dual_fmac_f32 v239, v205, v28 :: v_dual_fmac_f32 v244, v215, v162
	v_fmac_f32_e32 v240, v207, v154
	s_delay_alu instid0(VALU_DEP_4)
	v_fma_f32 v4, v198, v22, -v4
	v_mul_f32_e32 v5, v197, v21
	v_add_f32_e32 v1, v1, v232
	s_wait_loadcnt_dscnt 0x201
	v_dual_fmac_f32 v241, v209, v156 :: v_dual_mul_f32 v248, v222, v171
	v_mul_f32_e32 v249, v224, v173
	v_fma_f32 v5, v196, v20, -v5
	v_mul_f32_e32 v3, v195, v19
	s_wait_loadcnt_dscnt 0x100
	v_dual_mul_f32 v250, v226, v175 :: v_dual_mul_f32 v251, v228, v177
	v_fmac_f32_e32 v247, v221, v168
	v_fmac_f32_e32 v249, v225, v172
	v_fma_f32 v3, v194, v18, -v3
	v_fmac_f32_e32 v233, v193, v16
	v_dual_fmac_f32 v251, v229, v176 :: v_dual_fmac_f32 v246, v219, v166
	v_fmac_f32_e32 v242, v211, v158
	s_delay_alu instid0(VALU_DEP_4) | instskip(SKIP_2) | instid1(VALU_DEP_3)
	v_dual_add_f32 v2, v2, v3 :: v_dual_mul_f32 v3, v201, v25
	v_fmac_f32_e32 v248, v223, v170
	v_fmac_f32_e32 v250, v227, v174
	v_dual_add_f32 v2, v2, v5 :: v_dual_mul_f32 v5, v203, v27
	s_delay_alu instid0(VALU_DEP_4) | instskip(NEXT) | instid1(VALU_DEP_2)
	v_fma_f32 v3, v200, v24, -v3
	v_dual_add_f32 v2, v2, v4 :: v_dual_add_f32 v1, v1, v233
	v_mul_f32_e32 v4, v205, v29
	s_delay_alu instid0(VALU_DEP_4) | instskip(NEXT) | instid1(VALU_DEP_3)
	v_fma_f32 v5, v202, v26, -v5
	v_dual_add_f32 v2, v2, v3 :: v_dual_fmac_f32 v235, v197, v20
	s_delay_alu instid0(VALU_DEP_3) | instskip(NEXT) | instid1(VALU_DEP_2)
	v_fma_f32 v4, v204, v28, -v4
	v_add_f32_e32 v2, v2, v5
	v_mul_f32_e32 v5, v209, v157
	s_delay_alu instid0(VALU_DEP_2) | instskip(NEXT) | instid1(VALU_DEP_2)
	v_dual_add_f32 v1, v1, v234 :: v_dual_add_f32 v2, v2, v4
	v_fma_f32 v5, v208, v156, -v5
	v_mul_f32_e32 v3, v207, v155
	s_delay_alu instid0(VALU_DEP_3) | instskip(SKIP_1) | instid1(VALU_DEP_3)
	v_add_f32_e32 v1, v1, v235
	v_mul_f32_e32 v4, v211, v159
	v_fma_f32 v3, v206, v154, -v3
	s_delay_alu instid0(VALU_DEP_3) | instskip(NEXT) | instid1(VALU_DEP_3)
	v_add_f32_e32 v1, v1, v236
	v_fma_f32 v4, v210, v158, -v4
	s_delay_alu instid0(VALU_DEP_3) | instskip(NEXT) | instid1(VALU_DEP_1)
	v_add_f32_e32 v2, v2, v3
	v_add_f32_e32 v2, v2, v5
	s_delay_alu instid0(VALU_DEP_4) | instskip(NEXT) | instid1(VALU_DEP_2)
	v_add_f32_e32 v1, v1, v237
	v_dual_mul_f32 v5, v215, v163 :: v_dual_add_f32 v2, v2, v4
	v_mul_f32_e32 v4, v217, v165
	s_delay_alu instid0(VALU_DEP_2) | instskip(NEXT) | instid1(VALU_DEP_2)
	v_fma_f32 v5, v214, v162, -v5
	v_fma_f32 v4, v216, v164, -v4
	v_mul_f32_e32 v3, v213, v161
	s_delay_alu instid0(VALU_DEP_1) | instskip(NEXT) | instid1(VALU_DEP_1)
	v_fma_f32 v3, v212, v160, -v3
	v_dual_add_f32 v1, v1, v238 :: v_dual_add_f32 v2, v2, v3
	s_delay_alu instid0(VALU_DEP_1) | instskip(NEXT) | instid1(VALU_DEP_2)
	v_add_f32_e32 v1, v1, v239
	v_dual_mul_f32 v3, v219, v167 :: v_dual_add_f32 v2, v2, v5
	v_mul_f32_e32 v5, v221, v169
	s_delay_alu instid0(VALU_DEP_2) | instskip(NEXT) | instid1(VALU_DEP_3)
	v_fma_f32 v3, v218, v166, -v3
	v_add_f32_e32 v2, v2, v4
	v_dual_add_f32 v1, v1, v240 :: v_dual_mul_f32 v4, v223, v171
	s_delay_alu instid0(VALU_DEP_4) | instskip(NEXT) | instid1(VALU_DEP_2)
	v_fma_f32 v5, v220, v168, -v5
	v_dual_add_f32 v2, v2, v3 :: v_dual_add_f32 v1, v1, v241
	v_fmac_f32_e32 v243, v213, v160
	v_mul_f32_e32 v3, v225, v173
	v_fma_f32 v4, v222, v170, -v4
	s_delay_alu instid0(VALU_DEP_4) | instskip(SKIP_1) | instid1(VALU_DEP_4)
	v_dual_add_f32 v2, v2, v5 :: v_dual_add_f32 v1, v1, v242
	v_mul_f32_e32 v5, v227, v175
	v_fma_f32 v3, v224, v172, -v3
	s_delay_alu instid0(VALU_DEP_3) | instskip(SKIP_1) | instid1(VALU_DEP_4)
	v_dual_add_f32 v2, v2, v4 :: v_dual_add_f32 v1, v1, v243
	v_fmac_f32_e32 v245, v217, v164
	v_fma_f32 v5, v226, v174, -v5
	v_mul_f32_e32 v4, v229, v177
	s_delay_alu instid0(VALU_DEP_4) | instskip(NEXT) | instid1(VALU_DEP_2)
	v_dual_add_f32 v2, v2, v3 :: v_dual_add_f32 v1, v1, v244
	v_fma_f32 v3, v228, v176, -v4
	s_delay_alu instid0(VALU_DEP_2) | instskip(NEXT) | instid1(VALU_DEP_1)
	v_add_f32_e32 v2, v2, v5
	v_dual_add_f32 v1, v1, v245 :: v_dual_add_f32 v2, v2, v3
	s_delay_alu instid0(VALU_DEP_1) | instskip(NEXT) | instid1(VALU_DEP_1)
	v_add_f32_e32 v1, v1, v246
	v_add_f32_e32 v1, v1, v247
	s_delay_alu instid0(VALU_DEP_1) | instskip(NEXT) | instid1(VALU_DEP_1)
	v_add_f32_e32 v1, v1, v248
	v_add_f32_e32 v1, v1, v249
	;; [unrolled: 3-line block ×3, first 2 shown]
	s_wait_loadcnt 0x0
	s_delay_alu instid0(VALU_DEP_1)
	v_dual_sub_f32 v1, v30, v2 :: v_dual_sub_f32 v2, v31, v3
	scratch_store_b64 off, v[1:2], off offset:256
	v_cmpx_lt_u32_e32 31, v0
	s_cbranch_execz .LBB122_305
; %bb.304:
	scratch_load_b64 v[1:2], off, off offset:248
	v_mov_b32_e32 v3, 0
	s_delay_alu instid0(VALU_DEP_1)
	v_mov_b32_e32 v4, v3
	scratch_store_b64 off, v[3:4], off offset:248
	s_wait_loadcnt 0x0
	ds_store_b64 v153, v[1:2]
.LBB122_305:
	s_wait_alu 0xfffe
	s_or_b32 exec_lo, exec_lo, s0
	s_wait_storecnt_dscnt 0x0
	s_barrier_signal -1
	s_barrier_wait -1
	global_inv scope:SCOPE_SE
	s_clause 0x4
	scratch_load_b128 v[2:5], off, off offset:256
	scratch_load_b128 v[6:9], off, off offset:272
	;; [unrolled: 1-line block ×5, first 2 shown]
	v_mov_b32_e32 v1, 0
	ds_load_b128 v[22:25], v1 offset:736
	ds_load_b128 v[26:29], v1 offset:752
	;; [unrolled: 1-line block ×3, first 2 shown]
	scratch_load_b64 v[30:31], off, off offset:248
	s_mov_b32 s0, exec_lo
	s_wait_loadcnt_dscnt 0x502
	v_mul_f32_e32 v32, v23, v3
	v_dual_mul_f32 v151, v22, v3 :: v_dual_mul_f32 v152, v24, v5
	v_mul_f32_e32 v3, v25, v5
	s_wait_loadcnt_dscnt 0x300
	v_mul_f32_e32 v158, v156, v13
	v_fma_f32 v22, v22, v2, -v32
	v_dual_fmac_f32 v151, v23, v2 :: v_dual_fmac_f32 v152, v25, v4
	v_fma_f32 v23, v24, v4, -v3
	v_mul_f32_e32 v24, v26, v7
	v_mul_f32_e32 v7, v27, v7
	v_dual_mul_f32 v25, v28, v9 :: v_dual_mul_f32 v32, v154, v11
	s_delay_alu instid0(VALU_DEP_3) | instskip(NEXT) | instid1(VALU_DEP_3)
	v_dual_mul_f32 v9, v29, v9 :: v_dual_fmac_f32 v24, v27, v6
	v_fma_f32 v26, v26, v6, -v7
	s_delay_alu instid0(VALU_DEP_3) | instskip(NEXT) | instid1(VALU_DEP_3)
	v_dual_fmac_f32 v25, v29, v8 :: v_dual_fmac_f32 v32, v155, v10
	v_fma_f32 v27, v28, v8, -v9
	scratch_load_b128 v[6:9], off, off offset:336
	ds_load_b128 v[2:5], v1 offset:784
	v_dual_mul_f32 v11, v155, v11 :: v_dual_fmac_f32 v158, v157, v12
	v_mul_f32_e32 v13, v157, v13
	s_delay_alu instid0(VALU_DEP_2) | instskip(NEXT) | instid1(VALU_DEP_2)
	v_fma_f32 v28, v154, v10, -v11
	v_fma_f32 v29, v156, v12, -v13
	ds_load_b128 v[10:13], v1 offset:800
	s_wait_loadcnt_dscnt 0x301
	v_mul_f32_e32 v154, v2, v15
	v_mul_f32_e32 v15, v3, v15
	v_mul_f32_e32 v155, v4, v17
	s_delay_alu instid0(VALU_DEP_3) | instskip(SKIP_1) | instid1(VALU_DEP_2)
	v_dual_mul_f32 v17, v5, v17 :: v_dual_fmac_f32 v154, v3, v14
	s_wait_loadcnt_dscnt 0x200
	v_dual_fmac_f32 v155, v5, v16 :: v_dual_mul_f32 v160, v12, v21
	v_fma_f32 v156, v2, v14, -v15
	v_mul_f32_e32 v14, v11, v19
	v_fma_f32 v157, v4, v16, -v17
	ds_load_b128 v[2:5], v1 offset:816
	v_dual_mul_f32 v159, v10, v19 :: v_dual_fmac_f32 v160, v13, v20
	v_mul_f32_e32 v15, v13, v21
	s_delay_alu instid0(VALU_DEP_1) | instskip(SKIP_1) | instid1(VALU_DEP_3)
	v_fma_f32 v19, v12, v20, -v15
	s_wait_loadcnt_dscnt 0x0
	v_dual_mul_f32 v162, v4, v9 :: v_dual_fmac_f32 v159, v11, v18
	v_fma_f32 v18, v10, v18, -v14
	scratch_load_b128 v[10:13], off, off offset:352
	v_mul_f32_e32 v161, v2, v7
	v_mul_f32_e32 v7, v3, v7
	;; [unrolled: 1-line block ×3, first 2 shown]
	s_delay_alu instid0(VALU_DEP_3) | instskip(NEXT) | instid1(VALU_DEP_3)
	v_dual_fmac_f32 v162, v5, v8 :: v_dual_fmac_f32 v161, v3, v6
	v_fma_f32 v163, v2, v6, -v7
	s_delay_alu instid0(VALU_DEP_3)
	v_fma_f32 v164, v4, v8, -v9
	ds_load_b128 v[2:5], v1 offset:832
	ds_load_b128 v[6:9], v1 offset:848
	s_wait_loadcnt_dscnt 0x1
	v_mul_f32_e32 v165, v2, v11
	v_dual_mul_f32 v11, v3, v11 :: v_dual_mul_f32 v166, v4, v13
	s_delay_alu instid0(VALU_DEP_2) | instskip(NEXT) | instid1(VALU_DEP_2)
	v_fmac_f32_e32 v165, v3, v10
	v_fma_f32 v167, v2, v10, -v11
	v_mul_f32_e32 v2, v5, v13
	s_delay_alu instid0(VALU_DEP_4) | instskip(NEXT) | instid1(VALU_DEP_2)
	v_fmac_f32_e32 v166, v5, v12
	v_fma_f32 v168, v4, v12, -v2
	s_clause 0x1
	scratch_load_b128 v[2:5], off, off offset:368
	scratch_load_b128 v[10:13], off, off offset:384
	s_wait_loadcnt_dscnt 0x100
	v_mul_f32_e32 v169, v6, v3
	v_mul_f32_e32 v3, v7, v3
	;; [unrolled: 1-line block ×3, first 2 shown]
	s_delay_alu instid0(VALU_DEP_2) | instskip(SKIP_1) | instid1(VALU_DEP_1)
	v_fma_f32 v170, v6, v2, -v3
	v_add_f32_e32 v3, 0, v151
	v_add_f32_e32 v6, v3, v152
	s_delay_alu instid0(VALU_DEP_1) | instskip(NEXT) | instid1(VALU_DEP_1)
	v_add_f32_e32 v14, v6, v24
	v_dual_add_f32 v14, v14, v25 :: v_dual_fmac_f32 v169, v7, v2
	v_mul_f32_e32 v2, v9, v5
	s_delay_alu instid0(VALU_DEP_2) | instskip(NEXT) | instid1(VALU_DEP_2)
	v_add_f32_e32 v14, v14, v32
	v_fma_f32 v172, v8, v4, -v2
	v_add_f32_e32 v2, 0, v22
	s_delay_alu instid0(VALU_DEP_3) | instskip(NEXT) | instid1(VALU_DEP_1)
	v_add_f32_e32 v21, v14, v158
	v_dual_add_f32 v2, v2, v23 :: v_dual_add_f32 v21, v21, v154
	s_delay_alu instid0(VALU_DEP_1) | instskip(NEXT) | instid1(VALU_DEP_1)
	v_add_f32_e32 v21, v21, v155
	v_dual_add_f32 v7, v2, v26 :: v_dual_add_f32 v22, v21, v159
	s_delay_alu instid0(VALU_DEP_1) | instskip(SKIP_2) | instid1(VALU_DEP_1)
	v_add_f32_e32 v15, v7, v27
	scratch_load_b64 v[26:27], off, off offset:464
	v_add_f32_e32 v22, v22, v160
	v_dual_add_f32 v15, v15, v28 :: v_dual_add_f32 v22, v22, v161
	s_delay_alu instid0(VALU_DEP_1)
	v_dual_fmac_f32 v171, v9, v4 :: v_dual_add_f32 v20, v15, v29
	scratch_load_b128 v[2:5], off, off offset:400
	ds_load_b128 v[6:9], v1 offset:864
	ds_load_b128 v[14:17], v1 offset:880
	v_add_f32_e32 v22, v22, v162
	v_add_f32_e32 v20, v20, v156
	s_delay_alu instid0(VALU_DEP_1) | instskip(NEXT) | instid1(VALU_DEP_1)
	v_add_f32_e32 v20, v20, v157
	v_add_f32_e32 v18, v20, v18
	s_wait_loadcnt_dscnt 0x201
	v_mul_f32_e32 v32, v6, v11
	v_mul_f32_e32 v11, v7, v11
	;; [unrolled: 1-line block ×3, first 2 shown]
	s_delay_alu instid0(VALU_DEP_3) | instskip(NEXT) | instid1(VALU_DEP_3)
	v_dual_mul_f32 v13, v9, v13 :: v_dual_fmac_f32 v32, v7, v10
	v_fma_f32 v152, v6, v10, -v11
	s_delay_alu instid0(VALU_DEP_3) | instskip(NEXT) | instid1(VALU_DEP_3)
	v_fmac_f32_e32 v151, v9, v12
	v_fma_f32 v154, v8, v12, -v13
	s_clause 0x1
	scratch_load_b128 v[6:9], off, off offset:416
	scratch_load_b128 v[10:13], off, off offset:432
	s_wait_loadcnt_dscnt 0x200
	v_dual_mul_f32 v156, v16, v5 :: v_dual_add_f32 v23, v18, v19
	scratch_load_b128 v[18:21], off, off offset:448
	v_mul_f32_e32 v155, v14, v3
	v_dual_mul_f32 v3, v15, v3 :: v_dual_fmac_f32 v156, v17, v4
	s_delay_alu instid0(VALU_DEP_1) | instskip(SKIP_1) | instid1(VALU_DEP_1)
	v_fma_f32 v157, v14, v2, -v3
	v_add_f32_e32 v14, v22, v165
	v_add_f32_e32 v22, v14, v166
	s_delay_alu instid0(VALU_DEP_1) | instskip(NEXT) | instid1(VALU_DEP_1)
	v_add_f32_e32 v29, v22, v169
	v_dual_fmac_f32 v155, v15, v2 :: v_dual_add_f32 v160, v29, v171
	s_delay_alu instid0(VALU_DEP_1) | instskip(NEXT) | instid1(VALU_DEP_1)
	v_dual_add_f32 v23, v23, v163 :: v_dual_add_f32 v32, v160, v32
	v_add_f32_e32 v23, v23, v164
	s_delay_alu instid0(VALU_DEP_2) | instskip(NEXT) | instid1(VALU_DEP_1)
	v_dual_mul_f32 v5, v17, v5 :: v_dual_add_f32 v32, v32, v151
	v_fma_f32 v158, v16, v4, -v5
	s_delay_alu instid0(VALU_DEP_3)
	v_add_f32_e32 v23, v23, v167
	ds_load_b128 v[2:5], v1 offset:896
	v_dual_add_f32 v32, v32, v155 :: v_dual_add_f32 v15, v23, v168
	ds_load_b128 v[22:25], v1 offset:928
	v_add_f32_e32 v32, v32, v156
	v_add_f32_e32 v28, v15, v170
	ds_load_b128 v[14:17], v1 offset:912
	v_add_f32_e32 v159, v28, v172
	ds_load_b64 v[28:29], v1 offset:944
	s_wait_loadcnt_dscnt 0x203
	v_dual_add_f32 v152, v159, v152 :: v_dual_mul_f32 v159, v2, v7
	s_delay_alu instid0(VALU_DEP_1) | instskip(NEXT) | instid1(VALU_DEP_1)
	v_dual_mul_f32 v7, v3, v7 :: v_dual_add_f32 v152, v152, v154
	v_fma_f32 v2, v2, v6, -v7
	s_delay_alu instid0(VALU_DEP_2) | instskip(SKIP_2) | instid1(VALU_DEP_2)
	v_add_f32_e32 v152, v152, v157
	s_wait_loadcnt_dscnt 0x101
	v_dual_mul_f32 v154, v14, v11 :: v_dual_mul_f32 v151, v4, v9
	v_dual_mul_f32 v9, v5, v9 :: v_dual_add_f32 v152, v152, v158
	s_wait_dscnt 0x0
	v_mul_f32_e32 v156, v28, v27
	s_delay_alu instid0(VALU_DEP_3) | instskip(NEXT) | instid1(VALU_DEP_3)
	v_fmac_f32_e32 v154, v15, v10
	v_add_f32_e32 v2, v152, v2
	s_wait_loadcnt 0x0
	s_delay_alu instid0(VALU_DEP_3) | instskip(SKIP_4) | instid1(VALU_DEP_4)
	v_dual_fmac_f32 v156, v29, v26 :: v_dual_mul_f32 v157, v22, v19
	v_dual_mul_f32 v158, v24, v21 :: v_dual_fmac_f32 v159, v3, v6
	v_mul_f32_e32 v6, v17, v13
	v_fma_f32 v3, v4, v8, -v9
	v_dual_mul_f32 v4, v15, v11 :: v_dual_mul_f32 v155, v16, v13
	v_fmac_f32_e32 v158, v25, v20
	s_delay_alu instid0(VALU_DEP_4) | instskip(NEXT) | instid1(VALU_DEP_4)
	v_fma_f32 v6, v16, v12, -v6
	v_add_f32_e32 v2, v2, v3
	s_delay_alu instid0(VALU_DEP_4) | instskip(NEXT) | instid1(VALU_DEP_1)
	v_fma_f32 v4, v14, v10, -v4
	v_dual_fmac_f32 v157, v23, v18 :: v_dual_add_f32 v2, v2, v4
	v_fmac_f32_e32 v151, v5, v8
	v_dual_add_f32 v5, v32, v159 :: v_dual_mul_f32 v4, v25, v21
	s_delay_alu instid0(VALU_DEP_3) | instskip(SKIP_1) | instid1(VALU_DEP_3)
	v_add_f32_e32 v2, v2, v6
	v_mul_f32_e32 v6, v29, v27
	v_add_f32_e32 v3, v5, v151
	v_mul_f32_e32 v5, v23, v19
	v_fma_f32 v4, v24, v20, -v4
	s_delay_alu instid0(VALU_DEP_2) | instskip(NEXT) | instid1(VALU_DEP_1)
	v_fma_f32 v5, v22, v18, -v5
	v_dual_add_f32 v2, v2, v5 :: v_dual_add_f32 v3, v3, v154
	v_fma_f32 v5, v28, v26, -v6
	s_delay_alu instid0(VALU_DEP_2) | instskip(NEXT) | instid1(VALU_DEP_1)
	v_add_f32_e32 v2, v2, v4
	v_dual_fmac_f32 v155, v17, v12 :: v_dual_add_f32 v2, v2, v5
	s_delay_alu instid0(VALU_DEP_1) | instskip(NEXT) | instid1(VALU_DEP_1)
	v_dual_add_f32 v3, v3, v155 :: v_dual_sub_f32 v2, v30, v2
	v_add_f32_e32 v3, v3, v157
	s_delay_alu instid0(VALU_DEP_1) | instskip(NEXT) | instid1(VALU_DEP_1)
	v_add_f32_e32 v3, v3, v158
	v_add_f32_e32 v3, v3, v156
	s_delay_alu instid0(VALU_DEP_1)
	v_sub_f32_e32 v3, v31, v3
	scratch_store_b64 off, v[2:3], off offset:248
	v_cmpx_lt_u32_e32 30, v0
	s_cbranch_execz .LBB122_307
; %bb.306:
	scratch_load_b64 v[3:4], off, off offset:240
	v_mov_b32_e32 v2, v1
	scratch_store_b64 off, v[1:2], off offset:240
	s_wait_loadcnt 0x0
	ds_store_b64 v153, v[3:4]
.LBB122_307:
	s_wait_alu 0xfffe
	s_or_b32 exec_lo, exec_lo, s0
	s_wait_storecnt_dscnt 0x0
	s_barrier_signal -1
	s_barrier_wait -1
	global_inv scope:SCOPE_SE
	s_clause 0x4
	scratch_load_b128 v[2:5], off, off offset:248
	scratch_load_b128 v[6:9], off, off offset:264
	;; [unrolled: 1-line block ×5, first 2 shown]
	ds_load_2addr_b64 v[22:25], v1 offset0:91 offset1:92
	ds_load_2addr_b64 v[26:29], v1 offset0:93 offset1:94
	;; [unrolled: 1-line block ×3, first 2 shown]
	scratch_load_b64 v[30:31], off, off offset:240
	s_mov_b32 s0, exec_lo
	s_wait_loadcnt_dscnt 0x502
	v_mul_f32_e32 v32, v23, v3
	v_dual_mul_f32 v151, v22, v3 :: v_dual_mul_f32 v152, v24, v5
	v_mul_f32_e32 v3, v25, v5
	s_wait_loadcnt_dscnt 0x300
	v_mul_f32_e32 v158, v156, v13
	v_fma_f32 v22, v22, v2, -v32
	v_dual_fmac_f32 v151, v23, v2 :: v_dual_fmac_f32 v152, v25, v4
	v_fma_f32 v23, v24, v4, -v3
	ds_load_2addr_b64 v[2:5], v1 offset0:97 offset1:98
	v_dual_mul_f32 v24, v26, v7 :: v_dual_mul_f32 v25, v28, v9
	v_mul_f32_e32 v7, v27, v7
	v_dual_mul_f32 v9, v29, v9 :: v_dual_mul_f32 v32, v154, v11
	v_dual_mul_f32 v11, v155, v11 :: v_dual_fmac_f32 v158, v157, v12
	s_delay_alu instid0(VALU_DEP_4) | instskip(SKIP_1) | instid1(VALU_DEP_4)
	v_dual_mul_f32 v13, v157, v13 :: v_dual_fmac_f32 v24, v27, v6
	v_fmac_f32_e32 v25, v29, v8
	v_fma_f32 v27, v28, v8, -v9
	v_fmac_f32_e32 v32, v155, v10
	v_fma_f32 v28, v154, v10, -v11
	v_fma_f32 v29, v156, v12, -v13
	ds_load_2addr_b64 v[10:13], v1 offset0:99 offset1:100
	v_fma_f32 v26, v26, v6, -v7
	scratch_load_b128 v[6:9], off, off offset:328
	s_wait_loadcnt_dscnt 0x301
	v_dual_mul_f32 v154, v2, v15 :: v_dual_mul_f32 v155, v4, v17
	v_mul_f32_e32 v15, v3, v15
	s_delay_alu instid0(VALU_DEP_2) | instskip(NEXT) | instid1(VALU_DEP_3)
	v_dual_mul_f32 v17, v5, v17 :: v_dual_fmac_f32 v154, v3, v14
	v_fmac_f32_e32 v155, v5, v16
	s_delay_alu instid0(VALU_DEP_3) | instskip(NEXT) | instid1(VALU_DEP_3)
	v_fma_f32 v14, v2, v14, -v15
	v_fma_f32 v15, v4, v16, -v17
	ds_load_2addr_b64 v[2:5], v1 offset0:101 offset1:102
	s_wait_loadcnt_dscnt 0x201
	v_mul_f32_e32 v16, v10, v19
	v_mul_f32_e32 v17, v11, v19
	;; [unrolled: 1-line block ×3, first 2 shown]
	s_delay_alu instid0(VALU_DEP_3) | instskip(NEXT) | instid1(VALU_DEP_3)
	v_dual_mul_f32 v21, v13, v21 :: v_dual_fmac_f32 v16, v11, v18
	v_fma_f32 v17, v10, v18, -v17
	s_delay_alu instid0(VALU_DEP_3) | instskip(NEXT) | instid1(VALU_DEP_3)
	v_fmac_f32_e32 v19, v13, v20
	v_fma_f32 v18, v12, v20, -v21
	scratch_load_b128 v[10:13], off, off offset:344
	s_wait_loadcnt_dscnt 0x100
	v_mul_f32_e32 v20, v2, v7
	v_mul_f32_e32 v7, v3, v7
	v_mul_f32_e32 v21, v4, v9
	s_delay_alu instid0(VALU_DEP_3) | instskip(NEXT) | instid1(VALU_DEP_3)
	v_dual_mul_f32 v9, v5, v9 :: v_dual_fmac_f32 v20, v3, v6
	v_fma_f32 v156, v2, v6, -v7
	s_delay_alu instid0(VALU_DEP_3) | instskip(NEXT) | instid1(VALU_DEP_3)
	v_fmac_f32_e32 v21, v5, v8
	v_fma_f32 v157, v4, v8, -v9
	ds_load_2addr_b64 v[2:5], v1 offset0:103 offset1:104
	ds_load_2addr_b64 v[6:9], v1 offset0:105 offset1:106
	s_wait_loadcnt_dscnt 0x1
	v_mul_f32_e32 v159, v2, v11
	v_dual_mul_f32 v11, v3, v11 :: v_dual_mul_f32 v160, v4, v13
	s_delay_alu instid0(VALU_DEP_2) | instskip(NEXT) | instid1(VALU_DEP_2)
	v_fmac_f32_e32 v159, v3, v10
	v_fma_f32 v161, v2, v10, -v11
	v_mul_f32_e32 v2, v5, v13
	s_delay_alu instid0(VALU_DEP_4) | instskip(NEXT) | instid1(VALU_DEP_2)
	v_fmac_f32_e32 v160, v5, v12
	v_fma_f32 v162, v4, v12, -v2
	s_clause 0x1
	scratch_load_b128 v[2:5], off, off offset:360
	scratch_load_b128 v[10:13], off, off offset:376
	s_wait_loadcnt_dscnt 0x100
	v_mul_f32_e32 v163, v6, v3
	v_mul_f32_e32 v3, v7, v3
	;; [unrolled: 1-line block ×3, first 2 shown]
	s_delay_alu instid0(VALU_DEP_3) | instskip(NEXT) | instid1(VALU_DEP_3)
	v_fmac_f32_e32 v163, v7, v2
	v_fma_f32 v164, v6, v2, -v3
	v_mul_f32_e32 v2, v9, v5
	s_delay_alu instid0(VALU_DEP_4) | instskip(NEXT) | instid1(VALU_DEP_2)
	v_fmac_f32_e32 v165, v9, v4
	v_fma_f32 v166, v8, v4, -v2
	ds_load_2addr_b64 v[2:5], v1 offset0:107 offset1:108
	ds_load_2addr_b64 v[6:9], v1 offset0:109 offset1:110
	s_wait_loadcnt_dscnt 0x1
	v_mul_f32_e32 v167, v2, v11
	v_mul_f32_e32 v169, v4, v13
	s_delay_alu instid0(VALU_DEP_2) | instskip(SKIP_1) | instid1(VALU_DEP_3)
	v_fmac_f32_e32 v167, v3, v10
	v_mul_f32_e32 v3, v3, v11
	v_fmac_f32_e32 v169, v5, v12
	s_delay_alu instid0(VALU_DEP_2) | instskip(SKIP_1) | instid1(VALU_DEP_1)
	v_fma_f32 v168, v2, v10, -v3
	v_mul_f32_e32 v2, v5, v13
	v_fma_f32 v170, v4, v12, -v2
	s_clause 0x1
	scratch_load_b128 v[2:5], off, off offset:392
	scratch_load_b128 v[10:13], off, off offset:408
	s_wait_loadcnt_dscnt 0x100
	v_mul_f32_e32 v171, v6, v3
	v_mul_f32_e32 v3, v7, v3
	s_delay_alu instid0(VALU_DEP_2) | instskip(NEXT) | instid1(VALU_DEP_2)
	v_fmac_f32_e32 v171, v7, v2
	v_fma_f32 v172, v6, v2, -v3
	v_dual_mul_f32 v2, v9, v5 :: v_dual_add_f32 v3, 0, v151
	s_delay_alu instid0(VALU_DEP_1) | instskip(NEXT) | instid1(VALU_DEP_2)
	v_fma_f32 v174, v8, v4, -v2
	v_dual_add_f32 v2, 0, v22 :: v_dual_add_f32 v3, v3, v152
	s_delay_alu instid0(VALU_DEP_1) | instskip(NEXT) | instid1(VALU_DEP_1)
	v_add_f32_e32 v2, v2, v23
	v_add_f32_e32 v2, v2, v26
	s_delay_alu instid0(VALU_DEP_1) | instskip(NEXT) | instid1(VALU_DEP_1)
	v_add_f32_e32 v2, v2, v27
	v_add_f32_e32 v2, v2, v28
	;; [unrolled: 3-line block ×5, first 2 shown]
	v_add_f32_e32 v3, v3, v24
	s_delay_alu instid0(VALU_DEP_1) | instskip(NEXT) | instid1(VALU_DEP_1)
	v_add_f32_e32 v3, v3, v25
	v_add_f32_e32 v6, v3, v32
	s_delay_alu instid0(VALU_DEP_1) | instskip(NEXT) | instid1(VALU_DEP_1)
	v_add_f32_e32 v6, v6, v158
	;; [unrolled: 3-line block ×4, first 2 shown]
	v_dual_add_f32 v19, v14, v157 :: v_dual_add_f32 v18, v15, v20
	scratch_load_b128 v[14:17], off, off offset:456
	v_add_f32_e32 v19, v19, v161
	v_add_f32_e32 v18, v18, v21
	v_mul_f32_e32 v173, v8, v5
	s_delay_alu instid0(VALU_DEP_2) | instskip(NEXT) | instid1(VALU_DEP_1)
	v_dual_add_f32 v19, v19, v162 :: v_dual_add_f32 v18, v18, v159
	v_add_f32_e32 v22, v19, v164
	s_delay_alu instid0(VALU_DEP_3) | instskip(SKIP_4) | instid1(VALU_DEP_2)
	v_fmac_f32_e32 v173, v9, v4
	ds_load_2addr_b64 v[2:5], v1 offset0:111 offset1:112
	ds_load_2addr_b64 v[6:9], v1 offset0:113 offset1:114
	v_add_f32_e32 v18, v18, v160
	v_add_f32_e32 v32, v22, v166
	;; [unrolled: 1-line block ×3, first 2 shown]
	ds_load_2addr_b64 v[18:21], v1 offset0:115 offset1:116
	v_add_f32_e32 v151, v23, v165
	ds_load_2addr_b64 v[22:25], v1 offset0:117 offset1:118
	v_dual_add_f32 v1, v32, v168 :: v_dual_add_f32 v32, v151, v167
	s_wait_loadcnt_dscnt 0x103
	v_dual_mul_f32 v27, v4, v13 :: v_dual_mul_f32 v26, v2, v11
	v_mul_f32_e32 v11, v3, v11
	v_mul_f32_e32 v13, v5, v13
	s_delay_alu instid0(VALU_DEP_3) | instskip(NEXT) | instid1(VALU_DEP_4)
	v_dual_add_f32 v32, v32, v169 :: v_dual_fmac_f32 v27, v5, v12
	v_fmac_f32_e32 v26, v3, v10
	s_delay_alu instid0(VALU_DEP_4) | instskip(NEXT) | instid1(VALU_DEP_3)
	v_fma_f32 v28, v2, v10, -v11
	v_add_f32_e32 v32, v32, v171
	s_delay_alu instid0(VALU_DEP_1) | instskip(NEXT) | instid1(VALU_DEP_1)
	v_add_f32_e32 v32, v32, v173
	v_add_f32_e32 v26, v32, v26
	s_wait_loadcnt_dscnt 0x0
	v_mul_f32_e32 v156, v22, v15
	v_fma_f32 v29, v4, v12, -v13
	s_clause 0x1
	scratch_load_b128 v[2:5], off, off offset:424
	scratch_load_b128 v[10:13], off, off offset:440
	s_wait_loadcnt 0x1
	v_dual_fmac_f32 v156, v23, v14 :: v_dual_mul_f32 v151, v6, v3
	v_dual_mul_f32 v3, v7, v3 :: v_dual_mul_f32 v152, v8, v5
	s_wait_loadcnt 0x0
	v_dual_mul_f32 v154, v18, v11 :: v_dual_mul_f32 v155, v20, v13
	s_delay_alu instid0(VALU_DEP_3) | instskip(NEXT) | instid1(VALU_DEP_3)
	v_fmac_f32_e32 v151, v7, v2
	v_fma_f32 v3, v6, v2, -v3
	v_mul_f32_e32 v6, v19, v11
	v_add_f32_e32 v2, v26, v27
	v_fmac_f32_e32 v152, v9, v4
	v_dual_fmac_f32 v154, v19, v10 :: v_dual_fmac_f32 v155, v21, v12
	s_delay_alu instid0(VALU_DEP_3) | instskip(NEXT) | instid1(VALU_DEP_1)
	v_dual_mul_f32 v5, v9, v5 :: v_dual_add_f32 v2, v2, v151
	v_fma_f32 v4, v8, v4, -v5
	s_delay_alu instid0(VALU_DEP_2) | instskip(SKIP_1) | instid1(VALU_DEP_2)
	v_add_f32_e32 v2, v2, v152
	v_fma_f32 v5, v18, v10, -v6
	v_add_f32_e32 v2, v2, v154
	s_delay_alu instid0(VALU_DEP_1) | instskip(NEXT) | instid1(VALU_DEP_1)
	v_dual_add_f32 v1, v1, v170 :: v_dual_add_f32 v2, v2, v155
	v_add_f32_e32 v1, v1, v172
	s_delay_alu instid0(VALU_DEP_1) | instskip(NEXT) | instid1(VALU_DEP_1)
	v_dual_add_f32 v2, v2, v156 :: v_dual_add_f32 v1, v1, v174
	v_dual_add_f32 v1, v1, v28 :: v_dual_mul_f32 v28, v24, v17
	s_delay_alu instid0(VALU_DEP_1) | instskip(NEXT) | instid1(VALU_DEP_2)
	v_add_f32_e32 v1, v1, v29
	v_fmac_f32_e32 v28, v25, v16
	s_delay_alu instid0(VALU_DEP_2) | instskip(NEXT) | instid1(VALU_DEP_2)
	v_add_f32_e32 v1, v1, v3
	v_dual_mul_f32 v3, v21, v13 :: v_dual_add_f32 v2, v2, v28
	s_delay_alu instid0(VALU_DEP_2) | instskip(NEXT) | instid1(VALU_DEP_2)
	v_dual_add_f32 v1, v1, v4 :: v_dual_mul_f32 v4, v23, v15
	v_fma_f32 v3, v20, v12, -v3
	s_delay_alu instid0(VALU_DEP_2) | instskip(SKIP_1) | instid1(VALU_DEP_4)
	v_dual_sub_f32 v2, v31, v2 :: v_dual_add_f32 v1, v1, v5
	v_mul_f32_e32 v5, v25, v17
	v_fma_f32 v4, v22, v14, -v4
	s_delay_alu instid0(VALU_DEP_3) | instskip(NEXT) | instid1(VALU_DEP_3)
	v_add_f32_e32 v1, v1, v3
	v_fma_f32 v3, v24, v16, -v5
	s_delay_alu instid0(VALU_DEP_2) | instskip(NEXT) | instid1(VALU_DEP_1)
	v_add_f32_e32 v1, v1, v4
	v_add_f32_e32 v1, v1, v3
	s_delay_alu instid0(VALU_DEP_1)
	v_sub_f32_e32 v1, v30, v1
	scratch_store_b64 off, v[1:2], off offset:240
	v_cmpx_lt_u32_e32 29, v0
	s_cbranch_execz .LBB122_309
; %bb.308:
	scratch_load_b64 v[1:2], off, off offset:232
	v_mov_b32_e32 v3, 0
	s_delay_alu instid0(VALU_DEP_1)
	v_mov_b32_e32 v4, v3
	scratch_store_b64 off, v[3:4], off offset:232
	s_wait_loadcnt 0x0
	ds_store_b64 v153, v[1:2]
.LBB122_309:
	s_wait_alu 0xfffe
	s_or_b32 exec_lo, exec_lo, s0
	s_wait_storecnt_dscnt 0x0
	s_barrier_signal -1
	s_barrier_wait -1
	global_inv scope:SCOPE_SE
	s_clause 0x4
	scratch_load_b128 v[2:5], off, off offset:240
	scratch_load_b128 v[6:9], off, off offset:256
	;; [unrolled: 1-line block ×5, first 2 shown]
	v_mov_b32_e32 v1, 0
	ds_load_b128 v[22:25], v1 offset:720
	ds_load_b128 v[26:29], v1 offset:736
	;; [unrolled: 1-line block ×3, first 2 shown]
	scratch_load_b64 v[30:31], off, off offset:232
	s_mov_b32 s0, exec_lo
	s_wait_loadcnt_dscnt 0x502
	v_mul_f32_e32 v32, v23, v3
	v_dual_mul_f32 v151, v22, v3 :: v_dual_mul_f32 v152, v24, v5
	v_mul_f32_e32 v3, v25, v5
	s_wait_loadcnt_dscnt 0x300
	v_mul_f32_e32 v158, v156, v13
	v_fma_f32 v22, v22, v2, -v32
	v_dual_fmac_f32 v151, v23, v2 :: v_dual_fmac_f32 v152, v25, v4
	v_fma_f32 v23, v24, v4, -v3
	ds_load_b128 v[2:5], v1 offset:768
	v_mul_f32_e32 v24, v26, v7
	v_mul_f32_e32 v7, v27, v7
	v_dual_mul_f32 v25, v28, v9 :: v_dual_mul_f32 v32, v154, v11
	s_delay_alu instid0(VALU_DEP_3) | instskip(SKIP_2) | instid1(VALU_DEP_4)
	v_dual_mul_f32 v9, v29, v9 :: v_dual_fmac_f32 v24, v27, v6
	v_dual_mul_f32 v11, v155, v11 :: v_dual_fmac_f32 v158, v157, v12
	v_mul_f32_e32 v13, v157, v13
	v_dual_fmac_f32 v25, v29, v8 :: v_dual_fmac_f32 v32, v155, v10
	s_delay_alu instid0(VALU_DEP_4) | instskip(NEXT) | instid1(VALU_DEP_4)
	v_fma_f32 v27, v28, v8, -v9
	v_fma_f32 v28, v154, v10, -v11
	s_delay_alu instid0(VALU_DEP_4)
	v_fma_f32 v29, v156, v12, -v13
	ds_load_b128 v[10:13], v1 offset:784
	v_fma_f32 v26, v26, v6, -v7
	scratch_load_b128 v[6:9], off, off offset:320
	s_wait_loadcnt_dscnt 0x301
	v_mul_f32_e32 v154, v2, v15
	v_mul_f32_e32 v15, v3, v15
	;; [unrolled: 1-line block ×3, first 2 shown]
	s_delay_alu instid0(VALU_DEP_3) | instskip(NEXT) | instid1(VALU_DEP_3)
	v_dual_mul_f32 v17, v5, v17 :: v_dual_fmac_f32 v154, v3, v14
	v_fma_f32 v14, v2, v14, -v15
	s_delay_alu instid0(VALU_DEP_3) | instskip(NEXT) | instid1(VALU_DEP_3)
	v_fmac_f32_e32 v155, v5, v16
	v_fma_f32 v15, v4, v16, -v17
	ds_load_b128 v[2:5], v1 offset:800
	s_wait_loadcnt_dscnt 0x201
	v_mul_f32_e32 v16, v10, v19
	v_mul_f32_e32 v17, v11, v19
	v_mul_f32_e32 v19, v12, v21
	s_delay_alu instid0(VALU_DEP_3) | instskip(NEXT) | instid1(VALU_DEP_3)
	v_dual_mul_f32 v21, v13, v21 :: v_dual_fmac_f32 v16, v11, v18
	v_fma_f32 v17, v10, v18, -v17
	s_delay_alu instid0(VALU_DEP_3) | instskip(NEXT) | instid1(VALU_DEP_3)
	v_fmac_f32_e32 v19, v13, v20
	v_fma_f32 v18, v12, v20, -v21
	scratch_load_b128 v[10:13], off, off offset:336
	s_wait_loadcnt_dscnt 0x100
	v_mul_f32_e32 v20, v2, v7
	v_mul_f32_e32 v7, v3, v7
	;; [unrolled: 1-line block ×3, first 2 shown]
	s_delay_alu instid0(VALU_DEP_3) | instskip(NEXT) | instid1(VALU_DEP_3)
	v_dual_mul_f32 v9, v5, v9 :: v_dual_fmac_f32 v20, v3, v6
	v_fma_f32 v156, v2, v6, -v7
	s_delay_alu instid0(VALU_DEP_3) | instskip(NEXT) | instid1(VALU_DEP_3)
	v_fmac_f32_e32 v21, v5, v8
	v_fma_f32 v157, v4, v8, -v9
	ds_load_b128 v[2:5], v1 offset:816
	ds_load_b128 v[6:9], v1 offset:832
	s_wait_loadcnt_dscnt 0x1
	v_mul_f32_e32 v159, v2, v11
	v_dual_mul_f32 v11, v3, v11 :: v_dual_mul_f32 v160, v4, v13
	s_delay_alu instid0(VALU_DEP_2) | instskip(NEXT) | instid1(VALU_DEP_2)
	v_fmac_f32_e32 v159, v3, v10
	v_fma_f32 v161, v2, v10, -v11
	v_mul_f32_e32 v2, v5, v13
	s_delay_alu instid0(VALU_DEP_4) | instskip(NEXT) | instid1(VALU_DEP_2)
	v_fmac_f32_e32 v160, v5, v12
	v_fma_f32 v162, v4, v12, -v2
	s_clause 0x1
	scratch_load_b128 v[2:5], off, off offset:352
	scratch_load_b128 v[10:13], off, off offset:368
	s_wait_loadcnt_dscnt 0x100
	v_mul_f32_e32 v163, v6, v3
	v_mul_f32_e32 v3, v7, v3
	;; [unrolled: 1-line block ×3, first 2 shown]
	s_delay_alu instid0(VALU_DEP_3) | instskip(NEXT) | instid1(VALU_DEP_3)
	v_fmac_f32_e32 v163, v7, v2
	v_fma_f32 v164, v6, v2, -v3
	v_mul_f32_e32 v2, v9, v5
	s_delay_alu instid0(VALU_DEP_4) | instskip(NEXT) | instid1(VALU_DEP_2)
	v_fmac_f32_e32 v165, v9, v4
	v_fma_f32 v166, v8, v4, -v2
	ds_load_b128 v[2:5], v1 offset:848
	ds_load_b128 v[6:9], v1 offset:864
	s_wait_loadcnt_dscnt 0x1
	v_mul_f32_e32 v167, v2, v11
	v_mul_f32_e32 v169, v4, v13
	s_delay_alu instid0(VALU_DEP_2) | instskip(SKIP_1) | instid1(VALU_DEP_3)
	v_fmac_f32_e32 v167, v3, v10
	v_mul_f32_e32 v3, v3, v11
	v_fmac_f32_e32 v169, v5, v12
	s_delay_alu instid0(VALU_DEP_2) | instskip(SKIP_1) | instid1(VALU_DEP_1)
	v_fma_f32 v168, v2, v10, -v3
	v_mul_f32_e32 v2, v5, v13
	v_fma_f32 v170, v4, v12, -v2
	s_clause 0x1
	scratch_load_b128 v[2:5], off, off offset:384
	scratch_load_b128 v[10:13], off, off offset:400
	s_wait_loadcnt_dscnt 0x100
	v_mul_f32_e32 v171, v6, v3
	v_mul_f32_e32 v3, v7, v3
	s_delay_alu instid0(VALU_DEP_2) | instskip(NEXT) | instid1(VALU_DEP_2)
	v_fmac_f32_e32 v171, v7, v2
	v_fma_f32 v172, v6, v2, -v3
	v_mul_f32_e32 v2, v9, v5
	s_delay_alu instid0(VALU_DEP_1) | instskip(SKIP_1) | instid1(VALU_DEP_1)
	v_fma_f32 v174, v8, v4, -v2
	v_add_f32_e32 v2, 0, v22
	v_add_f32_e32 v2, v2, v23
	s_delay_alu instid0(VALU_DEP_1) | instskip(NEXT) | instid1(VALU_DEP_1)
	v_add_f32_e32 v2, v2, v26
	v_add_f32_e32 v2, v2, v27
	scratch_load_b64 v[26:27], off, off offset:464
	v_add_f32_e32 v2, v2, v28
	s_delay_alu instid0(VALU_DEP_1) | instskip(NEXT) | instid1(VALU_DEP_1)
	v_add_f32_e32 v7, v2, v29
	v_add_f32_e32 v7, v7, v14
	s_delay_alu instid0(VALU_DEP_1) | instskip(NEXT) | instid1(VALU_DEP_1)
	v_add_f32_e32 v14, v7, v15
	v_dual_add_f32 v3, 0, v151 :: v_dual_add_f32 v14, v14, v17
	s_delay_alu instid0(VALU_DEP_1) | instskip(NEXT) | instid1(VALU_DEP_1)
	v_dual_add_f32 v3, v3, v152 :: v_dual_add_f32 v14, v14, v18
	v_add_f32_e32 v14, v14, v156
	s_delay_alu instid0(VALU_DEP_2) | instskip(NEXT) | instid1(VALU_DEP_1)
	v_add_f32_e32 v3, v3, v24
	v_add_f32_e32 v3, v3, v25
	s_delay_alu instid0(VALU_DEP_1) | instskip(NEXT) | instid1(VALU_DEP_1)
	v_add_f32_e32 v6, v3, v32
	v_add_f32_e32 v6, v6, v158
	s_delay_alu instid0(VALU_DEP_1) | instskip(NEXT) | instid1(VALU_DEP_1)
	;; [unrolled: 3-line block ×4, first 2 shown]
	v_dual_add_f32 v19, v14, v157 :: v_dual_add_f32 v18, v15, v20
	v_add_f32_e32 v19, v19, v161
	scratch_load_b128 v[14:17], off, off offset:448
	v_add_f32_e32 v18, v18, v21
	v_mul_f32_e32 v173, v8, v5
	s_delay_alu instid0(VALU_DEP_2) | instskip(NEXT) | instid1(VALU_DEP_1)
	v_dual_add_f32 v19, v19, v162 :: v_dual_add_f32 v18, v18, v159
	v_add_f32_e32 v19, v19, v164
	s_delay_alu instid0(VALU_DEP_2) | instskip(NEXT) | instid1(VALU_DEP_4)
	v_add_f32_e32 v18, v18, v160
	v_fmac_f32_e32 v173, v9, v4
	ds_load_b128 v[2:5], v1 offset:880
	ds_load_b128 v[6:9], v1 offset:896
	v_dual_add_f32 v19, v19, v166 :: v_dual_add_f32 v18, v18, v163
	s_delay_alu instid0(VALU_DEP_1) | instskip(NEXT) | instid1(VALU_DEP_2)
	v_add_f32_e32 v28, v19, v168
	v_add_f32_e32 v22, v18, v165
	ds_load_b128 v[18:21], v1 offset:912
	v_add_f32_e32 v29, v22, v167
	ds_load_b128 v[22:25], v1 offset:928
	v_dual_add_f32 v155, v28, v170 :: v_dual_add_f32 v156, v29, v169
	ds_load_b64 v[28:29], v1 offset:944
	s_wait_loadcnt_dscnt 0x204
	v_mul_f32_e32 v32, v2, v11
	v_mul_f32_e32 v11, v3, v11
	v_dual_add_f32 v155, v155, v172 :: v_dual_add_f32 v156, v156, v171
	s_delay_alu instid0(VALU_DEP_3) | instskip(NEXT) | instid1(VALU_DEP_3)
	v_fmac_f32_e32 v32, v3, v10
	v_fma_f32 v152, v2, v10, -v11
	s_delay_alu instid0(VALU_DEP_3) | instskip(SKIP_2) | instid1(VALU_DEP_3)
	v_add_f32_e32 v155, v155, v174
	v_mul_f32_e32 v151, v4, v13
	v_add_f32_e32 v156, v156, v173
	v_add_f32_e32 v152, v155, v152
	s_delay_alu instid0(VALU_DEP_3) | instskip(NEXT) | instid1(VALU_DEP_3)
	v_fmac_f32_e32 v151, v5, v12
	v_dual_add_f32 v32, v156, v32 :: v_dual_mul_f32 v13, v5, v13
	s_delay_alu instid0(VALU_DEP_1) | instskip(NEXT) | instid1(VALU_DEP_2)
	v_add_f32_e32 v32, v32, v151
	v_fma_f32 v154, v4, v12, -v13
	s_clause 0x1
	scratch_load_b128 v[2:5], off, off offset:416
	scratch_load_b128 v[10:13], off, off offset:432
	s_wait_loadcnt_dscnt 0x201
	v_dual_add_f32 v152, v152, v154 :: v_dual_mul_f32 v159, v22, v15
	s_delay_alu instid0(VALU_DEP_1) | instskip(SKIP_1) | instid1(VALU_DEP_1)
	v_dual_mul_f32 v154, v24, v17 :: v_dual_fmac_f32 v159, v23, v14
	s_wait_loadcnt 0x1
	v_dual_fmac_f32 v154, v25, v16 :: v_dual_mul_f32 v157, v6, v3
	v_dual_mul_f32 v3, v7, v3 :: v_dual_mul_f32 v158, v8, v5
	v_mul_f32_e32 v5, v9, v5
	s_wait_loadcnt 0x0
	v_mul_f32_e32 v155, v18, v11
	v_fmac_f32_e32 v157, v7, v2
	v_fma_f32 v3, v6, v2, -v3
	v_fmac_f32_e32 v158, v9, v4
	v_fma_f32 v2, v8, v4, -v5
	s_delay_alu instid0(VALU_DEP_4) | instskip(NEXT) | instid1(VALU_DEP_4)
	v_dual_mul_f32 v4, v19, v11 :: v_dual_add_f32 v5, v32, v157
	v_dual_add_f32 v3, v152, v3 :: v_dual_mul_f32 v6, v21, v13
	v_mul_f32_e32 v156, v20, v13
	s_delay_alu instid0(VALU_DEP_3) | instskip(SKIP_1) | instid1(VALU_DEP_4)
	v_fma_f32 v4, v18, v10, -v4
	v_fmac_f32_e32 v155, v19, v10
	v_add_f32_e32 v2, v3, v2
	v_add_f32_e32 v3, v5, v158
	v_mul_f32_e32 v5, v23, v15
	v_fma_f32 v6, v20, v12, -v6
	v_fmac_f32_e32 v156, v21, v12
	s_delay_alu instid0(VALU_DEP_4) | instskip(SKIP_2) | instid1(VALU_DEP_3)
	v_dual_add_f32 v2, v2, v4 :: v_dual_add_f32 v3, v3, v155
	v_mul_f32_e32 v4, v25, v17
	v_fma_f32 v5, v22, v14, -v5
	v_dual_add_f32 v2, v2, v6 :: v_dual_add_f32 v3, v3, v156
	s_wait_dscnt 0x0
	v_mul_f32_e32 v6, v29, v27
	v_fma_f32 v4, v24, v16, -v4
	s_delay_alu instid0(VALU_DEP_3) | instskip(NEXT) | instid1(VALU_DEP_3)
	v_dual_add_f32 v2, v2, v5 :: v_dual_add_f32 v3, v3, v159
	v_fma_f32 v5, v28, v26, -v6
	s_delay_alu instid0(VALU_DEP_2) | instskip(NEXT) | instid1(VALU_DEP_1)
	v_dual_add_f32 v2, v2, v4 :: v_dual_mul_f32 v151, v28, v27
	v_dual_add_f32 v3, v3, v154 :: v_dual_add_f32 v2, v2, v5
	s_delay_alu instid0(VALU_DEP_2) | instskip(NEXT) | instid1(VALU_DEP_1)
	v_fmac_f32_e32 v151, v29, v26
	v_dual_sub_f32 v2, v30, v2 :: v_dual_add_f32 v3, v3, v151
	s_delay_alu instid0(VALU_DEP_1)
	v_sub_f32_e32 v3, v31, v3
	scratch_store_b64 off, v[2:3], off offset:232
	v_cmpx_lt_u32_e32 28, v0
	s_cbranch_execz .LBB122_311
; %bb.310:
	scratch_load_b64 v[3:4], off, off offset:224
	v_mov_b32_e32 v2, v1
	scratch_store_b64 off, v[1:2], off offset:224
	s_wait_loadcnt 0x0
	ds_store_b64 v153, v[3:4]
.LBB122_311:
	s_wait_alu 0xfffe
	s_or_b32 exec_lo, exec_lo, s0
	s_wait_storecnt_dscnt 0x0
	s_barrier_signal -1
	s_barrier_wait -1
	global_inv scope:SCOPE_SE
	s_clause 0x4
	scratch_load_b128 v[2:5], off, off offset:232
	scratch_load_b128 v[6:9], off, off offset:248
	;; [unrolled: 1-line block ×5, first 2 shown]
	ds_load_2addr_b64 v[22:25], v1 offset0:89 offset1:90
	ds_load_2addr_b64 v[26:29], v1 offset0:91 offset1:92
	;; [unrolled: 1-line block ×3, first 2 shown]
	scratch_load_b64 v[30:31], off, off offset:224
	s_mov_b32 s0, exec_lo
	s_wait_loadcnt_dscnt 0x502
	v_mul_f32_e32 v32, v23, v3
	v_dual_mul_f32 v151, v22, v3 :: v_dual_mul_f32 v152, v24, v5
	v_mul_f32_e32 v3, v25, v5
	s_wait_loadcnt_dscnt 0x300
	v_mul_f32_e32 v158, v156, v13
	v_fma_f32 v22, v22, v2, -v32
	v_dual_fmac_f32 v151, v23, v2 :: v_dual_fmac_f32 v152, v25, v4
	v_fma_f32 v23, v24, v4, -v3
	ds_load_2addr_b64 v[2:5], v1 offset0:95 offset1:96
	v_dual_mul_f32 v24, v26, v7 :: v_dual_mul_f32 v25, v28, v9
	v_mul_f32_e32 v7, v27, v7
	v_dual_mul_f32 v9, v29, v9 :: v_dual_mul_f32 v32, v154, v11
	v_dual_mul_f32 v11, v155, v11 :: v_dual_fmac_f32 v158, v157, v12
	s_delay_alu instid0(VALU_DEP_4) | instskip(SKIP_1) | instid1(VALU_DEP_4)
	v_dual_mul_f32 v13, v157, v13 :: v_dual_fmac_f32 v24, v27, v6
	v_fmac_f32_e32 v25, v29, v8
	v_fma_f32 v27, v28, v8, -v9
	v_fmac_f32_e32 v32, v155, v10
	v_fma_f32 v28, v154, v10, -v11
	v_fma_f32 v29, v156, v12, -v13
	ds_load_2addr_b64 v[10:13], v1 offset0:97 offset1:98
	v_fma_f32 v26, v26, v6, -v7
	scratch_load_b128 v[6:9], off, off offset:312
	s_wait_loadcnt_dscnt 0x301
	v_dual_mul_f32 v154, v2, v15 :: v_dual_mul_f32 v155, v4, v17
	v_mul_f32_e32 v15, v3, v15
	s_delay_alu instid0(VALU_DEP_2) | instskip(NEXT) | instid1(VALU_DEP_3)
	v_dual_mul_f32 v17, v5, v17 :: v_dual_fmac_f32 v154, v3, v14
	v_fmac_f32_e32 v155, v5, v16
	s_delay_alu instid0(VALU_DEP_3) | instskip(NEXT) | instid1(VALU_DEP_3)
	v_fma_f32 v14, v2, v14, -v15
	v_fma_f32 v15, v4, v16, -v17
	ds_load_2addr_b64 v[2:5], v1 offset0:99 offset1:100
	s_wait_loadcnt_dscnt 0x201
	v_mul_f32_e32 v16, v10, v19
	v_mul_f32_e32 v17, v11, v19
	;; [unrolled: 1-line block ×3, first 2 shown]
	s_delay_alu instid0(VALU_DEP_3) | instskip(NEXT) | instid1(VALU_DEP_3)
	v_dual_mul_f32 v21, v13, v21 :: v_dual_fmac_f32 v16, v11, v18
	v_fma_f32 v17, v10, v18, -v17
	s_delay_alu instid0(VALU_DEP_3) | instskip(NEXT) | instid1(VALU_DEP_3)
	v_fmac_f32_e32 v19, v13, v20
	v_fma_f32 v18, v12, v20, -v21
	scratch_load_b128 v[10:13], off, off offset:328
	s_wait_loadcnt_dscnt 0x100
	v_mul_f32_e32 v20, v2, v7
	v_mul_f32_e32 v7, v3, v7
	;; [unrolled: 1-line block ×3, first 2 shown]
	s_delay_alu instid0(VALU_DEP_3) | instskip(NEXT) | instid1(VALU_DEP_3)
	v_dual_mul_f32 v9, v5, v9 :: v_dual_fmac_f32 v20, v3, v6
	v_fma_f32 v156, v2, v6, -v7
	s_delay_alu instid0(VALU_DEP_3) | instskip(NEXT) | instid1(VALU_DEP_3)
	v_fmac_f32_e32 v21, v5, v8
	v_fma_f32 v157, v4, v8, -v9
	ds_load_2addr_b64 v[2:5], v1 offset0:101 offset1:102
	ds_load_2addr_b64 v[6:9], v1 offset0:103 offset1:104
	s_wait_loadcnt_dscnt 0x1
	v_mul_f32_e32 v159, v2, v11
	v_dual_mul_f32 v11, v3, v11 :: v_dual_mul_f32 v160, v4, v13
	s_delay_alu instid0(VALU_DEP_2) | instskip(NEXT) | instid1(VALU_DEP_2)
	v_fmac_f32_e32 v159, v3, v10
	v_fma_f32 v161, v2, v10, -v11
	v_mul_f32_e32 v2, v5, v13
	s_delay_alu instid0(VALU_DEP_4) | instskip(NEXT) | instid1(VALU_DEP_2)
	v_fmac_f32_e32 v160, v5, v12
	v_fma_f32 v162, v4, v12, -v2
	s_clause 0x1
	scratch_load_b128 v[2:5], off, off offset:344
	scratch_load_b128 v[10:13], off, off offset:360
	s_wait_loadcnt_dscnt 0x100
	v_mul_f32_e32 v163, v6, v3
	v_mul_f32_e32 v3, v7, v3
	;; [unrolled: 1-line block ×3, first 2 shown]
	s_delay_alu instid0(VALU_DEP_3) | instskip(NEXT) | instid1(VALU_DEP_3)
	v_fmac_f32_e32 v163, v7, v2
	v_fma_f32 v164, v6, v2, -v3
	v_mul_f32_e32 v2, v9, v5
	s_delay_alu instid0(VALU_DEP_4) | instskip(NEXT) | instid1(VALU_DEP_2)
	v_fmac_f32_e32 v165, v9, v4
	v_fma_f32 v166, v8, v4, -v2
	ds_load_2addr_b64 v[2:5], v1 offset0:105 offset1:106
	ds_load_2addr_b64 v[6:9], v1 offset0:107 offset1:108
	s_wait_loadcnt_dscnt 0x1
	v_mul_f32_e32 v167, v2, v11
	v_mul_f32_e32 v169, v4, v13
	s_delay_alu instid0(VALU_DEP_2) | instskip(SKIP_1) | instid1(VALU_DEP_3)
	v_fmac_f32_e32 v167, v3, v10
	v_mul_f32_e32 v3, v3, v11
	v_fmac_f32_e32 v169, v5, v12
	s_delay_alu instid0(VALU_DEP_2) | instskip(SKIP_1) | instid1(VALU_DEP_1)
	v_fma_f32 v168, v2, v10, -v3
	v_mul_f32_e32 v2, v5, v13
	v_fma_f32 v170, v4, v12, -v2
	s_clause 0x1
	scratch_load_b128 v[2:5], off, off offset:376
	scratch_load_b128 v[10:13], off, off offset:392
	s_wait_loadcnt_dscnt 0x100
	v_mul_f32_e32 v171, v6, v3
	v_mul_f32_e32 v3, v7, v3
	s_delay_alu instid0(VALU_DEP_2) | instskip(NEXT) | instid1(VALU_DEP_2)
	v_fmac_f32_e32 v171, v7, v2
	v_fma_f32 v172, v6, v2, -v3
	v_dual_mul_f32 v2, v9, v5 :: v_dual_add_f32 v3, 0, v151
	s_delay_alu instid0(VALU_DEP_1) | instskip(SKIP_1) | instid1(VALU_DEP_1)
	v_fma_f32 v174, v8, v4, -v2
	v_add_f32_e32 v2, 0, v22
	v_add_f32_e32 v2, v2, v23
	s_delay_alu instid0(VALU_DEP_1) | instskip(NEXT) | instid1(VALU_DEP_1)
	v_add_f32_e32 v2, v2, v26
	v_dual_add_f32 v2, v2, v27 :: v_dual_add_f32 v3, v3, v152
	s_delay_alu instid0(VALU_DEP_1) | instskip(NEXT) | instid1(VALU_DEP_1)
	v_add_f32_e32 v2, v2, v28
	v_dual_add_f32 v2, v2, v29 :: v_dual_add_f32 v3, v3, v24
	s_delay_alu instid0(VALU_DEP_1) | instskip(NEXT) | instid1(VALU_DEP_2)
	v_add_f32_e32 v7, v2, v14
	v_add_f32_e32 v3, v3, v25
	s_delay_alu instid0(VALU_DEP_2) | instskip(NEXT) | instid1(VALU_DEP_2)
	v_add_f32_e32 v15, v7, v15
	v_add_f32_e32 v3, v3, v32
	s_delay_alu instid0(VALU_DEP_2) | instskip(NEXT) | instid1(VALU_DEP_2)
	v_add_f32_e32 v15, v15, v17
	v_add_f32_e32 v6, v3, v158
	s_delay_alu instid0(VALU_DEP_2) | instskip(NEXT) | instid1(VALU_DEP_2)
	v_add_f32_e32 v18, v15, v18
	v_add_f32_e32 v14, v6, v154
	s_delay_alu instid0(VALU_DEP_2) | instskip(NEXT) | instid1(VALU_DEP_2)
	v_add_f32_e32 v18, v18, v156
	v_add_f32_e32 v14, v14, v155
	s_delay_alu instid0(VALU_DEP_2) | instskip(NEXT) | instid1(VALU_DEP_2)
	v_add_f32_e32 v18, v18, v157
	v_add_f32_e32 v14, v14, v16
	s_delay_alu instid0(VALU_DEP_2) | instskip(NEXT) | instid1(VALU_DEP_2)
	v_add_f32_e32 v18, v18, v161
	v_add_f32_e32 v19, v14, v19
	ds_load_2addr_b64 v[14:17], v1 offset0:111 offset1:112
	v_add_f32_e32 v19, v19, v20
	s_delay_alu instid0(VALU_DEP_1) | instskip(NEXT) | instid1(VALU_DEP_1)
	v_add_f32_e32 v19, v19, v21
	v_dual_mul_f32 v173, v8, v5 :: v_dual_add_f32 v22, v19, v159
	s_delay_alu instid0(VALU_DEP_1) | instskip(SKIP_3) | instid1(VALU_DEP_1)
	v_fmac_f32_e32 v173, v9, v4
	scratch_load_b128 v[6:9], off, off offset:408
	ds_load_2addr_b64 v[2:5], v1 offset0:109 offset1:110
	v_add_f32_e32 v22, v22, v160
	v_add_f32_e32 v22, v22, v163
	s_wait_loadcnt_dscnt 0x100
	v_mul_f32_e32 v26, v2, v11
	v_mul_f32_e32 v11, v3, v11
	s_delay_alu instid0(VALU_DEP_2) | instskip(SKIP_1) | instid1(VALU_DEP_3)
	v_dual_fmac_f32 v26, v3, v10 :: v_dual_mul_f32 v27, v4, v13
	v_mul_f32_e32 v13, v5, v13
	v_fma_f32 v28, v2, v10, -v11
	s_delay_alu instid0(VALU_DEP_3) | instskip(NEXT) | instid1(VALU_DEP_3)
	v_fmac_f32_e32 v27, v5, v12
	v_fma_f32 v29, v4, v12, -v13
	s_clause 0x1
	scratch_load_b128 v[2:5], off, off offset:424
	scratch_load_b128 v[10:13], off, off offset:440
	v_add_f32_e32 v23, v18, v162
	scratch_load_b128 v[18:21], off, off offset:456
	v_add_f32_e32 v23, v23, v164
	s_wait_loadcnt 0x3
	s_delay_alu instid0(VALU_DEP_1) | instskip(SKIP_1) | instid1(VALU_DEP_2)
	v_dual_add_f32 v23, v23, v166 :: v_dual_mul_f32 v32, v14, v7
	v_mul_f32_e32 v7, v15, v7
	v_fmac_f32_e32 v32, v15, v6
	s_delay_alu instid0(VALU_DEP_2) | instskip(SKIP_1) | instid1(VALU_DEP_1)
	v_fma_f32 v152, v14, v6, -v7
	v_add_f32_e32 v14, v22, v165
	v_dual_add_f32 v22, v23, v168 :: v_dual_add_f32 v23, v14, v167
	s_delay_alu instid0(VALU_DEP_1) | instskip(SKIP_3) | instid1(VALU_DEP_2)
	v_dual_add_f32 v155, v22, v170 :: v_dual_add_f32 v156, v23, v169
	ds_load_2addr_b64 v[22:25], v1 offset0:117 offset1:118
	v_mul_f32_e32 v151, v16, v9
	v_mul_f32_e32 v9, v17, v9
	v_fmac_f32_e32 v151, v17, v8
	s_delay_alu instid0(VALU_DEP_2) | instskip(SKIP_4) | instid1(VALU_DEP_2)
	v_fma_f32 v154, v16, v8, -v9
	ds_load_2addr_b64 v[6:9], v1 offset0:113 offset1:114
	ds_load_2addr_b64 v[14:17], v1 offset0:115 offset1:116
	v_add_f32_e32 v1, v155, v172
	v_add_f32_e32 v155, v156, v171
	;; [unrolled: 1-line block ×3, first 2 shown]
	s_delay_alu instid0(VALU_DEP_2) | instskip(NEXT) | instid1(VALU_DEP_1)
	v_add_f32_e32 v155, v155, v173
	v_dual_add_f32 v1, v1, v28 :: v_dual_add_f32 v26, v155, v26
	s_delay_alu instid0(VALU_DEP_1)
	v_dual_add_f32 v1, v1, v29 :: v_dual_add_f32 v26, v26, v27
	s_wait_loadcnt_dscnt 0x2
	v_mul_f32_e32 v27, v22, v19
	s_wait_dscnt 0x1
	v_mul_f32_e32 v156, v6, v3
	v_mul_f32_e32 v3, v7, v3
	v_add_f32_e32 v1, v1, v152
	v_add_f32_e32 v26, v26, v32
	v_mul_f32_e32 v28, v8, v5
	v_mul_f32_e32 v5, v9, v5
	v_fma_f32 v3, v6, v2, -v3
	v_fmac_f32_e32 v156, v7, v2
	v_dual_add_f32 v1, v1, v154 :: v_dual_add_f32 v2, v26, v151
	s_wait_dscnt 0x0
	v_mul_f32_e32 v155, v14, v11
	v_mul_f32_e32 v6, v15, v11
	v_fmac_f32_e32 v28, v9, v4
	v_fma_f32 v4, v8, v4, -v5
	v_dual_add_f32 v1, v1, v3 :: v_dual_add_f32 v2, v2, v156
	v_mul_f32_e32 v157, v16, v13
	v_mul_f32_e32 v3, v17, v13
	v_fmac_f32_e32 v155, v15, v10
	v_fma_f32 v5, v14, v10, -v6
	v_add_f32_e32 v1, v1, v4
	v_add_f32_e32 v2, v2, v28
	v_dual_mul_f32 v4, v23, v19 :: v_dual_fmac_f32 v157, v17, v12
	v_fma_f32 v3, v16, v12, -v3
	s_delay_alu instid0(VALU_DEP_3)
	v_dual_add_f32 v1, v1, v5 :: v_dual_add_f32 v2, v2, v155
	v_mul_f32_e32 v29, v24, v21
	v_mul_f32_e32 v5, v25, v21
	v_fmac_f32_e32 v27, v23, v18
	v_fma_f32 v4, v22, v18, -v4
	v_dual_add_f32 v1, v1, v3 :: v_dual_add_f32 v2, v2, v157
	v_fmac_f32_e32 v29, v25, v20
	v_fma_f32 v3, v24, v20, -v5
	s_delay_alu instid0(VALU_DEP_3) | instskip(NEXT) | instid1(VALU_DEP_1)
	v_dual_add_f32 v1, v1, v4 :: v_dual_add_f32 v2, v2, v27
	v_dual_add_f32 v1, v1, v3 :: v_dual_add_f32 v2, v2, v29
	s_delay_alu instid0(VALU_DEP_1)
	v_dual_sub_f32 v1, v30, v1 :: v_dual_sub_f32 v2, v31, v2
	scratch_store_b64 off, v[1:2], off offset:224
	v_cmpx_lt_u32_e32 27, v0
	s_cbranch_execz .LBB122_313
; %bb.312:
	scratch_load_b64 v[1:2], off, off offset:216
	v_mov_b32_e32 v3, 0
	s_delay_alu instid0(VALU_DEP_1)
	v_mov_b32_e32 v4, v3
	scratch_store_b64 off, v[3:4], off offset:216
	s_wait_loadcnt 0x0
	ds_store_b64 v153, v[1:2]
.LBB122_313:
	s_wait_alu 0xfffe
	s_or_b32 exec_lo, exec_lo, s0
	s_wait_storecnt_dscnt 0x0
	s_barrier_signal -1
	s_barrier_wait -1
	global_inv scope:SCOPE_SE
	s_clause 0x4
	scratch_load_b128 v[5:8], off, off offset:224
	scratch_load_b128 v[1:4], off, off offset:240
	;; [unrolled: 1-line block ×5, first 2 shown]
	v_mov_b32_e32 v21, 0
	ds_load_b128 v[22:25], v21 offset:704
	ds_load_b128 v[26:29], v21 offset:720
	;; [unrolled: 1-line block ×3, first 2 shown]
	scratch_load_b64 v[30:31], off, off offset:216
	s_mov_b32 s0, exec_lo
	s_wait_loadcnt_dscnt 0x502
	v_mul_f32_e32 v32, v23, v6
	v_dual_mul_f32 v151, v22, v6 :: v_dual_mul_f32 v152, v24, v8
	v_mul_f32_e32 v6, v25, v8
	s_wait_loadcnt_dscnt 0x300
	v_mul_f32_e32 v158, v156, v12
	v_fma_f32 v22, v22, v5, -v32
	v_dual_fmac_f32 v151, v23, v5 :: v_dual_fmac_f32 v152, v25, v7
	v_mul_f32_e32 v25, v28, v4
	v_fma_f32 v23, v24, v7, -v6
	ds_load_b128 v[5:8], v21 offset:752
	v_mul_f32_e32 v24, v26, v2
	v_mul_f32_e32 v4, v29, v4
	;; [unrolled: 1-line block ×5, first 2 shown]
	v_dual_mul_f32 v2, v27, v2 :: v_dual_fmac_f32 v25, v29, v3
	v_fmac_f32_e32 v24, v27, v1
	v_fma_f32 v27, v28, v3, -v4
	v_fmac_f32_e32 v32, v155, v9
	v_fma_f32 v28, v154, v9, -v10
	v_fmac_f32_e32 v158, v157, v11
	v_fma_f32 v29, v156, v11, -v12
	ds_load_b128 v[9:12], v21 offset:768
	s_wait_loadcnt_dscnt 0x201
	v_dual_mul_f32 v155, v7, v16 :: v_dual_mul_f32 v154, v5, v14
	v_mul_f32_e32 v14, v6, v14
	v_mul_f32_e32 v16, v8, v16
	s_delay_alu instid0(VALU_DEP_3)
	v_fmac_f32_e32 v155, v8, v15
	v_fma_f32 v26, v26, v1, -v2
	scratch_load_b128 v[1:4], off, off offset:304
	v_fmac_f32_e32 v154, v6, v13
	v_fma_f32 v13, v5, v13, -v14
	v_fma_f32 v14, v7, v15, -v16
	ds_load_b128 v[5:8], v21 offset:784
	s_wait_loadcnt_dscnt 0x201
	v_mul_f32_e32 v15, v9, v18
	v_mul_f32_e32 v16, v10, v18
	;; [unrolled: 1-line block ×3, first 2 shown]
	s_delay_alu instid0(VALU_DEP_3) | instskip(NEXT) | instid1(VALU_DEP_3)
	v_dual_mul_f32 v20, v12, v20 :: v_dual_fmac_f32 v15, v10, v17
	v_fma_f32 v16, v9, v17, -v16
	s_delay_alu instid0(VALU_DEP_3) | instskip(NEXT) | instid1(VALU_DEP_3)
	v_fmac_f32_e32 v18, v12, v19
	v_fma_f32 v17, v11, v19, -v20
	scratch_load_b128 v[9:12], off, off offset:320
	s_wait_loadcnt_dscnt 0x100
	v_mul_f32_e32 v19, v5, v2
	v_mul_f32_e32 v2, v6, v2
	;; [unrolled: 1-line block ×3, first 2 shown]
	s_delay_alu instid0(VALU_DEP_3) | instskip(NEXT) | instid1(VALU_DEP_3)
	v_dual_mul_f32 v4, v8, v4 :: v_dual_fmac_f32 v19, v6, v1
	v_fma_f32 v156, v5, v1, -v2
	s_delay_alu instid0(VALU_DEP_3) | instskip(NEXT) | instid1(VALU_DEP_3)
	v_fmac_f32_e32 v20, v8, v3
	v_fma_f32 v157, v7, v3, -v4
	ds_load_b128 v[1:4], v21 offset:800
	ds_load_b128 v[5:8], v21 offset:816
	s_wait_loadcnt_dscnt 0x1
	v_mul_f32_e32 v159, v1, v10
	v_mul_f32_e32 v10, v2, v10
	s_delay_alu instid0(VALU_DEP_2) | instskip(NEXT) | instid1(VALU_DEP_2)
	v_dual_mul_f32 v160, v3, v12 :: v_dual_fmac_f32 v159, v2, v9
	v_fma_f32 v161, v1, v9, -v10
	v_mul_f32_e32 v1, v4, v12
	s_delay_alu instid0(VALU_DEP_3) | instskip(NEXT) | instid1(VALU_DEP_2)
	v_fmac_f32_e32 v160, v4, v11
	v_fma_f32 v162, v3, v11, -v1
	s_clause 0x1
	scratch_load_b128 v[1:4], off, off offset:336
	scratch_load_b128 v[9:12], off, off offset:352
	s_wait_loadcnt_dscnt 0x100
	v_mul_f32_e32 v163, v5, v2
	v_dual_mul_f32 v2, v6, v2 :: v_dual_mul_f32 v165, v7, v4
	s_delay_alu instid0(VALU_DEP_2) | instskip(NEXT) | instid1(VALU_DEP_2)
	v_fmac_f32_e32 v163, v6, v1
	v_fma_f32 v164, v5, v1, -v2
	v_mul_f32_e32 v1, v8, v4
	s_delay_alu instid0(VALU_DEP_4) | instskip(NEXT) | instid1(VALU_DEP_2)
	v_fmac_f32_e32 v165, v8, v3
	v_fma_f32 v166, v7, v3, -v1
	ds_load_b128 v[1:4], v21 offset:832
	ds_load_b128 v[5:8], v21 offset:848
	s_wait_loadcnt_dscnt 0x1
	v_mul_f32_e32 v167, v1, v10
	v_mul_f32_e32 v169, v3, v12
	s_delay_alu instid0(VALU_DEP_2) | instskip(NEXT) | instid1(VALU_DEP_2)
	v_fmac_f32_e32 v167, v2, v9
	v_dual_mul_f32 v2, v2, v10 :: v_dual_fmac_f32 v169, v4, v11
	s_delay_alu instid0(VALU_DEP_1) | instskip(SKIP_1) | instid1(VALU_DEP_1)
	v_fma_f32 v168, v1, v9, -v2
	v_mul_f32_e32 v1, v4, v12
	v_fma_f32 v170, v3, v11, -v1
	s_clause 0x1
	scratch_load_b128 v[1:4], off, off offset:368
	scratch_load_b128 v[9:12], off, off offset:384
	s_wait_loadcnt_dscnt 0x100
	v_mul_f32_e32 v171, v5, v2
	v_dual_mul_f32 v2, v6, v2 :: v_dual_mul_f32 v173, v7, v4
	s_delay_alu instid0(VALU_DEP_2) | instskip(NEXT) | instid1(VALU_DEP_2)
	v_fmac_f32_e32 v171, v6, v1
	v_fma_f32 v172, v5, v1, -v2
	v_mul_f32_e32 v1, v8, v4
	s_delay_alu instid0(VALU_DEP_4) | instskip(NEXT) | instid1(VALU_DEP_2)
	v_fmac_f32_e32 v173, v8, v3
	v_fma_f32 v174, v7, v3, -v1
	v_add_f32_e32 v1, 0, v22
	s_delay_alu instid0(VALU_DEP_1) | instskip(NEXT) | instid1(VALU_DEP_1)
	v_add_f32_e32 v1, v1, v23
	v_dual_add_f32 v2, 0, v151 :: v_dual_add_f32 v1, v1, v26
	s_delay_alu instid0(VALU_DEP_1) | instskip(SKIP_2) | instid1(VALU_DEP_1)
	v_add_f32_e32 v1, v1, v27
	scratch_load_b64 v[26:27], off, off offset:464
	v_add_f32_e32 v1, v1, v28
	v_dual_add_f32 v2, v2, v152 :: v_dual_add_f32 v1, v1, v29
	s_delay_alu instid0(VALU_DEP_1) | instskip(NEXT) | instid1(VALU_DEP_2)
	v_add_f32_e32 v2, v2, v24
	v_add_f32_e32 v6, v1, v13
	s_delay_alu instid0(VALU_DEP_2) | instskip(NEXT) | instid1(VALU_DEP_2)
	v_add_f32_e32 v2, v2, v25
	v_add_f32_e32 v14, v6, v14
	s_delay_alu instid0(VALU_DEP_2) | instskip(NEXT) | instid1(VALU_DEP_2)
	v_add_f32_e32 v2, v2, v32
	v_add_f32_e32 v14, v14, v16
	s_delay_alu instid0(VALU_DEP_2) | instskip(SKIP_4) | instid1(VALU_DEP_1)
	v_add_f32_e32 v5, v2, v158
	scratch_load_b128 v[1:4], off, off offset:400
	v_add_f32_e32 v13, v5, v154
	ds_load_b128 v[5:8], v21 offset:864
	v_add_f32_e32 v13, v13, v155
	v_add_f32_e32 v13, v13, v15
	s_delay_alu instid0(VALU_DEP_1) | instskip(SKIP_4) | instid1(VALU_DEP_2)
	v_dual_add_f32 v17, v14, v17 :: v_dual_add_f32 v18, v13, v18
	ds_load_b128 v[13:16], v21 offset:880
	v_add_f32_e32 v17, v17, v156
	s_wait_loadcnt_dscnt 0x201
	v_dual_mul_f32 v32, v5, v10 :: v_dual_mul_f32 v151, v7, v12
	v_dual_mul_f32 v10, v6, v10 :: v_dual_add_f32 v17, v17, v157
	v_add_f32_e32 v18, v18, v19
	s_delay_alu instid0(VALU_DEP_3) | instskip(NEXT) | instid1(VALU_DEP_3)
	v_dual_fmac_f32 v32, v6, v9 :: v_dual_fmac_f32 v151, v8, v11
	v_fma_f32 v152, v5, v9, -v10
	s_delay_alu instid0(VALU_DEP_4) | instskip(NEXT) | instid1(VALU_DEP_1)
	v_dual_add_f32 v17, v17, v161 :: v_dual_mul_f32 v12, v8, v12
	v_add_f32_e32 v23, v17, v162
	s_delay_alu instid0(VALU_DEP_2) | instskip(SKIP_4) | instid1(VALU_DEP_1)
	v_fma_f32 v154, v7, v11, -v12
	s_clause 0x1
	scratch_load_b128 v[5:8], off, off offset:416
	scratch_load_b128 v[9:12], off, off offset:432
	v_add_f32_e32 v23, v23, v164
	v_dual_add_f32 v18, v18, v20 :: v_dual_add_f32 v23, v23, v166
	s_delay_alu instid0(VALU_DEP_1)
	v_add_f32_e32 v22, v18, v159
	scratch_load_b128 v[17:20], off, off offset:448
	v_add_f32_e32 v23, v23, v168
	s_wait_loadcnt_dscnt 0x300
	v_mul_f32_e32 v155, v13, v2
	v_mul_f32_e32 v2, v14, v2
	;; [unrolled: 1-line block ×3, first 2 shown]
	s_delay_alu instid0(VALU_DEP_3) | instskip(SKIP_1) | instid1(VALU_DEP_4)
	v_dual_mul_f32 v4, v16, v4 :: v_dual_fmac_f32 v155, v14, v1
	v_add_f32_e32 v14, v23, v170
	v_fma_f32 v157, v13, v1, -v2
	s_delay_alu instid0(VALU_DEP_4) | instskip(NEXT) | instid1(VALU_DEP_4)
	v_fmac_f32_e32 v156, v16, v3
	v_fma_f32 v158, v15, v3, -v4
	ds_load_b128 v[1:4], v21 offset:896
	v_add_f32_e32 v28, v14, v172
	s_delay_alu instid0(VALU_DEP_1) | instskip(NEXT) | instid1(VALU_DEP_1)
	v_dual_add_f32 v22, v22, v160 :: v_dual_add_f32 v159, v28, v174
	v_add_f32_e32 v22, v22, v163
	s_delay_alu instid0(VALU_DEP_1) | instskip(NEXT) | instid1(VALU_DEP_1)
	v_add_f32_e32 v22, v22, v165
	v_add_f32_e32 v13, v22, v167
	s_delay_alu instid0(VALU_DEP_1)
	v_add_f32_e32 v22, v13, v169
	ds_load_b128 v[13:16], v21 offset:912
	v_dual_add_f32 v152, v159, v152 :: v_dual_add_f32 v29, v22, v171
	ds_load_b128 v[22:25], v21 offset:928
	s_wait_loadcnt_dscnt 0x202
	v_mul_f32_e32 v159, v1, v6
	v_add_f32_e32 v160, v29, v173
	ds_load_b64 v[28:29], v21 offset:944
	v_dual_fmac_f32 v159, v2, v5 :: v_dual_add_f32 v152, v152, v154
	s_delay_alu instid0(VALU_DEP_1) | instskip(SKIP_2) | instid1(VALU_DEP_2)
	v_add_f32_e32 v152, v152, v157
	s_wait_loadcnt_dscnt 0x102
	v_mul_f32_e32 v154, v13, v10
	v_add_f32_e32 v152, v152, v158
	v_mul_f32_e32 v6, v2, v6
	s_wait_loadcnt_dscnt 0x1
	v_dual_mul_f32 v157, v22, v18 :: v_dual_add_f32 v32, v160, v32
	s_delay_alu instid0(VALU_DEP_2) | instskip(NEXT) | instid1(VALU_DEP_2)
	v_fma_f32 v1, v1, v5, -v6
	v_fmac_f32_e32 v157, v23, v17
	v_mul_f32_e32 v5, v16, v12
	s_delay_alu instid0(VALU_DEP_3) | instskip(SKIP_2) | instid1(VALU_DEP_4)
	v_add_f32_e32 v1, v152, v1
	v_dual_add_f32 v32, v32, v151 :: v_dual_mul_f32 v151, v3, v8
	v_mul_f32_e32 v8, v4, v8
	v_fma_f32 v5, v15, v11, -v5
	s_delay_alu instid0(VALU_DEP_3) | instskip(NEXT) | instid1(VALU_DEP_3)
	v_fmac_f32_e32 v151, v4, v7
	v_fma_f32 v2, v3, v7, -v8
	v_mul_f32_e32 v3, v14, v10
	s_delay_alu instid0(VALU_DEP_2) | instskip(NEXT) | instid1(VALU_DEP_2)
	v_add_f32_e32 v1, v1, v2
	v_fma_f32 v3, v13, v9, -v3
	s_delay_alu instid0(VALU_DEP_1) | instskip(SKIP_2) | instid1(VALU_DEP_2)
	v_add_f32_e32 v1, v1, v3
	v_dual_add_f32 v32, v32, v155 :: v_dual_mul_f32 v3, v25, v20
	v_dual_mul_f32 v155, v15, v12 :: v_dual_fmac_f32 v154, v14, v9
	v_dual_add_f32 v1, v1, v5 :: v_dual_add_f32 v32, v32, v156
	s_wait_dscnt 0x0
	v_mul_f32_e32 v5, v29, v27
	v_fma_f32 v3, v24, v19, -v3
	v_fmac_f32_e32 v155, v16, v11
	v_add_f32_e32 v4, v32, v159
	s_delay_alu instid0(VALU_DEP_1) | instskip(SKIP_1) | instid1(VALU_DEP_1)
	v_add_f32_e32 v2, v4, v151
	v_mul_f32_e32 v4, v23, v18
	v_fma_f32 v4, v22, v17, -v4
	s_delay_alu instid0(VALU_DEP_1) | instskip(SKIP_2) | instid1(VALU_DEP_3)
	v_dual_mul_f32 v156, v28, v27 :: v_dual_add_f32 v1, v1, v4
	v_mul_f32_e32 v158, v24, v20
	v_fma_f32 v4, v28, v26, -v5
	v_fmac_f32_e32 v156, v29, v26
	s_delay_alu instid0(VALU_DEP_4) | instskip(NEXT) | instid1(VALU_DEP_4)
	v_add_f32_e32 v1, v1, v3
	v_fmac_f32_e32 v158, v25, v19
	s_delay_alu instid0(VALU_DEP_2) | instskip(NEXT) | instid1(VALU_DEP_1)
	v_dual_add_f32 v1, v1, v4 :: v_dual_add_f32 v2, v2, v154
	v_sub_f32_e32 v1, v30, v1
	s_delay_alu instid0(VALU_DEP_2) | instskip(NEXT) | instid1(VALU_DEP_1)
	v_add_f32_e32 v2, v2, v155
	v_add_f32_e32 v2, v2, v157
	s_delay_alu instid0(VALU_DEP_1) | instskip(NEXT) | instid1(VALU_DEP_1)
	v_add_f32_e32 v2, v2, v158
	v_add_f32_e32 v2, v2, v156
	s_delay_alu instid0(VALU_DEP_1)
	v_sub_f32_e32 v2, v31, v2
	scratch_store_b64 off, v[1:2], off offset:216
	v_cmpx_lt_u32_e32 26, v0
	s_cbranch_execz .LBB122_315
; %bb.314:
	scratch_load_b64 v[1:2], off, off offset:208
	v_mov_b32_e32 v22, v21
	scratch_store_b64 off, v[21:22], off offset:208
	s_wait_loadcnt 0x0
	ds_store_b64 v153, v[1:2]
.LBB122_315:
	s_wait_alu 0xfffe
	s_or_b32 exec_lo, exec_lo, s0
	s_wait_storecnt_dscnt 0x0
	s_barrier_signal -1
	s_barrier_wait -1
	global_inv scope:SCOPE_SE
	s_clause 0x4
	scratch_load_b128 v[5:8], off, off offset:216
	scratch_load_b128 v[1:4], off, off offset:232
	;; [unrolled: 1-line block ×5, first 2 shown]
	ds_load_2addr_b64 v[22:25], v21 offset0:87 offset1:88
	ds_load_2addr_b64 v[26:29], v21 offset0:89 offset1:90
	;; [unrolled: 1-line block ×3, first 2 shown]
	scratch_load_b64 v[30:31], off, off offset:208
	s_mov_b32 s0, exec_lo
	s_wait_loadcnt_dscnt 0x502
	v_mul_f32_e32 v32, v23, v6
	v_dual_mul_f32 v151, v22, v6 :: v_dual_mul_f32 v152, v24, v8
	v_mul_f32_e32 v6, v25, v8
	s_wait_loadcnt_dscnt 0x300
	v_mul_f32_e32 v158, v156, v12
	s_delay_alu instid0(VALU_DEP_3)
	v_dual_mul_f32 v12, v157, v12 :: v_dual_fmac_f32 v151, v23, v5
	v_fmac_f32_e32 v152, v25, v7
	v_fma_f32 v23, v24, v7, -v6
	v_mul_f32_e32 v25, v28, v4
	v_fma_f32 v22, v22, v5, -v32
	ds_load_2addr_b64 v[5:8], v21 offset0:93 offset1:94
	v_mul_f32_e32 v24, v26, v2
	v_mul_f32_e32 v4, v29, v4
	;; [unrolled: 1-line block ×4, first 2 shown]
	v_dual_mul_f32 v2, v27, v2 :: v_dual_fmac_f32 v25, v29, v3
	v_fmac_f32_e32 v24, v27, v1
	v_fma_f32 v27, v28, v3, -v4
	v_fmac_f32_e32 v32, v155, v9
	v_fma_f32 v28, v154, v9, -v10
	;; [unrolled: 2-line block ×3, first 2 shown]
	ds_load_2addr_b64 v[9:12], v21 offset0:95 offset1:96
	s_wait_loadcnt_dscnt 0x201
	v_dual_mul_f32 v155, v7, v16 :: v_dual_mul_f32 v154, v5, v14
	v_mul_f32_e32 v14, v6, v14
	v_mul_f32_e32 v16, v8, v16
	s_delay_alu instid0(VALU_DEP_3)
	v_fmac_f32_e32 v155, v8, v15
	v_fma_f32 v26, v26, v1, -v2
	scratch_load_b128 v[1:4], off, off offset:296
	v_fmac_f32_e32 v154, v6, v13
	v_fma_f32 v13, v5, v13, -v14
	v_fma_f32 v14, v7, v15, -v16
	ds_load_2addr_b64 v[5:8], v21 offset0:97 offset1:98
	s_wait_loadcnt_dscnt 0x201
	v_mul_f32_e32 v15, v9, v18
	v_mul_f32_e32 v16, v10, v18
	;; [unrolled: 1-line block ×3, first 2 shown]
	s_delay_alu instid0(VALU_DEP_3) | instskip(NEXT) | instid1(VALU_DEP_3)
	v_dual_mul_f32 v20, v12, v20 :: v_dual_fmac_f32 v15, v10, v17
	v_fma_f32 v16, v9, v17, -v16
	s_delay_alu instid0(VALU_DEP_3) | instskip(NEXT) | instid1(VALU_DEP_3)
	v_fmac_f32_e32 v18, v12, v19
	v_fma_f32 v17, v11, v19, -v20
	scratch_load_b128 v[9:12], off, off offset:312
	s_wait_loadcnt_dscnt 0x100
	v_mul_f32_e32 v19, v5, v2
	v_mul_f32_e32 v2, v6, v2
	;; [unrolled: 1-line block ×3, first 2 shown]
	s_delay_alu instid0(VALU_DEP_3) | instskip(NEXT) | instid1(VALU_DEP_3)
	v_dual_mul_f32 v4, v8, v4 :: v_dual_fmac_f32 v19, v6, v1
	v_fma_f32 v156, v5, v1, -v2
	s_delay_alu instid0(VALU_DEP_3) | instskip(NEXT) | instid1(VALU_DEP_3)
	v_fmac_f32_e32 v20, v8, v3
	v_fma_f32 v157, v7, v3, -v4
	ds_load_2addr_b64 v[1:4], v21 offset0:99 offset1:100
	ds_load_2addr_b64 v[5:8], v21 offset0:101 offset1:102
	s_wait_loadcnt_dscnt 0x1
	v_mul_f32_e32 v159, v1, v10
	v_mul_f32_e32 v10, v2, v10
	s_delay_alu instid0(VALU_DEP_2) | instskip(NEXT) | instid1(VALU_DEP_2)
	v_dual_mul_f32 v160, v3, v12 :: v_dual_fmac_f32 v159, v2, v9
	v_fma_f32 v161, v1, v9, -v10
	v_mul_f32_e32 v1, v4, v12
	s_delay_alu instid0(VALU_DEP_3) | instskip(NEXT) | instid1(VALU_DEP_2)
	v_fmac_f32_e32 v160, v4, v11
	v_fma_f32 v162, v3, v11, -v1
	s_clause 0x1
	scratch_load_b128 v[1:4], off, off offset:328
	scratch_load_b128 v[9:12], off, off offset:344
	s_wait_loadcnt_dscnt 0x100
	v_mul_f32_e32 v163, v5, v2
	v_dual_mul_f32 v2, v6, v2 :: v_dual_mul_f32 v165, v7, v4
	s_delay_alu instid0(VALU_DEP_2) | instskip(NEXT) | instid1(VALU_DEP_2)
	v_fmac_f32_e32 v163, v6, v1
	v_fma_f32 v164, v5, v1, -v2
	v_mul_f32_e32 v1, v8, v4
	s_delay_alu instid0(VALU_DEP_4) | instskip(NEXT) | instid1(VALU_DEP_2)
	v_fmac_f32_e32 v165, v8, v3
	v_fma_f32 v166, v7, v3, -v1
	ds_load_2addr_b64 v[1:4], v21 offset0:103 offset1:104
	ds_load_2addr_b64 v[5:8], v21 offset0:105 offset1:106
	s_wait_loadcnt_dscnt 0x1
	v_mul_f32_e32 v167, v1, v10
	v_mul_f32_e32 v169, v3, v12
	s_delay_alu instid0(VALU_DEP_2) | instskip(NEXT) | instid1(VALU_DEP_2)
	v_fmac_f32_e32 v167, v2, v9
	v_dual_mul_f32 v2, v2, v10 :: v_dual_fmac_f32 v169, v4, v11
	s_delay_alu instid0(VALU_DEP_1) | instskip(SKIP_1) | instid1(VALU_DEP_1)
	v_fma_f32 v168, v1, v9, -v2
	v_mul_f32_e32 v1, v4, v12
	v_fma_f32 v170, v3, v11, -v1
	s_clause 0x1
	scratch_load_b128 v[1:4], off, off offset:360
	scratch_load_b128 v[9:12], off, off offset:376
	s_wait_loadcnt_dscnt 0x100
	v_mul_f32_e32 v171, v5, v2
	v_dual_mul_f32 v2, v6, v2 :: v_dual_mul_f32 v173, v7, v4
	s_delay_alu instid0(VALU_DEP_2) | instskip(NEXT) | instid1(VALU_DEP_2)
	v_fmac_f32_e32 v171, v6, v1
	v_fma_f32 v172, v5, v1, -v2
	v_mul_f32_e32 v1, v8, v4
	s_delay_alu instid0(VALU_DEP_4) | instskip(NEXT) | instid1(VALU_DEP_2)
	v_fmac_f32_e32 v173, v8, v3
	v_fma_f32 v174, v7, v3, -v1
	ds_load_2addr_b64 v[1:4], v21 offset0:107 offset1:108
	ds_load_2addr_b64 v[5:8], v21 offset0:109 offset1:110
	s_wait_loadcnt_dscnt 0x1
	v_mul_f32_e32 v175, v1, v10
	v_mul_f32_e32 v177, v3, v12
	s_delay_alu instid0(VALU_DEP_2) | instskip(NEXT) | instid1(VALU_DEP_2)
	v_fmac_f32_e32 v175, v2, v9
	v_dual_mul_f32 v2, v2, v10 :: v_dual_fmac_f32 v177, v4, v11
	s_delay_alu instid0(VALU_DEP_1) | instskip(SKIP_1) | instid1(VALU_DEP_1)
	v_fma_f32 v176, v1, v9, -v2
	v_mul_f32_e32 v1, v4, v12
	v_fma_f32 v178, v3, v11, -v1
	s_clause 0x1
	scratch_load_b128 v[1:4], off, off offset:392
	scratch_load_b128 v[9:12], off, off offset:408
	s_wait_loadcnt_dscnt 0x100
	v_mul_f32_e32 v179, v5, v2
	v_dual_mul_f32 v2, v6, v2 :: v_dual_mul_f32 v181, v7, v4
	s_delay_alu instid0(VALU_DEP_1) | instskip(SKIP_1) | instid1(VALU_DEP_1)
	v_fma_f32 v180, v5, v1, -v2
	v_add_f32_e32 v2, 0, v151
	v_dual_fmac_f32 v181, v8, v3 :: v_dual_add_f32 v2, v2, v152
	s_delay_alu instid0(VALU_DEP_1) | instskip(NEXT) | instid1(VALU_DEP_1)
	v_add_f32_e32 v2, v2, v24
	v_add_f32_e32 v2, v2, v25
	s_delay_alu instid0(VALU_DEP_1) | instskip(NEXT) | instid1(VALU_DEP_1)
	v_add_f32_e32 v2, v2, v32
	v_add_f32_e32 v2, v2, v158
	;; [unrolled: 3-line block ×4, first 2 shown]
	s_delay_alu instid0(VALU_DEP_1) | instskip(SKIP_2) | instid1(VALU_DEP_1)
	v_add_f32_e32 v5, v5, v19
	v_fmac_f32_e32 v179, v6, v1
	v_mul_f32_e32 v1, v8, v4
	v_fma_f32 v182, v7, v3, -v1
	v_add_f32_e32 v1, 0, v22
	s_delay_alu instid0(VALU_DEP_1) | instskip(NEXT) | instid1(VALU_DEP_1)
	v_add_f32_e32 v1, v1, v23
	v_add_f32_e32 v1, v1, v26
	s_delay_alu instid0(VALU_DEP_1) | instskip(NEXT) | instid1(VALU_DEP_1)
	v_add_f32_e32 v1, v1, v27
	v_add_f32_e32 v1, v1, v28
	s_delay_alu instid0(VALU_DEP_1) | instskip(NEXT) | instid1(VALU_DEP_1)
	v_add_f32_e32 v1, v1, v29
	v_add_f32_e32 v1, v1, v13
	s_delay_alu instid0(VALU_DEP_1) | instskip(SKIP_1) | instid1(VALU_DEP_1)
	v_add_f32_e32 v1, v1, v14
	v_add_f32_e32 v14, v5, v20
	v_dual_add_f32 v1, v1, v16 :: v_dual_add_f32 v14, v14, v159
	s_delay_alu instid0(VALU_DEP_1) | instskip(NEXT) | instid1(VALU_DEP_2)
	v_add_f32_e32 v6, v1, v17
	v_add_f32_e32 v14, v14, v160
	ds_load_2addr_b64 v[1:4], v21 offset0:111 offset1:112
	v_add_f32_e32 v6, v6, v156
	v_add_f32_e32 v17, v14, v163
	s_delay_alu instid0(VALU_DEP_1) | instskip(NEXT) | instid1(VALU_DEP_1)
	v_add_f32_e32 v17, v17, v165
	v_add_f32_e32 v17, v17, v167
	s_delay_alu instid0(VALU_DEP_1) | instskip(NEXT) | instid1(VALU_DEP_1)
	v_add_f32_e32 v17, v17, v169
	v_add_f32_e32 v23, v17, v171
	s_delay_alu instid0(VALU_DEP_1)
	v_add_f32_e32 v32, v23, v173
	v_add_f32_e32 v13, v6, v157
	ds_load_2addr_b64 v[5:8], v21 offset0:113 offset1:114
	s_wait_loadcnt_dscnt 0x1
	v_mul_f32_e32 v26, v3, v12
	v_mul_f32_e32 v12, v4, v12
	v_dual_add_f32 v32, v32, v175 :: v_dual_add_f32 v13, v13, v161
	s_delay_alu instid0(VALU_DEP_3) | instskip(NEXT) | instid1(VALU_DEP_3)
	v_fmac_f32_e32 v26, v4, v11
	v_fma_f32 v28, v3, v11, -v12
	s_delay_alu instid0(VALU_DEP_3) | instskip(NEXT) | instid1(VALU_DEP_1)
	v_dual_add_f32 v32, v32, v177 :: v_dual_add_f32 v13, v13, v162
	v_dual_add_f32 v32, v32, v179 :: v_dual_add_f32 v13, v13, v164
	s_delay_alu instid0(VALU_DEP_1) | instskip(NEXT) | instid1(VALU_DEP_2)
	v_add_f32_e32 v32, v32, v181
	v_add_f32_e32 v18, v13, v166
	scratch_load_b128 v[13:16], off, off offset:456
	v_add_f32_e32 v18, v18, v168
	s_delay_alu instid0(VALU_DEP_1) | instskip(SKIP_2) | instid1(VALU_DEP_3)
	v_add_f32_e32 v18, v18, v170
	v_mul_f32_e32 v25, v1, v10
	v_mul_f32_e32 v10, v2, v10
	v_add_f32_e32 v22, v18, v172
	s_delay_alu instid0(VALU_DEP_3) | instskip(NEXT) | instid1(VALU_DEP_3)
	v_fmac_f32_e32 v25, v2, v9
	v_fma_f32 v27, v1, v9, -v10
	s_clause 0x1
	scratch_load_b128 v[1:4], off, off offset:424
	scratch_load_b128 v[9:12], off, off offset:440
	ds_load_2addr_b64 v[17:20], v21 offset0:115 offset1:116
	v_add_f32_e32 v29, v22, v174
	ds_load_2addr_b64 v[21:24], v21 offset0:117 offset1:118
	s_wait_loadcnt_dscnt 0x200
	v_dual_add_f32 v25, v32, v25 :: v_dual_mul_f32 v156, v21, v14
	s_delay_alu instid0(VALU_DEP_1)
	v_fmac_f32_e32 v156, v22, v13
	s_wait_loadcnt 0x1
	v_mul_f32_e32 v152, v7, v4
	v_mul_f32_e32 v4, v8, v4
	v_add_f32_e32 v29, v29, v176
	v_mul_f32_e32 v151, v5, v2
	v_mul_f32_e32 v2, v6, v2
	v_fmac_f32_e32 v152, v8, v3
	s_wait_loadcnt 0x0
	v_dual_mul_f32 v154, v17, v10 :: v_dual_mul_f32 v155, v19, v12
	v_add_f32_e32 v29, v29, v178
	v_fma_f32 v3, v7, v3, -v4
	v_dual_mul_f32 v4, v20, v12 :: v_dual_fmac_f32 v151, v6, v1
	s_delay_alu instid0(VALU_DEP_3)
	v_dual_mul_f32 v6, v18, v10 :: v_dual_add_f32 v29, v29, v180
	v_fmac_f32_e32 v154, v18, v9
	v_fma_f32 v2, v5, v1, -v2
	v_add_f32_e32 v5, v25, v26
	v_fmac_f32_e32 v155, v20, v11
	v_add_f32_e32 v29, v29, v182
	v_fma_f32 v4, v19, v11, -v4
	s_delay_alu instid0(VALU_DEP_2) | instskip(SKIP_1) | instid1(VALU_DEP_2)
	v_add_f32_e32 v27, v29, v27
	v_mul_f32_e32 v29, v23, v16
	v_add_f32_e32 v1, v27, v28
	s_delay_alu instid0(VALU_DEP_1) | instskip(SKIP_2) | instid1(VALU_DEP_2)
	v_add_f32_e32 v1, v1, v2
	v_add_f32_e32 v2, v5, v151
	v_fma_f32 v5, v17, v9, -v6
	v_dual_fmac_f32 v29, v24, v15 :: v_dual_add_f32 v2, v2, v152
	s_delay_alu instid0(VALU_DEP_1) | instskip(NEXT) | instid1(VALU_DEP_1)
	v_add_f32_e32 v2, v2, v154
	v_add_f32_e32 v2, v2, v155
	v_add_f32_e32 v1, v1, v3
	v_mul_f32_e32 v3, v22, v14
	s_delay_alu instid0(VALU_DEP_2) | instskip(SKIP_1) | instid1(VALU_DEP_3)
	v_dual_add_f32 v2, v2, v156 :: v_dual_add_f32 v1, v1, v5
	v_mul_f32_e32 v5, v24, v16
	v_fma_f32 v3, v21, v13, -v3
	s_delay_alu instid0(VALU_DEP_3) | instskip(NEXT) | instid1(VALU_DEP_3)
	v_dual_add_f32 v2, v2, v29 :: v_dual_add_f32 v1, v1, v4
	v_fma_f32 v4, v23, v15, -v5
	s_delay_alu instid0(VALU_DEP_2) | instskip(NEXT) | instid1(VALU_DEP_1)
	v_dual_sub_f32 v2, v31, v2 :: v_dual_add_f32 v1, v1, v3
	v_add_f32_e32 v1, v1, v4
	s_delay_alu instid0(VALU_DEP_1)
	v_sub_f32_e32 v1, v30, v1
	scratch_store_b64 off, v[1:2], off offset:208
	v_cmpx_lt_u32_e32 25, v0
	s_cbranch_execz .LBB122_317
; %bb.316:
	scratch_load_b64 v[1:2], off, off offset:200
	v_mov_b32_e32 v3, 0
	s_delay_alu instid0(VALU_DEP_1)
	v_mov_b32_e32 v4, v3
	scratch_store_b64 off, v[3:4], off offset:200
	s_wait_loadcnt 0x0
	ds_store_b64 v153, v[1:2]
.LBB122_317:
	s_wait_alu 0xfffe
	s_or_b32 exec_lo, exec_lo, s0
	s_wait_storecnt_dscnt 0x0
	s_barrier_signal -1
	s_barrier_wait -1
	global_inv scope:SCOPE_SE
	s_clause 0x4
	scratch_load_b128 v[5:8], off, off offset:208
	scratch_load_b128 v[1:4], off, off offset:224
	;; [unrolled: 1-line block ×5, first 2 shown]
	v_mov_b32_e32 v21, 0
	ds_load_b128 v[22:25], v21 offset:688
	ds_load_b128 v[26:29], v21 offset:704
	;; [unrolled: 1-line block ×3, first 2 shown]
	scratch_load_b64 v[30:31], off, off offset:200
	s_mov_b32 s0, exec_lo
	s_wait_loadcnt_dscnt 0x502
	v_mul_f32_e32 v32, v23, v6
	v_dual_mul_f32 v151, v22, v6 :: v_dual_mul_f32 v152, v24, v8
	v_mul_f32_e32 v6, v25, v8
	s_wait_loadcnt_dscnt 0x300
	v_mul_f32_e32 v158, v156, v12
	v_fma_f32 v22, v22, v5, -v32
	v_dual_fmac_f32 v151, v23, v5 :: v_dual_fmac_f32 v152, v25, v7
	v_mul_f32_e32 v25, v28, v4
	v_fma_f32 v23, v24, v7, -v6
	ds_load_b128 v[5:8], v21 offset:736
	v_mul_f32_e32 v24, v26, v2
	v_mul_f32_e32 v4, v29, v4
	;; [unrolled: 1-line block ×5, first 2 shown]
	v_dual_mul_f32 v2, v27, v2 :: v_dual_fmac_f32 v25, v29, v3
	v_fmac_f32_e32 v24, v27, v1
	v_fma_f32 v27, v28, v3, -v4
	v_fmac_f32_e32 v32, v155, v9
	v_fma_f32 v28, v154, v9, -v10
	;; [unrolled: 2-line block ×3, first 2 shown]
	ds_load_b128 v[9:12], v21 offset:752
	s_wait_loadcnt_dscnt 0x201
	v_dual_mul_f32 v155, v7, v16 :: v_dual_mul_f32 v154, v5, v14
	v_mul_f32_e32 v14, v6, v14
	v_mul_f32_e32 v16, v8, v16
	s_delay_alu instid0(VALU_DEP_3)
	v_fmac_f32_e32 v155, v8, v15
	v_fma_f32 v26, v26, v1, -v2
	scratch_load_b128 v[1:4], off, off offset:288
	v_fmac_f32_e32 v154, v6, v13
	v_fma_f32 v13, v5, v13, -v14
	v_fma_f32 v14, v7, v15, -v16
	ds_load_b128 v[5:8], v21 offset:768
	s_wait_loadcnt_dscnt 0x201
	v_mul_f32_e32 v15, v9, v18
	v_mul_f32_e32 v16, v10, v18
	;; [unrolled: 1-line block ×3, first 2 shown]
	s_delay_alu instid0(VALU_DEP_3) | instskip(NEXT) | instid1(VALU_DEP_3)
	v_dual_mul_f32 v20, v12, v20 :: v_dual_fmac_f32 v15, v10, v17
	v_fma_f32 v16, v9, v17, -v16
	s_delay_alu instid0(VALU_DEP_3) | instskip(NEXT) | instid1(VALU_DEP_3)
	v_fmac_f32_e32 v18, v12, v19
	v_fma_f32 v17, v11, v19, -v20
	scratch_load_b128 v[9:12], off, off offset:304
	s_wait_loadcnt_dscnt 0x100
	v_mul_f32_e32 v19, v5, v2
	v_mul_f32_e32 v2, v6, v2
	;; [unrolled: 1-line block ×3, first 2 shown]
	s_delay_alu instid0(VALU_DEP_3) | instskip(NEXT) | instid1(VALU_DEP_3)
	v_dual_mul_f32 v4, v8, v4 :: v_dual_fmac_f32 v19, v6, v1
	v_fma_f32 v156, v5, v1, -v2
	s_delay_alu instid0(VALU_DEP_3) | instskip(NEXT) | instid1(VALU_DEP_3)
	v_fmac_f32_e32 v20, v8, v3
	v_fma_f32 v157, v7, v3, -v4
	ds_load_b128 v[1:4], v21 offset:784
	ds_load_b128 v[5:8], v21 offset:800
	s_wait_loadcnt_dscnt 0x1
	v_mul_f32_e32 v159, v1, v10
	v_mul_f32_e32 v10, v2, v10
	s_delay_alu instid0(VALU_DEP_2) | instskip(NEXT) | instid1(VALU_DEP_2)
	v_dual_mul_f32 v160, v3, v12 :: v_dual_fmac_f32 v159, v2, v9
	v_fma_f32 v161, v1, v9, -v10
	v_mul_f32_e32 v1, v4, v12
	s_delay_alu instid0(VALU_DEP_3) | instskip(NEXT) | instid1(VALU_DEP_2)
	v_fmac_f32_e32 v160, v4, v11
	v_fma_f32 v162, v3, v11, -v1
	s_clause 0x1
	scratch_load_b128 v[1:4], off, off offset:320
	scratch_load_b128 v[9:12], off, off offset:336
	s_wait_loadcnt_dscnt 0x100
	v_mul_f32_e32 v163, v5, v2
	v_dual_mul_f32 v2, v6, v2 :: v_dual_mul_f32 v165, v7, v4
	s_delay_alu instid0(VALU_DEP_2) | instskip(NEXT) | instid1(VALU_DEP_2)
	v_fmac_f32_e32 v163, v6, v1
	v_fma_f32 v164, v5, v1, -v2
	v_mul_f32_e32 v1, v8, v4
	s_delay_alu instid0(VALU_DEP_4) | instskip(NEXT) | instid1(VALU_DEP_2)
	v_fmac_f32_e32 v165, v8, v3
	v_fma_f32 v166, v7, v3, -v1
	ds_load_b128 v[1:4], v21 offset:816
	ds_load_b128 v[5:8], v21 offset:832
	s_wait_loadcnt_dscnt 0x1
	v_mul_f32_e32 v167, v1, v10
	v_mul_f32_e32 v169, v3, v12
	s_delay_alu instid0(VALU_DEP_2) | instskip(NEXT) | instid1(VALU_DEP_2)
	v_fmac_f32_e32 v167, v2, v9
	v_dual_mul_f32 v2, v2, v10 :: v_dual_fmac_f32 v169, v4, v11
	s_delay_alu instid0(VALU_DEP_1) | instskip(SKIP_1) | instid1(VALU_DEP_1)
	v_fma_f32 v168, v1, v9, -v2
	v_mul_f32_e32 v1, v4, v12
	v_fma_f32 v170, v3, v11, -v1
	s_clause 0x1
	scratch_load_b128 v[1:4], off, off offset:352
	scratch_load_b128 v[9:12], off, off offset:368
	s_wait_loadcnt_dscnt 0x100
	v_mul_f32_e32 v171, v5, v2
	v_dual_mul_f32 v2, v6, v2 :: v_dual_mul_f32 v173, v7, v4
	s_delay_alu instid0(VALU_DEP_2) | instskip(NEXT) | instid1(VALU_DEP_2)
	v_fmac_f32_e32 v171, v6, v1
	v_fma_f32 v172, v5, v1, -v2
	v_mul_f32_e32 v1, v8, v4
	s_delay_alu instid0(VALU_DEP_4) | instskip(NEXT) | instid1(VALU_DEP_2)
	v_fmac_f32_e32 v173, v8, v3
	v_fma_f32 v174, v7, v3, -v1
	ds_load_b128 v[1:4], v21 offset:848
	ds_load_b128 v[5:8], v21 offset:864
	s_wait_loadcnt_dscnt 0x1
	v_mul_f32_e32 v175, v1, v10
	v_mul_f32_e32 v177, v3, v12
	s_delay_alu instid0(VALU_DEP_2) | instskip(NEXT) | instid1(VALU_DEP_2)
	v_fmac_f32_e32 v175, v2, v9
	v_dual_mul_f32 v2, v2, v10 :: v_dual_fmac_f32 v177, v4, v11
	s_delay_alu instid0(VALU_DEP_1) | instskip(SKIP_1) | instid1(VALU_DEP_1)
	v_fma_f32 v176, v1, v9, -v2
	v_mul_f32_e32 v1, v4, v12
	v_fma_f32 v178, v3, v11, -v1
	s_clause 0x1
	scratch_load_b128 v[1:4], off, off offset:384
	scratch_load_b128 v[9:12], off, off offset:400
	s_wait_loadcnt_dscnt 0x100
	v_mul_f32_e32 v179, v5, v2
	v_dual_mul_f32 v2, v6, v2 :: v_dual_mul_f32 v181, v7, v4
	s_delay_alu instid0(VALU_DEP_1) | instskip(SKIP_1) | instid1(VALU_DEP_1)
	v_fma_f32 v180, v5, v1, -v2
	v_add_f32_e32 v2, 0, v151
	v_dual_add_f32 v2, v2, v152 :: v_dual_fmac_f32 v181, v8, v3
	s_delay_alu instid0(VALU_DEP_1) | instskip(NEXT) | instid1(VALU_DEP_1)
	v_add_f32_e32 v2, v2, v24
	v_add_f32_e32 v2, v2, v25
	s_delay_alu instid0(VALU_DEP_1) | instskip(NEXT) | instid1(VALU_DEP_1)
	v_add_f32_e32 v2, v2, v32
	v_add_f32_e32 v2, v2, v158
	;; [unrolled: 3-line block ×4, first 2 shown]
	s_delay_alu instid0(VALU_DEP_1) | instskip(SKIP_2) | instid1(VALU_DEP_1)
	v_add_f32_e32 v5, v5, v19
	v_fmac_f32_e32 v179, v6, v1
	v_mul_f32_e32 v1, v8, v4
	v_fma_f32 v182, v7, v3, -v1
	v_add_f32_e32 v1, 0, v22
	s_delay_alu instid0(VALU_DEP_1) | instskip(NEXT) | instid1(VALU_DEP_1)
	v_add_f32_e32 v1, v1, v23
	v_add_f32_e32 v1, v1, v26
	s_delay_alu instid0(VALU_DEP_1) | instskip(SKIP_2) | instid1(VALU_DEP_1)
	v_add_f32_e32 v1, v1, v27
	scratch_load_b64 v[26:27], off, off offset:464
	v_add_f32_e32 v1, v1, v28
	v_add_f32_e32 v1, v1, v29
	s_delay_alu instid0(VALU_DEP_1) | instskip(NEXT) | instid1(VALU_DEP_1)
	v_add_f32_e32 v1, v1, v13
	v_add_f32_e32 v1, v1, v14
	;; [unrolled: 1-line block ×3, first 2 shown]
	s_delay_alu instid0(VALU_DEP_1) | instskip(NEXT) | instid1(VALU_DEP_1)
	v_add_f32_e32 v14, v14, v159
	v_add_f32_e32 v14, v14, v160
	s_delay_alu instid0(VALU_DEP_4) | instskip(NEXT) | instid1(VALU_DEP_1)
	v_add_f32_e32 v1, v1, v16
	v_dual_add_f32 v6, v1, v17 :: v_dual_add_f32 v17, v14, v163
	ds_load_b128 v[1:4], v21 offset:880
	v_dual_add_f32 v6, v6, v156 :: v_dual_add_f32 v17, v17, v165
	s_delay_alu instid0(VALU_DEP_1) | instskip(SKIP_2) | instid1(VALU_DEP_1)
	v_add_f32_e32 v13, v6, v157
	ds_load_b128 v[5:8], v21 offset:896
	v_add_f32_e32 v17, v17, v167
	v_add_f32_e32 v17, v17, v169
	s_delay_alu instid0(VALU_DEP_1) | instskip(SKIP_3) | instid1(VALU_DEP_3)
	v_add_f32_e32 v17, v17, v171
	s_wait_loadcnt_dscnt 0x101
	v_mul_f32_e32 v32, v1, v10
	v_dual_add_f32 v13, v13, v161 :: v_dual_mul_f32 v10, v2, v10
	v_add_f32_e32 v22, v17, v173
	s_delay_alu instid0(VALU_DEP_2) | instskip(NEXT) | instid1(VALU_DEP_3)
	v_dual_fmac_f32 v32, v2, v9 :: v_dual_add_f32 v13, v13, v162
	v_fma_f32 v152, v1, v9, -v10
	s_delay_alu instid0(VALU_DEP_3) | instskip(SKIP_2) | instid1(VALU_DEP_1)
	v_add_f32_e32 v29, v22, v175
	ds_load_b128 v[22:25], v21 offset:928
	v_add_f32_e32 v156, v29, v177
	v_dual_add_f32 v13, v13, v164 :: v_dual_add_f32 v156, v156, v179
	s_delay_alu instid0(VALU_DEP_1)
	v_dual_mul_f32 v151, v3, v12 :: v_dual_add_f32 v18, v13, v166
	v_mul_f32_e32 v12, v4, v12
	scratch_load_b128 v[13:16], off, off offset:448
	v_add_f32_e32 v156, v156, v181
	v_add_f32_e32 v18, v18, v168
	v_fma_f32 v154, v3, v11, -v12
	s_delay_alu instid0(VALU_DEP_3) | instskip(NEXT) | instid1(VALU_DEP_3)
	v_add_f32_e32 v32, v156, v32
	v_add_f32_e32 v18, v18, v170
	s_delay_alu instid0(VALU_DEP_1) | instskip(SKIP_4) | instid1(VALU_DEP_1)
	v_dual_add_f32 v18, v18, v172 :: v_dual_fmac_f32 v151, v4, v11
	s_clause 0x1
	scratch_load_b128 v[1:4], off, off offset:416
	scratch_load_b128 v[9:12], off, off offset:432
	v_add_f32_e32 v18, v18, v174
	v_add_f32_e32 v28, v18, v176
	ds_load_b128 v[17:20], v21 offset:912
	v_add_f32_e32 v155, v28, v178
	ds_load_b64 v[28:29], v21 offset:944
	v_add_f32_e32 v155, v155, v180
	s_delay_alu instid0(VALU_DEP_1) | instskip(NEXT) | instid1(VALU_DEP_1)
	v_add_f32_e32 v155, v155, v182
	v_add_f32_e32 v152, v155, v152
	s_delay_alu instid0(VALU_DEP_1) | instskip(SKIP_2) | instid1(VALU_DEP_1)
	v_add_f32_e32 v152, v152, v154
	s_wait_loadcnt_dscnt 0x202
	v_dual_mul_f32 v159, v22, v14 :: v_dual_mul_f32 v154, v24, v16
	v_fmac_f32_e32 v154, v25, v15
	s_wait_loadcnt 0x1
	v_mul_f32_e32 v157, v5, v2
	v_mul_f32_e32 v2, v6, v2
	;; [unrolled: 1-line block ×3, first 2 shown]
	s_wait_loadcnt_dscnt 0x1
	v_dual_mul_f32 v4, v8, v4 :: v_dual_mul_f32 v155, v17, v10
	v_mul_f32_e32 v156, v19, v12
	v_fma_f32 v2, v5, v1, -v2
	v_dual_add_f32 v32, v32, v151 :: v_dual_fmac_f32 v157, v6, v1
	v_fmac_f32_e32 v158, v8, v3
	v_fma_f32 v1, v7, v3, -v4
	v_mul_f32_e32 v3, v18, v10
	v_dual_add_f32 v2, v152, v2 :: v_dual_fmac_f32 v155, v18, v9
	v_fmac_f32_e32 v156, v20, v11
	s_wait_dscnt 0x0
	v_mul_f32_e32 v151, v28, v27
	v_fma_f32 v3, v17, v9, -v3
	v_add_f32_e32 v1, v2, v1
	s_delay_alu instid0(VALU_DEP_1) | instskip(NEXT) | instid1(VALU_DEP_1)
	v_dual_add_f32 v4, v32, v157 :: v_dual_add_f32 v1, v1, v3
	v_add_f32_e32 v2, v4, v158
	v_dual_mul_f32 v5, v20, v12 :: v_dual_mul_f32 v4, v23, v14
	v_mul_f32_e32 v3, v25, v16
	s_delay_alu instid0(VALU_DEP_3) | instskip(NEXT) | instid1(VALU_DEP_3)
	v_dual_fmac_f32 v151, v29, v26 :: v_dual_add_f32 v2, v2, v155
	v_fma_f32 v5, v19, v11, -v5
	v_fmac_f32_e32 v159, v23, v13
	v_fma_f32 v4, v22, v13, -v4
	v_fma_f32 v3, v24, v15, -v3
	s_delay_alu instid0(VALU_DEP_4) | instskip(NEXT) | instid1(VALU_DEP_1)
	v_dual_add_f32 v2, v2, v156 :: v_dual_add_f32 v1, v1, v5
	v_add_f32_e32 v2, v2, v159
	s_delay_alu instid0(VALU_DEP_1) | instskip(NEXT) | instid1(VALU_DEP_3)
	v_dual_mul_f32 v5, v29, v27 :: v_dual_add_f32 v2, v2, v154
	v_add_f32_e32 v1, v1, v4
	s_delay_alu instid0(VALU_DEP_2) | instskip(NEXT) | instid1(VALU_DEP_3)
	v_fma_f32 v4, v28, v26, -v5
	v_add_f32_e32 v2, v2, v151
	s_delay_alu instid0(VALU_DEP_1) | instskip(NEXT) | instid1(VALU_DEP_1)
	v_dual_add_f32 v1, v1, v3 :: v_dual_sub_f32 v2, v31, v2
	v_add_f32_e32 v1, v1, v4
	s_delay_alu instid0(VALU_DEP_1)
	v_sub_f32_e32 v1, v30, v1
	scratch_store_b64 off, v[1:2], off offset:200
	v_cmpx_lt_u32_e32 24, v0
	s_cbranch_execz .LBB122_319
; %bb.318:
	scratch_load_b64 v[1:2], off, off offset:192
	v_mov_b32_e32 v22, v21
	scratch_store_b64 off, v[21:22], off offset:192
	s_wait_loadcnt 0x0
	ds_store_b64 v153, v[1:2]
.LBB122_319:
	s_wait_alu 0xfffe
	s_or_b32 exec_lo, exec_lo, s0
	s_wait_storecnt_dscnt 0x0
	s_barrier_signal -1
	s_barrier_wait -1
	global_inv scope:SCOPE_SE
	s_clause 0x4
	scratch_load_b128 v[5:8], off, off offset:200
	scratch_load_b128 v[1:4], off, off offset:216
	;; [unrolled: 1-line block ×5, first 2 shown]
	ds_load_2addr_b64 v[22:25], v21 offset0:85 offset1:86
	ds_load_2addr_b64 v[26:29], v21 offset0:87 offset1:88
	ds_load_2addr_b64 v[154:157], v21 offset0:89 offset1:90
	scratch_load_b64 v[30:31], off, off offset:192
	s_mov_b32 s0, exec_lo
	s_wait_loadcnt_dscnt 0x502
	v_mul_f32_e32 v32, v23, v6
	v_dual_mul_f32 v151, v22, v6 :: v_dual_mul_f32 v152, v24, v8
	v_mul_f32_e32 v6, v25, v8
	s_wait_loadcnt_dscnt 0x300
	v_mul_f32_e32 v158, v156, v12
	s_delay_alu instid0(VALU_DEP_3)
	v_dual_mul_f32 v12, v157, v12 :: v_dual_fmac_f32 v151, v23, v5
	v_fmac_f32_e32 v152, v25, v7
	v_fma_f32 v23, v24, v7, -v6
	v_mul_f32_e32 v25, v28, v4
	v_fma_f32 v22, v22, v5, -v32
	ds_load_2addr_b64 v[5:8], v21 offset0:91 offset1:92
	v_mul_f32_e32 v24, v26, v2
	v_mul_f32_e32 v4, v29, v4
	;; [unrolled: 1-line block ×4, first 2 shown]
	v_dual_mul_f32 v2, v27, v2 :: v_dual_fmac_f32 v25, v29, v3
	v_fmac_f32_e32 v24, v27, v1
	v_fma_f32 v27, v28, v3, -v4
	v_fmac_f32_e32 v32, v155, v9
	v_fma_f32 v28, v154, v9, -v10
	;; [unrolled: 2-line block ×3, first 2 shown]
	ds_load_2addr_b64 v[9:12], v21 offset0:93 offset1:94
	s_wait_loadcnt_dscnt 0x201
	v_dual_mul_f32 v155, v7, v16 :: v_dual_mul_f32 v154, v5, v14
	v_mul_f32_e32 v14, v6, v14
	v_mul_f32_e32 v16, v8, v16
	s_delay_alu instid0(VALU_DEP_3)
	v_fmac_f32_e32 v155, v8, v15
	v_fma_f32 v26, v26, v1, -v2
	scratch_load_b128 v[1:4], off, off offset:280
	v_fmac_f32_e32 v154, v6, v13
	v_fma_f32 v13, v5, v13, -v14
	v_fma_f32 v14, v7, v15, -v16
	ds_load_2addr_b64 v[5:8], v21 offset0:95 offset1:96
	s_wait_loadcnt_dscnt 0x201
	v_mul_f32_e32 v15, v9, v18
	v_mul_f32_e32 v16, v10, v18
	;; [unrolled: 1-line block ×3, first 2 shown]
	s_delay_alu instid0(VALU_DEP_3) | instskip(NEXT) | instid1(VALU_DEP_3)
	v_dual_mul_f32 v20, v12, v20 :: v_dual_fmac_f32 v15, v10, v17
	v_fma_f32 v16, v9, v17, -v16
	s_delay_alu instid0(VALU_DEP_3) | instskip(NEXT) | instid1(VALU_DEP_3)
	v_fmac_f32_e32 v18, v12, v19
	v_fma_f32 v17, v11, v19, -v20
	scratch_load_b128 v[9:12], off, off offset:296
	s_wait_loadcnt_dscnt 0x100
	v_mul_f32_e32 v19, v5, v2
	v_mul_f32_e32 v2, v6, v2
	;; [unrolled: 1-line block ×3, first 2 shown]
	s_delay_alu instid0(VALU_DEP_3) | instskip(NEXT) | instid1(VALU_DEP_3)
	v_dual_mul_f32 v4, v8, v4 :: v_dual_fmac_f32 v19, v6, v1
	v_fma_f32 v156, v5, v1, -v2
	s_delay_alu instid0(VALU_DEP_3) | instskip(NEXT) | instid1(VALU_DEP_3)
	v_fmac_f32_e32 v20, v8, v3
	v_fma_f32 v157, v7, v3, -v4
	ds_load_2addr_b64 v[1:4], v21 offset0:97 offset1:98
	ds_load_2addr_b64 v[5:8], v21 offset0:99 offset1:100
	s_wait_loadcnt_dscnt 0x1
	v_mul_f32_e32 v159, v1, v10
	v_mul_f32_e32 v10, v2, v10
	s_delay_alu instid0(VALU_DEP_2) | instskip(NEXT) | instid1(VALU_DEP_2)
	v_dual_mul_f32 v160, v3, v12 :: v_dual_fmac_f32 v159, v2, v9
	v_fma_f32 v161, v1, v9, -v10
	v_mul_f32_e32 v1, v4, v12
	s_delay_alu instid0(VALU_DEP_3) | instskip(NEXT) | instid1(VALU_DEP_2)
	v_fmac_f32_e32 v160, v4, v11
	v_fma_f32 v162, v3, v11, -v1
	s_clause 0x1
	scratch_load_b128 v[1:4], off, off offset:312
	scratch_load_b128 v[9:12], off, off offset:328
	s_wait_loadcnt_dscnt 0x100
	v_mul_f32_e32 v163, v5, v2
	v_dual_mul_f32 v2, v6, v2 :: v_dual_mul_f32 v165, v7, v4
	s_delay_alu instid0(VALU_DEP_2) | instskip(NEXT) | instid1(VALU_DEP_2)
	v_fmac_f32_e32 v163, v6, v1
	v_fma_f32 v164, v5, v1, -v2
	v_mul_f32_e32 v1, v8, v4
	s_delay_alu instid0(VALU_DEP_4) | instskip(NEXT) | instid1(VALU_DEP_2)
	v_fmac_f32_e32 v165, v8, v3
	v_fma_f32 v166, v7, v3, -v1
	ds_load_2addr_b64 v[1:4], v21 offset0:101 offset1:102
	ds_load_2addr_b64 v[5:8], v21 offset0:103 offset1:104
	s_wait_loadcnt_dscnt 0x1
	v_mul_f32_e32 v167, v1, v10
	v_mul_f32_e32 v169, v3, v12
	s_delay_alu instid0(VALU_DEP_2) | instskip(NEXT) | instid1(VALU_DEP_2)
	v_fmac_f32_e32 v167, v2, v9
	v_dual_mul_f32 v2, v2, v10 :: v_dual_fmac_f32 v169, v4, v11
	s_delay_alu instid0(VALU_DEP_1) | instskip(SKIP_1) | instid1(VALU_DEP_1)
	v_fma_f32 v168, v1, v9, -v2
	v_mul_f32_e32 v1, v4, v12
	v_fma_f32 v170, v3, v11, -v1
	s_clause 0x1
	scratch_load_b128 v[1:4], off, off offset:344
	scratch_load_b128 v[9:12], off, off offset:360
	s_wait_loadcnt_dscnt 0x100
	v_mul_f32_e32 v171, v5, v2
	v_dual_mul_f32 v2, v6, v2 :: v_dual_mul_f32 v173, v7, v4
	s_delay_alu instid0(VALU_DEP_2) | instskip(NEXT) | instid1(VALU_DEP_2)
	v_fmac_f32_e32 v171, v6, v1
	v_fma_f32 v172, v5, v1, -v2
	v_mul_f32_e32 v1, v8, v4
	s_delay_alu instid0(VALU_DEP_4) | instskip(NEXT) | instid1(VALU_DEP_2)
	v_fmac_f32_e32 v173, v8, v3
	v_fma_f32 v174, v7, v3, -v1
	ds_load_2addr_b64 v[1:4], v21 offset0:105 offset1:106
	ds_load_2addr_b64 v[5:8], v21 offset0:107 offset1:108
	s_wait_loadcnt_dscnt 0x1
	v_mul_f32_e32 v175, v1, v10
	v_mul_f32_e32 v177, v3, v12
	s_delay_alu instid0(VALU_DEP_2) | instskip(NEXT) | instid1(VALU_DEP_2)
	v_fmac_f32_e32 v175, v2, v9
	v_dual_mul_f32 v2, v2, v10 :: v_dual_fmac_f32 v177, v4, v11
	s_delay_alu instid0(VALU_DEP_1) | instskip(SKIP_1) | instid1(VALU_DEP_1)
	v_fma_f32 v176, v1, v9, -v2
	v_mul_f32_e32 v1, v4, v12
	v_fma_f32 v178, v3, v11, -v1
	s_clause 0x1
	scratch_load_b128 v[1:4], off, off offset:376
	scratch_load_b128 v[9:12], off, off offset:392
	s_wait_loadcnt_dscnt 0x100
	v_mul_f32_e32 v179, v5, v2
	v_dual_mul_f32 v2, v6, v2 :: v_dual_mul_f32 v181, v7, v4
	s_delay_alu instid0(VALU_DEP_1) | instskip(SKIP_1) | instid1(VALU_DEP_3)
	v_fma_f32 v180, v5, v1, -v2
	v_add_f32_e32 v2, 0, v151
	v_fmac_f32_e32 v181, v8, v3
	v_fmac_f32_e32 v179, v6, v1
	s_delay_alu instid0(VALU_DEP_3) | instskip(NEXT) | instid1(VALU_DEP_1)
	v_add_f32_e32 v2, v2, v152
	v_add_f32_e32 v2, v2, v24
	s_delay_alu instid0(VALU_DEP_1) | instskip(NEXT) | instid1(VALU_DEP_1)
	v_dual_mul_f32 v1, v8, v4 :: v_dual_add_f32 v2, v2, v25
	v_fma_f32 v182, v7, v3, -v1
	s_delay_alu instid0(VALU_DEP_2) | instskip(NEXT) | instid1(VALU_DEP_1)
	v_dual_add_f32 v1, 0, v22 :: v_dual_add_f32 v2, v2, v32
	v_dual_add_f32 v1, v1, v23 :: v_dual_add_f32 v2, v2, v158
	s_delay_alu instid0(VALU_DEP_1) | instskip(NEXT) | instid1(VALU_DEP_1)
	v_add_f32_e32 v2, v2, v154
	v_dual_add_f32 v1, v1, v26 :: v_dual_add_f32 v2, v2, v155
	s_delay_alu instid0(VALU_DEP_1) | instskip(NEXT) | instid1(VALU_DEP_1)
	v_add_f32_e32 v1, v1, v27
	v_dual_add_f32 v2, v2, v15 :: v_dual_add_f32 v1, v1, v28
	s_delay_alu instid0(VALU_DEP_1) | instskip(NEXT) | instid1(VALU_DEP_2)
	v_add_f32_e32 v5, v2, v18
	v_add_f32_e32 v1, v1, v29
	s_delay_alu instid0(VALU_DEP_1) | instskip(NEXT) | instid1(VALU_DEP_3)
	v_add_f32_e32 v1, v1, v13
	v_add_f32_e32 v13, v5, v19
	s_delay_alu instid0(VALU_DEP_1) | instskip(NEXT) | instid1(VALU_DEP_1)
	v_add_f32_e32 v13, v13, v20
	v_add_f32_e32 v13, v13, v159
	s_delay_alu instid0(VALU_DEP_1) | instskip(NEXT) | instid1(VALU_DEP_1)
	v_add_f32_e32 v18, v13, v160
	v_dual_add_f32 v18, v18, v163 :: v_dual_add_f32 v1, v1, v14
	s_delay_alu instid0(VALU_DEP_1) | instskip(NEXT) | instid1(VALU_DEP_1)
	v_dual_add_f32 v18, v18, v165 :: v_dual_add_f32 v1, v1, v16
	v_dual_add_f32 v22, v18, v167 :: v_dual_add_f32 v1, v1, v17
	s_delay_alu instid0(VALU_DEP_1) | instskip(NEXT) | instid1(VALU_DEP_2)
	v_add_f32_e32 v22, v22, v169
	v_add_f32_e32 v6, v1, v156
	ds_load_2addr_b64 v[1:4], v21 offset0:109 offset1:110
	v_add_f32_e32 v22, v22, v171
	v_add_f32_e32 v14, v6, v157
	scratch_load_b128 v[5:8], off, off offset:408
	v_add_f32_e32 v14, v14, v161
	s_delay_alu instid0(VALU_DEP_1)
	v_add_f32_e32 v17, v14, v162
	ds_load_2addr_b64 v[13:16], v21 offset0:111 offset1:112
	s_wait_loadcnt_dscnt 0x101
	v_mul_f32_e32 v25, v1, v10
	v_mul_f32_e32 v10, v2, v10
	;; [unrolled: 1-line block ×3, first 2 shown]
	s_delay_alu instid0(VALU_DEP_3) | instskip(NEXT) | instid1(VALU_DEP_3)
	v_dual_mul_f32 v12, v4, v12 :: v_dual_fmac_f32 v25, v2, v9
	v_fma_f32 v27, v1, v9, -v10
	s_delay_alu instid0(VALU_DEP_3) | instskip(NEXT) | instid1(VALU_DEP_3)
	v_fmac_f32_e32 v26, v4, v11
	v_fma_f32 v28, v3, v11, -v12
	s_clause 0x1
	scratch_load_b128 v[1:4], off, off offset:424
	scratch_load_b128 v[9:12], off, off offset:440
	s_wait_loadcnt_dscnt 0x200
	v_mul_f32_e32 v32, v15, v8
	v_add_f32_e32 v17, v17, v164
	v_mul_f32_e32 v29, v13, v6
	v_mul_f32_e32 v6, v14, v6
	;; [unrolled: 1-line block ×3, first 2 shown]
	s_delay_alu instid0(VALU_DEP_4) | instskip(NEXT) | instid1(VALU_DEP_3)
	v_dual_fmac_f32 v32, v16, v7 :: v_dual_add_f32 v17, v17, v166
	v_fma_f32 v151, v13, v5, -v6
	v_add_f32_e32 v13, v22, v173
	s_delay_alu instid0(VALU_DEP_4) | instskip(NEXT) | instid1(VALU_DEP_4)
	v_fma_f32 v152, v15, v7, -v8
	v_add_f32_e32 v17, v17, v168
	s_delay_alu instid0(VALU_DEP_1) | instskip(SKIP_2) | instid1(VALU_DEP_1)
	v_add_f32_e32 v23, v17, v170
	scratch_load_b128 v[17:20], off, off offset:456
	v_add_f32_e32 v23, v23, v172
	v_add_f32_e32 v23, v23, v174
	s_delay_alu instid0(VALU_DEP_1) | instskip(SKIP_4) | instid1(VALU_DEP_1)
	v_dual_add_f32 v22, v23, v176 :: v_dual_fmac_f32 v29, v14, v5
	ds_load_2addr_b64 v[5:8], v21 offset0:113 offset1:114
	v_add_f32_e32 v23, v13, v175
	ds_load_2addr_b64 v[13:16], v21 offset0:115 offset1:116
	v_add_f32_e32 v154, v22, v178
	v_dual_add_f32 v154, v154, v180 :: v_dual_add_f32 v155, v23, v177
	ds_load_2addr_b64 v[21:24], v21 offset0:117 offset1:118
	v_dual_add_f32 v154, v154, v182 :: v_dual_add_f32 v155, v155, v179
	s_delay_alu instid0(VALU_DEP_1) | instskip(SKIP_1) | instid1(VALU_DEP_2)
	v_add_f32_e32 v27, v154, v27
	s_wait_loadcnt_dscnt 0x202
	v_dual_add_f32 v155, v155, v181 :: v_dual_mul_f32 v156, v5, v2
	v_mul_f32_e32 v2, v6, v2
	v_mul_f32_e32 v154, v7, v4
	s_wait_loadcnt_dscnt 0x101
	v_mul_f32_e32 v157, v15, v12
	v_dual_add_f32 v25, v155, v25 :: v_dual_mul_f32 v4, v8, v4
	v_fmac_f32_e32 v156, v6, v1
	v_dual_mul_f32 v6, v14, v10 :: v_dual_add_f32 v27, v27, v28
	s_delay_alu instid0(VALU_DEP_3) | instskip(NEXT) | instid1(VALU_DEP_4)
	v_dual_fmac_f32 v154, v8, v3 :: v_dual_add_f32 v25, v25, v26
	v_fma_f32 v3, v7, v3, -v4
	v_dual_mul_f32 v4, v16, v12 :: v_dual_mul_f32 v155, v13, v10
	v_fma_f32 v2, v5, v1, -v2
	s_delay_alu instid0(VALU_DEP_4) | instskip(NEXT) | instid1(VALU_DEP_3)
	v_add_f32_e32 v25, v25, v29
	v_fma_f32 v4, v15, v11, -v4
	s_wait_loadcnt_dscnt 0x0
	v_mul_f32_e32 v26, v21, v18
	v_mul_f32_e32 v28, v23, v20
	v_add_f32_e32 v5, v25, v32
	v_fmac_f32_e32 v155, v14, v9
	s_delay_alu instid0(VALU_DEP_4) | instskip(NEXT) | instid1(VALU_DEP_4)
	v_dual_fmac_f32 v26, v22, v17 :: v_dual_add_f32 v27, v27, v151
	v_fmac_f32_e32 v28, v24, v19
	v_fmac_f32_e32 v157, v16, v11
	s_delay_alu instid0(VALU_DEP_3) | instskip(NEXT) | instid1(VALU_DEP_1)
	v_add_f32_e32 v1, v27, v152
	v_add_f32_e32 v1, v1, v2
	;; [unrolled: 1-line block ×3, first 2 shown]
	v_fma_f32 v5, v13, v9, -v6
	s_delay_alu instid0(VALU_DEP_2) | instskip(NEXT) | instid1(VALU_DEP_1)
	v_add_f32_e32 v2, v2, v154
	v_add_f32_e32 v2, v2, v155
	s_delay_alu instid0(VALU_DEP_1) | instskip(SKIP_1) | instid1(VALU_DEP_2)
	v_dual_add_f32 v2, v2, v157 :: v_dual_add_f32 v1, v1, v3
	v_mul_f32_e32 v3, v22, v18
	v_add_f32_e32 v2, v2, v26
	s_delay_alu instid0(VALU_DEP_2) | instskip(NEXT) | instid1(VALU_DEP_2)
	v_fma_f32 v3, v21, v17, -v3
	v_dual_add_f32 v2, v2, v28 :: v_dual_add_f32 v1, v1, v5
	s_delay_alu instid0(VALU_DEP_1) | instskip(NEXT) | instid1(VALU_DEP_2)
	v_dual_mul_f32 v5, v24, v20 :: v_dual_sub_f32 v2, v31, v2
	v_add_f32_e32 v1, v1, v4
	s_delay_alu instid0(VALU_DEP_2) | instskip(NEXT) | instid1(VALU_DEP_2)
	v_fma_f32 v4, v23, v19, -v5
	v_add_f32_e32 v1, v1, v3
	s_delay_alu instid0(VALU_DEP_1) | instskip(NEXT) | instid1(VALU_DEP_1)
	v_add_f32_e32 v1, v1, v4
	v_sub_f32_e32 v1, v30, v1
	scratch_store_b64 off, v[1:2], off offset:192
	v_cmpx_lt_u32_e32 23, v0
	s_cbranch_execz .LBB122_321
; %bb.320:
	scratch_load_b64 v[1:2], off, off offset:184
	v_mov_b32_e32 v3, 0
	s_delay_alu instid0(VALU_DEP_1)
	v_mov_b32_e32 v4, v3
	scratch_store_b64 off, v[3:4], off offset:184
	s_wait_loadcnt 0x0
	ds_store_b64 v153, v[1:2]
.LBB122_321:
	s_wait_alu 0xfffe
	s_or_b32 exec_lo, exec_lo, s0
	s_wait_storecnt_dscnt 0x0
	s_barrier_signal -1
	s_barrier_wait -1
	global_inv scope:SCOPE_SE
	s_clause 0x4
	scratch_load_b128 v[5:8], off, off offset:192
	scratch_load_b128 v[1:4], off, off offset:208
	;; [unrolled: 1-line block ×5, first 2 shown]
	v_mov_b32_e32 v21, 0
	ds_load_b128 v[22:25], v21 offset:672
	ds_load_b128 v[26:29], v21 offset:688
	;; [unrolled: 1-line block ×3, first 2 shown]
	scratch_load_b64 v[30:31], off, off offset:184
	s_mov_b32 s0, exec_lo
	s_wait_loadcnt_dscnt 0x502
	v_mul_f32_e32 v32, v23, v6
	v_dual_mul_f32 v151, v22, v6 :: v_dual_mul_f32 v152, v24, v8
	v_mul_f32_e32 v6, v25, v8
	s_wait_loadcnt_dscnt 0x300
	v_mul_f32_e32 v158, v156, v12
	v_fma_f32 v22, v22, v5, -v32
	v_dual_fmac_f32 v151, v23, v5 :: v_dual_fmac_f32 v152, v25, v7
	v_mul_f32_e32 v25, v28, v4
	v_fma_f32 v23, v24, v7, -v6
	ds_load_b128 v[5:8], v21 offset:720
	v_mul_f32_e32 v24, v26, v2
	v_mul_f32_e32 v4, v29, v4
	v_mul_f32_e32 v32, v154, v10
	v_mul_f32_e32 v10, v155, v10
	v_mul_f32_e32 v12, v157, v12
	v_dual_mul_f32 v2, v27, v2 :: v_dual_fmac_f32 v25, v29, v3
	v_fmac_f32_e32 v24, v27, v1
	v_fma_f32 v27, v28, v3, -v4
	v_fmac_f32_e32 v32, v155, v9
	v_fma_f32 v28, v154, v9, -v10
	;; [unrolled: 2-line block ×3, first 2 shown]
	ds_load_b128 v[9:12], v21 offset:736
	s_wait_loadcnt_dscnt 0x201
	v_dual_mul_f32 v155, v7, v16 :: v_dual_mul_f32 v154, v5, v14
	v_mul_f32_e32 v14, v6, v14
	v_mul_f32_e32 v16, v8, v16
	s_delay_alu instid0(VALU_DEP_3)
	v_fmac_f32_e32 v155, v8, v15
	v_fma_f32 v26, v26, v1, -v2
	scratch_load_b128 v[1:4], off, off offset:272
	v_fmac_f32_e32 v154, v6, v13
	v_fma_f32 v13, v5, v13, -v14
	v_fma_f32 v14, v7, v15, -v16
	ds_load_b128 v[5:8], v21 offset:752
	s_wait_loadcnt_dscnt 0x201
	v_mul_f32_e32 v15, v9, v18
	v_mul_f32_e32 v16, v10, v18
	;; [unrolled: 1-line block ×3, first 2 shown]
	s_delay_alu instid0(VALU_DEP_3) | instskip(NEXT) | instid1(VALU_DEP_3)
	v_dual_mul_f32 v20, v12, v20 :: v_dual_fmac_f32 v15, v10, v17
	v_fma_f32 v16, v9, v17, -v16
	s_delay_alu instid0(VALU_DEP_3) | instskip(NEXT) | instid1(VALU_DEP_3)
	v_fmac_f32_e32 v18, v12, v19
	v_fma_f32 v17, v11, v19, -v20
	scratch_load_b128 v[9:12], off, off offset:288
	s_wait_loadcnt_dscnt 0x100
	v_mul_f32_e32 v19, v5, v2
	v_mul_f32_e32 v2, v6, v2
	;; [unrolled: 1-line block ×3, first 2 shown]
	s_delay_alu instid0(VALU_DEP_3) | instskip(NEXT) | instid1(VALU_DEP_3)
	v_dual_mul_f32 v4, v8, v4 :: v_dual_fmac_f32 v19, v6, v1
	v_fma_f32 v156, v5, v1, -v2
	s_delay_alu instid0(VALU_DEP_3) | instskip(NEXT) | instid1(VALU_DEP_3)
	v_fmac_f32_e32 v20, v8, v3
	v_fma_f32 v157, v7, v3, -v4
	ds_load_b128 v[1:4], v21 offset:768
	ds_load_b128 v[5:8], v21 offset:784
	s_wait_loadcnt_dscnt 0x1
	v_mul_f32_e32 v159, v1, v10
	v_mul_f32_e32 v10, v2, v10
	s_delay_alu instid0(VALU_DEP_2) | instskip(NEXT) | instid1(VALU_DEP_2)
	v_dual_mul_f32 v160, v3, v12 :: v_dual_fmac_f32 v159, v2, v9
	v_fma_f32 v161, v1, v9, -v10
	v_mul_f32_e32 v1, v4, v12
	s_delay_alu instid0(VALU_DEP_3) | instskip(NEXT) | instid1(VALU_DEP_2)
	v_fmac_f32_e32 v160, v4, v11
	v_fma_f32 v162, v3, v11, -v1
	s_clause 0x1
	scratch_load_b128 v[1:4], off, off offset:304
	scratch_load_b128 v[9:12], off, off offset:320
	s_wait_loadcnt_dscnt 0x100
	v_mul_f32_e32 v163, v5, v2
	v_dual_mul_f32 v2, v6, v2 :: v_dual_mul_f32 v165, v7, v4
	s_delay_alu instid0(VALU_DEP_2) | instskip(NEXT) | instid1(VALU_DEP_2)
	v_fmac_f32_e32 v163, v6, v1
	v_fma_f32 v164, v5, v1, -v2
	v_mul_f32_e32 v1, v8, v4
	s_delay_alu instid0(VALU_DEP_4) | instskip(NEXT) | instid1(VALU_DEP_2)
	v_fmac_f32_e32 v165, v8, v3
	v_fma_f32 v166, v7, v3, -v1
	ds_load_b128 v[1:4], v21 offset:800
	ds_load_b128 v[5:8], v21 offset:816
	s_wait_loadcnt_dscnt 0x1
	v_mul_f32_e32 v167, v1, v10
	v_mul_f32_e32 v169, v3, v12
	s_delay_alu instid0(VALU_DEP_2) | instskip(NEXT) | instid1(VALU_DEP_2)
	v_fmac_f32_e32 v167, v2, v9
	v_dual_mul_f32 v2, v2, v10 :: v_dual_fmac_f32 v169, v4, v11
	s_delay_alu instid0(VALU_DEP_1) | instskip(SKIP_1) | instid1(VALU_DEP_1)
	v_fma_f32 v168, v1, v9, -v2
	v_mul_f32_e32 v1, v4, v12
	v_fma_f32 v170, v3, v11, -v1
	s_clause 0x1
	scratch_load_b128 v[1:4], off, off offset:336
	scratch_load_b128 v[9:12], off, off offset:352
	s_wait_loadcnt_dscnt 0x100
	v_mul_f32_e32 v171, v5, v2
	v_dual_mul_f32 v2, v6, v2 :: v_dual_mul_f32 v173, v7, v4
	s_delay_alu instid0(VALU_DEP_2) | instskip(NEXT) | instid1(VALU_DEP_2)
	v_fmac_f32_e32 v171, v6, v1
	v_fma_f32 v172, v5, v1, -v2
	v_mul_f32_e32 v1, v8, v4
	s_delay_alu instid0(VALU_DEP_4) | instskip(NEXT) | instid1(VALU_DEP_2)
	v_fmac_f32_e32 v173, v8, v3
	v_fma_f32 v174, v7, v3, -v1
	ds_load_b128 v[1:4], v21 offset:832
	ds_load_b128 v[5:8], v21 offset:848
	s_wait_loadcnt_dscnt 0x1
	v_mul_f32_e32 v175, v1, v10
	v_mul_f32_e32 v177, v3, v12
	s_delay_alu instid0(VALU_DEP_2) | instskip(NEXT) | instid1(VALU_DEP_2)
	v_fmac_f32_e32 v175, v2, v9
	v_dual_mul_f32 v2, v2, v10 :: v_dual_fmac_f32 v177, v4, v11
	s_delay_alu instid0(VALU_DEP_1) | instskip(SKIP_1) | instid1(VALU_DEP_1)
	v_fma_f32 v176, v1, v9, -v2
	v_mul_f32_e32 v1, v4, v12
	v_fma_f32 v178, v3, v11, -v1
	s_clause 0x1
	scratch_load_b128 v[1:4], off, off offset:368
	scratch_load_b128 v[9:12], off, off offset:384
	s_wait_loadcnt_dscnt 0x100
	v_mul_f32_e32 v179, v5, v2
	v_dual_mul_f32 v2, v6, v2 :: v_dual_mul_f32 v181, v7, v4
	s_delay_alu instid0(VALU_DEP_1) | instskip(SKIP_1) | instid1(VALU_DEP_1)
	v_fma_f32 v180, v5, v1, -v2
	v_add_f32_e32 v2, 0, v151
	v_dual_add_f32 v2, v2, v152 :: v_dual_fmac_f32 v181, v8, v3
	v_fmac_f32_e32 v179, v6, v1
	s_delay_alu instid0(VALU_DEP_2) | instskip(NEXT) | instid1(VALU_DEP_1)
	v_add_f32_e32 v2, v2, v24
	v_dual_mul_f32 v1, v8, v4 :: v_dual_add_f32 v2, v2, v25
	s_delay_alu instid0(VALU_DEP_1) | instskip(NEXT) | instid1(VALU_DEP_2)
	v_fma_f32 v182, v7, v3, -v1
	v_dual_add_f32 v1, 0, v22 :: v_dual_add_f32 v2, v2, v32
	s_delay_alu instid0(VALU_DEP_1) | instskip(NEXT) | instid1(VALU_DEP_1)
	v_dual_add_f32 v1, v1, v23 :: v_dual_add_f32 v2, v2, v158
	v_add_f32_e32 v2, v2, v154
	s_delay_alu instid0(VALU_DEP_1) | instskip(NEXT) | instid1(VALU_DEP_1)
	v_dual_add_f32 v1, v1, v26 :: v_dual_add_f32 v2, v2, v155
	v_add_f32_e32 v1, v1, v27
	scratch_load_b64 v[26:27], off, off offset:464
	v_dual_add_f32 v2, v2, v15 :: v_dual_add_f32 v1, v1, v28
	s_delay_alu instid0(VALU_DEP_1) | instskip(NEXT) | instid1(VALU_DEP_2)
	v_add_f32_e32 v5, v2, v18
	v_add_f32_e32 v1, v1, v29
	s_delay_alu instid0(VALU_DEP_1) | instskip(NEXT) | instid1(VALU_DEP_3)
	v_add_f32_e32 v1, v1, v13
	v_add_f32_e32 v13, v5, v19
	s_delay_alu instid0(VALU_DEP_1) | instskip(NEXT) | instid1(VALU_DEP_1)
	v_add_f32_e32 v13, v13, v20
	v_add_f32_e32 v13, v13, v159
	s_delay_alu instid0(VALU_DEP_1) | instskip(NEXT) | instid1(VALU_DEP_1)
	v_add_f32_e32 v18, v13, v160
	v_dual_add_f32 v18, v18, v163 :: v_dual_add_f32 v1, v1, v14
	s_delay_alu instid0(VALU_DEP_1) | instskip(NEXT) | instid1(VALU_DEP_1)
	v_dual_add_f32 v18, v18, v165 :: v_dual_add_f32 v1, v1, v16
	v_dual_add_f32 v22, v18, v167 :: v_dual_add_f32 v1, v1, v17
	s_delay_alu instid0(VALU_DEP_1) | instskip(NEXT) | instid1(VALU_DEP_2)
	v_add_f32_e32 v22, v22, v169
	v_add_f32_e32 v6, v1, v156
	scratch_load_b128 v[1:4], off, off offset:400
	v_add_f32_e32 v22, v22, v171
	v_add_f32_e32 v14, v6, v157
	ds_load_b128 v[5:8], v21 offset:864
	v_add_f32_e32 v22, v22, v173
	v_add_f32_e32 v14, v14, v161
	s_delay_alu instid0(VALU_DEP_1)
	v_add_f32_e32 v17, v14, v162
	ds_load_b128 v[13:16], v21 offset:880
	s_wait_loadcnt_dscnt 0x201
	v_dual_mul_f32 v32, v5, v10 :: v_dual_mul_f32 v151, v7, v12
	v_mul_f32_e32 v10, v6, v10
	v_mul_f32_e32 v12, v8, v12
	s_delay_alu instid0(VALU_DEP_3) | instskip(NEXT) | instid1(VALU_DEP_3)
	v_dual_fmac_f32 v32, v6, v9 :: v_dual_fmac_f32 v151, v8, v11
	v_fma_f32 v152, v5, v9, -v10
	s_delay_alu instid0(VALU_DEP_3)
	v_fma_f32 v154, v7, v11, -v12
	s_clause 0x1
	scratch_load_b128 v[5:8], off, off offset:416
	scratch_load_b128 v[9:12], off, off offset:432
	s_wait_loadcnt_dscnt 0x200
	v_mul_f32_e32 v156, v15, v4
	v_add_f32_e32 v17, v17, v164
	v_mul_f32_e32 v155, v13, v2
	v_mul_f32_e32 v2, v14, v2
	;; [unrolled: 1-line block ×3, first 2 shown]
	s_delay_alu instid0(VALU_DEP_4) | instskip(NEXT) | instid1(VALU_DEP_3)
	v_dual_fmac_f32 v156, v16, v3 :: v_dual_add_f32 v17, v17, v166
	v_fma_f32 v157, v13, v1, -v2
	v_add_f32_e32 v13, v22, v175
	s_delay_alu instid0(VALU_DEP_4) | instskip(NEXT) | instid1(VALU_DEP_4)
	v_fma_f32 v158, v15, v3, -v4
	v_add_f32_e32 v17, v17, v168
	s_delay_alu instid0(VALU_DEP_3) | instskip(NEXT) | instid1(VALU_DEP_2)
	v_add_f32_e32 v22, v13, v177
	v_add_f32_e32 v23, v17, v170
	scratch_load_b128 v[17:20], off, off offset:448
	v_add_f32_e32 v29, v22, v179
	s_delay_alu instid0(VALU_DEP_1) | instskip(NEXT) | instid1(VALU_DEP_1)
	v_dual_add_f32 v23, v23, v172 :: v_dual_add_f32 v160, v29, v181
	v_dual_add_f32 v23, v23, v174 :: v_dual_add_f32 v32, v160, v32
	s_delay_alu instid0(VALU_DEP_1)
	v_add_f32_e32 v23, v23, v176
	v_fmac_f32_e32 v155, v14, v1
	ds_load_b128 v[1:4], v21 offset:896
	v_add_f32_e32 v32, v32, v151
	v_add_f32_e32 v14, v23, v178
	ds_load_b128 v[22:25], v21 offset:928
	v_add_f32_e32 v28, v14, v180
	ds_load_b128 v[13:16], v21 offset:912
	v_add_f32_e32 v159, v28, v182
	ds_load_b64 v[28:29], v21 offset:944
	s_wait_loadcnt_dscnt 0x203
	v_dual_add_f32 v152, v159, v152 :: v_dual_mul_f32 v159, v1, v6
	v_mul_f32_e32 v151, v3, v8
	v_mul_f32_e32 v8, v4, v8
	s_delay_alu instid0(VALU_DEP_3) | instskip(SKIP_3) | instid1(VALU_DEP_4)
	v_add_f32_e32 v152, v152, v154
	v_mul_f32_e32 v6, v2, v6
	v_fmac_f32_e32 v159, v2, v5
	v_fmac_f32_e32 v151, v4, v7
	v_add_f32_e32 v152, v152, v157
	s_wait_loadcnt_dscnt 0x101
	v_mul_f32_e32 v154, v13, v10
	s_delay_alu instid0(VALU_DEP_1)
	v_fmac_f32_e32 v154, v14, v9
	s_wait_loadcnt 0x0
	v_mul_f32_e32 v157, v22, v18
	v_fma_f32 v2, v3, v7, -v8
	v_dual_mul_f32 v3, v14, v10 :: v_dual_add_f32 v32, v32, v155
	v_mul_f32_e32 v155, v15, v12
	v_fma_f32 v1, v1, v5, -v6
	v_fmac_f32_e32 v157, v23, v17
	s_delay_alu instid0(VALU_DEP_4) | instskip(SKIP_4) | instid1(VALU_DEP_3)
	v_fma_f32 v3, v13, v9, -v3
	v_add_f32_e32 v152, v152, v158
	v_mul_f32_e32 v158, v24, v20
	v_fmac_f32_e32 v155, v16, v11
	v_mul_f32_e32 v5, v16, v12
	v_dual_add_f32 v1, v152, v1 :: v_dual_fmac_f32 v158, v25, v19
	s_delay_alu instid0(VALU_DEP_2) | instskip(NEXT) | instid1(VALU_DEP_2)
	v_fma_f32 v5, v15, v11, -v5
	v_add_f32_e32 v1, v1, v2
	s_delay_alu instid0(VALU_DEP_1) | instskip(SKIP_2) | instid1(VALU_DEP_2)
	v_dual_add_f32 v1, v1, v3 :: v_dual_add_f32 v32, v32, v156
	s_wait_dscnt 0x0
	v_dual_mul_f32 v156, v28, v27 :: v_dual_mul_f32 v3, v25, v20
	v_dual_add_f32 v1, v1, v5 :: v_dual_add_f32 v4, v32, v159
	s_delay_alu instid0(VALU_DEP_2) | instskip(NEXT) | instid1(VALU_DEP_3)
	v_fmac_f32_e32 v156, v29, v26
	v_fma_f32 v3, v24, v19, -v3
	s_delay_alu instid0(VALU_DEP_3) | instskip(SKIP_1) | instid1(VALU_DEP_1)
	v_add_f32_e32 v2, v4, v151
	v_mul_f32_e32 v4, v23, v18
	v_fma_f32 v4, v22, v17, -v4
	s_delay_alu instid0(VALU_DEP_1) | instskip(NEXT) | instid1(VALU_DEP_1)
	v_dual_add_f32 v1, v1, v4 :: v_dual_add_f32 v2, v2, v154
	v_add_f32_e32 v2, v2, v155
	s_delay_alu instid0(VALU_DEP_1) | instskip(NEXT) | instid1(VALU_DEP_1)
	v_dual_add_f32 v2, v2, v157 :: v_dual_mul_f32 v5, v29, v27
	v_add_f32_e32 v2, v2, v158
	s_delay_alu instid0(VALU_DEP_2) | instskip(NEXT) | instid1(VALU_DEP_2)
	v_fma_f32 v4, v28, v26, -v5
	v_dual_add_f32 v1, v1, v3 :: v_dual_add_f32 v2, v2, v156
	s_delay_alu instid0(VALU_DEP_1) | instskip(NEXT) | instid1(VALU_DEP_1)
	v_dual_add_f32 v1, v1, v4 :: v_dual_sub_f32 v2, v31, v2
	v_sub_f32_e32 v1, v30, v1
	scratch_store_b64 off, v[1:2], off offset:184
	v_cmpx_lt_u32_e32 22, v0
	s_cbranch_execz .LBB122_323
; %bb.322:
	scratch_load_b64 v[1:2], off, off offset:176
	v_mov_b32_e32 v22, v21
	scratch_store_b64 off, v[21:22], off offset:176
	s_wait_loadcnt 0x0
	ds_store_b64 v153, v[1:2]
.LBB122_323:
	s_wait_alu 0xfffe
	s_or_b32 exec_lo, exec_lo, s0
	s_wait_storecnt_dscnt 0x0
	s_barrier_signal -1
	s_barrier_wait -1
	global_inv scope:SCOPE_SE
	s_clause 0x4
	scratch_load_b128 v[5:8], off, off offset:184
	scratch_load_b128 v[1:4], off, off offset:200
	;; [unrolled: 1-line block ×5, first 2 shown]
	ds_load_2addr_b64 v[22:25], v21 offset0:83 offset1:84
	ds_load_2addr_b64 v[26:29], v21 offset0:85 offset1:86
	;; [unrolled: 1-line block ×3, first 2 shown]
	scratch_load_b64 v[30:31], off, off offset:176
	s_mov_b32 s0, exec_lo
	s_wait_loadcnt_dscnt 0x502
	v_mul_f32_e32 v32, v23, v6
	v_dual_mul_f32 v151, v22, v6 :: v_dual_mul_f32 v152, v24, v8
	v_mul_f32_e32 v6, v25, v8
	s_wait_loadcnt_dscnt 0x300
	v_mul_f32_e32 v158, v156, v12
	s_delay_alu instid0(VALU_DEP_3)
	v_dual_mul_f32 v12, v157, v12 :: v_dual_fmac_f32 v151, v23, v5
	v_fmac_f32_e32 v152, v25, v7
	v_fma_f32 v23, v24, v7, -v6
	v_mul_f32_e32 v25, v28, v4
	v_fma_f32 v22, v22, v5, -v32
	ds_load_2addr_b64 v[5:8], v21 offset0:89 offset1:90
	v_mul_f32_e32 v24, v26, v2
	v_mul_f32_e32 v4, v29, v4
	;; [unrolled: 1-line block ×4, first 2 shown]
	v_dual_mul_f32 v2, v27, v2 :: v_dual_fmac_f32 v25, v29, v3
	v_fmac_f32_e32 v24, v27, v1
	v_fma_f32 v27, v28, v3, -v4
	v_fmac_f32_e32 v32, v155, v9
	v_fma_f32 v28, v154, v9, -v10
	;; [unrolled: 2-line block ×3, first 2 shown]
	ds_load_2addr_b64 v[9:12], v21 offset0:91 offset1:92
	s_wait_loadcnt_dscnt 0x201
	v_dual_mul_f32 v155, v7, v16 :: v_dual_mul_f32 v154, v5, v14
	v_mul_f32_e32 v14, v6, v14
	v_mul_f32_e32 v16, v8, v16
	s_delay_alu instid0(VALU_DEP_3)
	v_fmac_f32_e32 v155, v8, v15
	v_fma_f32 v26, v26, v1, -v2
	scratch_load_b128 v[1:4], off, off offset:264
	v_fmac_f32_e32 v154, v6, v13
	v_fma_f32 v13, v5, v13, -v14
	v_fma_f32 v14, v7, v15, -v16
	ds_load_2addr_b64 v[5:8], v21 offset0:93 offset1:94
	s_wait_loadcnt_dscnt 0x201
	v_mul_f32_e32 v15, v9, v18
	v_mul_f32_e32 v16, v10, v18
	;; [unrolled: 1-line block ×3, first 2 shown]
	s_delay_alu instid0(VALU_DEP_3) | instskip(NEXT) | instid1(VALU_DEP_3)
	v_dual_mul_f32 v20, v12, v20 :: v_dual_fmac_f32 v15, v10, v17
	v_fma_f32 v16, v9, v17, -v16
	s_delay_alu instid0(VALU_DEP_3) | instskip(NEXT) | instid1(VALU_DEP_3)
	v_fmac_f32_e32 v18, v12, v19
	v_fma_f32 v17, v11, v19, -v20
	scratch_load_b128 v[9:12], off, off offset:280
	s_wait_loadcnt_dscnt 0x100
	v_mul_f32_e32 v19, v5, v2
	v_mul_f32_e32 v2, v6, v2
	;; [unrolled: 1-line block ×3, first 2 shown]
	s_delay_alu instid0(VALU_DEP_3) | instskip(NEXT) | instid1(VALU_DEP_3)
	v_dual_mul_f32 v4, v8, v4 :: v_dual_fmac_f32 v19, v6, v1
	v_fma_f32 v156, v5, v1, -v2
	s_delay_alu instid0(VALU_DEP_3) | instskip(NEXT) | instid1(VALU_DEP_3)
	v_fmac_f32_e32 v20, v8, v3
	v_fma_f32 v157, v7, v3, -v4
	ds_load_2addr_b64 v[1:4], v21 offset0:95 offset1:96
	ds_load_2addr_b64 v[5:8], v21 offset0:97 offset1:98
	s_wait_loadcnt_dscnt 0x1
	v_mul_f32_e32 v159, v1, v10
	v_mul_f32_e32 v10, v2, v10
	s_delay_alu instid0(VALU_DEP_2) | instskip(NEXT) | instid1(VALU_DEP_2)
	v_dual_mul_f32 v160, v3, v12 :: v_dual_fmac_f32 v159, v2, v9
	v_fma_f32 v161, v1, v9, -v10
	v_mul_f32_e32 v1, v4, v12
	s_delay_alu instid0(VALU_DEP_3) | instskip(NEXT) | instid1(VALU_DEP_2)
	v_fmac_f32_e32 v160, v4, v11
	v_fma_f32 v162, v3, v11, -v1
	s_clause 0x1
	scratch_load_b128 v[1:4], off, off offset:296
	scratch_load_b128 v[9:12], off, off offset:312
	s_wait_loadcnt_dscnt 0x100
	v_mul_f32_e32 v163, v5, v2
	v_dual_mul_f32 v2, v6, v2 :: v_dual_mul_f32 v165, v7, v4
	s_delay_alu instid0(VALU_DEP_2) | instskip(NEXT) | instid1(VALU_DEP_2)
	v_fmac_f32_e32 v163, v6, v1
	v_fma_f32 v164, v5, v1, -v2
	v_mul_f32_e32 v1, v8, v4
	s_delay_alu instid0(VALU_DEP_4) | instskip(NEXT) | instid1(VALU_DEP_2)
	v_fmac_f32_e32 v165, v8, v3
	v_fma_f32 v166, v7, v3, -v1
	ds_load_2addr_b64 v[1:4], v21 offset0:99 offset1:100
	ds_load_2addr_b64 v[5:8], v21 offset0:101 offset1:102
	s_wait_loadcnt_dscnt 0x1
	v_mul_f32_e32 v167, v1, v10
	v_mul_f32_e32 v169, v3, v12
	s_delay_alu instid0(VALU_DEP_2) | instskip(NEXT) | instid1(VALU_DEP_2)
	v_fmac_f32_e32 v167, v2, v9
	v_dual_mul_f32 v2, v2, v10 :: v_dual_fmac_f32 v169, v4, v11
	s_delay_alu instid0(VALU_DEP_1) | instskip(SKIP_1) | instid1(VALU_DEP_1)
	v_fma_f32 v168, v1, v9, -v2
	v_mul_f32_e32 v1, v4, v12
	v_fma_f32 v170, v3, v11, -v1
	s_clause 0x1
	scratch_load_b128 v[1:4], off, off offset:328
	scratch_load_b128 v[9:12], off, off offset:344
	s_wait_loadcnt_dscnt 0x100
	v_mul_f32_e32 v171, v5, v2
	v_dual_mul_f32 v2, v6, v2 :: v_dual_mul_f32 v173, v7, v4
	s_delay_alu instid0(VALU_DEP_2) | instskip(NEXT) | instid1(VALU_DEP_2)
	v_fmac_f32_e32 v171, v6, v1
	v_fma_f32 v172, v5, v1, -v2
	v_mul_f32_e32 v1, v8, v4
	s_delay_alu instid0(VALU_DEP_4) | instskip(NEXT) | instid1(VALU_DEP_2)
	v_fmac_f32_e32 v173, v8, v3
	v_fma_f32 v174, v7, v3, -v1
	ds_load_2addr_b64 v[1:4], v21 offset0:103 offset1:104
	ds_load_2addr_b64 v[5:8], v21 offset0:105 offset1:106
	s_wait_loadcnt_dscnt 0x1
	v_mul_f32_e32 v175, v1, v10
	v_mul_f32_e32 v177, v3, v12
	s_delay_alu instid0(VALU_DEP_2) | instskip(NEXT) | instid1(VALU_DEP_2)
	v_fmac_f32_e32 v175, v2, v9
	v_dual_mul_f32 v2, v2, v10 :: v_dual_fmac_f32 v177, v4, v11
	s_delay_alu instid0(VALU_DEP_1) | instskip(SKIP_1) | instid1(VALU_DEP_1)
	v_fma_f32 v176, v1, v9, -v2
	v_mul_f32_e32 v1, v4, v12
	;; [unrolled: 25-line block ×3, first 2 shown]
	v_fma_f32 v186, v3, v11, -v1
	s_clause 0x1
	scratch_load_b128 v[1:4], off, off offset:392
	scratch_load_b128 v[9:12], off, off offset:408
	s_wait_loadcnt_dscnt 0x100
	v_mul_f32_e32 v187, v5, v2
	v_mul_f32_e32 v2, v6, v2
	s_delay_alu instid0(VALU_DEP_1) | instskip(SKIP_1) | instid1(VALU_DEP_1)
	v_fma_f32 v188, v5, v1, -v2
	v_add_f32_e32 v2, 0, v151
	v_add_f32_e32 v2, v2, v152
	s_delay_alu instid0(VALU_DEP_1) | instskip(NEXT) | instid1(VALU_DEP_1)
	v_add_f32_e32 v2, v2, v24
	v_add_f32_e32 v2, v2, v25
	s_delay_alu instid0(VALU_DEP_1) | instskip(SKIP_1) | instid1(VALU_DEP_2)
	v_add_f32_e32 v2, v2, v32
	v_fmac_f32_e32 v187, v6, v1
	v_dual_add_f32 v2, v2, v158 :: v_dual_mul_f32 v189, v7, v4
	s_delay_alu instid0(VALU_DEP_1) | instskip(NEXT) | instid1(VALU_DEP_1)
	v_dual_add_f32 v2, v2, v154 :: v_dual_mul_f32 v1, v8, v4
	v_add_f32_e32 v2, v2, v155
	s_delay_alu instid0(VALU_DEP_2) | instskip(NEXT) | instid1(VALU_DEP_2)
	v_fma_f32 v190, v7, v3, -v1
	v_dual_add_f32 v1, 0, v22 :: v_dual_add_f32 v2, v2, v15
	s_delay_alu instid0(VALU_DEP_1) | instskip(NEXT) | instid1(VALU_DEP_1)
	v_dual_fmac_f32 v189, v8, v3 :: v_dual_add_f32 v2, v2, v18
	v_add_f32_e32 v2, v2, v19
	s_delay_alu instid0(VALU_DEP_1) | instskip(NEXT) | instid1(VALU_DEP_1)
	v_dual_add_f32 v1, v1, v23 :: v_dual_add_f32 v2, v2, v20
	v_add_f32_e32 v1, v1, v26
	s_delay_alu instid0(VALU_DEP_2) | instskip(NEXT) | instid1(VALU_DEP_2)
	v_add_f32_e32 v5, v2, v159
	v_add_f32_e32 v1, v1, v27
	s_delay_alu instid0(VALU_DEP_2) | instskip(NEXT) | instid1(VALU_DEP_2)
	v_add_f32_e32 v5, v5, v160
	;; [unrolled: 3-line block ×3, first 2 shown]
	v_add_f32_e32 v1, v1, v29
	s_delay_alu instid0(VALU_DEP_1) | instskip(NEXT) | instid1(VALU_DEP_1)
	v_add_f32_e32 v1, v1, v13
	v_add_f32_e32 v1, v1, v14
	s_delay_alu instid0(VALU_DEP_4) | instskip(NEXT) | instid1(VALU_DEP_1)
	v_add_f32_e32 v14, v5, v165
	v_add_f32_e32 v14, v14, v167
	s_delay_alu instid0(VALU_DEP_1) | instskip(NEXT) | instid1(VALU_DEP_1)
	v_dual_add_f32 v14, v14, v169 :: v_dual_add_f32 v1, v1, v16
	v_add_f32_e32 v1, v1, v17
	s_delay_alu instid0(VALU_DEP_2) | instskip(NEXT) | instid1(VALU_DEP_2)
	v_add_f32_e32 v17, v14, v171
	v_add_f32_e32 v1, v1, v156
	s_delay_alu instid0(VALU_DEP_1) | instskip(NEXT) | instid1(VALU_DEP_1)
	v_add_f32_e32 v1, v1, v157
	v_add_f32_e32 v1, v1, v161
	s_delay_alu instid0(VALU_DEP_1) | instskip(SKIP_2) | instid1(VALU_DEP_1)
	v_add_f32_e32 v6, v1, v162
	ds_load_2addr_b64 v[1:4], v21 offset0:111 offset1:112
	v_add_f32_e32 v6, v6, v164
	v_add_f32_e32 v13, v6, v166
	ds_load_2addr_b64 v[5:8], v21 offset0:113 offset1:114
	s_wait_loadcnt_dscnt 0x1
	v_dual_mul_f32 v25, v1, v10 :: v_dual_mul_f32 v26, v3, v12
	v_mul_f32_e32 v10, v2, v10
	s_delay_alu instid0(VALU_DEP_2) | instskip(NEXT) | instid1(VALU_DEP_3)
	v_dual_mul_f32 v12, v4, v12 :: v_dual_fmac_f32 v25, v2, v9
	v_fmac_f32_e32 v26, v4, v11
	s_delay_alu instid0(VALU_DEP_3) | instskip(NEXT) | instid1(VALU_DEP_3)
	v_fma_f32 v27, v1, v9, -v10
	v_fma_f32 v28, v3, v11, -v12
	s_clause 0x1
	scratch_load_b128 v[1:4], off, off offset:424
	scratch_load_b128 v[9:12], off, off offset:440
	v_add_f32_e32 v17, v17, v173
	s_delay_alu instid0(VALU_DEP_1) | instskip(NEXT) | instid1(VALU_DEP_1)
	v_add_f32_e32 v17, v17, v175
	v_add_f32_e32 v17, v17, v177
	s_delay_alu instid0(VALU_DEP_1) | instskip(NEXT) | instid1(VALU_DEP_1)
	v_add_f32_e32 v23, v17, v179
	;; [unrolled: 3-line block ×3, first 2 shown]
	v_add_f32_e32 v32, v32, v185
	s_delay_alu instid0(VALU_DEP_1) | instskip(NEXT) | instid1(VALU_DEP_1)
	v_dual_add_f32 v32, v32, v187 :: v_dual_add_f32 v13, v13, v168
	v_add_f32_e32 v32, v32, v189
	s_wait_loadcnt_dscnt 0x100
	s_delay_alu instid0(VALU_DEP_2) | instskip(SKIP_3) | instid1(VALU_DEP_4)
	v_dual_mul_f32 v152, v7, v4 :: v_dual_add_f32 v13, v13, v170
	v_mul_f32_e32 v151, v5, v2
	v_mul_f32_e32 v2, v6, v2
	;; [unrolled: 1-line block ×3, first 2 shown]
	v_dual_fmac_f32 v152, v8, v3 :: v_dual_add_f32 v13, v13, v172
	s_delay_alu instid0(VALU_DEP_4) | instskip(NEXT) | instid1(VALU_DEP_4)
	v_fmac_f32_e32 v151, v6, v1
	v_fma_f32 v2, v5, v1, -v2
	s_delay_alu instid0(VALU_DEP_4) | instskip(NEXT) | instid1(VALU_DEP_4)
	v_fma_f32 v3, v7, v3, -v4
	v_add_f32_e32 v18, v13, v174
	scratch_load_b128 v[13:16], off, off offset:456
	v_add_f32_e32 v18, v18, v176
	s_delay_alu instid0(VALU_DEP_1) | instskip(NEXT) | instid1(VALU_DEP_1)
	v_add_f32_e32 v18, v18, v178
	v_add_f32_e32 v22, v18, v180
	ds_load_2addr_b64 v[17:20], v21 offset0:115 offset1:116
	v_add_f32_e32 v29, v22, v182
	ds_load_2addr_b64 v[21:24], v21 offset0:117 offset1:118
	s_wait_loadcnt_dscnt 0x101
	v_dual_mul_f32 v154, v17, v10 :: v_dual_add_f32 v25, v32, v25
	v_mul_f32_e32 v6, v18, v10
	v_mul_f32_e32 v4, v20, v12
	s_delay_alu instid0(VALU_DEP_3) | instskip(NEXT) | instid1(VALU_DEP_4)
	v_dual_fmac_f32 v154, v18, v9 :: v_dual_add_f32 v29, v29, v184
	v_add_f32_e32 v5, v25, v26
	v_mul_f32_e32 v155, v19, v12
	s_delay_alu instid0(VALU_DEP_4) | instskip(SKIP_2) | instid1(VALU_DEP_1)
	v_fma_f32 v4, v19, v11, -v4
	s_wait_loadcnt_dscnt 0x0
	v_mul_f32_e32 v156, v21, v14
	v_dual_add_f32 v29, v29, v186 :: v_dual_fmac_f32 v156, v22, v13
	s_delay_alu instid0(VALU_DEP_1) | instskip(NEXT) | instid1(VALU_DEP_1)
	v_add_f32_e32 v29, v29, v188
	v_add_f32_e32 v29, v29, v190
	s_delay_alu instid0(VALU_DEP_1) | instskip(SKIP_1) | instid1(VALU_DEP_2)
	v_add_f32_e32 v27, v29, v27
	v_mul_f32_e32 v29, v23, v16
	v_add_f32_e32 v1, v27, v28
	s_delay_alu instid0(VALU_DEP_2) | instskip(NEXT) | instid1(VALU_DEP_2)
	v_fmac_f32_e32 v29, v24, v15
	v_add_f32_e32 v1, v1, v2
	v_add_f32_e32 v2, v5, v151
	v_fma_f32 v5, v17, v9, -v6
	v_fmac_f32_e32 v155, v20, v11
	s_delay_alu instid0(VALU_DEP_3) | instskip(SKIP_1) | instid1(VALU_DEP_2)
	v_dual_add_f32 v1, v1, v3 :: v_dual_add_f32 v2, v2, v152
	v_mul_f32_e32 v3, v22, v14
	v_dual_add_f32 v1, v1, v5 :: v_dual_add_f32 v2, v2, v154
	v_mul_f32_e32 v5, v24, v16
	s_delay_alu instid0(VALU_DEP_3) | instskip(NEXT) | instid1(VALU_DEP_3)
	v_fma_f32 v3, v21, v13, -v3
	v_dual_add_f32 v1, v1, v4 :: v_dual_add_f32 v2, v2, v155
	s_delay_alu instid0(VALU_DEP_3) | instskip(NEXT) | instid1(VALU_DEP_2)
	v_fma_f32 v4, v23, v15, -v5
	v_dual_add_f32 v1, v1, v3 :: v_dual_add_f32 v2, v2, v156
	s_delay_alu instid0(VALU_DEP_1) | instskip(NEXT) | instid1(VALU_DEP_1)
	v_dual_add_f32 v1, v1, v4 :: v_dual_add_f32 v2, v2, v29
	v_dual_sub_f32 v1, v30, v1 :: v_dual_sub_f32 v2, v31, v2
	scratch_store_b64 off, v[1:2], off offset:176
	v_cmpx_lt_u32_e32 21, v0
	s_cbranch_execz .LBB122_325
; %bb.324:
	scratch_load_b64 v[1:2], off, off offset:168
	v_mov_b32_e32 v3, 0
	s_delay_alu instid0(VALU_DEP_1)
	v_mov_b32_e32 v4, v3
	scratch_store_b64 off, v[3:4], off offset:168
	s_wait_loadcnt 0x0
	ds_store_b64 v153, v[1:2]
.LBB122_325:
	s_wait_alu 0xfffe
	s_or_b32 exec_lo, exec_lo, s0
	s_wait_storecnt_dscnt 0x0
	s_barrier_signal -1
	s_barrier_wait -1
	global_inv scope:SCOPE_SE
	s_clause 0x4
	scratch_load_b128 v[5:8], off, off offset:176
	scratch_load_b128 v[1:4], off, off offset:192
	;; [unrolled: 1-line block ×5, first 2 shown]
	v_mov_b32_e32 v21, 0
	ds_load_b128 v[22:25], v21 offset:656
	ds_load_b128 v[26:29], v21 offset:672
	;; [unrolled: 1-line block ×3, first 2 shown]
	scratch_load_b64 v[30:31], off, off offset:168
	s_mov_b32 s0, exec_lo
	s_wait_loadcnt_dscnt 0x502
	v_mul_f32_e32 v32, v23, v6
	v_dual_mul_f32 v151, v22, v6 :: v_dual_mul_f32 v152, v24, v8
	v_mul_f32_e32 v6, v25, v8
	s_wait_loadcnt_dscnt 0x300
	v_mul_f32_e32 v158, v156, v12
	v_fma_f32 v22, v22, v5, -v32
	v_dual_fmac_f32 v151, v23, v5 :: v_dual_fmac_f32 v152, v25, v7
	v_mul_f32_e32 v25, v28, v4
	v_fma_f32 v23, v24, v7, -v6
	ds_load_b128 v[5:8], v21 offset:704
	v_mul_f32_e32 v24, v26, v2
	v_mul_f32_e32 v4, v29, v4
	;; [unrolled: 1-line block ×5, first 2 shown]
	v_dual_mul_f32 v2, v27, v2 :: v_dual_fmac_f32 v25, v29, v3
	v_fmac_f32_e32 v24, v27, v1
	v_fma_f32 v27, v28, v3, -v4
	v_fmac_f32_e32 v32, v155, v9
	v_fma_f32 v28, v154, v9, -v10
	;; [unrolled: 2-line block ×3, first 2 shown]
	ds_load_b128 v[9:12], v21 offset:720
	s_wait_loadcnt_dscnt 0x201
	v_dual_mul_f32 v155, v7, v16 :: v_dual_mul_f32 v154, v5, v14
	v_mul_f32_e32 v14, v6, v14
	v_mul_f32_e32 v16, v8, v16
	s_delay_alu instid0(VALU_DEP_3)
	v_fmac_f32_e32 v155, v8, v15
	v_fma_f32 v26, v26, v1, -v2
	scratch_load_b128 v[1:4], off, off offset:256
	v_fmac_f32_e32 v154, v6, v13
	v_fma_f32 v13, v5, v13, -v14
	v_fma_f32 v14, v7, v15, -v16
	ds_load_b128 v[5:8], v21 offset:736
	s_wait_loadcnt_dscnt 0x201
	v_mul_f32_e32 v15, v9, v18
	v_mul_f32_e32 v16, v10, v18
	;; [unrolled: 1-line block ×3, first 2 shown]
	s_delay_alu instid0(VALU_DEP_3) | instskip(NEXT) | instid1(VALU_DEP_3)
	v_dual_mul_f32 v20, v12, v20 :: v_dual_fmac_f32 v15, v10, v17
	v_fma_f32 v16, v9, v17, -v16
	s_delay_alu instid0(VALU_DEP_3) | instskip(NEXT) | instid1(VALU_DEP_3)
	v_fmac_f32_e32 v18, v12, v19
	v_fma_f32 v17, v11, v19, -v20
	scratch_load_b128 v[9:12], off, off offset:272
	s_wait_loadcnt_dscnt 0x100
	v_mul_f32_e32 v19, v5, v2
	v_mul_f32_e32 v2, v6, v2
	;; [unrolled: 1-line block ×3, first 2 shown]
	s_delay_alu instid0(VALU_DEP_3) | instskip(NEXT) | instid1(VALU_DEP_3)
	v_dual_mul_f32 v4, v8, v4 :: v_dual_fmac_f32 v19, v6, v1
	v_fma_f32 v156, v5, v1, -v2
	s_delay_alu instid0(VALU_DEP_3) | instskip(NEXT) | instid1(VALU_DEP_3)
	v_fmac_f32_e32 v20, v8, v3
	v_fma_f32 v157, v7, v3, -v4
	ds_load_b128 v[1:4], v21 offset:752
	ds_load_b128 v[5:8], v21 offset:768
	s_wait_loadcnt_dscnt 0x1
	v_mul_f32_e32 v159, v1, v10
	v_mul_f32_e32 v10, v2, v10
	s_delay_alu instid0(VALU_DEP_2) | instskip(NEXT) | instid1(VALU_DEP_2)
	v_dual_mul_f32 v160, v3, v12 :: v_dual_fmac_f32 v159, v2, v9
	v_fma_f32 v161, v1, v9, -v10
	v_mul_f32_e32 v1, v4, v12
	s_delay_alu instid0(VALU_DEP_3) | instskip(NEXT) | instid1(VALU_DEP_2)
	v_fmac_f32_e32 v160, v4, v11
	v_fma_f32 v162, v3, v11, -v1
	s_clause 0x1
	scratch_load_b128 v[1:4], off, off offset:288
	scratch_load_b128 v[9:12], off, off offset:304
	s_wait_loadcnt_dscnt 0x100
	v_mul_f32_e32 v163, v5, v2
	v_dual_mul_f32 v2, v6, v2 :: v_dual_mul_f32 v165, v7, v4
	s_delay_alu instid0(VALU_DEP_2) | instskip(NEXT) | instid1(VALU_DEP_2)
	v_fmac_f32_e32 v163, v6, v1
	v_fma_f32 v164, v5, v1, -v2
	v_mul_f32_e32 v1, v8, v4
	s_delay_alu instid0(VALU_DEP_4) | instskip(NEXT) | instid1(VALU_DEP_2)
	v_fmac_f32_e32 v165, v8, v3
	v_fma_f32 v166, v7, v3, -v1
	ds_load_b128 v[1:4], v21 offset:784
	ds_load_b128 v[5:8], v21 offset:800
	s_wait_loadcnt_dscnt 0x1
	v_mul_f32_e32 v167, v1, v10
	v_mul_f32_e32 v169, v3, v12
	s_delay_alu instid0(VALU_DEP_2) | instskip(NEXT) | instid1(VALU_DEP_2)
	v_fmac_f32_e32 v167, v2, v9
	v_dual_mul_f32 v2, v2, v10 :: v_dual_fmac_f32 v169, v4, v11
	s_delay_alu instid0(VALU_DEP_1) | instskip(SKIP_1) | instid1(VALU_DEP_1)
	v_fma_f32 v168, v1, v9, -v2
	v_mul_f32_e32 v1, v4, v12
	v_fma_f32 v170, v3, v11, -v1
	s_clause 0x1
	scratch_load_b128 v[1:4], off, off offset:320
	scratch_load_b128 v[9:12], off, off offset:336
	s_wait_loadcnt_dscnt 0x100
	v_mul_f32_e32 v171, v5, v2
	v_dual_mul_f32 v2, v6, v2 :: v_dual_mul_f32 v173, v7, v4
	s_delay_alu instid0(VALU_DEP_2) | instskip(NEXT) | instid1(VALU_DEP_2)
	v_fmac_f32_e32 v171, v6, v1
	v_fma_f32 v172, v5, v1, -v2
	v_mul_f32_e32 v1, v8, v4
	s_delay_alu instid0(VALU_DEP_4) | instskip(NEXT) | instid1(VALU_DEP_2)
	v_fmac_f32_e32 v173, v8, v3
	v_fma_f32 v174, v7, v3, -v1
	ds_load_b128 v[1:4], v21 offset:816
	ds_load_b128 v[5:8], v21 offset:832
	s_wait_loadcnt_dscnt 0x1
	v_mul_f32_e32 v175, v1, v10
	v_mul_f32_e32 v177, v3, v12
	s_delay_alu instid0(VALU_DEP_2) | instskip(NEXT) | instid1(VALU_DEP_2)
	v_fmac_f32_e32 v175, v2, v9
	v_dual_mul_f32 v2, v2, v10 :: v_dual_fmac_f32 v177, v4, v11
	s_delay_alu instid0(VALU_DEP_1) | instskip(SKIP_1) | instid1(VALU_DEP_1)
	v_fma_f32 v176, v1, v9, -v2
	v_mul_f32_e32 v1, v4, v12
	;; [unrolled: 25-line block ×3, first 2 shown]
	v_fma_f32 v186, v3, v11, -v1
	s_clause 0x1
	scratch_load_b128 v[1:4], off, off offset:384
	scratch_load_b128 v[9:12], off, off offset:400
	s_wait_loadcnt_dscnt 0x100
	v_mul_f32_e32 v187, v5, v2
	v_mul_f32_e32 v2, v6, v2
	s_delay_alu instid0(VALU_DEP_1) | instskip(SKIP_1) | instid1(VALU_DEP_1)
	v_fma_f32 v188, v5, v1, -v2
	v_add_f32_e32 v2, 0, v151
	v_add_f32_e32 v2, v2, v152
	s_delay_alu instid0(VALU_DEP_1) | instskip(NEXT) | instid1(VALU_DEP_1)
	v_add_f32_e32 v2, v2, v24
	v_add_f32_e32 v2, v2, v25
	s_delay_alu instid0(VALU_DEP_1) | instskip(NEXT) | instid1(VALU_DEP_1)
	v_add_f32_e32 v2, v2, v32
	v_dual_add_f32 v2, v2, v158 :: v_dual_mul_f32 v189, v7, v4
	s_delay_alu instid0(VALU_DEP_1) | instskip(NEXT) | instid1(VALU_DEP_1)
	v_add_f32_e32 v2, v2, v154
	v_add_f32_e32 v2, v2, v155
	v_fmac_f32_e32 v187, v6, v1
	s_delay_alu instid0(VALU_DEP_2) | instskip(SKIP_1) | instid1(VALU_DEP_2)
	v_dual_mul_f32 v1, v8, v4 :: v_dual_add_f32 v2, v2, v15
	v_fmac_f32_e32 v189, v8, v3
	v_fma_f32 v190, v7, v3, -v1
	s_delay_alu instid0(VALU_DEP_3) | instskip(NEXT) | instid1(VALU_DEP_1)
	v_add_f32_e32 v2, v2, v18
	v_dual_add_f32 v1, 0, v22 :: v_dual_add_f32 v2, v2, v19
	s_delay_alu instid0(VALU_DEP_1) | instskip(NEXT) | instid1(VALU_DEP_1)
	v_dual_add_f32 v1, v1, v23 :: v_dual_add_f32 v2, v2, v20
	v_add_f32_e32 v1, v1, v26
	s_delay_alu instid0(VALU_DEP_2) | instskip(NEXT) | instid1(VALU_DEP_2)
	v_add_f32_e32 v5, v2, v159
	v_add_f32_e32 v1, v1, v27
	scratch_load_b64 v[26:27], off, off offset:464
	v_add_f32_e32 v5, v5, v160
	v_add_f32_e32 v1, v1, v28
	s_delay_alu instid0(VALU_DEP_2) | instskip(NEXT) | instid1(VALU_DEP_2)
	v_add_f32_e32 v5, v5, v163
	v_add_f32_e32 v1, v1, v29
	s_delay_alu instid0(VALU_DEP_1) | instskip(NEXT) | instid1(VALU_DEP_1)
	v_add_f32_e32 v1, v1, v13
	v_add_f32_e32 v1, v1, v14
	s_delay_alu instid0(VALU_DEP_4) | instskip(NEXT) | instid1(VALU_DEP_1)
	v_add_f32_e32 v14, v5, v165
	v_dual_add_f32 v14, v14, v167 :: v_dual_add_f32 v1, v1, v16
	s_delay_alu instid0(VALU_DEP_1) | instskip(NEXT) | instid1(VALU_DEP_2)
	v_add_f32_e32 v14, v14, v169
	v_add_f32_e32 v1, v1, v17
	s_delay_alu instid0(VALU_DEP_2) | instskip(NEXT) | instid1(VALU_DEP_2)
	v_add_f32_e32 v17, v14, v171
	v_add_f32_e32 v1, v1, v156
	s_delay_alu instid0(VALU_DEP_2) | instskip(NEXT) | instid1(VALU_DEP_2)
	;; [unrolled: 3-line block ×4, first 2 shown]
	v_add_f32_e32 v17, v17, v177
	v_add_f32_e32 v6, v1, v162
	ds_load_b128 v[1:4], v21 offset:880
	v_dual_add_f32 v17, v17, v179 :: v_dual_add_f32 v6, v6, v164
	s_delay_alu instid0(VALU_DEP_1)
	v_dual_add_f32 v22, v17, v181 :: v_dual_add_f32 v13, v6, v166
	ds_load_b128 v[5:8], v21 offset:896
	s_wait_loadcnt_dscnt 0x101
	v_mul_f32_e32 v32, v1, v10
	v_dual_mul_f32 v10, v2, v10 :: v_dual_mul_f32 v151, v3, v12
	v_dual_mul_f32 v12, v4, v12 :: v_dual_add_f32 v29, v22, v183
	s_delay_alu instid0(VALU_DEP_3) | instskip(NEXT) | instid1(VALU_DEP_3)
	v_fmac_f32_e32 v32, v2, v9
	v_fma_f32 v152, v1, v9, -v10
	s_delay_alu instid0(VALU_DEP_4) | instskip(NEXT) | instid1(VALU_DEP_4)
	v_fmac_f32_e32 v151, v4, v11
	v_fma_f32 v154, v3, v11, -v12
	s_clause 0x1
	scratch_load_b128 v[1:4], off, off offset:416
	scratch_load_b128 v[9:12], off, off offset:432
	v_add_f32_e32 v156, v29, v185
	v_add_f32_e32 v13, v13, v168
	ds_load_b128 v[22:25], v21 offset:928
	v_dual_add_f32 v156, v156, v187 :: v_dual_add_f32 v13, v13, v170
	s_delay_alu instid0(VALU_DEP_1) | instskip(NEXT) | instid1(VALU_DEP_1)
	v_add_f32_e32 v156, v156, v189
	v_add_f32_e32 v32, v156, v32
	s_delay_alu instid0(VALU_DEP_1) | instskip(SKIP_4) | instid1(VALU_DEP_3)
	v_add_f32_e32 v32, v32, v151
	s_wait_loadcnt_dscnt 0x101
	v_mul_f32_e32 v158, v7, v4
	v_add_f32_e32 v13, v13, v172
	v_mul_f32_e32 v4, v8, v4
	v_fmac_f32_e32 v158, v8, v3
	s_delay_alu instid0(VALU_DEP_3) | instskip(SKIP_2) | instid1(VALU_DEP_1)
	v_add_f32_e32 v18, v13, v174
	scratch_load_b128 v[13:16], off, off offset:448
	v_add_f32_e32 v18, v18, v176
	v_add_f32_e32 v18, v18, v178
	s_delay_alu instid0(VALU_DEP_1) | instskip(NEXT) | instid1(VALU_DEP_1)
	v_add_f32_e32 v18, v18, v180
	v_add_f32_e32 v18, v18, v182
	s_delay_alu instid0(VALU_DEP_1) | instskip(SKIP_4) | instid1(VALU_DEP_2)
	v_add_f32_e32 v28, v18, v184
	ds_load_b128 v[17:20], v21 offset:912
	s_wait_loadcnt_dscnt 0x100
	v_dual_mul_f32 v156, v19, v12 :: v_dual_mul_f32 v157, v5, v2
	v_mul_f32_e32 v2, v6, v2
	v_fmac_f32_e32 v156, v20, v11
	v_add_f32_e32 v155, v28, v186
	s_delay_alu instid0(VALU_DEP_4) | instskip(NEXT) | instid1(VALU_DEP_4)
	v_fmac_f32_e32 v157, v6, v1
	v_fma_f32 v2, v5, v1, -v2
	v_fma_f32 v1, v7, v3, -v4
	ds_load_b64 v[28:29], v21 offset:944
	v_dual_add_f32 v155, v155, v188 :: v_dual_add_f32 v4, v32, v157
	v_mul_f32_e32 v3, v18, v10
	s_delay_alu instid0(VALU_DEP_2) | instskip(NEXT) | instid1(VALU_DEP_2)
	v_add_f32_e32 v155, v155, v190
	v_fma_f32 v3, v17, v9, -v3
	s_delay_alu instid0(VALU_DEP_2) | instskip(NEXT) | instid1(VALU_DEP_1)
	v_add_f32_e32 v152, v155, v152
	v_add_f32_e32 v152, v152, v154
	s_wait_dscnt 0x0
	v_mul_f32_e32 v151, v28, v27
	s_delay_alu instid0(VALU_DEP_2) | instskip(NEXT) | instid1(VALU_DEP_1)
	v_add_f32_e32 v2, v152, v2
	v_dual_add_f32 v1, v2, v1 :: v_dual_add_f32 v2, v4, v158
	s_wait_loadcnt 0x0
	v_dual_mul_f32 v154, v24, v16 :: v_dual_mul_f32 v159, v22, v14
	v_mul_f32_e32 v4, v23, v14
	v_fmac_f32_e32 v151, v29, v26
	s_delay_alu instid0(VALU_DEP_3) | instskip(SKIP_1) | instid1(VALU_DEP_4)
	v_dual_fmac_f32 v154, v25, v15 :: v_dual_fmac_f32 v159, v23, v13
	v_mul_f32_e32 v155, v17, v10
	v_fma_f32 v4, v22, v13, -v4
	s_delay_alu instid0(VALU_DEP_2) | instskip(NEXT) | instid1(VALU_DEP_1)
	v_fmac_f32_e32 v155, v18, v9
	v_dual_mul_f32 v5, v20, v12 :: v_dual_add_f32 v2, v2, v155
	s_delay_alu instid0(VALU_DEP_1) | instskip(NEXT) | instid1(VALU_DEP_2)
	v_fma_f32 v5, v19, v11, -v5
	v_add_f32_e32 v2, v2, v156
	s_delay_alu instid0(VALU_DEP_1) | instskip(NEXT) | instid1(VALU_DEP_1)
	v_add_f32_e32 v2, v2, v159
	v_dual_add_f32 v1, v1, v3 :: v_dual_add_f32 v2, v2, v154
	v_mul_f32_e32 v3, v25, v16
	s_delay_alu instid0(VALU_DEP_2) | instskip(SKIP_1) | instid1(VALU_DEP_4)
	v_add_f32_e32 v1, v1, v5
	v_mul_f32_e32 v5, v29, v27
	v_add_f32_e32 v2, v2, v151
	s_delay_alu instid0(VALU_DEP_4) | instskip(NEXT) | instid1(VALU_DEP_4)
	v_fma_f32 v3, v24, v15, -v3
	v_add_f32_e32 v1, v1, v4
	s_delay_alu instid0(VALU_DEP_4) | instskip(NEXT) | instid1(VALU_DEP_2)
	v_fma_f32 v4, v28, v26, -v5
	v_dual_sub_f32 v2, v31, v2 :: v_dual_add_f32 v1, v1, v3
	s_delay_alu instid0(VALU_DEP_1) | instskip(NEXT) | instid1(VALU_DEP_1)
	v_add_f32_e32 v1, v1, v4
	v_sub_f32_e32 v1, v30, v1
	scratch_store_b64 off, v[1:2], off offset:168
	v_cmpx_lt_u32_e32 20, v0
	s_cbranch_execz .LBB122_327
; %bb.326:
	scratch_load_b64 v[1:2], off, off offset:160
	v_mov_b32_e32 v22, v21
	scratch_store_b64 off, v[21:22], off offset:160
	s_wait_loadcnt 0x0
	ds_store_b64 v153, v[1:2]
.LBB122_327:
	s_wait_alu 0xfffe
	s_or_b32 exec_lo, exec_lo, s0
	s_wait_storecnt_dscnt 0x0
	s_barrier_signal -1
	s_barrier_wait -1
	global_inv scope:SCOPE_SE
	s_clause 0x4
	scratch_load_b128 v[5:8], off, off offset:168
	scratch_load_b128 v[1:4], off, off offset:184
	;; [unrolled: 1-line block ×5, first 2 shown]
	ds_load_2addr_b64 v[22:25], v21 offset0:81 offset1:82
	ds_load_2addr_b64 v[26:29], v21 offset0:83 offset1:84
	ds_load_2addr_b64 v[154:157], v21 offset0:85 offset1:86
	scratch_load_b64 v[30:31], off, off offset:160
	s_mov_b32 s0, exec_lo
	s_wait_loadcnt_dscnt 0x502
	v_mul_f32_e32 v32, v23, v6
	v_dual_mul_f32 v151, v22, v6 :: v_dual_mul_f32 v152, v24, v8
	v_mul_f32_e32 v6, v25, v8
	s_wait_loadcnt_dscnt 0x300
	v_mul_f32_e32 v158, v156, v12
	s_delay_alu instid0(VALU_DEP_3)
	v_dual_mul_f32 v12, v157, v12 :: v_dual_fmac_f32 v151, v23, v5
	v_fmac_f32_e32 v152, v25, v7
	v_fma_f32 v23, v24, v7, -v6
	v_mul_f32_e32 v25, v28, v4
	v_fma_f32 v22, v22, v5, -v32
	ds_load_2addr_b64 v[5:8], v21 offset0:87 offset1:88
	v_mul_f32_e32 v24, v26, v2
	v_mul_f32_e32 v4, v29, v4
	;; [unrolled: 1-line block ×4, first 2 shown]
	v_dual_mul_f32 v2, v27, v2 :: v_dual_fmac_f32 v25, v29, v3
	v_fmac_f32_e32 v24, v27, v1
	v_fma_f32 v27, v28, v3, -v4
	v_fmac_f32_e32 v32, v155, v9
	v_fma_f32 v28, v154, v9, -v10
	;; [unrolled: 2-line block ×3, first 2 shown]
	ds_load_2addr_b64 v[9:12], v21 offset0:89 offset1:90
	s_wait_loadcnt_dscnt 0x201
	v_dual_mul_f32 v155, v7, v16 :: v_dual_mul_f32 v154, v5, v14
	v_mul_f32_e32 v14, v6, v14
	v_mul_f32_e32 v16, v8, v16
	s_delay_alu instid0(VALU_DEP_3)
	v_fmac_f32_e32 v155, v8, v15
	v_fma_f32 v26, v26, v1, -v2
	scratch_load_b128 v[1:4], off, off offset:248
	v_fmac_f32_e32 v154, v6, v13
	v_fma_f32 v13, v5, v13, -v14
	v_fma_f32 v14, v7, v15, -v16
	ds_load_2addr_b64 v[5:8], v21 offset0:91 offset1:92
	s_wait_loadcnt_dscnt 0x201
	v_mul_f32_e32 v15, v9, v18
	v_mul_f32_e32 v16, v10, v18
	;; [unrolled: 1-line block ×3, first 2 shown]
	s_delay_alu instid0(VALU_DEP_3) | instskip(NEXT) | instid1(VALU_DEP_3)
	v_dual_mul_f32 v20, v12, v20 :: v_dual_fmac_f32 v15, v10, v17
	v_fma_f32 v16, v9, v17, -v16
	s_delay_alu instid0(VALU_DEP_3) | instskip(NEXT) | instid1(VALU_DEP_3)
	v_fmac_f32_e32 v18, v12, v19
	v_fma_f32 v17, v11, v19, -v20
	scratch_load_b128 v[9:12], off, off offset:264
	s_wait_loadcnt_dscnt 0x100
	v_mul_f32_e32 v19, v5, v2
	v_mul_f32_e32 v2, v6, v2
	;; [unrolled: 1-line block ×3, first 2 shown]
	s_delay_alu instid0(VALU_DEP_3) | instskip(NEXT) | instid1(VALU_DEP_3)
	v_dual_mul_f32 v4, v8, v4 :: v_dual_fmac_f32 v19, v6, v1
	v_fma_f32 v156, v5, v1, -v2
	s_delay_alu instid0(VALU_DEP_3) | instskip(NEXT) | instid1(VALU_DEP_3)
	v_fmac_f32_e32 v20, v8, v3
	v_fma_f32 v157, v7, v3, -v4
	ds_load_2addr_b64 v[1:4], v21 offset0:93 offset1:94
	ds_load_2addr_b64 v[5:8], v21 offset0:95 offset1:96
	s_wait_loadcnt_dscnt 0x1
	v_mul_f32_e32 v159, v1, v10
	v_mul_f32_e32 v10, v2, v10
	s_delay_alu instid0(VALU_DEP_2) | instskip(NEXT) | instid1(VALU_DEP_2)
	v_dual_mul_f32 v160, v3, v12 :: v_dual_fmac_f32 v159, v2, v9
	v_fma_f32 v161, v1, v9, -v10
	v_mul_f32_e32 v1, v4, v12
	s_delay_alu instid0(VALU_DEP_3) | instskip(NEXT) | instid1(VALU_DEP_2)
	v_fmac_f32_e32 v160, v4, v11
	v_fma_f32 v162, v3, v11, -v1
	s_clause 0x1
	scratch_load_b128 v[1:4], off, off offset:280
	scratch_load_b128 v[9:12], off, off offset:296
	s_wait_loadcnt_dscnt 0x100
	v_mul_f32_e32 v163, v5, v2
	v_dual_mul_f32 v2, v6, v2 :: v_dual_mul_f32 v165, v7, v4
	s_delay_alu instid0(VALU_DEP_2) | instskip(NEXT) | instid1(VALU_DEP_2)
	v_fmac_f32_e32 v163, v6, v1
	v_fma_f32 v164, v5, v1, -v2
	v_mul_f32_e32 v1, v8, v4
	s_delay_alu instid0(VALU_DEP_4) | instskip(NEXT) | instid1(VALU_DEP_2)
	v_fmac_f32_e32 v165, v8, v3
	v_fma_f32 v166, v7, v3, -v1
	ds_load_2addr_b64 v[1:4], v21 offset0:97 offset1:98
	ds_load_2addr_b64 v[5:8], v21 offset0:99 offset1:100
	s_wait_loadcnt_dscnt 0x1
	v_mul_f32_e32 v167, v1, v10
	v_mul_f32_e32 v169, v3, v12
	s_delay_alu instid0(VALU_DEP_2) | instskip(NEXT) | instid1(VALU_DEP_2)
	v_fmac_f32_e32 v167, v2, v9
	v_dual_mul_f32 v2, v2, v10 :: v_dual_fmac_f32 v169, v4, v11
	s_delay_alu instid0(VALU_DEP_1) | instskip(SKIP_1) | instid1(VALU_DEP_1)
	v_fma_f32 v168, v1, v9, -v2
	v_mul_f32_e32 v1, v4, v12
	v_fma_f32 v170, v3, v11, -v1
	s_clause 0x1
	scratch_load_b128 v[1:4], off, off offset:312
	scratch_load_b128 v[9:12], off, off offset:328
	s_wait_loadcnt_dscnt 0x100
	v_mul_f32_e32 v171, v5, v2
	v_dual_mul_f32 v2, v6, v2 :: v_dual_mul_f32 v173, v7, v4
	s_delay_alu instid0(VALU_DEP_2) | instskip(NEXT) | instid1(VALU_DEP_2)
	v_fmac_f32_e32 v171, v6, v1
	v_fma_f32 v172, v5, v1, -v2
	v_mul_f32_e32 v1, v8, v4
	s_delay_alu instid0(VALU_DEP_4) | instskip(NEXT) | instid1(VALU_DEP_2)
	v_fmac_f32_e32 v173, v8, v3
	v_fma_f32 v174, v7, v3, -v1
	ds_load_2addr_b64 v[1:4], v21 offset0:101 offset1:102
	ds_load_2addr_b64 v[5:8], v21 offset0:103 offset1:104
	s_wait_loadcnt_dscnt 0x1
	v_mul_f32_e32 v175, v1, v10
	v_mul_f32_e32 v177, v3, v12
	s_delay_alu instid0(VALU_DEP_2) | instskip(NEXT) | instid1(VALU_DEP_2)
	v_fmac_f32_e32 v175, v2, v9
	v_dual_mul_f32 v2, v2, v10 :: v_dual_fmac_f32 v177, v4, v11
	s_delay_alu instid0(VALU_DEP_1) | instskip(SKIP_1) | instid1(VALU_DEP_1)
	v_fma_f32 v176, v1, v9, -v2
	v_mul_f32_e32 v1, v4, v12
	;; [unrolled: 25-line block ×3, first 2 shown]
	v_fma_f32 v186, v3, v11, -v1
	s_clause 0x1
	scratch_load_b128 v[1:4], off, off offset:376
	scratch_load_b128 v[9:12], off, off offset:392
	s_wait_loadcnt_dscnt 0x100
	v_mul_f32_e32 v187, v5, v2
	v_mul_f32_e32 v2, v6, v2
	s_delay_alu instid0(VALU_DEP_1) | instskip(SKIP_1) | instid1(VALU_DEP_1)
	v_fma_f32 v188, v5, v1, -v2
	v_add_f32_e32 v2, 0, v151
	v_add_f32_e32 v2, v2, v152
	s_delay_alu instid0(VALU_DEP_1) | instskip(NEXT) | instid1(VALU_DEP_1)
	v_add_f32_e32 v2, v2, v24
	v_add_f32_e32 v2, v2, v25
	s_delay_alu instid0(VALU_DEP_1) | instskip(SKIP_1) | instid1(VALU_DEP_2)
	v_add_f32_e32 v2, v2, v32
	v_fmac_f32_e32 v187, v6, v1
	v_dual_add_f32 v2, v2, v158 :: v_dual_mul_f32 v189, v7, v4
	s_delay_alu instid0(VALU_DEP_1) | instskip(NEXT) | instid1(VALU_DEP_1)
	v_dual_add_f32 v2, v2, v154 :: v_dual_mul_f32 v1, v8, v4
	v_add_f32_e32 v2, v2, v155
	s_delay_alu instid0(VALU_DEP_2) | instskip(NEXT) | instid1(VALU_DEP_2)
	v_fma_f32 v190, v7, v3, -v1
	v_dual_add_f32 v1, 0, v22 :: v_dual_add_f32 v2, v2, v15
	s_delay_alu instid0(VALU_DEP_1) | instskip(NEXT) | instid1(VALU_DEP_1)
	v_dual_fmac_f32 v189, v8, v3 :: v_dual_add_f32 v2, v2, v18
	v_add_f32_e32 v2, v2, v19
	s_delay_alu instid0(VALU_DEP_1) | instskip(NEXT) | instid1(VALU_DEP_1)
	v_dual_add_f32 v1, v1, v23 :: v_dual_add_f32 v2, v2, v20
	v_dual_add_f32 v1, v1, v26 :: v_dual_add_f32 v2, v2, v159
	s_delay_alu instid0(VALU_DEP_1) | instskip(NEXT) | instid1(VALU_DEP_2)
	v_add_f32_e32 v1, v1, v27
	v_add_f32_e32 v5, v2, v160
	s_delay_alu instid0(VALU_DEP_2) | instskip(NEXT) | instid1(VALU_DEP_1)
	v_add_f32_e32 v1, v1, v28
	v_add_f32_e32 v1, v1, v29
	s_delay_alu instid0(VALU_DEP_1) | instskip(NEXT) | instid1(VALU_DEP_4)
	v_add_f32_e32 v1, v1, v13
	v_add_f32_e32 v13, v5, v163
	s_delay_alu instid0(VALU_DEP_1) | instskip(NEXT) | instid1(VALU_DEP_1)
	v_add_f32_e32 v13, v13, v165
	v_add_f32_e32 v13, v13, v167
	s_delay_alu instid0(VALU_DEP_1) | instskip(NEXT) | instid1(VALU_DEP_1)
	v_add_f32_e32 v18, v13, v169
	v_dual_add_f32 v18, v18, v171 :: v_dual_add_f32 v1, v1, v14
	s_delay_alu instid0(VALU_DEP_1) | instskip(NEXT) | instid1(VALU_DEP_1)
	v_dual_add_f32 v18, v18, v173 :: v_dual_add_f32 v1, v1, v16
	v_dual_add_f32 v22, v18, v175 :: v_dual_add_f32 v1, v1, v17
	s_delay_alu instid0(VALU_DEP_1) | instskip(NEXT) | instid1(VALU_DEP_1)
	v_dual_add_f32 v22, v22, v177 :: v_dual_add_f32 v1, v1, v156
	v_add_f32_e32 v1, v1, v157
	s_delay_alu instid0(VALU_DEP_1) | instskip(NEXT) | instid1(VALU_DEP_1)
	v_add_f32_e32 v1, v1, v161
	v_add_f32_e32 v1, v1, v162
	s_delay_alu instid0(VALU_DEP_1)
	v_add_f32_e32 v6, v1, v164
	ds_load_2addr_b64 v[1:4], v21 offset0:109 offset1:110
	v_add_f32_e32 v22, v22, v179
	v_add_f32_e32 v14, v6, v166
	scratch_load_b128 v[5:8], off, off offset:408
	v_add_f32_e32 v14, v14, v168
	s_delay_alu instid0(VALU_DEP_1)
	v_add_f32_e32 v17, v14, v170
	ds_load_2addr_b64 v[13:16], v21 offset0:111 offset1:112
	s_wait_loadcnt_dscnt 0x101
	v_mul_f32_e32 v25, v1, v10
	v_mul_f32_e32 v10, v2, v10
	;; [unrolled: 1-line block ×3, first 2 shown]
	s_delay_alu instid0(VALU_DEP_3) | instskip(NEXT) | instid1(VALU_DEP_3)
	v_dual_mul_f32 v12, v4, v12 :: v_dual_fmac_f32 v25, v2, v9
	v_fma_f32 v27, v1, v9, -v10
	s_delay_alu instid0(VALU_DEP_3) | instskip(NEXT) | instid1(VALU_DEP_3)
	v_fmac_f32_e32 v26, v4, v11
	v_fma_f32 v28, v3, v11, -v12
	s_clause 0x1
	scratch_load_b128 v[1:4], off, off offset:424
	scratch_load_b128 v[9:12], off, off offset:440
	s_wait_loadcnt_dscnt 0x200
	v_dual_mul_f32 v32, v15, v8 :: v_dual_mul_f32 v29, v13, v6
	v_mul_f32_e32 v6, v14, v6
	v_mul_f32_e32 v8, v16, v8
	s_delay_alu instid0(VALU_DEP_3) | instskip(NEXT) | instid1(VALU_DEP_4)
	v_dual_fmac_f32 v32, v16, v7 :: v_dual_add_f32 v17, v17, v172
	v_fmac_f32_e32 v29, v14, v5
	s_delay_alu instid0(VALU_DEP_4) | instskip(NEXT) | instid1(VALU_DEP_4)
	v_fma_f32 v151, v13, v5, -v6
	v_fma_f32 v152, v15, v7, -v8
	ds_load_2addr_b64 v[5:8], v21 offset0:113 offset1:114
	v_add_f32_e32 v17, v17, v174
	v_add_f32_e32 v13, v22, v181
	s_delay_alu instid0(VALU_DEP_2) | instskip(NEXT) | instid1(VALU_DEP_1)
	v_add_f32_e32 v17, v17, v176
	v_add_f32_e32 v23, v17, v178
	scratch_load_b128 v[17:20], off, off offset:456
	v_add_f32_e32 v23, v23, v180
	s_delay_alu instid0(VALU_DEP_1) | instskip(NEXT) | instid1(VALU_DEP_1)
	v_add_f32_e32 v23, v23, v182
	v_dual_add_f32 v22, v23, v184 :: v_dual_add_f32 v23, v13, v183
	ds_load_2addr_b64 v[13:16], v21 offset0:115 offset1:116
	s_wait_loadcnt_dscnt 0x201
	v_mul_f32_e32 v156, v5, v2
	v_mul_f32_e32 v2, v6, v2
	v_dual_add_f32 v154, v22, v186 :: v_dual_add_f32 v155, v23, v185
	ds_load_2addr_b64 v[21:24], v21 offset0:117 offset1:118
	v_fmac_f32_e32 v156, v6, v1
	v_fma_f32 v2, v5, v1, -v2
	v_add_f32_e32 v154, v154, v188
	s_delay_alu instid0(VALU_DEP_1) | instskip(NEXT) | instid1(VALU_DEP_1)
	v_add_f32_e32 v154, v154, v190
	v_dual_add_f32 v27, v154, v27 :: v_dual_mul_f32 v154, v7, v4
	v_mul_f32_e32 v4, v8, v4
	s_wait_loadcnt_dscnt 0x101
	v_dual_mul_f32 v6, v14, v10 :: v_dual_add_f32 v155, v155, v187
	s_delay_alu instid0(VALU_DEP_3) | instskip(NEXT) | instid1(VALU_DEP_3)
	v_dual_add_f32 v27, v27, v28 :: v_dual_fmac_f32 v154, v8, v3
	v_fma_f32 v3, v7, v3, -v4
	s_delay_alu instid0(VALU_DEP_3) | instskip(NEXT) | instid1(VALU_DEP_1)
	v_dual_mul_f32 v4, v16, v12 :: v_dual_add_f32 v155, v155, v189
	v_fma_f32 v4, v15, v11, -v4
	s_delay_alu instid0(VALU_DEP_2) | instskip(SKIP_2) | instid1(VALU_DEP_1)
	v_add_f32_e32 v25, v155, v25
	s_wait_loadcnt_dscnt 0x0
	v_mul_f32_e32 v28, v23, v20
	v_dual_mul_f32 v157, v15, v12 :: v_dual_fmac_f32 v28, v24, v19
	s_delay_alu instid0(VALU_DEP_3) | instskip(SKIP_2) | instid1(VALU_DEP_4)
	v_add_f32_e32 v25, v25, v26
	v_mul_f32_e32 v26, v21, v18
	v_mul_f32_e32 v155, v13, v10
	v_fmac_f32_e32 v157, v16, v11
	s_delay_alu instid0(VALU_DEP_4) | instskip(NEXT) | instid1(VALU_DEP_4)
	v_add_f32_e32 v25, v25, v29
	v_dual_fmac_f32 v26, v22, v17 :: v_dual_add_f32 v27, v27, v151
	s_delay_alu instid0(VALU_DEP_4) | instskip(NEXT) | instid1(VALU_DEP_3)
	v_fmac_f32_e32 v155, v14, v9
	v_add_f32_e32 v5, v25, v32
	s_delay_alu instid0(VALU_DEP_3) | instskip(NEXT) | instid1(VALU_DEP_1)
	v_add_f32_e32 v1, v27, v152
	v_add_f32_e32 v1, v1, v2
	s_delay_alu instid0(VALU_DEP_3) | instskip(SKIP_1) | instid1(VALU_DEP_2)
	v_add_f32_e32 v2, v5, v156
	v_fma_f32 v5, v13, v9, -v6
	v_dual_add_f32 v1, v1, v3 :: v_dual_add_f32 v2, v2, v154
	v_mul_f32_e32 v3, v22, v18
	s_delay_alu instid0(VALU_DEP_2) | instskip(SKIP_1) | instid1(VALU_DEP_3)
	v_dual_add_f32 v1, v1, v5 :: v_dual_add_f32 v2, v2, v155
	v_mul_f32_e32 v5, v24, v20
	v_fma_f32 v3, v21, v17, -v3
	s_delay_alu instid0(VALU_DEP_3) | instskip(NEXT) | instid1(VALU_DEP_3)
	v_dual_add_f32 v1, v1, v4 :: v_dual_add_f32 v2, v2, v157
	v_fma_f32 v4, v23, v19, -v5
	s_delay_alu instid0(VALU_DEP_2) | instskip(NEXT) | instid1(VALU_DEP_1)
	v_dual_add_f32 v1, v1, v3 :: v_dual_add_f32 v2, v2, v26
	v_add_f32_e32 v1, v1, v4
	s_delay_alu instid0(VALU_DEP_2) | instskip(NEXT) | instid1(VALU_DEP_1)
	v_add_f32_e32 v2, v2, v28
	v_dual_sub_f32 v1, v30, v1 :: v_dual_sub_f32 v2, v31, v2
	scratch_store_b64 off, v[1:2], off offset:160
	v_cmpx_lt_u32_e32 19, v0
	s_cbranch_execz .LBB122_329
; %bb.328:
	scratch_load_b64 v[1:2], off, off offset:152
	v_mov_b32_e32 v3, 0
	s_delay_alu instid0(VALU_DEP_1)
	v_mov_b32_e32 v4, v3
	scratch_store_b64 off, v[3:4], off offset:152
	s_wait_loadcnt 0x0
	ds_store_b64 v153, v[1:2]
.LBB122_329:
	s_wait_alu 0xfffe
	s_or_b32 exec_lo, exec_lo, s0
	s_wait_storecnt_dscnt 0x0
	s_barrier_signal -1
	s_barrier_wait -1
	global_inv scope:SCOPE_SE
	s_clause 0x4
	scratch_load_b128 v[5:8], off, off offset:160
	scratch_load_b128 v[1:4], off, off offset:176
	;; [unrolled: 1-line block ×5, first 2 shown]
	v_mov_b32_e32 v21, 0
	ds_load_b128 v[22:25], v21 offset:640
	ds_load_b128 v[26:29], v21 offset:656
	;; [unrolled: 1-line block ×3, first 2 shown]
	scratch_load_b64 v[30:31], off, off offset:152
	s_mov_b32 s0, exec_lo
	s_wait_loadcnt_dscnt 0x502
	v_mul_f32_e32 v32, v23, v6
	v_dual_mul_f32 v151, v22, v6 :: v_dual_mul_f32 v152, v24, v8
	v_mul_f32_e32 v6, v25, v8
	s_wait_loadcnt_dscnt 0x300
	v_mul_f32_e32 v158, v156, v12
	v_fma_f32 v22, v22, v5, -v32
	v_dual_fmac_f32 v151, v23, v5 :: v_dual_fmac_f32 v152, v25, v7
	v_mul_f32_e32 v25, v28, v4
	v_fma_f32 v23, v24, v7, -v6
	ds_load_b128 v[5:8], v21 offset:688
	v_mul_f32_e32 v24, v26, v2
	v_mul_f32_e32 v4, v29, v4
	;; [unrolled: 1-line block ×5, first 2 shown]
	v_dual_mul_f32 v2, v27, v2 :: v_dual_fmac_f32 v25, v29, v3
	v_fmac_f32_e32 v24, v27, v1
	v_fma_f32 v27, v28, v3, -v4
	v_fmac_f32_e32 v32, v155, v9
	v_fma_f32 v28, v154, v9, -v10
	;; [unrolled: 2-line block ×3, first 2 shown]
	ds_load_b128 v[9:12], v21 offset:704
	s_wait_loadcnt_dscnt 0x201
	v_dual_mul_f32 v155, v7, v16 :: v_dual_mul_f32 v154, v5, v14
	v_mul_f32_e32 v14, v6, v14
	v_mul_f32_e32 v16, v8, v16
	s_delay_alu instid0(VALU_DEP_3)
	v_fmac_f32_e32 v155, v8, v15
	v_fma_f32 v26, v26, v1, -v2
	scratch_load_b128 v[1:4], off, off offset:240
	v_fmac_f32_e32 v154, v6, v13
	v_fma_f32 v13, v5, v13, -v14
	v_fma_f32 v14, v7, v15, -v16
	ds_load_b128 v[5:8], v21 offset:720
	s_wait_loadcnt_dscnt 0x201
	v_mul_f32_e32 v15, v9, v18
	v_mul_f32_e32 v16, v10, v18
	;; [unrolled: 1-line block ×3, first 2 shown]
	s_delay_alu instid0(VALU_DEP_3) | instskip(NEXT) | instid1(VALU_DEP_3)
	v_dual_mul_f32 v20, v12, v20 :: v_dual_fmac_f32 v15, v10, v17
	v_fma_f32 v16, v9, v17, -v16
	s_delay_alu instid0(VALU_DEP_3) | instskip(NEXT) | instid1(VALU_DEP_3)
	v_fmac_f32_e32 v18, v12, v19
	v_fma_f32 v17, v11, v19, -v20
	scratch_load_b128 v[9:12], off, off offset:256
	s_wait_loadcnt_dscnt 0x100
	v_mul_f32_e32 v19, v5, v2
	v_mul_f32_e32 v2, v6, v2
	;; [unrolled: 1-line block ×3, first 2 shown]
	s_delay_alu instid0(VALU_DEP_3) | instskip(NEXT) | instid1(VALU_DEP_3)
	v_dual_mul_f32 v4, v8, v4 :: v_dual_fmac_f32 v19, v6, v1
	v_fma_f32 v156, v5, v1, -v2
	s_delay_alu instid0(VALU_DEP_3) | instskip(NEXT) | instid1(VALU_DEP_3)
	v_fmac_f32_e32 v20, v8, v3
	v_fma_f32 v157, v7, v3, -v4
	ds_load_b128 v[1:4], v21 offset:736
	ds_load_b128 v[5:8], v21 offset:752
	s_wait_loadcnt_dscnt 0x1
	v_mul_f32_e32 v159, v1, v10
	v_mul_f32_e32 v10, v2, v10
	s_delay_alu instid0(VALU_DEP_2) | instskip(NEXT) | instid1(VALU_DEP_2)
	v_dual_mul_f32 v160, v3, v12 :: v_dual_fmac_f32 v159, v2, v9
	v_fma_f32 v161, v1, v9, -v10
	v_mul_f32_e32 v1, v4, v12
	s_delay_alu instid0(VALU_DEP_3) | instskip(NEXT) | instid1(VALU_DEP_2)
	v_fmac_f32_e32 v160, v4, v11
	v_fma_f32 v162, v3, v11, -v1
	s_clause 0x1
	scratch_load_b128 v[1:4], off, off offset:272
	scratch_load_b128 v[9:12], off, off offset:288
	s_wait_loadcnt_dscnt 0x100
	v_mul_f32_e32 v163, v5, v2
	v_dual_mul_f32 v2, v6, v2 :: v_dual_mul_f32 v165, v7, v4
	s_delay_alu instid0(VALU_DEP_2) | instskip(NEXT) | instid1(VALU_DEP_2)
	v_fmac_f32_e32 v163, v6, v1
	v_fma_f32 v164, v5, v1, -v2
	v_mul_f32_e32 v1, v8, v4
	s_delay_alu instid0(VALU_DEP_4) | instskip(NEXT) | instid1(VALU_DEP_2)
	v_fmac_f32_e32 v165, v8, v3
	v_fma_f32 v166, v7, v3, -v1
	ds_load_b128 v[1:4], v21 offset:768
	ds_load_b128 v[5:8], v21 offset:784
	s_wait_loadcnt_dscnt 0x1
	v_mul_f32_e32 v167, v1, v10
	v_mul_f32_e32 v169, v3, v12
	s_delay_alu instid0(VALU_DEP_2) | instskip(NEXT) | instid1(VALU_DEP_2)
	v_fmac_f32_e32 v167, v2, v9
	v_dual_mul_f32 v2, v2, v10 :: v_dual_fmac_f32 v169, v4, v11
	s_delay_alu instid0(VALU_DEP_1) | instskip(SKIP_1) | instid1(VALU_DEP_1)
	v_fma_f32 v168, v1, v9, -v2
	v_mul_f32_e32 v1, v4, v12
	v_fma_f32 v170, v3, v11, -v1
	s_clause 0x1
	scratch_load_b128 v[1:4], off, off offset:304
	scratch_load_b128 v[9:12], off, off offset:320
	s_wait_loadcnt_dscnt 0x100
	v_mul_f32_e32 v171, v5, v2
	v_dual_mul_f32 v2, v6, v2 :: v_dual_mul_f32 v173, v7, v4
	s_delay_alu instid0(VALU_DEP_2) | instskip(NEXT) | instid1(VALU_DEP_2)
	v_fmac_f32_e32 v171, v6, v1
	v_fma_f32 v172, v5, v1, -v2
	v_mul_f32_e32 v1, v8, v4
	s_delay_alu instid0(VALU_DEP_4) | instskip(NEXT) | instid1(VALU_DEP_2)
	v_fmac_f32_e32 v173, v8, v3
	v_fma_f32 v174, v7, v3, -v1
	ds_load_b128 v[1:4], v21 offset:800
	ds_load_b128 v[5:8], v21 offset:816
	s_wait_loadcnt_dscnt 0x1
	v_mul_f32_e32 v175, v1, v10
	v_mul_f32_e32 v177, v3, v12
	s_delay_alu instid0(VALU_DEP_2) | instskip(NEXT) | instid1(VALU_DEP_2)
	v_fmac_f32_e32 v175, v2, v9
	v_dual_mul_f32 v2, v2, v10 :: v_dual_fmac_f32 v177, v4, v11
	s_delay_alu instid0(VALU_DEP_1) | instskip(SKIP_1) | instid1(VALU_DEP_1)
	v_fma_f32 v176, v1, v9, -v2
	v_mul_f32_e32 v1, v4, v12
	;; [unrolled: 25-line block ×3, first 2 shown]
	v_fma_f32 v186, v3, v11, -v1
	s_clause 0x1
	scratch_load_b128 v[1:4], off, off offset:368
	scratch_load_b128 v[9:12], off, off offset:384
	s_wait_loadcnt_dscnt 0x100
	v_mul_f32_e32 v187, v5, v2
	v_mul_f32_e32 v2, v6, v2
	s_delay_alu instid0(VALU_DEP_1) | instskip(SKIP_1) | instid1(VALU_DEP_1)
	v_fma_f32 v188, v5, v1, -v2
	v_add_f32_e32 v2, 0, v151
	v_add_f32_e32 v2, v2, v152
	s_delay_alu instid0(VALU_DEP_1) | instskip(NEXT) | instid1(VALU_DEP_1)
	v_add_f32_e32 v2, v2, v24
	v_add_f32_e32 v2, v2, v25
	s_delay_alu instid0(VALU_DEP_1) | instskip(NEXT) | instid1(VALU_DEP_1)
	v_add_f32_e32 v2, v2, v32
	v_dual_add_f32 v2, v2, v158 :: v_dual_mul_f32 v189, v7, v4
	s_delay_alu instid0(VALU_DEP_1) | instskip(NEXT) | instid1(VALU_DEP_1)
	v_add_f32_e32 v2, v2, v154
	v_add_f32_e32 v2, v2, v155
	v_fmac_f32_e32 v187, v6, v1
	s_delay_alu instid0(VALU_DEP_2) | instskip(SKIP_1) | instid1(VALU_DEP_2)
	v_dual_mul_f32 v1, v8, v4 :: v_dual_add_f32 v2, v2, v15
	v_fmac_f32_e32 v189, v8, v3
	v_fma_f32 v190, v7, v3, -v1
	s_delay_alu instid0(VALU_DEP_3) | instskip(NEXT) | instid1(VALU_DEP_1)
	v_add_f32_e32 v2, v2, v18
	v_dual_add_f32 v1, 0, v22 :: v_dual_add_f32 v2, v2, v19
	s_delay_alu instid0(VALU_DEP_1) | instskip(NEXT) | instid1(VALU_DEP_1)
	v_dual_add_f32 v1, v1, v23 :: v_dual_add_f32 v2, v2, v20
	v_dual_add_f32 v1, v1, v26 :: v_dual_add_f32 v2, v2, v159
	s_delay_alu instid0(VALU_DEP_1) | instskip(SKIP_3) | instid1(VALU_DEP_1)
	v_add_f32_e32 v1, v1, v27
	scratch_load_b64 v[26:27], off, off offset:464
	v_add_f32_e32 v5, v2, v160
	v_add_f32_e32 v1, v1, v28
	;; [unrolled: 1-line block ×3, first 2 shown]
	s_delay_alu instid0(VALU_DEP_1) | instskip(NEXT) | instid1(VALU_DEP_4)
	v_add_f32_e32 v1, v1, v13
	v_add_f32_e32 v13, v5, v163
	s_delay_alu instid0(VALU_DEP_1) | instskip(NEXT) | instid1(VALU_DEP_1)
	v_add_f32_e32 v13, v13, v165
	v_add_f32_e32 v13, v13, v167
	s_delay_alu instid0(VALU_DEP_1) | instskip(NEXT) | instid1(VALU_DEP_1)
	v_add_f32_e32 v18, v13, v169
	v_dual_add_f32 v18, v18, v171 :: v_dual_add_f32 v1, v1, v14
	s_delay_alu instid0(VALU_DEP_1) | instskip(NEXT) | instid1(VALU_DEP_1)
	v_dual_add_f32 v18, v18, v173 :: v_dual_add_f32 v1, v1, v16
	v_dual_add_f32 v22, v18, v175 :: v_dual_add_f32 v1, v1, v17
	s_delay_alu instid0(VALU_DEP_1) | instskip(NEXT) | instid1(VALU_DEP_1)
	v_dual_add_f32 v22, v22, v177 :: v_dual_add_f32 v1, v1, v156
	v_add_f32_e32 v1, v1, v157
	s_delay_alu instid0(VALU_DEP_1) | instskip(NEXT) | instid1(VALU_DEP_1)
	v_add_f32_e32 v1, v1, v161
	v_add_f32_e32 v1, v1, v162
	s_delay_alu instid0(VALU_DEP_1)
	v_add_f32_e32 v6, v1, v164
	scratch_load_b128 v[1:4], off, off offset:400
	v_add_f32_e32 v22, v22, v179
	v_add_f32_e32 v14, v6, v166
	ds_load_b128 v[5:8], v21 offset:864
	v_add_f32_e32 v22, v22, v181
	v_add_f32_e32 v14, v14, v168
	s_delay_alu instid0(VALU_DEP_1)
	v_add_f32_e32 v17, v14, v170
	ds_load_b128 v[13:16], v21 offset:880
	s_wait_loadcnt_dscnt 0x201
	v_mul_f32_e32 v32, v5, v10
	v_dual_mul_f32 v10, v6, v10 :: v_dual_mul_f32 v151, v7, v12
	v_mul_f32_e32 v12, v8, v12
	s_delay_alu instid0(VALU_DEP_3) | instskip(NEXT) | instid1(VALU_DEP_3)
	v_fmac_f32_e32 v32, v6, v9
	v_fma_f32 v152, v5, v9, -v10
	s_delay_alu instid0(VALU_DEP_4) | instskip(NEXT) | instid1(VALU_DEP_4)
	v_fmac_f32_e32 v151, v8, v11
	v_fma_f32 v154, v7, v11, -v12
	s_clause 0x1
	scratch_load_b128 v[5:8], off, off offset:416
	scratch_load_b128 v[9:12], off, off offset:432
	s_wait_loadcnt_dscnt 0x200
	v_mul_f32_e32 v155, v13, v2
	v_mul_f32_e32 v2, v14, v2
	;; [unrolled: 1-line block ×4, first 2 shown]
	s_delay_alu instid0(VALU_DEP_3) | instskip(NEXT) | instid1(VALU_DEP_3)
	v_fma_f32 v157, v13, v1, -v2
	v_fmac_f32_e32 v156, v16, v3
	s_delay_alu instid0(VALU_DEP_3) | instskip(SKIP_2) | instid1(VALU_DEP_2)
	v_fma_f32 v158, v15, v3, -v4
	v_add_f32_e32 v13, v22, v183
	v_add_f32_e32 v17, v17, v172
	;; [unrolled: 1-line block ×3, first 2 shown]
	s_delay_alu instid0(VALU_DEP_2) | instskip(NEXT) | instid1(VALU_DEP_2)
	v_add_f32_e32 v17, v17, v174
	v_add_f32_e32 v29, v22, v187
	s_delay_alu instid0(VALU_DEP_1) | instskip(NEXT) | instid1(VALU_DEP_1)
	v_add_f32_e32 v160, v29, v189
	v_dual_add_f32 v32, v160, v32 :: v_dual_fmac_f32 v155, v14, v1
	ds_load_b128 v[1:4], v21 offset:896
	v_dual_add_f32 v17, v17, v176 :: v_dual_add_f32 v32, v32, v151
	s_delay_alu instid0(VALU_DEP_1) | instskip(SKIP_2) | instid1(VALU_DEP_1)
	v_add_f32_e32 v23, v17, v178
	scratch_load_b128 v[17:20], off, off offset:448
	v_add_f32_e32 v23, v23, v180
	v_add_f32_e32 v23, v23, v182
	s_delay_alu instid0(VALU_DEP_1) | instskip(NEXT) | instid1(VALU_DEP_1)
	v_add_f32_e32 v23, v23, v184
	v_add_f32_e32 v14, v23, v186
	ds_load_b128 v[22:25], v21 offset:928
	v_add_f32_e32 v28, v14, v188
	ds_load_b128 v[13:16], v21 offset:912
	v_add_f32_e32 v159, v28, v190
	ds_load_b64 v[28:29], v21 offset:944
	s_wait_loadcnt_dscnt 0x203
	v_mul_f32_e32 v151, v3, v8
	v_mul_f32_e32 v8, v4, v8
	v_add_f32_e32 v152, v159, v152
	s_delay_alu instid0(VALU_DEP_1) | instskip(NEXT) | instid1(VALU_DEP_1)
	v_add_f32_e32 v152, v152, v154
	v_add_f32_e32 v152, v152, v157
	s_wait_loadcnt_dscnt 0x101
	v_mul_f32_e32 v154, v13, v10
	v_dual_mul_f32 v159, v1, v6 :: v_dual_add_f32 v32, v32, v155
	v_mul_f32_e32 v6, v2, v6
	v_add_f32_e32 v152, v152, v158
	s_delay_alu instid0(VALU_DEP_4) | instskip(NEXT) | instid1(VALU_DEP_4)
	v_fmac_f32_e32 v154, v14, v9
	v_add_f32_e32 v32, v32, v156
	s_wait_dscnt 0x0
	v_mul_f32_e32 v156, v28, v27
	v_fma_f32 v1, v1, v5, -v6
	v_fmac_f32_e32 v151, v4, v7
	v_fmac_f32_e32 v159, v2, v5
	v_mul_f32_e32 v155, v15, v12
	v_fma_f32 v2, v3, v7, -v8
	v_dual_add_f32 v1, v152, v1 :: v_dual_fmac_f32 v156, v29, v26
	s_delay_alu instid0(VALU_DEP_4) | instskip(NEXT) | instid1(VALU_DEP_4)
	v_add_f32_e32 v4, v32, v159
	v_fmac_f32_e32 v155, v16, v11
	s_wait_loadcnt 0x0
	v_dual_mul_f32 v157, v22, v18 :: v_dual_mul_f32 v158, v24, v20
	v_mul_f32_e32 v3, v14, v10
	s_delay_alu instid0(VALU_DEP_2) | instskip(SKIP_1) | instid1(VALU_DEP_4)
	v_fmac_f32_e32 v157, v23, v17
	v_dual_add_f32 v1, v1, v2 :: v_dual_add_f32 v2, v4, v151
	v_fmac_f32_e32 v158, v25, v19
	s_delay_alu instid0(VALU_DEP_4) | instskip(SKIP_1) | instid1(VALU_DEP_4)
	v_fma_f32 v3, v13, v9, -v3
	v_mul_f32_e32 v4, v23, v18
	v_dual_add_f32 v2, v2, v154 :: v_dual_mul_f32 v5, v16, v12
	s_delay_alu instid0(VALU_DEP_2) | instskip(NEXT) | instid1(VALU_DEP_2)
	v_fma_f32 v4, v22, v17, -v4
	v_add_f32_e32 v2, v2, v155
	s_delay_alu instid0(VALU_DEP_3) | instskip(NEXT) | instid1(VALU_DEP_2)
	v_fma_f32 v5, v15, v11, -v5
	v_dual_add_f32 v2, v2, v157 :: v_dual_add_f32 v1, v1, v3
	s_delay_alu instid0(VALU_DEP_1) | instskip(NEXT) | instid1(VALU_DEP_1)
	v_dual_add_f32 v2, v2, v158 :: v_dual_add_f32 v1, v1, v5
	v_dual_mul_f32 v5, v29, v27 :: v_dual_add_f32 v2, v2, v156
	v_mul_f32_e32 v3, v25, v20
	s_delay_alu instid0(VALU_DEP_3) | instskip(NEXT) | instid1(VALU_DEP_3)
	v_add_f32_e32 v1, v1, v4
	v_fma_f32 v4, v28, v26, -v5
	s_delay_alu instid0(VALU_DEP_4) | instskip(NEXT) | instid1(VALU_DEP_4)
	v_sub_f32_e32 v2, v31, v2
	v_fma_f32 v3, v24, v19, -v3
	s_delay_alu instid0(VALU_DEP_1) | instskip(NEXT) | instid1(VALU_DEP_1)
	v_add_f32_e32 v1, v1, v3
	v_add_f32_e32 v1, v1, v4
	s_delay_alu instid0(VALU_DEP_1)
	v_sub_f32_e32 v1, v30, v1
	scratch_store_b64 off, v[1:2], off offset:152
	v_cmpx_lt_u32_e32 18, v0
	s_cbranch_execz .LBB122_331
; %bb.330:
	scratch_load_b64 v[1:2], off, off offset:144
	v_mov_b32_e32 v22, v21
	scratch_store_b64 off, v[21:22], off offset:144
	s_wait_loadcnt 0x0
	ds_store_b64 v153, v[1:2]
.LBB122_331:
	s_wait_alu 0xfffe
	s_or_b32 exec_lo, exec_lo, s0
	s_wait_storecnt_dscnt 0x0
	s_barrier_signal -1
	s_barrier_wait -1
	global_inv scope:SCOPE_SE
	s_clause 0x4
	scratch_load_b128 v[5:8], off, off offset:152
	scratch_load_b128 v[1:4], off, off offset:168
	;; [unrolled: 1-line block ×5, first 2 shown]
	ds_load_2addr_b64 v[22:25], v21 offset0:79 offset1:80
	ds_load_2addr_b64 v[26:29], v21 offset0:81 offset1:82
	;; [unrolled: 1-line block ×3, first 2 shown]
	scratch_load_b64 v[30:31], off, off offset:144
	s_mov_b32 s0, exec_lo
	s_wait_loadcnt_dscnt 0x502
	v_mul_f32_e32 v32, v23, v6
	v_dual_mul_f32 v151, v22, v6 :: v_dual_mul_f32 v152, v24, v8
	v_mul_f32_e32 v6, v25, v8
	s_wait_loadcnt_dscnt 0x300
	v_mul_f32_e32 v158, v156, v12
	s_delay_alu instid0(VALU_DEP_3)
	v_dual_mul_f32 v12, v157, v12 :: v_dual_fmac_f32 v151, v23, v5
	v_fmac_f32_e32 v152, v25, v7
	v_fma_f32 v23, v24, v7, -v6
	v_mul_f32_e32 v25, v28, v4
	v_fma_f32 v22, v22, v5, -v32
	ds_load_2addr_b64 v[5:8], v21 offset0:85 offset1:86
	v_mul_f32_e32 v24, v26, v2
	v_mul_f32_e32 v4, v29, v4
	v_mul_f32_e32 v32, v154, v10
	v_mul_f32_e32 v10, v155, v10
	v_dual_mul_f32 v2, v27, v2 :: v_dual_fmac_f32 v25, v29, v3
	v_fmac_f32_e32 v24, v27, v1
	v_fma_f32 v27, v28, v3, -v4
	v_fmac_f32_e32 v32, v155, v9
	v_fma_f32 v28, v154, v9, -v10
	;; [unrolled: 2-line block ×3, first 2 shown]
	ds_load_2addr_b64 v[9:12], v21 offset0:87 offset1:88
	s_wait_loadcnt_dscnt 0x201
	v_dual_mul_f32 v155, v7, v16 :: v_dual_mul_f32 v154, v5, v14
	v_mul_f32_e32 v14, v6, v14
	v_mul_f32_e32 v16, v8, v16
	s_delay_alu instid0(VALU_DEP_3)
	v_fmac_f32_e32 v155, v8, v15
	v_fma_f32 v26, v26, v1, -v2
	scratch_load_b128 v[1:4], off, off offset:232
	v_fmac_f32_e32 v154, v6, v13
	v_fma_f32 v13, v5, v13, -v14
	v_fma_f32 v14, v7, v15, -v16
	ds_load_2addr_b64 v[5:8], v21 offset0:89 offset1:90
	s_wait_loadcnt_dscnt 0x201
	v_mul_f32_e32 v15, v9, v18
	v_mul_f32_e32 v16, v10, v18
	;; [unrolled: 1-line block ×3, first 2 shown]
	s_delay_alu instid0(VALU_DEP_3) | instskip(NEXT) | instid1(VALU_DEP_3)
	v_dual_mul_f32 v20, v12, v20 :: v_dual_fmac_f32 v15, v10, v17
	v_fma_f32 v16, v9, v17, -v16
	s_delay_alu instid0(VALU_DEP_3) | instskip(NEXT) | instid1(VALU_DEP_3)
	v_fmac_f32_e32 v18, v12, v19
	v_fma_f32 v17, v11, v19, -v20
	scratch_load_b128 v[9:12], off, off offset:248
	s_wait_loadcnt_dscnt 0x100
	v_mul_f32_e32 v19, v5, v2
	v_mul_f32_e32 v2, v6, v2
	;; [unrolled: 1-line block ×3, first 2 shown]
	s_delay_alu instid0(VALU_DEP_3) | instskip(NEXT) | instid1(VALU_DEP_3)
	v_dual_mul_f32 v4, v8, v4 :: v_dual_fmac_f32 v19, v6, v1
	v_fma_f32 v156, v5, v1, -v2
	s_delay_alu instid0(VALU_DEP_3) | instskip(NEXT) | instid1(VALU_DEP_3)
	v_fmac_f32_e32 v20, v8, v3
	v_fma_f32 v157, v7, v3, -v4
	ds_load_2addr_b64 v[1:4], v21 offset0:91 offset1:92
	ds_load_2addr_b64 v[5:8], v21 offset0:93 offset1:94
	s_wait_loadcnt_dscnt 0x1
	v_mul_f32_e32 v159, v1, v10
	v_mul_f32_e32 v10, v2, v10
	s_delay_alu instid0(VALU_DEP_2) | instskip(NEXT) | instid1(VALU_DEP_2)
	v_dual_mul_f32 v160, v3, v12 :: v_dual_fmac_f32 v159, v2, v9
	v_fma_f32 v161, v1, v9, -v10
	v_mul_f32_e32 v1, v4, v12
	s_delay_alu instid0(VALU_DEP_3) | instskip(NEXT) | instid1(VALU_DEP_2)
	v_fmac_f32_e32 v160, v4, v11
	v_fma_f32 v162, v3, v11, -v1
	s_clause 0x1
	scratch_load_b128 v[1:4], off, off offset:264
	scratch_load_b128 v[9:12], off, off offset:280
	s_wait_loadcnt_dscnt 0x100
	v_mul_f32_e32 v163, v5, v2
	v_dual_mul_f32 v2, v6, v2 :: v_dual_mul_f32 v165, v7, v4
	s_delay_alu instid0(VALU_DEP_2) | instskip(NEXT) | instid1(VALU_DEP_2)
	v_fmac_f32_e32 v163, v6, v1
	v_fma_f32 v164, v5, v1, -v2
	v_mul_f32_e32 v1, v8, v4
	s_delay_alu instid0(VALU_DEP_4) | instskip(NEXT) | instid1(VALU_DEP_2)
	v_fmac_f32_e32 v165, v8, v3
	v_fma_f32 v166, v7, v3, -v1
	ds_load_2addr_b64 v[1:4], v21 offset0:95 offset1:96
	ds_load_2addr_b64 v[5:8], v21 offset0:97 offset1:98
	s_wait_loadcnt_dscnt 0x1
	v_mul_f32_e32 v167, v1, v10
	v_mul_f32_e32 v169, v3, v12
	s_delay_alu instid0(VALU_DEP_2) | instskip(NEXT) | instid1(VALU_DEP_2)
	v_fmac_f32_e32 v167, v2, v9
	v_dual_mul_f32 v2, v2, v10 :: v_dual_fmac_f32 v169, v4, v11
	s_delay_alu instid0(VALU_DEP_1) | instskip(SKIP_1) | instid1(VALU_DEP_1)
	v_fma_f32 v168, v1, v9, -v2
	v_mul_f32_e32 v1, v4, v12
	v_fma_f32 v170, v3, v11, -v1
	s_clause 0x1
	scratch_load_b128 v[1:4], off, off offset:296
	scratch_load_b128 v[9:12], off, off offset:312
	s_wait_loadcnt_dscnt 0x100
	v_mul_f32_e32 v171, v5, v2
	v_dual_mul_f32 v2, v6, v2 :: v_dual_mul_f32 v173, v7, v4
	s_delay_alu instid0(VALU_DEP_2) | instskip(NEXT) | instid1(VALU_DEP_2)
	v_fmac_f32_e32 v171, v6, v1
	v_fma_f32 v172, v5, v1, -v2
	v_mul_f32_e32 v1, v8, v4
	s_delay_alu instid0(VALU_DEP_4) | instskip(NEXT) | instid1(VALU_DEP_2)
	v_fmac_f32_e32 v173, v8, v3
	v_fma_f32 v174, v7, v3, -v1
	ds_load_2addr_b64 v[1:4], v21 offset0:99 offset1:100
	ds_load_2addr_b64 v[5:8], v21 offset0:101 offset1:102
	s_wait_loadcnt_dscnt 0x1
	v_mul_f32_e32 v175, v1, v10
	v_mul_f32_e32 v177, v3, v12
	s_delay_alu instid0(VALU_DEP_2) | instskip(NEXT) | instid1(VALU_DEP_2)
	v_fmac_f32_e32 v175, v2, v9
	v_dual_mul_f32 v2, v2, v10 :: v_dual_fmac_f32 v177, v4, v11
	s_delay_alu instid0(VALU_DEP_1) | instskip(SKIP_1) | instid1(VALU_DEP_1)
	v_fma_f32 v176, v1, v9, -v2
	v_mul_f32_e32 v1, v4, v12
	;; [unrolled: 25-line block ×4, first 2 shown]
	v_fma_f32 v194, v3, v11, -v1
	s_clause 0x1
	scratch_load_b128 v[1:4], off, off offset:392
	scratch_load_b128 v[9:12], off, off offset:408
	s_wait_loadcnt_dscnt 0x100
	v_mul_f32_e32 v195, v5, v2
	v_mul_f32_e32 v2, v6, v2
	s_delay_alu instid0(VALU_DEP_1) | instskip(SKIP_1) | instid1(VALU_DEP_1)
	v_fma_f32 v196, v5, v1, -v2
	v_add_f32_e32 v2, 0, v151
	v_add_f32_e32 v2, v2, v152
	s_delay_alu instid0(VALU_DEP_1) | instskip(NEXT) | instid1(VALU_DEP_1)
	v_add_f32_e32 v2, v2, v24
	v_add_f32_e32 v2, v2, v25
	s_delay_alu instid0(VALU_DEP_1) | instskip(NEXT) | instid1(VALU_DEP_1)
	;; [unrolled: 3-line block ×5, first 2 shown]
	v_add_f32_e32 v2, v2, v19
	v_add_f32_e32 v2, v2, v20
	v_mul_f32_e32 v197, v7, v4
	v_fmac_f32_e32 v195, v6, v1
	s_delay_alu instid0(VALU_DEP_3) | instskip(NEXT) | instid1(VALU_DEP_1)
	v_add_f32_e32 v2, v2, v159
	v_dual_fmac_f32 v197, v8, v3 :: v_dual_add_f32 v2, v2, v160
	s_delay_alu instid0(VALU_DEP_1) | instskip(NEXT) | instid1(VALU_DEP_1)
	v_dual_mul_f32 v1, v8, v4 :: v_dual_add_f32 v2, v2, v163
	v_fma_f32 v198, v7, v3, -v1
	s_delay_alu instid0(VALU_DEP_2) | instskip(NEXT) | instid1(VALU_DEP_1)
	v_dual_add_f32 v1, 0, v22 :: v_dual_add_f32 v2, v2, v165
	v_add_f32_e32 v1, v1, v23
	s_delay_alu instid0(VALU_DEP_2) | instskip(NEXT) | instid1(VALU_DEP_2)
	v_add_f32_e32 v5, v2, v167
	v_add_f32_e32 v1, v1, v26
	s_delay_alu instid0(VALU_DEP_2) | instskip(NEXT) | instid1(VALU_DEP_2)
	v_add_f32_e32 v5, v5, v169
	;; [unrolled: 3-line block ×3, first 2 shown]
	v_add_f32_e32 v1, v1, v28
	s_delay_alu instid0(VALU_DEP_1) | instskip(NEXT) | instid1(VALU_DEP_1)
	v_add_f32_e32 v1, v1, v29
	v_add_f32_e32 v1, v1, v13
	s_delay_alu instid0(VALU_DEP_1) | instskip(SKIP_1) | instid1(VALU_DEP_1)
	v_add_f32_e32 v1, v1, v14
	v_add_f32_e32 v14, v5, v173
	v_dual_add_f32 v1, v1, v16 :: v_dual_add_f32 v14, v14, v175
	s_delay_alu instid0(VALU_DEP_1) | instskip(NEXT) | instid1(VALU_DEP_1)
	v_add_f32_e32 v1, v1, v17
	v_dual_add_f32 v14, v14, v177 :: v_dual_add_f32 v1, v1, v156
	s_delay_alu instid0(VALU_DEP_1) | instskip(NEXT) | instid1(VALU_DEP_1)
	v_add_f32_e32 v1, v1, v157
	v_add_f32_e32 v1, v1, v161
	s_delay_alu instid0(VALU_DEP_1) | instskip(NEXT) | instid1(VALU_DEP_1)
	v_add_f32_e32 v1, v1, v162
	v_add_f32_e32 v1, v1, v164
	;; [unrolled: 3-line block ×3, first 2 shown]
	s_delay_alu instid0(VALU_DEP_1) | instskip(SKIP_2) | instid1(VALU_DEP_1)
	v_add_f32_e32 v6, v1, v170
	ds_load_2addr_b64 v[1:4], v21 offset0:111 offset1:112
	v_add_f32_e32 v17, v14, v179
	v_dual_add_f32 v6, v6, v172 :: v_dual_add_f32 v17, v17, v181
	s_delay_alu instid0(VALU_DEP_1) | instskip(SKIP_4) | instid1(VALU_DEP_2)
	v_add_f32_e32 v13, v6, v174
	ds_load_2addr_b64 v[5:8], v21 offset0:113 offset1:114
	s_wait_loadcnt_dscnt 0x1
	v_dual_mul_f32 v25, v1, v10 :: v_dual_mul_f32 v26, v3, v12
	v_mul_f32_e32 v10, v2, v10
	v_dual_mul_f32 v12, v4, v12 :: v_dual_fmac_f32 v25, v2, v9
	s_delay_alu instid0(VALU_DEP_3) | instskip(NEXT) | instid1(VALU_DEP_3)
	v_fmac_f32_e32 v26, v4, v11
	v_fma_f32 v27, v1, v9, -v10
	s_delay_alu instid0(VALU_DEP_3) | instskip(SKIP_4) | instid1(VALU_DEP_1)
	v_fma_f32 v28, v3, v11, -v12
	s_clause 0x1
	scratch_load_b128 v[1:4], off, off offset:424
	scratch_load_b128 v[9:12], off, off offset:440
	v_add_f32_e32 v13, v13, v176
	v_add_f32_e32 v13, v13, v178
	s_delay_alu instid0(VALU_DEP_1) | instskip(NEXT) | instid1(VALU_DEP_1)
	v_add_f32_e32 v13, v13, v180
	v_add_f32_e32 v18, v13, v182
	scratch_load_b128 v[13:16], off, off offset:456
	v_dual_add_f32 v17, v17, v183 :: v_dual_add_f32 v18, v18, v184
	s_delay_alu instid0(VALU_DEP_1) | instskip(NEXT) | instid1(VALU_DEP_1)
	v_dual_add_f32 v17, v17, v185 :: v_dual_add_f32 v18, v18, v186
	v_dual_add_f32 v23, v17, v187 :: v_dual_add_f32 v22, v18, v188
	ds_load_2addr_b64 v[17:20], v21 offset0:115 offset1:116
	v_add_f32_e32 v32, v23, v189
	s_delay_alu instid0(VALU_DEP_1) | instskip(NEXT) | instid1(VALU_DEP_1)
	v_add_f32_e32 v32, v32, v191
	v_add_f32_e32 v32, v32, v193
	s_delay_alu instid0(VALU_DEP_1) | instskip(SKIP_1) | instid1(VALU_DEP_1)
	v_add_f32_e32 v32, v32, v195
	s_wait_loadcnt_dscnt 0x201
	v_dual_add_f32 v32, v32, v197 :: v_dual_mul_f32 v151, v5, v2
	v_mul_f32_e32 v2, v6, v2
	v_mul_f32_e32 v152, v7, v4
	;; [unrolled: 1-line block ×3, first 2 shown]
	s_wait_loadcnt_dscnt 0x100
	v_dual_mul_f32 v154, v17, v10 :: v_dual_fmac_f32 v151, v6, v1
	v_add_f32_e32 v29, v22, v190
	ds_load_2addr_b64 v[21:24], v21 offset0:117 offset1:118
	v_fma_f32 v2, v5, v1, -v2
	v_mul_f32_e32 v6, v18, v10
	v_dual_fmac_f32 v152, v8, v3 :: v_dual_add_f32 v29, v29, v192
	v_fma_f32 v3, v7, v3, -v4
	v_mul_f32_e32 v155, v19, v12
	v_mul_f32_e32 v4, v20, v12
	s_delay_alu instid0(VALU_DEP_4) | instskip(NEXT) | instid1(VALU_DEP_3)
	v_dual_fmac_f32 v154, v18, v9 :: v_dual_add_f32 v29, v29, v194
	v_fmac_f32_e32 v155, v20, v11
	s_delay_alu instid0(VALU_DEP_3) | instskip(NEXT) | instid1(VALU_DEP_3)
	v_fma_f32 v4, v19, v11, -v4
	v_add_f32_e32 v29, v29, v196
	s_delay_alu instid0(VALU_DEP_1) | instskip(SKIP_2) | instid1(VALU_DEP_2)
	v_add_f32_e32 v29, v29, v198
	s_wait_loadcnt_dscnt 0x0
	v_dual_mul_f32 v156, v21, v14 :: v_dual_add_f32 v25, v32, v25
	v_add_f32_e32 v27, v29, v27
	v_mul_f32_e32 v29, v23, v16
	s_delay_alu instid0(VALU_DEP_3) | instskip(NEXT) | instid1(VALU_DEP_3)
	v_dual_add_f32 v5, v25, v26 :: v_dual_fmac_f32 v156, v22, v13
	v_add_f32_e32 v1, v27, v28
	s_delay_alu instid0(VALU_DEP_3) | instskip(NEXT) | instid1(VALU_DEP_2)
	v_fmac_f32_e32 v29, v24, v15
	v_add_f32_e32 v1, v1, v2
	s_delay_alu instid0(VALU_DEP_4) | instskip(SKIP_1) | instid1(VALU_DEP_2)
	v_add_f32_e32 v2, v5, v151
	v_fma_f32 v5, v17, v9, -v6
	v_dual_add_f32 v1, v1, v3 :: v_dual_add_f32 v2, v2, v152
	v_mul_f32_e32 v3, v22, v14
	s_delay_alu instid0(VALU_DEP_2) | instskip(SKIP_1) | instid1(VALU_DEP_3)
	v_dual_add_f32 v1, v1, v5 :: v_dual_add_f32 v2, v2, v154
	v_mul_f32_e32 v5, v24, v16
	v_fma_f32 v3, v21, v13, -v3
	s_delay_alu instid0(VALU_DEP_3) | instskip(NEXT) | instid1(VALU_DEP_3)
	v_dual_add_f32 v1, v1, v4 :: v_dual_add_f32 v2, v2, v155
	v_fma_f32 v4, v23, v15, -v5
	s_delay_alu instid0(VALU_DEP_2) | instskip(NEXT) | instid1(VALU_DEP_1)
	v_dual_add_f32 v1, v1, v3 :: v_dual_add_f32 v2, v2, v156
	v_dual_add_f32 v1, v1, v4 :: v_dual_add_f32 v2, v2, v29
	s_delay_alu instid0(VALU_DEP_1)
	v_dual_sub_f32 v1, v30, v1 :: v_dual_sub_f32 v2, v31, v2
	scratch_store_b64 off, v[1:2], off offset:144
	v_cmpx_lt_u32_e32 17, v0
	s_cbranch_execz .LBB122_333
; %bb.332:
	scratch_load_b64 v[1:2], off, off offset:136
	v_mov_b32_e32 v3, 0
	s_delay_alu instid0(VALU_DEP_1)
	v_mov_b32_e32 v4, v3
	scratch_store_b64 off, v[3:4], off offset:136
	s_wait_loadcnt 0x0
	ds_store_b64 v153, v[1:2]
.LBB122_333:
	s_wait_alu 0xfffe
	s_or_b32 exec_lo, exec_lo, s0
	s_wait_storecnt_dscnt 0x0
	s_barrier_signal -1
	s_barrier_wait -1
	global_inv scope:SCOPE_SE
	s_clause 0x4
	scratch_load_b128 v[5:8], off, off offset:144
	scratch_load_b128 v[1:4], off, off offset:160
	;; [unrolled: 1-line block ×5, first 2 shown]
	v_mov_b32_e32 v21, 0
	ds_load_b128 v[22:25], v21 offset:624
	ds_load_b128 v[26:29], v21 offset:640
	ds_load_b128 v[154:157], v21 offset:656
	scratch_load_b64 v[30:31], off, off offset:136
	s_mov_b32 s0, exec_lo
	s_wait_loadcnt_dscnt 0x502
	v_mul_f32_e32 v32, v23, v6
	v_dual_mul_f32 v151, v22, v6 :: v_dual_mul_f32 v152, v24, v8
	v_mul_f32_e32 v6, v25, v8
	s_wait_loadcnt_dscnt 0x300
	v_mul_f32_e32 v158, v156, v12
	v_fma_f32 v22, v22, v5, -v32
	v_dual_fmac_f32 v151, v23, v5 :: v_dual_fmac_f32 v152, v25, v7
	v_mul_f32_e32 v25, v28, v4
	v_fma_f32 v23, v24, v7, -v6
	ds_load_b128 v[5:8], v21 offset:672
	v_mul_f32_e32 v24, v26, v2
	v_mul_f32_e32 v4, v29, v4
	;; [unrolled: 1-line block ×5, first 2 shown]
	v_dual_mul_f32 v2, v27, v2 :: v_dual_fmac_f32 v25, v29, v3
	v_fmac_f32_e32 v24, v27, v1
	v_fma_f32 v27, v28, v3, -v4
	v_fmac_f32_e32 v32, v155, v9
	v_fma_f32 v28, v154, v9, -v10
	;; [unrolled: 2-line block ×3, first 2 shown]
	ds_load_b128 v[9:12], v21 offset:688
	s_wait_loadcnt_dscnt 0x201
	v_dual_mul_f32 v155, v7, v16 :: v_dual_mul_f32 v154, v5, v14
	v_mul_f32_e32 v14, v6, v14
	v_mul_f32_e32 v16, v8, v16
	s_delay_alu instid0(VALU_DEP_3)
	v_fmac_f32_e32 v155, v8, v15
	v_fma_f32 v26, v26, v1, -v2
	scratch_load_b128 v[1:4], off, off offset:224
	v_fmac_f32_e32 v154, v6, v13
	v_fma_f32 v13, v5, v13, -v14
	v_fma_f32 v14, v7, v15, -v16
	ds_load_b128 v[5:8], v21 offset:704
	s_wait_loadcnt_dscnt 0x201
	v_mul_f32_e32 v15, v9, v18
	v_mul_f32_e32 v16, v10, v18
	;; [unrolled: 1-line block ×3, first 2 shown]
	s_delay_alu instid0(VALU_DEP_3) | instskip(NEXT) | instid1(VALU_DEP_3)
	v_dual_mul_f32 v20, v12, v20 :: v_dual_fmac_f32 v15, v10, v17
	v_fma_f32 v16, v9, v17, -v16
	s_delay_alu instid0(VALU_DEP_3) | instskip(NEXT) | instid1(VALU_DEP_3)
	v_fmac_f32_e32 v18, v12, v19
	v_fma_f32 v17, v11, v19, -v20
	scratch_load_b128 v[9:12], off, off offset:240
	s_wait_loadcnt_dscnt 0x100
	v_mul_f32_e32 v19, v5, v2
	v_mul_f32_e32 v2, v6, v2
	;; [unrolled: 1-line block ×3, first 2 shown]
	s_delay_alu instid0(VALU_DEP_3) | instskip(NEXT) | instid1(VALU_DEP_3)
	v_dual_mul_f32 v4, v8, v4 :: v_dual_fmac_f32 v19, v6, v1
	v_fma_f32 v156, v5, v1, -v2
	s_delay_alu instid0(VALU_DEP_3) | instskip(NEXT) | instid1(VALU_DEP_3)
	v_fmac_f32_e32 v20, v8, v3
	v_fma_f32 v157, v7, v3, -v4
	ds_load_b128 v[1:4], v21 offset:720
	ds_load_b128 v[5:8], v21 offset:736
	s_wait_loadcnt_dscnt 0x1
	v_mul_f32_e32 v159, v1, v10
	v_mul_f32_e32 v10, v2, v10
	s_delay_alu instid0(VALU_DEP_2) | instskip(NEXT) | instid1(VALU_DEP_2)
	v_dual_mul_f32 v160, v3, v12 :: v_dual_fmac_f32 v159, v2, v9
	v_fma_f32 v161, v1, v9, -v10
	v_mul_f32_e32 v1, v4, v12
	s_delay_alu instid0(VALU_DEP_3) | instskip(NEXT) | instid1(VALU_DEP_2)
	v_fmac_f32_e32 v160, v4, v11
	v_fma_f32 v162, v3, v11, -v1
	s_clause 0x1
	scratch_load_b128 v[1:4], off, off offset:256
	scratch_load_b128 v[9:12], off, off offset:272
	s_wait_loadcnt_dscnt 0x100
	v_mul_f32_e32 v163, v5, v2
	v_dual_mul_f32 v2, v6, v2 :: v_dual_mul_f32 v165, v7, v4
	s_delay_alu instid0(VALU_DEP_2) | instskip(NEXT) | instid1(VALU_DEP_2)
	v_fmac_f32_e32 v163, v6, v1
	v_fma_f32 v164, v5, v1, -v2
	v_mul_f32_e32 v1, v8, v4
	s_delay_alu instid0(VALU_DEP_4) | instskip(NEXT) | instid1(VALU_DEP_2)
	v_fmac_f32_e32 v165, v8, v3
	v_fma_f32 v166, v7, v3, -v1
	ds_load_b128 v[1:4], v21 offset:752
	ds_load_b128 v[5:8], v21 offset:768
	s_wait_loadcnt_dscnt 0x1
	v_mul_f32_e32 v167, v1, v10
	v_mul_f32_e32 v169, v3, v12
	s_delay_alu instid0(VALU_DEP_2) | instskip(NEXT) | instid1(VALU_DEP_2)
	v_fmac_f32_e32 v167, v2, v9
	v_dual_mul_f32 v2, v2, v10 :: v_dual_fmac_f32 v169, v4, v11
	s_delay_alu instid0(VALU_DEP_1) | instskip(SKIP_1) | instid1(VALU_DEP_1)
	v_fma_f32 v168, v1, v9, -v2
	v_mul_f32_e32 v1, v4, v12
	v_fma_f32 v170, v3, v11, -v1
	s_clause 0x1
	scratch_load_b128 v[1:4], off, off offset:288
	scratch_load_b128 v[9:12], off, off offset:304
	s_wait_loadcnt_dscnt 0x100
	v_mul_f32_e32 v171, v5, v2
	v_dual_mul_f32 v2, v6, v2 :: v_dual_mul_f32 v173, v7, v4
	s_delay_alu instid0(VALU_DEP_2) | instskip(NEXT) | instid1(VALU_DEP_2)
	v_fmac_f32_e32 v171, v6, v1
	v_fma_f32 v172, v5, v1, -v2
	v_mul_f32_e32 v1, v8, v4
	s_delay_alu instid0(VALU_DEP_4) | instskip(NEXT) | instid1(VALU_DEP_2)
	v_fmac_f32_e32 v173, v8, v3
	v_fma_f32 v174, v7, v3, -v1
	ds_load_b128 v[1:4], v21 offset:784
	ds_load_b128 v[5:8], v21 offset:800
	s_wait_loadcnt_dscnt 0x1
	v_mul_f32_e32 v175, v1, v10
	v_mul_f32_e32 v177, v3, v12
	s_delay_alu instid0(VALU_DEP_2) | instskip(NEXT) | instid1(VALU_DEP_2)
	v_fmac_f32_e32 v175, v2, v9
	v_dual_mul_f32 v2, v2, v10 :: v_dual_fmac_f32 v177, v4, v11
	s_delay_alu instid0(VALU_DEP_1) | instskip(SKIP_1) | instid1(VALU_DEP_1)
	v_fma_f32 v176, v1, v9, -v2
	v_mul_f32_e32 v1, v4, v12
	;; [unrolled: 25-line block ×4, first 2 shown]
	v_fma_f32 v194, v3, v11, -v1
	s_clause 0x1
	scratch_load_b128 v[1:4], off, off offset:384
	scratch_load_b128 v[9:12], off, off offset:400
	s_wait_loadcnt_dscnt 0x100
	v_mul_f32_e32 v195, v5, v2
	v_mul_f32_e32 v2, v6, v2
	s_delay_alu instid0(VALU_DEP_1) | instskip(SKIP_1) | instid1(VALU_DEP_1)
	v_fma_f32 v196, v5, v1, -v2
	v_add_f32_e32 v2, 0, v151
	v_add_f32_e32 v2, v2, v152
	s_delay_alu instid0(VALU_DEP_1) | instskip(NEXT) | instid1(VALU_DEP_1)
	v_add_f32_e32 v2, v2, v24
	v_add_f32_e32 v2, v2, v25
	s_delay_alu instid0(VALU_DEP_1) | instskip(NEXT) | instid1(VALU_DEP_1)
	;; [unrolled: 3-line block ×5, first 2 shown]
	v_add_f32_e32 v2, v2, v19
	v_add_f32_e32 v2, v2, v20
	s_delay_alu instid0(VALU_DEP_1) | instskip(SKIP_1) | instid1(VALU_DEP_2)
	v_add_f32_e32 v2, v2, v159
	v_fmac_f32_e32 v195, v6, v1
	v_add_f32_e32 v2, v2, v160
	s_delay_alu instid0(VALU_DEP_1) | instskip(NEXT) | instid1(VALU_DEP_1)
	v_dual_mul_f32 v197, v7, v4 :: v_dual_add_f32 v2, v2, v163
	v_dual_fmac_f32 v197, v8, v3 :: v_dual_add_f32 v2, v2, v165
	s_delay_alu instid0(VALU_DEP_1) | instskip(NEXT) | instid1(VALU_DEP_1)
	v_add_f32_e32 v5, v2, v167
	v_add_f32_e32 v5, v5, v169
	s_delay_alu instid0(VALU_DEP_1) | instskip(SKIP_1) | instid1(VALU_DEP_1)
	v_add_f32_e32 v5, v5, v171
	v_mul_f32_e32 v1, v8, v4
	v_fma_f32 v198, v7, v3, -v1
	v_add_f32_e32 v1, 0, v22
	s_delay_alu instid0(VALU_DEP_1) | instskip(NEXT) | instid1(VALU_DEP_1)
	v_add_f32_e32 v1, v1, v23
	v_add_f32_e32 v1, v1, v26
	s_delay_alu instid0(VALU_DEP_1) | instskip(SKIP_2) | instid1(VALU_DEP_1)
	v_add_f32_e32 v1, v1, v27
	scratch_load_b64 v[26:27], off, off offset:464
	v_add_f32_e32 v1, v1, v28
	v_add_f32_e32 v1, v1, v29
	s_delay_alu instid0(VALU_DEP_1) | instskip(NEXT) | instid1(VALU_DEP_1)
	v_add_f32_e32 v1, v1, v13
	v_add_f32_e32 v1, v1, v14
	;; [unrolled: 1-line block ×3, first 2 shown]
	s_delay_alu instid0(VALU_DEP_1) | instskip(NEXT) | instid1(VALU_DEP_1)
	v_dual_add_f32 v1, v1, v16 :: v_dual_add_f32 v14, v14, v175
	v_add_f32_e32 v1, v1, v17
	s_delay_alu instid0(VALU_DEP_1) | instskip(NEXT) | instid1(VALU_DEP_1)
	v_dual_add_f32 v14, v14, v177 :: v_dual_add_f32 v1, v1, v156
	v_add_f32_e32 v1, v1, v157
	s_delay_alu instid0(VALU_DEP_1) | instskip(NEXT) | instid1(VALU_DEP_1)
	v_add_f32_e32 v1, v1, v161
	v_add_f32_e32 v1, v1, v162
	s_delay_alu instid0(VALU_DEP_1) | instskip(NEXT) | instid1(VALU_DEP_1)
	v_add_f32_e32 v1, v1, v164
	;; [unrolled: 3-line block ×3, first 2 shown]
	v_add_f32_e32 v6, v1, v170
	ds_load_b128 v[1:4], v21 offset:880
	v_add_f32_e32 v17, v14, v179
	v_add_f32_e32 v6, v6, v172
	s_delay_alu instid0(VALU_DEP_1)
	v_add_f32_e32 v13, v6, v174
	ds_load_b128 v[5:8], v21 offset:896
	s_wait_loadcnt_dscnt 0x101
	v_mul_f32_e32 v32, v1, v10
	v_dual_mul_f32 v10, v2, v10 :: v_dual_mul_f32 v151, v3, v12
	v_mul_f32_e32 v12, v4, v12
	s_delay_alu instid0(VALU_DEP_3) | instskip(NEXT) | instid1(VALU_DEP_3)
	v_fmac_f32_e32 v32, v2, v9
	v_fma_f32 v152, v1, v9, -v10
	s_delay_alu instid0(VALU_DEP_4) | instskip(NEXT) | instid1(VALU_DEP_4)
	v_fmac_f32_e32 v151, v4, v11
	v_fma_f32 v154, v3, v11, -v12
	s_clause 0x1
	scratch_load_b128 v[1:4], off, off offset:416
	scratch_load_b128 v[9:12], off, off offset:432
	s_wait_loadcnt_dscnt 0x100
	v_mul_f32_e32 v158, v7, v4
	v_add_f32_e32 v13, v13, v176
	v_mul_f32_e32 v157, v5, v2
	v_mul_f32_e32 v2, v6, v2
	;; [unrolled: 1-line block ×3, first 2 shown]
	s_delay_alu instid0(VALU_DEP_4) | instskip(NEXT) | instid1(VALU_DEP_4)
	v_dual_fmac_f32 v158, v8, v3 :: v_dual_add_f32 v13, v13, v178
	v_fmac_f32_e32 v157, v6, v1
	v_add_f32_e32 v17, v17, v181
	v_fma_f32 v2, v5, v1, -v2
	v_fma_f32 v1, v7, v3, -v4
	v_add_f32_e32 v13, v13, v180
	s_delay_alu instid0(VALU_DEP_4) | instskip(NEXT) | instid1(VALU_DEP_2)
	v_add_f32_e32 v17, v17, v183
	v_add_f32_e32 v18, v13, v182
	scratch_load_b128 v[13:16], off, off offset:448
	v_dual_add_f32 v17, v17, v185 :: v_dual_add_f32 v18, v18, v184
	s_delay_alu instid0(VALU_DEP_1) | instskip(NEXT) | instid1(VALU_DEP_1)
	v_dual_add_f32 v17, v17, v187 :: v_dual_add_f32 v18, v18, v186
	v_add_f32_e32 v22, v17, v189
	s_delay_alu instid0(VALU_DEP_2) | instskip(NEXT) | instid1(VALU_DEP_2)
	v_add_f32_e32 v18, v18, v188
	v_add_f32_e32 v29, v22, v191
	ds_load_b128 v[22:25], v21 offset:928
	v_add_f32_e32 v18, v18, v190
	v_add_f32_e32 v156, v29, v193
	s_delay_alu instid0(VALU_DEP_2)
	v_add_f32_e32 v28, v18, v192
	ds_load_b128 v[17:20], v21 offset:912
	v_add_f32_e32 v156, v156, v195
	v_add_f32_e32 v155, v28, v194
	ds_load_b64 v[28:29], v21 offset:944
	v_add_f32_e32 v156, v156, v197
	s_delay_alu instid0(VALU_DEP_1) | instskip(SKIP_1) | instid1(VALU_DEP_1)
	v_add_f32_e32 v32, v156, v32
	s_wait_loadcnt_dscnt 0x101
	v_dual_add_f32 v32, v32, v151 :: v_dual_mul_f32 v3, v18, v10
	s_delay_alu instid0(VALU_DEP_1) | instskip(SKIP_2) | instid1(VALU_DEP_4)
	v_add_f32_e32 v4, v32, v157
	v_mul_f32_e32 v156, v19, v12
	v_mul_f32_e32 v5, v20, v12
	v_fma_f32 v3, v17, v9, -v3
	s_wait_dscnt 0x0
	v_mul_f32_e32 v151, v28, v27
	v_fmac_f32_e32 v156, v20, v11
	v_fma_f32 v5, v19, v11, -v5
	s_delay_alu instid0(VALU_DEP_3) | instskip(SKIP_2) | instid1(VALU_DEP_1)
	v_fmac_f32_e32 v151, v29, v26
	s_wait_loadcnt 0x0
	v_mul_f32_e32 v159, v22, v14
	v_fmac_f32_e32 v159, v23, v13
	v_add_f32_e32 v155, v155, v196
	s_delay_alu instid0(VALU_DEP_1) | instskip(NEXT) | instid1(VALU_DEP_1)
	v_add_f32_e32 v155, v155, v198
	v_dual_add_f32 v152, v155, v152 :: v_dual_mul_f32 v155, v17, v10
	s_delay_alu instid0(VALU_DEP_1) | instskip(SKIP_1) | instid1(VALU_DEP_2)
	v_dual_add_f32 v152, v152, v154 :: v_dual_fmac_f32 v155, v18, v9
	v_mul_f32_e32 v154, v24, v16
	v_add_f32_e32 v2, v152, v2
	s_delay_alu instid0(VALU_DEP_1) | instskip(SKIP_1) | instid1(VALU_DEP_2)
	v_dual_fmac_f32 v154, v25, v15 :: v_dual_add_f32 v1, v2, v1
	v_add_f32_e32 v2, v4, v158
	v_dual_mul_f32 v4, v23, v14 :: v_dual_add_f32 v1, v1, v3
	s_delay_alu instid0(VALU_DEP_2) | instskip(NEXT) | instid1(VALU_DEP_2)
	v_dual_add_f32 v2, v2, v155 :: v_dual_mul_f32 v3, v25, v16
	v_fma_f32 v4, v22, v13, -v4
	s_delay_alu instid0(VALU_DEP_2) | instskip(SKIP_1) | instid1(VALU_DEP_4)
	v_dual_add_f32 v1, v1, v5 :: v_dual_add_f32 v2, v2, v156
	v_mul_f32_e32 v5, v29, v27
	v_fma_f32 v3, v24, v15, -v3
	s_delay_alu instid0(VALU_DEP_3) | instskip(NEXT) | instid1(VALU_DEP_3)
	v_dual_add_f32 v1, v1, v4 :: v_dual_add_f32 v2, v2, v159
	v_fma_f32 v4, v28, v26, -v5
	s_delay_alu instid0(VALU_DEP_2) | instskip(NEXT) | instid1(VALU_DEP_1)
	v_dual_add_f32 v1, v1, v3 :: v_dual_add_f32 v2, v2, v154
	v_dual_add_f32 v1, v1, v4 :: v_dual_add_f32 v2, v2, v151
	s_delay_alu instid0(VALU_DEP_1)
	v_dual_sub_f32 v1, v30, v1 :: v_dual_sub_f32 v2, v31, v2
	scratch_store_b64 off, v[1:2], off offset:136
	v_cmpx_lt_u32_e32 16, v0
	s_cbranch_execz .LBB122_335
; %bb.334:
	scratch_load_b64 v[1:2], off, off offset:128
	v_mov_b32_e32 v22, v21
	scratch_store_b64 off, v[21:22], off offset:128
	s_wait_loadcnt 0x0
	ds_store_b64 v153, v[1:2]
.LBB122_335:
	s_wait_alu 0xfffe
	s_or_b32 exec_lo, exec_lo, s0
	s_wait_storecnt_dscnt 0x0
	s_barrier_signal -1
	s_barrier_wait -1
	global_inv scope:SCOPE_SE
	s_clause 0x4
	scratch_load_b128 v[5:8], off, off offset:136
	scratch_load_b128 v[1:4], off, off offset:152
	scratch_load_b128 v[9:12], off, off offset:168
	scratch_load_b128 v[13:16], off, off offset:184
	scratch_load_b128 v[17:20], off, off offset:200
	ds_load_2addr_b64 v[22:25], v21 offset0:77 offset1:78
	ds_load_2addr_b64 v[26:29], v21 offset0:79 offset1:80
	;; [unrolled: 1-line block ×3, first 2 shown]
	scratch_load_b64 v[30:31], off, off offset:128
	s_mov_b32 s0, exec_lo
	s_wait_loadcnt_dscnt 0x502
	v_mul_f32_e32 v32, v23, v6
	v_dual_mul_f32 v151, v22, v6 :: v_dual_mul_f32 v152, v24, v8
	v_mul_f32_e32 v6, v25, v8
	s_wait_loadcnt_dscnt 0x300
	v_mul_f32_e32 v158, v156, v12
	s_delay_alu instid0(VALU_DEP_3)
	v_dual_mul_f32 v12, v157, v12 :: v_dual_fmac_f32 v151, v23, v5
	v_fmac_f32_e32 v152, v25, v7
	v_fma_f32 v23, v24, v7, -v6
	v_mul_f32_e32 v25, v28, v4
	v_fma_f32 v22, v22, v5, -v32
	ds_load_2addr_b64 v[5:8], v21 offset0:83 offset1:84
	v_mul_f32_e32 v24, v26, v2
	v_mul_f32_e32 v4, v29, v4
	;; [unrolled: 1-line block ×4, first 2 shown]
	v_dual_mul_f32 v2, v27, v2 :: v_dual_fmac_f32 v25, v29, v3
	v_fmac_f32_e32 v24, v27, v1
	v_fma_f32 v27, v28, v3, -v4
	v_fmac_f32_e32 v32, v155, v9
	v_fma_f32 v28, v154, v9, -v10
	;; [unrolled: 2-line block ×3, first 2 shown]
	ds_load_2addr_b64 v[9:12], v21 offset0:85 offset1:86
	s_wait_loadcnt_dscnt 0x201
	v_dual_mul_f32 v155, v7, v16 :: v_dual_mul_f32 v154, v5, v14
	v_mul_f32_e32 v14, v6, v14
	v_mul_f32_e32 v16, v8, v16
	s_delay_alu instid0(VALU_DEP_3)
	v_fmac_f32_e32 v155, v8, v15
	v_fma_f32 v26, v26, v1, -v2
	scratch_load_b128 v[1:4], off, off offset:216
	v_fmac_f32_e32 v154, v6, v13
	v_fma_f32 v13, v5, v13, -v14
	v_fma_f32 v14, v7, v15, -v16
	ds_load_2addr_b64 v[5:8], v21 offset0:87 offset1:88
	s_wait_loadcnt_dscnt 0x201
	v_mul_f32_e32 v15, v9, v18
	v_mul_f32_e32 v16, v10, v18
	;; [unrolled: 1-line block ×3, first 2 shown]
	s_delay_alu instid0(VALU_DEP_3) | instskip(NEXT) | instid1(VALU_DEP_3)
	v_dual_mul_f32 v20, v12, v20 :: v_dual_fmac_f32 v15, v10, v17
	v_fma_f32 v16, v9, v17, -v16
	s_delay_alu instid0(VALU_DEP_3) | instskip(NEXT) | instid1(VALU_DEP_3)
	v_fmac_f32_e32 v18, v12, v19
	v_fma_f32 v17, v11, v19, -v20
	scratch_load_b128 v[9:12], off, off offset:232
	s_wait_loadcnt_dscnt 0x100
	v_mul_f32_e32 v19, v5, v2
	v_mul_f32_e32 v2, v6, v2
	;; [unrolled: 1-line block ×3, first 2 shown]
	s_delay_alu instid0(VALU_DEP_3) | instskip(NEXT) | instid1(VALU_DEP_3)
	v_dual_mul_f32 v4, v8, v4 :: v_dual_fmac_f32 v19, v6, v1
	v_fma_f32 v156, v5, v1, -v2
	s_delay_alu instid0(VALU_DEP_3) | instskip(NEXT) | instid1(VALU_DEP_3)
	v_fmac_f32_e32 v20, v8, v3
	v_fma_f32 v157, v7, v3, -v4
	ds_load_2addr_b64 v[1:4], v21 offset0:89 offset1:90
	ds_load_2addr_b64 v[5:8], v21 offset0:91 offset1:92
	s_wait_loadcnt_dscnt 0x1
	v_mul_f32_e32 v159, v1, v10
	v_mul_f32_e32 v10, v2, v10
	s_delay_alu instid0(VALU_DEP_2) | instskip(NEXT) | instid1(VALU_DEP_2)
	v_dual_mul_f32 v160, v3, v12 :: v_dual_fmac_f32 v159, v2, v9
	v_fma_f32 v161, v1, v9, -v10
	v_mul_f32_e32 v1, v4, v12
	s_delay_alu instid0(VALU_DEP_3) | instskip(NEXT) | instid1(VALU_DEP_2)
	v_fmac_f32_e32 v160, v4, v11
	v_fma_f32 v162, v3, v11, -v1
	s_clause 0x1
	scratch_load_b128 v[1:4], off, off offset:248
	scratch_load_b128 v[9:12], off, off offset:264
	s_wait_loadcnt_dscnt 0x100
	v_mul_f32_e32 v163, v5, v2
	v_dual_mul_f32 v2, v6, v2 :: v_dual_mul_f32 v165, v7, v4
	s_delay_alu instid0(VALU_DEP_2) | instskip(NEXT) | instid1(VALU_DEP_2)
	v_fmac_f32_e32 v163, v6, v1
	v_fma_f32 v164, v5, v1, -v2
	v_mul_f32_e32 v1, v8, v4
	s_delay_alu instid0(VALU_DEP_4) | instskip(NEXT) | instid1(VALU_DEP_2)
	v_fmac_f32_e32 v165, v8, v3
	v_fma_f32 v166, v7, v3, -v1
	ds_load_2addr_b64 v[1:4], v21 offset0:93 offset1:94
	ds_load_2addr_b64 v[5:8], v21 offset0:95 offset1:96
	s_wait_loadcnt_dscnt 0x1
	v_mul_f32_e32 v167, v1, v10
	v_mul_f32_e32 v169, v3, v12
	s_delay_alu instid0(VALU_DEP_2) | instskip(NEXT) | instid1(VALU_DEP_2)
	v_fmac_f32_e32 v167, v2, v9
	v_dual_mul_f32 v2, v2, v10 :: v_dual_fmac_f32 v169, v4, v11
	s_delay_alu instid0(VALU_DEP_1) | instskip(SKIP_1) | instid1(VALU_DEP_1)
	v_fma_f32 v168, v1, v9, -v2
	v_mul_f32_e32 v1, v4, v12
	v_fma_f32 v170, v3, v11, -v1
	s_clause 0x1
	scratch_load_b128 v[1:4], off, off offset:280
	scratch_load_b128 v[9:12], off, off offset:296
	s_wait_loadcnt_dscnt 0x100
	v_mul_f32_e32 v171, v5, v2
	v_dual_mul_f32 v2, v6, v2 :: v_dual_mul_f32 v173, v7, v4
	s_delay_alu instid0(VALU_DEP_2) | instskip(NEXT) | instid1(VALU_DEP_2)
	v_fmac_f32_e32 v171, v6, v1
	v_fma_f32 v172, v5, v1, -v2
	v_mul_f32_e32 v1, v8, v4
	s_delay_alu instid0(VALU_DEP_4) | instskip(NEXT) | instid1(VALU_DEP_2)
	v_fmac_f32_e32 v173, v8, v3
	v_fma_f32 v174, v7, v3, -v1
	ds_load_2addr_b64 v[1:4], v21 offset0:97 offset1:98
	ds_load_2addr_b64 v[5:8], v21 offset0:99 offset1:100
	s_wait_loadcnt_dscnt 0x1
	v_mul_f32_e32 v175, v1, v10
	v_mul_f32_e32 v177, v3, v12
	s_delay_alu instid0(VALU_DEP_2) | instskip(NEXT) | instid1(VALU_DEP_2)
	v_fmac_f32_e32 v175, v2, v9
	v_dual_mul_f32 v2, v2, v10 :: v_dual_fmac_f32 v177, v4, v11
	s_delay_alu instid0(VALU_DEP_1) | instskip(SKIP_1) | instid1(VALU_DEP_1)
	v_fma_f32 v176, v1, v9, -v2
	v_mul_f32_e32 v1, v4, v12
	;; [unrolled: 25-line block ×4, first 2 shown]
	v_fma_f32 v194, v3, v11, -v1
	s_clause 0x1
	scratch_load_b128 v[1:4], off, off offset:376
	scratch_load_b128 v[9:12], off, off offset:392
	s_wait_loadcnt_dscnt 0x100
	v_mul_f32_e32 v195, v5, v2
	v_mul_f32_e32 v2, v6, v2
	s_delay_alu instid0(VALU_DEP_1) | instskip(SKIP_1) | instid1(VALU_DEP_1)
	v_fma_f32 v196, v5, v1, -v2
	v_add_f32_e32 v2, 0, v151
	v_add_f32_e32 v2, v2, v152
	s_delay_alu instid0(VALU_DEP_1) | instskip(NEXT) | instid1(VALU_DEP_1)
	v_add_f32_e32 v2, v2, v24
	v_add_f32_e32 v2, v2, v25
	s_delay_alu instid0(VALU_DEP_1) | instskip(NEXT) | instid1(VALU_DEP_1)
	;; [unrolled: 3-line block ×5, first 2 shown]
	v_add_f32_e32 v2, v2, v19
	v_add_f32_e32 v2, v2, v20
	v_mul_f32_e32 v197, v7, v4
	v_fmac_f32_e32 v195, v6, v1
	s_delay_alu instid0(VALU_DEP_3) | instskip(NEXT) | instid1(VALU_DEP_1)
	v_add_f32_e32 v2, v2, v159
	v_dual_fmac_f32 v197, v8, v3 :: v_dual_add_f32 v2, v2, v160
	s_delay_alu instid0(VALU_DEP_1) | instskip(NEXT) | instid1(VALU_DEP_1)
	v_dual_mul_f32 v1, v8, v4 :: v_dual_add_f32 v2, v2, v163
	v_fma_f32 v198, v7, v3, -v1
	s_delay_alu instid0(VALU_DEP_2) | instskip(NEXT) | instid1(VALU_DEP_1)
	v_dual_add_f32 v1, 0, v22 :: v_dual_add_f32 v2, v2, v165
	v_add_f32_e32 v1, v1, v23
	s_delay_alu instid0(VALU_DEP_1) | instskip(NEXT) | instid1(VALU_DEP_1)
	v_dual_add_f32 v2, v2, v167 :: v_dual_add_f32 v1, v1, v26
	v_add_f32_e32 v5, v2, v169
	s_delay_alu instid0(VALU_DEP_2) | instskip(NEXT) | instid1(VALU_DEP_1)
	v_add_f32_e32 v1, v1, v27
	v_add_f32_e32 v1, v1, v28
	s_delay_alu instid0(VALU_DEP_1) | instskip(NEXT) | instid1(VALU_DEP_1)
	v_add_f32_e32 v1, v1, v29
	v_add_f32_e32 v1, v1, v13
	;; [unrolled: 1-line block ×3, first 2 shown]
	s_delay_alu instid0(VALU_DEP_2) | instskip(NEXT) | instid1(VALU_DEP_2)
	v_add_f32_e32 v1, v1, v14
	v_add_f32_e32 v13, v13, v173
	s_delay_alu instid0(VALU_DEP_2) | instskip(NEXT) | instid1(VALU_DEP_2)
	v_add_f32_e32 v1, v1, v16
	v_add_f32_e32 v13, v13, v175
	;; [unrolled: 3-line block ×3, first 2 shown]
	s_delay_alu instid0(VALU_DEP_2) | instskip(NEXT) | instid1(VALU_DEP_1)
	v_add_f32_e32 v1, v1, v156
	v_add_f32_e32 v1, v1, v157
	s_delay_alu instid0(VALU_DEP_1) | instskip(NEXT) | instid1(VALU_DEP_1)
	v_add_f32_e32 v1, v1, v161
	v_add_f32_e32 v1, v1, v162
	s_delay_alu instid0(VALU_DEP_1) | instskip(NEXT) | instid1(VALU_DEP_1)
	;; [unrolled: 3-line block ×3, first 2 shown]
	v_add_f32_e32 v1, v1, v168
	v_add_f32_e32 v1, v1, v170
	s_delay_alu instid0(VALU_DEP_1)
	v_add_f32_e32 v6, v1, v172
	ds_load_2addr_b64 v[1:4], v21 offset0:109 offset1:110
	v_add_f32_e32 v18, v18, v179
	v_add_f32_e32 v14, v6, v174
	scratch_load_b128 v[5:8], off, off offset:408
	v_add_f32_e32 v18, v18, v181
	v_add_f32_e32 v14, v14, v176
	s_delay_alu instid0(VALU_DEP_1)
	v_add_f32_e32 v17, v14, v178
	ds_load_2addr_b64 v[13:16], v21 offset0:111 offset1:112
	s_wait_loadcnt_dscnt 0x101
	v_mul_f32_e32 v25, v1, v10
	v_mul_f32_e32 v10, v2, v10
	;; [unrolled: 1-line block ×4, first 2 shown]
	v_add_f32_e32 v22, v18, v183
	v_fmac_f32_e32 v25, v2, v9
	v_fma_f32 v27, v1, v9, -v10
	v_fmac_f32_e32 v26, v4, v11
	v_fma_f32 v28, v3, v11, -v12
	s_clause 0x1
	scratch_load_b128 v[1:4], off, off offset:424
	scratch_load_b128 v[9:12], off, off offset:440
	v_add_f32_e32 v22, v22, v185
	s_wait_loadcnt_dscnt 0x200
	s_delay_alu instid0(VALU_DEP_1) | instskip(SKIP_2) | instid1(VALU_DEP_3)
	v_dual_add_f32 v22, v22, v187 :: v_dual_mul_f32 v29, v13, v6
	v_mul_f32_e32 v6, v14, v6
	v_mul_f32_e32 v32, v15, v8
	v_dual_mul_f32 v8, v16, v8 :: v_dual_fmac_f32 v29, v14, v5
	s_delay_alu instid0(VALU_DEP_3) | instskip(NEXT) | instid1(VALU_DEP_3)
	v_fma_f32 v151, v13, v5, -v6
	v_fmac_f32_e32 v32, v16, v7
	s_delay_alu instid0(VALU_DEP_3) | instskip(SKIP_3) | instid1(VALU_DEP_2)
	v_fma_f32 v152, v15, v7, -v8
	ds_load_2addr_b64 v[5:8], v21 offset0:113 offset1:114
	v_add_f32_e32 v17, v17, v180
	v_add_f32_e32 v13, v22, v189
	v_add_f32_e32 v17, v17, v182
	s_delay_alu instid0(VALU_DEP_1) | instskip(NEXT) | instid1(VALU_DEP_1)
	v_add_f32_e32 v17, v17, v184
	v_add_f32_e32 v23, v17, v186
	scratch_load_b128 v[17:20], off, off offset:456
	v_add_f32_e32 v23, v23, v188
	s_delay_alu instid0(VALU_DEP_1) | instskip(NEXT) | instid1(VALU_DEP_1)
	v_add_f32_e32 v23, v23, v190
	v_dual_add_f32 v22, v23, v192 :: v_dual_add_f32 v23, v13, v191
	ds_load_2addr_b64 v[13:16], v21 offset0:115 offset1:116
	s_wait_loadcnt_dscnt 0x201
	v_mul_f32_e32 v156, v5, v2
	v_mul_f32_e32 v2, v6, v2
	v_dual_add_f32 v154, v22, v194 :: v_dual_add_f32 v155, v23, v193
	ds_load_2addr_b64 v[21:24], v21 offset0:117 offset1:118
	v_fmac_f32_e32 v156, v6, v1
	v_fma_f32 v2, v5, v1, -v2
	v_add_f32_e32 v154, v154, v196
	s_delay_alu instid0(VALU_DEP_1) | instskip(NEXT) | instid1(VALU_DEP_1)
	v_add_f32_e32 v154, v154, v198
	v_dual_add_f32 v27, v154, v27 :: v_dual_mul_f32 v154, v7, v4
	v_mul_f32_e32 v4, v8, v4
	s_wait_loadcnt_dscnt 0x101
	v_dual_mul_f32 v6, v14, v10 :: v_dual_mul_f32 v157, v15, v12
	s_delay_alu instid0(VALU_DEP_3) | instskip(NEXT) | instid1(VALU_DEP_3)
	v_dual_add_f32 v27, v27, v28 :: v_dual_fmac_f32 v154, v8, v3
	v_fma_f32 v3, v7, v3, -v4
	v_mul_f32_e32 v4, v16, v12
	s_delay_alu instid0(VALU_DEP_4) | instskip(NEXT) | instid1(VALU_DEP_4)
	v_fmac_f32_e32 v157, v16, v11
	v_add_f32_e32 v27, v27, v151
	s_delay_alu instid0(VALU_DEP_3) | instskip(NEXT) | instid1(VALU_DEP_2)
	v_fma_f32 v4, v15, v11, -v4
	v_add_f32_e32 v1, v27, v152
	s_delay_alu instid0(VALU_DEP_1) | instskip(SKIP_1) | instid1(VALU_DEP_1)
	v_add_f32_e32 v1, v1, v2
	s_wait_loadcnt_dscnt 0x0
	v_dual_add_f32 v1, v1, v3 :: v_dual_mul_f32 v28, v23, v20
	s_delay_alu instid0(VALU_DEP_1) | instskip(SKIP_1) | instid1(VALU_DEP_2)
	v_dual_mul_f32 v3, v22, v18 :: v_dual_fmac_f32 v28, v24, v19
	v_add_f32_e32 v155, v155, v195
	v_fma_f32 v3, v21, v17, -v3
	s_delay_alu instid0(VALU_DEP_2) | instskip(NEXT) | instid1(VALU_DEP_1)
	v_add_f32_e32 v155, v155, v197
	v_add_f32_e32 v25, v155, v25
	v_mul_f32_e32 v155, v13, v10
	s_delay_alu instid0(VALU_DEP_2) | instskip(NEXT) | instid1(VALU_DEP_2)
	v_add_f32_e32 v25, v25, v26
	v_dual_fmac_f32 v155, v14, v9 :: v_dual_mul_f32 v26, v21, v18
	s_delay_alu instid0(VALU_DEP_2) | instskip(NEXT) | instid1(VALU_DEP_1)
	v_add_f32_e32 v25, v25, v29
	v_dual_fmac_f32 v26, v22, v17 :: v_dual_add_f32 v5, v25, v32
	s_delay_alu instid0(VALU_DEP_1) | instskip(SKIP_1) | instid1(VALU_DEP_1)
	v_add_f32_e32 v2, v5, v156
	v_fma_f32 v5, v13, v9, -v6
	v_dual_add_f32 v2, v2, v154 :: v_dual_add_f32 v1, v1, v5
	s_delay_alu instid0(VALU_DEP_1) | instskip(NEXT) | instid1(VALU_DEP_2)
	v_dual_mul_f32 v5, v24, v20 :: v_dual_add_f32 v2, v2, v155
	v_add_f32_e32 v1, v1, v4
	s_delay_alu instid0(VALU_DEP_2) | instskip(NEXT) | instid1(VALU_DEP_2)
	v_fma_f32 v4, v23, v19, -v5
	v_dual_add_f32 v2, v2, v157 :: v_dual_add_f32 v1, v1, v3
	s_delay_alu instid0(VALU_DEP_1) | instskip(NEXT) | instid1(VALU_DEP_1)
	v_dual_add_f32 v2, v2, v26 :: v_dual_add_f32 v1, v1, v4
	v_add_f32_e32 v2, v2, v28
	s_delay_alu instid0(VALU_DEP_1)
	v_dual_sub_f32 v1, v30, v1 :: v_dual_sub_f32 v2, v31, v2
	scratch_store_b64 off, v[1:2], off offset:128
	v_cmpx_lt_u32_e32 15, v0
	s_cbranch_execz .LBB122_337
; %bb.336:
	scratch_load_b64 v[1:2], off, off offset:120
	v_mov_b32_e32 v3, 0
	s_delay_alu instid0(VALU_DEP_1)
	v_mov_b32_e32 v4, v3
	scratch_store_b64 off, v[3:4], off offset:120
	s_wait_loadcnt 0x0
	ds_store_b64 v153, v[1:2]
.LBB122_337:
	s_wait_alu 0xfffe
	s_or_b32 exec_lo, exec_lo, s0
	s_wait_storecnt_dscnt 0x0
	s_barrier_signal -1
	s_barrier_wait -1
	global_inv scope:SCOPE_SE
	s_clause 0x4
	scratch_load_b128 v[5:8], off, off offset:128
	scratch_load_b128 v[1:4], off, off offset:144
	;; [unrolled: 1-line block ×5, first 2 shown]
	v_mov_b32_e32 v21, 0
	ds_load_b128 v[22:25], v21 offset:608
	ds_load_b128 v[26:29], v21 offset:624
	;; [unrolled: 1-line block ×3, first 2 shown]
	scratch_load_b64 v[30:31], off, off offset:120
	s_mov_b32 s0, exec_lo
	s_wait_loadcnt_dscnt 0x502
	v_mul_f32_e32 v32, v23, v6
	v_dual_mul_f32 v151, v22, v6 :: v_dual_mul_f32 v152, v24, v8
	v_mul_f32_e32 v6, v25, v8
	s_wait_loadcnt_dscnt 0x300
	v_mul_f32_e32 v158, v156, v12
	v_fma_f32 v22, v22, v5, -v32
	v_dual_fmac_f32 v151, v23, v5 :: v_dual_fmac_f32 v152, v25, v7
	v_mul_f32_e32 v25, v28, v4
	v_fma_f32 v23, v24, v7, -v6
	ds_load_b128 v[5:8], v21 offset:656
	v_mul_f32_e32 v24, v26, v2
	v_mul_f32_e32 v4, v29, v4
	;; [unrolled: 1-line block ×5, first 2 shown]
	v_dual_mul_f32 v2, v27, v2 :: v_dual_fmac_f32 v25, v29, v3
	v_fmac_f32_e32 v24, v27, v1
	v_fma_f32 v27, v28, v3, -v4
	v_fmac_f32_e32 v32, v155, v9
	v_fma_f32 v28, v154, v9, -v10
	;; [unrolled: 2-line block ×3, first 2 shown]
	ds_load_b128 v[9:12], v21 offset:672
	s_wait_loadcnt_dscnt 0x201
	v_dual_mul_f32 v155, v7, v16 :: v_dual_mul_f32 v154, v5, v14
	v_mul_f32_e32 v14, v6, v14
	v_mul_f32_e32 v16, v8, v16
	s_delay_alu instid0(VALU_DEP_3)
	v_fmac_f32_e32 v155, v8, v15
	v_fma_f32 v26, v26, v1, -v2
	scratch_load_b128 v[1:4], off, off offset:208
	v_fmac_f32_e32 v154, v6, v13
	v_fma_f32 v13, v5, v13, -v14
	v_fma_f32 v14, v7, v15, -v16
	ds_load_b128 v[5:8], v21 offset:688
	s_wait_loadcnt_dscnt 0x201
	v_mul_f32_e32 v15, v9, v18
	v_mul_f32_e32 v16, v10, v18
	;; [unrolled: 1-line block ×3, first 2 shown]
	s_delay_alu instid0(VALU_DEP_3) | instskip(NEXT) | instid1(VALU_DEP_3)
	v_dual_mul_f32 v20, v12, v20 :: v_dual_fmac_f32 v15, v10, v17
	v_fma_f32 v16, v9, v17, -v16
	s_delay_alu instid0(VALU_DEP_3) | instskip(NEXT) | instid1(VALU_DEP_3)
	v_fmac_f32_e32 v18, v12, v19
	v_fma_f32 v17, v11, v19, -v20
	scratch_load_b128 v[9:12], off, off offset:224
	s_wait_loadcnt_dscnt 0x100
	v_mul_f32_e32 v19, v5, v2
	v_mul_f32_e32 v2, v6, v2
	;; [unrolled: 1-line block ×3, first 2 shown]
	s_delay_alu instid0(VALU_DEP_3) | instskip(NEXT) | instid1(VALU_DEP_3)
	v_dual_mul_f32 v4, v8, v4 :: v_dual_fmac_f32 v19, v6, v1
	v_fma_f32 v156, v5, v1, -v2
	s_delay_alu instid0(VALU_DEP_3) | instskip(NEXT) | instid1(VALU_DEP_3)
	v_fmac_f32_e32 v20, v8, v3
	v_fma_f32 v157, v7, v3, -v4
	ds_load_b128 v[1:4], v21 offset:704
	ds_load_b128 v[5:8], v21 offset:720
	s_wait_loadcnt_dscnt 0x1
	v_mul_f32_e32 v159, v1, v10
	v_mul_f32_e32 v10, v2, v10
	s_delay_alu instid0(VALU_DEP_2) | instskip(NEXT) | instid1(VALU_DEP_2)
	v_dual_mul_f32 v160, v3, v12 :: v_dual_fmac_f32 v159, v2, v9
	v_fma_f32 v161, v1, v9, -v10
	v_mul_f32_e32 v1, v4, v12
	s_delay_alu instid0(VALU_DEP_3) | instskip(NEXT) | instid1(VALU_DEP_2)
	v_fmac_f32_e32 v160, v4, v11
	v_fma_f32 v162, v3, v11, -v1
	s_clause 0x1
	scratch_load_b128 v[1:4], off, off offset:240
	scratch_load_b128 v[9:12], off, off offset:256
	s_wait_loadcnt_dscnt 0x100
	v_mul_f32_e32 v163, v5, v2
	v_dual_mul_f32 v2, v6, v2 :: v_dual_mul_f32 v165, v7, v4
	s_delay_alu instid0(VALU_DEP_2) | instskip(NEXT) | instid1(VALU_DEP_2)
	v_fmac_f32_e32 v163, v6, v1
	v_fma_f32 v164, v5, v1, -v2
	v_mul_f32_e32 v1, v8, v4
	s_delay_alu instid0(VALU_DEP_4) | instskip(NEXT) | instid1(VALU_DEP_2)
	v_fmac_f32_e32 v165, v8, v3
	v_fma_f32 v166, v7, v3, -v1
	ds_load_b128 v[1:4], v21 offset:736
	ds_load_b128 v[5:8], v21 offset:752
	s_wait_loadcnt_dscnt 0x1
	v_mul_f32_e32 v167, v1, v10
	v_mul_f32_e32 v169, v3, v12
	s_delay_alu instid0(VALU_DEP_2) | instskip(NEXT) | instid1(VALU_DEP_2)
	v_fmac_f32_e32 v167, v2, v9
	v_dual_mul_f32 v2, v2, v10 :: v_dual_fmac_f32 v169, v4, v11
	s_delay_alu instid0(VALU_DEP_1) | instskip(SKIP_1) | instid1(VALU_DEP_1)
	v_fma_f32 v168, v1, v9, -v2
	v_mul_f32_e32 v1, v4, v12
	v_fma_f32 v170, v3, v11, -v1
	s_clause 0x1
	scratch_load_b128 v[1:4], off, off offset:272
	scratch_load_b128 v[9:12], off, off offset:288
	s_wait_loadcnt_dscnt 0x100
	v_mul_f32_e32 v171, v5, v2
	v_dual_mul_f32 v2, v6, v2 :: v_dual_mul_f32 v173, v7, v4
	s_delay_alu instid0(VALU_DEP_2) | instskip(NEXT) | instid1(VALU_DEP_2)
	v_fmac_f32_e32 v171, v6, v1
	v_fma_f32 v172, v5, v1, -v2
	v_mul_f32_e32 v1, v8, v4
	s_delay_alu instid0(VALU_DEP_4) | instskip(NEXT) | instid1(VALU_DEP_2)
	v_fmac_f32_e32 v173, v8, v3
	v_fma_f32 v174, v7, v3, -v1
	ds_load_b128 v[1:4], v21 offset:768
	ds_load_b128 v[5:8], v21 offset:784
	s_wait_loadcnt_dscnt 0x1
	v_mul_f32_e32 v175, v1, v10
	v_mul_f32_e32 v177, v3, v12
	s_delay_alu instid0(VALU_DEP_2) | instskip(NEXT) | instid1(VALU_DEP_2)
	v_fmac_f32_e32 v175, v2, v9
	v_dual_mul_f32 v2, v2, v10 :: v_dual_fmac_f32 v177, v4, v11
	s_delay_alu instid0(VALU_DEP_1) | instskip(SKIP_1) | instid1(VALU_DEP_1)
	v_fma_f32 v176, v1, v9, -v2
	v_mul_f32_e32 v1, v4, v12
	;; [unrolled: 25-line block ×4, first 2 shown]
	v_fma_f32 v194, v3, v11, -v1
	s_clause 0x1
	scratch_load_b128 v[1:4], off, off offset:368
	scratch_load_b128 v[9:12], off, off offset:384
	s_wait_loadcnt_dscnt 0x100
	v_mul_f32_e32 v195, v5, v2
	v_mul_f32_e32 v2, v6, v2
	s_delay_alu instid0(VALU_DEP_1) | instskip(SKIP_1) | instid1(VALU_DEP_1)
	v_fma_f32 v196, v5, v1, -v2
	v_add_f32_e32 v2, 0, v151
	v_add_f32_e32 v2, v2, v152
	s_delay_alu instid0(VALU_DEP_1) | instskip(NEXT) | instid1(VALU_DEP_1)
	v_add_f32_e32 v2, v2, v24
	v_add_f32_e32 v2, v2, v25
	s_delay_alu instid0(VALU_DEP_1) | instskip(NEXT) | instid1(VALU_DEP_1)
	;; [unrolled: 3-line block ×5, first 2 shown]
	v_add_f32_e32 v2, v2, v19
	v_add_f32_e32 v2, v2, v20
	s_delay_alu instid0(VALU_DEP_1) | instskip(SKIP_1) | instid1(VALU_DEP_2)
	v_add_f32_e32 v2, v2, v159
	v_fmac_f32_e32 v195, v6, v1
	v_add_f32_e32 v2, v2, v160
	s_delay_alu instid0(VALU_DEP_1) | instskip(NEXT) | instid1(VALU_DEP_1)
	v_dual_mul_f32 v197, v7, v4 :: v_dual_add_f32 v2, v2, v163
	v_dual_fmac_f32 v197, v8, v3 :: v_dual_add_f32 v2, v2, v165
	s_delay_alu instid0(VALU_DEP_1) | instskip(NEXT) | instid1(VALU_DEP_1)
	v_dual_mul_f32 v1, v8, v4 :: v_dual_add_f32 v2, v2, v167
	v_fma_f32 v198, v7, v3, -v1
	v_add_f32_e32 v1, 0, v22
	s_delay_alu instid0(VALU_DEP_3) | instskip(NEXT) | instid1(VALU_DEP_2)
	v_add_f32_e32 v5, v2, v169
	v_add_f32_e32 v1, v1, v23
	s_delay_alu instid0(VALU_DEP_1) | instskip(NEXT) | instid1(VALU_DEP_1)
	v_add_f32_e32 v1, v1, v26
	v_add_f32_e32 v1, v1, v27
	scratch_load_b64 v[26:27], off, off offset:464
	v_add_f32_e32 v1, v1, v28
	s_delay_alu instid0(VALU_DEP_1) | instskip(NEXT) | instid1(VALU_DEP_1)
	v_add_f32_e32 v1, v1, v29
	v_add_f32_e32 v1, v1, v13
	;; [unrolled: 1-line block ×3, first 2 shown]
	s_delay_alu instid0(VALU_DEP_2) | instskip(NEXT) | instid1(VALU_DEP_2)
	v_add_f32_e32 v1, v1, v14
	v_add_f32_e32 v13, v13, v173
	s_delay_alu instid0(VALU_DEP_2) | instskip(NEXT) | instid1(VALU_DEP_2)
	v_add_f32_e32 v1, v1, v16
	v_add_f32_e32 v13, v13, v175
	;; [unrolled: 3-line block ×3, first 2 shown]
	s_delay_alu instid0(VALU_DEP_2) | instskip(NEXT) | instid1(VALU_DEP_1)
	v_add_f32_e32 v1, v1, v156
	v_add_f32_e32 v1, v1, v157
	s_delay_alu instid0(VALU_DEP_1) | instskip(NEXT) | instid1(VALU_DEP_1)
	v_add_f32_e32 v1, v1, v161
	v_add_f32_e32 v1, v1, v162
	s_delay_alu instid0(VALU_DEP_1) | instskip(NEXT) | instid1(VALU_DEP_1)
	;; [unrolled: 3-line block ×3, first 2 shown]
	v_add_f32_e32 v1, v1, v168
	v_add_f32_e32 v1, v1, v170
	s_delay_alu instid0(VALU_DEP_1)
	v_add_f32_e32 v6, v1, v172
	scratch_load_b128 v[1:4], off, off offset:400
	v_add_f32_e32 v18, v18, v179
	v_add_f32_e32 v14, v6, v174
	ds_load_b128 v[5:8], v21 offset:864
	v_add_f32_e32 v18, v18, v181
	v_add_f32_e32 v14, v14, v176
	s_delay_alu instid0(VALU_DEP_1)
	v_add_f32_e32 v17, v14, v178
	ds_load_b128 v[13:16], v21 offset:880
	s_wait_loadcnt_dscnt 0x201
	v_mul_f32_e32 v32, v5, v10
	v_add_f32_e32 v22, v18, v183
	v_dual_mul_f32 v10, v6, v10 :: v_dual_mul_f32 v151, v7, v12
	v_mul_f32_e32 v12, v8, v12
	s_delay_alu instid0(VALU_DEP_4) | instskip(NEXT) | instid1(VALU_DEP_4)
	v_fmac_f32_e32 v32, v6, v9
	v_add_f32_e32 v22, v22, v185
	s_delay_alu instid0(VALU_DEP_4)
	v_fma_f32 v152, v5, v9, -v10
	v_fmac_f32_e32 v151, v8, v11
	v_fma_f32 v154, v7, v11, -v12
	scratch_load_b128 v[5:8], off, off offset:416
	v_add_f32_e32 v22, v22, v187
	scratch_load_b128 v[9:12], off, off offset:432
	s_wait_loadcnt_dscnt 0x200
	v_dual_add_f32 v22, v22, v189 :: v_dual_mul_f32 v155, v13, v2
	v_mul_f32_e32 v2, v14, v2
	v_mul_f32_e32 v156, v15, v4
	s_delay_alu instid0(VALU_DEP_3) | instskip(NEXT) | instid1(VALU_DEP_3)
	v_dual_mul_f32 v4, v16, v4 :: v_dual_fmac_f32 v155, v14, v1
	v_fma_f32 v157, v13, v1, -v2
	v_add_f32_e32 v13, v22, v191
	s_delay_alu instid0(VALU_DEP_3) | instskip(SKIP_3) | instid1(VALU_DEP_1)
	v_fma_f32 v158, v15, v3, -v4
	v_fmac_f32_e32 v156, v16, v3
	ds_load_b128 v[1:4], v21 offset:896
	v_add_f32_e32 v22, v13, v193
	v_add_f32_e32 v29, v22, v195
	s_delay_alu instid0(VALU_DEP_1) | instskip(NEXT) | instid1(VALU_DEP_1)
	v_add_f32_e32 v160, v29, v197
	v_add_f32_e32 v32, v160, v32
	s_delay_alu instid0(VALU_DEP_1) | instskip(NEXT) | instid1(VALU_DEP_1)
	v_dual_add_f32 v32, v32, v151 :: v_dual_add_f32 v17, v17, v180
	v_dual_add_f32 v32, v32, v155 :: v_dual_add_f32 v17, v17, v182
	s_delay_alu instid0(VALU_DEP_1) | instskip(NEXT) | instid1(VALU_DEP_2)
	v_add_f32_e32 v32, v32, v156
	v_add_f32_e32 v17, v17, v184
	s_delay_alu instid0(VALU_DEP_1) | instskip(SKIP_2) | instid1(VALU_DEP_1)
	v_add_f32_e32 v23, v17, v186
	scratch_load_b128 v[17:20], off, off offset:448
	v_add_f32_e32 v23, v23, v188
	v_add_f32_e32 v23, v23, v190
	s_delay_alu instid0(VALU_DEP_1) | instskip(NEXT) | instid1(VALU_DEP_1)
	v_add_f32_e32 v23, v23, v192
	v_add_f32_e32 v14, v23, v194
	ds_load_b128 v[22:25], v21 offset:928
	v_add_f32_e32 v28, v14, v196
	ds_load_b128 v[13:16], v21 offset:912
	s_wait_loadcnt_dscnt 0x100
	v_mul_f32_e32 v155, v15, v12
	s_delay_alu instid0(VALU_DEP_1) | instskip(SKIP_3) | instid1(VALU_DEP_1)
	v_fmac_f32_e32 v155, v16, v11
	v_add_f32_e32 v159, v28, v198
	ds_load_b64 v[28:29], v21 offset:944
	v_add_f32_e32 v152, v159, v152
	v_add_f32_e32 v152, v152, v154
	v_mul_f32_e32 v154, v13, v10
	s_delay_alu instid0(VALU_DEP_2) | instskip(NEXT) | instid1(VALU_DEP_2)
	v_add_f32_e32 v152, v152, v157
	v_dual_fmac_f32 v154, v14, v9 :: v_dual_mul_f32 v151, v3, v8
	v_mul_f32_e32 v8, v4, v8
	s_delay_alu instid0(VALU_DEP_3) | instskip(SKIP_2) | instid1(VALU_DEP_1)
	v_add_f32_e32 v152, v152, v158
	s_wait_dscnt 0x0
	v_mul_f32_e32 v156, v28, v27
	v_fmac_f32_e32 v156, v29, v26
	s_wait_loadcnt 0x0
	v_dual_mul_f32 v157, v22, v18 :: v_dual_mul_f32 v158, v24, v20
	s_delay_alu instid0(VALU_DEP_1) | instskip(SKIP_2) | instid1(VALU_DEP_4)
	v_fmac_f32_e32 v157, v23, v17
	v_mul_f32_e32 v159, v1, v6
	v_mul_f32_e32 v6, v2, v6
	v_fmac_f32_e32 v158, v25, v19
	v_fmac_f32_e32 v151, v4, v7
	s_delay_alu instid0(VALU_DEP_4) | instskip(NEXT) | instid1(VALU_DEP_4)
	v_fmac_f32_e32 v159, v2, v5
	v_fma_f32 v1, v1, v5, -v6
	v_fma_f32 v2, v3, v7, -v8
	v_mul_f32_e32 v3, v14, v10
	v_mul_f32_e32 v5, v16, v12
	v_add_f32_e32 v4, v32, v159
	v_add_f32_e32 v1, v152, v1
	s_delay_alu instid0(VALU_DEP_4) | instskip(NEXT) | instid1(VALU_DEP_4)
	v_fma_f32 v3, v13, v9, -v3
	v_fma_f32 v5, v15, v11, -v5
	s_delay_alu instid0(VALU_DEP_3) | instskip(NEXT) | instid1(VALU_DEP_1)
	v_dual_add_f32 v1, v1, v2 :: v_dual_add_f32 v2, v4, v151
	v_dual_mul_f32 v4, v23, v18 :: v_dual_add_f32 v1, v1, v3
	s_delay_alu instid0(VALU_DEP_2) | instskip(NEXT) | instid1(VALU_DEP_2)
	v_dual_add_f32 v2, v2, v154 :: v_dual_mul_f32 v3, v25, v20
	v_fma_f32 v4, v22, v17, -v4
	s_delay_alu instid0(VALU_DEP_2) | instskip(SKIP_1) | instid1(VALU_DEP_4)
	v_dual_add_f32 v1, v1, v5 :: v_dual_add_f32 v2, v2, v155
	v_mul_f32_e32 v5, v29, v27
	v_fma_f32 v3, v24, v19, -v3
	s_delay_alu instid0(VALU_DEP_3) | instskip(NEXT) | instid1(VALU_DEP_3)
	v_dual_add_f32 v1, v1, v4 :: v_dual_add_f32 v2, v2, v157
	v_fma_f32 v4, v28, v26, -v5
	s_delay_alu instid0(VALU_DEP_2) | instskip(NEXT) | instid1(VALU_DEP_1)
	v_dual_add_f32 v1, v1, v3 :: v_dual_add_f32 v2, v2, v158
	v_add_f32_e32 v1, v1, v4
	s_delay_alu instid0(VALU_DEP_2) | instskip(NEXT) | instid1(VALU_DEP_1)
	v_add_f32_e32 v2, v2, v156
	v_dual_sub_f32 v1, v30, v1 :: v_dual_sub_f32 v2, v31, v2
	scratch_store_b64 off, v[1:2], off offset:120
	v_cmpx_lt_u32_e32 14, v0
	s_cbranch_execz .LBB122_339
; %bb.338:
	scratch_load_b64 v[1:2], off, off offset:112
	v_mov_b32_e32 v22, v21
	scratch_store_b64 off, v[21:22], off offset:112
	s_wait_loadcnt 0x0
	ds_store_b64 v153, v[1:2]
.LBB122_339:
	s_wait_alu 0xfffe
	s_or_b32 exec_lo, exec_lo, s0
	s_wait_storecnt_dscnt 0x0
	s_barrier_signal -1
	s_barrier_wait -1
	global_inv scope:SCOPE_SE
	s_clause 0x4
	scratch_load_b128 v[5:8], off, off offset:120
	scratch_load_b128 v[1:4], off, off offset:136
	;; [unrolled: 1-line block ×5, first 2 shown]
	ds_load_2addr_b64 v[22:25], v21 offset0:75 offset1:76
	ds_load_2addr_b64 v[26:29], v21 offset0:77 offset1:78
	;; [unrolled: 1-line block ×3, first 2 shown]
	scratch_load_b64 v[30:31], off, off offset:112
	s_mov_b32 s0, exec_lo
	s_wait_loadcnt_dscnt 0x502
	v_mul_f32_e32 v32, v23, v6
	v_dual_mul_f32 v151, v22, v6 :: v_dual_mul_f32 v152, v24, v8
	v_mul_f32_e32 v6, v25, v8
	s_wait_loadcnt_dscnt 0x300
	v_mul_f32_e32 v158, v156, v12
	s_delay_alu instid0(VALU_DEP_3)
	v_dual_mul_f32 v12, v157, v12 :: v_dual_fmac_f32 v151, v23, v5
	v_fmac_f32_e32 v152, v25, v7
	v_fma_f32 v23, v24, v7, -v6
	v_mul_f32_e32 v25, v28, v4
	v_fma_f32 v22, v22, v5, -v32
	ds_load_2addr_b64 v[5:8], v21 offset0:81 offset1:82
	v_mul_f32_e32 v24, v26, v2
	v_mul_f32_e32 v4, v29, v4
	;; [unrolled: 1-line block ×4, first 2 shown]
	v_dual_mul_f32 v2, v27, v2 :: v_dual_fmac_f32 v25, v29, v3
	v_fmac_f32_e32 v24, v27, v1
	v_fma_f32 v27, v28, v3, -v4
	v_fmac_f32_e32 v32, v155, v9
	v_fma_f32 v28, v154, v9, -v10
	v_fmac_f32_e32 v158, v157, v11
	v_fma_f32 v29, v156, v11, -v12
	ds_load_2addr_b64 v[9:12], v21 offset0:83 offset1:84
	s_wait_loadcnt_dscnt 0x201
	v_dual_mul_f32 v155, v7, v16 :: v_dual_mul_f32 v154, v5, v14
	v_mul_f32_e32 v14, v6, v14
	v_mul_f32_e32 v16, v8, v16
	s_delay_alu instid0(VALU_DEP_3)
	v_fmac_f32_e32 v155, v8, v15
	v_fma_f32 v26, v26, v1, -v2
	scratch_load_b128 v[1:4], off, off offset:200
	v_fmac_f32_e32 v154, v6, v13
	v_fma_f32 v13, v5, v13, -v14
	v_fma_f32 v14, v7, v15, -v16
	ds_load_2addr_b64 v[5:8], v21 offset0:85 offset1:86
	s_wait_loadcnt_dscnt 0x201
	v_mul_f32_e32 v15, v9, v18
	v_mul_f32_e32 v16, v10, v18
	;; [unrolled: 1-line block ×3, first 2 shown]
	s_delay_alu instid0(VALU_DEP_3) | instskip(NEXT) | instid1(VALU_DEP_3)
	v_dual_mul_f32 v20, v12, v20 :: v_dual_fmac_f32 v15, v10, v17
	v_fma_f32 v16, v9, v17, -v16
	s_delay_alu instid0(VALU_DEP_3) | instskip(NEXT) | instid1(VALU_DEP_3)
	v_fmac_f32_e32 v18, v12, v19
	v_fma_f32 v17, v11, v19, -v20
	scratch_load_b128 v[9:12], off, off offset:216
	s_wait_loadcnt_dscnt 0x100
	v_mul_f32_e32 v19, v5, v2
	v_mul_f32_e32 v2, v6, v2
	;; [unrolled: 1-line block ×3, first 2 shown]
	s_delay_alu instid0(VALU_DEP_3) | instskip(NEXT) | instid1(VALU_DEP_3)
	v_dual_mul_f32 v4, v8, v4 :: v_dual_fmac_f32 v19, v6, v1
	v_fma_f32 v156, v5, v1, -v2
	s_delay_alu instid0(VALU_DEP_3) | instskip(NEXT) | instid1(VALU_DEP_3)
	v_fmac_f32_e32 v20, v8, v3
	v_fma_f32 v157, v7, v3, -v4
	ds_load_2addr_b64 v[1:4], v21 offset0:87 offset1:88
	ds_load_2addr_b64 v[5:8], v21 offset0:89 offset1:90
	s_wait_loadcnt_dscnt 0x1
	v_mul_f32_e32 v159, v1, v10
	v_mul_f32_e32 v10, v2, v10
	s_delay_alu instid0(VALU_DEP_2) | instskip(NEXT) | instid1(VALU_DEP_2)
	v_dual_mul_f32 v160, v3, v12 :: v_dual_fmac_f32 v159, v2, v9
	v_fma_f32 v161, v1, v9, -v10
	v_mul_f32_e32 v1, v4, v12
	s_delay_alu instid0(VALU_DEP_3) | instskip(NEXT) | instid1(VALU_DEP_2)
	v_fmac_f32_e32 v160, v4, v11
	v_fma_f32 v162, v3, v11, -v1
	s_clause 0x1
	scratch_load_b128 v[1:4], off, off offset:232
	scratch_load_b128 v[9:12], off, off offset:248
	s_wait_loadcnt_dscnt 0x100
	v_mul_f32_e32 v163, v5, v2
	v_dual_mul_f32 v2, v6, v2 :: v_dual_mul_f32 v165, v7, v4
	s_delay_alu instid0(VALU_DEP_2) | instskip(NEXT) | instid1(VALU_DEP_2)
	v_fmac_f32_e32 v163, v6, v1
	v_fma_f32 v164, v5, v1, -v2
	v_mul_f32_e32 v1, v8, v4
	s_delay_alu instid0(VALU_DEP_4) | instskip(NEXT) | instid1(VALU_DEP_2)
	v_fmac_f32_e32 v165, v8, v3
	v_fma_f32 v166, v7, v3, -v1
	ds_load_2addr_b64 v[1:4], v21 offset0:91 offset1:92
	ds_load_2addr_b64 v[5:8], v21 offset0:93 offset1:94
	s_wait_loadcnt_dscnt 0x1
	v_mul_f32_e32 v167, v1, v10
	v_mul_f32_e32 v169, v3, v12
	s_delay_alu instid0(VALU_DEP_2) | instskip(NEXT) | instid1(VALU_DEP_2)
	v_fmac_f32_e32 v167, v2, v9
	v_dual_mul_f32 v2, v2, v10 :: v_dual_fmac_f32 v169, v4, v11
	s_delay_alu instid0(VALU_DEP_1) | instskip(SKIP_1) | instid1(VALU_DEP_1)
	v_fma_f32 v168, v1, v9, -v2
	v_mul_f32_e32 v1, v4, v12
	v_fma_f32 v170, v3, v11, -v1
	s_clause 0x1
	scratch_load_b128 v[1:4], off, off offset:264
	scratch_load_b128 v[9:12], off, off offset:280
	s_wait_loadcnt_dscnt 0x100
	v_mul_f32_e32 v171, v5, v2
	v_dual_mul_f32 v2, v6, v2 :: v_dual_mul_f32 v173, v7, v4
	s_delay_alu instid0(VALU_DEP_2) | instskip(NEXT) | instid1(VALU_DEP_2)
	v_fmac_f32_e32 v171, v6, v1
	v_fma_f32 v172, v5, v1, -v2
	v_mul_f32_e32 v1, v8, v4
	s_delay_alu instid0(VALU_DEP_4) | instskip(NEXT) | instid1(VALU_DEP_2)
	v_fmac_f32_e32 v173, v8, v3
	v_fma_f32 v174, v7, v3, -v1
	ds_load_2addr_b64 v[1:4], v21 offset0:95 offset1:96
	ds_load_2addr_b64 v[5:8], v21 offset0:97 offset1:98
	s_wait_loadcnt_dscnt 0x1
	v_mul_f32_e32 v175, v1, v10
	v_mul_f32_e32 v177, v3, v12
	s_delay_alu instid0(VALU_DEP_2) | instskip(NEXT) | instid1(VALU_DEP_2)
	v_fmac_f32_e32 v175, v2, v9
	v_dual_mul_f32 v2, v2, v10 :: v_dual_fmac_f32 v177, v4, v11
	s_delay_alu instid0(VALU_DEP_1) | instskip(SKIP_1) | instid1(VALU_DEP_1)
	v_fma_f32 v176, v1, v9, -v2
	v_mul_f32_e32 v1, v4, v12
	;; [unrolled: 25-line block ×5, first 2 shown]
	v_fma_f32 v202, v3, v11, -v1
	s_clause 0x1
	scratch_load_b128 v[1:4], off, off offset:392
	scratch_load_b128 v[9:12], off, off offset:408
	s_wait_loadcnt_dscnt 0x100
	v_mul_f32_e32 v203, v5, v2
	v_mul_f32_e32 v2, v6, v2
	s_delay_alu instid0(VALU_DEP_1) | instskip(SKIP_1) | instid1(VALU_DEP_1)
	v_fma_f32 v204, v5, v1, -v2
	v_add_f32_e32 v2, 0, v151
	v_add_f32_e32 v2, v2, v152
	s_delay_alu instid0(VALU_DEP_1) | instskip(NEXT) | instid1(VALU_DEP_1)
	v_add_f32_e32 v2, v2, v24
	v_add_f32_e32 v2, v2, v25
	s_delay_alu instid0(VALU_DEP_1) | instskip(NEXT) | instid1(VALU_DEP_1)
	;; [unrolled: 3-line block ×8, first 2 shown]
	v_add_f32_e32 v2, v2, v167
	v_add_f32_e32 v2, v2, v169
	v_fmac_f32_e32 v203, v6, v1
	v_mul_f32_e32 v1, v8, v4
	s_delay_alu instid0(VALU_DEP_3) | instskip(NEXT) | instid1(VALU_DEP_2)
	v_dual_mul_f32 v205, v7, v4 :: v_dual_add_f32 v2, v2, v171
	v_fma_f32 v206, v7, v3, -v1
	v_add_f32_e32 v1, 0, v22
	s_delay_alu instid0(VALU_DEP_3) | instskip(NEXT) | instid1(VALU_DEP_2)
	v_dual_fmac_f32 v205, v8, v3 :: v_dual_add_f32 v2, v2, v173
	v_add_f32_e32 v1, v1, v23
	s_delay_alu instid0(VALU_DEP_2) | instskip(NEXT) | instid1(VALU_DEP_2)
	v_add_f32_e32 v5, v2, v175
	v_add_f32_e32 v1, v1, v26
	s_delay_alu instid0(VALU_DEP_2) | instskip(NEXT) | instid1(VALU_DEP_2)
	v_add_f32_e32 v5, v5, v177
	v_add_f32_e32 v1, v1, v27
	s_delay_alu instid0(VALU_DEP_1) | instskip(NEXT) | instid1(VALU_DEP_1)
	v_add_f32_e32 v1, v1, v28
	v_add_f32_e32 v1, v1, v29
	s_delay_alu instid0(VALU_DEP_1) | instskip(NEXT) | instid1(VALU_DEP_1)
	;; [unrolled: 3-line block ×9, first 2 shown]
	v_add_f32_e32 v1, v1, v176
	v_add_f32_e32 v6, v1, v178
	ds_load_2addr_b64 v[1:4], v21 offset0:111 offset1:112
	v_dual_add_f32 v5, v5, v179 :: v_dual_add_f32 v6, v6, v180
	s_delay_alu instid0(VALU_DEP_1) | instskip(SKIP_3) | instid1(VALU_DEP_1)
	v_dual_add_f32 v14, v5, v181 :: v_dual_add_f32 v13, v6, v182
	ds_load_2addr_b64 v[5:8], v21 offset0:113 offset1:114
	v_add_f32_e32 v13, v13, v184
	s_wait_loadcnt_dscnt 0x1
	v_dual_add_f32 v13, v13, v186 :: v_dual_mul_f32 v26, v3, v12
	v_add_f32_e32 v14, v14, v183
	v_dual_mul_f32 v12, v4, v12 :: v_dual_mul_f32 v25, v1, v10
	s_delay_alu instid0(VALU_DEP_3) | instskip(NEXT) | instid1(VALU_DEP_3)
	v_dual_add_f32 v13, v13, v188 :: v_dual_fmac_f32 v26, v4, v11
	v_add_f32_e32 v14, v14, v185
	v_mul_f32_e32 v10, v2, v10
	s_delay_alu instid0(VALU_DEP_4) | instskip(NEXT) | instid1(VALU_DEP_3)
	v_fma_f32 v28, v3, v11, -v12
	v_dual_add_f32 v18, v13, v190 :: v_dual_add_f32 v17, v14, v187
	s_delay_alu instid0(VALU_DEP_3) | instskip(SKIP_2) | instid1(VALU_DEP_1)
	v_fma_f32 v27, v1, v9, -v10
	scratch_load_b128 v[13:16], off, off offset:456
	v_dual_add_f32 v18, v18, v192 :: v_dual_add_f32 v17, v17, v189
	v_dual_add_f32 v18, v18, v194 :: v_dual_add_f32 v17, v17, v191
	s_delay_alu instid0(VALU_DEP_1) | instskip(NEXT) | instid1(VALU_DEP_1)
	v_dual_add_f32 v22, v18, v196 :: v_dual_add_f32 v17, v17, v193
	v_add_f32_e32 v29, v22, v198
	s_delay_alu instid0(VALU_DEP_2)
	v_add_f32_e32 v23, v17, v195
	ds_load_2addr_b64 v[17:20], v21 offset0:115 offset1:116
	v_dual_add_f32 v29, v29, v200 :: v_dual_add_f32 v32, v23, v197
	ds_load_2addr_b64 v[21:24], v21 offset0:117 offset1:118
	v_fmac_f32_e32 v25, v2, v9
	s_clause 0x1
	scratch_load_b128 v[1:4], off, off offset:424
	scratch_load_b128 v[9:12], off, off offset:440
	v_dual_add_f32 v32, v32, v199 :: v_dual_add_f32 v29, v29, v202
	s_delay_alu instid0(VALU_DEP_1) | instskip(NEXT) | instid1(VALU_DEP_1)
	v_dual_add_f32 v32, v32, v201 :: v_dual_add_f32 v29, v29, v204
	v_dual_add_f32 v32, v32, v203 :: v_dual_add_f32 v29, v29, v206
	s_delay_alu instid0(VALU_DEP_1) | instskip(SKIP_1) | instid1(VALU_DEP_1)
	v_dual_add_f32 v32, v32, v205 :: v_dual_add_f32 v27, v29, v27
	s_wait_loadcnt_dscnt 0x200
	v_dual_mul_f32 v156, v21, v14 :: v_dual_add_f32 v25, v32, v25
	s_delay_alu instid0(VALU_DEP_1) | instskip(NEXT) | instid1(VALU_DEP_1)
	v_dual_mul_f32 v29, v23, v16 :: v_dual_fmac_f32 v156, v22, v13
	v_fmac_f32_e32 v29, v24, v15
	s_wait_loadcnt 0x1
	v_mul_f32_e32 v151, v5, v2
	v_mul_f32_e32 v2, v6, v2
	;; [unrolled: 1-line block ×4, first 2 shown]
	s_wait_loadcnt 0x0
	v_dual_mul_f32 v154, v17, v10 :: v_dual_fmac_f32 v151, v6, v1
	v_fma_f32 v2, v5, v1, -v2
	v_add_f32_e32 v1, v27, v28
	v_add_f32_e32 v5, v25, v26
	v_mul_f32_e32 v6, v18, v10
	v_fmac_f32_e32 v152, v8, v3
	v_fma_f32 v3, v7, v3, -v4
	v_add_f32_e32 v1, v1, v2
	v_dual_add_f32 v2, v5, v151 :: v_dual_mul_f32 v155, v19, v12
	v_mul_f32_e32 v4, v20, v12
	v_fmac_f32_e32 v154, v18, v9
	v_fma_f32 v5, v17, v9, -v6
	s_delay_alu instid0(VALU_DEP_4) | instskip(SKIP_3) | instid1(VALU_DEP_4)
	v_dual_add_f32 v1, v1, v3 :: v_dual_add_f32 v2, v2, v152
	v_mul_f32_e32 v3, v22, v14
	v_fmac_f32_e32 v155, v20, v11
	v_fma_f32 v4, v19, v11, -v4
	v_dual_add_f32 v1, v1, v5 :: v_dual_add_f32 v2, v2, v154
	v_mul_f32_e32 v5, v24, v16
	v_fma_f32 v3, v21, v13, -v3
	s_delay_alu instid0(VALU_DEP_3) | instskip(NEXT) | instid1(VALU_DEP_3)
	v_dual_add_f32 v1, v1, v4 :: v_dual_add_f32 v2, v2, v155
	v_fma_f32 v4, v23, v15, -v5
	s_delay_alu instid0(VALU_DEP_2) | instskip(NEXT) | instid1(VALU_DEP_1)
	v_dual_add_f32 v1, v1, v3 :: v_dual_add_f32 v2, v2, v156
	v_dual_add_f32 v1, v1, v4 :: v_dual_add_f32 v2, v2, v29
	s_delay_alu instid0(VALU_DEP_1)
	v_dual_sub_f32 v1, v30, v1 :: v_dual_sub_f32 v2, v31, v2
	scratch_store_b64 off, v[1:2], off offset:112
	v_cmpx_lt_u32_e32 13, v0
	s_cbranch_execz .LBB122_341
; %bb.340:
	scratch_load_b64 v[1:2], off, off offset:104
	v_mov_b32_e32 v3, 0
	s_delay_alu instid0(VALU_DEP_1)
	v_mov_b32_e32 v4, v3
	scratch_store_b64 off, v[3:4], off offset:104
	s_wait_loadcnt 0x0
	ds_store_b64 v153, v[1:2]
.LBB122_341:
	s_wait_alu 0xfffe
	s_or_b32 exec_lo, exec_lo, s0
	s_wait_storecnt_dscnt 0x0
	s_barrier_signal -1
	s_barrier_wait -1
	global_inv scope:SCOPE_SE
	s_clause 0x4
	scratch_load_b128 v[5:8], off, off offset:112
	scratch_load_b128 v[1:4], off, off offset:128
	;; [unrolled: 1-line block ×5, first 2 shown]
	v_mov_b32_e32 v21, 0
	ds_load_b128 v[22:25], v21 offset:592
	ds_load_b128 v[26:29], v21 offset:608
	;; [unrolled: 1-line block ×3, first 2 shown]
	scratch_load_b64 v[30:31], off, off offset:104
	s_mov_b32 s0, exec_lo
	s_wait_loadcnt_dscnt 0x502
	v_mul_f32_e32 v32, v23, v6
	v_dual_mul_f32 v151, v22, v6 :: v_dual_mul_f32 v152, v24, v8
	v_mul_f32_e32 v6, v25, v8
	s_wait_loadcnt_dscnt 0x300
	v_mul_f32_e32 v158, v156, v12
	v_fma_f32 v22, v22, v5, -v32
	v_dual_fmac_f32 v151, v23, v5 :: v_dual_fmac_f32 v152, v25, v7
	v_mul_f32_e32 v25, v28, v4
	v_fma_f32 v23, v24, v7, -v6
	ds_load_b128 v[5:8], v21 offset:640
	v_mul_f32_e32 v24, v26, v2
	v_mul_f32_e32 v4, v29, v4
	v_mul_f32_e32 v32, v154, v10
	v_mul_f32_e32 v10, v155, v10
	v_mul_f32_e32 v12, v157, v12
	v_dual_mul_f32 v2, v27, v2 :: v_dual_fmac_f32 v25, v29, v3
	v_fmac_f32_e32 v24, v27, v1
	v_fma_f32 v27, v28, v3, -v4
	v_fmac_f32_e32 v32, v155, v9
	v_fma_f32 v28, v154, v9, -v10
	;; [unrolled: 2-line block ×3, first 2 shown]
	ds_load_b128 v[9:12], v21 offset:656
	s_wait_loadcnt_dscnt 0x201
	v_dual_mul_f32 v155, v7, v16 :: v_dual_mul_f32 v154, v5, v14
	v_mul_f32_e32 v14, v6, v14
	v_mul_f32_e32 v16, v8, v16
	s_delay_alu instid0(VALU_DEP_3)
	v_fmac_f32_e32 v155, v8, v15
	v_fma_f32 v26, v26, v1, -v2
	scratch_load_b128 v[1:4], off, off offset:192
	v_fmac_f32_e32 v154, v6, v13
	v_fma_f32 v13, v5, v13, -v14
	v_fma_f32 v14, v7, v15, -v16
	ds_load_b128 v[5:8], v21 offset:672
	s_wait_loadcnt_dscnt 0x201
	v_mul_f32_e32 v15, v9, v18
	v_mul_f32_e32 v16, v10, v18
	;; [unrolled: 1-line block ×3, first 2 shown]
	s_delay_alu instid0(VALU_DEP_3) | instskip(NEXT) | instid1(VALU_DEP_3)
	v_dual_mul_f32 v20, v12, v20 :: v_dual_fmac_f32 v15, v10, v17
	v_fma_f32 v16, v9, v17, -v16
	s_delay_alu instid0(VALU_DEP_3) | instskip(NEXT) | instid1(VALU_DEP_3)
	v_fmac_f32_e32 v18, v12, v19
	v_fma_f32 v17, v11, v19, -v20
	scratch_load_b128 v[9:12], off, off offset:208
	s_wait_loadcnt_dscnt 0x100
	v_mul_f32_e32 v19, v5, v2
	v_mul_f32_e32 v2, v6, v2
	;; [unrolled: 1-line block ×3, first 2 shown]
	s_delay_alu instid0(VALU_DEP_3) | instskip(NEXT) | instid1(VALU_DEP_3)
	v_dual_mul_f32 v4, v8, v4 :: v_dual_fmac_f32 v19, v6, v1
	v_fma_f32 v156, v5, v1, -v2
	s_delay_alu instid0(VALU_DEP_3) | instskip(NEXT) | instid1(VALU_DEP_3)
	v_fmac_f32_e32 v20, v8, v3
	v_fma_f32 v157, v7, v3, -v4
	ds_load_b128 v[1:4], v21 offset:688
	ds_load_b128 v[5:8], v21 offset:704
	s_wait_loadcnt_dscnt 0x1
	v_mul_f32_e32 v159, v1, v10
	v_mul_f32_e32 v10, v2, v10
	s_delay_alu instid0(VALU_DEP_2) | instskip(NEXT) | instid1(VALU_DEP_2)
	v_dual_mul_f32 v160, v3, v12 :: v_dual_fmac_f32 v159, v2, v9
	v_fma_f32 v161, v1, v9, -v10
	v_mul_f32_e32 v1, v4, v12
	s_delay_alu instid0(VALU_DEP_3) | instskip(NEXT) | instid1(VALU_DEP_2)
	v_fmac_f32_e32 v160, v4, v11
	v_fma_f32 v162, v3, v11, -v1
	s_clause 0x1
	scratch_load_b128 v[1:4], off, off offset:224
	scratch_load_b128 v[9:12], off, off offset:240
	s_wait_loadcnt_dscnt 0x100
	v_mul_f32_e32 v163, v5, v2
	v_dual_mul_f32 v2, v6, v2 :: v_dual_mul_f32 v165, v7, v4
	s_delay_alu instid0(VALU_DEP_2) | instskip(NEXT) | instid1(VALU_DEP_2)
	v_fmac_f32_e32 v163, v6, v1
	v_fma_f32 v164, v5, v1, -v2
	v_mul_f32_e32 v1, v8, v4
	s_delay_alu instid0(VALU_DEP_4) | instskip(NEXT) | instid1(VALU_DEP_2)
	v_fmac_f32_e32 v165, v8, v3
	v_fma_f32 v166, v7, v3, -v1
	ds_load_b128 v[1:4], v21 offset:720
	ds_load_b128 v[5:8], v21 offset:736
	s_wait_loadcnt_dscnt 0x1
	v_mul_f32_e32 v167, v1, v10
	v_mul_f32_e32 v169, v3, v12
	s_delay_alu instid0(VALU_DEP_2) | instskip(NEXT) | instid1(VALU_DEP_2)
	v_fmac_f32_e32 v167, v2, v9
	v_dual_mul_f32 v2, v2, v10 :: v_dual_fmac_f32 v169, v4, v11
	s_delay_alu instid0(VALU_DEP_1) | instskip(SKIP_1) | instid1(VALU_DEP_1)
	v_fma_f32 v168, v1, v9, -v2
	v_mul_f32_e32 v1, v4, v12
	v_fma_f32 v170, v3, v11, -v1
	s_clause 0x1
	scratch_load_b128 v[1:4], off, off offset:256
	scratch_load_b128 v[9:12], off, off offset:272
	s_wait_loadcnt_dscnt 0x100
	v_mul_f32_e32 v171, v5, v2
	v_dual_mul_f32 v2, v6, v2 :: v_dual_mul_f32 v173, v7, v4
	s_delay_alu instid0(VALU_DEP_2) | instskip(NEXT) | instid1(VALU_DEP_2)
	v_fmac_f32_e32 v171, v6, v1
	v_fma_f32 v172, v5, v1, -v2
	v_mul_f32_e32 v1, v8, v4
	s_delay_alu instid0(VALU_DEP_4) | instskip(NEXT) | instid1(VALU_DEP_2)
	v_fmac_f32_e32 v173, v8, v3
	v_fma_f32 v174, v7, v3, -v1
	ds_load_b128 v[1:4], v21 offset:752
	ds_load_b128 v[5:8], v21 offset:768
	s_wait_loadcnt_dscnt 0x1
	v_mul_f32_e32 v175, v1, v10
	v_mul_f32_e32 v177, v3, v12
	s_delay_alu instid0(VALU_DEP_2) | instskip(NEXT) | instid1(VALU_DEP_2)
	v_fmac_f32_e32 v175, v2, v9
	v_dual_mul_f32 v2, v2, v10 :: v_dual_fmac_f32 v177, v4, v11
	s_delay_alu instid0(VALU_DEP_1) | instskip(SKIP_1) | instid1(VALU_DEP_1)
	v_fma_f32 v176, v1, v9, -v2
	v_mul_f32_e32 v1, v4, v12
	;; [unrolled: 25-line block ×5, first 2 shown]
	v_fma_f32 v202, v3, v11, -v1
	s_clause 0x1
	scratch_load_b128 v[1:4], off, off offset:384
	scratch_load_b128 v[9:12], off, off offset:400
	s_wait_loadcnt_dscnt 0x100
	v_mul_f32_e32 v203, v5, v2
	v_mul_f32_e32 v2, v6, v2
	s_delay_alu instid0(VALU_DEP_1) | instskip(SKIP_1) | instid1(VALU_DEP_1)
	v_fma_f32 v204, v5, v1, -v2
	v_add_f32_e32 v2, 0, v151
	v_add_f32_e32 v2, v2, v152
	s_delay_alu instid0(VALU_DEP_1) | instskip(NEXT) | instid1(VALU_DEP_1)
	v_add_f32_e32 v2, v2, v24
	v_add_f32_e32 v2, v2, v25
	s_delay_alu instid0(VALU_DEP_1) | instskip(NEXT) | instid1(VALU_DEP_1)
	;; [unrolled: 3-line block ×8, first 2 shown]
	v_add_f32_e32 v2, v2, v167
	v_add_f32_e32 v2, v2, v169
	s_delay_alu instid0(VALU_DEP_1) | instskip(SKIP_2) | instid1(VALU_DEP_3)
	v_add_f32_e32 v2, v2, v171
	v_fmac_f32_e32 v203, v6, v1
	v_mul_f32_e32 v1, v8, v4
	v_dual_mul_f32 v205, v7, v4 :: v_dual_add_f32 v2, v2, v173
	s_delay_alu instid0(VALU_DEP_2) | instskip(SKIP_1) | instid1(VALU_DEP_3)
	v_fma_f32 v206, v7, v3, -v1
	v_add_f32_e32 v1, 0, v22
	v_add_f32_e32 v5, v2, v175
	s_delay_alu instid0(VALU_DEP_2) | instskip(NEXT) | instid1(VALU_DEP_2)
	v_add_f32_e32 v1, v1, v23
	v_add_f32_e32 v5, v5, v177
	s_delay_alu instid0(VALU_DEP_2) | instskip(NEXT) | instid1(VALU_DEP_1)
	v_add_f32_e32 v1, v1, v26
	v_add_f32_e32 v1, v1, v27
	scratch_load_b64 v[26:27], off, off offset:464
	v_add_f32_e32 v1, v1, v28
	s_delay_alu instid0(VALU_DEP_1) | instskip(NEXT) | instid1(VALU_DEP_1)
	v_add_f32_e32 v1, v1, v29
	v_add_f32_e32 v1, v1, v13
	s_delay_alu instid0(VALU_DEP_1) | instskip(NEXT) | instid1(VALU_DEP_1)
	v_add_f32_e32 v1, v1, v14
	;; [unrolled: 3-line block ×8, first 2 shown]
	v_add_f32_e32 v1, v1, v176
	s_delay_alu instid0(VALU_DEP_1) | instskip(SKIP_2) | instid1(VALU_DEP_1)
	v_dual_add_f32 v6, v1, v178 :: v_dual_fmac_f32 v205, v8, v3
	ds_load_b128 v[1:4], v21 offset:880
	v_dual_add_f32 v5, v5, v179 :: v_dual_add_f32 v6, v6, v180
	v_dual_add_f32 v14, v5, v181 :: v_dual_add_f32 v13, v6, v182
	ds_load_b128 v[5:8], v21 offset:896
	s_wait_loadcnt_dscnt 0x101
	v_mul_f32_e32 v32, v1, v10
	v_dual_mul_f32 v10, v2, v10 :: v_dual_mul_f32 v151, v3, v12
	v_mul_f32_e32 v12, v4, v12
	v_add_f32_e32 v14, v14, v183
	s_delay_alu instid0(VALU_DEP_4) | instskip(NEXT) | instid1(VALU_DEP_4)
	v_fmac_f32_e32 v32, v2, v9
	v_fma_f32 v152, v1, v9, -v10
	v_fmac_f32_e32 v151, v4, v11
	v_fma_f32 v154, v3, v11, -v12
	s_clause 0x1
	scratch_load_b128 v[1:4], off, off offset:416
	scratch_load_b128 v[9:12], off, off offset:432
	v_dual_add_f32 v13, v13, v184 :: v_dual_add_f32 v14, v14, v185
	s_delay_alu instid0(VALU_DEP_1) | instskip(NEXT) | instid1(VALU_DEP_2)
	v_add_f32_e32 v13, v13, v186
	v_add_f32_e32 v17, v14, v187
	s_delay_alu instid0(VALU_DEP_2) | instskip(NEXT) | instid1(VALU_DEP_2)
	v_add_f32_e32 v13, v13, v188
	v_add_f32_e32 v17, v17, v189
	s_delay_alu instid0(VALU_DEP_2) | instskip(SKIP_2) | instid1(VALU_DEP_1)
	v_add_f32_e32 v18, v13, v190
	scratch_load_b128 v[13:16], off, off offset:448
	v_dual_add_f32 v17, v17, v191 :: v_dual_add_f32 v18, v18, v192
	v_dual_add_f32 v17, v17, v193 :: v_dual_add_f32 v18, v18, v194
	s_delay_alu instid0(VALU_DEP_1) | instskip(NEXT) | instid1(VALU_DEP_1)
	v_dual_add_f32 v17, v17, v195 :: v_dual_add_f32 v18, v18, v196
	v_add_f32_e32 v22, v17, v197
	s_delay_alu instid0(VALU_DEP_2) | instskip(NEXT) | instid1(VALU_DEP_1)
	v_add_f32_e32 v18, v18, v198
	v_add_f32_e32 v28, v18, v200
	ds_load_b128 v[17:20], v21 offset:912
	s_wait_loadcnt_dscnt 0x201
	v_dual_mul_f32 v158, v7, v4 :: v_dual_add_f32 v29, v22, v199
	ds_load_b128 v[22:25], v21 offset:928
	v_add_f32_e32 v155, v28, v202
	v_dual_mul_f32 v4, v8, v4 :: v_dual_mul_f32 v157, v5, v2
	v_add_f32_e32 v156, v29, v201
	s_delay_alu instid0(VALU_DEP_3)
	v_dual_mul_f32 v2, v6, v2 :: v_dual_add_f32 v155, v155, v204
	ds_load_b64 v[28:29], v21 offset:944
	v_dual_fmac_f32 v157, v6, v1 :: v_dual_add_f32 v156, v156, v203
	v_fma_f32 v2, v5, v1, -v2
	v_dual_add_f32 v155, v155, v206 :: v_dual_fmac_f32 v158, v8, v3
	v_fma_f32 v1, v7, v3, -v4
	s_wait_loadcnt_dscnt 0x102
	v_dual_add_f32 v156, v156, v205 :: v_dual_mul_f32 v3, v18, v10
	s_delay_alu instid0(VALU_DEP_3) | instskip(SKIP_1) | instid1(VALU_DEP_3)
	v_dual_add_f32 v152, v155, v152 :: v_dual_mul_f32 v155, v17, v10
	v_mul_f32_e32 v5, v20, v12
	v_add_f32_e32 v32, v156, v32
	v_mul_f32_e32 v156, v19, v12
	s_delay_alu instid0(VALU_DEP_4) | instskip(SKIP_3) | instid1(VALU_DEP_3)
	v_dual_add_f32 v152, v152, v154 :: v_dual_fmac_f32 v155, v18, v9
	v_fma_f32 v3, v17, v9, -v3
	s_wait_loadcnt_dscnt 0x1
	v_dual_add_f32 v32, v32, v151 :: v_dual_mul_f32 v159, v22, v14
	v_add_f32_e32 v2, v152, v2
	v_fmac_f32_e32 v156, v20, v11
	v_fma_f32 v5, v19, v11, -v5
	s_delay_alu instid0(VALU_DEP_4) | instskip(NEXT) | instid1(VALU_DEP_4)
	v_add_f32_e32 v4, v32, v157
	v_dual_mul_f32 v154, v24, v16 :: v_dual_add_f32 v1, v2, v1
	v_fmac_f32_e32 v159, v23, v13
	s_wait_dscnt 0x0
	v_mul_f32_e32 v151, v28, v27
	v_add_f32_e32 v2, v4, v158
	v_dual_mul_f32 v4, v23, v14 :: v_dual_add_f32 v1, v1, v3
	v_mul_f32_e32 v3, v25, v16
	v_fmac_f32_e32 v154, v25, v15
	s_delay_alu instid0(VALU_DEP_4) | instskip(NEXT) | instid1(VALU_DEP_4)
	v_add_f32_e32 v2, v2, v155
	v_fma_f32 v4, v22, v13, -v4
	v_add_f32_e32 v1, v1, v5
	v_mul_f32_e32 v5, v29, v27
	v_fma_f32 v3, v24, v15, -v3
	v_dual_add_f32 v2, v2, v156 :: v_dual_fmac_f32 v151, v29, v26
	s_delay_alu instid0(VALU_DEP_4) | instskip(NEXT) | instid1(VALU_DEP_4)
	v_add_f32_e32 v1, v1, v4
	v_fma_f32 v4, v28, v26, -v5
	s_delay_alu instid0(VALU_DEP_3) | instskip(NEXT) | instid1(VALU_DEP_1)
	v_add_f32_e32 v2, v2, v159
	v_dual_add_f32 v1, v1, v3 :: v_dual_add_f32 v2, v2, v154
	s_delay_alu instid0(VALU_DEP_1) | instskip(NEXT) | instid1(VALU_DEP_1)
	v_dual_add_f32 v1, v1, v4 :: v_dual_add_f32 v2, v2, v151
	v_dual_sub_f32 v1, v30, v1 :: v_dual_sub_f32 v2, v31, v2
	scratch_store_b64 off, v[1:2], off offset:104
	v_cmpx_lt_u32_e32 12, v0
	s_cbranch_execz .LBB122_343
; %bb.342:
	scratch_load_b64 v[1:2], off, off offset:96
	v_mov_b32_e32 v22, v21
	scratch_store_b64 off, v[21:22], off offset:96
	s_wait_loadcnt 0x0
	ds_store_b64 v153, v[1:2]
.LBB122_343:
	s_wait_alu 0xfffe
	s_or_b32 exec_lo, exec_lo, s0
	s_wait_storecnt_dscnt 0x0
	s_barrier_signal -1
	s_barrier_wait -1
	global_inv scope:SCOPE_SE
	s_clause 0x4
	scratch_load_b128 v[5:8], off, off offset:104
	scratch_load_b128 v[1:4], off, off offset:120
	;; [unrolled: 1-line block ×5, first 2 shown]
	ds_load_2addr_b64 v[22:25], v21 offset0:73 offset1:74
	ds_load_2addr_b64 v[26:29], v21 offset0:75 offset1:76
	;; [unrolled: 1-line block ×3, first 2 shown]
	scratch_load_b64 v[30:31], off, off offset:96
	s_mov_b32 s0, exec_lo
	s_wait_loadcnt_dscnt 0x502
	v_mul_f32_e32 v32, v23, v6
	v_dual_mul_f32 v151, v22, v6 :: v_dual_mul_f32 v152, v24, v8
	v_mul_f32_e32 v6, v25, v8
	s_wait_loadcnt_dscnt 0x300
	v_mul_f32_e32 v158, v156, v12
	s_delay_alu instid0(VALU_DEP_3)
	v_dual_mul_f32 v12, v157, v12 :: v_dual_fmac_f32 v151, v23, v5
	v_fmac_f32_e32 v152, v25, v7
	v_fma_f32 v23, v24, v7, -v6
	v_mul_f32_e32 v25, v28, v4
	v_fma_f32 v22, v22, v5, -v32
	ds_load_2addr_b64 v[5:8], v21 offset0:79 offset1:80
	v_mul_f32_e32 v24, v26, v2
	v_mul_f32_e32 v4, v29, v4
	;; [unrolled: 1-line block ×4, first 2 shown]
	v_dual_mul_f32 v2, v27, v2 :: v_dual_fmac_f32 v25, v29, v3
	v_fmac_f32_e32 v24, v27, v1
	v_fma_f32 v27, v28, v3, -v4
	v_fmac_f32_e32 v32, v155, v9
	v_fma_f32 v28, v154, v9, -v10
	;; [unrolled: 2-line block ×3, first 2 shown]
	ds_load_2addr_b64 v[9:12], v21 offset0:81 offset1:82
	s_wait_loadcnt_dscnt 0x201
	v_dual_mul_f32 v155, v7, v16 :: v_dual_mul_f32 v154, v5, v14
	v_mul_f32_e32 v14, v6, v14
	v_mul_f32_e32 v16, v8, v16
	s_delay_alu instid0(VALU_DEP_3)
	v_fmac_f32_e32 v155, v8, v15
	v_fma_f32 v26, v26, v1, -v2
	scratch_load_b128 v[1:4], off, off offset:184
	v_fmac_f32_e32 v154, v6, v13
	v_fma_f32 v13, v5, v13, -v14
	v_fma_f32 v14, v7, v15, -v16
	ds_load_2addr_b64 v[5:8], v21 offset0:83 offset1:84
	s_wait_loadcnt_dscnt 0x201
	v_mul_f32_e32 v15, v9, v18
	v_mul_f32_e32 v16, v10, v18
	;; [unrolled: 1-line block ×3, first 2 shown]
	s_delay_alu instid0(VALU_DEP_3) | instskip(NEXT) | instid1(VALU_DEP_3)
	v_dual_mul_f32 v20, v12, v20 :: v_dual_fmac_f32 v15, v10, v17
	v_fma_f32 v16, v9, v17, -v16
	s_delay_alu instid0(VALU_DEP_3) | instskip(NEXT) | instid1(VALU_DEP_3)
	v_fmac_f32_e32 v18, v12, v19
	v_fma_f32 v17, v11, v19, -v20
	scratch_load_b128 v[9:12], off, off offset:200
	s_wait_loadcnt_dscnt 0x100
	v_mul_f32_e32 v19, v5, v2
	v_mul_f32_e32 v2, v6, v2
	;; [unrolled: 1-line block ×3, first 2 shown]
	s_delay_alu instid0(VALU_DEP_3) | instskip(NEXT) | instid1(VALU_DEP_3)
	v_dual_mul_f32 v4, v8, v4 :: v_dual_fmac_f32 v19, v6, v1
	v_fma_f32 v156, v5, v1, -v2
	s_delay_alu instid0(VALU_DEP_3) | instskip(NEXT) | instid1(VALU_DEP_3)
	v_fmac_f32_e32 v20, v8, v3
	v_fma_f32 v157, v7, v3, -v4
	ds_load_2addr_b64 v[1:4], v21 offset0:85 offset1:86
	ds_load_2addr_b64 v[5:8], v21 offset0:87 offset1:88
	s_wait_loadcnt_dscnt 0x1
	v_mul_f32_e32 v159, v1, v10
	v_mul_f32_e32 v10, v2, v10
	s_delay_alu instid0(VALU_DEP_2) | instskip(NEXT) | instid1(VALU_DEP_2)
	v_dual_mul_f32 v160, v3, v12 :: v_dual_fmac_f32 v159, v2, v9
	v_fma_f32 v161, v1, v9, -v10
	v_mul_f32_e32 v1, v4, v12
	s_delay_alu instid0(VALU_DEP_3) | instskip(NEXT) | instid1(VALU_DEP_2)
	v_fmac_f32_e32 v160, v4, v11
	v_fma_f32 v162, v3, v11, -v1
	s_clause 0x1
	scratch_load_b128 v[1:4], off, off offset:216
	scratch_load_b128 v[9:12], off, off offset:232
	s_wait_loadcnt_dscnt 0x100
	v_mul_f32_e32 v163, v5, v2
	v_dual_mul_f32 v2, v6, v2 :: v_dual_mul_f32 v165, v7, v4
	s_delay_alu instid0(VALU_DEP_2) | instskip(NEXT) | instid1(VALU_DEP_2)
	v_fmac_f32_e32 v163, v6, v1
	v_fma_f32 v164, v5, v1, -v2
	v_mul_f32_e32 v1, v8, v4
	s_delay_alu instid0(VALU_DEP_4) | instskip(NEXT) | instid1(VALU_DEP_2)
	v_fmac_f32_e32 v165, v8, v3
	v_fma_f32 v166, v7, v3, -v1
	ds_load_2addr_b64 v[1:4], v21 offset0:89 offset1:90
	ds_load_2addr_b64 v[5:8], v21 offset0:91 offset1:92
	s_wait_loadcnt_dscnt 0x1
	v_mul_f32_e32 v167, v1, v10
	v_mul_f32_e32 v169, v3, v12
	s_delay_alu instid0(VALU_DEP_2) | instskip(NEXT) | instid1(VALU_DEP_2)
	v_fmac_f32_e32 v167, v2, v9
	v_dual_mul_f32 v2, v2, v10 :: v_dual_fmac_f32 v169, v4, v11
	s_delay_alu instid0(VALU_DEP_1) | instskip(SKIP_1) | instid1(VALU_DEP_1)
	v_fma_f32 v168, v1, v9, -v2
	v_mul_f32_e32 v1, v4, v12
	v_fma_f32 v170, v3, v11, -v1
	s_clause 0x1
	scratch_load_b128 v[1:4], off, off offset:248
	scratch_load_b128 v[9:12], off, off offset:264
	s_wait_loadcnt_dscnt 0x100
	v_mul_f32_e32 v171, v5, v2
	v_dual_mul_f32 v2, v6, v2 :: v_dual_mul_f32 v173, v7, v4
	s_delay_alu instid0(VALU_DEP_2) | instskip(NEXT) | instid1(VALU_DEP_2)
	v_fmac_f32_e32 v171, v6, v1
	v_fma_f32 v172, v5, v1, -v2
	v_mul_f32_e32 v1, v8, v4
	s_delay_alu instid0(VALU_DEP_4) | instskip(NEXT) | instid1(VALU_DEP_2)
	v_fmac_f32_e32 v173, v8, v3
	v_fma_f32 v174, v7, v3, -v1
	ds_load_2addr_b64 v[1:4], v21 offset0:93 offset1:94
	ds_load_2addr_b64 v[5:8], v21 offset0:95 offset1:96
	s_wait_loadcnt_dscnt 0x1
	v_mul_f32_e32 v175, v1, v10
	v_mul_f32_e32 v177, v3, v12
	s_delay_alu instid0(VALU_DEP_2) | instskip(NEXT) | instid1(VALU_DEP_2)
	v_fmac_f32_e32 v175, v2, v9
	v_dual_mul_f32 v2, v2, v10 :: v_dual_fmac_f32 v177, v4, v11
	s_delay_alu instid0(VALU_DEP_1) | instskip(SKIP_1) | instid1(VALU_DEP_1)
	v_fma_f32 v176, v1, v9, -v2
	v_mul_f32_e32 v1, v4, v12
	v_fma_f32 v178, v3, v11, -v1
	s_clause 0x1
	scratch_load_b128 v[1:4], off, off offset:280
	scratch_load_b128 v[9:12], off, off offset:296
	s_wait_loadcnt_dscnt 0x100
	v_mul_f32_e32 v179, v5, v2
	v_dual_mul_f32 v2, v6, v2 :: v_dual_mul_f32 v181, v7, v4
	s_delay_alu instid0(VALU_DEP_1) | instskip(NEXT) | instid1(VALU_DEP_3)
	v_fma_f32 v180, v5, v1, -v2
	v_fmac_f32_e32 v179, v6, v1
	v_mul_f32_e32 v1, v8, v4
	s_delay_alu instid0(VALU_DEP_4) | instskip(NEXT) | instid1(VALU_DEP_2)
	v_fmac_f32_e32 v181, v8, v3
	v_fma_f32 v182, v7, v3, -v1
	ds_load_2addr_b64 v[1:4], v21 offset0:97 offset1:98
	ds_load_2addr_b64 v[5:8], v21 offset0:99 offset1:100
	s_wait_loadcnt_dscnt 0x1
	v_mul_f32_e32 v183, v1, v10
	v_mul_f32_e32 v185, v3, v12
	s_delay_alu instid0(VALU_DEP_2) | instskip(NEXT) | instid1(VALU_DEP_2)
	v_fmac_f32_e32 v183, v2, v9
	v_dual_mul_f32 v2, v2, v10 :: v_dual_fmac_f32 v185, v4, v11
	s_delay_alu instid0(VALU_DEP_1) | instskip(SKIP_1) | instid1(VALU_DEP_1)
	v_fma_f32 v184, v1, v9, -v2
	v_mul_f32_e32 v1, v4, v12
	v_fma_f32 v186, v3, v11, -v1
	s_clause 0x1
	scratch_load_b128 v[1:4], off, off offset:312
	scratch_load_b128 v[9:12], off, off offset:328
	s_wait_loadcnt_dscnt 0x100
	v_mul_f32_e32 v187, v5, v2
	v_dual_mul_f32 v2, v6, v2 :: v_dual_mul_f32 v189, v7, v4
	s_delay_alu instid0(VALU_DEP_2) | instskip(NEXT) | instid1(VALU_DEP_2)
	v_fmac_f32_e32 v187, v6, v1
	v_fma_f32 v188, v5, v1, -v2
	v_mul_f32_e32 v1, v8, v4
	s_delay_alu instid0(VALU_DEP_4) | instskip(NEXT) | instid1(VALU_DEP_2)
	v_fmac_f32_e32 v189, v8, v3
	v_fma_f32 v190, v7, v3, -v1
	ds_load_2addr_b64 v[1:4], v21 offset0:101 offset1:102
	ds_load_2addr_b64 v[5:8], v21 offset0:103 offset1:104
	s_wait_loadcnt_dscnt 0x1
	v_mul_f32_e32 v191, v1, v10
	v_mul_f32_e32 v193, v3, v12
	s_delay_alu instid0(VALU_DEP_2) | instskip(NEXT) | instid1(VALU_DEP_2)
	v_fmac_f32_e32 v191, v2, v9
	v_dual_mul_f32 v2, v2, v10 :: v_dual_fmac_f32 v193, v4, v11
	s_delay_alu instid0(VALU_DEP_1) | instskip(SKIP_1) | instid1(VALU_DEP_1)
	v_fma_f32 v192, v1, v9, -v2
	v_mul_f32_e32 v1, v4, v12
	v_fma_f32 v194, v3, v11, -v1
	s_clause 0x1
	scratch_load_b128 v[1:4], off, off offset:344
	scratch_load_b128 v[9:12], off, off offset:360
	s_wait_loadcnt_dscnt 0x100
	v_mul_f32_e32 v195, v5, v2
	v_dual_mul_f32 v2, v6, v2 :: v_dual_mul_f32 v197, v7, v4
	s_delay_alu instid0(VALU_DEP_2) | instskip(NEXT) | instid1(VALU_DEP_2)
	v_fmac_f32_e32 v195, v6, v1
	v_fma_f32 v196, v5, v1, -v2
	v_mul_f32_e32 v1, v8, v4
	s_delay_alu instid0(VALU_DEP_4) | instskip(NEXT) | instid1(VALU_DEP_2)
	v_fmac_f32_e32 v197, v8, v3
	v_fma_f32 v198, v7, v3, -v1
	ds_load_2addr_b64 v[1:4], v21 offset0:105 offset1:106
	ds_load_2addr_b64 v[5:8], v21 offset0:107 offset1:108
	s_wait_loadcnt_dscnt 0x1
	v_mul_f32_e32 v199, v1, v10
	v_mul_f32_e32 v201, v3, v12
	s_delay_alu instid0(VALU_DEP_2) | instskip(NEXT) | instid1(VALU_DEP_2)
	v_fmac_f32_e32 v199, v2, v9
	v_dual_mul_f32 v2, v2, v10 :: v_dual_fmac_f32 v201, v4, v11
	s_delay_alu instid0(VALU_DEP_1) | instskip(SKIP_1) | instid1(VALU_DEP_1)
	v_fma_f32 v200, v1, v9, -v2
	v_mul_f32_e32 v1, v4, v12
	v_fma_f32 v202, v3, v11, -v1
	s_clause 0x1
	scratch_load_b128 v[1:4], off, off offset:376
	scratch_load_b128 v[9:12], off, off offset:392
	s_wait_loadcnt_dscnt 0x100
	v_mul_f32_e32 v203, v5, v2
	v_mul_f32_e32 v2, v6, v2
	s_delay_alu instid0(VALU_DEP_1) | instskip(SKIP_1) | instid1(VALU_DEP_1)
	v_fma_f32 v204, v5, v1, -v2
	v_add_f32_e32 v2, 0, v151
	v_add_f32_e32 v2, v2, v152
	s_delay_alu instid0(VALU_DEP_1) | instskip(NEXT) | instid1(VALU_DEP_1)
	v_add_f32_e32 v2, v2, v24
	v_add_f32_e32 v2, v2, v25
	s_delay_alu instid0(VALU_DEP_1) | instskip(NEXT) | instid1(VALU_DEP_1)
	v_add_f32_e32 v2, v2, v32
	v_add_f32_e32 v2, v2, v158
	s_delay_alu instid0(VALU_DEP_1) | instskip(NEXT) | instid1(VALU_DEP_1)
	v_add_f32_e32 v2, v2, v154
	v_add_f32_e32 v2, v2, v155
	s_delay_alu instid0(VALU_DEP_1) | instskip(NEXT) | instid1(VALU_DEP_1)
	v_add_f32_e32 v2, v2, v15
	v_add_f32_e32 v2, v2, v18
	s_delay_alu instid0(VALU_DEP_1) | instskip(NEXT) | instid1(VALU_DEP_1)
	v_add_f32_e32 v2, v2, v19
	v_add_f32_e32 v2, v2, v20
	s_delay_alu instid0(VALU_DEP_1) | instskip(NEXT) | instid1(VALU_DEP_1)
	v_add_f32_e32 v2, v2, v159
	v_add_f32_e32 v2, v2, v160
	s_delay_alu instid0(VALU_DEP_1) | instskip(NEXT) | instid1(VALU_DEP_1)
	v_add_f32_e32 v2, v2, v163
	v_add_f32_e32 v2, v2, v165
	s_delay_alu instid0(VALU_DEP_1) | instskip(NEXT) | instid1(VALU_DEP_1)
	v_add_f32_e32 v2, v2, v167
	v_dual_add_f32 v2, v2, v169 :: v_dual_mul_f32 v205, v7, v4
	v_fmac_f32_e32 v203, v6, v1
	s_delay_alu instid0(VALU_DEP_2) | instskip(NEXT) | instid1(VALU_DEP_1)
	v_add_f32_e32 v2, v2, v171
	v_dual_fmac_f32 v205, v8, v3 :: v_dual_add_f32 v2, v2, v173
	s_delay_alu instid0(VALU_DEP_1) | instskip(NEXT) | instid1(VALU_DEP_1)
	v_dual_mul_f32 v1, v8, v4 :: v_dual_add_f32 v2, v2, v175
	v_fma_f32 v206, v7, v3, -v1
	v_add_f32_e32 v1, 0, v22
	s_delay_alu instid0(VALU_DEP_3) | instskip(NEXT) | instid1(VALU_DEP_2)
	v_add_f32_e32 v5, v2, v177
	v_add_f32_e32 v1, v1, v23
	s_delay_alu instid0(VALU_DEP_1) | instskip(NEXT) | instid1(VALU_DEP_1)
	v_add_f32_e32 v1, v1, v26
	v_add_f32_e32 v1, v1, v27
	s_delay_alu instid0(VALU_DEP_1) | instskip(NEXT) | instid1(VALU_DEP_1)
	;; [unrolled: 3-line block ×10, first 2 shown]
	v_add_f32_e32 v1, v1, v176
	v_add_f32_e32 v1, v1, v178
	s_delay_alu instid0(VALU_DEP_1)
	v_add_f32_e32 v6, v1, v180
	v_add_f32_e32 v13, v5, v179
	ds_load_2addr_b64 v[1:4], v21 offset0:109 offset1:110
	v_add_f32_e32 v14, v6, v182
	scratch_load_b128 v[5:8], off, off offset:408
	v_dual_add_f32 v13, v13, v181 :: v_dual_add_f32 v14, v14, v184
	s_delay_alu instid0(VALU_DEP_1) | instskip(NEXT) | instid1(VALU_DEP_1)
	v_add_f32_e32 v13, v13, v183
	v_dual_add_f32 v17, v14, v186 :: v_dual_add_f32 v18, v13, v185
	ds_load_2addr_b64 v[13:16], v21 offset0:111 offset1:112
	v_add_f32_e32 v17, v17, v188
	s_wait_loadcnt_dscnt 0x101
	v_mul_f32_e32 v25, v1, v10
	v_mul_f32_e32 v10, v2, v10
	v_mul_f32_e32 v26, v3, v12
	v_mul_f32_e32 v12, v4, v12
	v_add_f32_e32 v18, v18, v187
	v_fmac_f32_e32 v25, v2, v9
	v_fma_f32 v27, v1, v9, -v10
	v_fmac_f32_e32 v26, v4, v11
	v_fma_f32 v28, v3, v11, -v12
	scratch_load_b128 v[1:4], off, off offset:424
	v_add_f32_e32 v17, v17, v190
	scratch_load_b128 v[9:12], off, off offset:440
	v_dual_add_f32 v18, v18, v189 :: v_dual_add_f32 v17, v17, v192
	s_delay_alu instid0(VALU_DEP_1) | instskip(SKIP_2) | instid1(VALU_DEP_1)
	v_dual_add_f32 v22, v18, v191 :: v_dual_add_f32 v23, v17, v194
	scratch_load_b128 v[17:20], off, off offset:456
	v_dual_add_f32 v22, v22, v193 :: v_dual_add_f32 v23, v23, v196
	v_add_f32_e32 v23, v23, v198
	s_wait_loadcnt_dscnt 0x300
	v_mul_f32_e32 v29, v13, v6
	v_mul_f32_e32 v6, v14, v6
	;; [unrolled: 1-line block ×3, first 2 shown]
	v_add_f32_e32 v22, v22, v195
	s_delay_alu instid0(VALU_DEP_4) | instskip(NEXT) | instid1(VALU_DEP_4)
	v_dual_mul_f32 v8, v16, v8 :: v_dual_fmac_f32 v29, v14, v5
	v_fma_f32 v151, v13, v5, -v6
	s_delay_alu instid0(VALU_DEP_3) | instskip(NEXT) | instid1(VALU_DEP_3)
	v_dual_fmac_f32 v32, v16, v7 :: v_dual_add_f32 v13, v22, v197
	v_fma_f32 v152, v15, v7, -v8
	ds_load_2addr_b64 v[5:8], v21 offset0:113 offset1:114
	v_dual_add_f32 v22, v23, v200 :: v_dual_add_f32 v23, v13, v199
	ds_load_2addr_b64 v[13:16], v21 offset0:115 offset1:116
	v_dual_add_f32 v154, v22, v202 :: v_dual_add_f32 v155, v23, v201
	ds_load_2addr_b64 v[21:24], v21 offset0:117 offset1:118
	v_dual_add_f32 v154, v154, v204 :: v_dual_add_f32 v155, v155, v203
	s_delay_alu instid0(VALU_DEP_1) | instskip(SKIP_1) | instid1(VALU_DEP_1)
	v_dual_add_f32 v154, v154, v206 :: v_dual_add_f32 v155, v155, v205
	s_wait_loadcnt_dscnt 0x202
	v_dual_mul_f32 v156, v5, v2 :: v_dual_add_f32 v27, v154, v27
	s_delay_alu instid0(VALU_DEP_2) | instskip(SKIP_2) | instid1(VALU_DEP_4)
	v_dual_mul_f32 v2, v6, v2 :: v_dual_add_f32 v25, v155, v25
	v_mul_f32_e32 v154, v7, v4
	v_mul_f32_e32 v4, v8, v4
	v_add_f32_e32 v27, v27, v28
	s_delay_alu instid0(VALU_DEP_4) | instskip(SKIP_4) | instid1(VALU_DEP_3)
	v_fma_f32 v2, v5, v1, -v2
	v_dual_add_f32 v25, v25, v26 :: v_dual_fmac_f32 v156, v6, v1
	s_wait_loadcnt_dscnt 0x101
	v_mul_f32_e32 v155, v13, v10
	v_dual_add_f32 v27, v27, v151 :: v_dual_mul_f32 v6, v14, v10
	v_dual_add_f32 v25, v25, v29 :: v_dual_fmac_f32 v154, v8, v3
	v_fma_f32 v3, v7, v3, -v4
	s_delay_alu instid0(VALU_DEP_3) | instskip(SKIP_1) | instid1(VALU_DEP_4)
	v_add_f32_e32 v1, v27, v152
	v_mul_f32_e32 v157, v15, v12
	v_add_f32_e32 v5, v25, v32
	v_dual_mul_f32 v4, v16, v12 :: v_dual_fmac_f32 v155, v14, v9
	s_delay_alu instid0(VALU_DEP_4)
	v_add_f32_e32 v1, v1, v2
	s_wait_loadcnt_dscnt 0x0
	v_mul_f32_e32 v26, v21, v18
	v_add_f32_e32 v2, v5, v156
	v_fma_f32 v5, v13, v9, -v6
	v_fmac_f32_e32 v157, v16, v11
	v_add_f32_e32 v1, v1, v3
	v_mul_f32_e32 v3, v22, v18
	v_add_f32_e32 v2, v2, v154
	v_fma_f32 v4, v15, v11, -v4
	s_delay_alu instid0(VALU_DEP_4) | instskip(NEXT) | instid1(VALU_DEP_3)
	v_dual_mul_f32 v28, v23, v20 :: v_dual_add_f32 v1, v1, v5
	v_dual_mul_f32 v5, v24, v20 :: v_dual_add_f32 v2, v2, v155
	v_fmac_f32_e32 v26, v22, v17
	v_fma_f32 v3, v21, v17, -v3
	s_delay_alu instid0(VALU_DEP_4) | instskip(NEXT) | instid1(VALU_DEP_4)
	v_dual_add_f32 v1, v1, v4 :: v_dual_fmac_f32 v28, v24, v19
	v_add_f32_e32 v2, v2, v157
	v_fma_f32 v4, v23, v19, -v5
	s_delay_alu instid0(VALU_DEP_2) | instskip(NEXT) | instid1(VALU_DEP_1)
	v_dual_add_f32 v1, v1, v3 :: v_dual_add_f32 v2, v2, v26
	v_add_f32_e32 v1, v1, v4
	s_delay_alu instid0(VALU_DEP_2) | instskip(NEXT) | instid1(VALU_DEP_1)
	v_add_f32_e32 v2, v2, v28
	v_dual_sub_f32 v1, v30, v1 :: v_dual_sub_f32 v2, v31, v2
	scratch_store_b64 off, v[1:2], off offset:96
	v_cmpx_lt_u32_e32 11, v0
	s_cbranch_execz .LBB122_345
; %bb.344:
	scratch_load_b64 v[1:2], off, off offset:88
	v_mov_b32_e32 v3, 0
	s_delay_alu instid0(VALU_DEP_1)
	v_mov_b32_e32 v4, v3
	scratch_store_b64 off, v[3:4], off offset:88
	s_wait_loadcnt 0x0
	ds_store_b64 v153, v[1:2]
.LBB122_345:
	s_wait_alu 0xfffe
	s_or_b32 exec_lo, exec_lo, s0
	s_wait_storecnt_dscnt 0x0
	s_barrier_signal -1
	s_barrier_wait -1
	global_inv scope:SCOPE_SE
	s_clause 0x4
	scratch_load_b128 v[5:8], off, off offset:96
	scratch_load_b128 v[1:4], off, off offset:112
	scratch_load_b128 v[9:12], off, off offset:128
	scratch_load_b128 v[13:16], off, off offset:144
	scratch_load_b128 v[17:20], off, off offset:160
	v_mov_b32_e32 v21, 0
	ds_load_b128 v[22:25], v21 offset:576
	ds_load_b128 v[26:29], v21 offset:592
	;; [unrolled: 1-line block ×3, first 2 shown]
	scratch_load_b64 v[30:31], off, off offset:88
	s_mov_b32 s0, exec_lo
	s_wait_loadcnt_dscnt 0x502
	v_mul_f32_e32 v32, v23, v6
	v_dual_mul_f32 v151, v22, v6 :: v_dual_mul_f32 v152, v24, v8
	v_mul_f32_e32 v6, v25, v8
	s_wait_loadcnt_dscnt 0x300
	v_mul_f32_e32 v158, v156, v12
	v_fma_f32 v22, v22, v5, -v32
	v_dual_fmac_f32 v151, v23, v5 :: v_dual_fmac_f32 v152, v25, v7
	v_mul_f32_e32 v25, v28, v4
	v_fma_f32 v23, v24, v7, -v6
	ds_load_b128 v[5:8], v21 offset:624
	v_mul_f32_e32 v24, v26, v2
	v_mul_f32_e32 v4, v29, v4
	v_mul_f32_e32 v32, v154, v10
	v_mul_f32_e32 v10, v155, v10
	v_mul_f32_e32 v12, v157, v12
	v_dual_mul_f32 v2, v27, v2 :: v_dual_fmac_f32 v25, v29, v3
	v_fmac_f32_e32 v24, v27, v1
	v_fma_f32 v27, v28, v3, -v4
	v_fmac_f32_e32 v32, v155, v9
	v_fma_f32 v28, v154, v9, -v10
	;; [unrolled: 2-line block ×3, first 2 shown]
	ds_load_b128 v[9:12], v21 offset:640
	s_wait_loadcnt_dscnt 0x201
	v_dual_mul_f32 v155, v7, v16 :: v_dual_mul_f32 v154, v5, v14
	v_mul_f32_e32 v14, v6, v14
	v_mul_f32_e32 v16, v8, v16
	s_delay_alu instid0(VALU_DEP_3)
	v_fmac_f32_e32 v155, v8, v15
	v_fma_f32 v26, v26, v1, -v2
	scratch_load_b128 v[1:4], off, off offset:176
	v_fmac_f32_e32 v154, v6, v13
	v_fma_f32 v13, v5, v13, -v14
	v_fma_f32 v14, v7, v15, -v16
	ds_load_b128 v[5:8], v21 offset:656
	s_wait_loadcnt_dscnt 0x201
	v_mul_f32_e32 v15, v9, v18
	v_mul_f32_e32 v16, v10, v18
	;; [unrolled: 1-line block ×3, first 2 shown]
	s_delay_alu instid0(VALU_DEP_3) | instskip(NEXT) | instid1(VALU_DEP_3)
	v_dual_mul_f32 v20, v12, v20 :: v_dual_fmac_f32 v15, v10, v17
	v_fma_f32 v16, v9, v17, -v16
	s_delay_alu instid0(VALU_DEP_3) | instskip(NEXT) | instid1(VALU_DEP_3)
	v_fmac_f32_e32 v18, v12, v19
	v_fma_f32 v17, v11, v19, -v20
	scratch_load_b128 v[9:12], off, off offset:192
	s_wait_loadcnt_dscnt 0x100
	v_mul_f32_e32 v19, v5, v2
	v_mul_f32_e32 v2, v6, v2
	;; [unrolled: 1-line block ×3, first 2 shown]
	s_delay_alu instid0(VALU_DEP_3) | instskip(NEXT) | instid1(VALU_DEP_3)
	v_dual_mul_f32 v4, v8, v4 :: v_dual_fmac_f32 v19, v6, v1
	v_fma_f32 v156, v5, v1, -v2
	s_delay_alu instid0(VALU_DEP_3) | instskip(NEXT) | instid1(VALU_DEP_3)
	v_fmac_f32_e32 v20, v8, v3
	v_fma_f32 v157, v7, v3, -v4
	ds_load_b128 v[1:4], v21 offset:672
	ds_load_b128 v[5:8], v21 offset:688
	s_wait_loadcnt_dscnt 0x1
	v_mul_f32_e32 v159, v1, v10
	v_mul_f32_e32 v10, v2, v10
	s_delay_alu instid0(VALU_DEP_2) | instskip(NEXT) | instid1(VALU_DEP_2)
	v_dual_mul_f32 v160, v3, v12 :: v_dual_fmac_f32 v159, v2, v9
	v_fma_f32 v161, v1, v9, -v10
	v_mul_f32_e32 v1, v4, v12
	s_delay_alu instid0(VALU_DEP_3) | instskip(NEXT) | instid1(VALU_DEP_2)
	v_fmac_f32_e32 v160, v4, v11
	v_fma_f32 v162, v3, v11, -v1
	s_clause 0x1
	scratch_load_b128 v[1:4], off, off offset:208
	scratch_load_b128 v[9:12], off, off offset:224
	s_wait_loadcnt_dscnt 0x100
	v_mul_f32_e32 v163, v5, v2
	v_dual_mul_f32 v2, v6, v2 :: v_dual_mul_f32 v165, v7, v4
	s_delay_alu instid0(VALU_DEP_2) | instskip(NEXT) | instid1(VALU_DEP_2)
	v_fmac_f32_e32 v163, v6, v1
	v_fma_f32 v164, v5, v1, -v2
	v_mul_f32_e32 v1, v8, v4
	s_delay_alu instid0(VALU_DEP_4) | instskip(NEXT) | instid1(VALU_DEP_2)
	v_fmac_f32_e32 v165, v8, v3
	v_fma_f32 v166, v7, v3, -v1
	ds_load_b128 v[1:4], v21 offset:704
	ds_load_b128 v[5:8], v21 offset:720
	s_wait_loadcnt_dscnt 0x1
	v_mul_f32_e32 v167, v1, v10
	v_mul_f32_e32 v169, v3, v12
	s_delay_alu instid0(VALU_DEP_2) | instskip(NEXT) | instid1(VALU_DEP_2)
	v_fmac_f32_e32 v167, v2, v9
	v_dual_mul_f32 v2, v2, v10 :: v_dual_fmac_f32 v169, v4, v11
	s_delay_alu instid0(VALU_DEP_1) | instskip(SKIP_1) | instid1(VALU_DEP_1)
	v_fma_f32 v168, v1, v9, -v2
	v_mul_f32_e32 v1, v4, v12
	v_fma_f32 v170, v3, v11, -v1
	s_clause 0x1
	scratch_load_b128 v[1:4], off, off offset:240
	scratch_load_b128 v[9:12], off, off offset:256
	s_wait_loadcnt_dscnt 0x100
	v_mul_f32_e32 v171, v5, v2
	v_dual_mul_f32 v2, v6, v2 :: v_dual_mul_f32 v173, v7, v4
	s_delay_alu instid0(VALU_DEP_2) | instskip(NEXT) | instid1(VALU_DEP_2)
	v_fmac_f32_e32 v171, v6, v1
	v_fma_f32 v172, v5, v1, -v2
	v_mul_f32_e32 v1, v8, v4
	s_delay_alu instid0(VALU_DEP_4) | instskip(NEXT) | instid1(VALU_DEP_2)
	v_fmac_f32_e32 v173, v8, v3
	v_fma_f32 v174, v7, v3, -v1
	ds_load_b128 v[1:4], v21 offset:736
	ds_load_b128 v[5:8], v21 offset:752
	s_wait_loadcnt_dscnt 0x1
	v_mul_f32_e32 v175, v1, v10
	v_mul_f32_e32 v177, v3, v12
	s_delay_alu instid0(VALU_DEP_2) | instskip(NEXT) | instid1(VALU_DEP_2)
	v_fmac_f32_e32 v175, v2, v9
	v_dual_mul_f32 v2, v2, v10 :: v_dual_fmac_f32 v177, v4, v11
	s_delay_alu instid0(VALU_DEP_1) | instskip(SKIP_1) | instid1(VALU_DEP_1)
	v_fma_f32 v176, v1, v9, -v2
	v_mul_f32_e32 v1, v4, v12
	v_fma_f32 v178, v3, v11, -v1
	s_clause 0x1
	scratch_load_b128 v[1:4], off, off offset:272
	scratch_load_b128 v[9:12], off, off offset:288
	s_wait_loadcnt_dscnt 0x100
	v_mul_f32_e32 v179, v5, v2
	v_dual_mul_f32 v2, v6, v2 :: v_dual_mul_f32 v181, v7, v4
	s_delay_alu instid0(VALU_DEP_1) | instskip(NEXT) | instid1(VALU_DEP_3)
	v_fma_f32 v180, v5, v1, -v2
	v_fmac_f32_e32 v179, v6, v1
	v_mul_f32_e32 v1, v8, v4
	s_delay_alu instid0(VALU_DEP_4) | instskip(NEXT) | instid1(VALU_DEP_2)
	v_fmac_f32_e32 v181, v8, v3
	v_fma_f32 v182, v7, v3, -v1
	ds_load_b128 v[1:4], v21 offset:768
	ds_load_b128 v[5:8], v21 offset:784
	s_wait_loadcnt_dscnt 0x1
	v_mul_f32_e32 v183, v1, v10
	v_mul_f32_e32 v185, v3, v12
	s_delay_alu instid0(VALU_DEP_2) | instskip(NEXT) | instid1(VALU_DEP_2)
	v_fmac_f32_e32 v183, v2, v9
	v_dual_mul_f32 v2, v2, v10 :: v_dual_fmac_f32 v185, v4, v11
	s_delay_alu instid0(VALU_DEP_1) | instskip(SKIP_1) | instid1(VALU_DEP_1)
	v_fma_f32 v184, v1, v9, -v2
	v_mul_f32_e32 v1, v4, v12
	v_fma_f32 v186, v3, v11, -v1
	s_clause 0x1
	scratch_load_b128 v[1:4], off, off offset:304
	scratch_load_b128 v[9:12], off, off offset:320
	s_wait_loadcnt_dscnt 0x100
	v_mul_f32_e32 v187, v5, v2
	v_dual_mul_f32 v2, v6, v2 :: v_dual_mul_f32 v189, v7, v4
	s_delay_alu instid0(VALU_DEP_2) | instskip(NEXT) | instid1(VALU_DEP_2)
	v_fmac_f32_e32 v187, v6, v1
	v_fma_f32 v188, v5, v1, -v2
	v_mul_f32_e32 v1, v8, v4
	s_delay_alu instid0(VALU_DEP_4) | instskip(NEXT) | instid1(VALU_DEP_2)
	v_fmac_f32_e32 v189, v8, v3
	v_fma_f32 v190, v7, v3, -v1
	ds_load_b128 v[1:4], v21 offset:800
	ds_load_b128 v[5:8], v21 offset:816
	s_wait_loadcnt_dscnt 0x1
	v_mul_f32_e32 v191, v1, v10
	v_mul_f32_e32 v193, v3, v12
	s_delay_alu instid0(VALU_DEP_2) | instskip(NEXT) | instid1(VALU_DEP_2)
	v_fmac_f32_e32 v191, v2, v9
	v_dual_mul_f32 v2, v2, v10 :: v_dual_fmac_f32 v193, v4, v11
	s_delay_alu instid0(VALU_DEP_1) | instskip(SKIP_1) | instid1(VALU_DEP_1)
	v_fma_f32 v192, v1, v9, -v2
	v_mul_f32_e32 v1, v4, v12
	v_fma_f32 v194, v3, v11, -v1
	s_clause 0x1
	scratch_load_b128 v[1:4], off, off offset:336
	scratch_load_b128 v[9:12], off, off offset:352
	s_wait_loadcnt_dscnt 0x100
	v_mul_f32_e32 v195, v5, v2
	v_dual_mul_f32 v2, v6, v2 :: v_dual_mul_f32 v197, v7, v4
	s_delay_alu instid0(VALU_DEP_2) | instskip(NEXT) | instid1(VALU_DEP_2)
	v_fmac_f32_e32 v195, v6, v1
	v_fma_f32 v196, v5, v1, -v2
	v_mul_f32_e32 v1, v8, v4
	s_delay_alu instid0(VALU_DEP_4) | instskip(NEXT) | instid1(VALU_DEP_2)
	v_fmac_f32_e32 v197, v8, v3
	v_fma_f32 v198, v7, v3, -v1
	ds_load_b128 v[1:4], v21 offset:832
	ds_load_b128 v[5:8], v21 offset:848
	s_wait_loadcnt_dscnt 0x1
	v_mul_f32_e32 v199, v1, v10
	v_mul_f32_e32 v201, v3, v12
	s_delay_alu instid0(VALU_DEP_2) | instskip(NEXT) | instid1(VALU_DEP_2)
	v_fmac_f32_e32 v199, v2, v9
	v_dual_mul_f32 v2, v2, v10 :: v_dual_fmac_f32 v201, v4, v11
	s_delay_alu instid0(VALU_DEP_1) | instskip(SKIP_1) | instid1(VALU_DEP_1)
	v_fma_f32 v200, v1, v9, -v2
	v_mul_f32_e32 v1, v4, v12
	v_fma_f32 v202, v3, v11, -v1
	s_clause 0x1
	scratch_load_b128 v[1:4], off, off offset:368
	scratch_load_b128 v[9:12], off, off offset:384
	s_wait_loadcnt_dscnt 0x100
	v_mul_f32_e32 v203, v5, v2
	v_mul_f32_e32 v2, v6, v2
	s_delay_alu instid0(VALU_DEP_1) | instskip(SKIP_1) | instid1(VALU_DEP_1)
	v_fma_f32 v204, v5, v1, -v2
	v_add_f32_e32 v2, 0, v151
	v_add_f32_e32 v2, v2, v152
	s_delay_alu instid0(VALU_DEP_1) | instskip(NEXT) | instid1(VALU_DEP_1)
	v_add_f32_e32 v2, v2, v24
	v_add_f32_e32 v2, v2, v25
	s_delay_alu instid0(VALU_DEP_1) | instskip(NEXT) | instid1(VALU_DEP_1)
	;; [unrolled: 3-line block ×8, first 2 shown]
	v_add_f32_e32 v2, v2, v167
	v_add_f32_e32 v2, v2, v169
	s_delay_alu instid0(VALU_DEP_1) | instskip(SKIP_1) | instid1(VALU_DEP_2)
	v_add_f32_e32 v2, v2, v171
	v_fmac_f32_e32 v203, v6, v1
	v_dual_mul_f32 v205, v7, v4 :: v_dual_add_f32 v2, v2, v173
	s_delay_alu instid0(VALU_DEP_1) | instskip(NEXT) | instid1(VALU_DEP_1)
	v_dual_mul_f32 v1, v8, v4 :: v_dual_add_f32 v2, v2, v175
	v_fma_f32 v206, v7, v3, -v1
	v_add_f32_e32 v1, 0, v22
	s_delay_alu instid0(VALU_DEP_3) | instskip(NEXT) | instid1(VALU_DEP_2)
	v_add_f32_e32 v5, v2, v177
	v_add_f32_e32 v1, v1, v23
	s_delay_alu instid0(VALU_DEP_1) | instskip(NEXT) | instid1(VALU_DEP_1)
	v_add_f32_e32 v1, v1, v26
	v_add_f32_e32 v1, v1, v27
	scratch_load_b64 v[26:27], off, off offset:464
	v_add_f32_e32 v1, v1, v28
	s_delay_alu instid0(VALU_DEP_1) | instskip(NEXT) | instid1(VALU_DEP_1)
	v_add_f32_e32 v1, v1, v29
	v_add_f32_e32 v1, v1, v13
	s_delay_alu instid0(VALU_DEP_1) | instskip(NEXT) | instid1(VALU_DEP_1)
	v_add_f32_e32 v1, v1, v14
	;; [unrolled: 3-line block ×9, first 2 shown]
	v_dual_add_f32 v6, v1, v180 :: v_dual_fmac_f32 v205, v8, v3
	scratch_load_b128 v[1:4], off, off offset:400
	v_dual_add_f32 v13, v5, v179 :: v_dual_add_f32 v14, v6, v182
	ds_load_b128 v[5:8], v21 offset:864
	v_dual_add_f32 v13, v13, v181 :: v_dual_add_f32 v14, v14, v184
	s_delay_alu instid0(VALU_DEP_1) | instskip(NEXT) | instid1(VALU_DEP_1)
	v_add_f32_e32 v13, v13, v183
	v_dual_add_f32 v17, v14, v186 :: v_dual_add_f32 v18, v13, v185
	ds_load_b128 v[13:16], v21 offset:880
	v_add_f32_e32 v17, v17, v188
	s_delay_alu instid0(VALU_DEP_1)
	v_add_f32_e32 v17, v17, v190
	s_wait_loadcnt_dscnt 0x201
	v_mul_f32_e32 v151, v7, v12
	v_mul_f32_e32 v12, v8, v12
	v_add_f32_e32 v18, v18, v187
	v_mul_f32_e32 v32, v5, v10
	v_dual_mul_f32 v10, v6, v10 :: v_dual_add_f32 v17, v17, v192
	s_delay_alu instid0(VALU_DEP_3) | instskip(NEXT) | instid1(VALU_DEP_3)
	v_dual_fmac_f32 v151, v8, v11 :: v_dual_add_f32 v18, v18, v189
	v_fmac_f32_e32 v32, v6, v9
	s_delay_alu instid0(VALU_DEP_3)
	v_fma_f32 v152, v5, v9, -v10
	v_fma_f32 v154, v7, v11, -v12
	s_clause 0x1
	scratch_load_b128 v[5:8], off, off offset:416
	scratch_load_b128 v[9:12], off, off offset:432
	s_wait_loadcnt_dscnt 0x200
	v_dual_add_f32 v23, v17, v194 :: v_dual_mul_f32 v156, v15, v4
	v_add_f32_e32 v22, v18, v191
	scratch_load_b128 v[17:20], off, off offset:448
	v_add_f32_e32 v23, v23, v196
	v_dual_mul_f32 v4, v16, v4 :: v_dual_mul_f32 v155, v13, v2
	v_add_f32_e32 v22, v22, v193
	v_mul_f32_e32 v2, v14, v2
	s_delay_alu instid0(VALU_DEP_4) | instskip(NEXT) | instid1(VALU_DEP_4)
	v_dual_add_f32 v23, v23, v198 :: v_dual_fmac_f32 v156, v16, v3
	v_fmac_f32_e32 v155, v14, v1
	s_delay_alu instid0(VALU_DEP_4) | instskip(NEXT) | instid1(VALU_DEP_4)
	v_add_f32_e32 v22, v22, v195
	v_fma_f32 v157, v13, v1, -v2
	s_delay_alu instid0(VALU_DEP_4) | instskip(SKIP_3) | instid1(VALU_DEP_1)
	v_add_f32_e32 v23, v23, v200
	v_fma_f32 v158, v15, v3, -v4
	ds_load_b128 v[1:4], v21 offset:896
	v_add_f32_e32 v22, v22, v197
	v_dual_add_f32 v14, v23, v202 :: v_dual_add_f32 v13, v22, v199
	s_delay_alu instid0(VALU_DEP_1) | instskip(NEXT) | instid1(VALU_DEP_2)
	v_add_f32_e32 v28, v14, v204
	v_add_f32_e32 v22, v13, v201
	ds_load_b128 v[13:16], v21 offset:912
	v_add_f32_e32 v159, v28, v206
	v_add_f32_e32 v29, v22, v203
	ds_load_b128 v[22:25], v21 offset:928
	s_wait_loadcnt_dscnt 0x202
	v_dual_add_f32 v152, v159, v152 :: v_dual_mul_f32 v159, v1, v6
	v_add_f32_e32 v160, v29, v205
	ds_load_b64 v[28:29], v21 offset:944
	v_add_f32_e32 v152, v152, v154
	v_mul_f32_e32 v6, v2, v6
	v_dual_fmac_f32 v159, v2, v5 :: v_dual_add_f32 v32, v160, v32
	s_delay_alu instid0(VALU_DEP_3) | instskip(NEXT) | instid1(VALU_DEP_3)
	v_add_f32_e32 v152, v152, v157
	v_fma_f32 v1, v1, v5, -v6
	s_delay_alu instid0(VALU_DEP_3)
	v_add_f32_e32 v32, v32, v151
	s_wait_loadcnt_dscnt 0x102
	v_mul_f32_e32 v154, v13, v10
	v_add_f32_e32 v152, v152, v158
	v_mul_f32_e32 v5, v16, v12
	v_dual_add_f32 v32, v32, v155 :: v_dual_mul_f32 v155, v15, v12
	s_delay_alu instid0(VALU_DEP_3) | instskip(SKIP_1) | instid1(VALU_DEP_4)
	v_add_f32_e32 v1, v152, v1
	v_fmac_f32_e32 v154, v14, v9
	v_fma_f32 v5, v15, v11, -v5
	s_delay_alu instid0(VALU_DEP_4) | instskip(SKIP_3) | instid1(VALU_DEP_1)
	v_add_f32_e32 v32, v32, v156
	v_fmac_f32_e32 v155, v16, v11
	s_wait_dscnt 0x0
	v_mul_f32_e32 v156, v28, v27
	v_fmac_f32_e32 v156, v29, v26
	s_wait_loadcnt 0x0
	v_dual_mul_f32 v158, v24, v20 :: v_dual_mul_f32 v157, v22, v18
	s_delay_alu instid0(VALU_DEP_1) | instskip(NEXT) | instid1(VALU_DEP_2)
	v_dual_fmac_f32 v158, v25, v19 :: v_dual_mul_f32 v151, v3, v8
	v_dual_mul_f32 v8, v4, v8 :: v_dual_fmac_f32 v157, v23, v17
	s_delay_alu instid0(VALU_DEP_2) | instskip(NEXT) | instid1(VALU_DEP_2)
	v_fmac_f32_e32 v151, v4, v7
	v_fma_f32 v2, v3, v7, -v8
	v_dual_mul_f32 v3, v14, v10 :: v_dual_add_f32 v4, v32, v159
	s_delay_alu instid0(VALU_DEP_2) | instskip(NEXT) | instid1(VALU_DEP_2)
	v_add_f32_e32 v1, v1, v2
	v_fma_f32 v3, v13, v9, -v3
	s_delay_alu instid0(VALU_DEP_3) | instskip(NEXT) | instid1(VALU_DEP_2)
	v_add_f32_e32 v2, v4, v151
	v_dual_mul_f32 v4, v23, v18 :: v_dual_add_f32 v1, v1, v3
	s_delay_alu instid0(VALU_DEP_2) | instskip(NEXT) | instid1(VALU_DEP_2)
	v_dual_add_f32 v2, v2, v154 :: v_dual_mul_f32 v3, v25, v20
	v_fma_f32 v4, v22, v17, -v4
	s_delay_alu instid0(VALU_DEP_2) | instskip(SKIP_1) | instid1(VALU_DEP_4)
	v_dual_add_f32 v1, v1, v5 :: v_dual_add_f32 v2, v2, v155
	v_mul_f32_e32 v5, v29, v27
	v_fma_f32 v3, v24, v19, -v3
	s_delay_alu instid0(VALU_DEP_3) | instskip(NEXT) | instid1(VALU_DEP_3)
	v_dual_add_f32 v1, v1, v4 :: v_dual_add_f32 v2, v2, v157
	v_fma_f32 v4, v28, v26, -v5
	s_delay_alu instid0(VALU_DEP_2) | instskip(NEXT) | instid1(VALU_DEP_1)
	v_dual_add_f32 v1, v1, v3 :: v_dual_add_f32 v2, v2, v158
	v_add_f32_e32 v1, v1, v4
	s_delay_alu instid0(VALU_DEP_2) | instskip(NEXT) | instid1(VALU_DEP_1)
	v_add_f32_e32 v2, v2, v156
	v_dual_sub_f32 v1, v30, v1 :: v_dual_sub_f32 v2, v31, v2
	scratch_store_b64 off, v[1:2], off offset:88
	v_cmpx_lt_u32_e32 10, v0
	s_cbranch_execz .LBB122_347
; %bb.346:
	scratch_load_b64 v[1:2], off, off offset:80
	v_mov_b32_e32 v22, v21
	scratch_store_b64 off, v[21:22], off offset:80
	s_wait_loadcnt 0x0
	ds_store_b64 v153, v[1:2]
.LBB122_347:
	s_wait_alu 0xfffe
	s_or_b32 exec_lo, exec_lo, s0
	s_wait_storecnt_dscnt 0x0
	s_barrier_signal -1
	s_barrier_wait -1
	global_inv scope:SCOPE_SE
	s_clause 0x4
	scratch_load_b128 v[5:8], off, off offset:88
	scratch_load_b128 v[1:4], off, off offset:104
	scratch_load_b128 v[9:12], off, off offset:120
	scratch_load_b128 v[13:16], off, off offset:136
	scratch_load_b128 v[17:20], off, off offset:152
	ds_load_2addr_b64 v[22:25], v21 offset0:71 offset1:72
	ds_load_2addr_b64 v[26:29], v21 offset0:73 offset1:74
	;; [unrolled: 1-line block ×3, first 2 shown]
	scratch_load_b64 v[30:31], off, off offset:80
	s_mov_b32 s0, exec_lo
	s_wait_loadcnt_dscnt 0x502
	v_mul_f32_e32 v32, v23, v6
	v_dual_mul_f32 v151, v22, v6 :: v_dual_mul_f32 v152, v24, v8
	v_mul_f32_e32 v6, v25, v8
	s_wait_loadcnt_dscnt 0x300
	v_mul_f32_e32 v158, v156, v12
	s_delay_alu instid0(VALU_DEP_3)
	v_dual_mul_f32 v12, v157, v12 :: v_dual_fmac_f32 v151, v23, v5
	v_fmac_f32_e32 v152, v25, v7
	v_fma_f32 v23, v24, v7, -v6
	v_mul_f32_e32 v25, v28, v4
	v_fma_f32 v22, v22, v5, -v32
	ds_load_2addr_b64 v[5:8], v21 offset0:77 offset1:78
	v_mul_f32_e32 v24, v26, v2
	v_mul_f32_e32 v4, v29, v4
	;; [unrolled: 1-line block ×4, first 2 shown]
	v_dual_mul_f32 v2, v27, v2 :: v_dual_fmac_f32 v25, v29, v3
	v_fmac_f32_e32 v24, v27, v1
	v_fma_f32 v27, v28, v3, -v4
	v_fmac_f32_e32 v32, v155, v9
	v_fma_f32 v28, v154, v9, -v10
	;; [unrolled: 2-line block ×3, first 2 shown]
	ds_load_2addr_b64 v[9:12], v21 offset0:79 offset1:80
	s_wait_loadcnt_dscnt 0x201
	v_dual_mul_f32 v155, v7, v16 :: v_dual_mul_f32 v154, v5, v14
	v_mul_f32_e32 v14, v6, v14
	v_mul_f32_e32 v16, v8, v16
	s_delay_alu instid0(VALU_DEP_3)
	v_fmac_f32_e32 v155, v8, v15
	v_fma_f32 v26, v26, v1, -v2
	scratch_load_b128 v[1:4], off, off offset:168
	v_fmac_f32_e32 v154, v6, v13
	v_fma_f32 v13, v5, v13, -v14
	v_fma_f32 v14, v7, v15, -v16
	ds_load_2addr_b64 v[5:8], v21 offset0:81 offset1:82
	s_wait_loadcnt_dscnt 0x201
	v_mul_f32_e32 v15, v9, v18
	v_mul_f32_e32 v16, v10, v18
	;; [unrolled: 1-line block ×3, first 2 shown]
	s_delay_alu instid0(VALU_DEP_3) | instskip(NEXT) | instid1(VALU_DEP_3)
	v_dual_mul_f32 v20, v12, v20 :: v_dual_fmac_f32 v15, v10, v17
	v_fma_f32 v16, v9, v17, -v16
	s_delay_alu instid0(VALU_DEP_3) | instskip(NEXT) | instid1(VALU_DEP_3)
	v_fmac_f32_e32 v18, v12, v19
	v_fma_f32 v17, v11, v19, -v20
	scratch_load_b128 v[9:12], off, off offset:184
	s_wait_loadcnt_dscnt 0x100
	v_mul_f32_e32 v19, v5, v2
	v_mul_f32_e32 v2, v6, v2
	;; [unrolled: 1-line block ×3, first 2 shown]
	s_delay_alu instid0(VALU_DEP_3) | instskip(NEXT) | instid1(VALU_DEP_3)
	v_dual_mul_f32 v4, v8, v4 :: v_dual_fmac_f32 v19, v6, v1
	v_fma_f32 v156, v5, v1, -v2
	s_delay_alu instid0(VALU_DEP_3) | instskip(NEXT) | instid1(VALU_DEP_3)
	v_fmac_f32_e32 v20, v8, v3
	v_fma_f32 v157, v7, v3, -v4
	ds_load_2addr_b64 v[1:4], v21 offset0:83 offset1:84
	ds_load_2addr_b64 v[5:8], v21 offset0:85 offset1:86
	s_wait_loadcnt_dscnt 0x1
	v_mul_f32_e32 v159, v1, v10
	v_mul_f32_e32 v10, v2, v10
	s_delay_alu instid0(VALU_DEP_2) | instskip(NEXT) | instid1(VALU_DEP_2)
	v_dual_mul_f32 v160, v3, v12 :: v_dual_fmac_f32 v159, v2, v9
	v_fma_f32 v161, v1, v9, -v10
	v_mul_f32_e32 v1, v4, v12
	s_delay_alu instid0(VALU_DEP_3) | instskip(NEXT) | instid1(VALU_DEP_2)
	v_fmac_f32_e32 v160, v4, v11
	v_fma_f32 v162, v3, v11, -v1
	s_clause 0x1
	scratch_load_b128 v[1:4], off, off offset:200
	scratch_load_b128 v[9:12], off, off offset:216
	s_wait_loadcnt_dscnt 0x100
	v_mul_f32_e32 v163, v5, v2
	v_dual_mul_f32 v2, v6, v2 :: v_dual_mul_f32 v165, v7, v4
	s_delay_alu instid0(VALU_DEP_2) | instskip(NEXT) | instid1(VALU_DEP_2)
	v_fmac_f32_e32 v163, v6, v1
	v_fma_f32 v164, v5, v1, -v2
	v_mul_f32_e32 v1, v8, v4
	s_delay_alu instid0(VALU_DEP_4) | instskip(NEXT) | instid1(VALU_DEP_2)
	v_fmac_f32_e32 v165, v8, v3
	v_fma_f32 v166, v7, v3, -v1
	ds_load_2addr_b64 v[1:4], v21 offset0:87 offset1:88
	ds_load_2addr_b64 v[5:8], v21 offset0:89 offset1:90
	s_wait_loadcnt_dscnt 0x1
	v_mul_f32_e32 v167, v1, v10
	v_mul_f32_e32 v169, v3, v12
	s_delay_alu instid0(VALU_DEP_2) | instskip(NEXT) | instid1(VALU_DEP_2)
	v_fmac_f32_e32 v167, v2, v9
	v_dual_mul_f32 v2, v2, v10 :: v_dual_fmac_f32 v169, v4, v11
	s_delay_alu instid0(VALU_DEP_1) | instskip(SKIP_1) | instid1(VALU_DEP_1)
	v_fma_f32 v168, v1, v9, -v2
	v_mul_f32_e32 v1, v4, v12
	v_fma_f32 v170, v3, v11, -v1
	s_clause 0x1
	scratch_load_b128 v[1:4], off, off offset:232
	scratch_load_b128 v[9:12], off, off offset:248
	s_wait_loadcnt_dscnt 0x100
	v_mul_f32_e32 v171, v5, v2
	v_dual_mul_f32 v2, v6, v2 :: v_dual_mul_f32 v173, v7, v4
	s_delay_alu instid0(VALU_DEP_2) | instskip(NEXT) | instid1(VALU_DEP_2)
	v_fmac_f32_e32 v171, v6, v1
	v_fma_f32 v172, v5, v1, -v2
	v_mul_f32_e32 v1, v8, v4
	s_delay_alu instid0(VALU_DEP_4) | instskip(NEXT) | instid1(VALU_DEP_2)
	v_fmac_f32_e32 v173, v8, v3
	v_fma_f32 v174, v7, v3, -v1
	ds_load_2addr_b64 v[1:4], v21 offset0:91 offset1:92
	ds_load_2addr_b64 v[5:8], v21 offset0:93 offset1:94
	s_wait_loadcnt_dscnt 0x1
	v_mul_f32_e32 v175, v1, v10
	v_mul_f32_e32 v177, v3, v12
	s_delay_alu instid0(VALU_DEP_2) | instskip(NEXT) | instid1(VALU_DEP_2)
	v_fmac_f32_e32 v175, v2, v9
	v_dual_mul_f32 v2, v2, v10 :: v_dual_fmac_f32 v177, v4, v11
	s_delay_alu instid0(VALU_DEP_1) | instskip(SKIP_1) | instid1(VALU_DEP_1)
	v_fma_f32 v176, v1, v9, -v2
	v_mul_f32_e32 v1, v4, v12
	v_fma_f32 v178, v3, v11, -v1
	s_clause 0x1
	scratch_load_b128 v[1:4], off, off offset:264
	scratch_load_b128 v[9:12], off, off offset:280
	s_wait_loadcnt_dscnt 0x100
	v_mul_f32_e32 v179, v5, v2
	v_dual_mul_f32 v2, v6, v2 :: v_dual_mul_f32 v181, v7, v4
	s_delay_alu instid0(VALU_DEP_2) | instskip(NEXT) | instid1(VALU_DEP_2)
	v_fmac_f32_e32 v179, v6, v1
	v_fma_f32 v180, v5, v1, -v2
	v_mul_f32_e32 v1, v8, v4
	s_delay_alu instid0(VALU_DEP_4) | instskip(NEXT) | instid1(VALU_DEP_2)
	v_fmac_f32_e32 v181, v8, v3
	v_fma_f32 v182, v7, v3, -v1
	ds_load_2addr_b64 v[1:4], v21 offset0:95 offset1:96
	ds_load_2addr_b64 v[5:8], v21 offset0:97 offset1:98
	s_wait_loadcnt_dscnt 0x1
	v_mul_f32_e32 v183, v1, v10
	v_mul_f32_e32 v185, v3, v12
	s_delay_alu instid0(VALU_DEP_2) | instskip(NEXT) | instid1(VALU_DEP_2)
	v_fmac_f32_e32 v183, v2, v9
	v_dual_mul_f32 v2, v2, v10 :: v_dual_fmac_f32 v185, v4, v11
	s_delay_alu instid0(VALU_DEP_1) | instskip(SKIP_1) | instid1(VALU_DEP_1)
	v_fma_f32 v184, v1, v9, -v2
	v_mul_f32_e32 v1, v4, v12
	v_fma_f32 v186, v3, v11, -v1
	s_clause 0x1
	scratch_load_b128 v[1:4], off, off offset:296
	scratch_load_b128 v[9:12], off, off offset:312
	s_wait_loadcnt_dscnt 0x100
	v_mul_f32_e32 v187, v5, v2
	v_dual_mul_f32 v2, v6, v2 :: v_dual_mul_f32 v189, v7, v4
	s_delay_alu instid0(VALU_DEP_2) | instskip(NEXT) | instid1(VALU_DEP_2)
	v_fmac_f32_e32 v187, v6, v1
	v_fma_f32 v188, v5, v1, -v2
	v_mul_f32_e32 v1, v8, v4
	s_delay_alu instid0(VALU_DEP_4) | instskip(NEXT) | instid1(VALU_DEP_2)
	v_fmac_f32_e32 v189, v8, v3
	v_fma_f32 v190, v7, v3, -v1
	ds_load_2addr_b64 v[1:4], v21 offset0:99 offset1:100
	ds_load_2addr_b64 v[5:8], v21 offset0:101 offset1:102
	s_wait_loadcnt_dscnt 0x1
	v_mul_f32_e32 v191, v1, v10
	v_mul_f32_e32 v193, v3, v12
	s_delay_alu instid0(VALU_DEP_2) | instskip(NEXT) | instid1(VALU_DEP_2)
	v_fmac_f32_e32 v191, v2, v9
	v_dual_mul_f32 v2, v2, v10 :: v_dual_fmac_f32 v193, v4, v11
	s_delay_alu instid0(VALU_DEP_1) | instskip(SKIP_1) | instid1(VALU_DEP_1)
	v_fma_f32 v192, v1, v9, -v2
	v_mul_f32_e32 v1, v4, v12
	v_fma_f32 v194, v3, v11, -v1
	s_clause 0x1
	scratch_load_b128 v[1:4], off, off offset:328
	scratch_load_b128 v[9:12], off, off offset:344
	s_wait_loadcnt_dscnt 0x100
	v_mul_f32_e32 v195, v5, v2
	v_dual_mul_f32 v2, v6, v2 :: v_dual_mul_f32 v197, v7, v4
	s_delay_alu instid0(VALU_DEP_2) | instskip(NEXT) | instid1(VALU_DEP_2)
	v_fmac_f32_e32 v195, v6, v1
	v_fma_f32 v196, v5, v1, -v2
	v_mul_f32_e32 v1, v8, v4
	s_delay_alu instid0(VALU_DEP_4) | instskip(NEXT) | instid1(VALU_DEP_2)
	v_fmac_f32_e32 v197, v8, v3
	v_fma_f32 v198, v7, v3, -v1
	ds_load_2addr_b64 v[1:4], v21 offset0:103 offset1:104
	ds_load_2addr_b64 v[5:8], v21 offset0:105 offset1:106
	s_wait_loadcnt_dscnt 0x1
	v_mul_f32_e32 v199, v1, v10
	v_mul_f32_e32 v201, v3, v12
	s_delay_alu instid0(VALU_DEP_2) | instskip(NEXT) | instid1(VALU_DEP_2)
	v_fmac_f32_e32 v199, v2, v9
	v_dual_mul_f32 v2, v2, v10 :: v_dual_fmac_f32 v201, v4, v11
	s_delay_alu instid0(VALU_DEP_1) | instskip(SKIP_1) | instid1(VALU_DEP_1)
	v_fma_f32 v200, v1, v9, -v2
	v_mul_f32_e32 v1, v4, v12
	v_fma_f32 v202, v3, v11, -v1
	s_clause 0x1
	scratch_load_b128 v[1:4], off, off offset:360
	scratch_load_b128 v[9:12], off, off offset:376
	s_wait_loadcnt_dscnt 0x100
	v_mul_f32_e32 v203, v5, v2
	v_dual_mul_f32 v2, v6, v2 :: v_dual_mul_f32 v205, v7, v4
	s_delay_alu instid0(VALU_DEP_2) | instskip(NEXT) | instid1(VALU_DEP_2)
	v_fmac_f32_e32 v203, v6, v1
	v_fma_f32 v204, v5, v1, -v2
	v_mul_f32_e32 v1, v8, v4
	s_delay_alu instid0(VALU_DEP_4) | instskip(NEXT) | instid1(VALU_DEP_2)
	v_fmac_f32_e32 v205, v8, v3
	v_fma_f32 v206, v7, v3, -v1
	ds_load_2addr_b64 v[1:4], v21 offset0:107 offset1:108
	ds_load_2addr_b64 v[5:8], v21 offset0:109 offset1:110
	s_wait_loadcnt_dscnt 0x1
	v_mul_f32_e32 v207, v1, v10
	v_mul_f32_e32 v209, v3, v12
	s_delay_alu instid0(VALU_DEP_2) | instskip(NEXT) | instid1(VALU_DEP_2)
	v_fmac_f32_e32 v207, v2, v9
	v_dual_mul_f32 v2, v2, v10 :: v_dual_fmac_f32 v209, v4, v11
	s_delay_alu instid0(VALU_DEP_1) | instskip(SKIP_1) | instid1(VALU_DEP_1)
	v_fma_f32 v208, v1, v9, -v2
	v_mul_f32_e32 v1, v4, v12
	v_fma_f32 v210, v3, v11, -v1
	s_clause 0x1
	scratch_load_b128 v[1:4], off, off offset:392
	scratch_load_b128 v[9:12], off, off offset:408
	s_wait_loadcnt_dscnt 0x100
	v_mul_f32_e32 v211, v5, v2
	v_mul_f32_e32 v2, v6, v2
	s_delay_alu instid0(VALU_DEP_2) | instskip(NEXT) | instid1(VALU_DEP_2)
	v_fmac_f32_e32 v211, v6, v1
	v_fma_f32 v212, v5, v1, -v2
	v_dual_add_f32 v2, 0, v151 :: v_dual_mul_f32 v1, v8, v4
	s_delay_alu instid0(VALU_DEP_1) | instskip(NEXT) | instid1(VALU_DEP_2)
	v_add_f32_e32 v2, v2, v152
	v_fma_f32 v214, v7, v3, -v1
	s_delay_alu instid0(VALU_DEP_2) | instskip(NEXT) | instid1(VALU_DEP_1)
	v_add_f32_e32 v2, v2, v24
	v_add_f32_e32 v2, v2, v25
	s_delay_alu instid0(VALU_DEP_1) | instskip(NEXT) | instid1(VALU_DEP_1)
	v_dual_add_f32 v2, v2, v32 :: v_dual_add_f32 v1, 0, v22
	v_dual_add_f32 v2, v2, v158 :: v_dual_add_f32 v1, v1, v23
	s_delay_alu instid0(VALU_DEP_1) | instskip(NEXT) | instid1(VALU_DEP_1)
	v_add_f32_e32 v2, v2, v154
	v_dual_add_f32 v1, v1, v26 :: v_dual_add_f32 v2, v2, v155
	s_delay_alu instid0(VALU_DEP_1) | instskip(NEXT) | instid1(VALU_DEP_2)
	v_add_f32_e32 v1, v1, v27
	v_add_f32_e32 v2, v2, v15
	s_delay_alu instid0(VALU_DEP_1) | instskip(NEXT) | instid1(VALU_DEP_1)
	v_add_f32_e32 v2, v2, v18
	v_add_f32_e32 v2, v2, v19
	s_delay_alu instid0(VALU_DEP_1) | instskip(NEXT) | instid1(VALU_DEP_1)
	;; [unrolled: 3-line block ×5, first 2 shown]
	v_dual_add_f32 v2, v2, v169 :: v_dual_add_f32 v1, v1, v28
	v_dual_add_f32 v2, v2, v171 :: v_dual_add_f32 v1, v1, v29
	s_delay_alu instid0(VALU_DEP_1) | instskip(NEXT) | instid1(VALU_DEP_1)
	v_add_f32_e32 v2, v2, v173
	v_dual_add_f32 v1, v1, v13 :: v_dual_add_f32 v2, v2, v175
	s_delay_alu instid0(VALU_DEP_1) | instskip(NEXT) | instid1(VALU_DEP_1)
	v_dual_add_f32 v2, v2, v177 :: v_dual_add_f32 v1, v1, v14
	v_add_f32_e32 v1, v1, v16
	s_delay_alu instid0(VALU_DEP_1) | instskip(NEXT) | instid1(VALU_DEP_1)
	v_add_f32_e32 v1, v1, v17
	v_add_f32_e32 v1, v1, v156
	s_delay_alu instid0(VALU_DEP_1) | instskip(NEXT) | instid1(VALU_DEP_1)
	v_add_f32_e32 v1, v1, v157
	;; [unrolled: 3-line block ×8, first 2 shown]
	v_add_f32_e32 v1, v1, v184
	s_delay_alu instid0(VALU_DEP_1) | instskip(SKIP_1) | instid1(VALU_DEP_2)
	v_add_f32_e32 v6, v1, v186
	v_add_f32_e32 v2, v2, v179
	;; [unrolled: 1-line block ×3, first 2 shown]
	s_delay_alu instid0(VALU_DEP_2) | instskip(NEXT) | instid1(VALU_DEP_2)
	v_add_f32_e32 v2, v2, v181
	v_add_f32_e32 v13, v6, v190
	s_delay_alu instid0(VALU_DEP_2) | instskip(NEXT) | instid1(VALU_DEP_2)
	v_add_f32_e32 v5, v2, v183
	v_add_f32_e32 v13, v13, v192
	;; [unrolled: 3-line block ×3, first 2 shown]
	s_delay_alu instid0(VALU_DEP_2) | instskip(SKIP_1) | instid1(VALU_DEP_3)
	v_add_f32_e32 v5, v5, v187
	v_mul_f32_e32 v213, v7, v4
	v_add_f32_e32 v13, v13, v196
	s_delay_alu instid0(VALU_DEP_2) | instskip(SKIP_3) | instid1(VALU_DEP_1)
	v_dual_add_f32 v14, v5, v189 :: v_dual_fmac_f32 v213, v8, v3
	ds_load_2addr_b64 v[1:4], v21 offset0:111 offset1:112
	ds_load_2addr_b64 v[5:8], v21 offset0:113 offset1:114
	v_add_f32_e32 v18, v13, v198
	v_add_f32_e32 v18, v18, v200
	s_delay_alu instid0(VALU_DEP_1) | instskip(SKIP_1) | instid1(VALU_DEP_1)
	v_add_f32_e32 v18, v18, v202
	s_wait_loadcnt_dscnt 0x1
	v_dual_add_f32 v22, v18, v204 :: v_dual_mul_f32 v25, v1, v10
	v_mul_f32_e32 v26, v3, v12
	v_mul_f32_e32 v10, v2, v10
	s_delay_alu instid0(VALU_DEP_3) | instskip(NEXT) | instid1(VALU_DEP_3)
	v_dual_mul_f32 v12, v4, v12 :: v_dual_add_f32 v29, v22, v206
	v_dual_fmac_f32 v25, v2, v9 :: v_dual_fmac_f32 v26, v4, v11
	s_delay_alu instid0(VALU_DEP_3) | instskip(NEXT) | instid1(VALU_DEP_3)
	v_fma_f32 v27, v1, v9, -v10
	v_fma_f32 v28, v3, v11, -v12
	s_clause 0x1
	scratch_load_b128 v[1:4], off, off offset:424
	scratch_load_b128 v[9:12], off, off offset:440
	v_dual_add_f32 v14, v14, v191 :: v_dual_add_f32 v29, v29, v208
	s_delay_alu instid0(VALU_DEP_1) | instskip(NEXT) | instid1(VALU_DEP_1)
	v_dual_add_f32 v14, v14, v193 :: v_dual_add_f32 v29, v29, v210
	v_add_f32_e32 v17, v14, v195
	scratch_load_b128 v[13:16], off, off offset:456
	v_add_f32_e32 v29, v29, v212
	v_add_f32_e32 v17, v17, v197
	s_delay_alu instid0(VALU_DEP_2) | instskip(NEXT) | instid1(VALU_DEP_2)
	v_add_f32_e32 v29, v29, v214
	v_add_f32_e32 v17, v17, v199
	s_delay_alu instid0(VALU_DEP_2) | instskip(NEXT) | instid1(VALU_DEP_2)
	v_add_f32_e32 v27, v29, v27
	v_add_f32_e32 v17, v17, v201
	s_delay_alu instid0(VALU_DEP_1)
	v_add_f32_e32 v23, v17, v203
	ds_load_2addr_b64 v[17:20], v21 offset0:115 offset1:116
	v_add_f32_e32 v32, v23, v205
	ds_load_2addr_b64 v[21:24], v21 offset0:117 offset1:118
	s_wait_loadcnt_dscnt 0x202
	v_mul_f32_e32 v152, v7, v4
	v_add_f32_e32 v32, v32, v207
	s_wait_loadcnt_dscnt 0x101
	v_mul_f32_e32 v154, v17, v10
	v_mul_f32_e32 v151, v5, v2
	v_mul_f32_e32 v2, v6, v2
	v_mul_f32_e32 v4, v8, v4
	v_add_f32_e32 v32, v32, v209
	s_delay_alu instid0(VALU_DEP_4) | instskip(NEXT) | instid1(VALU_DEP_4)
	v_dual_fmac_f32 v152, v8, v3 :: v_dual_fmac_f32 v151, v6, v1
	v_fma_f32 v2, v5, v1, -v2
	s_delay_alu instid0(VALU_DEP_3) | instskip(SKIP_3) | instid1(VALU_DEP_4)
	v_dual_add_f32 v1, v27, v28 :: v_dual_add_f32 v32, v32, v211
	v_mul_f32_e32 v6, v18, v10
	v_fma_f32 v3, v7, v3, -v4
	v_mul_f32_e32 v155, v19, v12
	v_dual_add_f32 v1, v1, v2 :: v_dual_add_f32 v32, v32, v213
	v_mul_f32_e32 v4, v20, v12
	v_fmac_f32_e32 v154, v18, v9
	s_wait_loadcnt_dscnt 0x0
	v_mul_f32_e32 v156, v21, v14
	v_add_f32_e32 v1, v1, v3
	v_add_f32_e32 v25, v32, v25
	v_mul_f32_e32 v3, v22, v14
	v_fmac_f32_e32 v155, v20, v11
	v_fma_f32 v4, v19, v11, -v4
	v_mul_f32_e32 v29, v23, v16
	v_dual_add_f32 v5, v25, v26 :: v_dual_fmac_f32 v156, v22, v13
	v_fma_f32 v3, v21, v13, -v3
	s_delay_alu instid0(VALU_DEP_3) | instskip(NEXT) | instid1(VALU_DEP_3)
	v_fmac_f32_e32 v29, v24, v15
	v_add_f32_e32 v2, v5, v151
	v_fma_f32 v5, v17, v9, -v6
	s_delay_alu instid0(VALU_DEP_1) | instskip(NEXT) | instid1(VALU_DEP_1)
	v_dual_add_f32 v2, v2, v152 :: v_dual_add_f32 v1, v1, v5
	v_dual_mul_f32 v5, v24, v16 :: v_dual_add_f32 v2, v2, v154
	s_delay_alu instid0(VALU_DEP_2) | instskip(NEXT) | instid1(VALU_DEP_2)
	v_add_f32_e32 v1, v1, v4
	v_fma_f32 v4, v23, v15, -v5
	s_delay_alu instid0(VALU_DEP_3) | instskip(NEXT) | instid1(VALU_DEP_1)
	v_add_f32_e32 v2, v2, v155
	v_dual_add_f32 v1, v1, v3 :: v_dual_add_f32 v2, v2, v156
	s_delay_alu instid0(VALU_DEP_1) | instskip(NEXT) | instid1(VALU_DEP_1)
	v_dual_add_f32 v1, v1, v4 :: v_dual_add_f32 v2, v2, v29
	v_dual_sub_f32 v1, v30, v1 :: v_dual_sub_f32 v2, v31, v2
	scratch_store_b64 off, v[1:2], off offset:80
	v_cmpx_lt_u32_e32 9, v0
	s_cbranch_execz .LBB122_349
; %bb.348:
	scratch_load_b64 v[1:2], off, off offset:72
	v_mov_b32_e32 v3, 0
	s_delay_alu instid0(VALU_DEP_1)
	v_mov_b32_e32 v4, v3
	scratch_store_b64 off, v[3:4], off offset:72
	s_wait_loadcnt 0x0
	ds_store_b64 v153, v[1:2]
.LBB122_349:
	s_wait_alu 0xfffe
	s_or_b32 exec_lo, exec_lo, s0
	s_wait_storecnt_dscnt 0x0
	s_barrier_signal -1
	s_barrier_wait -1
	global_inv scope:SCOPE_SE
	s_clause 0x4
	scratch_load_b128 v[5:8], off, off offset:80
	scratch_load_b128 v[1:4], off, off offset:96
	;; [unrolled: 1-line block ×5, first 2 shown]
	v_mov_b32_e32 v25, 0
	ds_load_b128 v[21:24], v25 offset:560
	ds_load_b128 v[26:29], v25 offset:576
	;; [unrolled: 1-line block ×3, first 2 shown]
	scratch_load_b64 v[30:31], off, off offset:72
	s_mov_b32 s0, exec_lo
	s_wait_loadcnt_dscnt 0x502
	v_mul_f32_e32 v32, v22, v6
	v_dual_mul_f32 v151, v21, v6 :: v_dual_mul_f32 v152, v23, v8
	v_mul_f32_e32 v6, v24, v8
	s_wait_loadcnt_dscnt 0x300
	v_mul_f32_e32 v158, v156, v12
	v_fma_f32 v21, v21, v5, -v32
	v_dual_fmac_f32 v151, v22, v5 :: v_dual_fmac_f32 v152, v24, v7
	v_fma_f32 v22, v23, v7, -v6
	ds_load_b128 v[5:8], v25 offset:608
	v_dual_mul_f32 v23, v26, v2 :: v_dual_mul_f32 v24, v28, v4
	v_mul_f32_e32 v4, v29, v4
	v_mul_f32_e32 v32, v154, v10
	;; [unrolled: 1-line block ×5, first 2 shown]
	v_dual_fmac_f32 v23, v27, v1 :: v_dual_fmac_f32 v24, v29, v3
	v_fma_f32 v27, v28, v3, -v4
	v_fmac_f32_e32 v32, v155, v9
	v_fma_f32 v28, v154, v9, -v10
	v_fmac_f32_e32 v158, v157, v11
	v_fma_f32 v29, v156, v11, -v12
	ds_load_b128 v[9:12], v25 offset:624
	s_wait_loadcnt_dscnt 0x201
	v_dual_mul_f32 v155, v7, v16 :: v_dual_mul_f32 v154, v5, v14
	v_mul_f32_e32 v14, v6, v14
	v_mul_f32_e32 v16, v8, v16
	s_delay_alu instid0(VALU_DEP_3)
	v_fmac_f32_e32 v155, v8, v15
	v_fma_f32 v26, v26, v1, -v2
	scratch_load_b128 v[1:4], off, off offset:160
	v_fmac_f32_e32 v154, v6, v13
	v_fma_f32 v13, v5, v13, -v14
	v_fma_f32 v14, v7, v15, -v16
	ds_load_b128 v[5:8], v25 offset:640
	s_wait_loadcnt_dscnt 0x201
	v_mul_f32_e32 v15, v9, v18
	v_mul_f32_e32 v16, v10, v18
	;; [unrolled: 1-line block ×3, first 2 shown]
	s_delay_alu instid0(VALU_DEP_3) | instskip(NEXT) | instid1(VALU_DEP_3)
	v_dual_mul_f32 v20, v12, v20 :: v_dual_fmac_f32 v15, v10, v17
	v_fma_f32 v16, v9, v17, -v16
	s_delay_alu instid0(VALU_DEP_3) | instskip(NEXT) | instid1(VALU_DEP_3)
	v_fmac_f32_e32 v18, v12, v19
	v_fma_f32 v17, v11, v19, -v20
	scratch_load_b128 v[9:12], off, off offset:176
	s_wait_loadcnt_dscnt 0x100
	v_mul_f32_e32 v19, v5, v2
	v_mul_f32_e32 v2, v6, v2
	;; [unrolled: 1-line block ×3, first 2 shown]
	s_delay_alu instid0(VALU_DEP_3) | instskip(NEXT) | instid1(VALU_DEP_3)
	v_dual_mul_f32 v4, v8, v4 :: v_dual_fmac_f32 v19, v6, v1
	v_fma_f32 v156, v5, v1, -v2
	s_delay_alu instid0(VALU_DEP_3) | instskip(NEXT) | instid1(VALU_DEP_3)
	v_fmac_f32_e32 v20, v8, v3
	v_fma_f32 v157, v7, v3, -v4
	ds_load_b128 v[1:4], v25 offset:656
	ds_load_b128 v[5:8], v25 offset:672
	s_wait_loadcnt_dscnt 0x1
	v_mul_f32_e32 v159, v1, v10
	v_mul_f32_e32 v10, v2, v10
	s_delay_alu instid0(VALU_DEP_2) | instskip(NEXT) | instid1(VALU_DEP_2)
	v_dual_mul_f32 v160, v3, v12 :: v_dual_fmac_f32 v159, v2, v9
	v_fma_f32 v161, v1, v9, -v10
	v_mul_f32_e32 v1, v4, v12
	s_delay_alu instid0(VALU_DEP_3) | instskip(NEXT) | instid1(VALU_DEP_2)
	v_fmac_f32_e32 v160, v4, v11
	v_fma_f32 v162, v3, v11, -v1
	s_clause 0x1
	scratch_load_b128 v[1:4], off, off offset:192
	scratch_load_b128 v[9:12], off, off offset:208
	s_wait_loadcnt_dscnt 0x100
	v_mul_f32_e32 v163, v5, v2
	v_dual_mul_f32 v2, v6, v2 :: v_dual_mul_f32 v165, v7, v4
	s_delay_alu instid0(VALU_DEP_2) | instskip(NEXT) | instid1(VALU_DEP_2)
	v_fmac_f32_e32 v163, v6, v1
	v_fma_f32 v164, v5, v1, -v2
	v_mul_f32_e32 v1, v8, v4
	s_delay_alu instid0(VALU_DEP_4) | instskip(NEXT) | instid1(VALU_DEP_2)
	v_fmac_f32_e32 v165, v8, v3
	v_fma_f32 v166, v7, v3, -v1
	ds_load_b128 v[1:4], v25 offset:688
	ds_load_b128 v[5:8], v25 offset:704
	s_wait_loadcnt_dscnt 0x1
	v_mul_f32_e32 v167, v1, v10
	v_mul_f32_e32 v169, v3, v12
	s_delay_alu instid0(VALU_DEP_2) | instskip(NEXT) | instid1(VALU_DEP_2)
	v_fmac_f32_e32 v167, v2, v9
	v_dual_mul_f32 v2, v2, v10 :: v_dual_fmac_f32 v169, v4, v11
	s_delay_alu instid0(VALU_DEP_1) | instskip(SKIP_1) | instid1(VALU_DEP_1)
	v_fma_f32 v168, v1, v9, -v2
	v_mul_f32_e32 v1, v4, v12
	v_fma_f32 v170, v3, v11, -v1
	s_clause 0x1
	scratch_load_b128 v[1:4], off, off offset:224
	scratch_load_b128 v[9:12], off, off offset:240
	s_wait_loadcnt_dscnt 0x100
	v_mul_f32_e32 v171, v5, v2
	v_dual_mul_f32 v2, v6, v2 :: v_dual_mul_f32 v173, v7, v4
	s_delay_alu instid0(VALU_DEP_2) | instskip(NEXT) | instid1(VALU_DEP_2)
	v_fmac_f32_e32 v171, v6, v1
	v_fma_f32 v172, v5, v1, -v2
	v_mul_f32_e32 v1, v8, v4
	s_delay_alu instid0(VALU_DEP_4) | instskip(NEXT) | instid1(VALU_DEP_2)
	v_fmac_f32_e32 v173, v8, v3
	v_fma_f32 v174, v7, v3, -v1
	ds_load_b128 v[1:4], v25 offset:720
	ds_load_b128 v[5:8], v25 offset:736
	s_wait_loadcnt_dscnt 0x1
	v_mul_f32_e32 v175, v1, v10
	v_mul_f32_e32 v177, v3, v12
	s_delay_alu instid0(VALU_DEP_2) | instskip(NEXT) | instid1(VALU_DEP_2)
	v_fmac_f32_e32 v175, v2, v9
	v_dual_mul_f32 v2, v2, v10 :: v_dual_fmac_f32 v177, v4, v11
	s_delay_alu instid0(VALU_DEP_1) | instskip(SKIP_1) | instid1(VALU_DEP_1)
	v_fma_f32 v176, v1, v9, -v2
	v_mul_f32_e32 v1, v4, v12
	;; [unrolled: 25-line block ×6, first 2 shown]
	v_fma_f32 v210, v3, v11, -v1
	s_clause 0x1
	scratch_load_b128 v[1:4], off, off offset:384
	scratch_load_b128 v[9:12], off, off offset:400
	s_wait_loadcnt_dscnt 0x100
	v_mul_f32_e32 v211, v5, v2
	v_mul_f32_e32 v2, v6, v2
	s_delay_alu instid0(VALU_DEP_2) | instskip(NEXT) | instid1(VALU_DEP_2)
	v_fmac_f32_e32 v211, v6, v1
	v_fma_f32 v212, v5, v1, -v2
	v_dual_add_f32 v2, 0, v151 :: v_dual_mul_f32 v1, v8, v4
	s_delay_alu instid0(VALU_DEP_1) | instskip(NEXT) | instid1(VALU_DEP_2)
	v_add_f32_e32 v2, v2, v152
	v_fma_f32 v214, v7, v3, -v1
	s_delay_alu instid0(VALU_DEP_2) | instskip(NEXT) | instid1(VALU_DEP_1)
	v_dual_add_f32 v1, 0, v21 :: v_dual_add_f32 v2, v2, v23
	v_dual_add_f32 v1, v1, v22 :: v_dual_add_f32 v2, v2, v24
	s_delay_alu instid0(VALU_DEP_1) | instskip(NEXT) | instid1(VALU_DEP_1)
	v_add_f32_e32 v2, v2, v32
	v_add_f32_e32 v2, v2, v158
	s_delay_alu instid0(VALU_DEP_1) | instskip(NEXT) | instid1(VALU_DEP_1)
	v_add_f32_e32 v2, v2, v154
	v_dual_add_f32 v1, v1, v26 :: v_dual_add_f32 v2, v2, v155
	s_delay_alu instid0(VALU_DEP_1) | instskip(SKIP_2) | instid1(VALU_DEP_1)
	v_add_f32_e32 v1, v1, v27
	scratch_load_b64 v[26:27], off, off offset:464
	v_dual_add_f32 v2, v2, v15 :: v_dual_add_f32 v1, v1, v28
	v_dual_add_f32 v2, v2, v18 :: v_dual_add_f32 v1, v1, v29
	s_delay_alu instid0(VALU_DEP_1) | instskip(NEXT) | instid1(VALU_DEP_1)
	v_dual_add_f32 v2, v2, v19 :: v_dual_add_f32 v1, v1, v13
	v_dual_add_f32 v2, v2, v20 :: v_dual_add_f32 v1, v1, v14
	s_delay_alu instid0(VALU_DEP_1) | instskip(NEXT) | instid1(VALU_DEP_1)
	;; [unrolled: 3-line block ×3, first 2 shown]
	v_dual_add_f32 v2, v2, v163 :: v_dual_add_f32 v1, v1, v156
	v_add_f32_e32 v2, v2, v165
	s_delay_alu instid0(VALU_DEP_1) | instskip(NEXT) | instid1(VALU_DEP_1)
	v_dual_add_f32 v1, v1, v157 :: v_dual_add_f32 v2, v2, v167
	v_add_f32_e32 v1, v1, v161
	s_delay_alu instid0(VALU_DEP_1) | instskip(NEXT) | instid1(VALU_DEP_1)
	v_dual_add_f32 v2, v2, v169 :: v_dual_add_f32 v1, v1, v162
	v_dual_add_f32 v2, v2, v171 :: v_dual_add_f32 v1, v1, v164
	s_delay_alu instid0(VALU_DEP_1) | instskip(NEXT) | instid1(VALU_DEP_1)
	v_dual_add_f32 v2, v2, v173 :: v_dual_add_f32 v1, v1, v166
	v_dual_add_f32 v2, v2, v175 :: v_dual_add_f32 v1, v1, v168
	s_delay_alu instid0(VALU_DEP_1) | instskip(NEXT) | instid1(VALU_DEP_1)
	v_dual_add_f32 v2, v2, v177 :: v_dual_add_f32 v1, v1, v170
	v_add_f32_e32 v1, v1, v172
	s_delay_alu instid0(VALU_DEP_1) | instskip(NEXT) | instid1(VALU_DEP_1)
	v_add_f32_e32 v1, v1, v174
	v_add_f32_e32 v1, v1, v176
	s_delay_alu instid0(VALU_DEP_1) | instskip(NEXT) | instid1(VALU_DEP_1)
	v_add_f32_e32 v1, v1, v178
	v_add_f32_e32 v1, v1, v180
	s_delay_alu instid0(VALU_DEP_1) | instskip(NEXT) | instid1(VALU_DEP_1)
	v_add_f32_e32 v1, v1, v182
	v_add_f32_e32 v1, v1, v184
	s_delay_alu instid0(VALU_DEP_1) | instskip(SKIP_1) | instid1(VALU_DEP_2)
	v_add_f32_e32 v6, v1, v186
	v_add_f32_e32 v2, v2, v179
	v_add_f32_e32 v6, v6, v188
	s_delay_alu instid0(VALU_DEP_2) | instskip(NEXT) | instid1(VALU_DEP_2)
	v_add_f32_e32 v2, v2, v181
	v_add_f32_e32 v13, v6, v190
	s_delay_alu instid0(VALU_DEP_2) | instskip(NEXT) | instid1(VALU_DEP_2)
	v_add_f32_e32 v5, v2, v183
	v_add_f32_e32 v13, v13, v192
	;; [unrolled: 3-line block ×3, first 2 shown]
	s_delay_alu instid0(VALU_DEP_2) | instskip(SKIP_1) | instid1(VALU_DEP_3)
	v_add_f32_e32 v5, v5, v187
	v_mul_f32_e32 v213, v7, v4
	v_add_f32_e32 v13, v13, v196
	s_delay_alu instid0(VALU_DEP_2) | instskip(SKIP_4) | instid1(VALU_DEP_2)
	v_dual_add_f32 v14, v5, v189 :: v_dual_fmac_f32 v213, v8, v3
	ds_load_b128 v[1:4], v25 offset:880
	ds_load_b128 v[5:8], v25 offset:896
	v_add_f32_e32 v18, v13, v198
	v_add_f32_e32 v14, v14, v191
	;; [unrolled: 1-line block ×3, first 2 shown]
	s_delay_alu instid0(VALU_DEP_2) | instskip(NEXT) | instid1(VALU_DEP_2)
	v_add_f32_e32 v14, v14, v193
	v_add_f32_e32 v18, v18, v202
	s_delay_alu instid0(VALU_DEP_2)
	v_add_f32_e32 v17, v14, v195
	scratch_load_b128 v[13:16], off, off offset:448
	v_dual_add_f32 v18, v18, v204 :: v_dual_add_f32 v17, v17, v197
	s_wait_loadcnt_dscnt 0x201
	v_mul_f32_e32 v32, v1, v10
	v_dual_mul_f32 v10, v2, v10 :: v_dual_mul_f32 v151, v3, v12
	v_mul_f32_e32 v12, v4, v12
	v_add_f32_e32 v18, v18, v206
	s_delay_alu instid0(VALU_DEP_4) | instskip(NEXT) | instid1(VALU_DEP_4)
	v_fmac_f32_e32 v32, v2, v9
	v_fma_f32 v152, v1, v9, -v10
	v_fmac_f32_e32 v151, v4, v11
	v_fma_f32 v154, v3, v11, -v12
	s_clause 0x1
	scratch_load_b128 v[1:4], off, off offset:416
	scratch_load_b128 v[9:12], off, off offset:432
	v_add_f32_e32 v28, v18, v208
	s_delay_alu instid0(VALU_DEP_1) | instskip(NEXT) | instid1(VALU_DEP_1)
	v_add_f32_e32 v155, v28, v210
	v_add_f32_e32 v155, v155, v212
	s_delay_alu instid0(VALU_DEP_1) | instskip(NEXT) | instid1(VALU_DEP_1)
	v_add_f32_e32 v155, v155, v214
	v_add_f32_e32 v152, v155, v152
	s_delay_alu instid0(VALU_DEP_1) | instskip(SKIP_4) | instid1(VALU_DEP_3)
	v_add_f32_e32 v152, v152, v154
	s_wait_loadcnt_dscnt 0x100
	v_dual_mul_f32 v158, v7, v4 :: v_dual_add_f32 v17, v17, v199
	v_dual_mul_f32 v4, v8, v4 :: v_dual_mul_f32 v157, v5, v2
	v_mul_f32_e32 v2, v6, v2
	v_dual_fmac_f32 v158, v8, v3 :: v_dual_add_f32 v17, v17, v201
	s_delay_alu instid0(VALU_DEP_3) | instskip(NEXT) | instid1(VALU_DEP_3)
	v_fmac_f32_e32 v157, v6, v1
	v_fma_f32 v2, v5, v1, -v2
	v_fma_f32 v1, v7, v3, -v4
	s_delay_alu instid0(VALU_DEP_2) | instskip(NEXT) | instid1(VALU_DEP_1)
	v_dual_add_f32 v17, v17, v203 :: v_dual_add_f32 v2, v152, v2
	v_add_f32_e32 v21, v17, v205
	ds_load_b128 v[17:20], v25 offset:912
	v_add_f32_e32 v1, v2, v1
	v_add_f32_e32 v29, v21, v207
	ds_load_b128 v[21:24], v25 offset:928
	v_add_f32_e32 v156, v29, v209
	ds_load_b64 v[28:29], v25 offset:944
	v_add_f32_e32 v156, v156, v211
	s_wait_loadcnt_dscnt 0x2
	s_delay_alu instid0(VALU_DEP_1) | instskip(SKIP_2) | instid1(VALU_DEP_3)
	v_dual_add_f32 v156, v156, v213 :: v_dual_mul_f32 v155, v17, v10
	v_mul_f32_e32 v3, v18, v10
	v_mul_f32_e32 v5, v20, v12
	v_add_f32_e32 v32, v156, v32
	s_delay_alu instid0(VALU_DEP_4) | instskip(NEXT) | instid1(VALU_DEP_4)
	v_dual_mul_f32 v156, v19, v12 :: v_dual_fmac_f32 v155, v18, v9
	v_fma_f32 v3, v17, v9, -v3
	s_wait_dscnt 0x1
	s_delay_alu instid0(VALU_DEP_3) | instskip(NEXT) | instid1(VALU_DEP_3)
	v_dual_mul_f32 v159, v21, v14 :: v_dual_add_f32 v32, v32, v151
	v_fmac_f32_e32 v156, v20, v11
	v_fma_f32 v5, v19, v11, -v5
	v_dual_add_f32 v1, v1, v3 :: v_dual_mul_f32 v154, v23, v16
	s_delay_alu instid0(VALU_DEP_4) | instskip(SKIP_2) | instid1(VALU_DEP_4)
	v_add_f32_e32 v4, v32, v157
	v_mul_f32_e32 v3, v24, v16
	v_fmac_f32_e32 v159, v22, v13
	v_add_f32_e32 v1, v1, v5
	s_wait_dscnt 0x0
	v_mul_f32_e32 v151, v28, v27
	v_add_f32_e32 v2, v4, v158
	v_dual_mul_f32 v4, v22, v14 :: v_dual_mul_f32 v5, v29, v27
	v_fmac_f32_e32 v154, v24, v15
	v_fma_f32 v3, v23, v15, -v3
	s_delay_alu instid0(VALU_DEP_4) | instskip(NEXT) | instid1(VALU_DEP_4)
	v_add_f32_e32 v2, v2, v155
	v_fma_f32 v4, v21, v13, -v4
	s_delay_alu instid0(VALU_DEP_2) | instskip(NEXT) | instid1(VALU_DEP_2)
	v_dual_fmac_f32 v151, v29, v26 :: v_dual_add_f32 v2, v2, v156
	v_add_f32_e32 v1, v1, v4
	v_fma_f32 v4, v28, v26, -v5
	s_delay_alu instid0(VALU_DEP_3) | instskip(NEXT) | instid1(VALU_DEP_1)
	v_add_f32_e32 v2, v2, v159
	v_dual_add_f32 v1, v1, v3 :: v_dual_add_f32 v2, v2, v154
	s_delay_alu instid0(VALU_DEP_1) | instskip(NEXT) | instid1(VALU_DEP_1)
	v_dual_add_f32 v1, v1, v4 :: v_dual_add_f32 v2, v2, v151
	v_dual_sub_f32 v1, v30, v1 :: v_dual_sub_f32 v2, v31, v2
	scratch_store_b64 off, v[1:2], off offset:72
	v_cmpx_lt_u32_e32 8, v0
	s_cbranch_execz .LBB122_351
; %bb.350:
	scratch_load_b64 v[1:2], off, off offset:64
	v_mov_b32_e32 v26, v25
	scratch_store_b64 off, v[25:26], off offset:64
	s_wait_loadcnt 0x0
	ds_store_b64 v153, v[1:2]
.LBB122_351:
	s_wait_alu 0xfffe
	s_or_b32 exec_lo, exec_lo, s0
	s_wait_storecnt_dscnt 0x0
	s_barrier_signal -1
	s_barrier_wait -1
	global_inv scope:SCOPE_SE
	s_clause 0x4
	scratch_load_b128 v[5:8], off, off offset:72
	scratch_load_b128 v[1:4], off, off offset:88
	;; [unrolled: 1-line block ×5, first 2 shown]
	ds_load_2addr_b64 v[21:24], v25 offset0:69 offset1:70
	ds_load_2addr_b64 v[26:29], v25 offset0:71 offset1:72
	;; [unrolled: 1-line block ×3, first 2 shown]
	scratch_load_b64 v[30:31], off, off offset:64
	s_mov_b32 s0, exec_lo
	s_wait_loadcnt_dscnt 0x502
	v_dual_mul_f32 v32, v21, v6 :: v_dual_mul_f32 v151, v23, v8
	v_mul_f32_e32 v6, v22, v6
	v_mul_f32_e32 v8, v24, v8
	s_wait_loadcnt_dscnt 0x300
	v_mul_f32_e32 v152, v154, v10
	v_dual_fmac_f32 v32, v22, v5 :: v_dual_fmac_f32 v151, v24, v7
	v_fma_f32 v21, v21, v5, -v6
	v_fma_f32 v22, v23, v7, -v8
	ds_load_2addr_b64 v[5:8], v25 offset0:75 offset1:76
	v_dual_mul_f32 v23, v26, v2 :: v_dual_mul_f32 v24, v28, v4
	v_mul_f32_e32 v4, v29, v4
	v_mul_f32_e32 v10, v155, v10
	;; [unrolled: 1-line block ×5, first 2 shown]
	v_dual_fmac_f32 v23, v27, v1 :: v_dual_fmac_f32 v24, v29, v3
	v_fma_f32 v27, v28, v3, -v4
	v_fmac_f32_e32 v152, v155, v9
	v_fma_f32 v28, v154, v9, -v10
	v_fmac_f32_e32 v158, v157, v11
	v_fma_f32 v29, v156, v11, -v12
	ds_load_2addr_b64 v[9:12], v25 offset0:77 offset1:78
	s_wait_loadcnt_dscnt 0x201
	v_dual_mul_f32 v155, v7, v16 :: v_dual_mul_f32 v154, v5, v14
	v_mul_f32_e32 v14, v6, v14
	v_mul_f32_e32 v16, v8, v16
	s_delay_alu instid0(VALU_DEP_3)
	v_fmac_f32_e32 v155, v8, v15
	v_fma_f32 v26, v26, v1, -v2
	scratch_load_b128 v[1:4], off, off offset:152
	v_fmac_f32_e32 v154, v6, v13
	v_fma_f32 v13, v5, v13, -v14
	v_fma_f32 v14, v7, v15, -v16
	ds_load_2addr_b64 v[5:8], v25 offset0:79 offset1:80
	s_wait_loadcnt_dscnt 0x201
	v_mul_f32_e32 v15, v9, v18
	v_mul_f32_e32 v16, v10, v18
	;; [unrolled: 1-line block ×3, first 2 shown]
	s_delay_alu instid0(VALU_DEP_3) | instskip(NEXT) | instid1(VALU_DEP_3)
	v_dual_mul_f32 v20, v12, v20 :: v_dual_fmac_f32 v15, v10, v17
	v_fma_f32 v16, v9, v17, -v16
	s_delay_alu instid0(VALU_DEP_3) | instskip(NEXT) | instid1(VALU_DEP_3)
	v_fmac_f32_e32 v18, v12, v19
	v_fma_f32 v17, v11, v19, -v20
	scratch_load_b128 v[9:12], off, off offset:168
	s_wait_loadcnt_dscnt 0x100
	v_mul_f32_e32 v19, v5, v2
	v_mul_f32_e32 v2, v6, v2
	;; [unrolled: 1-line block ×3, first 2 shown]
	s_delay_alu instid0(VALU_DEP_3) | instskip(NEXT) | instid1(VALU_DEP_3)
	v_dual_mul_f32 v4, v8, v4 :: v_dual_fmac_f32 v19, v6, v1
	v_fma_f32 v156, v5, v1, -v2
	s_delay_alu instid0(VALU_DEP_3) | instskip(NEXT) | instid1(VALU_DEP_3)
	v_fmac_f32_e32 v20, v8, v3
	v_fma_f32 v157, v7, v3, -v4
	ds_load_2addr_b64 v[1:4], v25 offset0:81 offset1:82
	ds_load_2addr_b64 v[5:8], v25 offset0:83 offset1:84
	s_wait_loadcnt_dscnt 0x1
	v_mul_f32_e32 v159, v1, v10
	v_mul_f32_e32 v10, v2, v10
	s_delay_alu instid0(VALU_DEP_2) | instskip(NEXT) | instid1(VALU_DEP_2)
	v_dual_mul_f32 v160, v3, v12 :: v_dual_fmac_f32 v159, v2, v9
	v_fma_f32 v161, v1, v9, -v10
	v_mul_f32_e32 v1, v4, v12
	s_delay_alu instid0(VALU_DEP_3) | instskip(NEXT) | instid1(VALU_DEP_2)
	v_fmac_f32_e32 v160, v4, v11
	v_fma_f32 v162, v3, v11, -v1
	s_clause 0x1
	scratch_load_b128 v[1:4], off, off offset:184
	scratch_load_b128 v[9:12], off, off offset:200
	s_wait_loadcnt_dscnt 0x100
	v_mul_f32_e32 v163, v5, v2
	v_dual_mul_f32 v2, v6, v2 :: v_dual_mul_f32 v165, v7, v4
	s_delay_alu instid0(VALU_DEP_2) | instskip(NEXT) | instid1(VALU_DEP_2)
	v_fmac_f32_e32 v163, v6, v1
	v_fma_f32 v164, v5, v1, -v2
	v_mul_f32_e32 v1, v8, v4
	s_delay_alu instid0(VALU_DEP_4) | instskip(NEXT) | instid1(VALU_DEP_2)
	v_fmac_f32_e32 v165, v8, v3
	v_fma_f32 v166, v7, v3, -v1
	ds_load_2addr_b64 v[1:4], v25 offset0:85 offset1:86
	ds_load_2addr_b64 v[5:8], v25 offset0:87 offset1:88
	s_wait_loadcnt_dscnt 0x1
	v_mul_f32_e32 v167, v1, v10
	v_mul_f32_e32 v169, v3, v12
	s_delay_alu instid0(VALU_DEP_2) | instskip(NEXT) | instid1(VALU_DEP_2)
	v_fmac_f32_e32 v167, v2, v9
	v_dual_mul_f32 v2, v2, v10 :: v_dual_fmac_f32 v169, v4, v11
	s_delay_alu instid0(VALU_DEP_1) | instskip(SKIP_1) | instid1(VALU_DEP_1)
	v_fma_f32 v168, v1, v9, -v2
	v_mul_f32_e32 v1, v4, v12
	v_fma_f32 v170, v3, v11, -v1
	s_clause 0x1
	scratch_load_b128 v[1:4], off, off offset:216
	scratch_load_b128 v[9:12], off, off offset:232
	s_wait_loadcnt_dscnt 0x100
	v_mul_f32_e32 v171, v5, v2
	v_dual_mul_f32 v2, v6, v2 :: v_dual_mul_f32 v173, v7, v4
	s_delay_alu instid0(VALU_DEP_2) | instskip(NEXT) | instid1(VALU_DEP_2)
	v_fmac_f32_e32 v171, v6, v1
	v_fma_f32 v172, v5, v1, -v2
	v_mul_f32_e32 v1, v8, v4
	s_delay_alu instid0(VALU_DEP_4) | instskip(NEXT) | instid1(VALU_DEP_2)
	v_fmac_f32_e32 v173, v8, v3
	v_fma_f32 v174, v7, v3, -v1
	ds_load_2addr_b64 v[1:4], v25 offset0:89 offset1:90
	ds_load_2addr_b64 v[5:8], v25 offset0:91 offset1:92
	s_wait_loadcnt_dscnt 0x1
	v_mul_f32_e32 v175, v1, v10
	v_mul_f32_e32 v177, v3, v12
	s_delay_alu instid0(VALU_DEP_2) | instskip(NEXT) | instid1(VALU_DEP_2)
	v_fmac_f32_e32 v175, v2, v9
	v_dual_mul_f32 v2, v2, v10 :: v_dual_fmac_f32 v177, v4, v11
	s_delay_alu instid0(VALU_DEP_1) | instskip(SKIP_1) | instid1(VALU_DEP_1)
	v_fma_f32 v176, v1, v9, -v2
	v_mul_f32_e32 v1, v4, v12
	;; [unrolled: 25-line block ×6, first 2 shown]
	v_fma_f32 v210, v3, v11, -v1
	s_clause 0x1
	scratch_load_b128 v[1:4], off, off offset:376
	scratch_load_b128 v[9:12], off, off offset:392
	s_wait_loadcnt_dscnt 0x100
	v_mul_f32_e32 v211, v5, v2
	v_mul_f32_e32 v2, v6, v2
	s_delay_alu instid0(VALU_DEP_2) | instskip(NEXT) | instid1(VALU_DEP_2)
	v_fmac_f32_e32 v211, v6, v1
	v_fma_f32 v212, v5, v1, -v2
	v_add_f32_e32 v2, 0, v32
	s_delay_alu instid0(VALU_DEP_1) | instskip(NEXT) | instid1(VALU_DEP_1)
	v_add_f32_e32 v2, v2, v151
	v_add_f32_e32 v2, v2, v23
	s_delay_alu instid0(VALU_DEP_1) | instskip(NEXT) | instid1(VALU_DEP_1)
	v_add_f32_e32 v2, v2, v24
	v_add_f32_e32 v2, v2, v152
	s_delay_alu instid0(VALU_DEP_1) | instskip(NEXT) | instid1(VALU_DEP_1)
	v_dual_mul_f32 v1, v8, v4 :: v_dual_add_f32 v2, v2, v158
	v_fma_f32 v214, v7, v3, -v1
	s_delay_alu instid0(VALU_DEP_2) | instskip(NEXT) | instid1(VALU_DEP_1)
	v_dual_add_f32 v1, 0, v21 :: v_dual_add_f32 v2, v2, v154
	v_dual_add_f32 v1, v1, v22 :: v_dual_add_f32 v2, v2, v155
	s_delay_alu instid0(VALU_DEP_1) | instskip(NEXT) | instid1(VALU_DEP_1)
	v_dual_add_f32 v1, v1, v26 :: v_dual_add_f32 v2, v2, v15
	v_dual_add_f32 v1, v1, v27 :: v_dual_add_f32 v2, v2, v18
	s_delay_alu instid0(VALU_DEP_1) | instskip(NEXT) | instid1(VALU_DEP_1)
	;; [unrolled: 3-line block ×4, first 2 shown]
	v_dual_add_f32 v1, v1, v16 :: v_dual_add_f32 v2, v2, v163
	v_add_f32_e32 v1, v1, v17
	s_delay_alu instid0(VALU_DEP_2) | instskip(NEXT) | instid1(VALU_DEP_1)
	v_add_f32_e32 v2, v2, v165
	v_add_f32_e32 v2, v2, v167
	s_delay_alu instid0(VALU_DEP_1) | instskip(NEXT) | instid1(VALU_DEP_1)
	v_add_f32_e32 v2, v2, v169
	v_add_f32_e32 v2, v2, v171
	s_delay_alu instid0(VALU_DEP_1) | instskip(NEXT) | instid1(VALU_DEP_1)
	;; [unrolled: 3-line block ×3, first 2 shown]
	v_dual_add_f32 v2, v2, v177 :: v_dual_add_f32 v1, v1, v156
	v_add_f32_e32 v1, v1, v157
	s_delay_alu instid0(VALU_DEP_1) | instskip(NEXT) | instid1(VALU_DEP_1)
	v_add_f32_e32 v1, v1, v161
	v_add_f32_e32 v1, v1, v162
	s_delay_alu instid0(VALU_DEP_1) | instskip(NEXT) | instid1(VALU_DEP_1)
	v_add_f32_e32 v1, v1, v164
	;; [unrolled: 3-line block ×7, first 2 shown]
	v_add_f32_e32 v1, v1, v186
	s_delay_alu instid0(VALU_DEP_1) | instskip(SKIP_1) | instid1(VALU_DEP_2)
	v_add_f32_e32 v6, v1, v188
	v_add_f32_e32 v2, v2, v179
	;; [unrolled: 1-line block ×3, first 2 shown]
	s_delay_alu instid0(VALU_DEP_2) | instskip(NEXT) | instid1(VALU_DEP_2)
	v_dual_add_f32 v2, v2, v181 :: v_dual_mul_f32 v213, v7, v4
	v_add_f32_e32 v14, v14, v192
	s_delay_alu instid0(VALU_DEP_2) | instskip(NEXT) | instid1(VALU_DEP_3)
	v_add_f32_e32 v2, v2, v183
	v_fmac_f32_e32 v213, v8, v3
	s_delay_alu instid0(VALU_DEP_3) | instskip(NEXT) | instid1(VALU_DEP_3)
	v_add_f32_e32 v17, v14, v194
	v_add_f32_e32 v5, v2, v185
	ds_load_2addr_b64 v[1:4], v25 offset0:109 offset1:110
	v_add_f32_e32 v17, v17, v196
	v_add_f32_e32 v13, v5, v187
	scratch_load_b128 v[5:8], off, off offset:408
	v_add_f32_e32 v17, v17, v198
	v_add_f32_e32 v13, v13, v189
	s_delay_alu instid0(VALU_DEP_2) | instskip(NEXT) | instid1(VALU_DEP_1)
	v_add_f32_e32 v17, v17, v200
	v_add_f32_e32 v22, v17, v202
	s_delay_alu instid0(VALU_DEP_1) | instskip(NEXT) | instid1(VALU_DEP_1)
	v_dual_add_f32 v13, v13, v191 :: v_dual_add_f32 v22, v22, v204
	v_add_f32_e32 v18, v13, v193
	ds_load_2addr_b64 v[13:16], v25 offset0:111 offset1:112
	s_wait_loadcnt_dscnt 0x101
	v_mul_f32_e32 v26, v1, v10
	v_dual_mul_f32 v10, v2, v10 :: v_dual_mul_f32 v27, v3, v12
	v_mul_f32_e32 v12, v4, v12
	v_add_f32_e32 v22, v22, v206
	s_delay_alu instid0(VALU_DEP_4) | instskip(NEXT) | instid1(VALU_DEP_4)
	v_fmac_f32_e32 v26, v2, v9
	v_fma_f32 v28, v1, v9, -v10
	v_fmac_f32_e32 v27, v4, v11
	v_fma_f32 v29, v3, v11, -v12
	s_clause 0x1
	scratch_load_b128 v[1:4], off, off offset:424
	scratch_load_b128 v[9:12], off, off offset:440
	s_wait_loadcnt_dscnt 0x200
	v_mul_f32_e32 v32, v13, v6
	v_dual_add_f32 v18, v18, v195 :: v_dual_mul_f32 v151, v15, v8
	v_mul_f32_e32 v8, v16, v8
	v_mul_f32_e32 v6, v14, v6
	s_delay_alu instid0(VALU_DEP_4) | instskip(NEXT) | instid1(VALU_DEP_4)
	v_fmac_f32_e32 v32, v14, v5
	v_dual_add_f32 v18, v18, v197 :: v_dual_fmac_f32 v151, v16, v7
	s_delay_alu instid0(VALU_DEP_4) | instskip(NEXT) | instid1(VALU_DEP_4)
	v_fma_f32 v154, v15, v7, -v8
	v_fma_f32 v152, v13, v5, -v6
	ds_load_2addr_b64 v[5:8], v25 offset0:113 offset1:114
	v_add_f32_e32 v21, v18, v199
	scratch_load_b128 v[17:20], off, off offset:456
	v_add_f32_e32 v21, v21, v201
	s_delay_alu instid0(VALU_DEP_1) | instskip(NEXT) | instid1(VALU_DEP_1)
	v_add_f32_e32 v21, v21, v203
	v_add_f32_e32 v13, v21, v205
	s_delay_alu instid0(VALU_DEP_1) | instskip(NEXT) | instid1(VALU_DEP_1)
	v_dual_add_f32 v21, v22, v208 :: v_dual_add_f32 v22, v13, v207
	v_add_f32_e32 v155, v21, v210
	ds_load_2addr_b64 v[13:16], v25 offset0:115 offset1:116
	v_add_f32_e32 v156, v22, v209
	ds_load_2addr_b64 v[21:24], v25 offset0:117 offset1:118
	v_add_f32_e32 v25, v155, v212
	s_wait_loadcnt_dscnt 0x202
	v_dual_add_f32 v155, v156, v211 :: v_dual_mul_f32 v156, v5, v2
	s_delay_alu instid0(VALU_DEP_2) | instskip(NEXT) | instid1(VALU_DEP_2)
	v_add_f32_e32 v25, v25, v214
	v_dual_mul_f32 v2, v6, v2 :: v_dual_add_f32 v155, v155, v213
	s_delay_alu instid0(VALU_DEP_2) | instskip(SKIP_2) | instid1(VALU_DEP_4)
	v_dual_fmac_f32 v156, v6, v1 :: v_dual_add_f32 v25, v25, v28
	v_mul_f32_e32 v28, v7, v4
	v_mul_f32_e32 v4, v8, v4
	v_add_f32_e32 v26, v155, v26
	v_fma_f32 v2, v5, v1, -v2
	v_add_f32_e32 v25, v25, v29
	s_wait_loadcnt_dscnt 0x101
	v_mul_f32_e32 v155, v13, v10
	v_mul_f32_e32 v6, v14, v10
	v_add_f32_e32 v26, v26, v27
	v_dual_fmac_f32 v28, v8, v3 :: v_dual_add_f32 v25, v25, v152
	v_fma_f32 v3, v7, v3, -v4
	v_mul_f32_e32 v157, v15, v12
	s_delay_alu instid0(VALU_DEP_4) | instskip(NEXT) | instid1(VALU_DEP_4)
	v_add_f32_e32 v26, v26, v32
	v_dual_mul_f32 v4, v16, v12 :: v_dual_add_f32 v1, v25, v154
	v_fmac_f32_e32 v155, v14, v9
	s_delay_alu instid0(VALU_DEP_4) | instskip(NEXT) | instid1(VALU_DEP_4)
	v_fmac_f32_e32 v157, v16, v11
	v_add_f32_e32 v5, v26, v151
	s_delay_alu instid0(VALU_DEP_4) | instskip(SKIP_1) | instid1(VALU_DEP_3)
	v_fma_f32 v4, v15, v11, -v4
	v_add_f32_e32 v1, v1, v2
	v_add_f32_e32 v2, v5, v156
	v_fma_f32 v5, v13, v9, -v6
	s_delay_alu instid0(VALU_DEP_2) | instskip(NEXT) | instid1(VALU_DEP_1)
	v_dual_add_f32 v1, v1, v3 :: v_dual_add_f32 v2, v2, v28
	v_dual_add_f32 v1, v1, v5 :: v_dual_add_f32 v2, v2, v155
	s_delay_alu instid0(VALU_DEP_1)
	v_dual_add_f32 v1, v1, v4 :: v_dual_add_f32 v2, v2, v157
	s_wait_loadcnt_dscnt 0x0
	v_mul_f32_e32 v27, v21, v18
	v_mul_f32_e32 v3, v22, v18
	;; [unrolled: 1-line block ×4, first 2 shown]
	s_delay_alu instid0(VALU_DEP_4) | instskip(NEXT) | instid1(VALU_DEP_4)
	v_fmac_f32_e32 v27, v22, v17
	v_fma_f32 v3, v21, v17, -v3
	s_delay_alu instid0(VALU_DEP_4) | instskip(NEXT) | instid1(VALU_DEP_4)
	v_fmac_f32_e32 v29, v24, v19
	v_fma_f32 v4, v23, v19, -v5
	s_delay_alu instid0(VALU_DEP_4) | instskip(NEXT) | instid1(VALU_DEP_1)
	v_add_f32_e32 v2, v2, v27
	v_dual_add_f32 v1, v1, v3 :: v_dual_add_f32 v2, v2, v29
	s_delay_alu instid0(VALU_DEP_1) | instskip(NEXT) | instid1(VALU_DEP_1)
	v_dual_add_f32 v1, v1, v4 :: v_dual_sub_f32 v2, v31, v2
	v_sub_f32_e32 v1, v30, v1
	scratch_store_b64 off, v[1:2], off offset:64
	v_cmpx_lt_u32_e32 7, v0
	s_cbranch_execz .LBB122_353
; %bb.352:
	scratch_load_b64 v[1:2], off, off offset:56
	v_mov_b32_e32 v3, 0
	s_delay_alu instid0(VALU_DEP_1)
	v_mov_b32_e32 v4, v3
	scratch_store_b64 off, v[3:4], off offset:56
	s_wait_loadcnt 0x0
	ds_store_b64 v153, v[1:2]
.LBB122_353:
	s_wait_alu 0xfffe
	s_or_b32 exec_lo, exec_lo, s0
	s_wait_storecnt_dscnt 0x0
	s_barrier_signal -1
	s_barrier_wait -1
	global_inv scope:SCOPE_SE
	s_clause 0x4
	scratch_load_b128 v[5:8], off, off offset:64
	scratch_load_b128 v[1:4], off, off offset:80
	;; [unrolled: 1-line block ×5, first 2 shown]
	v_mov_b32_e32 v25, 0
	ds_load_b128 v[21:24], v25 offset:544
	ds_load_b128 v[26:29], v25 offset:560
	;; [unrolled: 1-line block ×3, first 2 shown]
	scratch_load_b64 v[30:31], off, off offset:56
	s_mov_b32 s0, exec_lo
	s_wait_loadcnt_dscnt 0x502
	v_dual_mul_f32 v32, v21, v6 :: v_dual_mul_f32 v151, v23, v8
	v_mul_f32_e32 v6, v22, v6
	v_mul_f32_e32 v8, v24, v8
	s_wait_loadcnt_dscnt 0x300
	v_mul_f32_e32 v158, v156, v12
	v_dual_fmac_f32 v32, v22, v5 :: v_dual_fmac_f32 v151, v24, v7
	v_fma_f32 v21, v21, v5, -v6
	v_fma_f32 v22, v23, v7, -v8
	ds_load_b128 v[5:8], v25 offset:592
	v_dual_mul_f32 v23, v26, v2 :: v_dual_mul_f32 v24, v28, v4
	v_mul_f32_e32 v4, v29, v4
	v_mul_f32_e32 v152, v154, v10
	;; [unrolled: 1-line block ×5, first 2 shown]
	v_dual_fmac_f32 v23, v27, v1 :: v_dual_fmac_f32 v24, v29, v3
	v_fma_f32 v27, v28, v3, -v4
	v_fmac_f32_e32 v152, v155, v9
	v_fma_f32 v28, v154, v9, -v10
	v_fmac_f32_e32 v158, v157, v11
	v_fma_f32 v29, v156, v11, -v12
	ds_load_b128 v[9:12], v25 offset:608
	s_wait_loadcnt_dscnt 0x201
	v_dual_mul_f32 v155, v7, v16 :: v_dual_mul_f32 v154, v5, v14
	v_mul_f32_e32 v14, v6, v14
	v_mul_f32_e32 v16, v8, v16
	s_delay_alu instid0(VALU_DEP_3)
	v_fmac_f32_e32 v155, v8, v15
	v_fma_f32 v26, v26, v1, -v2
	scratch_load_b128 v[1:4], off, off offset:144
	v_fmac_f32_e32 v154, v6, v13
	v_fma_f32 v13, v5, v13, -v14
	v_fma_f32 v14, v7, v15, -v16
	ds_load_b128 v[5:8], v25 offset:624
	s_wait_loadcnt_dscnt 0x201
	v_mul_f32_e32 v15, v9, v18
	v_mul_f32_e32 v16, v10, v18
	;; [unrolled: 1-line block ×3, first 2 shown]
	s_delay_alu instid0(VALU_DEP_3) | instskip(NEXT) | instid1(VALU_DEP_3)
	v_dual_mul_f32 v20, v12, v20 :: v_dual_fmac_f32 v15, v10, v17
	v_fma_f32 v16, v9, v17, -v16
	s_delay_alu instid0(VALU_DEP_3) | instskip(NEXT) | instid1(VALU_DEP_3)
	v_fmac_f32_e32 v18, v12, v19
	v_fma_f32 v17, v11, v19, -v20
	scratch_load_b128 v[9:12], off, off offset:160
	s_wait_loadcnt_dscnt 0x100
	v_mul_f32_e32 v19, v5, v2
	v_mul_f32_e32 v2, v6, v2
	;; [unrolled: 1-line block ×3, first 2 shown]
	s_delay_alu instid0(VALU_DEP_3) | instskip(NEXT) | instid1(VALU_DEP_3)
	v_dual_mul_f32 v4, v8, v4 :: v_dual_fmac_f32 v19, v6, v1
	v_fma_f32 v156, v5, v1, -v2
	s_delay_alu instid0(VALU_DEP_3) | instskip(NEXT) | instid1(VALU_DEP_3)
	v_fmac_f32_e32 v20, v8, v3
	v_fma_f32 v157, v7, v3, -v4
	ds_load_b128 v[1:4], v25 offset:640
	ds_load_b128 v[5:8], v25 offset:656
	s_wait_loadcnt_dscnt 0x1
	v_mul_f32_e32 v159, v1, v10
	v_mul_f32_e32 v10, v2, v10
	s_delay_alu instid0(VALU_DEP_2) | instskip(NEXT) | instid1(VALU_DEP_2)
	v_dual_mul_f32 v160, v3, v12 :: v_dual_fmac_f32 v159, v2, v9
	v_fma_f32 v161, v1, v9, -v10
	v_mul_f32_e32 v1, v4, v12
	s_delay_alu instid0(VALU_DEP_3) | instskip(NEXT) | instid1(VALU_DEP_2)
	v_fmac_f32_e32 v160, v4, v11
	v_fma_f32 v162, v3, v11, -v1
	s_clause 0x1
	scratch_load_b128 v[1:4], off, off offset:176
	scratch_load_b128 v[9:12], off, off offset:192
	s_wait_loadcnt_dscnt 0x100
	v_mul_f32_e32 v163, v5, v2
	v_dual_mul_f32 v2, v6, v2 :: v_dual_mul_f32 v165, v7, v4
	s_delay_alu instid0(VALU_DEP_2) | instskip(NEXT) | instid1(VALU_DEP_2)
	v_fmac_f32_e32 v163, v6, v1
	v_fma_f32 v164, v5, v1, -v2
	v_mul_f32_e32 v1, v8, v4
	s_delay_alu instid0(VALU_DEP_4) | instskip(NEXT) | instid1(VALU_DEP_2)
	v_fmac_f32_e32 v165, v8, v3
	v_fma_f32 v166, v7, v3, -v1
	ds_load_b128 v[1:4], v25 offset:672
	ds_load_b128 v[5:8], v25 offset:688
	s_wait_loadcnt_dscnt 0x1
	v_mul_f32_e32 v167, v1, v10
	v_mul_f32_e32 v169, v3, v12
	s_delay_alu instid0(VALU_DEP_2) | instskip(NEXT) | instid1(VALU_DEP_2)
	v_fmac_f32_e32 v167, v2, v9
	v_dual_mul_f32 v2, v2, v10 :: v_dual_fmac_f32 v169, v4, v11
	s_delay_alu instid0(VALU_DEP_1) | instskip(SKIP_1) | instid1(VALU_DEP_1)
	v_fma_f32 v168, v1, v9, -v2
	v_mul_f32_e32 v1, v4, v12
	v_fma_f32 v170, v3, v11, -v1
	s_clause 0x1
	scratch_load_b128 v[1:4], off, off offset:208
	scratch_load_b128 v[9:12], off, off offset:224
	s_wait_loadcnt_dscnt 0x100
	v_mul_f32_e32 v171, v5, v2
	v_dual_mul_f32 v2, v6, v2 :: v_dual_mul_f32 v173, v7, v4
	s_delay_alu instid0(VALU_DEP_2) | instskip(NEXT) | instid1(VALU_DEP_2)
	v_fmac_f32_e32 v171, v6, v1
	v_fma_f32 v172, v5, v1, -v2
	v_mul_f32_e32 v1, v8, v4
	s_delay_alu instid0(VALU_DEP_4) | instskip(NEXT) | instid1(VALU_DEP_2)
	v_fmac_f32_e32 v173, v8, v3
	v_fma_f32 v174, v7, v3, -v1
	ds_load_b128 v[1:4], v25 offset:704
	ds_load_b128 v[5:8], v25 offset:720
	s_wait_loadcnt_dscnt 0x1
	v_mul_f32_e32 v175, v1, v10
	v_mul_f32_e32 v177, v3, v12
	s_delay_alu instid0(VALU_DEP_2) | instskip(NEXT) | instid1(VALU_DEP_2)
	v_fmac_f32_e32 v175, v2, v9
	v_dual_mul_f32 v2, v2, v10 :: v_dual_fmac_f32 v177, v4, v11
	s_delay_alu instid0(VALU_DEP_1) | instskip(SKIP_1) | instid1(VALU_DEP_1)
	v_fma_f32 v176, v1, v9, -v2
	v_mul_f32_e32 v1, v4, v12
	v_fma_f32 v178, v3, v11, -v1
	s_clause 0x1
	scratch_load_b128 v[1:4], off, off offset:240
	scratch_load_b128 v[9:12], off, off offset:256
	s_wait_loadcnt_dscnt 0x100
	v_mul_f32_e32 v179, v5, v2
	v_dual_mul_f32 v2, v6, v2 :: v_dual_mul_f32 v181, v7, v4
	s_delay_alu instid0(VALU_DEP_2) | instskip(NEXT) | instid1(VALU_DEP_2)
	v_fmac_f32_e32 v179, v6, v1
	v_fma_f32 v180, v5, v1, -v2
	v_mul_f32_e32 v1, v8, v4
	s_delay_alu instid0(VALU_DEP_4) | instskip(NEXT) | instid1(VALU_DEP_2)
	v_fmac_f32_e32 v181, v8, v3
	v_fma_f32 v182, v7, v3, -v1
	ds_load_b128 v[1:4], v25 offset:736
	ds_load_b128 v[5:8], v25 offset:752
	s_wait_loadcnt_dscnt 0x1
	v_mul_f32_e32 v183, v1, v10
	v_mul_f32_e32 v185, v3, v12
	s_delay_alu instid0(VALU_DEP_2) | instskip(NEXT) | instid1(VALU_DEP_2)
	v_fmac_f32_e32 v183, v2, v9
	v_dual_mul_f32 v2, v2, v10 :: v_dual_fmac_f32 v185, v4, v11
	s_delay_alu instid0(VALU_DEP_1) | instskip(SKIP_1) | instid1(VALU_DEP_1)
	v_fma_f32 v184, v1, v9, -v2
	v_mul_f32_e32 v1, v4, v12
	v_fma_f32 v186, v3, v11, -v1
	s_clause 0x1
	scratch_load_b128 v[1:4], off, off offset:272
	scratch_load_b128 v[9:12], off, off offset:288
	s_wait_loadcnt_dscnt 0x100
	v_mul_f32_e32 v187, v5, v2
	v_dual_mul_f32 v2, v6, v2 :: v_dual_mul_f32 v189, v7, v4
	s_delay_alu instid0(VALU_DEP_2) | instskip(NEXT) | instid1(VALU_DEP_2)
	v_fmac_f32_e32 v187, v6, v1
	v_fma_f32 v188, v5, v1, -v2
	v_mul_f32_e32 v1, v8, v4
	s_delay_alu instid0(VALU_DEP_4) | instskip(NEXT) | instid1(VALU_DEP_2)
	v_fmac_f32_e32 v189, v8, v3
	v_fma_f32 v190, v7, v3, -v1
	ds_load_b128 v[1:4], v25 offset:768
	ds_load_b128 v[5:8], v25 offset:784
	s_wait_loadcnt_dscnt 0x1
	v_mul_f32_e32 v191, v1, v10
	v_mul_f32_e32 v193, v3, v12
	s_delay_alu instid0(VALU_DEP_2) | instskip(NEXT) | instid1(VALU_DEP_2)
	v_fmac_f32_e32 v191, v2, v9
	v_dual_mul_f32 v2, v2, v10 :: v_dual_fmac_f32 v193, v4, v11
	s_delay_alu instid0(VALU_DEP_1) | instskip(SKIP_1) | instid1(VALU_DEP_1)
	v_fma_f32 v192, v1, v9, -v2
	v_mul_f32_e32 v1, v4, v12
	v_fma_f32 v194, v3, v11, -v1
	s_clause 0x1
	scratch_load_b128 v[1:4], off, off offset:304
	scratch_load_b128 v[9:12], off, off offset:320
	s_wait_loadcnt_dscnt 0x100
	v_mul_f32_e32 v195, v5, v2
	v_dual_mul_f32 v2, v6, v2 :: v_dual_mul_f32 v197, v7, v4
	s_delay_alu instid0(VALU_DEP_2) | instskip(NEXT) | instid1(VALU_DEP_2)
	v_fmac_f32_e32 v195, v6, v1
	v_fma_f32 v196, v5, v1, -v2
	v_mul_f32_e32 v1, v8, v4
	s_delay_alu instid0(VALU_DEP_4) | instskip(NEXT) | instid1(VALU_DEP_2)
	v_fmac_f32_e32 v197, v8, v3
	v_fma_f32 v198, v7, v3, -v1
	ds_load_b128 v[1:4], v25 offset:800
	ds_load_b128 v[5:8], v25 offset:816
	s_wait_loadcnt_dscnt 0x1
	v_mul_f32_e32 v199, v1, v10
	v_mul_f32_e32 v201, v3, v12
	s_delay_alu instid0(VALU_DEP_2) | instskip(NEXT) | instid1(VALU_DEP_2)
	v_fmac_f32_e32 v199, v2, v9
	v_dual_mul_f32 v2, v2, v10 :: v_dual_fmac_f32 v201, v4, v11
	s_delay_alu instid0(VALU_DEP_1) | instskip(SKIP_1) | instid1(VALU_DEP_1)
	v_fma_f32 v200, v1, v9, -v2
	v_mul_f32_e32 v1, v4, v12
	v_fma_f32 v202, v3, v11, -v1
	s_clause 0x1
	scratch_load_b128 v[1:4], off, off offset:336
	scratch_load_b128 v[9:12], off, off offset:352
	s_wait_loadcnt_dscnt 0x100
	v_mul_f32_e32 v203, v5, v2
	v_dual_mul_f32 v2, v6, v2 :: v_dual_mul_f32 v205, v7, v4
	s_delay_alu instid0(VALU_DEP_2) | instskip(NEXT) | instid1(VALU_DEP_2)
	v_fmac_f32_e32 v203, v6, v1
	v_fma_f32 v204, v5, v1, -v2
	v_mul_f32_e32 v1, v8, v4
	s_delay_alu instid0(VALU_DEP_4) | instskip(NEXT) | instid1(VALU_DEP_2)
	v_fmac_f32_e32 v205, v8, v3
	v_fma_f32 v206, v7, v3, -v1
	ds_load_b128 v[1:4], v25 offset:832
	ds_load_b128 v[5:8], v25 offset:848
	s_wait_loadcnt_dscnt 0x1
	v_mul_f32_e32 v207, v1, v10
	v_mul_f32_e32 v209, v3, v12
	s_delay_alu instid0(VALU_DEP_2) | instskip(NEXT) | instid1(VALU_DEP_2)
	v_fmac_f32_e32 v207, v2, v9
	v_dual_mul_f32 v2, v2, v10 :: v_dual_fmac_f32 v209, v4, v11
	s_delay_alu instid0(VALU_DEP_1) | instskip(SKIP_1) | instid1(VALU_DEP_1)
	v_fma_f32 v208, v1, v9, -v2
	v_mul_f32_e32 v1, v4, v12
	v_fma_f32 v210, v3, v11, -v1
	s_clause 0x1
	scratch_load_b128 v[1:4], off, off offset:368
	scratch_load_b128 v[9:12], off, off offset:384
	s_wait_loadcnt_dscnt 0x100
	v_mul_f32_e32 v211, v5, v2
	v_mul_f32_e32 v2, v6, v2
	s_delay_alu instid0(VALU_DEP_2) | instskip(NEXT) | instid1(VALU_DEP_2)
	v_fmac_f32_e32 v211, v6, v1
	v_fma_f32 v212, v5, v1, -v2
	v_add_f32_e32 v2, 0, v32
	s_delay_alu instid0(VALU_DEP_1) | instskip(NEXT) | instid1(VALU_DEP_1)
	v_add_f32_e32 v2, v2, v151
	v_add_f32_e32 v2, v2, v23
	s_delay_alu instid0(VALU_DEP_1) | instskip(NEXT) | instid1(VALU_DEP_1)
	v_add_f32_e32 v2, v2, v24
	;; [unrolled: 3-line block ×3, first 2 shown]
	v_dual_add_f32 v2, v2, v154 :: v_dual_mul_f32 v1, v8, v4
	s_delay_alu instid0(VALU_DEP_1) | instskip(NEXT) | instid1(VALU_DEP_2)
	v_add_f32_e32 v2, v2, v155
	v_fma_f32 v214, v7, v3, -v1
	s_delay_alu instid0(VALU_DEP_2) | instskip(NEXT) | instid1(VALU_DEP_1)
	v_dual_add_f32 v1, 0, v21 :: v_dual_add_f32 v2, v2, v15
	v_add_f32_e32 v1, v1, v22
	s_delay_alu instid0(VALU_DEP_2) | instskip(NEXT) | instid1(VALU_DEP_1)
	v_add_f32_e32 v2, v2, v18
	v_dual_add_f32 v1, v1, v26 :: v_dual_add_f32 v2, v2, v19
	s_delay_alu instid0(VALU_DEP_1) | instskip(SKIP_2) | instid1(VALU_DEP_1)
	v_dual_add_f32 v2, v2, v20 :: v_dual_add_f32 v1, v1, v27
	scratch_load_b64 v[26:27], off, off offset:464
	v_dual_add_f32 v2, v2, v159 :: v_dual_add_f32 v1, v1, v28
	v_dual_add_f32 v2, v2, v160 :: v_dual_add_f32 v1, v1, v29
	s_delay_alu instid0(VALU_DEP_1) | instskip(NEXT) | instid1(VALU_DEP_1)
	v_dual_add_f32 v2, v2, v163 :: v_dual_add_f32 v1, v1, v13
	v_dual_add_f32 v2, v2, v165 :: v_dual_add_f32 v1, v1, v14
	s_delay_alu instid0(VALU_DEP_1) | instskip(NEXT) | instid1(VALU_DEP_1)
	v_dual_add_f32 v2, v2, v167 :: v_dual_add_f32 v1, v1, v16
	v_add_f32_e32 v2, v2, v169
	s_delay_alu instid0(VALU_DEP_1) | instskip(NEXT) | instid1(VALU_DEP_1)
	v_dual_add_f32 v1, v1, v17 :: v_dual_add_f32 v2, v2, v171
	v_dual_add_f32 v1, v1, v156 :: v_dual_add_f32 v2, v2, v173
	s_delay_alu instid0(VALU_DEP_1) | instskip(NEXT) | instid1(VALU_DEP_1)
	v_dual_add_f32 v1, v1, v157 :: v_dual_add_f32 v2, v2, v175
	v_add_f32_e32 v1, v1, v161
	s_delay_alu instid0(VALU_DEP_1) | instskip(NEXT) | instid1(VALU_DEP_1)
	v_dual_add_f32 v2, v2, v177 :: v_dual_add_f32 v1, v1, v162
	v_add_f32_e32 v1, v1, v164
	s_delay_alu instid0(VALU_DEP_1) | instskip(NEXT) | instid1(VALU_DEP_1)
	v_add_f32_e32 v1, v1, v166
	v_add_f32_e32 v1, v1, v168
	s_delay_alu instid0(VALU_DEP_1) | instskip(NEXT) | instid1(VALU_DEP_1)
	v_add_f32_e32 v1, v1, v170
	;; [unrolled: 3-line block ×6, first 2 shown]
	v_add_f32_e32 v6, v1, v188
	v_dual_add_f32 v2, v2, v179 :: v_dual_mul_f32 v213, v7, v4
	s_delay_alu instid0(VALU_DEP_2) | instskip(NEXT) | instid1(VALU_DEP_2)
	v_add_f32_e32 v14, v6, v190
	v_dual_add_f32 v2, v2, v181 :: v_dual_fmac_f32 v213, v8, v3
	s_delay_alu instid0(VALU_DEP_2) | instskip(NEXT) | instid1(VALU_DEP_2)
	v_add_f32_e32 v14, v14, v192
	v_add_f32_e32 v2, v2, v183
	s_delay_alu instid0(VALU_DEP_2) | instskip(NEXT) | instid1(VALU_DEP_2)
	v_add_f32_e32 v17, v14, v194
	v_add_f32_e32 v5, v2, v185
	scratch_load_b128 v[1:4], off, off offset:400
	v_add_f32_e32 v17, v17, v196
	v_add_f32_e32 v13, v5, v187
	ds_load_b128 v[5:8], v25 offset:864
	v_add_f32_e32 v17, v17, v198
	v_add_f32_e32 v13, v13, v189
	s_delay_alu instid0(VALU_DEP_2) | instskip(NEXT) | instid1(VALU_DEP_1)
	v_add_f32_e32 v17, v17, v200
	v_add_f32_e32 v22, v17, v202
	s_delay_alu instid0(VALU_DEP_1) | instskip(NEXT) | instid1(VALU_DEP_1)
	v_dual_add_f32 v13, v13, v191 :: v_dual_add_f32 v22, v22, v204
	v_add_f32_e32 v18, v13, v193
	ds_load_b128 v[13:16], v25 offset:880
	s_wait_loadcnt_dscnt 0x201
	v_mul_f32_e32 v32, v5, v10
	v_dual_mul_f32 v10, v6, v10 :: v_dual_mul_f32 v151, v7, v12
	v_mul_f32_e32 v12, v8, v12
	v_add_f32_e32 v22, v22, v206
	s_delay_alu instid0(VALU_DEP_4) | instskip(NEXT) | instid1(VALU_DEP_4)
	v_fmac_f32_e32 v32, v6, v9
	v_fma_f32 v152, v5, v9, -v10
	v_fmac_f32_e32 v151, v8, v11
	v_fma_f32 v154, v7, v11, -v12
	s_clause 0x1
	scratch_load_b128 v[5:8], off, off offset:416
	scratch_load_b128 v[9:12], off, off offset:432
	v_add_f32_e32 v22, v22, v208
	s_wait_loadcnt_dscnt 0x200
	v_mul_f32_e32 v156, v15, v4
	v_add_f32_e32 v18, v18, v195
	v_dual_mul_f32 v4, v16, v4 :: v_dual_mul_f32 v155, v13, v2
	v_mul_f32_e32 v2, v14, v2
	s_delay_alu instid0(VALU_DEP_4) | instskip(NEXT) | instid1(VALU_DEP_4)
	v_fmac_f32_e32 v156, v16, v3
	v_add_f32_e32 v18, v18, v197
	s_delay_alu instid0(VALU_DEP_4)
	v_fma_f32 v158, v15, v3, -v4
	v_fmac_f32_e32 v155, v14, v1
	v_add_f32_e32 v14, v22, v210
	v_fma_f32 v157, v13, v1, -v2
	v_add_f32_e32 v21, v18, v199
	scratch_load_b128 v[17:20], off, off offset:448
	ds_load_b128 v[1:4], v25 offset:896
	v_dual_add_f32 v28, v14, v212 :: v_dual_add_f32 v21, v21, v201
	s_delay_alu instid0(VALU_DEP_1) | instskip(NEXT) | instid1(VALU_DEP_1)
	v_add_f32_e32 v159, v28, v214
	v_dual_add_f32 v21, v21, v203 :: v_dual_add_f32 v152, v159, v152
	s_delay_alu instid0(VALU_DEP_1) | instskip(NEXT) | instid1(VALU_DEP_1)
	v_dual_add_f32 v21, v21, v205 :: v_dual_add_f32 v152, v152, v154
	v_dual_add_f32 v13, v21, v207 :: v_dual_add_f32 v152, v152, v157
	s_delay_alu instid0(VALU_DEP_1)
	v_add_f32_e32 v21, v13, v209
	ds_load_b128 v[13:16], v25 offset:912
	s_wait_loadcnt_dscnt 0x201
	v_mul_f32_e32 v159, v1, v6
	v_mul_f32_e32 v6, v2, v6
	v_dual_add_f32 v152, v152, v158 :: v_dual_add_f32 v29, v21, v211
	ds_load_b128 v[21:24], v25 offset:928
	v_fmac_f32_e32 v159, v2, v5
	v_fma_f32 v1, v1, v5, -v6
	v_add_f32_e32 v160, v29, v213
	ds_load_b64 v[28:29], v25 offset:944
	v_add_f32_e32 v1, v152, v1
	v_add_f32_e32 v32, v160, v32
	s_delay_alu instid0(VALU_DEP_1) | instskip(SKIP_3) | instid1(VALU_DEP_3)
	v_dual_add_f32 v32, v32, v151 :: v_dual_mul_f32 v151, v3, v8
	v_mul_f32_e32 v8, v4, v8
	s_wait_loadcnt_dscnt 0x102
	v_dual_mul_f32 v154, v13, v10 :: v_dual_mul_f32 v5, v16, v12
	v_add_f32_e32 v32, v32, v155
	v_fmac_f32_e32 v151, v4, v7
	v_fma_f32 v2, v3, v7, -v8
	v_mul_f32_e32 v3, v14, v10
	v_mul_f32_e32 v155, v15, v12
	v_add_f32_e32 v32, v32, v156
	s_delay_alu instid0(VALU_DEP_4) | instskip(NEXT) | instid1(VALU_DEP_4)
	v_dual_fmac_f32 v154, v14, v9 :: v_dual_add_f32 v1, v1, v2
	v_fma_f32 v3, v13, v9, -v3
	s_delay_alu instid0(VALU_DEP_4) | instskip(NEXT) | instid1(VALU_DEP_4)
	v_fmac_f32_e32 v155, v16, v11
	v_add_f32_e32 v4, v32, v159
	v_fma_f32 v5, v15, v11, -v5
	s_wait_dscnt 0x0
	v_mul_f32_e32 v156, v28, v27
	v_add_f32_e32 v1, v1, v3
	v_add_f32_e32 v2, v4, v151
	s_delay_alu instid0(VALU_DEP_3) | instskip(NEXT) | instid1(VALU_DEP_3)
	v_fmac_f32_e32 v156, v29, v26
	v_add_f32_e32 v1, v1, v5
	s_delay_alu instid0(VALU_DEP_3) | instskip(SKIP_1) | instid1(VALU_DEP_1)
	v_dual_mul_f32 v5, v29, v27 :: v_dual_add_f32 v2, v2, v154
	s_wait_loadcnt 0x0
	v_dual_add_f32 v2, v2, v155 :: v_dual_mul_f32 v157, v21, v18
	v_mul_f32_e32 v4, v22, v18
	v_mul_f32_e32 v158, v23, v20
	;; [unrolled: 1-line block ×3, first 2 shown]
	s_delay_alu instid0(VALU_DEP_4) | instskip(NEXT) | instid1(VALU_DEP_4)
	v_fmac_f32_e32 v157, v22, v17
	v_fma_f32 v4, v21, v17, -v4
	s_delay_alu instid0(VALU_DEP_4) | instskip(NEXT) | instid1(VALU_DEP_4)
	v_fmac_f32_e32 v158, v24, v19
	v_fma_f32 v3, v23, v19, -v3
	s_delay_alu instid0(VALU_DEP_3) | instskip(SKIP_1) | instid1(VALU_DEP_2)
	v_dual_add_f32 v2, v2, v157 :: v_dual_add_f32 v1, v1, v4
	v_fma_f32 v4, v28, v26, -v5
	v_dual_add_f32 v2, v2, v158 :: v_dual_add_f32 v1, v1, v3
	s_delay_alu instid0(VALU_DEP_1) | instskip(NEXT) | instid1(VALU_DEP_1)
	v_add_f32_e32 v2, v2, v156
	v_dual_add_f32 v1, v1, v4 :: v_dual_sub_f32 v2, v31, v2
	s_delay_alu instid0(VALU_DEP_1)
	v_sub_f32_e32 v1, v30, v1
	scratch_store_b64 off, v[1:2], off offset:56
	v_cmpx_lt_u32_e32 6, v0
	s_cbranch_execz .LBB122_355
; %bb.354:
	scratch_load_b64 v[1:2], off, off offset:48
	v_mov_b32_e32 v26, v25
	scratch_store_b64 off, v[25:26], off offset:48
	s_wait_loadcnt 0x0
	ds_store_b64 v153, v[1:2]
.LBB122_355:
	s_wait_alu 0xfffe
	s_or_b32 exec_lo, exec_lo, s0
	s_wait_storecnt_dscnt 0x0
	s_barrier_signal -1
	s_barrier_wait -1
	global_inv scope:SCOPE_SE
	s_clause 0x4
	scratch_load_b128 v[5:8], off, off offset:56
	scratch_load_b128 v[1:4], off, off offset:72
	;; [unrolled: 1-line block ×5, first 2 shown]
	ds_load_2addr_b64 v[21:24], v25 offset0:67 offset1:68
	ds_load_2addr_b64 v[26:29], v25 offset0:69 offset1:70
	;; [unrolled: 1-line block ×3, first 2 shown]
	scratch_load_b64 v[30:31], off, off offset:48
	s_mov_b32 s0, exec_lo
	s_wait_loadcnt_dscnt 0x502
	v_dual_mul_f32 v32, v21, v6 :: v_dual_mul_f32 v151, v23, v8
	v_mul_f32_e32 v6, v22, v6
	v_mul_f32_e32 v8, v24, v8
	s_wait_loadcnt_dscnt 0x300
	v_mul_f32_e32 v152, v154, v10
	v_dual_fmac_f32 v32, v22, v5 :: v_dual_fmac_f32 v151, v24, v7
	v_fma_f32 v21, v21, v5, -v6
	v_fma_f32 v22, v23, v7, -v8
	ds_load_2addr_b64 v[5:8], v25 offset0:73 offset1:74
	v_dual_mul_f32 v23, v26, v2 :: v_dual_mul_f32 v24, v28, v4
	v_mul_f32_e32 v4, v29, v4
	v_mul_f32_e32 v10, v155, v10
	;; [unrolled: 1-line block ×5, first 2 shown]
	v_dual_fmac_f32 v23, v27, v1 :: v_dual_fmac_f32 v24, v29, v3
	v_fma_f32 v27, v28, v3, -v4
	v_fmac_f32_e32 v152, v155, v9
	v_fma_f32 v28, v154, v9, -v10
	v_fmac_f32_e32 v158, v157, v11
	v_fma_f32 v29, v156, v11, -v12
	ds_load_2addr_b64 v[9:12], v25 offset0:75 offset1:76
	s_wait_loadcnt_dscnt 0x201
	v_dual_mul_f32 v155, v7, v16 :: v_dual_mul_f32 v154, v5, v14
	v_mul_f32_e32 v14, v6, v14
	v_mul_f32_e32 v16, v8, v16
	s_delay_alu instid0(VALU_DEP_3)
	v_fmac_f32_e32 v155, v8, v15
	v_fma_f32 v26, v26, v1, -v2
	scratch_load_b128 v[1:4], off, off offset:136
	v_fmac_f32_e32 v154, v6, v13
	v_fma_f32 v13, v5, v13, -v14
	v_fma_f32 v14, v7, v15, -v16
	ds_load_2addr_b64 v[5:8], v25 offset0:77 offset1:78
	s_wait_loadcnt_dscnt 0x201
	v_mul_f32_e32 v15, v9, v18
	v_mul_f32_e32 v16, v10, v18
	;; [unrolled: 1-line block ×3, first 2 shown]
	s_delay_alu instid0(VALU_DEP_3) | instskip(NEXT) | instid1(VALU_DEP_3)
	v_dual_mul_f32 v20, v12, v20 :: v_dual_fmac_f32 v15, v10, v17
	v_fma_f32 v16, v9, v17, -v16
	s_delay_alu instid0(VALU_DEP_3) | instskip(NEXT) | instid1(VALU_DEP_3)
	v_fmac_f32_e32 v18, v12, v19
	v_fma_f32 v17, v11, v19, -v20
	scratch_load_b128 v[9:12], off, off offset:152
	s_wait_loadcnt_dscnt 0x100
	v_mul_f32_e32 v19, v5, v2
	v_mul_f32_e32 v2, v6, v2
	;; [unrolled: 1-line block ×3, first 2 shown]
	s_delay_alu instid0(VALU_DEP_3) | instskip(NEXT) | instid1(VALU_DEP_3)
	v_dual_mul_f32 v4, v8, v4 :: v_dual_fmac_f32 v19, v6, v1
	v_fma_f32 v156, v5, v1, -v2
	s_delay_alu instid0(VALU_DEP_3) | instskip(NEXT) | instid1(VALU_DEP_3)
	v_fmac_f32_e32 v20, v8, v3
	v_fma_f32 v157, v7, v3, -v4
	ds_load_2addr_b64 v[1:4], v25 offset0:79 offset1:80
	ds_load_2addr_b64 v[5:8], v25 offset0:81 offset1:82
	s_wait_loadcnt_dscnt 0x1
	v_mul_f32_e32 v159, v1, v10
	v_mul_f32_e32 v10, v2, v10
	s_delay_alu instid0(VALU_DEP_2) | instskip(NEXT) | instid1(VALU_DEP_2)
	v_dual_mul_f32 v160, v3, v12 :: v_dual_fmac_f32 v159, v2, v9
	v_fma_f32 v161, v1, v9, -v10
	v_mul_f32_e32 v1, v4, v12
	s_delay_alu instid0(VALU_DEP_3) | instskip(NEXT) | instid1(VALU_DEP_2)
	v_fmac_f32_e32 v160, v4, v11
	v_fma_f32 v162, v3, v11, -v1
	s_clause 0x1
	scratch_load_b128 v[1:4], off, off offset:168
	scratch_load_b128 v[9:12], off, off offset:184
	s_wait_loadcnt_dscnt 0x100
	v_mul_f32_e32 v163, v5, v2
	v_dual_mul_f32 v2, v6, v2 :: v_dual_mul_f32 v165, v7, v4
	s_delay_alu instid0(VALU_DEP_2) | instskip(NEXT) | instid1(VALU_DEP_2)
	v_fmac_f32_e32 v163, v6, v1
	v_fma_f32 v164, v5, v1, -v2
	v_mul_f32_e32 v1, v8, v4
	s_delay_alu instid0(VALU_DEP_4) | instskip(NEXT) | instid1(VALU_DEP_2)
	v_fmac_f32_e32 v165, v8, v3
	v_fma_f32 v166, v7, v3, -v1
	ds_load_2addr_b64 v[1:4], v25 offset0:83 offset1:84
	ds_load_2addr_b64 v[5:8], v25 offset0:85 offset1:86
	s_wait_loadcnt_dscnt 0x1
	v_mul_f32_e32 v167, v1, v10
	v_mul_f32_e32 v169, v3, v12
	s_delay_alu instid0(VALU_DEP_2) | instskip(NEXT) | instid1(VALU_DEP_2)
	v_fmac_f32_e32 v167, v2, v9
	v_dual_mul_f32 v2, v2, v10 :: v_dual_fmac_f32 v169, v4, v11
	s_delay_alu instid0(VALU_DEP_1) | instskip(SKIP_1) | instid1(VALU_DEP_1)
	v_fma_f32 v168, v1, v9, -v2
	v_mul_f32_e32 v1, v4, v12
	v_fma_f32 v170, v3, v11, -v1
	s_clause 0x1
	scratch_load_b128 v[1:4], off, off offset:200
	scratch_load_b128 v[9:12], off, off offset:216
	s_wait_loadcnt_dscnt 0x100
	v_mul_f32_e32 v171, v5, v2
	v_dual_mul_f32 v2, v6, v2 :: v_dual_mul_f32 v173, v7, v4
	s_delay_alu instid0(VALU_DEP_2) | instskip(NEXT) | instid1(VALU_DEP_2)
	v_fmac_f32_e32 v171, v6, v1
	v_fma_f32 v172, v5, v1, -v2
	v_mul_f32_e32 v1, v8, v4
	s_delay_alu instid0(VALU_DEP_4) | instskip(NEXT) | instid1(VALU_DEP_2)
	v_fmac_f32_e32 v173, v8, v3
	v_fma_f32 v174, v7, v3, -v1
	ds_load_2addr_b64 v[1:4], v25 offset0:87 offset1:88
	ds_load_2addr_b64 v[5:8], v25 offset0:89 offset1:90
	s_wait_loadcnt_dscnt 0x1
	v_mul_f32_e32 v175, v1, v10
	v_mul_f32_e32 v177, v3, v12
	s_delay_alu instid0(VALU_DEP_2) | instskip(NEXT) | instid1(VALU_DEP_2)
	v_fmac_f32_e32 v175, v2, v9
	v_dual_mul_f32 v2, v2, v10 :: v_dual_fmac_f32 v177, v4, v11
	s_delay_alu instid0(VALU_DEP_1) | instskip(SKIP_1) | instid1(VALU_DEP_1)
	v_fma_f32 v176, v1, v9, -v2
	v_mul_f32_e32 v1, v4, v12
	;; [unrolled: 25-line block ×7, first 2 shown]
	v_fma_f32 v218, v3, v11, -v1
	s_clause 0x1
	scratch_load_b128 v[1:4], off, off offset:392
	scratch_load_b128 v[9:12], off, off offset:408
	s_wait_loadcnt_dscnt 0x100
	v_mul_f32_e32 v219, v5, v2
	v_mul_f32_e32 v2, v6, v2
	s_delay_alu instid0(VALU_DEP_2) | instskip(NEXT) | instid1(VALU_DEP_2)
	v_fmac_f32_e32 v219, v6, v1
	v_fma_f32 v220, v5, v1, -v2
	v_add_f32_e32 v2, 0, v32
	s_delay_alu instid0(VALU_DEP_1) | instskip(NEXT) | instid1(VALU_DEP_1)
	v_dual_mul_f32 v1, v8, v4 :: v_dual_add_f32 v2, v2, v151
	v_fma_f32 v222, v7, v3, -v1
	s_delay_alu instid0(VALU_DEP_2) | instskip(NEXT) | instid1(VALU_DEP_1)
	v_dual_add_f32 v1, 0, v21 :: v_dual_add_f32 v2, v2, v23
	v_add_f32_e32 v2, v2, v24
	s_delay_alu instid0(VALU_DEP_1) | instskip(NEXT) | instid1(VALU_DEP_1)
	v_add_f32_e32 v2, v2, v152
	v_add_f32_e32 v2, v2, v158
	s_delay_alu instid0(VALU_DEP_1) | instskip(NEXT) | instid1(VALU_DEP_1)
	v_add_f32_e32 v2, v2, v154
	;; [unrolled: 3-line block ×4, first 2 shown]
	v_dual_add_f32 v2, v2, v20 :: v_dual_add_f32 v1, v1, v22
	s_delay_alu instid0(VALU_DEP_1) | instskip(NEXT) | instid1(VALU_DEP_1)
	v_dual_add_f32 v2, v2, v159 :: v_dual_add_f32 v1, v1, v26
	v_dual_add_f32 v2, v2, v160 :: v_dual_add_f32 v1, v1, v27
	s_delay_alu instid0(VALU_DEP_1) | instskip(NEXT) | instid1(VALU_DEP_1)
	v_dual_add_f32 v2, v2, v163 :: v_dual_add_f32 v1, v1, v28
	v_add_f32_e32 v2, v2, v165
	s_delay_alu instid0(VALU_DEP_1) | instskip(NEXT) | instid1(VALU_DEP_1)
	v_dual_add_f32 v1, v1, v29 :: v_dual_add_f32 v2, v2, v167
	v_add_f32_e32 v1, v1, v13
	s_delay_alu instid0(VALU_DEP_1) | instskip(NEXT) | instid1(VALU_DEP_1)
	v_dual_add_f32 v2, v2, v169 :: v_dual_add_f32 v1, v1, v14
	v_dual_add_f32 v2, v2, v171 :: v_dual_add_f32 v1, v1, v16
	s_delay_alu instid0(VALU_DEP_1) | instskip(NEXT) | instid1(VALU_DEP_1)
	v_add_f32_e32 v2, v2, v173
	v_dual_add_f32 v1, v1, v17 :: v_dual_add_f32 v2, v2, v175
	s_delay_alu instid0(VALU_DEP_1) | instskip(NEXT) | instid1(VALU_DEP_1)
	v_dual_add_f32 v1, v1, v156 :: v_dual_add_f32 v2, v2, v177
	v_add_f32_e32 v1, v1, v157
	s_delay_alu instid0(VALU_DEP_1) | instskip(NEXT) | instid1(VALU_DEP_1)
	v_add_f32_e32 v1, v1, v161
	v_add_f32_e32 v1, v1, v162
	s_delay_alu instid0(VALU_DEP_1) | instskip(NEXT) | instid1(VALU_DEP_1)
	v_add_f32_e32 v1, v1, v164
	;; [unrolled: 3-line block ×9, first 2 shown]
	v_add_f32_e32 v6, v1, v194
	v_add_f32_e32 v2, v2, v179
	s_delay_alu instid0(VALU_DEP_2) | instskip(NEXT) | instid1(VALU_DEP_2)
	v_add_f32_e32 v6, v6, v196
	v_add_f32_e32 v2, v2, v181
	s_delay_alu instid0(VALU_DEP_2) | instskip(NEXT) | instid1(VALU_DEP_1)
	v_add_f32_e32 v13, v6, v198
	v_dual_add_f32 v2, v2, v183 :: v_dual_add_f32 v13, v13, v200
	s_delay_alu instid0(VALU_DEP_1) | instskip(NEXT) | instid1(VALU_DEP_1)
	v_dual_add_f32 v2, v2, v185 :: v_dual_add_f32 v13, v13, v202
	v_dual_add_f32 v2, v2, v187 :: v_dual_add_f32 v13, v13, v204
	s_delay_alu instid0(VALU_DEP_1) | instskip(NEXT) | instid1(VALU_DEP_1)
	v_add_f32_e32 v2, v2, v189
	v_dual_add_f32 v18, v13, v206 :: v_dual_add_f32 v5, v2, v191
	s_delay_alu instid0(VALU_DEP_1) | instskip(NEXT) | instid1(VALU_DEP_1)
	v_dual_add_f32 v18, v18, v208 :: v_dual_add_f32 v5, v5, v193
	v_dual_add_f32 v18, v18, v210 :: v_dual_add_f32 v5, v5, v195
	s_delay_alu instid0(VALU_DEP_1) | instskip(NEXT) | instid1(VALU_DEP_1)
	v_dual_add_f32 v21, v18, v212 :: v_dual_add_f32 v14, v5, v197
	v_dual_add_f32 v32, v21, v214 :: v_dual_mul_f32 v221, v7, v4
	s_delay_alu instid0(VALU_DEP_2) | instskip(NEXT) | instid1(VALU_DEP_2)
	v_add_f32_e32 v14, v14, v199
	v_fmac_f32_e32 v221, v8, v3
	ds_load_2addr_b64 v[1:4], v25 offset0:111 offset1:112
	ds_load_2addr_b64 v[5:8], v25 offset0:113 offset1:114
	v_add_f32_e32 v14, v14, v201
	s_delay_alu instid0(VALU_DEP_1) | instskip(SKIP_2) | instid1(VALU_DEP_1)
	v_add_f32_e32 v17, v14, v203
	scratch_load_b128 v[13:16], off, off offset:456
	v_add_f32_e32 v17, v17, v205
	v_add_f32_e32 v17, v17, v207
	s_wait_loadcnt_dscnt 0x101
	v_dual_mul_f32 v26, v1, v10 :: v_dual_mul_f32 v27, v3, v12
	v_mul_f32_e32 v10, v2, v10
	s_delay_alu instid0(VALU_DEP_3) | instskip(NEXT) | instid1(VALU_DEP_3)
	v_dual_mul_f32 v12, v4, v12 :: v_dual_add_f32 v17, v17, v209
	v_dual_fmac_f32 v26, v2, v9 :: v_dual_fmac_f32 v27, v4, v11
	s_delay_alu instid0(VALU_DEP_3) | instskip(NEXT) | instid1(VALU_DEP_3)
	v_fma_f32 v28, v1, v9, -v10
	v_fma_f32 v29, v3, v11, -v12
	s_clause 0x1
	scratch_load_b128 v[1:4], off, off offset:424
	scratch_load_b128 v[9:12], off, off offset:440
	s_wait_loadcnt_dscnt 0x100
	v_mul_f32_e32 v152, v7, v4
	v_add_f32_e32 v22, v17, v211
	ds_load_2addr_b64 v[17:20], v25 offset0:115 offset1:116
	v_mul_f32_e32 v4, v8, v4
	v_dual_fmac_f32 v152, v8, v3 :: v_dual_add_f32 v151, v22, v213
	ds_load_2addr_b64 v[21:24], v25 offset0:117 offset1:118
	v_add_f32_e32 v25, v32, v216
	v_fma_f32 v3, v7, v3, -v4
	s_delay_alu instid0(VALU_DEP_2) | instskip(NEXT) | instid1(VALU_DEP_1)
	v_add_f32_e32 v25, v25, v218
	v_add_f32_e32 v25, v25, v220
	s_wait_loadcnt_dscnt 0x1
	v_mul_f32_e32 v154, v17, v10
	s_delay_alu instid0(VALU_DEP_2)
	v_dual_add_f32 v32, v151, v215 :: v_dual_add_f32 v25, v25, v222
	v_mul_f32_e32 v151, v5, v2
	v_mul_f32_e32 v2, v6, v2
	s_wait_dscnt 0x0
	v_mul_f32_e32 v156, v21, v14
	v_dual_add_f32 v32, v32, v217 :: v_dual_add_f32 v25, v25, v28
	v_fmac_f32_e32 v151, v6, v1
	v_fma_f32 v2, v5, v1, -v2
	v_mul_f32_e32 v6, v18, v10
	s_delay_alu instid0(VALU_DEP_4) | instskip(SKIP_3) | instid1(VALU_DEP_4)
	v_dual_add_f32 v32, v32, v219 :: v_dual_add_f32 v1, v25, v29
	v_mul_f32_e32 v155, v19, v12
	v_mul_f32_e32 v4, v20, v12
	v_fmac_f32_e32 v154, v18, v9
	v_dual_add_f32 v32, v32, v221 :: v_dual_add_f32 v1, v1, v2
	s_delay_alu instid0(VALU_DEP_4) | instskip(NEXT) | instid1(VALU_DEP_4)
	v_fmac_f32_e32 v155, v20, v11
	v_fma_f32 v4, v19, v11, -v4
	v_mul_f32_e32 v28, v23, v16
	s_delay_alu instid0(VALU_DEP_4) | instskip(SKIP_2) | instid1(VALU_DEP_4)
	v_dual_add_f32 v26, v32, v26 :: v_dual_add_f32 v1, v1, v3
	v_mul_f32_e32 v3, v22, v14
	v_fmac_f32_e32 v156, v22, v13
	v_fmac_f32_e32 v28, v24, v15
	s_delay_alu instid0(VALU_DEP_4) | instskip(NEXT) | instid1(VALU_DEP_4)
	v_add_f32_e32 v5, v26, v27
	v_fma_f32 v3, v21, v13, -v3
	s_delay_alu instid0(VALU_DEP_2) | instskip(SKIP_1) | instid1(VALU_DEP_1)
	v_add_f32_e32 v2, v5, v151
	v_fma_f32 v5, v17, v9, -v6
	v_dual_add_f32 v2, v2, v152 :: v_dual_add_f32 v1, v1, v5
	s_delay_alu instid0(VALU_DEP_1) | instskip(NEXT) | instid1(VALU_DEP_2)
	v_dual_mul_f32 v5, v24, v16 :: v_dual_add_f32 v2, v2, v154
	v_add_f32_e32 v1, v1, v4
	s_delay_alu instid0(VALU_DEP_2) | instskip(NEXT) | instid1(VALU_DEP_3)
	v_fma_f32 v4, v23, v15, -v5
	v_add_f32_e32 v2, v2, v155
	s_delay_alu instid0(VALU_DEP_1) | instskip(NEXT) | instid1(VALU_DEP_1)
	v_dual_add_f32 v1, v1, v3 :: v_dual_add_f32 v2, v2, v156
	v_add_f32_e32 v1, v1, v4
	s_delay_alu instid0(VALU_DEP_2) | instskip(NEXT) | instid1(VALU_DEP_1)
	v_add_f32_e32 v2, v2, v28
	v_dual_sub_f32 v1, v30, v1 :: v_dual_sub_f32 v2, v31, v2
	scratch_store_b64 off, v[1:2], off offset:48
	v_cmpx_lt_u32_e32 5, v0
	s_cbranch_execz .LBB122_357
; %bb.356:
	scratch_load_b64 v[1:2], off, off offset:40
	v_mov_b32_e32 v3, 0
	s_delay_alu instid0(VALU_DEP_1)
	v_mov_b32_e32 v4, v3
	scratch_store_b64 off, v[3:4], off offset:40
	s_wait_loadcnt 0x0
	ds_store_b64 v153, v[1:2]
.LBB122_357:
	s_wait_alu 0xfffe
	s_or_b32 exec_lo, exec_lo, s0
	s_wait_storecnt_dscnt 0x0
	s_barrier_signal -1
	s_barrier_wait -1
	global_inv scope:SCOPE_SE
	s_clause 0x4
	scratch_load_b128 v[5:8], off, off offset:48
	scratch_load_b128 v[1:4], off, off offset:64
	;; [unrolled: 1-line block ×5, first 2 shown]
	v_mov_b32_e32 v25, 0
	ds_load_b128 v[21:24], v25 offset:528
	ds_load_b128 v[26:29], v25 offset:544
	;; [unrolled: 1-line block ×3, first 2 shown]
	scratch_load_b64 v[30:31], off, off offset:40
	s_mov_b32 s0, exec_lo
	s_wait_loadcnt_dscnt 0x502
	v_dual_mul_f32 v32, v21, v6 :: v_dual_mul_f32 v151, v23, v8
	v_mul_f32_e32 v6, v22, v6
	v_mul_f32_e32 v8, v24, v8
	s_wait_loadcnt_dscnt 0x300
	v_mul_f32_e32 v158, v156, v12
	v_dual_fmac_f32 v32, v22, v5 :: v_dual_fmac_f32 v151, v24, v7
	v_fma_f32 v21, v21, v5, -v6
	v_fma_f32 v22, v23, v7, -v8
	ds_load_b128 v[5:8], v25 offset:576
	v_dual_mul_f32 v23, v26, v2 :: v_dual_mul_f32 v24, v28, v4
	v_mul_f32_e32 v4, v29, v4
	v_mul_f32_e32 v152, v154, v10
	;; [unrolled: 1-line block ×5, first 2 shown]
	v_dual_fmac_f32 v23, v27, v1 :: v_dual_fmac_f32 v24, v29, v3
	v_fma_f32 v27, v28, v3, -v4
	v_fmac_f32_e32 v152, v155, v9
	v_fmac_f32_e32 v158, v157, v11
	v_fma_f32 v28, v154, v9, -v10
	v_fma_f32 v29, v156, v11, -v12
	ds_load_b128 v[9:12], v25 offset:592
	s_wait_loadcnt_dscnt 0x201
	v_dual_mul_f32 v155, v7, v16 :: v_dual_mul_f32 v154, v5, v14
	v_mul_f32_e32 v14, v6, v14
	v_mul_f32_e32 v16, v8, v16
	s_delay_alu instid0(VALU_DEP_3)
	v_fmac_f32_e32 v155, v8, v15
	v_fma_f32 v26, v26, v1, -v2
	scratch_load_b128 v[1:4], off, off offset:128
	v_fmac_f32_e32 v154, v6, v13
	v_fma_f32 v13, v5, v13, -v14
	v_fma_f32 v14, v7, v15, -v16
	ds_load_b128 v[5:8], v25 offset:608
	s_wait_loadcnt_dscnt 0x201
	v_mul_f32_e32 v15, v9, v18
	v_mul_f32_e32 v16, v10, v18
	;; [unrolled: 1-line block ×3, first 2 shown]
	s_delay_alu instid0(VALU_DEP_3) | instskip(NEXT) | instid1(VALU_DEP_3)
	v_dual_mul_f32 v20, v12, v20 :: v_dual_fmac_f32 v15, v10, v17
	v_fma_f32 v16, v9, v17, -v16
	s_delay_alu instid0(VALU_DEP_3) | instskip(NEXT) | instid1(VALU_DEP_3)
	v_fmac_f32_e32 v18, v12, v19
	v_fma_f32 v17, v11, v19, -v20
	scratch_load_b128 v[9:12], off, off offset:144
	s_wait_loadcnt_dscnt 0x100
	v_mul_f32_e32 v19, v5, v2
	v_mul_f32_e32 v2, v6, v2
	;; [unrolled: 1-line block ×3, first 2 shown]
	s_delay_alu instid0(VALU_DEP_3) | instskip(NEXT) | instid1(VALU_DEP_3)
	v_dual_mul_f32 v4, v8, v4 :: v_dual_fmac_f32 v19, v6, v1
	v_fma_f32 v156, v5, v1, -v2
	s_delay_alu instid0(VALU_DEP_3) | instskip(NEXT) | instid1(VALU_DEP_3)
	v_fmac_f32_e32 v20, v8, v3
	v_fma_f32 v157, v7, v3, -v4
	ds_load_b128 v[1:4], v25 offset:624
	ds_load_b128 v[5:8], v25 offset:640
	s_wait_loadcnt_dscnt 0x1
	v_mul_f32_e32 v159, v1, v10
	v_mul_f32_e32 v10, v2, v10
	s_delay_alu instid0(VALU_DEP_2) | instskip(NEXT) | instid1(VALU_DEP_2)
	v_dual_mul_f32 v160, v3, v12 :: v_dual_fmac_f32 v159, v2, v9
	v_fma_f32 v161, v1, v9, -v10
	v_mul_f32_e32 v1, v4, v12
	s_delay_alu instid0(VALU_DEP_3) | instskip(NEXT) | instid1(VALU_DEP_2)
	v_fmac_f32_e32 v160, v4, v11
	v_fma_f32 v162, v3, v11, -v1
	s_clause 0x1
	scratch_load_b128 v[1:4], off, off offset:160
	scratch_load_b128 v[9:12], off, off offset:176
	s_wait_loadcnt_dscnt 0x100
	v_mul_f32_e32 v163, v5, v2
	v_dual_mul_f32 v2, v6, v2 :: v_dual_mul_f32 v165, v7, v4
	s_delay_alu instid0(VALU_DEP_2) | instskip(NEXT) | instid1(VALU_DEP_2)
	v_fmac_f32_e32 v163, v6, v1
	v_fma_f32 v164, v5, v1, -v2
	v_mul_f32_e32 v1, v8, v4
	s_delay_alu instid0(VALU_DEP_4) | instskip(NEXT) | instid1(VALU_DEP_2)
	v_fmac_f32_e32 v165, v8, v3
	v_fma_f32 v166, v7, v3, -v1
	ds_load_b128 v[1:4], v25 offset:656
	ds_load_b128 v[5:8], v25 offset:672
	s_wait_loadcnt_dscnt 0x1
	v_mul_f32_e32 v167, v1, v10
	v_mul_f32_e32 v169, v3, v12
	s_delay_alu instid0(VALU_DEP_2) | instskip(NEXT) | instid1(VALU_DEP_2)
	v_fmac_f32_e32 v167, v2, v9
	v_dual_mul_f32 v2, v2, v10 :: v_dual_fmac_f32 v169, v4, v11
	s_delay_alu instid0(VALU_DEP_1) | instskip(SKIP_1) | instid1(VALU_DEP_1)
	v_fma_f32 v168, v1, v9, -v2
	v_mul_f32_e32 v1, v4, v12
	v_fma_f32 v170, v3, v11, -v1
	s_clause 0x1
	scratch_load_b128 v[1:4], off, off offset:192
	scratch_load_b128 v[9:12], off, off offset:208
	s_wait_loadcnt_dscnt 0x100
	v_mul_f32_e32 v171, v5, v2
	v_dual_mul_f32 v2, v6, v2 :: v_dual_mul_f32 v173, v7, v4
	s_delay_alu instid0(VALU_DEP_2) | instskip(NEXT) | instid1(VALU_DEP_2)
	v_fmac_f32_e32 v171, v6, v1
	v_fma_f32 v172, v5, v1, -v2
	v_mul_f32_e32 v1, v8, v4
	s_delay_alu instid0(VALU_DEP_4) | instskip(NEXT) | instid1(VALU_DEP_2)
	v_fmac_f32_e32 v173, v8, v3
	v_fma_f32 v174, v7, v3, -v1
	ds_load_b128 v[1:4], v25 offset:688
	ds_load_b128 v[5:8], v25 offset:704
	s_wait_loadcnt_dscnt 0x1
	v_mul_f32_e32 v175, v1, v10
	v_mul_f32_e32 v177, v3, v12
	s_delay_alu instid0(VALU_DEP_2) | instskip(NEXT) | instid1(VALU_DEP_2)
	v_fmac_f32_e32 v175, v2, v9
	v_dual_mul_f32 v2, v2, v10 :: v_dual_fmac_f32 v177, v4, v11
	s_delay_alu instid0(VALU_DEP_1) | instskip(SKIP_1) | instid1(VALU_DEP_1)
	v_fma_f32 v176, v1, v9, -v2
	v_mul_f32_e32 v1, v4, v12
	v_fma_f32 v178, v3, v11, -v1
	s_clause 0x1
	scratch_load_b128 v[1:4], off, off offset:224
	scratch_load_b128 v[9:12], off, off offset:240
	s_wait_loadcnt_dscnt 0x100
	v_mul_f32_e32 v179, v5, v2
	v_dual_mul_f32 v2, v6, v2 :: v_dual_mul_f32 v181, v7, v4
	s_delay_alu instid0(VALU_DEP_2) | instskip(NEXT) | instid1(VALU_DEP_2)
	v_fmac_f32_e32 v179, v6, v1
	v_fma_f32 v180, v5, v1, -v2
	v_mul_f32_e32 v1, v8, v4
	s_delay_alu instid0(VALU_DEP_4) | instskip(NEXT) | instid1(VALU_DEP_2)
	v_fmac_f32_e32 v181, v8, v3
	v_fma_f32 v182, v7, v3, -v1
	ds_load_b128 v[1:4], v25 offset:720
	ds_load_b128 v[5:8], v25 offset:736
	s_wait_loadcnt_dscnt 0x1
	v_mul_f32_e32 v183, v1, v10
	v_mul_f32_e32 v185, v3, v12
	s_delay_alu instid0(VALU_DEP_2) | instskip(NEXT) | instid1(VALU_DEP_2)
	v_fmac_f32_e32 v183, v2, v9
	v_dual_mul_f32 v2, v2, v10 :: v_dual_fmac_f32 v185, v4, v11
	s_delay_alu instid0(VALU_DEP_1) | instskip(SKIP_1) | instid1(VALU_DEP_1)
	v_fma_f32 v184, v1, v9, -v2
	v_mul_f32_e32 v1, v4, v12
	v_fma_f32 v186, v3, v11, -v1
	s_clause 0x1
	scratch_load_b128 v[1:4], off, off offset:256
	scratch_load_b128 v[9:12], off, off offset:272
	s_wait_loadcnt_dscnt 0x100
	v_mul_f32_e32 v187, v5, v2
	v_dual_mul_f32 v2, v6, v2 :: v_dual_mul_f32 v189, v7, v4
	s_delay_alu instid0(VALU_DEP_2) | instskip(NEXT) | instid1(VALU_DEP_2)
	v_fmac_f32_e32 v187, v6, v1
	v_fma_f32 v188, v5, v1, -v2
	v_mul_f32_e32 v1, v8, v4
	s_delay_alu instid0(VALU_DEP_4) | instskip(NEXT) | instid1(VALU_DEP_2)
	v_fmac_f32_e32 v189, v8, v3
	v_fma_f32 v190, v7, v3, -v1
	ds_load_b128 v[1:4], v25 offset:752
	ds_load_b128 v[5:8], v25 offset:768
	s_wait_loadcnt_dscnt 0x1
	v_mul_f32_e32 v191, v1, v10
	v_mul_f32_e32 v193, v3, v12
	s_delay_alu instid0(VALU_DEP_2) | instskip(NEXT) | instid1(VALU_DEP_2)
	v_fmac_f32_e32 v191, v2, v9
	v_dual_mul_f32 v2, v2, v10 :: v_dual_fmac_f32 v193, v4, v11
	s_delay_alu instid0(VALU_DEP_1) | instskip(SKIP_1) | instid1(VALU_DEP_1)
	v_fma_f32 v192, v1, v9, -v2
	v_mul_f32_e32 v1, v4, v12
	v_fma_f32 v194, v3, v11, -v1
	s_clause 0x1
	scratch_load_b128 v[1:4], off, off offset:288
	scratch_load_b128 v[9:12], off, off offset:304
	s_wait_loadcnt_dscnt 0x100
	v_mul_f32_e32 v195, v5, v2
	v_dual_mul_f32 v2, v6, v2 :: v_dual_mul_f32 v197, v7, v4
	s_delay_alu instid0(VALU_DEP_2) | instskip(NEXT) | instid1(VALU_DEP_2)
	v_fmac_f32_e32 v195, v6, v1
	v_fma_f32 v196, v5, v1, -v2
	v_mul_f32_e32 v1, v8, v4
	s_delay_alu instid0(VALU_DEP_4) | instskip(NEXT) | instid1(VALU_DEP_2)
	v_fmac_f32_e32 v197, v8, v3
	v_fma_f32 v198, v7, v3, -v1
	ds_load_b128 v[1:4], v25 offset:784
	ds_load_b128 v[5:8], v25 offset:800
	s_wait_loadcnt_dscnt 0x1
	v_mul_f32_e32 v199, v1, v10
	v_mul_f32_e32 v201, v3, v12
	s_delay_alu instid0(VALU_DEP_2) | instskip(NEXT) | instid1(VALU_DEP_2)
	v_fmac_f32_e32 v199, v2, v9
	v_dual_mul_f32 v2, v2, v10 :: v_dual_fmac_f32 v201, v4, v11
	s_delay_alu instid0(VALU_DEP_1) | instskip(SKIP_1) | instid1(VALU_DEP_1)
	v_fma_f32 v200, v1, v9, -v2
	v_mul_f32_e32 v1, v4, v12
	v_fma_f32 v202, v3, v11, -v1
	s_clause 0x1
	scratch_load_b128 v[1:4], off, off offset:320
	scratch_load_b128 v[9:12], off, off offset:336
	s_wait_loadcnt_dscnt 0x100
	v_mul_f32_e32 v203, v5, v2
	v_dual_mul_f32 v2, v6, v2 :: v_dual_mul_f32 v205, v7, v4
	s_delay_alu instid0(VALU_DEP_2) | instskip(NEXT) | instid1(VALU_DEP_2)
	v_fmac_f32_e32 v203, v6, v1
	v_fma_f32 v204, v5, v1, -v2
	v_mul_f32_e32 v1, v8, v4
	s_delay_alu instid0(VALU_DEP_4) | instskip(NEXT) | instid1(VALU_DEP_2)
	v_fmac_f32_e32 v205, v8, v3
	v_fma_f32 v206, v7, v3, -v1
	ds_load_b128 v[1:4], v25 offset:816
	ds_load_b128 v[5:8], v25 offset:832
	s_wait_loadcnt_dscnt 0x1
	v_mul_f32_e32 v207, v1, v10
	v_mul_f32_e32 v209, v3, v12
	s_delay_alu instid0(VALU_DEP_2) | instskip(NEXT) | instid1(VALU_DEP_2)
	v_fmac_f32_e32 v207, v2, v9
	v_dual_mul_f32 v2, v2, v10 :: v_dual_fmac_f32 v209, v4, v11
	s_delay_alu instid0(VALU_DEP_1) | instskip(SKIP_1) | instid1(VALU_DEP_1)
	v_fma_f32 v208, v1, v9, -v2
	v_mul_f32_e32 v1, v4, v12
	v_fma_f32 v210, v3, v11, -v1
	s_clause 0x1
	scratch_load_b128 v[1:4], off, off offset:352
	scratch_load_b128 v[9:12], off, off offset:368
	s_wait_loadcnt_dscnt 0x100
	v_mul_f32_e32 v211, v5, v2
	v_dual_mul_f32 v2, v6, v2 :: v_dual_mul_f32 v213, v7, v4
	s_delay_alu instid0(VALU_DEP_2) | instskip(NEXT) | instid1(VALU_DEP_2)
	v_fmac_f32_e32 v211, v6, v1
	v_fma_f32 v212, v5, v1, -v2
	v_mul_f32_e32 v1, v8, v4
	s_delay_alu instid0(VALU_DEP_4) | instskip(NEXT) | instid1(VALU_DEP_2)
	v_fmac_f32_e32 v213, v8, v3
	v_fma_f32 v214, v7, v3, -v1
	ds_load_b128 v[1:4], v25 offset:848
	ds_load_b128 v[5:8], v25 offset:864
	s_wait_loadcnt_dscnt 0x1
	v_mul_f32_e32 v215, v1, v10
	v_mul_f32_e32 v217, v3, v12
	s_delay_alu instid0(VALU_DEP_2) | instskip(NEXT) | instid1(VALU_DEP_2)
	v_fmac_f32_e32 v215, v2, v9
	v_dual_mul_f32 v2, v2, v10 :: v_dual_fmac_f32 v217, v4, v11
	s_delay_alu instid0(VALU_DEP_1) | instskip(SKIP_1) | instid1(VALU_DEP_1)
	v_fma_f32 v216, v1, v9, -v2
	v_mul_f32_e32 v1, v4, v12
	v_fma_f32 v218, v3, v11, -v1
	s_clause 0x1
	scratch_load_b128 v[1:4], off, off offset:384
	scratch_load_b128 v[9:12], off, off offset:400
	s_wait_loadcnt_dscnt 0x100
	v_mul_f32_e32 v219, v5, v2
	v_dual_mul_f32 v2, v6, v2 :: v_dual_mul_f32 v221, v7, v4
	s_delay_alu instid0(VALU_DEP_2) | instskip(NEXT) | instid1(VALU_DEP_2)
	v_fmac_f32_e32 v219, v6, v1
	v_fma_f32 v220, v5, v1, -v2
	s_delay_alu instid0(VALU_DEP_3) | instskip(NEXT) | instid1(VALU_DEP_1)
	v_dual_add_f32 v2, 0, v32 :: v_dual_fmac_f32 v221, v8, v3
	v_add_f32_e32 v2, v2, v151
	s_delay_alu instid0(VALU_DEP_1) | instskip(NEXT) | instid1(VALU_DEP_1)
	v_add_f32_e32 v2, v2, v23
	v_add_f32_e32 v2, v2, v24
	s_delay_alu instid0(VALU_DEP_1) | instskip(NEXT) | instid1(VALU_DEP_1)
	v_add_f32_e32 v2, v2, v152
	v_add_f32_e32 v2, v2, v158
	s_delay_alu instid0(VALU_DEP_1) | instskip(NEXT) | instid1(VALU_DEP_1)
	v_add_f32_e32 v2, v2, v154
	v_add_f32_e32 v2, v2, v155
	s_delay_alu instid0(VALU_DEP_1) | instskip(NEXT) | instid1(VALU_DEP_1)
	v_add_f32_e32 v2, v2, v15
	v_add_f32_e32 v2, v2, v18
	s_delay_alu instid0(VALU_DEP_1) | instskip(NEXT) | instid1(VALU_DEP_1)
	v_add_f32_e32 v2, v2, v19
	v_add_f32_e32 v2, v2, v20
	s_delay_alu instid0(VALU_DEP_1) | instskip(NEXT) | instid1(VALU_DEP_1)
	v_dual_mul_f32 v1, v8, v4 :: v_dual_add_f32 v2, v2, v159
	v_fma_f32 v222, v7, v3, -v1
	s_delay_alu instid0(VALU_DEP_2) | instskip(NEXT) | instid1(VALU_DEP_1)
	v_dual_add_f32 v1, 0, v21 :: v_dual_add_f32 v2, v2, v160
	v_dual_add_f32 v1, v1, v22 :: v_dual_add_f32 v2, v2, v163
	s_delay_alu instid0(VALU_DEP_1) | instskip(NEXT) | instid1(VALU_DEP_1)
	v_dual_add_f32 v1, v1, v26 :: v_dual_add_f32 v2, v2, v165
	v_add_f32_e32 v1, v1, v27
	scratch_load_b64 v[26:27], off, off offset:464
	v_dual_add_f32 v2, v2, v167 :: v_dual_add_f32 v1, v1, v28
	s_delay_alu instid0(VALU_DEP_1) | instskip(NEXT) | instid1(VALU_DEP_1)
	v_add_f32_e32 v2, v2, v169
	v_dual_add_f32 v1, v1, v29 :: v_dual_add_f32 v2, v2, v171
	s_delay_alu instid0(VALU_DEP_1) | instskip(NEXT) | instid1(VALU_DEP_1)
	v_add_f32_e32 v1, v1, v13
	v_dual_add_f32 v2, v2, v173 :: v_dual_add_f32 v1, v1, v14
	s_delay_alu instid0(VALU_DEP_1) | instskip(NEXT) | instid1(VALU_DEP_1)
	v_dual_add_f32 v2, v2, v175 :: v_dual_add_f32 v1, v1, v16
	v_add_f32_e32 v2, v2, v177
	s_delay_alu instid0(VALU_DEP_2) | instskip(NEXT) | instid1(VALU_DEP_1)
	v_add_f32_e32 v1, v1, v17
	v_add_f32_e32 v1, v1, v156
	s_delay_alu instid0(VALU_DEP_1) | instskip(NEXT) | instid1(VALU_DEP_1)
	v_add_f32_e32 v1, v1, v157
	v_add_f32_e32 v1, v1, v161
	s_delay_alu instid0(VALU_DEP_1) | instskip(NEXT) | instid1(VALU_DEP_1)
	;; [unrolled: 3-line block ×9, first 2 shown]
	v_add_f32_e32 v1, v1, v190
	v_add_f32_e32 v1, v1, v192
	s_delay_alu instid0(VALU_DEP_1) | instskip(SKIP_1) | instid1(VALU_DEP_2)
	v_add_f32_e32 v6, v1, v194
	v_add_f32_e32 v2, v2, v179
	;; [unrolled: 1-line block ×3, first 2 shown]
	s_delay_alu instid0(VALU_DEP_2) | instskip(NEXT) | instid1(VALU_DEP_2)
	v_add_f32_e32 v2, v2, v181
	v_add_f32_e32 v13, v6, v198
	s_delay_alu instid0(VALU_DEP_1) | instskip(NEXT) | instid1(VALU_DEP_1)
	v_dual_add_f32 v2, v2, v183 :: v_dual_add_f32 v13, v13, v200
	v_dual_add_f32 v2, v2, v185 :: v_dual_add_f32 v13, v13, v202
	s_delay_alu instid0(VALU_DEP_1) | instskip(NEXT) | instid1(VALU_DEP_1)
	v_dual_add_f32 v2, v2, v187 :: v_dual_add_f32 v13, v13, v204
	v_add_f32_e32 v2, v2, v189
	s_delay_alu instid0(VALU_DEP_1) | instskip(SKIP_2) | instid1(VALU_DEP_1)
	v_dual_add_f32 v18, v13, v206 :: v_dual_add_f32 v5, v2, v191
	ds_load_b128 v[1:4], v25 offset:880
	v_dual_add_f32 v18, v18, v208 :: v_dual_add_f32 v5, v5, v193
	v_dual_add_f32 v18, v18, v210 :: v_dual_add_f32 v5, v5, v195
	s_delay_alu instid0(VALU_DEP_1) | instskip(NEXT) | instid1(VALU_DEP_2)
	v_add_f32_e32 v18, v18, v212
	v_add_f32_e32 v14, v5, v197
	ds_load_b128 v[5:8], v25 offset:896
	v_add_f32_e32 v18, v18, v214
	s_wait_loadcnt_dscnt 0x101
	v_mul_f32_e32 v32, v1, v10
	v_dual_mul_f32 v10, v2, v10 :: v_dual_mul_f32 v151, v3, v12
	v_mul_f32_e32 v12, v4, v12
	v_add_f32_e32 v28, v18, v216
	s_delay_alu instid0(VALU_DEP_4) | instskip(NEXT) | instid1(VALU_DEP_4)
	v_fmac_f32_e32 v32, v2, v9
	v_fma_f32 v152, v1, v9, -v10
	v_fmac_f32_e32 v151, v4, v11
	v_fma_f32 v154, v3, v11, -v12
	s_clause 0x1
	scratch_load_b128 v[1:4], off, off offset:416
	scratch_load_b128 v[9:12], off, off offset:432
	v_add_f32_e32 v155, v28, v218
	s_delay_alu instid0(VALU_DEP_1) | instskip(NEXT) | instid1(VALU_DEP_1)
	v_add_f32_e32 v155, v155, v220
	v_add_f32_e32 v155, v155, v222
	s_delay_alu instid0(VALU_DEP_1) | instskip(NEXT) | instid1(VALU_DEP_1)
	v_add_f32_e32 v152, v155, v152
	v_add_f32_e32 v152, v152, v154
	s_wait_loadcnt_dscnt 0x100
	v_mul_f32_e32 v158, v7, v4
	v_add_f32_e32 v14, v14, v199
	v_dual_mul_f32 v4, v8, v4 :: v_dual_mul_f32 v157, v5, v2
	v_mul_f32_e32 v2, v6, v2
	s_delay_alu instid0(VALU_DEP_4) | instskip(NEXT) | instid1(VALU_DEP_4)
	v_fmac_f32_e32 v158, v8, v3
	v_add_f32_e32 v14, v14, v201
	s_delay_alu instid0(VALU_DEP_4) | instskip(NEXT) | instid1(VALU_DEP_4)
	v_fmac_f32_e32 v157, v6, v1
	v_fma_f32 v2, v5, v1, -v2
	v_fma_f32 v1, v7, v3, -v4
	s_delay_alu instid0(VALU_DEP_4) | instskip(SKIP_2) | instid1(VALU_DEP_1)
	v_add_f32_e32 v17, v14, v203
	scratch_load_b128 v[13:16], off, off offset:448
	v_dual_add_f32 v2, v152, v2 :: v_dual_add_f32 v17, v17, v205
	v_add_f32_e32 v1, v2, v1
	s_delay_alu instid0(VALU_DEP_2) | instskip(NEXT) | instid1(VALU_DEP_1)
	v_add_f32_e32 v17, v17, v207
	v_add_f32_e32 v17, v17, v209
	s_delay_alu instid0(VALU_DEP_1) | instskip(NEXT) | instid1(VALU_DEP_1)
	v_add_f32_e32 v17, v17, v211
	v_add_f32_e32 v21, v17, v213
	ds_load_b128 v[17:20], v25 offset:912
	v_add_f32_e32 v29, v21, v215
	ds_load_b128 v[21:24], v25 offset:928
	v_add_f32_e32 v156, v29, v217
	ds_load_b64 v[28:29], v25 offset:944
	v_add_f32_e32 v156, v156, v219
	s_wait_loadcnt_dscnt 0x102
	s_delay_alu instid0(VALU_DEP_1) | instskip(SKIP_2) | instid1(VALU_DEP_3)
	v_dual_add_f32 v156, v156, v221 :: v_dual_mul_f32 v155, v17, v10
	v_mul_f32_e32 v3, v18, v10
	v_mul_f32_e32 v5, v20, v12
	v_add_f32_e32 v32, v156, v32
	s_delay_alu instid0(VALU_DEP_4) | instskip(NEXT) | instid1(VALU_DEP_4)
	v_dual_mul_f32 v156, v19, v12 :: v_dual_fmac_f32 v155, v18, v9
	v_fma_f32 v3, v17, v9, -v3
	s_delay_alu instid0(VALU_DEP_4) | instskip(NEXT) | instid1(VALU_DEP_4)
	v_fma_f32 v5, v19, v11, -v5
	v_add_f32_e32 v32, v32, v151
	s_delay_alu instid0(VALU_DEP_4) | instskip(SKIP_2) | instid1(VALU_DEP_3)
	v_fmac_f32_e32 v156, v20, v11
	s_wait_dscnt 0x0
	v_mul_f32_e32 v151, v28, v27
	v_dual_add_f32 v1, v1, v3 :: v_dual_add_f32 v4, v32, v157
	s_delay_alu instid0(VALU_DEP_2) | instskip(NEXT) | instid1(VALU_DEP_2)
	v_fmac_f32_e32 v151, v29, v26
	v_add_f32_e32 v1, v1, v5
	s_delay_alu instid0(VALU_DEP_3) | instskip(NEXT) | instid1(VALU_DEP_1)
	v_dual_mul_f32 v5, v29, v27 :: v_dual_add_f32 v2, v4, v158
	v_add_f32_e32 v2, v2, v155
	s_wait_loadcnt 0x0
	s_delay_alu instid0(VALU_DEP_1) | instskip(SKIP_3) | instid1(VALU_DEP_4)
	v_dual_add_f32 v2, v2, v156 :: v_dual_mul_f32 v159, v21, v14
	v_mul_f32_e32 v4, v22, v14
	v_mul_f32_e32 v154, v23, v16
	;; [unrolled: 1-line block ×3, first 2 shown]
	v_fmac_f32_e32 v159, v22, v13
	s_delay_alu instid0(VALU_DEP_4) | instskip(NEXT) | instid1(VALU_DEP_4)
	v_fma_f32 v4, v21, v13, -v4
	v_fmac_f32_e32 v154, v24, v15
	s_delay_alu instid0(VALU_DEP_4) | instskip(NEXT) | instid1(VALU_DEP_3)
	v_fma_f32 v3, v23, v15, -v3
	v_dual_add_f32 v2, v2, v159 :: v_dual_add_f32 v1, v1, v4
	v_fma_f32 v4, v28, v26, -v5
	s_delay_alu instid0(VALU_DEP_2) | instskip(NEXT) | instid1(VALU_DEP_1)
	v_dual_add_f32 v2, v2, v154 :: v_dual_add_f32 v1, v1, v3
	v_dual_add_f32 v2, v2, v151 :: v_dual_add_f32 v1, v1, v4
	s_delay_alu instid0(VALU_DEP_1)
	v_dual_sub_f32 v2, v31, v2 :: v_dual_sub_f32 v1, v30, v1
	scratch_store_b64 off, v[1:2], off offset:40
	v_cmpx_lt_u32_e32 4, v0
	s_cbranch_execz .LBB122_359
; %bb.358:
	scratch_load_b64 v[1:2], off, off offset:32
	v_mov_b32_e32 v26, v25
	scratch_store_b64 off, v[25:26], off offset:32
	s_wait_loadcnt 0x0
	ds_store_b64 v153, v[1:2]
.LBB122_359:
	s_wait_alu 0xfffe
	s_or_b32 exec_lo, exec_lo, s0
	s_wait_storecnt_dscnt 0x0
	s_barrier_signal -1
	s_barrier_wait -1
	global_inv scope:SCOPE_SE
	s_clause 0x4
	scratch_load_b128 v[5:8], off, off offset:40
	scratch_load_b128 v[1:4], off, off offset:56
	;; [unrolled: 1-line block ×5, first 2 shown]
	ds_load_2addr_b64 v[21:24], v25 offset0:65 offset1:66
	ds_load_2addr_b64 v[26:29], v25 offset0:67 offset1:68
	;; [unrolled: 1-line block ×3, first 2 shown]
	scratch_load_b64 v[30:31], off, off offset:32
	s_mov_b32 s0, exec_lo
	s_wait_loadcnt_dscnt 0x502
	v_dual_mul_f32 v32, v21, v6 :: v_dual_mul_f32 v151, v23, v8
	v_mul_f32_e32 v6, v22, v6
	v_mul_f32_e32 v8, v24, v8
	s_wait_loadcnt_dscnt 0x300
	v_mul_f32_e32 v152, v154, v10
	v_dual_fmac_f32 v32, v22, v5 :: v_dual_fmac_f32 v151, v24, v7
	v_fma_f32 v21, v21, v5, -v6
	v_fma_f32 v22, v23, v7, -v8
	ds_load_2addr_b64 v[5:8], v25 offset0:71 offset1:72
	v_dual_mul_f32 v23, v26, v2 :: v_dual_mul_f32 v24, v28, v4
	v_mul_f32_e32 v4, v29, v4
	v_mul_f32_e32 v158, v156, v12
	;; [unrolled: 1-line block ×5, first 2 shown]
	v_dual_fmac_f32 v23, v27, v1 :: v_dual_fmac_f32 v24, v29, v3
	v_fma_f32 v27, v28, v3, -v4
	v_fmac_f32_e32 v152, v155, v9
	v_fmac_f32_e32 v158, v157, v11
	v_fma_f32 v28, v154, v9, -v10
	v_fma_f32 v29, v156, v11, -v12
	ds_load_2addr_b64 v[9:12], v25 offset0:73 offset1:74
	s_wait_loadcnt_dscnt 0x201
	v_dual_mul_f32 v155, v7, v16 :: v_dual_mul_f32 v154, v5, v14
	v_mul_f32_e32 v14, v6, v14
	v_mul_f32_e32 v16, v8, v16
	s_delay_alu instid0(VALU_DEP_3)
	v_fmac_f32_e32 v155, v8, v15
	v_fma_f32 v26, v26, v1, -v2
	scratch_load_b128 v[1:4], off, off offset:120
	v_fmac_f32_e32 v154, v6, v13
	v_fma_f32 v13, v5, v13, -v14
	v_fma_f32 v14, v7, v15, -v16
	ds_load_2addr_b64 v[5:8], v25 offset0:75 offset1:76
	s_wait_loadcnt_dscnt 0x201
	v_mul_f32_e32 v15, v9, v18
	v_mul_f32_e32 v16, v10, v18
	v_mul_f32_e32 v18, v11, v20
	s_delay_alu instid0(VALU_DEP_3) | instskip(NEXT) | instid1(VALU_DEP_3)
	v_dual_mul_f32 v20, v12, v20 :: v_dual_fmac_f32 v15, v10, v17
	v_fma_f32 v16, v9, v17, -v16
	s_delay_alu instid0(VALU_DEP_3) | instskip(NEXT) | instid1(VALU_DEP_3)
	v_fmac_f32_e32 v18, v12, v19
	v_fma_f32 v17, v11, v19, -v20
	scratch_load_b128 v[9:12], off, off offset:136
	s_wait_loadcnt_dscnt 0x100
	v_mul_f32_e32 v19, v5, v2
	v_mul_f32_e32 v2, v6, v2
	v_mul_f32_e32 v20, v7, v4
	s_delay_alu instid0(VALU_DEP_3) | instskip(NEXT) | instid1(VALU_DEP_3)
	v_dual_mul_f32 v4, v8, v4 :: v_dual_fmac_f32 v19, v6, v1
	v_fma_f32 v156, v5, v1, -v2
	s_delay_alu instid0(VALU_DEP_3) | instskip(NEXT) | instid1(VALU_DEP_3)
	v_fmac_f32_e32 v20, v8, v3
	v_fma_f32 v157, v7, v3, -v4
	ds_load_2addr_b64 v[1:4], v25 offset0:77 offset1:78
	ds_load_2addr_b64 v[5:8], v25 offset0:79 offset1:80
	s_wait_loadcnt_dscnt 0x1
	v_mul_f32_e32 v159, v1, v10
	v_mul_f32_e32 v10, v2, v10
	s_delay_alu instid0(VALU_DEP_2) | instskip(NEXT) | instid1(VALU_DEP_2)
	v_dual_mul_f32 v160, v3, v12 :: v_dual_fmac_f32 v159, v2, v9
	v_fma_f32 v161, v1, v9, -v10
	v_mul_f32_e32 v1, v4, v12
	s_delay_alu instid0(VALU_DEP_3) | instskip(NEXT) | instid1(VALU_DEP_2)
	v_fmac_f32_e32 v160, v4, v11
	v_fma_f32 v162, v3, v11, -v1
	s_clause 0x1
	scratch_load_b128 v[1:4], off, off offset:152
	scratch_load_b128 v[9:12], off, off offset:168
	s_wait_loadcnt_dscnt 0x100
	v_mul_f32_e32 v163, v5, v2
	v_dual_mul_f32 v2, v6, v2 :: v_dual_mul_f32 v165, v7, v4
	s_delay_alu instid0(VALU_DEP_2) | instskip(NEXT) | instid1(VALU_DEP_2)
	v_fmac_f32_e32 v163, v6, v1
	v_fma_f32 v164, v5, v1, -v2
	v_mul_f32_e32 v1, v8, v4
	s_delay_alu instid0(VALU_DEP_4) | instskip(NEXT) | instid1(VALU_DEP_2)
	v_fmac_f32_e32 v165, v8, v3
	v_fma_f32 v166, v7, v3, -v1
	ds_load_2addr_b64 v[1:4], v25 offset0:81 offset1:82
	ds_load_2addr_b64 v[5:8], v25 offset0:83 offset1:84
	s_wait_loadcnt_dscnt 0x1
	v_mul_f32_e32 v167, v1, v10
	v_mul_f32_e32 v169, v3, v12
	s_delay_alu instid0(VALU_DEP_2) | instskip(NEXT) | instid1(VALU_DEP_2)
	v_fmac_f32_e32 v167, v2, v9
	v_dual_mul_f32 v2, v2, v10 :: v_dual_fmac_f32 v169, v4, v11
	s_delay_alu instid0(VALU_DEP_1) | instskip(SKIP_1) | instid1(VALU_DEP_1)
	v_fma_f32 v168, v1, v9, -v2
	v_mul_f32_e32 v1, v4, v12
	v_fma_f32 v170, v3, v11, -v1
	s_clause 0x1
	scratch_load_b128 v[1:4], off, off offset:184
	scratch_load_b128 v[9:12], off, off offset:200
	s_wait_loadcnt_dscnt 0x100
	v_mul_f32_e32 v171, v5, v2
	v_dual_mul_f32 v2, v6, v2 :: v_dual_mul_f32 v173, v7, v4
	s_delay_alu instid0(VALU_DEP_2) | instskip(NEXT) | instid1(VALU_DEP_2)
	v_fmac_f32_e32 v171, v6, v1
	v_fma_f32 v172, v5, v1, -v2
	v_mul_f32_e32 v1, v8, v4
	s_delay_alu instid0(VALU_DEP_4) | instskip(NEXT) | instid1(VALU_DEP_2)
	v_fmac_f32_e32 v173, v8, v3
	v_fma_f32 v174, v7, v3, -v1
	ds_load_2addr_b64 v[1:4], v25 offset0:85 offset1:86
	ds_load_2addr_b64 v[5:8], v25 offset0:87 offset1:88
	s_wait_loadcnt_dscnt 0x1
	v_mul_f32_e32 v175, v1, v10
	v_mul_f32_e32 v177, v3, v12
	s_delay_alu instid0(VALU_DEP_2) | instskip(NEXT) | instid1(VALU_DEP_2)
	v_fmac_f32_e32 v175, v2, v9
	v_dual_mul_f32 v2, v2, v10 :: v_dual_fmac_f32 v177, v4, v11
	s_delay_alu instid0(VALU_DEP_1) | instskip(SKIP_1) | instid1(VALU_DEP_1)
	v_fma_f32 v176, v1, v9, -v2
	v_mul_f32_e32 v1, v4, v12
	;; [unrolled: 25-line block ×7, first 2 shown]
	v_fma_f32 v218, v3, v11, -v1
	s_clause 0x1
	scratch_load_b128 v[1:4], off, off offset:376
	scratch_load_b128 v[9:12], off, off offset:392
	s_wait_loadcnt_dscnt 0x100
	v_mul_f32_e32 v219, v5, v2
	v_mul_f32_e32 v2, v6, v2
	s_delay_alu instid0(VALU_DEP_2) | instskip(NEXT) | instid1(VALU_DEP_2)
	v_fmac_f32_e32 v219, v6, v1
	v_fma_f32 v220, v5, v1, -v2
	v_add_f32_e32 v2, 0, v32
	s_delay_alu instid0(VALU_DEP_1) | instskip(NEXT) | instid1(VALU_DEP_1)
	v_dual_mul_f32 v1, v8, v4 :: v_dual_add_f32 v2, v2, v151
	v_fma_f32 v222, v7, v3, -v1
	s_delay_alu instid0(VALU_DEP_2) | instskip(NEXT) | instid1(VALU_DEP_1)
	v_dual_add_f32 v1, 0, v21 :: v_dual_add_f32 v2, v2, v23
	v_dual_add_f32 v1, v1, v22 :: v_dual_add_f32 v2, v2, v24
	s_delay_alu instid0(VALU_DEP_1) | instskip(NEXT) | instid1(VALU_DEP_1)
	v_add_f32_e32 v2, v2, v152
	v_add_f32_e32 v2, v2, v158
	s_delay_alu instid0(VALU_DEP_1) | instskip(NEXT) | instid1(VALU_DEP_1)
	v_add_f32_e32 v2, v2, v154
	v_add_f32_e32 v2, v2, v155
	;; [unrolled: 3-line block ×5, first 2 shown]
	s_delay_alu instid0(VALU_DEP_1) | instskip(NEXT) | instid1(VALU_DEP_1)
	v_add_f32_e32 v2, v2, v163
	v_dual_add_f32 v2, v2, v165 :: v_dual_add_f32 v1, v1, v26
	s_delay_alu instid0(VALU_DEP_1) | instskip(NEXT) | instid1(VALU_DEP_1)
	v_add_f32_e32 v2, v2, v167
	v_dual_add_f32 v1, v1, v27 :: v_dual_add_f32 v2, v2, v169
	s_delay_alu instid0(VALU_DEP_1) | instskip(NEXT) | instid1(VALU_DEP_1)
	v_dual_add_f32 v1, v1, v28 :: v_dual_add_f32 v2, v2, v171
	v_add_f32_e32 v1, v1, v29
	s_delay_alu instid0(VALU_DEP_2) | instskip(NEXT) | instid1(VALU_DEP_1)
	v_add_f32_e32 v2, v2, v173
	v_dual_add_f32 v1, v1, v13 :: v_dual_add_f32 v2, v2, v175
	s_delay_alu instid0(VALU_DEP_1) | instskip(NEXT) | instid1(VALU_DEP_1)
	v_dual_add_f32 v1, v1, v14 :: v_dual_add_f32 v2, v2, v177
	v_add_f32_e32 v1, v1, v16
	s_delay_alu instid0(VALU_DEP_1) | instskip(NEXT) | instid1(VALU_DEP_1)
	v_add_f32_e32 v1, v1, v17
	v_add_f32_e32 v1, v1, v156
	s_delay_alu instid0(VALU_DEP_1) | instskip(NEXT) | instid1(VALU_DEP_1)
	v_add_f32_e32 v1, v1, v157
	v_add_f32_e32 v1, v1, v161
	s_delay_alu instid0(VALU_DEP_1) | instskip(NEXT) | instid1(VALU_DEP_1)
	v_add_f32_e32 v1, v1, v162
	v_add_f32_e32 v1, v1, v164
	s_delay_alu instid0(VALU_DEP_1) | instskip(NEXT) | instid1(VALU_DEP_1)
	v_add_f32_e32 v1, v1, v166
	v_add_f32_e32 v1, v1, v168
	s_delay_alu instid0(VALU_DEP_1) | instskip(NEXT) | instid1(VALU_DEP_1)
	v_add_f32_e32 v1, v1, v170
	v_add_f32_e32 v1, v1, v172
	s_delay_alu instid0(VALU_DEP_1) | instskip(NEXT) | instid1(VALU_DEP_1)
	v_add_f32_e32 v1, v1, v174
	v_add_f32_e32 v1, v1, v176
	s_delay_alu instid0(VALU_DEP_1) | instskip(NEXT) | instid1(VALU_DEP_1)
	v_add_f32_e32 v1, v1, v178
	v_add_f32_e32 v1, v1, v180
	s_delay_alu instid0(VALU_DEP_1) | instskip(NEXT) | instid1(VALU_DEP_1)
	v_add_f32_e32 v1, v1, v182
	v_add_f32_e32 v1, v1, v184
	s_delay_alu instid0(VALU_DEP_1) | instskip(NEXT) | instid1(VALU_DEP_1)
	v_add_f32_e32 v1, v1, v186
	v_add_f32_e32 v1, v1, v188
	s_delay_alu instid0(VALU_DEP_1) | instskip(NEXT) | instid1(VALU_DEP_1)
	v_add_f32_e32 v1, v1, v190
	v_add_f32_e32 v1, v1, v192
	s_delay_alu instid0(VALU_DEP_1) | instskip(NEXT) | instid1(VALU_DEP_1)
	v_add_f32_e32 v1, v1, v194
	v_add_f32_e32 v6, v1, v196
	v_dual_mul_f32 v221, v7, v4 :: v_dual_add_f32 v2, v2, v179
	s_delay_alu instid0(VALU_DEP_2) | instskip(NEXT) | instid1(VALU_DEP_2)
	v_add_f32_e32 v14, v6, v198
	v_add_f32_e32 v2, v2, v181
	s_delay_alu instid0(VALU_DEP_2) | instskip(NEXT) | instid1(VALU_DEP_2)
	v_add_f32_e32 v14, v14, v200
	v_add_f32_e32 v2, v2, v183
	s_delay_alu instid0(VALU_DEP_2) | instskip(NEXT) | instid1(VALU_DEP_1)
	v_add_f32_e32 v17, v14, v202
	v_dual_add_f32 v2, v2, v185 :: v_dual_add_f32 v17, v17, v204
	s_delay_alu instid0(VALU_DEP_1) | instskip(NEXT) | instid1(VALU_DEP_1)
	v_dual_add_f32 v2, v2, v187 :: v_dual_add_f32 v17, v17, v206
	v_dual_add_f32 v2, v2, v189 :: v_dual_add_f32 v17, v17, v208
	s_delay_alu instid0(VALU_DEP_1) | instskip(NEXT) | instid1(VALU_DEP_2)
	v_add_f32_e32 v22, v17, v210
	v_add_f32_e32 v2, v2, v191
	s_delay_alu instid0(VALU_DEP_2) | instskip(NEXT) | instid1(VALU_DEP_2)
	v_add_f32_e32 v22, v22, v212
	v_add_f32_e32 v5, v2, v193
	s_delay_alu instid0(VALU_DEP_1) | instskip(NEXT) | instid1(VALU_DEP_1)
	v_dual_add_f32 v22, v22, v214 :: v_dual_add_f32 v13, v5, v195
	v_add_f32_e32 v13, v13, v197
	s_delay_alu instid0(VALU_DEP_1)
	v_add_f32_e32 v13, v13, v199
	v_fmac_f32_e32 v221, v8, v3
	ds_load_2addr_b64 v[1:4], v25 offset0:109 offset1:110
	scratch_load_b128 v[5:8], off, off offset:408
	v_add_f32_e32 v18, v13, v201
	ds_load_2addr_b64 v[13:16], v25 offset0:111 offset1:112
	v_add_f32_e32 v18, v18, v203
	s_delay_alu instid0(VALU_DEP_1) | instskip(NEXT) | instid1(VALU_DEP_1)
	v_add_f32_e32 v18, v18, v205
	v_add_f32_e32 v21, v18, v207
	scratch_load_b128 v[17:20], off, off offset:456
	s_wait_loadcnt_dscnt 0x201
	v_mul_f32_e32 v26, v1, v10
	v_dual_mul_f32 v10, v2, v10 :: v_dual_mul_f32 v27, v3, v12
	v_dual_mul_f32 v12, v4, v12 :: v_dual_add_f32 v21, v21, v209
	s_delay_alu instid0(VALU_DEP_3) | instskip(NEXT) | instid1(VALU_DEP_3)
	v_fmac_f32_e32 v26, v2, v9
	v_fma_f32 v28, v1, v9, -v10
	s_delay_alu instid0(VALU_DEP_4) | instskip(NEXT) | instid1(VALU_DEP_4)
	v_fmac_f32_e32 v27, v4, v11
	v_fma_f32 v29, v3, v11, -v12
	s_clause 0x1
	scratch_load_b128 v[1:4], off, off offset:424
	scratch_load_b128 v[9:12], off, off offset:440
	v_add_f32_e32 v21, v21, v211
	s_wait_loadcnt_dscnt 0x300
	v_mul_f32_e32 v32, v13, v6
	v_dual_mul_f32 v6, v14, v6 :: v_dual_mul_f32 v151, v15, v8
	v_mul_f32_e32 v8, v16, v8
	s_delay_alu instid0(VALU_DEP_3) | instskip(NEXT) | instid1(VALU_DEP_3)
	v_fmac_f32_e32 v32, v14, v5
	v_fma_f32 v152, v13, v5, -v6
	v_add_f32_e32 v13, v21, v213
	v_fmac_f32_e32 v151, v16, v7
	v_fma_f32 v154, v15, v7, -v8
	ds_load_2addr_b64 v[5:8], v25 offset0:113 offset1:114
	v_dual_add_f32 v21, v22, v216 :: v_dual_add_f32 v22, v13, v215
	ds_load_2addr_b64 v[13:16], v25 offset0:115 offset1:116
	v_dual_add_f32 v155, v21, v218 :: v_dual_add_f32 v156, v22, v217
	ds_load_2addr_b64 v[21:24], v25 offset0:117 offset1:118
	v_add_f32_e32 v25, v155, v220
	s_delay_alu instid0(VALU_DEP_1) | instskip(NEXT) | instid1(VALU_DEP_1)
	v_add_f32_e32 v25, v25, v222
	v_add_f32_e32 v25, v25, v28
	s_wait_loadcnt_dscnt 0x102
	v_mul_f32_e32 v28, v7, v4
	v_mul_f32_e32 v4, v8, v4
	v_dual_add_f32 v155, v156, v219 :: v_dual_mul_f32 v156, v5, v2
	v_dual_add_f32 v25, v25, v29 :: v_dual_mul_f32 v2, v6, v2
	s_delay_alu instid0(VALU_DEP_2) | instskip(NEXT) | instid1(VALU_DEP_2)
	v_dual_fmac_f32 v28, v8, v3 :: v_dual_add_f32 v155, v155, v221
	v_dual_fmac_f32 v156, v6, v1 :: v_dual_add_f32 v25, v25, v152
	s_delay_alu instid0(VALU_DEP_3)
	v_fma_f32 v2, v5, v1, -v2
	s_wait_loadcnt_dscnt 0x1
	v_mul_f32_e32 v6, v14, v10
	v_add_f32_e32 v26, v155, v26
	v_mul_f32_e32 v155, v13, v10
	v_add_f32_e32 v1, v25, v154
	v_fma_f32 v3, v7, v3, -v4
	s_delay_alu instid0(VALU_DEP_4) | instskip(NEXT) | instid1(VALU_DEP_3)
	v_dual_mul_f32 v157, v15, v12 :: v_dual_add_f32 v26, v26, v27
	v_dual_mul_f32 v4, v16, v12 :: v_dual_add_f32 v1, v1, v2
	v_fmac_f32_e32 v155, v14, v9
	s_wait_dscnt 0x0
	s_delay_alu instid0(VALU_DEP_3)
	v_dual_mul_f32 v27, v21, v18 :: v_dual_add_f32 v26, v26, v32
	v_fmac_f32_e32 v157, v16, v11
	v_add_f32_e32 v1, v1, v3
	v_mul_f32_e32 v3, v22, v18
	v_fma_f32 v4, v15, v11, -v4
	v_add_f32_e32 v5, v26, v151
	v_mul_f32_e32 v29, v23, v20
	v_fmac_f32_e32 v27, v22, v17
	v_fma_f32 v3, v21, v17, -v3
	s_delay_alu instid0(VALU_DEP_4) | instskip(SKIP_1) | instid1(VALU_DEP_2)
	v_add_f32_e32 v2, v5, v156
	v_fma_f32 v5, v13, v9, -v6
	v_dual_fmac_f32 v29, v24, v19 :: v_dual_add_f32 v2, v2, v28
	s_delay_alu instid0(VALU_DEP_2) | instskip(NEXT) | instid1(VALU_DEP_2)
	v_add_f32_e32 v1, v1, v5
	v_dual_mul_f32 v5, v24, v20 :: v_dual_add_f32 v2, v2, v155
	s_delay_alu instid0(VALU_DEP_2) | instskip(NEXT) | instid1(VALU_DEP_2)
	v_add_f32_e32 v1, v1, v4
	v_fma_f32 v4, v23, v19, -v5
	s_delay_alu instid0(VALU_DEP_2) | instskip(NEXT) | instid1(VALU_DEP_1)
	v_dual_add_f32 v2, v2, v157 :: v_dual_add_f32 v1, v1, v3
	v_dual_add_f32 v2, v2, v27 :: v_dual_add_f32 v1, v1, v4
	s_delay_alu instid0(VALU_DEP_1) | instskip(NEXT) | instid1(VALU_DEP_1)
	v_add_f32_e32 v2, v2, v29
	v_dual_sub_f32 v1, v30, v1 :: v_dual_sub_f32 v2, v31, v2
	scratch_store_b64 off, v[1:2], off offset:32
	v_cmpx_lt_u32_e32 3, v0
	s_cbranch_execz .LBB122_361
; %bb.360:
	scratch_load_b64 v[1:2], off, off offset:24
	v_mov_b32_e32 v3, 0
	s_delay_alu instid0(VALU_DEP_1)
	v_mov_b32_e32 v4, v3
	scratch_store_b64 off, v[3:4], off offset:24
	s_wait_loadcnt 0x0
	ds_store_b64 v153, v[1:2]
.LBB122_361:
	s_wait_alu 0xfffe
	s_or_b32 exec_lo, exec_lo, s0
	s_wait_storecnt_dscnt 0x0
	s_barrier_signal -1
	s_barrier_wait -1
	global_inv scope:SCOPE_SE
	s_clause 0x4
	scratch_load_b128 v[5:8], off, off offset:32
	scratch_load_b128 v[1:4], off, off offset:48
	;; [unrolled: 1-line block ×5, first 2 shown]
	v_mov_b32_e32 v29, 0
	ds_load_b128 v[21:24], v29 offset:512
	ds_load_b128 v[25:28], v29 offset:528
	;; [unrolled: 1-line block ×3, first 2 shown]
	scratch_load_b64 v[30:31], off, off offset:24
	s_mov_b32 s0, exec_lo
	s_wait_loadcnt_dscnt 0x502
	v_dual_mul_f32 v32, v21, v6 :: v_dual_mul_f32 v151, v23, v8
	v_mul_f32_e32 v6, v22, v6
	v_mul_f32_e32 v8, v24, v8
	s_wait_loadcnt_dscnt 0x300
	v_mul_f32_e32 v158, v156, v12
	v_dual_fmac_f32 v32, v22, v5 :: v_dual_fmac_f32 v151, v24, v7
	v_fma_f32 v21, v21, v5, -v6
	v_fma_f32 v22, v23, v7, -v8
	ds_load_b128 v[5:8], v29 offset:560
	v_dual_mul_f32 v23, v25, v2 :: v_dual_mul_f32 v24, v27, v4
	v_mul_f32_e32 v4, v28, v4
	v_mul_f32_e32 v152, v154, v10
	;; [unrolled: 1-line block ×5, first 2 shown]
	v_dual_fmac_f32 v23, v26, v1 :: v_dual_fmac_f32 v24, v28, v3
	v_fma_f32 v26, v27, v3, -v4
	v_fmac_f32_e32 v152, v155, v9
	v_fmac_f32_e32 v158, v157, v11
	v_fma_f32 v27, v154, v9, -v10
	v_fma_f32 v28, v156, v11, -v12
	ds_load_b128 v[9:12], v29 offset:576
	s_wait_loadcnt_dscnt 0x201
	v_mul_f32_e32 v155, v7, v16
	v_fma_f32 v25, v25, v1, -v2
	scratch_load_b128 v[1:4], off, off offset:112
	v_mul_f32_e32 v154, v5, v14
	v_mul_f32_e32 v14, v6, v14
	;; [unrolled: 1-line block ×3, first 2 shown]
	s_delay_alu instid0(VALU_DEP_3) | instskip(NEXT) | instid1(VALU_DEP_3)
	v_dual_fmac_f32 v155, v8, v15 :: v_dual_fmac_f32 v154, v6, v13
	v_fma_f32 v13, v5, v13, -v14
	s_delay_alu instid0(VALU_DEP_3)
	v_fma_f32 v14, v7, v15, -v16
	ds_load_b128 v[5:8], v29 offset:592
	s_wait_loadcnt_dscnt 0x201
	v_mul_f32_e32 v15, v9, v18
	v_mul_f32_e32 v16, v10, v18
	;; [unrolled: 1-line block ×3, first 2 shown]
	s_delay_alu instid0(VALU_DEP_3) | instskip(NEXT) | instid1(VALU_DEP_3)
	v_dual_mul_f32 v20, v12, v20 :: v_dual_fmac_f32 v15, v10, v17
	v_fma_f32 v16, v9, v17, -v16
	s_delay_alu instid0(VALU_DEP_3) | instskip(NEXT) | instid1(VALU_DEP_3)
	v_fmac_f32_e32 v18, v12, v19
	v_fma_f32 v17, v11, v19, -v20
	scratch_load_b128 v[9:12], off, off offset:128
	s_wait_loadcnt_dscnt 0x100
	v_mul_f32_e32 v19, v5, v2
	v_mul_f32_e32 v2, v6, v2
	;; [unrolled: 1-line block ×3, first 2 shown]
	s_delay_alu instid0(VALU_DEP_3) | instskip(NEXT) | instid1(VALU_DEP_3)
	v_dual_mul_f32 v4, v8, v4 :: v_dual_fmac_f32 v19, v6, v1
	v_fma_f32 v156, v5, v1, -v2
	s_delay_alu instid0(VALU_DEP_3) | instskip(NEXT) | instid1(VALU_DEP_3)
	v_fmac_f32_e32 v20, v8, v3
	v_fma_f32 v157, v7, v3, -v4
	ds_load_b128 v[1:4], v29 offset:608
	ds_load_b128 v[5:8], v29 offset:624
	s_wait_loadcnt_dscnt 0x1
	v_mul_f32_e32 v159, v1, v10
	v_mul_f32_e32 v10, v2, v10
	s_delay_alu instid0(VALU_DEP_2) | instskip(NEXT) | instid1(VALU_DEP_2)
	v_dual_mul_f32 v160, v3, v12 :: v_dual_fmac_f32 v159, v2, v9
	v_fma_f32 v161, v1, v9, -v10
	v_mul_f32_e32 v1, v4, v12
	s_delay_alu instid0(VALU_DEP_3) | instskip(NEXT) | instid1(VALU_DEP_2)
	v_fmac_f32_e32 v160, v4, v11
	v_fma_f32 v162, v3, v11, -v1
	s_clause 0x1
	scratch_load_b128 v[1:4], off, off offset:144
	scratch_load_b128 v[9:12], off, off offset:160
	s_wait_loadcnt_dscnt 0x100
	v_mul_f32_e32 v163, v5, v2
	v_dual_mul_f32 v2, v6, v2 :: v_dual_mul_f32 v165, v7, v4
	s_delay_alu instid0(VALU_DEP_2) | instskip(NEXT) | instid1(VALU_DEP_2)
	v_fmac_f32_e32 v163, v6, v1
	v_fma_f32 v164, v5, v1, -v2
	v_mul_f32_e32 v1, v8, v4
	s_delay_alu instid0(VALU_DEP_4) | instskip(NEXT) | instid1(VALU_DEP_2)
	v_fmac_f32_e32 v165, v8, v3
	v_fma_f32 v166, v7, v3, -v1
	ds_load_b128 v[1:4], v29 offset:640
	ds_load_b128 v[5:8], v29 offset:656
	s_wait_loadcnt_dscnt 0x1
	v_mul_f32_e32 v167, v1, v10
	v_mul_f32_e32 v169, v3, v12
	s_delay_alu instid0(VALU_DEP_2) | instskip(NEXT) | instid1(VALU_DEP_2)
	v_fmac_f32_e32 v167, v2, v9
	v_dual_mul_f32 v2, v2, v10 :: v_dual_fmac_f32 v169, v4, v11
	s_delay_alu instid0(VALU_DEP_1) | instskip(SKIP_1) | instid1(VALU_DEP_1)
	v_fma_f32 v168, v1, v9, -v2
	v_mul_f32_e32 v1, v4, v12
	v_fma_f32 v170, v3, v11, -v1
	s_clause 0x1
	scratch_load_b128 v[1:4], off, off offset:176
	scratch_load_b128 v[9:12], off, off offset:192
	s_wait_loadcnt_dscnt 0x100
	v_mul_f32_e32 v171, v5, v2
	v_dual_mul_f32 v2, v6, v2 :: v_dual_mul_f32 v173, v7, v4
	s_delay_alu instid0(VALU_DEP_2) | instskip(NEXT) | instid1(VALU_DEP_2)
	v_fmac_f32_e32 v171, v6, v1
	v_fma_f32 v172, v5, v1, -v2
	v_mul_f32_e32 v1, v8, v4
	s_delay_alu instid0(VALU_DEP_4) | instskip(NEXT) | instid1(VALU_DEP_2)
	v_fmac_f32_e32 v173, v8, v3
	v_fma_f32 v174, v7, v3, -v1
	ds_load_b128 v[1:4], v29 offset:672
	ds_load_b128 v[5:8], v29 offset:688
	s_wait_loadcnt_dscnt 0x1
	v_mul_f32_e32 v175, v1, v10
	v_mul_f32_e32 v177, v3, v12
	s_delay_alu instid0(VALU_DEP_2) | instskip(NEXT) | instid1(VALU_DEP_2)
	v_fmac_f32_e32 v175, v2, v9
	v_dual_mul_f32 v2, v2, v10 :: v_dual_fmac_f32 v177, v4, v11
	s_delay_alu instid0(VALU_DEP_1) | instskip(SKIP_1) | instid1(VALU_DEP_1)
	v_fma_f32 v176, v1, v9, -v2
	v_mul_f32_e32 v1, v4, v12
	;; [unrolled: 25-line block ×7, first 2 shown]
	v_fma_f32 v218, v3, v11, -v1
	s_clause 0x1
	scratch_load_b128 v[1:4], off, off offset:368
	scratch_load_b128 v[9:12], off, off offset:384
	s_wait_loadcnt_dscnt 0x100
	v_mul_f32_e32 v219, v5, v2
	v_mul_f32_e32 v2, v6, v2
	s_delay_alu instid0(VALU_DEP_2) | instskip(NEXT) | instid1(VALU_DEP_2)
	v_fmac_f32_e32 v219, v6, v1
	v_fma_f32 v220, v5, v1, -v2
	v_add_f32_e32 v2, 0, v32
	s_delay_alu instid0(VALU_DEP_1) | instskip(NEXT) | instid1(VALU_DEP_1)
	v_dual_mul_f32 v1, v8, v4 :: v_dual_add_f32 v2, v2, v151
	v_fma_f32 v222, v7, v3, -v1
	s_delay_alu instid0(VALU_DEP_2) | instskip(NEXT) | instid1(VALU_DEP_1)
	v_dual_add_f32 v1, 0, v21 :: v_dual_add_f32 v2, v2, v23
	v_dual_add_f32 v1, v1, v22 :: v_dual_add_f32 v2, v2, v24
	s_delay_alu instid0(VALU_DEP_1) | instskip(NEXT) | instid1(VALU_DEP_1)
	v_dual_add_f32 v1, v1, v25 :: v_dual_add_f32 v2, v2, v152
	v_add_f32_e32 v2, v2, v158
	s_delay_alu instid0(VALU_DEP_1) | instskip(NEXT) | instid1(VALU_DEP_1)
	v_add_f32_e32 v2, v2, v154
	v_add_f32_e32 v2, v2, v155
	s_delay_alu instid0(VALU_DEP_1) | instskip(NEXT) | instid1(VALU_DEP_1)
	v_add_f32_e32 v2, v2, v15
	v_add_f32_e32 v2, v2, v18
	s_delay_alu instid0(VALU_DEP_1) | instskip(NEXT) | instid1(VALU_DEP_1)
	v_add_f32_e32 v2, v2, v19
	v_add_f32_e32 v2, v2, v20
	s_delay_alu instid0(VALU_DEP_1) | instskip(NEXT) | instid1(VALU_DEP_1)
	v_add_f32_e32 v2, v2, v159
	v_add_f32_e32 v2, v2, v160
	s_delay_alu instid0(VALU_DEP_1) | instskip(NEXT) | instid1(VALU_DEP_1)
	v_add_f32_e32 v2, v2, v163
	v_add_f32_e32 v2, v2, v165
	s_delay_alu instid0(VALU_DEP_1) | instskip(NEXT) | instid1(VALU_DEP_1)
	v_add_f32_e32 v2, v2, v167
	v_dual_add_f32 v2, v2, v169 :: v_dual_add_f32 v1, v1, v26
	scratch_load_b64 v[25:26], off, off offset:464
	v_add_f32_e32 v2, v2, v171
	s_delay_alu instid0(VALU_DEP_1) | instskip(NEXT) | instid1(VALU_DEP_1)
	v_dual_add_f32 v1, v1, v27 :: v_dual_add_f32 v2, v2, v173
	v_dual_add_f32 v1, v1, v28 :: v_dual_add_f32 v2, v2, v175
	s_delay_alu instid0(VALU_DEP_1) | instskip(NEXT) | instid1(VALU_DEP_1)
	v_add_f32_e32 v1, v1, v13
	v_dual_add_f32 v2, v2, v177 :: v_dual_add_f32 v1, v1, v14
	s_delay_alu instid0(VALU_DEP_1) | instskip(NEXT) | instid1(VALU_DEP_1)
	v_add_f32_e32 v1, v1, v16
	v_add_f32_e32 v1, v1, v17
	s_delay_alu instid0(VALU_DEP_1) | instskip(NEXT) | instid1(VALU_DEP_1)
	v_add_f32_e32 v1, v1, v156
	v_add_f32_e32 v1, v1, v157
	s_delay_alu instid0(VALU_DEP_1) | instskip(NEXT) | instid1(VALU_DEP_1)
	v_add_f32_e32 v1, v1, v161
	v_add_f32_e32 v1, v1, v162
	s_delay_alu instid0(VALU_DEP_1) | instskip(NEXT) | instid1(VALU_DEP_1)
	v_add_f32_e32 v1, v1, v164
	v_add_f32_e32 v1, v1, v166
	s_delay_alu instid0(VALU_DEP_1) | instskip(NEXT) | instid1(VALU_DEP_1)
	v_add_f32_e32 v1, v1, v168
	v_add_f32_e32 v1, v1, v170
	s_delay_alu instid0(VALU_DEP_1) | instskip(NEXT) | instid1(VALU_DEP_1)
	v_add_f32_e32 v1, v1, v172
	v_add_f32_e32 v1, v1, v174
	s_delay_alu instid0(VALU_DEP_1) | instskip(NEXT) | instid1(VALU_DEP_1)
	v_add_f32_e32 v1, v1, v176
	v_add_f32_e32 v1, v1, v178
	s_delay_alu instid0(VALU_DEP_1) | instskip(NEXT) | instid1(VALU_DEP_1)
	v_add_f32_e32 v1, v1, v180
	v_add_f32_e32 v1, v1, v182
	s_delay_alu instid0(VALU_DEP_1) | instskip(NEXT) | instid1(VALU_DEP_1)
	v_add_f32_e32 v1, v1, v184
	v_add_f32_e32 v1, v1, v186
	s_delay_alu instid0(VALU_DEP_1) | instskip(NEXT) | instid1(VALU_DEP_1)
	v_add_f32_e32 v1, v1, v188
	v_add_f32_e32 v1, v1, v190
	s_delay_alu instid0(VALU_DEP_1) | instskip(NEXT) | instid1(VALU_DEP_1)
	v_add_f32_e32 v1, v1, v192
	v_add_f32_e32 v1, v1, v194
	s_delay_alu instid0(VALU_DEP_1) | instskip(SKIP_1) | instid1(VALU_DEP_2)
	v_add_f32_e32 v6, v1, v196
	v_add_f32_e32 v2, v2, v179
	;; [unrolled: 1-line block ×3, first 2 shown]
	s_delay_alu instid0(VALU_DEP_2) | instskip(NEXT) | instid1(VALU_DEP_2)
	v_add_f32_e32 v2, v2, v181
	v_add_f32_e32 v14, v14, v200
	s_delay_alu instid0(VALU_DEP_2) | instskip(NEXT) | instid1(VALU_DEP_2)
	v_add_f32_e32 v2, v2, v183
	v_add_f32_e32 v17, v14, v202
	s_delay_alu instid0(VALU_DEP_1) | instskip(NEXT) | instid1(VALU_DEP_1)
	v_dual_add_f32 v2, v2, v185 :: v_dual_add_f32 v17, v17, v204
	v_dual_add_f32 v2, v2, v187 :: v_dual_add_f32 v17, v17, v206
	s_delay_alu instid0(VALU_DEP_1) | instskip(NEXT) | instid1(VALU_DEP_1)
	v_dual_add_f32 v2, v2, v189 :: v_dual_add_f32 v17, v17, v208
	v_add_f32_e32 v22, v17, v210
	s_delay_alu instid0(VALU_DEP_2) | instskip(NEXT) | instid1(VALU_DEP_2)
	v_add_f32_e32 v2, v2, v191
	v_add_f32_e32 v22, v22, v212
	s_delay_alu instid0(VALU_DEP_2) | instskip(NEXT) | instid1(VALU_DEP_1)
	v_add_f32_e32 v5, v2, v193
	v_dual_add_f32 v22, v22, v214 :: v_dual_add_f32 v13, v5, v195
	s_delay_alu instid0(VALU_DEP_1) | instskip(NEXT) | instid1(VALU_DEP_1)
	v_dual_add_f32 v22, v22, v216 :: v_dual_add_f32 v13, v13, v197
	v_add_f32_e32 v13, v13, v199
	s_delay_alu instid0(VALU_DEP_1) | instskip(NEXT) | instid1(VALU_DEP_1)
	v_dual_mul_f32 v221, v7, v4 :: v_dual_add_f32 v18, v13, v201
	v_fmac_f32_e32 v221, v8, v3
	scratch_load_b128 v[1:4], off, off offset:400
	ds_load_b128 v[5:8], v29 offset:864
	ds_load_b128 v[13:16], v29 offset:880
	s_wait_loadcnt_dscnt 0x201
	v_mul_f32_e32 v32, v5, v10
	v_dual_mul_f32 v10, v6, v10 :: v_dual_mul_f32 v151, v7, v12
	v_mul_f32_e32 v12, v8, v12
	s_delay_alu instid0(VALU_DEP_3) | instskip(NEXT) | instid1(VALU_DEP_3)
	v_fmac_f32_e32 v32, v6, v9
	v_fma_f32 v152, v5, v9, -v10
	s_delay_alu instid0(VALU_DEP_4) | instskip(NEXT) | instid1(VALU_DEP_4)
	v_fmac_f32_e32 v151, v8, v11
	v_fma_f32 v154, v7, v11, -v12
	s_clause 0x1
	scratch_load_b128 v[5:8], off, off offset:416
	scratch_load_b128 v[9:12], off, off offset:432
	s_wait_loadcnt_dscnt 0x200
	v_dual_mul_f32 v156, v15, v4 :: v_dual_mul_f32 v155, v13, v2
	v_mul_f32_e32 v2, v14, v2
	v_mul_f32_e32 v4, v16, v4
	s_delay_alu instid0(VALU_DEP_3)
	v_fmac_f32_e32 v156, v16, v3
	v_add_f32_e32 v18, v18, v203
	v_fmac_f32_e32 v155, v14, v1
	v_add_f32_e32 v14, v22, v218
	v_fma_f32 v157, v13, v1, -v2
	v_fma_f32 v158, v15, v3, -v4
	v_add_f32_e32 v18, v18, v205
	ds_load_b128 v[1:4], v29 offset:896
	v_add_f32_e32 v27, v14, v220
	v_add_f32_e32 v21, v18, v207
	scratch_load_b128 v[17:20], off, off offset:448
	v_add_f32_e32 v159, v27, v222
	s_delay_alu instid0(VALU_DEP_1) | instskip(NEXT) | instid1(VALU_DEP_1)
	v_dual_add_f32 v21, v21, v209 :: v_dual_add_f32 v152, v159, v152
	v_dual_add_f32 v21, v21, v211 :: v_dual_add_f32 v152, v152, v154
	s_delay_alu instid0(VALU_DEP_1) | instskip(NEXT) | instid1(VALU_DEP_1)
	v_add_f32_e32 v21, v21, v213
	v_dual_add_f32 v152, v152, v157 :: v_dual_add_f32 v13, v21, v215
	s_delay_alu instid0(VALU_DEP_1)
	v_dual_add_f32 v152, v152, v158 :: v_dual_add_f32 v21, v13, v217
	ds_load_b128 v[13:16], v29 offset:912
	s_wait_loadcnt_dscnt 0x201
	v_mul_f32_e32 v159, v1, v6
	v_mul_f32_e32 v6, v2, v6
	v_add_f32_e32 v28, v21, v219
	ds_load_b128 v[21:24], v29 offset:928
	v_fmac_f32_e32 v159, v2, v5
	v_fma_f32 v1, v1, v5, -v6
	v_add_f32_e32 v160, v28, v221
	ds_load_b64 v[27:28], v29 offset:944
	v_add_f32_e32 v1, v152, v1
	v_add_f32_e32 v32, v160, v32
	s_delay_alu instid0(VALU_DEP_1) | instskip(SKIP_3) | instid1(VALU_DEP_3)
	v_dual_add_f32 v32, v32, v151 :: v_dual_mul_f32 v151, v3, v8
	v_mul_f32_e32 v8, v4, v8
	s_wait_loadcnt_dscnt 0x102
	v_dual_mul_f32 v154, v13, v10 :: v_dual_mul_f32 v5, v16, v12
	v_add_f32_e32 v32, v32, v155
	v_fmac_f32_e32 v151, v4, v7
	v_fma_f32 v2, v3, v7, -v8
	v_mul_f32_e32 v3, v14, v10
	v_mul_f32_e32 v155, v15, v12
	v_add_f32_e32 v32, v32, v156
	s_delay_alu instid0(VALU_DEP_4) | instskip(NEXT) | instid1(VALU_DEP_4)
	v_dual_fmac_f32 v154, v14, v9 :: v_dual_add_f32 v1, v1, v2
	v_fma_f32 v3, v13, v9, -v3
	s_delay_alu instid0(VALU_DEP_4) | instskip(NEXT) | instid1(VALU_DEP_4)
	v_fmac_f32_e32 v155, v16, v11
	v_add_f32_e32 v4, v32, v159
	v_fma_f32 v5, v15, v11, -v5
	s_wait_dscnt 0x0
	v_dual_mul_f32 v156, v27, v26 :: v_dual_add_f32 v1, v1, v3
	s_delay_alu instid0(VALU_DEP_3) | instskip(NEXT) | instid1(VALU_DEP_2)
	v_add_f32_e32 v2, v4, v151
	v_fmac_f32_e32 v156, v28, v25
	s_delay_alu instid0(VALU_DEP_3) | instskip(SKIP_1) | instid1(VALU_DEP_4)
	v_add_f32_e32 v1, v1, v5
	v_mul_f32_e32 v5, v28, v26
	v_add_f32_e32 v2, v2, v154
	s_wait_loadcnt 0x0
	s_delay_alu instid0(VALU_DEP_1) | instskip(SKIP_3) | instid1(VALU_DEP_4)
	v_dual_add_f32 v2, v2, v155 :: v_dual_mul_f32 v157, v21, v18
	v_mul_f32_e32 v4, v22, v18
	v_mul_f32_e32 v158, v23, v20
	;; [unrolled: 1-line block ×3, first 2 shown]
	v_fmac_f32_e32 v157, v22, v17
	s_delay_alu instid0(VALU_DEP_4) | instskip(NEXT) | instid1(VALU_DEP_4)
	v_fma_f32 v4, v21, v17, -v4
	v_fmac_f32_e32 v158, v24, v19
	s_delay_alu instid0(VALU_DEP_4) | instskip(NEXT) | instid1(VALU_DEP_3)
	v_fma_f32 v3, v23, v19, -v3
	v_dual_add_f32 v2, v2, v157 :: v_dual_add_f32 v1, v1, v4
	v_fma_f32 v4, v27, v25, -v5
	s_delay_alu instid0(VALU_DEP_2) | instskip(NEXT) | instid1(VALU_DEP_1)
	v_dual_add_f32 v2, v2, v158 :: v_dual_add_f32 v1, v1, v3
	v_add_f32_e32 v2, v2, v156
	s_delay_alu instid0(VALU_DEP_1) | instskip(NEXT) | instid1(VALU_DEP_1)
	v_dual_add_f32 v1, v1, v4 :: v_dual_sub_f32 v2, v31, v2
	v_sub_f32_e32 v1, v30, v1
	scratch_store_b64 off, v[1:2], off offset:24
	v_cmpx_lt_u32_e32 2, v0
	s_cbranch_execz .LBB122_363
; %bb.362:
	scratch_load_b64 v[1:2], off, off offset:16
	v_mov_b32_e32 v30, v29
	scratch_store_b64 off, v[29:30], off offset:16
	s_wait_loadcnt 0x0
	ds_store_b64 v153, v[1:2]
.LBB122_363:
	s_wait_alu 0xfffe
	s_or_b32 exec_lo, exec_lo, s0
	s_wait_storecnt_dscnt 0x0
	s_barrier_signal -1
	s_barrier_wait -1
	global_inv scope:SCOPE_SE
	s_clause 0x4
	scratch_load_b128 v[5:8], off, off offset:24
	scratch_load_b128 v[1:4], off, off offset:40
	;; [unrolled: 1-line block ×5, first 2 shown]
	ds_load_2addr_b64 v[21:24], v29 offset0:63 offset1:64
	ds_load_2addr_b64 v[25:28], v29 offset0:65 offset1:66
	;; [unrolled: 1-line block ×3, first 2 shown]
	scratch_load_b64 v[30:31], off, off offset:16
	s_mov_b32 s0, exec_lo
	s_wait_loadcnt_dscnt 0x502
	v_dual_mul_f32 v32, v21, v6 :: v_dual_mul_f32 v151, v23, v8
	v_mul_f32_e32 v6, v22, v6
	v_mul_f32_e32 v8, v24, v8
	s_wait_loadcnt_dscnt 0x300
	v_mul_f32_e32 v152, v154, v10
	v_dual_fmac_f32 v32, v22, v5 :: v_dual_fmac_f32 v151, v24, v7
	v_fma_f32 v21, v21, v5, -v6
	v_fma_f32 v22, v23, v7, -v8
	ds_load_2addr_b64 v[5:8], v29 offset0:69 offset1:70
	v_dual_mul_f32 v23, v25, v2 :: v_dual_mul_f32 v24, v27, v4
	v_mul_f32_e32 v4, v28, v4
	v_mul_f32_e32 v158, v156, v12
	;; [unrolled: 1-line block ×5, first 2 shown]
	v_dual_fmac_f32 v23, v26, v1 :: v_dual_fmac_f32 v24, v28, v3
	v_fma_f32 v26, v27, v3, -v4
	v_fmac_f32_e32 v152, v155, v9
	v_fmac_f32_e32 v158, v157, v11
	v_fma_f32 v27, v154, v9, -v10
	v_fma_f32 v28, v156, v11, -v12
	ds_load_2addr_b64 v[9:12], v29 offset0:71 offset1:72
	s_wait_loadcnt_dscnt 0x201
	v_dual_mul_f32 v155, v7, v16 :: v_dual_mul_f32 v154, v5, v14
	v_mul_f32_e32 v14, v6, v14
	v_mul_f32_e32 v16, v8, v16
	s_delay_alu instid0(VALU_DEP_3)
	v_fmac_f32_e32 v155, v8, v15
	v_fma_f32 v25, v25, v1, -v2
	scratch_load_b128 v[1:4], off, off offset:104
	v_fmac_f32_e32 v154, v6, v13
	v_fma_f32 v13, v5, v13, -v14
	v_fma_f32 v14, v7, v15, -v16
	ds_load_2addr_b64 v[5:8], v29 offset0:73 offset1:74
	s_wait_loadcnt_dscnt 0x201
	v_mul_f32_e32 v15, v9, v18
	v_mul_f32_e32 v16, v10, v18
	;; [unrolled: 1-line block ×3, first 2 shown]
	s_delay_alu instid0(VALU_DEP_3) | instskip(NEXT) | instid1(VALU_DEP_3)
	v_dual_mul_f32 v20, v12, v20 :: v_dual_fmac_f32 v15, v10, v17
	v_fma_f32 v16, v9, v17, -v16
	s_delay_alu instid0(VALU_DEP_3) | instskip(NEXT) | instid1(VALU_DEP_3)
	v_fmac_f32_e32 v18, v12, v19
	v_fma_f32 v17, v11, v19, -v20
	scratch_load_b128 v[9:12], off, off offset:120
	s_wait_loadcnt_dscnt 0x100
	v_mul_f32_e32 v19, v5, v2
	v_mul_f32_e32 v2, v6, v2
	;; [unrolled: 1-line block ×3, first 2 shown]
	s_delay_alu instid0(VALU_DEP_3) | instskip(NEXT) | instid1(VALU_DEP_3)
	v_dual_mul_f32 v4, v8, v4 :: v_dual_fmac_f32 v19, v6, v1
	v_fma_f32 v156, v5, v1, -v2
	s_delay_alu instid0(VALU_DEP_3) | instskip(NEXT) | instid1(VALU_DEP_3)
	v_fmac_f32_e32 v20, v8, v3
	v_fma_f32 v157, v7, v3, -v4
	ds_load_2addr_b64 v[1:4], v29 offset0:75 offset1:76
	ds_load_2addr_b64 v[5:8], v29 offset0:77 offset1:78
	s_wait_loadcnt_dscnt 0x1
	v_mul_f32_e32 v159, v1, v10
	v_mul_f32_e32 v10, v2, v10
	s_delay_alu instid0(VALU_DEP_2) | instskip(NEXT) | instid1(VALU_DEP_2)
	v_dual_mul_f32 v160, v3, v12 :: v_dual_fmac_f32 v159, v2, v9
	v_fma_f32 v161, v1, v9, -v10
	v_mul_f32_e32 v1, v4, v12
	s_delay_alu instid0(VALU_DEP_3) | instskip(NEXT) | instid1(VALU_DEP_2)
	v_fmac_f32_e32 v160, v4, v11
	v_fma_f32 v162, v3, v11, -v1
	s_clause 0x1
	scratch_load_b128 v[1:4], off, off offset:136
	scratch_load_b128 v[9:12], off, off offset:152
	s_wait_loadcnt_dscnt 0x100
	v_mul_f32_e32 v163, v5, v2
	v_dual_mul_f32 v2, v6, v2 :: v_dual_mul_f32 v165, v7, v4
	s_delay_alu instid0(VALU_DEP_2) | instskip(NEXT) | instid1(VALU_DEP_2)
	v_fmac_f32_e32 v163, v6, v1
	v_fma_f32 v164, v5, v1, -v2
	v_mul_f32_e32 v1, v8, v4
	s_delay_alu instid0(VALU_DEP_4) | instskip(NEXT) | instid1(VALU_DEP_2)
	v_fmac_f32_e32 v165, v8, v3
	v_fma_f32 v166, v7, v3, -v1
	ds_load_2addr_b64 v[1:4], v29 offset0:79 offset1:80
	ds_load_2addr_b64 v[5:8], v29 offset0:81 offset1:82
	s_wait_loadcnt_dscnt 0x1
	v_mul_f32_e32 v167, v1, v10
	v_mul_f32_e32 v169, v3, v12
	s_delay_alu instid0(VALU_DEP_2) | instskip(NEXT) | instid1(VALU_DEP_2)
	v_fmac_f32_e32 v167, v2, v9
	v_dual_mul_f32 v2, v2, v10 :: v_dual_fmac_f32 v169, v4, v11
	s_delay_alu instid0(VALU_DEP_1) | instskip(SKIP_1) | instid1(VALU_DEP_1)
	v_fma_f32 v168, v1, v9, -v2
	v_mul_f32_e32 v1, v4, v12
	v_fma_f32 v170, v3, v11, -v1
	s_clause 0x1
	scratch_load_b128 v[1:4], off, off offset:168
	scratch_load_b128 v[9:12], off, off offset:184
	s_wait_loadcnt_dscnt 0x100
	v_mul_f32_e32 v171, v5, v2
	v_dual_mul_f32 v2, v6, v2 :: v_dual_mul_f32 v173, v7, v4
	s_delay_alu instid0(VALU_DEP_2) | instskip(NEXT) | instid1(VALU_DEP_2)
	v_fmac_f32_e32 v171, v6, v1
	v_fma_f32 v172, v5, v1, -v2
	v_mul_f32_e32 v1, v8, v4
	s_delay_alu instid0(VALU_DEP_4) | instskip(NEXT) | instid1(VALU_DEP_2)
	v_fmac_f32_e32 v173, v8, v3
	v_fma_f32 v174, v7, v3, -v1
	ds_load_2addr_b64 v[1:4], v29 offset0:83 offset1:84
	ds_load_2addr_b64 v[5:8], v29 offset0:85 offset1:86
	s_wait_loadcnt_dscnt 0x1
	v_mul_f32_e32 v175, v1, v10
	v_mul_f32_e32 v177, v3, v12
	s_delay_alu instid0(VALU_DEP_2) | instskip(NEXT) | instid1(VALU_DEP_2)
	v_fmac_f32_e32 v175, v2, v9
	v_dual_mul_f32 v2, v2, v10 :: v_dual_fmac_f32 v177, v4, v11
	s_delay_alu instid0(VALU_DEP_1) | instskip(SKIP_1) | instid1(VALU_DEP_1)
	v_fma_f32 v176, v1, v9, -v2
	v_mul_f32_e32 v1, v4, v12
	;; [unrolled: 25-line block ×8, first 2 shown]
	v_fma_f32 v226, v3, v11, -v1
	s_clause 0x1
	scratch_load_b128 v[1:4], off, off offset:392
	scratch_load_b128 v[9:12], off, off offset:408
	s_wait_loadcnt_dscnt 0x100
	v_mul_f32_e32 v227, v5, v2
	v_dual_mul_f32 v2, v6, v2 :: v_dual_mul_f32 v229, v7, v4
	s_delay_alu instid0(VALU_DEP_2) | instskip(NEXT) | instid1(VALU_DEP_2)
	v_fmac_f32_e32 v227, v6, v1
	v_fma_f32 v228, v5, v1, -v2
	v_mul_f32_e32 v1, v8, v4
	v_add_f32_e32 v2, 0, v32
	s_delay_alu instid0(VALU_DEP_2) | instskip(NEXT) | instid1(VALU_DEP_2)
	v_fma_f32 v230, v7, v3, -v1
	v_dual_add_f32 v1, 0, v21 :: v_dual_add_f32 v2, v2, v151
	s_delay_alu instid0(VALU_DEP_1) | instskip(NEXT) | instid1(VALU_DEP_1)
	v_dual_add_f32 v1, v1, v22 :: v_dual_add_f32 v2, v2, v23
	v_dual_add_f32 v1, v1, v25 :: v_dual_add_f32 v2, v2, v24
	s_delay_alu instid0(VALU_DEP_1) | instskip(NEXT) | instid1(VALU_DEP_1)
	v_dual_add_f32 v1, v1, v26 :: v_dual_add_f32 v2, v2, v152
	;; [unrolled: 3-line block ×5, first 2 shown]
	v_add_f32_e32 v1, v1, v156
	s_delay_alu instid0(VALU_DEP_1) | instskip(NEXT) | instid1(VALU_DEP_1)
	v_dual_add_f32 v2, v2, v20 :: v_dual_add_f32 v1, v1, v157
	v_dual_add_f32 v2, v2, v159 :: v_dual_add_f32 v1, v1, v161
	s_delay_alu instid0(VALU_DEP_1) | instskip(NEXT) | instid1(VALU_DEP_1)
	v_dual_add_f32 v2, v2, v160 :: v_dual_add_f32 v1, v1, v162
	v_dual_add_f32 v2, v2, v163 :: v_dual_add_f32 v1, v1, v164
	;; [unrolled: 3-line block ×5, first 2 shown]
	s_delay_alu instid0(VALU_DEP_1) | instskip(NEXT) | instid1(VALU_DEP_1)
	v_dual_add_f32 v2, v2, v177 :: v_dual_add_f32 v1, v1, v178
	v_add_f32_e32 v1, v1, v180
	s_delay_alu instid0(VALU_DEP_1) | instskip(NEXT) | instid1(VALU_DEP_1)
	v_add_f32_e32 v1, v1, v182
	v_add_f32_e32 v1, v1, v184
	s_delay_alu instid0(VALU_DEP_1) | instskip(NEXT) | instid1(VALU_DEP_1)
	v_add_f32_e32 v1, v1, v186
	v_add_f32_e32 v1, v1, v188
	s_delay_alu instid0(VALU_DEP_1) | instskip(NEXT) | instid1(VALU_DEP_1)
	v_add_f32_e32 v1, v1, v190
	v_add_f32_e32 v1, v1, v192
	s_delay_alu instid0(VALU_DEP_1) | instskip(NEXT) | instid1(VALU_DEP_1)
	v_add_f32_e32 v1, v1, v194
	v_add_f32_e32 v1, v1, v196
	s_delay_alu instid0(VALU_DEP_1) | instskip(NEXT) | instid1(VALU_DEP_1)
	v_add_f32_e32 v1, v1, v198
	v_add_f32_e32 v1, v1, v200
	s_delay_alu instid0(VALU_DEP_1) | instskip(SKIP_1) | instid1(VALU_DEP_2)
	v_add_f32_e32 v6, v1, v202
	v_add_f32_e32 v2, v2, v179
	v_add_f32_e32 v6, v6, v204
	s_delay_alu instid0(VALU_DEP_2) | instskip(NEXT) | instid1(VALU_DEP_2)
	v_add_f32_e32 v2, v2, v181
	v_add_f32_e32 v13, v6, v206
	s_delay_alu instid0(VALU_DEP_1) | instskip(NEXT) | instid1(VALU_DEP_1)
	v_dual_add_f32 v2, v2, v183 :: v_dual_add_f32 v13, v13, v208
	v_dual_add_f32 v2, v2, v185 :: v_dual_add_f32 v13, v13, v210
	s_delay_alu instid0(VALU_DEP_1) | instskip(NEXT) | instid1(VALU_DEP_1)
	v_dual_add_f32 v2, v2, v187 :: v_dual_add_f32 v13, v13, v212
	v_add_f32_e32 v2, v2, v189
	s_delay_alu instid0(VALU_DEP_2) | instskip(NEXT) | instid1(VALU_DEP_2)
	v_add_f32_e32 v18, v13, v214
	v_add_f32_e32 v2, v2, v191
	s_delay_alu instid0(VALU_DEP_2) | instskip(NEXT) | instid1(VALU_DEP_2)
	v_dual_fmac_f32 v229, v8, v3 :: v_dual_add_f32 v18, v18, v216
	v_add_f32_e32 v2, v2, v193
	s_delay_alu instid0(VALU_DEP_2) | instskip(NEXT) | instid1(VALU_DEP_2)
	v_add_f32_e32 v18, v18, v218
	v_add_f32_e32 v2, v2, v195
	s_delay_alu instid0(VALU_DEP_2) | instskip(NEXT) | instid1(VALU_DEP_2)
	v_add_f32_e32 v21, v18, v220
	v_add_f32_e32 v2, v2, v197
	s_delay_alu instid0(VALU_DEP_1) | instskip(SKIP_2) | instid1(VALU_DEP_1)
	v_dual_add_f32 v32, v21, v222 :: v_dual_add_f32 v5, v2, v199
	ds_load_2addr_b64 v[1:4], v29 offset0:111 offset1:112
	v_add_f32_e32 v5, v5, v201
	v_add_f32_e32 v5, v5, v203
	s_delay_alu instid0(VALU_DEP_1)
	v_add_f32_e32 v14, v5, v205
	ds_load_2addr_b64 v[5:8], v29 offset0:113 offset1:114
	s_wait_loadcnt_dscnt 0x1
	v_dual_add_f32 v14, v14, v207 :: v_dual_mul_f32 v25, v1, v10
	v_mul_f32_e32 v26, v3, v12
	v_mul_f32_e32 v10, v2, v10
	;; [unrolled: 1-line block ×3, first 2 shown]
	s_delay_alu instid0(VALU_DEP_4) | instskip(NEXT) | instid1(VALU_DEP_4)
	v_add_f32_e32 v14, v14, v209
	v_dual_fmac_f32 v25, v2, v9 :: v_dual_fmac_f32 v26, v4, v11
	s_delay_alu instid0(VALU_DEP_4) | instskip(NEXT) | instid1(VALU_DEP_4)
	v_fma_f32 v27, v1, v9, -v10
	v_fma_f32 v28, v3, v11, -v12
	s_clause 0x1
	scratch_load_b128 v[1:4], off, off offset:424
	scratch_load_b128 v[9:12], off, off offset:440
	v_add_f32_e32 v17, v14, v211
	scratch_load_b128 v[13:16], off, off offset:456
	s_wait_loadcnt_dscnt 0x200
	v_dual_add_f32 v17, v17, v213 :: v_dual_mul_f32 v152, v7, v4
	s_delay_alu instid0(VALU_DEP_1) | instskip(NEXT) | instid1(VALU_DEP_1)
	v_dual_add_f32 v17, v17, v215 :: v_dual_mul_f32 v4, v8, v4
	v_dual_fmac_f32 v152, v8, v3 :: v_dual_add_f32 v17, v17, v217
	s_delay_alu instid0(VALU_DEP_2) | instskip(NEXT) | instid1(VALU_DEP_2)
	v_fma_f32 v3, v7, v3, -v4
	v_add_f32_e32 v22, v17, v219
	ds_load_2addr_b64 v[17:20], v29 offset0:115 offset1:116
	v_add_f32_e32 v151, v22, v221
	ds_load_2addr_b64 v[21:24], v29 offset0:117 offset1:118
	v_add_f32_e32 v29, v32, v224
	s_delay_alu instid0(VALU_DEP_1) | instskip(NEXT) | instid1(VALU_DEP_1)
	v_add_f32_e32 v29, v29, v226
	v_add_f32_e32 v29, v29, v228
	s_wait_loadcnt_dscnt 0x101
	v_mul_f32_e32 v154, v17, v10
	s_delay_alu instid0(VALU_DEP_2)
	v_add_f32_e32 v29, v29, v230
	v_mul_f32_e32 v155, v19, v12
	v_mul_f32_e32 v4, v20, v12
	s_wait_loadcnt_dscnt 0x0
	v_mul_f32_e32 v156, v21, v14
	v_dual_add_f32 v32, v151, v223 :: v_dual_mul_f32 v151, v5, v2
	v_dual_mul_f32 v2, v6, v2 :: v_dual_add_f32 v27, v29, v27
	v_fmac_f32_e32 v154, v18, v9
	s_delay_alu instid0(VALU_DEP_3) | instskip(NEXT) | instid1(VALU_DEP_4)
	v_add_f32_e32 v32, v32, v225
	v_fmac_f32_e32 v151, v6, v1
	s_delay_alu instid0(VALU_DEP_4) | instskip(SKIP_1) | instid1(VALU_DEP_4)
	v_fma_f32 v2, v5, v1, -v2
	v_dual_add_f32 v1, v27, v28 :: v_dual_mul_f32 v6, v18, v10
	v_add_f32_e32 v32, v32, v227
	v_fmac_f32_e32 v155, v20, v11
	v_fma_f32 v4, v19, v11, -v4
	s_delay_alu instid0(VALU_DEP_4) | instskip(NEXT) | instid1(VALU_DEP_4)
	v_add_f32_e32 v1, v1, v2
	v_dual_mul_f32 v29, v23, v16 :: v_dual_add_f32 v32, v32, v229
	s_delay_alu instid0(VALU_DEP_2) | instskip(SKIP_1) | instid1(VALU_DEP_3)
	v_dual_fmac_f32 v156, v22, v13 :: v_dual_add_f32 v1, v1, v3
	v_mul_f32_e32 v3, v22, v14
	v_add_f32_e32 v25, v32, v25
	s_delay_alu instid0(VALU_DEP_4) | instskip(NEXT) | instid1(VALU_DEP_3)
	v_fmac_f32_e32 v29, v24, v15
	v_fma_f32 v3, v21, v13, -v3
	s_delay_alu instid0(VALU_DEP_3) | instskip(NEXT) | instid1(VALU_DEP_1)
	v_add_f32_e32 v5, v25, v26
	v_add_f32_e32 v2, v5, v151
	v_fma_f32 v5, v17, v9, -v6
	s_delay_alu instid0(VALU_DEP_1) | instskip(NEXT) | instid1(VALU_DEP_1)
	v_dual_add_f32 v2, v2, v152 :: v_dual_add_f32 v1, v1, v5
	v_dual_mul_f32 v5, v24, v16 :: v_dual_add_f32 v2, v2, v154
	s_delay_alu instid0(VALU_DEP_2) | instskip(NEXT) | instid1(VALU_DEP_2)
	v_add_f32_e32 v1, v1, v4
	v_fma_f32 v4, v23, v15, -v5
	s_delay_alu instid0(VALU_DEP_3) | instskip(NEXT) | instid1(VALU_DEP_1)
	v_add_f32_e32 v2, v2, v155
	v_dual_add_f32 v1, v1, v3 :: v_dual_add_f32 v2, v2, v156
	s_delay_alu instid0(VALU_DEP_1) | instskip(NEXT) | instid1(VALU_DEP_1)
	v_dual_add_f32 v1, v1, v4 :: v_dual_add_f32 v2, v2, v29
	v_dual_sub_f32 v1, v30, v1 :: v_dual_sub_f32 v2, v31, v2
	scratch_store_b64 off, v[1:2], off offset:16
	v_cmpx_lt_u32_e32 1, v0
	s_cbranch_execz .LBB122_365
; %bb.364:
	scratch_load_b64 v[1:2], off, off offset:8
	v_mov_b32_e32 v3, 0
	s_delay_alu instid0(VALU_DEP_1)
	v_mov_b32_e32 v4, v3
	scratch_store_b64 off, v[3:4], off offset:8
	s_wait_loadcnt 0x0
	ds_store_b64 v153, v[1:2]
.LBB122_365:
	s_wait_alu 0xfffe
	s_or_b32 exec_lo, exec_lo, s0
	s_wait_storecnt_dscnt 0x0
	s_barrier_signal -1
	s_barrier_wait -1
	global_inv scope:SCOPE_SE
	s_clause 0x4
	scratch_load_b128 v[5:8], off, off offset:16
	scratch_load_b128 v[1:4], off, off offset:32
	;; [unrolled: 1-line block ×5, first 2 shown]
	v_mov_b32_e32 v151, 0
	ds_load_b128 v[21:24], v151 offset:496
	ds_load_b128 v[25:28], v151 offset:512
	;; [unrolled: 1-line block ×3, first 2 shown]
	scratch_load_b64 v[154:155], off, off offset:8
	s_mov_b32 s0, exec_lo
	s_wait_loadcnt_dscnt 0x502
	v_mul_f32_e32 v152, v21, v6
	v_mul_f32_e32 v156, v23, v8
	;; [unrolled: 1-line block ×3, first 2 shown]
	s_wait_loadcnt_dscnt 0x300
	v_dual_mul_f32 v8, v24, v8 :: v_dual_mul_f32 v157, v29, v10
	v_fmac_f32_e32 v152, v22, v5
	v_mul_f32_e32 v158, v31, v12
	v_fma_f32 v21, v21, v5, -v6
	s_delay_alu instid0(VALU_DEP_4)
	v_fma_f32 v22, v23, v7, -v8
	v_dual_mul_f32 v23, v25, v2 :: v_dual_fmac_f32 v156, v24, v7
	ds_load_b128 v[5:8], v151 offset:544
	v_dual_mul_f32 v24, v27, v4 :: v_dual_fmac_f32 v157, v30, v9
	v_mul_f32_e32 v2, v26, v2
	v_mul_f32_e32 v4, v28, v4
	;; [unrolled: 1-line block ×3, first 2 shown]
	s_delay_alu instid0(VALU_DEP_4) | instskip(NEXT) | instid1(VALU_DEP_4)
	v_dual_fmac_f32 v23, v26, v1 :: v_dual_fmac_f32 v24, v28, v3
	v_fma_f32 v25, v25, v1, -v2
	s_delay_alu instid0(VALU_DEP_4) | instskip(SKIP_4) | instid1(VALU_DEP_3)
	v_fma_f32 v26, v27, v3, -v4
	scratch_load_b128 v[1:4], off, off offset:96
	v_mul_f32_e32 v12, v32, v12
	v_fmac_f32_e32 v158, v32, v11
	v_fma_f32 v27, v29, v9, -v10
	v_fma_f32 v28, v31, v11, -v12
	ds_load_b128 v[9:12], v151 offset:560
	s_wait_loadcnt_dscnt 0x301
	v_dual_mul_f32 v29, v5, v14 :: v_dual_mul_f32 v30, v7, v16
	v_mul_f32_e32 v14, v6, v14
	s_delay_alu instid0(VALU_DEP_2) | instskip(NEXT) | instid1(VALU_DEP_3)
	v_dual_mul_f32 v16, v8, v16 :: v_dual_fmac_f32 v29, v6, v13
	v_fmac_f32_e32 v30, v8, v15
	s_delay_alu instid0(VALU_DEP_3) | instskip(NEXT) | instid1(VALU_DEP_3)
	v_fma_f32 v13, v5, v13, -v14
	v_fma_f32 v14, v7, v15, -v16
	ds_load_b128 v[5:8], v151 offset:576
	s_wait_loadcnt_dscnt 0x201
	v_dual_mul_f32 v15, v9, v18 :: v_dual_mul_f32 v16, v11, v20
	v_mul_f32_e32 v18, v10, v18
	s_delay_alu instid0(VALU_DEP_2) | instskip(NEXT) | instid1(VALU_DEP_3)
	v_dual_mul_f32 v20, v12, v20 :: v_dual_fmac_f32 v15, v10, v17
	v_fmac_f32_e32 v16, v12, v19
	s_delay_alu instid0(VALU_DEP_3) | instskip(NEXT) | instid1(VALU_DEP_3)
	v_fma_f32 v17, v9, v17, -v18
	v_fma_f32 v18, v11, v19, -v20
	scratch_load_b128 v[9:12], off, off offset:112
	s_wait_loadcnt_dscnt 0x100
	v_mul_f32_e32 v19, v5, v2
	v_mul_f32_e32 v2, v6, v2
	;; [unrolled: 1-line block ×3, first 2 shown]
	s_delay_alu instid0(VALU_DEP_3) | instskip(NEXT) | instid1(VALU_DEP_3)
	v_dual_mul_f32 v4, v8, v4 :: v_dual_fmac_f32 v19, v6, v1
	v_fma_f32 v31, v5, v1, -v2
	s_delay_alu instid0(VALU_DEP_3) | instskip(NEXT) | instid1(VALU_DEP_3)
	v_fmac_f32_e32 v20, v8, v3
	v_fma_f32 v32, v7, v3, -v4
	ds_load_b128 v[1:4], v151 offset:592
	ds_load_b128 v[5:8], v151 offset:608
	s_wait_loadcnt_dscnt 0x1
	v_mul_f32_e32 v159, v1, v10
	v_mul_f32_e32 v10, v2, v10
	s_delay_alu instid0(VALU_DEP_2) | instskip(NEXT) | instid1(VALU_DEP_2)
	v_dual_mul_f32 v160, v3, v12 :: v_dual_fmac_f32 v159, v2, v9
	v_fma_f32 v161, v1, v9, -v10
	v_mul_f32_e32 v1, v4, v12
	s_delay_alu instid0(VALU_DEP_3) | instskip(NEXT) | instid1(VALU_DEP_2)
	v_fmac_f32_e32 v160, v4, v11
	v_fma_f32 v162, v3, v11, -v1
	s_clause 0x1
	scratch_load_b128 v[1:4], off, off offset:128
	scratch_load_b128 v[9:12], off, off offset:144
	s_wait_loadcnt_dscnt 0x100
	v_mul_f32_e32 v163, v5, v2
	v_dual_mul_f32 v2, v6, v2 :: v_dual_mul_f32 v165, v7, v4
	s_delay_alu instid0(VALU_DEP_2) | instskip(NEXT) | instid1(VALU_DEP_2)
	v_fmac_f32_e32 v163, v6, v1
	v_fma_f32 v164, v5, v1, -v2
	v_mul_f32_e32 v1, v8, v4
	s_delay_alu instid0(VALU_DEP_4) | instskip(NEXT) | instid1(VALU_DEP_2)
	v_fmac_f32_e32 v165, v8, v3
	v_fma_f32 v166, v7, v3, -v1
	ds_load_b128 v[1:4], v151 offset:624
	ds_load_b128 v[5:8], v151 offset:640
	s_wait_loadcnt_dscnt 0x1
	v_mul_f32_e32 v167, v1, v10
	v_mul_f32_e32 v169, v3, v12
	s_delay_alu instid0(VALU_DEP_2) | instskip(NEXT) | instid1(VALU_DEP_2)
	v_fmac_f32_e32 v167, v2, v9
	v_dual_mul_f32 v2, v2, v10 :: v_dual_fmac_f32 v169, v4, v11
	s_delay_alu instid0(VALU_DEP_1) | instskip(SKIP_1) | instid1(VALU_DEP_1)
	v_fma_f32 v168, v1, v9, -v2
	v_mul_f32_e32 v1, v4, v12
	v_fma_f32 v170, v3, v11, -v1
	s_clause 0x1
	scratch_load_b128 v[1:4], off, off offset:160
	scratch_load_b128 v[9:12], off, off offset:176
	s_wait_loadcnt_dscnt 0x100
	v_mul_f32_e32 v171, v5, v2
	v_dual_mul_f32 v2, v6, v2 :: v_dual_mul_f32 v173, v7, v4
	s_delay_alu instid0(VALU_DEP_2) | instskip(NEXT) | instid1(VALU_DEP_2)
	v_fmac_f32_e32 v171, v6, v1
	v_fma_f32 v172, v5, v1, -v2
	v_mul_f32_e32 v1, v8, v4
	s_delay_alu instid0(VALU_DEP_4) | instskip(NEXT) | instid1(VALU_DEP_2)
	v_fmac_f32_e32 v173, v8, v3
	v_fma_f32 v174, v7, v3, -v1
	ds_load_b128 v[1:4], v151 offset:656
	ds_load_b128 v[5:8], v151 offset:672
	s_wait_loadcnt_dscnt 0x1
	v_mul_f32_e32 v175, v1, v10
	v_mul_f32_e32 v177, v3, v12
	s_delay_alu instid0(VALU_DEP_2) | instskip(NEXT) | instid1(VALU_DEP_2)
	v_fmac_f32_e32 v175, v2, v9
	v_dual_mul_f32 v2, v2, v10 :: v_dual_fmac_f32 v177, v4, v11
	s_delay_alu instid0(VALU_DEP_1) | instskip(SKIP_1) | instid1(VALU_DEP_1)
	v_fma_f32 v176, v1, v9, -v2
	v_mul_f32_e32 v1, v4, v12
	v_fma_f32 v178, v3, v11, -v1
	s_clause 0x1
	scratch_load_b128 v[1:4], off, off offset:192
	scratch_load_b128 v[9:12], off, off offset:208
	s_wait_loadcnt_dscnt 0x100
	v_mul_f32_e32 v179, v5, v2
	v_dual_mul_f32 v2, v6, v2 :: v_dual_mul_f32 v181, v7, v4
	s_delay_alu instid0(VALU_DEP_2) | instskip(NEXT) | instid1(VALU_DEP_2)
	v_fmac_f32_e32 v179, v6, v1
	v_fma_f32 v180, v5, v1, -v2
	v_mul_f32_e32 v1, v8, v4
	s_delay_alu instid0(VALU_DEP_4) | instskip(NEXT) | instid1(VALU_DEP_2)
	v_fmac_f32_e32 v181, v8, v3
	v_fma_f32 v182, v7, v3, -v1
	ds_load_b128 v[1:4], v151 offset:688
	ds_load_b128 v[5:8], v151 offset:704
	s_wait_loadcnt_dscnt 0x1
	v_mul_f32_e32 v183, v1, v10
	v_mul_f32_e32 v185, v3, v12
	s_delay_alu instid0(VALU_DEP_2) | instskip(NEXT) | instid1(VALU_DEP_2)
	v_fmac_f32_e32 v183, v2, v9
	v_dual_mul_f32 v2, v2, v10 :: v_dual_fmac_f32 v185, v4, v11
	s_delay_alu instid0(VALU_DEP_1) | instskip(SKIP_1) | instid1(VALU_DEP_1)
	v_fma_f32 v184, v1, v9, -v2
	v_mul_f32_e32 v1, v4, v12
	v_fma_f32 v186, v3, v11, -v1
	s_clause 0x1
	scratch_load_b128 v[1:4], off, off offset:224
	scratch_load_b128 v[9:12], off, off offset:240
	s_wait_loadcnt_dscnt 0x100
	v_mul_f32_e32 v187, v5, v2
	v_dual_mul_f32 v2, v6, v2 :: v_dual_mul_f32 v189, v7, v4
	s_delay_alu instid0(VALU_DEP_2) | instskip(NEXT) | instid1(VALU_DEP_2)
	v_fmac_f32_e32 v187, v6, v1
	v_fma_f32 v188, v5, v1, -v2
	v_mul_f32_e32 v1, v8, v4
	s_delay_alu instid0(VALU_DEP_4) | instskip(NEXT) | instid1(VALU_DEP_2)
	v_fmac_f32_e32 v189, v8, v3
	v_fma_f32 v190, v7, v3, -v1
	ds_load_b128 v[1:4], v151 offset:720
	ds_load_b128 v[5:8], v151 offset:736
	s_wait_loadcnt_dscnt 0x1
	v_mul_f32_e32 v191, v1, v10
	v_mul_f32_e32 v193, v3, v12
	s_delay_alu instid0(VALU_DEP_2) | instskip(NEXT) | instid1(VALU_DEP_2)
	v_fmac_f32_e32 v191, v2, v9
	v_dual_mul_f32 v2, v2, v10 :: v_dual_fmac_f32 v193, v4, v11
	s_delay_alu instid0(VALU_DEP_1) | instskip(SKIP_1) | instid1(VALU_DEP_1)
	v_fma_f32 v192, v1, v9, -v2
	v_mul_f32_e32 v1, v4, v12
	v_fma_f32 v194, v3, v11, -v1
	s_clause 0x1
	scratch_load_b128 v[1:4], off, off offset:256
	scratch_load_b128 v[9:12], off, off offset:272
	s_wait_loadcnt_dscnt 0x100
	v_mul_f32_e32 v195, v5, v2
	v_dual_mul_f32 v2, v6, v2 :: v_dual_mul_f32 v197, v7, v4
	s_delay_alu instid0(VALU_DEP_2) | instskip(NEXT) | instid1(VALU_DEP_2)
	v_fmac_f32_e32 v195, v6, v1
	v_fma_f32 v196, v5, v1, -v2
	v_mul_f32_e32 v1, v8, v4
	s_delay_alu instid0(VALU_DEP_4) | instskip(NEXT) | instid1(VALU_DEP_2)
	v_fmac_f32_e32 v197, v8, v3
	v_fma_f32 v198, v7, v3, -v1
	ds_load_b128 v[1:4], v151 offset:752
	ds_load_b128 v[5:8], v151 offset:768
	s_wait_loadcnt_dscnt 0x1
	v_mul_f32_e32 v199, v1, v10
	v_mul_f32_e32 v201, v3, v12
	s_delay_alu instid0(VALU_DEP_2) | instskip(NEXT) | instid1(VALU_DEP_2)
	v_fmac_f32_e32 v199, v2, v9
	v_dual_mul_f32 v2, v2, v10 :: v_dual_fmac_f32 v201, v4, v11
	s_delay_alu instid0(VALU_DEP_1) | instskip(SKIP_1) | instid1(VALU_DEP_1)
	v_fma_f32 v200, v1, v9, -v2
	v_mul_f32_e32 v1, v4, v12
	v_fma_f32 v202, v3, v11, -v1
	s_clause 0x1
	scratch_load_b128 v[1:4], off, off offset:288
	scratch_load_b128 v[9:12], off, off offset:304
	s_wait_loadcnt_dscnt 0x100
	v_mul_f32_e32 v203, v5, v2
	v_dual_mul_f32 v2, v6, v2 :: v_dual_mul_f32 v205, v7, v4
	s_delay_alu instid0(VALU_DEP_2) | instskip(NEXT) | instid1(VALU_DEP_2)
	v_fmac_f32_e32 v203, v6, v1
	v_fma_f32 v204, v5, v1, -v2
	v_mul_f32_e32 v1, v8, v4
	s_delay_alu instid0(VALU_DEP_4) | instskip(NEXT) | instid1(VALU_DEP_2)
	v_fmac_f32_e32 v205, v8, v3
	v_fma_f32 v206, v7, v3, -v1
	ds_load_b128 v[1:4], v151 offset:784
	ds_load_b128 v[5:8], v151 offset:800
	s_wait_loadcnt_dscnt 0x1
	v_mul_f32_e32 v207, v1, v10
	v_mul_f32_e32 v209, v3, v12
	s_delay_alu instid0(VALU_DEP_2) | instskip(NEXT) | instid1(VALU_DEP_2)
	v_fmac_f32_e32 v207, v2, v9
	v_dual_mul_f32 v2, v2, v10 :: v_dual_fmac_f32 v209, v4, v11
	s_delay_alu instid0(VALU_DEP_1) | instskip(SKIP_1) | instid1(VALU_DEP_1)
	v_fma_f32 v208, v1, v9, -v2
	v_mul_f32_e32 v1, v4, v12
	v_fma_f32 v210, v3, v11, -v1
	s_clause 0x1
	scratch_load_b128 v[1:4], off, off offset:320
	scratch_load_b128 v[9:12], off, off offset:336
	s_wait_loadcnt_dscnt 0x100
	v_mul_f32_e32 v211, v5, v2
	v_dual_mul_f32 v2, v6, v2 :: v_dual_mul_f32 v213, v7, v4
	s_delay_alu instid0(VALU_DEP_2) | instskip(NEXT) | instid1(VALU_DEP_2)
	v_fmac_f32_e32 v211, v6, v1
	v_fma_f32 v212, v5, v1, -v2
	v_mul_f32_e32 v1, v8, v4
	s_delay_alu instid0(VALU_DEP_4) | instskip(NEXT) | instid1(VALU_DEP_2)
	v_fmac_f32_e32 v213, v8, v3
	v_fma_f32 v214, v7, v3, -v1
	ds_load_b128 v[1:4], v151 offset:816
	ds_load_b128 v[5:8], v151 offset:832
	s_wait_loadcnt_dscnt 0x1
	v_mul_f32_e32 v215, v1, v10
	v_mul_f32_e32 v217, v3, v12
	s_delay_alu instid0(VALU_DEP_2) | instskip(NEXT) | instid1(VALU_DEP_2)
	v_fmac_f32_e32 v215, v2, v9
	v_dual_mul_f32 v2, v2, v10 :: v_dual_fmac_f32 v217, v4, v11
	s_delay_alu instid0(VALU_DEP_1) | instskip(SKIP_1) | instid1(VALU_DEP_1)
	v_fma_f32 v216, v1, v9, -v2
	v_mul_f32_e32 v1, v4, v12
	v_fma_f32 v218, v3, v11, -v1
	s_clause 0x1
	scratch_load_b128 v[1:4], off, off offset:352
	scratch_load_b128 v[9:12], off, off offset:368
	s_wait_loadcnt_dscnt 0x100
	v_mul_f32_e32 v219, v5, v2
	v_dual_mul_f32 v2, v6, v2 :: v_dual_mul_f32 v221, v7, v4
	s_delay_alu instid0(VALU_DEP_2) | instskip(NEXT) | instid1(VALU_DEP_2)
	v_fmac_f32_e32 v219, v6, v1
	v_fma_f32 v220, v5, v1, -v2
	v_mul_f32_e32 v1, v8, v4
	s_delay_alu instid0(VALU_DEP_4) | instskip(NEXT) | instid1(VALU_DEP_2)
	v_fmac_f32_e32 v221, v8, v3
	v_fma_f32 v222, v7, v3, -v1
	ds_load_b128 v[1:4], v151 offset:848
	ds_load_b128 v[5:8], v151 offset:864
	s_wait_loadcnt_dscnt 0x1
	v_mul_f32_e32 v223, v1, v10
	v_mul_f32_e32 v225, v3, v12
	s_delay_alu instid0(VALU_DEP_2) | instskip(NEXT) | instid1(VALU_DEP_2)
	v_fmac_f32_e32 v223, v2, v9
	v_dual_mul_f32 v2, v2, v10 :: v_dual_fmac_f32 v225, v4, v11
	s_delay_alu instid0(VALU_DEP_1) | instskip(SKIP_1) | instid1(VALU_DEP_1)
	v_fma_f32 v224, v1, v9, -v2
	v_mul_f32_e32 v1, v4, v12
	v_fma_f32 v226, v3, v11, -v1
	s_clause 0x1
	scratch_load_b128 v[1:4], off, off offset:384
	scratch_load_b128 v[9:12], off, off offset:400
	s_wait_loadcnt_dscnt 0x100
	v_mul_f32_e32 v227, v5, v2
	v_mul_f32_e32 v2, v6, v2
	s_delay_alu instid0(VALU_DEP_2) | instskip(NEXT) | instid1(VALU_DEP_2)
	v_fmac_f32_e32 v227, v6, v1
	v_fma_f32 v228, v5, v1, -v2
	v_mul_f32_e32 v1, v8, v4
	v_add_f32_e32 v2, 0, v152
	s_delay_alu instid0(VALU_DEP_2) | instskip(NEXT) | instid1(VALU_DEP_2)
	v_fma_f32 v230, v7, v3, -v1
	v_dual_add_f32 v1, 0, v21 :: v_dual_add_f32 v2, v2, v156
	s_delay_alu instid0(VALU_DEP_1) | instskip(NEXT) | instid1(VALU_DEP_1)
	v_dual_add_f32 v1, v1, v22 :: v_dual_add_f32 v2, v2, v23
	v_dual_add_f32 v1, v1, v25 :: v_dual_add_f32 v2, v2, v24
	s_delay_alu instid0(VALU_DEP_1) | instskip(SKIP_2) | instid1(VALU_DEP_1)
	v_dual_add_f32 v1, v1, v26 :: v_dual_add_f32 v2, v2, v157
	scratch_load_b64 v[25:26], off, off offset:464
	v_dual_add_f32 v1, v1, v27 :: v_dual_add_f32 v2, v2, v158
	v_dual_add_f32 v1, v1, v28 :: v_dual_add_f32 v2, v2, v29
	s_delay_alu instid0(VALU_DEP_1) | instskip(NEXT) | instid1(VALU_DEP_1)
	v_dual_add_f32 v1, v1, v13 :: v_dual_add_f32 v2, v2, v30
	v_dual_add_f32 v1, v1, v14 :: v_dual_add_f32 v2, v2, v15
	s_delay_alu instid0(VALU_DEP_1) | instskip(NEXT) | instid1(VALU_DEP_1)
	;; [unrolled: 3-line block ×8, first 2 shown]
	v_dual_add_f32 v1, v1, v176 :: v_dual_add_f32 v2, v2, v177
	v_add_f32_e32 v1, v1, v178
	s_delay_alu instid0(VALU_DEP_1) | instskip(NEXT) | instid1(VALU_DEP_1)
	v_add_f32_e32 v1, v1, v180
	v_add_f32_e32 v1, v1, v182
	s_delay_alu instid0(VALU_DEP_1) | instskip(NEXT) | instid1(VALU_DEP_1)
	v_add_f32_e32 v1, v1, v184
	;; [unrolled: 3-line block ×6, first 2 shown]
	v_add_f32_e32 v6, v1, v202
	v_add_f32_e32 v2, v2, v179
	s_delay_alu instid0(VALU_DEP_2) | instskip(NEXT) | instid1(VALU_DEP_2)
	v_add_f32_e32 v6, v6, v204
	v_add_f32_e32 v2, v2, v181
	s_delay_alu instid0(VALU_DEP_2) | instskip(NEXT) | instid1(VALU_DEP_1)
	v_add_f32_e32 v13, v6, v206
	v_dual_add_f32 v2, v2, v183 :: v_dual_add_f32 v13, v13, v208
	s_delay_alu instid0(VALU_DEP_1) | instskip(NEXT) | instid1(VALU_DEP_1)
	v_dual_add_f32 v2, v2, v185 :: v_dual_add_f32 v13, v13, v210
	v_dual_add_f32 v2, v2, v187 :: v_dual_add_f32 v13, v13, v212
	s_delay_alu instid0(VALU_DEP_1) | instskip(NEXT) | instid1(VALU_DEP_2)
	v_add_f32_e32 v2, v2, v189
	v_add_f32_e32 v18, v13, v214
	s_delay_alu instid0(VALU_DEP_2) | instskip(NEXT) | instid1(VALU_DEP_2)
	v_add_f32_e32 v2, v2, v191
	v_add_f32_e32 v18, v18, v216
	s_delay_alu instid0(VALU_DEP_2) | instskip(NEXT) | instid1(VALU_DEP_2)
	v_dual_add_f32 v2, v2, v193 :: v_dual_mul_f32 v229, v7, v4
	v_add_f32_e32 v18, v18, v218
	s_delay_alu instid0(VALU_DEP_2) | instskip(NEXT) | instid1(VALU_DEP_2)
	v_add_f32_e32 v2, v2, v195
	v_dual_fmac_f32 v229, v8, v3 :: v_dual_add_f32 v18, v18, v220
	s_delay_alu instid0(VALU_DEP_2) | instskip(NEXT) | instid1(VALU_DEP_2)
	v_add_f32_e32 v2, v2, v197
	v_add_f32_e32 v18, v18, v222
	s_delay_alu instid0(VALU_DEP_2) | instskip(SKIP_2) | instid1(VALU_DEP_1)
	v_add_f32_e32 v5, v2, v199
	ds_load_b128 v[1:4], v151 offset:880
	v_add_f32_e32 v27, v18, v224
	v_dual_add_f32 v5, v5, v201 :: v_dual_add_f32 v152, v27, v226
	s_delay_alu instid0(VALU_DEP_1) | instskip(NEXT) | instid1(VALU_DEP_1)
	v_dual_add_f32 v5, v5, v203 :: v_dual_add_f32 v152, v152, v228
	v_add_f32_e32 v14, v5, v205
	ds_load_b128 v[5:8], v151 offset:896
	v_add_f32_e32 v152, v152, v230
	s_wait_loadcnt_dscnt 0x101
	v_dual_add_f32 v14, v14, v207 :: v_dual_mul_f32 v29, v1, v10
	v_mul_f32_e32 v10, v2, v10
	v_mul_f32_e32 v30, v3, v12
	;; [unrolled: 1-line block ×3, first 2 shown]
	s_delay_alu instid0(VALU_DEP_4)
	v_add_f32_e32 v14, v14, v209
	v_fmac_f32_e32 v29, v2, v9
	v_fma_f32 v31, v1, v9, -v10
	v_fmac_f32_e32 v30, v4, v11
	v_fma_f32 v32, v3, v11, -v12
	s_clause 0x1
	scratch_load_b128 v[1:4], off, off offset:416
	scratch_load_b128 v[9:12], off, off offset:432
	v_add_f32_e32 v17, v14, v211
	scratch_load_b128 v[13:16], off, off offset:448
	v_add_f32_e32 v31, v152, v31
	v_add_f32_e32 v17, v17, v213
	s_delay_alu instid0(VALU_DEP_2) | instskip(NEXT) | instid1(VALU_DEP_2)
	v_add_f32_e32 v31, v31, v32
	v_add_f32_e32 v17, v17, v215
	s_wait_loadcnt_dscnt 0x200
	s_delay_alu instid0(VALU_DEP_1) | instskip(NEXT) | instid1(VALU_DEP_1)
	v_dual_add_f32 v17, v17, v217 :: v_dual_mul_f32 v158, v7, v4
	v_dual_add_f32 v17, v17, v219 :: v_dual_mul_f32 v4, v8, v4
	v_mul_f32_e32 v157, v5, v2
	v_mul_f32_e32 v2, v6, v2
	s_delay_alu instid0(VALU_DEP_3)
	v_dual_fmac_f32 v158, v8, v3 :: v_dual_add_f32 v21, v17, v221
	ds_load_b128 v[17:20], v151 offset:912
	v_fmac_f32_e32 v157, v6, v1
	v_fma_f32 v2, v5, v1, -v2
	v_fma_f32 v1, v7, v3, -v4
	v_add_f32_e32 v28, v21, v223
	ds_load_b128 v[21:24], v151 offset:928
	v_add_f32_e32 v2, v31, v2
	v_add_f32_e32 v156, v28, v225
	ds_load_b64 v[27:28], v151 offset:944
	s_wait_loadcnt_dscnt 0x102
	v_dual_add_f32 v1, v2, v1 :: v_dual_mul_f32 v152, v17, v10
	v_dual_add_f32 v156, v156, v227 :: v_dual_mul_f32 v3, v18, v10
	s_delay_alu instid0(VALU_DEP_2) | instskip(NEXT) | instid1(VALU_DEP_2)
	v_dual_mul_f32 v5, v20, v12 :: v_dual_fmac_f32 v152, v18, v9
	v_add_f32_e32 v156, v156, v229
	s_delay_alu instid0(VALU_DEP_3)
	v_fma_f32 v3, v17, v9, -v3
	s_wait_loadcnt_dscnt 0x1
	v_mul_f32_e32 v159, v21, v14
	v_fma_f32 v5, v19, v11, -v5
	v_dual_mul_f32 v32, v23, v16 :: v_dual_add_f32 v29, v156, v29
	v_dual_mul_f32 v156, v19, v12 :: v_dual_add_f32 v1, v1, v3
	v_mul_f32_e32 v3, v24, v16
	v_fmac_f32_e32 v159, v22, v13
	s_delay_alu instid0(VALU_DEP_3) | instskip(SKIP_2) | instid1(VALU_DEP_2)
	v_dual_add_f32 v29, v29, v30 :: v_dual_fmac_f32 v156, v20, v11
	s_wait_dscnt 0x0
	v_dual_add_f32 v1, v1, v5 :: v_dual_mul_f32 v30, v27, v26
	v_dual_mul_f32 v5, v28, v26 :: v_dual_add_f32 v4, v29, v157
	v_fmac_f32_e32 v32, v24, v15
	v_fma_f32 v3, v23, v15, -v3
	s_delay_alu instid0(VALU_DEP_4) | instskip(NEXT) | instid1(VALU_DEP_4)
	v_fmac_f32_e32 v30, v28, v25
	v_add_f32_e32 v2, v4, v158
	v_mul_f32_e32 v4, v22, v14
	s_delay_alu instid0(VALU_DEP_2) | instskip(NEXT) | instid1(VALU_DEP_2)
	v_add_f32_e32 v2, v2, v152
	v_fma_f32 v4, v21, v13, -v4
	s_delay_alu instid0(VALU_DEP_2) | instskip(NEXT) | instid1(VALU_DEP_2)
	v_add_f32_e32 v2, v2, v156
	v_add_f32_e32 v1, v1, v4
	v_fma_f32 v4, v27, v25, -v5
	s_delay_alu instid0(VALU_DEP_3) | instskip(NEXT) | instid1(VALU_DEP_1)
	v_add_f32_e32 v2, v2, v159
	v_dual_add_f32 v1, v1, v3 :: v_dual_add_f32 v2, v2, v32
	s_delay_alu instid0(VALU_DEP_1) | instskip(NEXT) | instid1(VALU_DEP_1)
	v_dual_add_f32 v1, v1, v4 :: v_dual_add_f32 v2, v2, v30
	v_dual_sub_f32 v1, v154, v1 :: v_dual_sub_f32 v2, v155, v2
	scratch_store_b64 off, v[1:2], off offset:8
	v_cmpx_ne_u32_e32 0, v0
	s_cbranch_execz .LBB122_367
; %bb.366:
	scratch_load_b64 v[0:1], off, off
	v_mov_b32_e32 v152, v151
	scratch_store_b64 off, v[151:152], off
	s_wait_loadcnt 0x0
	ds_store_b64 v153, v[0:1]
.LBB122_367:
	s_wait_alu 0xfffe
	s_or_b32 exec_lo, exec_lo, s0
	s_wait_storecnt_dscnt 0x0
	s_barrier_signal -1
	s_barrier_wait -1
	global_inv scope:SCOPE_SE
	s_clause 0x6
	scratch_load_b128 v[0:3], off, off offset:8
	scratch_load_b128 v[4:7], off, off offset:24
	;; [unrolled: 1-line block ×7, first 2 shown]
	ds_load_2addr_b64 v[28:31], v151 offset0:61 offset1:62
	ds_load_2addr_b64 v[152:155], v151 offset0:63 offset1:64
	scratch_load_b64 v[156:157], off, off
	s_and_b32 vcc_lo, exec_lo, s12
	s_wait_loadcnt_dscnt 0x701
	v_mul_f32_e32 v32, v28, v1
	v_dual_mul_f32 v158, v30, v3 :: v_dual_mul_f32 v1, v29, v1
	s_delay_alu instid0(VALU_DEP_2) | instskip(NEXT) | instid1(VALU_DEP_2)
	v_dual_mul_f32 v3, v31, v3 :: v_dual_fmac_f32 v32, v29, v0
	v_fmac_f32_e32 v158, v31, v2
	s_delay_alu instid0(VALU_DEP_3) | instskip(NEXT) | instid1(VALU_DEP_3)
	v_fma_f32 v28, v28, v0, -v1
	v_fma_f32 v29, v30, v2, -v3
	ds_load_2addr_b64 v[0:3], v151 offset0:65 offset1:66
	s_wait_loadcnt_dscnt 0x601
	v_dual_mul_f32 v30, v152, v5 :: v_dual_mul_f32 v31, v154, v7
	v_mul_f32_e32 v5, v153, v5
	s_delay_alu instid0(VALU_DEP_2) | instskip(NEXT) | instid1(VALU_DEP_3)
	v_dual_mul_f32 v7, v155, v7 :: v_dual_fmac_f32 v30, v153, v4
	v_fmac_f32_e32 v31, v155, v6
	s_delay_alu instid0(VALU_DEP_3) | instskip(NEXT) | instid1(VALU_DEP_3)
	v_fma_f32 v152, v152, v4, -v5
	v_fma_f32 v153, v154, v6, -v7
	ds_load_2addr_b64 v[4:7], v151 offset0:67 offset1:68
	s_wait_loadcnt_dscnt 0x501
	v_dual_mul_f32 v154, v0, v9 :: v_dual_mul_f32 v155, v2, v11
	v_mul_f32_e32 v9, v1, v9
	s_delay_alu instid0(VALU_DEP_2) | instskip(NEXT) | instid1(VALU_DEP_3)
	v_dual_mul_f32 v11, v3, v11 :: v_dual_fmac_f32 v154, v1, v8
	v_fmac_f32_e32 v155, v3, v10
	s_delay_alu instid0(VALU_DEP_2)
	v_fma_f32 v160, v2, v10, -v11
	s_wait_loadcnt_dscnt 0x400
	v_mul_f32_e32 v162, v6, v15
	v_fma_f32 v159, v0, v8, -v9
	ds_load_2addr_b64 v[0:3], v151 offset0:69 offset1:70
	v_mul_f32_e32 v161, v4, v13
	v_dual_mul_f32 v8, v5, v13 :: v_dual_mul_f32 v9, v7, v15
	s_delay_alu instid0(VALU_DEP_2) | instskip(NEXT) | instid1(VALU_DEP_2)
	v_dual_fmac_f32 v162, v7, v14 :: v_dual_fmac_f32 v161, v5, v12
	v_fma_f32 v12, v4, v12, -v8
	s_delay_alu instid0(VALU_DEP_3) | instskip(SKIP_4) | instid1(VALU_DEP_2)
	v_fma_f32 v13, v6, v14, -v9
	ds_load_2addr_b64 v[4:7], v151 offset0:71 offset1:72
	s_wait_loadcnt_dscnt 0x301
	v_dual_mul_f32 v14, v0, v17 :: v_dual_mul_f32 v15, v2, v19
	v_dual_mul_f32 v8, v1, v17 :: v_dual_mul_f32 v9, v3, v19
	v_dual_fmac_f32 v14, v1, v16 :: v_dual_fmac_f32 v15, v3, v18
	s_delay_alu instid0(VALU_DEP_2) | instskip(NEXT) | instid1(VALU_DEP_3)
	v_fma_f32 v16, v0, v16, -v8
	v_fma_f32 v17, v2, v18, -v9
	ds_load_2addr_b64 v[0:3], v151 offset0:73 offset1:74
	s_wait_loadcnt_dscnt 0x201
	v_mul_f32_e32 v18, v4, v21
	v_dual_mul_f32 v8, v5, v21 :: v_dual_mul_f32 v19, v6, v23
	s_delay_alu instid0(VALU_DEP_2) | instskip(NEXT) | instid1(VALU_DEP_2)
	v_dual_mul_f32 v9, v7, v23 :: v_dual_fmac_f32 v18, v5, v20
	v_fma_f32 v20, v4, v20, -v8
	s_delay_alu instid0(VALU_DEP_3) | instskip(NEXT) | instid1(VALU_DEP_3)
	v_fmac_f32_e32 v19, v7, v22
	v_fma_f32 v21, v6, v22, -v9
	ds_load_2addr_b64 v[4:7], v151 offset0:75 offset1:76
	s_wait_loadcnt_dscnt 0x101
	v_mul_f32_e32 v22, v0, v25
	v_dual_mul_f32 v8, v1, v25 :: v_dual_mul_f32 v23, v2, v27
	s_delay_alu instid0(VALU_DEP_2) | instskip(NEXT) | instid1(VALU_DEP_2)
	v_dual_mul_f32 v9, v3, v27 :: v_dual_fmac_f32 v22, v1, v24
	v_fma_f32 v24, v0, v24, -v8
	s_delay_alu instid0(VALU_DEP_3) | instskip(NEXT) | instid1(VALU_DEP_3)
	v_fmac_f32_e32 v23, v3, v26
	v_fma_f32 v25, v2, v26, -v9
	s_clause 0x1
	scratch_load_b128 v[0:3], off, off offset:120
	scratch_load_b128 v[8:11], off, off offset:136
	s_wait_loadcnt_dscnt 0x100
	v_mul_f32_e32 v26, v4, v1
	v_mul_f32_e32 v1, v5, v1
	s_delay_alu instid0(VALU_DEP_2) | instskip(NEXT) | instid1(VALU_DEP_2)
	v_dual_mul_f32 v163, v6, v3 :: v_dual_fmac_f32 v26, v5, v0
	v_fma_f32 v27, v4, v0, -v1
	v_mul_f32_e32 v0, v7, v3
	s_delay_alu instid0(VALU_DEP_3) | instskip(NEXT) | instid1(VALU_DEP_2)
	v_fmac_f32_e32 v163, v7, v2
	v_fma_f32 v164, v6, v2, -v0
	ds_load_2addr_b64 v[0:3], v151 offset0:77 offset1:78
	ds_load_2addr_b64 v[4:7], v151 offset0:79 offset1:80
	s_wait_loadcnt_dscnt 0x1
	v_mul_f32_e32 v165, v0, v9
	v_mul_f32_e32 v167, v2, v11
	s_delay_alu instid0(VALU_DEP_2) | instskip(SKIP_1) | instid1(VALU_DEP_3)
	v_fmac_f32_e32 v165, v1, v8
	v_mul_f32_e32 v1, v1, v9
	v_fmac_f32_e32 v167, v3, v10
	s_delay_alu instid0(VALU_DEP_2) | instskip(SKIP_1) | instid1(VALU_DEP_1)
	v_fma_f32 v166, v0, v8, -v1
	v_mul_f32_e32 v0, v3, v11
	v_fma_f32 v168, v2, v10, -v0
	s_clause 0x1
	scratch_load_b128 v[0:3], off, off offset:152
	scratch_load_b128 v[8:11], off, off offset:168
	s_wait_loadcnt_dscnt 0x100
	v_mul_f32_e32 v169, v4, v1
	v_mul_f32_e32 v1, v5, v1
	v_mul_f32_e32 v171, v6, v3
	s_delay_alu instid0(VALU_DEP_3) | instskip(NEXT) | instid1(VALU_DEP_3)
	v_fmac_f32_e32 v169, v5, v0
	v_fma_f32 v170, v4, v0, -v1
	v_mul_f32_e32 v0, v7, v3
	s_delay_alu instid0(VALU_DEP_4) | instskip(NEXT) | instid1(VALU_DEP_2)
	v_fmac_f32_e32 v171, v7, v2
	v_fma_f32 v172, v6, v2, -v0
	ds_load_2addr_b64 v[0:3], v151 offset0:81 offset1:82
	ds_load_2addr_b64 v[4:7], v151 offset0:83 offset1:84
	s_wait_loadcnt_dscnt 0x1
	v_mul_f32_e32 v173, v0, v9
	v_mul_f32_e32 v175, v2, v11
	s_delay_alu instid0(VALU_DEP_2) | instskip(SKIP_1) | instid1(VALU_DEP_3)
	v_fmac_f32_e32 v173, v1, v8
	v_mul_f32_e32 v1, v1, v9
	v_fmac_f32_e32 v175, v3, v10
	s_delay_alu instid0(VALU_DEP_2) | instskip(SKIP_1) | instid1(VALU_DEP_1)
	v_fma_f32 v174, v0, v8, -v1
	v_mul_f32_e32 v0, v3, v11
	v_fma_f32 v176, v2, v10, -v0
	s_clause 0x1
	scratch_load_b128 v[0:3], off, off offset:184
	scratch_load_b128 v[8:11], off, off offset:200
	s_wait_loadcnt_dscnt 0x100
	v_mul_f32_e32 v177, v4, v1
	v_mul_f32_e32 v1, v5, v1
	v_mul_f32_e32 v179, v6, v3
	s_delay_alu instid0(VALU_DEP_3) | instskip(NEXT) | instid1(VALU_DEP_3)
	v_fmac_f32_e32 v177, v5, v0
	v_fma_f32 v178, v4, v0, -v1
	v_mul_f32_e32 v0, v7, v3
	s_delay_alu instid0(VALU_DEP_4) | instskip(NEXT) | instid1(VALU_DEP_2)
	;; [unrolled: 27-line block ×6, first 2 shown]
	v_fmac_f32_e32 v211, v7, v2
	v_fma_f32 v212, v6, v2, -v0
	ds_load_2addr_b64 v[0:3], v151 offset0:101 offset1:102
	ds_load_2addr_b64 v[4:7], v151 offset0:103 offset1:104
	s_wait_loadcnt_dscnt 0x1
	v_mul_f32_e32 v213, v0, v9
	s_delay_alu instid0(VALU_DEP_1) | instskip(SKIP_1) | instid1(VALU_DEP_1)
	v_fmac_f32_e32 v213, v1, v8
	v_mul_f32_e32 v1, v1, v9
	v_fma_f32 v214, v0, v8, -v1
	v_mul_f32_e32 v0, v3, v11
	s_delay_alu instid0(VALU_DEP_1) | instskip(SKIP_1) | instid1(VALU_DEP_1)
	v_fma_f32 v216, v2, v10, -v0
	v_mul_f32_e32 v215, v2, v11
	v_fmac_f32_e32 v215, v3, v10
	s_clause 0x1
	scratch_load_b128 v[0:3], off, off offset:344
	scratch_load_b128 v[8:11], off, off offset:360
	s_wait_loadcnt_dscnt 0x100
	v_mul_f32_e32 v217, v4, v1
	v_mul_f32_e32 v1, v5, v1
	;; [unrolled: 1-line block ×3, first 2 shown]
	s_delay_alu instid0(VALU_DEP_2) | instskip(NEXT) | instid1(VALU_DEP_4)
	v_fma_f32 v218, v4, v0, -v1
	v_dual_fmac_f32 v217, v5, v0 :: v_dual_mul_f32 v0, v7, v3
	s_delay_alu instid0(VALU_DEP_3) | instskip(NEXT) | instid1(VALU_DEP_2)
	v_fmac_f32_e32 v219, v7, v2
	v_fma_f32 v220, v6, v2, -v0
	ds_load_2addr_b64 v[0:3], v151 offset0:105 offset1:106
	ds_load_2addr_b64 v[4:7], v151 offset0:107 offset1:108
	s_wait_loadcnt_dscnt 0x1
	v_mul_f32_e32 v221, v0, v9
	v_mul_f32_e32 v223, v2, v11
	s_delay_alu instid0(VALU_DEP_2) | instskip(SKIP_1) | instid1(VALU_DEP_3)
	v_fmac_f32_e32 v221, v1, v8
	v_mul_f32_e32 v1, v1, v9
	v_fmac_f32_e32 v223, v3, v10
	s_delay_alu instid0(VALU_DEP_2) | instskip(SKIP_1) | instid1(VALU_DEP_1)
	v_fma_f32 v222, v0, v8, -v1
	v_mul_f32_e32 v0, v3, v11
	v_fma_f32 v224, v2, v10, -v0
	s_clause 0x1
	scratch_load_b128 v[0:3], off, off offset:376
	scratch_load_b128 v[8:11], off, off offset:392
	s_wait_loadcnt_dscnt 0x100
	v_mul_f32_e32 v225, v4, v1
	v_mul_f32_e32 v1, v5, v1
	s_delay_alu instid0(VALU_DEP_2) | instskip(NEXT) | instid1(VALU_DEP_2)
	v_fmac_f32_e32 v225, v5, v0
	v_fma_f32 v226, v4, v0, -v1
	v_dual_mul_f32 v0, v7, v3 :: v_dual_add_f32 v1, 0, v32
	s_delay_alu instid0(VALU_DEP_1) | instskip(NEXT) | instid1(VALU_DEP_2)
	v_fma_f32 v228, v6, v2, -v0
	v_dual_add_f32 v0, 0, v28 :: v_dual_add_f32 v1, v1, v158
	s_delay_alu instid0(VALU_DEP_1) | instskip(NEXT) | instid1(VALU_DEP_1)
	v_dual_add_f32 v0, v0, v29 :: v_dual_add_f32 v1, v1, v30
	v_dual_add_f32 v0, v0, v152 :: v_dual_add_f32 v1, v1, v31
	s_delay_alu instid0(VALU_DEP_1) | instskip(NEXT) | instid1(VALU_DEP_1)
	v_dual_add_f32 v0, v0, v153 :: v_dual_add_f32 v1, v1, v154
	v_add_f32_e32 v0, v0, v159
	s_delay_alu instid0(VALU_DEP_1) | instskip(NEXT) | instid1(VALU_DEP_1)
	v_dual_add_f32 v1, v1, v155 :: v_dual_add_f32 v0, v0, v160
	v_dual_add_f32 v1, v1, v161 :: v_dual_add_f32 v0, v0, v12
	s_delay_alu instid0(VALU_DEP_1) | instskip(NEXT) | instid1(VALU_DEP_1)
	v_dual_add_f32 v1, v1, v162 :: v_dual_add_f32 v0, v0, v13
	v_dual_add_f32 v1, v1, v14 :: v_dual_add_f32 v0, v0, v16
	;; [unrolled: 3-line block ×14, first 2 shown]
	s_delay_alu instid0(VALU_DEP_1) | instskip(NEXT) | instid1(VALU_DEP_1)
	v_dual_add_f32 v5, v5, v199 :: v_dual_add_f32 v4, v4, v200
	v_add_f32_e32 v12, v5, v201
	s_delay_alu instid0(VALU_DEP_2) | instskip(NEXT) | instid1(VALU_DEP_2)
	v_add_f32_e32 v4, v4, v202
	v_add_f32_e32 v12, v12, v203
	s_delay_alu instid0(VALU_DEP_2) | instskip(NEXT) | instid1(VALU_DEP_1)
	v_add_f32_e32 v13, v4, v204
	v_dual_add_f32 v12, v12, v205 :: v_dual_add_f32 v13, v13, v206
	s_delay_alu instid0(VALU_DEP_1) | instskip(NEXT) | instid1(VALU_DEP_1)
	v_dual_add_f32 v12, v12, v207 :: v_dual_add_f32 v13, v13, v208
	v_dual_add_f32 v12, v12, v209 :: v_dual_add_f32 v13, v13, v210
	s_delay_alu instid0(VALU_DEP_1) | instskip(NEXT) | instid1(VALU_DEP_1)
	v_dual_add_f32 v17, v12, v211 :: v_dual_add_f32 v16, v13, v212
	v_add_f32_e32 v21, v17, v213
	scratch_load_b128 v[12:15], off, off offset:440
	v_add_f32_e32 v20, v16, v214
	scratch_load_b128 v[16:19], off, off offset:456
	v_add_f32_e32 v20, v20, v216
	s_delay_alu instid0(VALU_DEP_1) | instskip(NEXT) | instid1(VALU_DEP_1)
	v_add_f32_e32 v20, v20, v218
	v_dual_add_f32 v20, v20, v220 :: v_dual_add_f32 v21, v21, v215
	s_delay_alu instid0(VALU_DEP_1) | instskip(NEXT) | instid1(VALU_DEP_2)
	v_add_f32_e32 v25, v20, v222
	v_add_f32_e32 v21, v21, v217
	s_delay_alu instid0(VALU_DEP_2) | instskip(NEXT) | instid1(VALU_DEP_2)
	v_add_f32_e32 v28, v25, v224
	v_add_f32_e32 v24, v21, v219
	ds_load_2addr_b64 v[20:23], v151 offset0:113 offset1:114
	v_add_f32_e32 v158, v28, v226
	v_add_f32_e32 v24, v24, v221
	ds_load_2addr_b64 v[28:31], v151 offset0:117 offset1:118
	v_dual_add_f32 v158, v158, v228 :: v_dual_add_f32 v155, v24, v223
	ds_load_2addr_b64 v[24:27], v151 offset0:115 offset1:116
	v_mul_f32_e32 v227, v6, v3
	s_delay_alu instid0(VALU_DEP_1)
	v_fmac_f32_e32 v227, v7, v2
	ds_load_2addr_b64 v[0:3], v151 offset0:109 offset1:110
	ds_load_2addr_b64 v[4:7], v151 offset0:111 offset1:112
	v_add_f32_e32 v151, v155, v225
	s_wait_loadcnt_dscnt 0x201
	v_mul_f32_e32 v32, v0, v9
	v_dual_mul_f32 v9, v1, v9 :: v_dual_mul_f32 v152, v2, v11
	s_delay_alu instid0(VALU_DEP_2) | instskip(NEXT) | instid1(VALU_DEP_2)
	v_dual_mul_f32 v11, v3, v11 :: v_dual_fmac_f32 v32, v1, v8
	v_fma_f32 v153, v0, v8, -v9
	s_delay_alu instid0(VALU_DEP_3) | instskip(NEXT) | instid1(VALU_DEP_3)
	v_fmac_f32_e32 v152, v3, v10
	v_fma_f32 v154, v2, v10, -v11
	s_clause 0x1
	scratch_load_b128 v[0:3], off, off offset:408
	scratch_load_b128 v[8:11], off, off offset:424
	v_add_f32_e32 v153, v158, v153
	s_wait_loadcnt_dscnt 0x100
	v_mul_f32_e32 v155, v4, v1
	v_mul_f32_e32 v159, v6, v3
	;; [unrolled: 1-line block ×3, first 2 shown]
	s_wait_loadcnt 0x0
	v_dual_mul_f32 v3, v7, v3 :: v_dual_mul_f32 v158, v20, v9
	v_fmac_f32_e32 v155, v5, v0
	v_fmac_f32_e32 v159, v7, v2
	v_fma_f32 v0, v4, v0, -v1
	s_delay_alu instid0(VALU_DEP_4) | instskip(SKIP_4) | instid1(VALU_DEP_4)
	v_fma_f32 v1, v6, v2, -v3
	v_mul_f32_e32 v2, v24, v13
	v_add_f32_e32 v4, v153, v154
	v_mul_f32_e32 v7, v21, v9
	v_dual_fmac_f32 v158, v21, v8 :: v_dual_mul_f32 v3, v26, v15
	v_dual_fmac_f32 v2, v25, v12 :: v_dual_add_f32 v151, v151, v227
	s_delay_alu instid0(VALU_DEP_4) | instskip(NEXT) | instid1(VALU_DEP_4)
	v_add_f32_e32 v0, v4, v0
	v_fma_f32 v7, v20, v8, -v7
	s_delay_alu instid0(VALU_DEP_4) | instskip(NEXT) | instid1(VALU_DEP_4)
	v_dual_mul_f32 v6, v28, v17 :: v_dual_fmac_f32 v3, v27, v14
	v_dual_add_f32 v32, v151, v32 :: v_dual_mul_f32 v151, v22, v11
	s_delay_alu instid0(VALU_DEP_4) | instskip(NEXT) | instid1(VALU_DEP_3)
	v_dual_add_f32 v0, v0, v1 :: v_dual_mul_f32 v9, v30, v19
	v_fmac_f32_e32 v6, v29, v16
	s_delay_alu instid0(VALU_DEP_3) | instskip(NEXT) | instid1(VALU_DEP_3)
	v_add_f32_e32 v5, v32, v152
	v_dual_fmac_f32 v151, v23, v10 :: v_dual_add_f32 v0, v0, v7
	v_mul_f32_e32 v7, v27, v15
	s_delay_alu instid0(VALU_DEP_3) | instskip(SKIP_1) | instid1(VALU_DEP_3)
	v_dual_fmac_f32 v9, v31, v18 :: v_dual_add_f32 v4, v5, v155
	v_mul_f32_e32 v5, v23, v11
	v_fma_f32 v7, v26, v14, -v7
	s_delay_alu instid0(VALU_DEP_3) | instskip(NEXT) | instid1(VALU_DEP_3)
	v_dual_add_f32 v1, v4, v159 :: v_dual_mul_f32 v4, v25, v13
	v_fma_f32 v5, v22, v10, -v5
	s_delay_alu instid0(VALU_DEP_2) | instskip(NEXT) | instid1(VALU_DEP_3)
	v_add_f32_e32 v1, v1, v158
	v_fma_f32 v4, v24, v12, -v4
	s_delay_alu instid0(VALU_DEP_3) | instskip(SKIP_1) | instid1(VALU_DEP_2)
	v_add_f32_e32 v0, v0, v5
	v_mul_f32_e32 v5, v29, v17
	v_dual_add_f32 v1, v1, v151 :: v_dual_add_f32 v0, v0, v4
	s_delay_alu instid0(VALU_DEP_2) | instskip(NEXT) | instid1(VALU_DEP_2)
	v_fma_f32 v4, v28, v16, -v5
	v_dual_add_f32 v1, v1, v2 :: v_dual_mul_f32 v2, v31, v19
	s_delay_alu instid0(VALU_DEP_3) | instskip(NEXT) | instid1(VALU_DEP_2)
	v_add_f32_e32 v0, v0, v7
	v_add_f32_e32 v1, v1, v3
	s_delay_alu instid0(VALU_DEP_3) | instskip(NEXT) | instid1(VALU_DEP_2)
	v_fma_f32 v2, v30, v18, -v2
	v_dual_add_f32 v0, v0, v4 :: v_dual_add_f32 v1, v1, v6
	s_delay_alu instid0(VALU_DEP_1) | instskip(NEXT) | instid1(VALU_DEP_1)
	v_dual_add_f32 v0, v0, v2 :: v_dual_add_f32 v1, v1, v9
	v_dual_sub_f32 v0, v156, v0 :: v_dual_sub_f32 v1, v157, v1
	scratch_store_b64 off, v[0:1], off
	s_wait_alu 0xfffe
	s_cbranch_vccz .LBB122_484
; %bb.368:
	v_mov_b32_e32 v0, 0
	global_load_b32 v1, v0, s[2:3] offset:228
	s_wait_loadcnt 0x0
	v_cmp_ne_u32_e32 vcc_lo, 58, v1
	s_cbranch_vccz .LBB122_370
; %bb.369:
	v_lshlrev_b32_e32 v1, 3, v1
	s_delay_alu instid0(VALU_DEP_1)
	v_mov_b32_e32 v5, v1
	scratch_load_b64 v[1:2], v5, off offset:-8
	scratch_load_b64 v[3:4], off, off offset:456
	s_wait_loadcnt 0x1
	scratch_store_b64 off, v[1:2], off offset:456
	s_wait_loadcnt 0x0
	scratch_store_b64 v5, v[3:4], off offset:-8
.LBB122_370:
	global_load_b32 v0, v0, s[2:3] offset:224
	s_wait_loadcnt 0x0
	v_cmp_eq_u32_e32 vcc_lo, 57, v0
	s_cbranch_vccnz .LBB122_372
; %bb.371:
	v_lshlrev_b32_e32 v0, 3, v0
	s_delay_alu instid0(VALU_DEP_1)
	v_mov_b32_e32 v4, v0
	scratch_load_b64 v[0:1], v4, off offset:-8
	scratch_load_b64 v[2:3], off, off offset:448
	s_wait_loadcnt 0x1
	scratch_store_b64 off, v[0:1], off offset:448
	s_wait_loadcnt 0x0
	scratch_store_b64 v4, v[2:3], off offset:-8
.LBB122_372:
	v_mov_b32_e32 v0, 0
	global_load_b32 v1, v0, s[2:3] offset:220
	s_wait_loadcnt 0x0
	v_cmp_eq_u32_e32 vcc_lo, 56, v1
	s_cbranch_vccnz .LBB122_374
; %bb.373:
	v_lshlrev_b32_e32 v1, 3, v1
	s_delay_alu instid0(VALU_DEP_1)
	v_mov_b32_e32 v5, v1
	scratch_load_b64 v[1:2], v5, off offset:-8
	scratch_load_b64 v[3:4], off, off offset:440
	s_wait_loadcnt 0x1
	scratch_store_b64 off, v[1:2], off offset:440
	s_wait_loadcnt 0x0
	scratch_store_b64 v5, v[3:4], off offset:-8
.LBB122_374:
	global_load_b32 v0, v0, s[2:3] offset:216
	s_wait_loadcnt 0x0
	v_cmp_eq_u32_e32 vcc_lo, 55, v0
	s_cbranch_vccnz .LBB122_376
; %bb.375:
	v_lshlrev_b32_e32 v0, 3, v0
	s_delay_alu instid0(VALU_DEP_1)
	v_mov_b32_e32 v4, v0
	scratch_load_b64 v[0:1], v4, off offset:-8
	scratch_load_b64 v[2:3], off, off offset:432
	s_wait_loadcnt 0x1
	scratch_store_b64 off, v[0:1], off offset:432
	s_wait_loadcnt 0x0
	scratch_store_b64 v4, v[2:3], off offset:-8
.LBB122_376:
	v_mov_b32_e32 v0, 0
	global_load_b32 v1, v0, s[2:3] offset:212
	s_wait_loadcnt 0x0
	v_cmp_eq_u32_e32 vcc_lo, 54, v1
	s_cbranch_vccnz .LBB122_378
; %bb.377:
	v_lshlrev_b32_e32 v1, 3, v1
	s_delay_alu instid0(VALU_DEP_1)
	v_mov_b32_e32 v5, v1
	scratch_load_b64 v[1:2], v5, off offset:-8
	scratch_load_b64 v[3:4], off, off offset:424
	s_wait_loadcnt 0x1
	scratch_store_b64 off, v[1:2], off offset:424
	s_wait_loadcnt 0x0
	scratch_store_b64 v5, v[3:4], off offset:-8
.LBB122_378:
	;; [unrolled: 31-line block ×28, first 2 shown]
	global_load_b32 v0, v0, s[2:3]
	s_wait_loadcnt 0x0
	v_cmp_eq_u32_e32 vcc_lo, 1, v0
	s_cbranch_vccnz .LBB122_484
; %bb.483:
	v_lshlrev_b32_e32 v0, 3, v0
	s_delay_alu instid0(VALU_DEP_1)
	v_mov_b32_e32 v4, v0
	scratch_load_b64 v[0:1], v4, off offset:-8
	scratch_load_b64 v[2:3], off, off
	s_wait_loadcnt 0x1
	scratch_store_b64 off, v[0:1], off
	s_wait_loadcnt 0x0
	scratch_store_b64 v4, v[2:3], off offset:-8
.LBB122_484:
	scratch_load_b64 v[0:1], off, off
	s_wait_loadcnt 0x0
	flat_store_b64 v[33:34], v[0:1]
	scratch_load_b64 v[0:1], off, off offset:8
	s_wait_loadcnt 0x0
	flat_store_b64 v[35:36], v[0:1]
	scratch_load_b64 v[0:1], off, off offset:16
	;; [unrolled: 3-line block ×58, first 2 shown]
	s_wait_loadcnt 0x0
	flat_store_b64 v[149:150], v[0:1]
	s_nop 0
	s_sendmsg sendmsg(MSG_DEALLOC_VGPRS)
	s_endpgm
	.section	.rodata,"a",@progbits
	.p2align	6, 0x0
	.amdhsa_kernel _ZN9rocsolver6v33100L18getri_kernel_smallILi59E19rocblas_complex_numIfEPKPS3_EEvT1_iilPiilS8_bb
		.amdhsa_group_segment_fixed_size 952
		.amdhsa_private_segment_fixed_size 480
		.amdhsa_kernarg_size 60
		.amdhsa_user_sgpr_count 2
		.amdhsa_user_sgpr_dispatch_ptr 0
		.amdhsa_user_sgpr_queue_ptr 0
		.amdhsa_user_sgpr_kernarg_segment_ptr 1
		.amdhsa_user_sgpr_dispatch_id 0
		.amdhsa_user_sgpr_private_segment_size 0
		.amdhsa_wavefront_size32 1
		.amdhsa_uses_dynamic_stack 0
		.amdhsa_enable_private_segment 1
		.amdhsa_system_sgpr_workgroup_id_x 1
		.amdhsa_system_sgpr_workgroup_id_y 0
		.amdhsa_system_sgpr_workgroup_id_z 0
		.amdhsa_system_sgpr_workgroup_info 0
		.amdhsa_system_vgpr_workitem_id 0
		.amdhsa_next_free_vgpr 252
		.amdhsa_next_free_sgpr 19
		.amdhsa_reserve_vcc 1
		.amdhsa_float_round_mode_32 0
		.amdhsa_float_round_mode_16_64 0
		.amdhsa_float_denorm_mode_32 3
		.amdhsa_float_denorm_mode_16_64 3
		.amdhsa_fp16_overflow 0
		.amdhsa_workgroup_processor_mode 1
		.amdhsa_memory_ordered 1
		.amdhsa_forward_progress 1
		.amdhsa_inst_pref_size 255
		.amdhsa_round_robin_scheduling 0
		.amdhsa_exception_fp_ieee_invalid_op 0
		.amdhsa_exception_fp_denorm_src 0
		.amdhsa_exception_fp_ieee_div_zero 0
		.amdhsa_exception_fp_ieee_overflow 0
		.amdhsa_exception_fp_ieee_underflow 0
		.amdhsa_exception_fp_ieee_inexact 0
		.amdhsa_exception_int_div_zero 0
	.end_amdhsa_kernel
	.section	.text._ZN9rocsolver6v33100L18getri_kernel_smallILi59E19rocblas_complex_numIfEPKPS3_EEvT1_iilPiilS8_bb,"axG",@progbits,_ZN9rocsolver6v33100L18getri_kernel_smallILi59E19rocblas_complex_numIfEPKPS3_EEvT1_iilPiilS8_bb,comdat
.Lfunc_end122:
	.size	_ZN9rocsolver6v33100L18getri_kernel_smallILi59E19rocblas_complex_numIfEPKPS3_EEvT1_iilPiilS8_bb, .Lfunc_end122-_ZN9rocsolver6v33100L18getri_kernel_smallILi59E19rocblas_complex_numIfEPKPS3_EEvT1_iilPiilS8_bb
                                        ; -- End function
	.set _ZN9rocsolver6v33100L18getri_kernel_smallILi59E19rocblas_complex_numIfEPKPS3_EEvT1_iilPiilS8_bb.num_vgpr, 252
	.set _ZN9rocsolver6v33100L18getri_kernel_smallILi59E19rocblas_complex_numIfEPKPS3_EEvT1_iilPiilS8_bb.num_agpr, 0
	.set _ZN9rocsolver6v33100L18getri_kernel_smallILi59E19rocblas_complex_numIfEPKPS3_EEvT1_iilPiilS8_bb.numbered_sgpr, 19
	.set _ZN9rocsolver6v33100L18getri_kernel_smallILi59E19rocblas_complex_numIfEPKPS3_EEvT1_iilPiilS8_bb.num_named_barrier, 0
	.set _ZN9rocsolver6v33100L18getri_kernel_smallILi59E19rocblas_complex_numIfEPKPS3_EEvT1_iilPiilS8_bb.private_seg_size, 480
	.set _ZN9rocsolver6v33100L18getri_kernel_smallILi59E19rocblas_complex_numIfEPKPS3_EEvT1_iilPiilS8_bb.uses_vcc, 1
	.set _ZN9rocsolver6v33100L18getri_kernel_smallILi59E19rocblas_complex_numIfEPKPS3_EEvT1_iilPiilS8_bb.uses_flat_scratch, 1
	.set _ZN9rocsolver6v33100L18getri_kernel_smallILi59E19rocblas_complex_numIfEPKPS3_EEvT1_iilPiilS8_bb.has_dyn_sized_stack, 0
	.set _ZN9rocsolver6v33100L18getri_kernel_smallILi59E19rocblas_complex_numIfEPKPS3_EEvT1_iilPiilS8_bb.has_recursion, 0
	.set _ZN9rocsolver6v33100L18getri_kernel_smallILi59E19rocblas_complex_numIfEPKPS3_EEvT1_iilPiilS8_bb.has_indirect_call, 0
	.section	.AMDGPU.csdata,"",@progbits
; Kernel info:
; codeLenInByte = 114428
; TotalNumSgprs: 21
; NumVgprs: 252
; ScratchSize: 480
; MemoryBound: 0
; FloatMode: 240
; IeeeMode: 1
; LDSByteSize: 952 bytes/workgroup (compile time only)
; SGPRBlocks: 0
; VGPRBlocks: 31
; NumSGPRsForWavesPerEU: 21
; NumVGPRsForWavesPerEU: 252
; Occupancy: 5
; WaveLimiterHint : 1
; COMPUTE_PGM_RSRC2:SCRATCH_EN: 1
; COMPUTE_PGM_RSRC2:USER_SGPR: 2
; COMPUTE_PGM_RSRC2:TRAP_HANDLER: 0
; COMPUTE_PGM_RSRC2:TGID_X_EN: 1
; COMPUTE_PGM_RSRC2:TGID_Y_EN: 0
; COMPUTE_PGM_RSRC2:TGID_Z_EN: 0
; COMPUTE_PGM_RSRC2:TIDIG_COMP_CNT: 0
	.section	.text._ZN9rocsolver6v33100L18getri_kernel_smallILi60E19rocblas_complex_numIfEPKPS3_EEvT1_iilPiilS8_bb,"axG",@progbits,_ZN9rocsolver6v33100L18getri_kernel_smallILi60E19rocblas_complex_numIfEPKPS3_EEvT1_iilPiilS8_bb,comdat
	.globl	_ZN9rocsolver6v33100L18getri_kernel_smallILi60E19rocblas_complex_numIfEPKPS3_EEvT1_iilPiilS8_bb ; -- Begin function _ZN9rocsolver6v33100L18getri_kernel_smallILi60E19rocblas_complex_numIfEPKPS3_EEvT1_iilPiilS8_bb
	.p2align	8
	.type	_ZN9rocsolver6v33100L18getri_kernel_smallILi60E19rocblas_complex_numIfEPKPS3_EEvT1_iilPiilS8_bb,@function
_ZN9rocsolver6v33100L18getri_kernel_smallILi60E19rocblas_complex_numIfEPKPS3_EEvT1_iilPiilS8_bb: ; @_ZN9rocsolver6v33100L18getri_kernel_smallILi60E19rocblas_complex_numIfEPKPS3_EEvT1_iilPiilS8_bb
; %bb.0:
	s_mov_b32 s2, exec_lo
	v_cmpx_gt_u32_e32 60, v0
	s_cbranch_execz .LBB123_254
; %bb.1:
	s_clause 0x1
	s_load_b32 s13, s[0:1], 0x38
	s_load_b64 s[2:3], s[0:1], 0x0
	s_mov_b32 s8, ttmp9
	s_load_b128 s[4:7], s[0:1], 0x28
	s_wait_kmcnt 0x0
	s_bitcmp1_b32 s13, 8
	s_cselect_b32 s12, -1, 0
	s_ashr_i32 s9, ttmp9, 31
	s_delay_alu instid0(SALU_CYCLE_1) | instskip(NEXT) | instid1(SALU_CYCLE_1)
	s_lshl_b64 s[10:11], s[8:9], 3
	s_add_nc_u64 s[2:3], s[2:3], s[10:11]
	s_load_b64 s[10:11], s[2:3], 0x0
	s_bfe_u32 s2, s13, 0x10008
	s_delay_alu instid0(SALU_CYCLE_1)
	s_cmp_eq_u32 s2, 0
                                        ; implicit-def: $sgpr2_sgpr3
	s_cbranch_scc1 .LBB123_3
; %bb.2:
	s_load_b96 s[16:18], s[0:1], 0x18
	s_mul_u64 s[2:3], s[4:5], s[8:9]
	s_delay_alu instid0(SALU_CYCLE_1)
	s_lshl_b64 s[2:3], s[2:3], 2
	s_wait_kmcnt 0x0
	s_ashr_i32 s5, s18, 31
	s_mov_b32 s4, s18
	s_add_nc_u64 s[2:3], s[16:17], s[2:3]
	s_lshl_b64 s[4:5], s[4:5], 2
	s_delay_alu instid0(SALU_CYCLE_1)
	s_add_nc_u64 s[2:3], s[2:3], s[4:5]
.LBB123_3:
	s_clause 0x1
	s_load_b64 s[4:5], s[0:1], 0x8
	s_load_b32 s13, s[0:1], 0x38
	v_lshlrev_b32_e32 v7, 3, v0
	s_wait_kmcnt 0x0
	s_ashr_i32 s1, s4, 31
	s_mov_b32 s0, s4
	v_add3_u32 v3, s5, s5, v0
	s_lshl_b64 s[0:1], s[0:1], 3
	s_delay_alu instid0(SALU_CYCLE_1)
	s_add_nc_u64 s[0:1], s[10:11], s[0:1]
	s_ashr_i32 s11, s5, 31
	v_add_co_u32 v33, s4, s0, v7
	s_wait_alu 0xf1ff
	v_add_co_ci_u32_e64 v34, null, s1, 0, s4
	s_mov_b32 s10, s5
	v_ashrrev_i32_e32 v4, 31, v3
	s_lshl_b64 s[10:11], s[10:11], 3
	flat_load_b64 v[1:2], v[33:34]
	v_add_co_u32 v35, vcc_lo, v33, s10
	s_delay_alu instid0(VALU_DEP_1) | instskip(SKIP_3) | instid1(VALU_DEP_2)
	v_add_co_ci_u32_e64 v36, null, s11, v34, vcc_lo
	v_lshlrev_b64_e32 v[4:5], 3, v[3:4]
	v_add_nc_u32_e32 v3, s5, v3
	s_bitcmp0_b32 s13, 0
	v_add_co_u32 v37, vcc_lo, s0, v4
	s_wait_alu 0xfffd
	s_delay_alu instid0(VALU_DEP_3) | instskip(SKIP_1) | instid1(VALU_DEP_1)
	v_add_co_ci_u32_e64 v38, null, s1, v5, vcc_lo
	v_ashrrev_i32_e32 v4, 31, v3
	v_lshlrev_b64_e32 v[4:5], 3, v[3:4]
	v_add_nc_u32_e32 v3, s5, v3
	s_delay_alu instid0(VALU_DEP_2) | instskip(SKIP_1) | instid1(VALU_DEP_3)
	v_add_co_u32 v39, vcc_lo, s0, v4
	s_wait_alu 0xfffd
	v_add_co_ci_u32_e64 v40, null, s1, v5, vcc_lo
	s_delay_alu instid0(VALU_DEP_3) | instskip(NEXT) | instid1(VALU_DEP_1)
	v_ashrrev_i32_e32 v4, 31, v3
	v_lshlrev_b64_e32 v[4:5], 3, v[3:4]
	v_add_nc_u32_e32 v3, s5, v3
	s_delay_alu instid0(VALU_DEP_2) | instskip(SKIP_1) | instid1(VALU_DEP_3)
	v_add_co_u32 v41, vcc_lo, s0, v4
	s_wait_alu 0xfffd
	v_add_co_ci_u32_e64 v42, null, s1, v5, vcc_lo
	s_delay_alu instid0(VALU_DEP_3) | instskip(NEXT) | instid1(VALU_DEP_1)
	;; [unrolled: 8-line block ×20, first 2 shown]
	v_ashrrev_i32_e32 v4, 31, v3
	v_lshlrev_b64_e32 v[4:5], 3, v[3:4]
	s_wait_loadcnt_dscnt 0x0
	scratch_store_b64 off, v[1:2], off
	flat_load_b64 v[1:2], v[35:36]
	v_add_nc_u32_e32 v3, s5, v3
	v_add_co_u32 v79, vcc_lo, s0, v4
	s_wait_alu 0xfffd
	v_add_co_ci_u32_e64 v80, null, s1, v5, vcc_lo
	s_delay_alu instid0(VALU_DEP_3) | instskip(NEXT) | instid1(VALU_DEP_1)
	v_ashrrev_i32_e32 v4, 31, v3
	v_lshlrev_b64_e32 v[4:5], 3, v[3:4]
	v_add_nc_u32_e32 v3, s5, v3
	s_delay_alu instid0(VALU_DEP_2) | instskip(SKIP_1) | instid1(VALU_DEP_3)
	v_add_co_u32 v81, vcc_lo, s0, v4
	s_wait_alu 0xfffd
	v_add_co_ci_u32_e64 v82, null, s1, v5, vcc_lo
	s_delay_alu instid0(VALU_DEP_3) | instskip(NEXT) | instid1(VALU_DEP_1)
	v_ashrrev_i32_e32 v4, 31, v3
	v_lshlrev_b64_e32 v[4:5], 3, v[3:4]
	v_add_nc_u32_e32 v3, s5, v3
	s_delay_alu instid0(VALU_DEP_2) | instskip(SKIP_1) | instid1(VALU_DEP_3)
	;; [unrolled: 8-line block ×20, first 2 shown]
	v_add_co_u32 v119, vcc_lo, s0, v4
	s_wait_alu 0xfffd
	v_add_co_ci_u32_e64 v120, null, s1, v5, vcc_lo
	s_delay_alu instid0(VALU_DEP_3) | instskip(NEXT) | instid1(VALU_DEP_1)
	v_ashrrev_i32_e32 v4, 31, v3
	v_lshlrev_b64_e32 v[4:5], 3, v[3:4]
	v_add_nc_u32_e32 v3, s5, v3
	s_delay_alu instid0(VALU_DEP_2)
	v_add_co_u32 v121, vcc_lo, s0, v4
	s_wait_loadcnt_dscnt 0x0
	scratch_store_b64 off, v[1:2], off offset:8
	flat_load_b64 v[1:2], v[37:38]
	s_wait_alu 0xfffd
	v_add_co_ci_u32_e64 v122, null, s1, v5, vcc_lo
	v_ashrrev_i32_e32 v4, 31, v3
	s_delay_alu instid0(VALU_DEP_1) | instskip(SKIP_1) | instid1(VALU_DEP_2)
	v_lshlrev_b64_e32 v[4:5], 3, v[3:4]
	v_add_nc_u32_e32 v3, s5, v3
	v_add_co_u32 v123, vcc_lo, s0, v4
	s_wait_alu 0xfffd
	s_delay_alu instid0(VALU_DEP_3) | instskip(NEXT) | instid1(VALU_DEP_3)
	v_add_co_ci_u32_e64 v124, null, s1, v5, vcc_lo
	v_ashrrev_i32_e32 v4, 31, v3
	s_delay_alu instid0(VALU_DEP_1) | instskip(SKIP_1) | instid1(VALU_DEP_2)
	v_lshlrev_b64_e32 v[4:5], 3, v[3:4]
	v_add_nc_u32_e32 v3, s5, v3
	v_add_co_u32 v125, vcc_lo, s0, v4
	s_wait_alu 0xfffd
	s_delay_alu instid0(VALU_DEP_3) | instskip(NEXT) | instid1(VALU_DEP_3)
	;; [unrolled: 8-line block ×14, first 2 shown]
	v_add_co_ci_u32_e64 v150, null, s1, v5, vcc_lo
	v_ashrrev_i32_e32 v4, 31, v3
	s_delay_alu instid0(VALU_DEP_1) | instskip(NEXT) | instid1(VALU_DEP_1)
	v_lshlrev_b64_e32 v[3:4], 3, v[3:4]
	v_add_co_u32 v151, vcc_lo, s0, v3
	s_wait_alu 0xfffd
	s_delay_alu instid0(VALU_DEP_2)
	v_add_co_ci_u32_e64 v152, null, s1, v4, vcc_lo
	s_mov_b32 s1, -1
	s_wait_loadcnt_dscnt 0x0
	scratch_store_b64 off, v[1:2], off offset:16
	flat_load_b64 v[1:2], v[39:40]
	s_wait_loadcnt_dscnt 0x0
	scratch_store_b64 off, v[1:2], off offset:24
	flat_load_b64 v[1:2], v[41:42]
	;; [unrolled: 3-line block ×57, first 2 shown]
	s_wait_loadcnt_dscnt 0x0
	scratch_store_b64 off, v[1:2], off offset:472
	s_cbranch_scc1 .LBB123_252
; %bb.4:
	v_cmp_eq_u32_e64 s0, 0, v0
	s_and_saveexec_b32 s1, s0
; %bb.5:
	v_mov_b32_e32 v1, 0
	ds_store_b32 v1, v1 offset:960
; %bb.6:
	s_wait_alu 0xfffe
	s_or_b32 exec_lo, exec_lo, s1
	s_wait_storecnt_dscnt 0x0
	s_barrier_signal -1
	s_barrier_wait -1
	global_inv scope:SCOPE_SE
	scratch_load_b64 v[1:2], v7, off
	s_wait_loadcnt 0x0
	v_cmp_eq_f32_e32 vcc_lo, 0, v1
	v_cmp_eq_f32_e64 s1, 0, v2
	s_and_b32 s1, vcc_lo, s1
	s_wait_alu 0xfffe
	s_and_saveexec_b32 s4, s1
	s_cbranch_execz .LBB123_10
; %bb.7:
	v_mov_b32_e32 v1, 0
	s_mov_b32 s5, 0
	ds_load_b32 v2, v1 offset:960
	s_wait_dscnt 0x0
	v_readfirstlane_b32 s1, v2
	v_add_nc_u32_e32 v2, 1, v0
	s_cmp_eq_u32 s1, 0
	s_delay_alu instid0(VALU_DEP_1)
	v_cmp_gt_i32_e32 vcc_lo, s1, v2
	s_cselect_b32 s10, -1, 0
	s_wait_alu 0xfffe
	s_or_b32 s10, s10, vcc_lo
	s_wait_alu 0xfffe
	s_and_b32 exec_lo, exec_lo, s10
	s_cbranch_execz .LBB123_10
; %bb.8:
	v_mov_b32_e32 v3, s1
.LBB123_9:                              ; =>This Inner Loop Header: Depth=1
	ds_cmpstore_rtn_b32 v3, v1, v2, v3 offset:960
	s_wait_dscnt 0x0
	v_cmp_ne_u32_e32 vcc_lo, 0, v3
	v_cmp_le_i32_e64 s1, v3, v2
	s_and_b32 s1, vcc_lo, s1
	s_wait_alu 0xfffe
	s_and_b32 s1, exec_lo, s1
	s_wait_alu 0xfffe
	s_or_b32 s5, s1, s5
	s_wait_alu 0xfffe
	s_and_not1_b32 exec_lo, exec_lo, s5
	s_cbranch_execnz .LBB123_9
.LBB123_10:
	s_wait_alu 0xfffe
	s_or_b32 exec_lo, exec_lo, s4
	v_mov_b32_e32 v1, 0
	s_barrier_signal -1
	s_barrier_wait -1
	global_inv scope:SCOPE_SE
	ds_load_b32 v2, v1 offset:960
	s_and_saveexec_b32 s1, s0
	s_cbranch_execz .LBB123_12
; %bb.11:
	s_lshl_b64 s[4:5], s[8:9], 2
	s_wait_alu 0xfffe
	s_add_nc_u64 s[4:5], s[6:7], s[4:5]
	s_wait_dscnt 0x0
	global_store_b32 v1, v2, s[4:5]
.LBB123_12:
	s_wait_alu 0xfffe
	s_or_b32 exec_lo, exec_lo, s1
	s_wait_dscnt 0x0
	v_cmp_ne_u32_e32 vcc_lo, 0, v2
	s_mov_b32 s1, 0
	s_cbranch_vccnz .LBB123_252
; %bb.13:
	v_mov_b32_e32 v8, v7
                                        ; implicit-def: $vgpr3
                                        ; implicit-def: $vgpr5
	scratch_load_b64 v[1:2], v8, off
	s_wait_loadcnt 0x0
	v_cmp_ngt_f32_e64 s1, |v1|, |v2|
	s_wait_alu 0xfffe
	s_and_saveexec_b32 s4, s1
	s_wait_alu 0xfffe
	s_xor_b32 s1, exec_lo, s4
	s_cbranch_execz .LBB123_15
; %bb.14:
	v_div_scale_f32 v3, null, v2, v2, v1
	v_div_scale_f32 v6, vcc_lo, v1, v2, v1
	s_delay_alu instid0(VALU_DEP_2) | instskip(NEXT) | instid1(TRANS32_DEP_1)
	v_rcp_f32_e32 v4, v3
	v_fma_f32 v5, -v3, v4, 1.0
	s_delay_alu instid0(VALU_DEP_1) | instskip(NEXT) | instid1(VALU_DEP_1)
	v_fmac_f32_e32 v4, v5, v4
	v_mul_f32_e32 v5, v6, v4
	s_delay_alu instid0(VALU_DEP_1) | instskip(NEXT) | instid1(VALU_DEP_1)
	v_fma_f32 v9, -v3, v5, v6
	v_fmac_f32_e32 v5, v9, v4
	s_delay_alu instid0(VALU_DEP_1) | instskip(SKIP_1) | instid1(VALU_DEP_1)
	v_fma_f32 v3, -v3, v5, v6
	s_wait_alu 0xfffd
	v_div_fmas_f32 v3, v3, v4, v5
	s_delay_alu instid0(VALU_DEP_1) | instskip(NEXT) | instid1(VALU_DEP_1)
	v_div_fixup_f32 v3, v3, v2, v1
	v_fmac_f32_e32 v2, v1, v3
	s_delay_alu instid0(VALU_DEP_1) | instskip(NEXT) | instid1(VALU_DEP_1)
	v_div_scale_f32 v1, null, v2, v2, 1.0
	v_rcp_f32_e32 v4, v1
	s_delay_alu instid0(TRANS32_DEP_1) | instskip(NEXT) | instid1(VALU_DEP_1)
	v_fma_f32 v5, -v1, v4, 1.0
	v_fmac_f32_e32 v4, v5, v4
	v_div_scale_f32 v5, vcc_lo, 1.0, v2, 1.0
	s_delay_alu instid0(VALU_DEP_1) | instskip(NEXT) | instid1(VALU_DEP_1)
	v_mul_f32_e32 v6, v5, v4
	v_fma_f32 v9, -v1, v6, v5
	s_delay_alu instid0(VALU_DEP_1) | instskip(NEXT) | instid1(VALU_DEP_1)
	v_fmac_f32_e32 v6, v9, v4
	v_fma_f32 v1, -v1, v6, v5
	s_wait_alu 0xfffd
	s_delay_alu instid0(VALU_DEP_1) | instskip(NEXT) | instid1(VALU_DEP_1)
	v_div_fmas_f32 v1, v1, v4, v6
	v_div_fixup_f32 v1, v1, v2, 1.0
	s_delay_alu instid0(VALU_DEP_1) | instskip(SKIP_1) | instid1(VALU_DEP_2)
	v_mul_f32_e32 v3, v3, v1
	v_xor_b32_e32 v4, 0x80000000, v1
                                        ; implicit-def: $vgpr1_vgpr2
	v_xor_b32_e32 v5, 0x80000000, v3
.LBB123_15:
	s_wait_alu 0xfffe
	s_and_not1_saveexec_b32 s1, s1
	s_cbranch_execz .LBB123_17
; %bb.16:
	v_div_scale_f32 v3, null, v1, v1, v2
	v_div_scale_f32 v6, vcc_lo, v2, v1, v2
	s_delay_alu instid0(VALU_DEP_2) | instskip(NEXT) | instid1(TRANS32_DEP_1)
	v_rcp_f32_e32 v4, v3
	v_fma_f32 v5, -v3, v4, 1.0
	s_delay_alu instid0(VALU_DEP_1) | instskip(NEXT) | instid1(VALU_DEP_1)
	v_fmac_f32_e32 v4, v5, v4
	v_mul_f32_e32 v5, v6, v4
	s_delay_alu instid0(VALU_DEP_1) | instskip(NEXT) | instid1(VALU_DEP_1)
	v_fma_f32 v9, -v3, v5, v6
	v_fmac_f32_e32 v5, v9, v4
	s_delay_alu instid0(VALU_DEP_1) | instskip(SKIP_1) | instid1(VALU_DEP_1)
	v_fma_f32 v3, -v3, v5, v6
	s_wait_alu 0xfffd
	v_div_fmas_f32 v3, v3, v4, v5
	s_delay_alu instid0(VALU_DEP_1) | instskip(NEXT) | instid1(VALU_DEP_1)
	v_div_fixup_f32 v4, v3, v1, v2
	v_fmac_f32_e32 v1, v2, v4
	s_delay_alu instid0(VALU_DEP_1) | instskip(SKIP_1) | instid1(VALU_DEP_2)
	v_div_scale_f32 v2, null, v1, v1, 1.0
	v_div_scale_f32 v6, vcc_lo, 1.0, v1, 1.0
	v_rcp_f32_e32 v3, v2
	s_delay_alu instid0(TRANS32_DEP_1) | instskip(NEXT) | instid1(VALU_DEP_1)
	v_fma_f32 v5, -v2, v3, 1.0
	v_fmac_f32_e32 v3, v5, v3
	s_delay_alu instid0(VALU_DEP_1) | instskip(NEXT) | instid1(VALU_DEP_1)
	v_mul_f32_e32 v5, v6, v3
	v_fma_f32 v9, -v2, v5, v6
	s_delay_alu instid0(VALU_DEP_1) | instskip(NEXT) | instid1(VALU_DEP_1)
	v_fmac_f32_e32 v5, v9, v3
	v_fma_f32 v2, -v2, v5, v6
	s_wait_alu 0xfffd
	s_delay_alu instid0(VALU_DEP_1) | instskip(NEXT) | instid1(VALU_DEP_1)
	v_div_fmas_f32 v2, v2, v3, v5
	v_div_fixup_f32 v3, v2, v1, 1.0
	s_delay_alu instid0(VALU_DEP_1)
	v_xor_b32_e32 v5, 0x80000000, v3
	v_mul_f32_e64 v4, v4, -v3
.LBB123_17:
	s_wait_alu 0xfffe
	s_or_b32 exec_lo, exec_lo, s1
	scratch_store_b64 v8, v[3:4], off
	scratch_load_b64 v[2:3], off, off offset:8
	v_xor_b32_e32 v6, 0x80000000, v4
	v_add_nc_u32_e32 v1, 0x1e0, v7
	s_wait_loadcnt 0x0
	ds_store_2addr_b64 v7, v[5:6], v[2:3] offset1:60
	s_wait_storecnt_dscnt 0x0
	s_barrier_signal -1
	s_barrier_wait -1
	global_inv scope:SCOPE_SE
	s_and_saveexec_b32 s1, s0
	s_cbranch_execz .LBB123_19
; %bb.18:
	scratch_load_b64 v[2:3], v8, off
	ds_load_b64 v[4:5], v1
	v_mov_b32_e32 v6, 0
	ds_load_b64 v[9:10], v6 offset:8
	s_wait_loadcnt_dscnt 0x1
	v_mul_f32_e32 v6, v4, v3
	v_mul_f32_e32 v3, v5, v3
	s_delay_alu instid0(VALU_DEP_2) | instskip(NEXT) | instid1(VALU_DEP_2)
	v_fmac_f32_e32 v6, v5, v2
	v_fma_f32 v2, v4, v2, -v3
	s_delay_alu instid0(VALU_DEP_2) | instskip(NEXT) | instid1(VALU_DEP_2)
	v_add_f32_e32 v4, 0, v6
	v_add_f32_e32 v2, 0, v2
	s_wait_dscnt 0x0
	s_delay_alu instid0(VALU_DEP_2) | instskip(NEXT) | instid1(VALU_DEP_2)
	v_mul_f32_e32 v5, v4, v10
	v_mul_f32_e32 v3, v2, v10
	s_delay_alu instid0(VALU_DEP_2) | instskip(NEXT) | instid1(VALU_DEP_2)
	v_fma_f32 v2, v2, v9, -v5
	v_fmac_f32_e32 v3, v4, v9
	scratch_store_b64 off, v[2:3], off offset:8
.LBB123_19:
	s_wait_alu 0xfffe
	s_or_b32 exec_lo, exec_lo, s1
	s_wait_loadcnt 0x0
	s_wait_storecnt 0x0
	s_barrier_signal -1
	s_barrier_wait -1
	global_inv scope:SCOPE_SE
	scratch_load_b64 v[2:3], off, off offset:16
	s_mov_b32 s1, exec_lo
	s_wait_loadcnt 0x0
	ds_store_b64 v1, v[2:3]
	s_wait_dscnt 0x0
	s_barrier_signal -1
	s_barrier_wait -1
	global_inv scope:SCOPE_SE
	v_cmpx_gt_u32_e32 2, v0
	s_cbranch_execz .LBB123_23
; %bb.20:
	scratch_load_b64 v[2:3], v8, off
	ds_load_b64 v[4:5], v1
	s_wait_loadcnt_dscnt 0x0
	v_mul_f32_e32 v6, v5, v3
	v_mul_f32_e32 v9, v4, v3
	s_delay_alu instid0(VALU_DEP_2) | instskip(NEXT) | instid1(VALU_DEP_2)
	v_fma_f32 v3, v4, v2, -v6
	v_fmac_f32_e32 v9, v5, v2
	s_delay_alu instid0(VALU_DEP_1)
	v_dual_add_f32 v3, 0, v3 :: v_dual_add_f32 v2, 0, v9
	s_and_saveexec_b32 s4, s0
	s_cbranch_execz .LBB123_22
; %bb.21:
	scratch_load_b64 v[4:5], off, off offset:8
	v_mov_b32_e32 v6, 0
	ds_load_b64 v[9:10], v6 offset:488
	s_wait_loadcnt_dscnt 0x0
	v_mul_f32_e32 v6, v9, v5
	v_mul_f32_e32 v5, v10, v5
	s_delay_alu instid0(VALU_DEP_2) | instskip(NEXT) | instid1(VALU_DEP_2)
	v_fmac_f32_e32 v6, v10, v4
	v_fma_f32 v4, v9, v4, -v5
	s_delay_alu instid0(VALU_DEP_1)
	v_dual_add_f32 v2, v2, v6 :: v_dual_add_f32 v3, v3, v4
.LBB123_22:
	s_wait_alu 0xfffe
	s_or_b32 exec_lo, exec_lo, s4
	v_mov_b32_e32 v4, 0
	ds_load_b64 v[4:5], v4 offset:16
	s_wait_dscnt 0x0
	v_mul_f32_e32 v9, v2, v5
	v_mul_f32_e32 v6, v3, v5
	s_delay_alu instid0(VALU_DEP_2) | instskip(NEXT) | instid1(VALU_DEP_2)
	v_fma_f32 v5, v3, v4, -v9
	v_fmac_f32_e32 v6, v2, v4
	scratch_store_b64 off, v[5:6], off offset:16
.LBB123_23:
	s_wait_alu 0xfffe
	s_or_b32 exec_lo, exec_lo, s1
	s_wait_loadcnt 0x0
	s_wait_storecnt 0x0
	s_barrier_signal -1
	s_barrier_wait -1
	global_inv scope:SCOPE_SE
	scratch_load_b64 v[3:4], off, off offset:24
	v_add_nc_u32_e32 v2, -1, v0
	s_mov_b32 s0, exec_lo
	s_wait_loadcnt 0x0
	ds_store_b64 v1, v[3:4]
	s_wait_dscnt 0x0
	s_barrier_signal -1
	s_barrier_wait -1
	global_inv scope:SCOPE_SE
	v_cmpx_gt_u32_e32 3, v0
	s_cbranch_execz .LBB123_27
; %bb.24:
	v_dual_mov_b32 v3, 0 :: v_dual_add_nc_u32 v4, -1, v0
	v_dual_mov_b32 v6, v7 :: v_dual_add_nc_u32 v5, 0x1e0, v7
	v_mov_b32_e32 v9, 0
	s_mov_b32 s1, 0
.LBB123_25:                             ; =>This Inner Loop Header: Depth=1
	scratch_load_b64 v[10:11], v6, off
	ds_load_b64 v[12:13], v5
	v_add_nc_u32_e32 v4, 1, v4
	v_add_nc_u32_e32 v5, 8, v5
	s_delay_alu instid0(VALU_DEP_2)
	v_cmp_lt_u32_e32 vcc_lo, 1, v4
	s_wait_alu 0xfffe
	s_or_b32 s1, vcc_lo, s1
	s_wait_loadcnt_dscnt 0x0
	v_mul_f32_e32 v14, v13, v11
	v_mul_f32_e32 v11, v12, v11
	s_delay_alu instid0(VALU_DEP_2) | instskip(NEXT) | instid1(VALU_DEP_2)
	v_fma_f32 v12, v12, v10, -v14
	v_fmac_f32_e32 v11, v13, v10
	s_delay_alu instid0(VALU_DEP_2) | instskip(NEXT) | instid1(VALU_DEP_2)
	v_dual_add_f32 v9, v9, v12 :: v_dual_add_nc_u32 v6, 8, v6
	v_add_f32_e32 v3, v3, v11
	s_wait_alu 0xfffe
	s_and_not1_b32 exec_lo, exec_lo, s1
	s_cbranch_execnz .LBB123_25
; %bb.26:
	s_or_b32 exec_lo, exec_lo, s1
	v_mov_b32_e32 v4, 0
	ds_load_b64 v[4:5], v4 offset:24
	s_wait_dscnt 0x0
	v_mul_f32_e32 v10, v3, v5
	v_mul_f32_e32 v6, v9, v5
	s_delay_alu instid0(VALU_DEP_2) | instskip(NEXT) | instid1(VALU_DEP_2)
	v_fma_f32 v5, v9, v4, -v10
	v_fmac_f32_e32 v6, v3, v4
	scratch_store_b64 off, v[5:6], off offset:24
.LBB123_27:
	s_wait_alu 0xfffe
	s_or_b32 exec_lo, exec_lo, s0
	s_wait_loadcnt 0x0
	s_wait_storecnt 0x0
	s_barrier_signal -1
	s_barrier_wait -1
	global_inv scope:SCOPE_SE
	scratch_load_b64 v[3:4], off, off offset:32
	s_mov_b32 s0, exec_lo
	s_wait_loadcnt 0x0
	ds_store_b64 v1, v[3:4]
	s_wait_dscnt 0x0
	s_barrier_signal -1
	s_barrier_wait -1
	global_inv scope:SCOPE_SE
	v_cmpx_gt_u32_e32 4, v0
	s_cbranch_execz .LBB123_31
; %bb.28:
	v_dual_mov_b32 v3, 0 :: v_dual_add_nc_u32 v4, -1, v0
	v_dual_mov_b32 v6, v7 :: v_dual_add_nc_u32 v5, 0x1e0, v7
	v_mov_b32_e32 v9, 0
	s_mov_b32 s1, 0
.LBB123_29:                             ; =>This Inner Loop Header: Depth=1
	scratch_load_b64 v[10:11], v6, off
	ds_load_b64 v[12:13], v5
	v_add_nc_u32_e32 v4, 1, v4
	v_add_nc_u32_e32 v5, 8, v5
	s_delay_alu instid0(VALU_DEP_2)
	v_cmp_lt_u32_e32 vcc_lo, 2, v4
	s_wait_alu 0xfffe
	s_or_b32 s1, vcc_lo, s1
	s_wait_loadcnt_dscnt 0x0
	v_mul_f32_e32 v14, v13, v11
	v_mul_f32_e32 v11, v12, v11
	s_delay_alu instid0(VALU_DEP_2) | instskip(NEXT) | instid1(VALU_DEP_2)
	v_fma_f32 v12, v12, v10, -v14
	v_fmac_f32_e32 v11, v13, v10
	s_delay_alu instid0(VALU_DEP_2) | instskip(NEXT) | instid1(VALU_DEP_2)
	v_dual_add_f32 v9, v9, v12 :: v_dual_add_nc_u32 v6, 8, v6
	v_add_f32_e32 v3, v3, v11
	s_wait_alu 0xfffe
	s_and_not1_b32 exec_lo, exec_lo, s1
	s_cbranch_execnz .LBB123_29
; %bb.30:
	s_or_b32 exec_lo, exec_lo, s1
	v_mov_b32_e32 v4, 0
	ds_load_b64 v[4:5], v4 offset:32
	s_wait_dscnt 0x0
	v_mul_f32_e32 v10, v3, v5
	v_mul_f32_e32 v6, v9, v5
	s_delay_alu instid0(VALU_DEP_2) | instskip(NEXT) | instid1(VALU_DEP_2)
	v_fma_f32 v5, v9, v4, -v10
	v_fmac_f32_e32 v6, v3, v4
	scratch_store_b64 off, v[5:6], off offset:32
.LBB123_31:
	s_wait_alu 0xfffe
	s_or_b32 exec_lo, exec_lo, s0
	s_wait_loadcnt 0x0
	s_wait_storecnt 0x0
	s_barrier_signal -1
	s_barrier_wait -1
	global_inv scope:SCOPE_SE
	scratch_load_b64 v[3:4], off, off offset:40
	;; [unrolled: 55-line block ×19, first 2 shown]
	s_mov_b32 s0, exec_lo
	s_wait_loadcnt 0x0
	ds_store_b64 v1, v[3:4]
	s_wait_dscnt 0x0
	s_barrier_signal -1
	s_barrier_wait -1
	global_inv scope:SCOPE_SE
	v_cmpx_gt_u32_e32 22, v0
	s_cbranch_execz .LBB123_103
; %bb.100:
	v_dual_mov_b32 v3, 0 :: v_dual_add_nc_u32 v4, -1, v0
	v_dual_mov_b32 v6, v7 :: v_dual_add_nc_u32 v5, 0x1e0, v7
	v_mov_b32_e32 v9, 0
	s_mov_b32 s1, 0
.LBB123_101:                            ; =>This Inner Loop Header: Depth=1
	scratch_load_b64 v[10:11], v6, off
	ds_load_b64 v[12:13], v5
	v_add_nc_u32_e32 v4, 1, v4
	v_add_nc_u32_e32 v5, 8, v5
	s_delay_alu instid0(VALU_DEP_2)
	v_cmp_lt_u32_e32 vcc_lo, 20, v4
	s_wait_alu 0xfffe
	s_or_b32 s1, vcc_lo, s1
	s_wait_loadcnt_dscnt 0x0
	v_mul_f32_e32 v14, v13, v11
	v_mul_f32_e32 v11, v12, v11
	s_delay_alu instid0(VALU_DEP_2) | instskip(NEXT) | instid1(VALU_DEP_2)
	v_fma_f32 v12, v12, v10, -v14
	v_fmac_f32_e32 v11, v13, v10
	s_delay_alu instid0(VALU_DEP_2) | instskip(NEXT) | instid1(VALU_DEP_2)
	v_dual_add_f32 v9, v9, v12 :: v_dual_add_nc_u32 v6, 8, v6
	v_add_f32_e32 v3, v3, v11
	s_wait_alu 0xfffe
	s_and_not1_b32 exec_lo, exec_lo, s1
	s_cbranch_execnz .LBB123_101
; %bb.102:
	s_or_b32 exec_lo, exec_lo, s1
	v_mov_b32_e32 v4, 0
	ds_load_b64 v[4:5], v4 offset:176
	s_wait_dscnt 0x0
	v_mul_f32_e32 v10, v3, v5
	v_mul_f32_e32 v6, v9, v5
	s_delay_alu instid0(VALU_DEP_2) | instskip(NEXT) | instid1(VALU_DEP_2)
	v_fma_f32 v5, v9, v4, -v10
	v_fmac_f32_e32 v6, v3, v4
	scratch_store_b64 off, v[5:6], off offset:176
.LBB123_103:
	s_wait_alu 0xfffe
	s_or_b32 exec_lo, exec_lo, s0
	s_wait_loadcnt 0x0
	s_wait_storecnt 0x0
	s_barrier_signal -1
	s_barrier_wait -1
	global_inv scope:SCOPE_SE
	scratch_load_b64 v[3:4], off, off offset:184
	s_mov_b32 s0, exec_lo
	s_wait_loadcnt 0x0
	ds_store_b64 v1, v[3:4]
	s_wait_dscnt 0x0
	s_barrier_signal -1
	s_barrier_wait -1
	global_inv scope:SCOPE_SE
	v_cmpx_gt_u32_e32 23, v0
	s_cbranch_execz .LBB123_107
; %bb.104:
	v_dual_mov_b32 v3, 0 :: v_dual_add_nc_u32 v4, -1, v0
	v_dual_mov_b32 v6, v7 :: v_dual_add_nc_u32 v5, 0x1e0, v7
	v_mov_b32_e32 v9, 0
	s_mov_b32 s1, 0
.LBB123_105:                            ; =>This Inner Loop Header: Depth=1
	scratch_load_b64 v[10:11], v6, off
	ds_load_b64 v[12:13], v5
	v_add_nc_u32_e32 v4, 1, v4
	v_add_nc_u32_e32 v5, 8, v5
	s_delay_alu instid0(VALU_DEP_2)
	v_cmp_lt_u32_e32 vcc_lo, 21, v4
	s_wait_alu 0xfffe
	s_or_b32 s1, vcc_lo, s1
	s_wait_loadcnt_dscnt 0x0
	v_mul_f32_e32 v14, v13, v11
	v_mul_f32_e32 v11, v12, v11
	s_delay_alu instid0(VALU_DEP_2) | instskip(NEXT) | instid1(VALU_DEP_2)
	v_fma_f32 v12, v12, v10, -v14
	v_fmac_f32_e32 v11, v13, v10
	s_delay_alu instid0(VALU_DEP_2) | instskip(NEXT) | instid1(VALU_DEP_2)
	v_dual_add_f32 v9, v9, v12 :: v_dual_add_nc_u32 v6, 8, v6
	v_add_f32_e32 v3, v3, v11
	s_wait_alu 0xfffe
	s_and_not1_b32 exec_lo, exec_lo, s1
	s_cbranch_execnz .LBB123_105
; %bb.106:
	s_or_b32 exec_lo, exec_lo, s1
	v_mov_b32_e32 v4, 0
	ds_load_b64 v[4:5], v4 offset:184
	s_wait_dscnt 0x0
	v_mul_f32_e32 v10, v3, v5
	v_mul_f32_e32 v6, v9, v5
	s_delay_alu instid0(VALU_DEP_2) | instskip(NEXT) | instid1(VALU_DEP_2)
	v_fma_f32 v5, v9, v4, -v10
	v_fmac_f32_e32 v6, v3, v4
	scratch_store_b64 off, v[5:6], off offset:184
.LBB123_107:
	s_wait_alu 0xfffe
	s_or_b32 exec_lo, exec_lo, s0
	s_wait_loadcnt 0x0
	s_wait_storecnt 0x0
	s_barrier_signal -1
	s_barrier_wait -1
	global_inv scope:SCOPE_SE
	scratch_load_b64 v[3:4], off, off offset:192
	;; [unrolled: 55-line block ×36, first 2 shown]
	s_mov_b32 s0, exec_lo
	s_wait_loadcnt 0x0
	ds_store_b64 v1, v[3:4]
	s_wait_dscnt 0x0
	s_barrier_signal -1
	s_barrier_wait -1
	global_inv scope:SCOPE_SE
	v_cmpx_gt_u32_e32 58, v0
	s_cbranch_execz .LBB123_247
; %bb.244:
	v_dual_mov_b32 v3, 0 :: v_dual_add_nc_u32 v4, -1, v0
	v_dual_mov_b32 v6, v7 :: v_dual_add_nc_u32 v5, 0x1e0, v7
	v_mov_b32_e32 v7, 0
	s_mov_b32 s1, 0
.LBB123_245:                            ; =>This Inner Loop Header: Depth=1
	scratch_load_b64 v[9:10], v6, off
	ds_load_b64 v[11:12], v5
	v_add_nc_u32_e32 v6, 8, v6
	v_add_nc_u32_e32 v4, 1, v4
	;; [unrolled: 1-line block ×3, first 2 shown]
	s_delay_alu instid0(VALU_DEP_2)
	v_cmp_lt_u32_e32 vcc_lo, 56, v4
	s_wait_alu 0xfffe
	s_or_b32 s1, vcc_lo, s1
	s_wait_loadcnt_dscnt 0x0
	v_mul_f32_e32 v13, v12, v10
	v_mul_f32_e32 v10, v11, v10
	s_delay_alu instid0(VALU_DEP_2) | instskip(NEXT) | instid1(VALU_DEP_1)
	v_fma_f32 v11, v11, v9, -v13
	v_dual_fmac_f32 v10, v12, v9 :: v_dual_add_f32 v7, v7, v11
	s_delay_alu instid0(VALU_DEP_1)
	v_add_f32_e32 v3, v3, v10
	s_wait_alu 0xfffe
	s_and_not1_b32 exec_lo, exec_lo, s1
	s_cbranch_execnz .LBB123_245
; %bb.246:
	s_or_b32 exec_lo, exec_lo, s1
	v_mov_b32_e32 v4, 0
	ds_load_b64 v[4:5], v4 offset:464
	s_wait_dscnt 0x0
	v_mul_f32_e32 v9, v3, v5
	v_mul_f32_e32 v6, v7, v5
	s_delay_alu instid0(VALU_DEP_2) | instskip(NEXT) | instid1(VALU_DEP_2)
	v_fma_f32 v5, v7, v4, -v9
	v_fmac_f32_e32 v6, v3, v4
	scratch_store_b64 off, v[5:6], off offset:464
.LBB123_247:
	s_wait_alu 0xfffe
	s_or_b32 exec_lo, exec_lo, s0
	s_wait_loadcnt 0x0
	s_wait_storecnt 0x0
	s_barrier_signal -1
	s_barrier_wait -1
	global_inv scope:SCOPE_SE
	scratch_load_b64 v[3:4], off, off offset:472
	s_mov_b32 s0, exec_lo
	s_wait_loadcnt 0x0
	ds_store_b64 v1, v[3:4]
	s_wait_dscnt 0x0
	s_barrier_signal -1
	s_barrier_wait -1
	global_inv scope:SCOPE_SE
	v_cmpx_ne_u32_e32 59, v0
	s_cbranch_execz .LBB123_251
; %bb.248:
	v_dual_mov_b32 v3, 0 :: v_dual_mov_b32 v4, 0
	s_mov_b32 s1, 0
.LBB123_249:                            ; =>This Inner Loop Header: Depth=1
	scratch_load_b64 v[5:6], v8, off
	ds_load_b64 v[9:10], v1
	v_add_nc_u32_e32 v2, 1, v2
	v_add_nc_u32_e32 v1, 8, v1
	v_add_nc_u32_e32 v8, 8, v8
	s_delay_alu instid0(VALU_DEP_3)
	v_cmp_lt_u32_e32 vcc_lo, 57, v2
	s_wait_alu 0xfffe
	s_or_b32 s1, vcc_lo, s1
	s_wait_loadcnt_dscnt 0x0
	v_mul_f32_e32 v7, v10, v6
	v_mul_f32_e32 v6, v9, v6
	s_delay_alu instid0(VALU_DEP_2) | instskip(NEXT) | instid1(VALU_DEP_2)
	v_fma_f32 v7, v9, v5, -v7
	v_fmac_f32_e32 v6, v10, v5
	s_delay_alu instid0(VALU_DEP_1)
	v_dual_add_f32 v4, v4, v7 :: v_dual_add_f32 v3, v3, v6
	s_wait_alu 0xfffe
	s_and_not1_b32 exec_lo, exec_lo, s1
	s_cbranch_execnz .LBB123_249
; %bb.250:
	s_or_b32 exec_lo, exec_lo, s1
	v_mov_b32_e32 v1, 0
	ds_load_b64 v[1:2], v1 offset:472
	s_wait_dscnt 0x0
	v_mul_f32_e32 v6, v3, v2
	v_mul_f32_e32 v5, v4, v2
	s_delay_alu instid0(VALU_DEP_2) | instskip(NEXT) | instid1(VALU_DEP_2)
	v_fma_f32 v4, v4, v1, -v6
	v_fmac_f32_e32 v5, v3, v1
	scratch_store_b64 off, v[4:5], off offset:472
.LBB123_251:
	s_wait_alu 0xfffe
	s_or_b32 exec_lo, exec_lo, s0
	s_mov_b32 s1, -1
	s_wait_loadcnt 0x0
	s_wait_storecnt 0x0
	s_barrier_signal -1
	s_barrier_wait -1
	global_inv scope:SCOPE_SE
.LBB123_252:
	s_wait_alu 0xfffe
	s_and_b32 vcc_lo, exec_lo, s1
	s_wait_alu 0xfffe
	s_cbranch_vccz .LBB123_254
; %bb.253:
	v_mov_b32_e32 v1, 0
	s_lshl_b64 s[0:1], s[8:9], 2
	s_wait_alu 0xfffe
	s_add_nc_u64 s[0:1], s[6:7], s[0:1]
	global_load_b32 v1, v1, s[0:1]
	s_wait_loadcnt 0x0
	v_cmp_ne_u32_e32 vcc_lo, 0, v1
	s_cbranch_vccz .LBB123_255
.LBB123_254:
	s_nop 0
	s_sendmsg sendmsg(MSG_DEALLOC_VGPRS)
	s_endpgm
.LBB123_255:
	v_lshl_add_u32 v155, v0, 3, 0x1e0
	s_mov_b32 s0, exec_lo
	v_cmpx_eq_u32_e32 59, v0
	s_cbranch_execz .LBB123_257
; %bb.256:
	scratch_load_b64 v[1:2], off, off offset:464
	v_mov_b32_e32 v3, 0
	s_delay_alu instid0(VALU_DEP_1)
	v_mov_b32_e32 v4, v3
	scratch_store_b64 off, v[3:4], off offset:464
	s_wait_loadcnt 0x0
	ds_store_b64 v155, v[1:2]
.LBB123_257:
	s_wait_alu 0xfffe
	s_or_b32 exec_lo, exec_lo, s0
	s_wait_storecnt_dscnt 0x0
	s_barrier_signal -1
	s_barrier_wait -1
	global_inv scope:SCOPE_SE
	s_clause 0x1
	scratch_load_b64 v[2:3], off, off offset:472
	scratch_load_b64 v[4:5], off, off offset:464
	v_mov_b32_e32 v1, 0
	s_mov_b32 s0, exec_lo
	ds_load_b64 v[6:7], v1 offset:952
	s_wait_loadcnt_dscnt 0x100
	v_mul_f32_e32 v8, v7, v3
	v_mul_f32_e32 v3, v6, v3
	s_delay_alu instid0(VALU_DEP_2) | instskip(NEXT) | instid1(VALU_DEP_2)
	v_fma_f32 v6, v6, v2, -v8
	v_fmac_f32_e32 v3, v7, v2
	s_delay_alu instid0(VALU_DEP_1) | instskip(SKIP_1) | instid1(VALU_DEP_1)
	v_dual_add_f32 v2, 0, v6 :: v_dual_add_f32 v3, 0, v3
	s_wait_loadcnt 0x0
	v_dual_sub_f32 v2, v4, v2 :: v_dual_sub_f32 v3, v5, v3
	scratch_store_b64 off, v[2:3], off offset:464
	v_cmpx_lt_u32_e32 57, v0
	s_cbranch_execz .LBB123_259
; %bb.258:
	scratch_load_b64 v[3:4], off, off offset:456
	v_mov_b32_e32 v2, v1
	scratch_store_b64 off, v[1:2], off offset:456
	s_wait_loadcnt 0x0
	ds_store_b64 v155, v[3:4]
.LBB123_259:
	s_wait_alu 0xfffe
	s_or_b32 exec_lo, exec_lo, s0
	s_wait_storecnt_dscnt 0x0
	s_barrier_signal -1
	s_barrier_wait -1
	global_inv scope:SCOPE_SE
	s_clause 0x1
	scratch_load_b128 v[2:5], off, off offset:464
	scratch_load_b64 v[10:11], off, off offset:456
	ds_load_b128 v[6:9], v1 offset:944
	s_mov_b32 s0, exec_lo
	s_wait_loadcnt_dscnt 0x100
	v_dual_mul_f32 v1, v7, v3 :: v_dual_mul_f32 v12, v8, v5
	v_mul_f32_e32 v3, v6, v3
	s_delay_alu instid0(VALU_DEP_2) | instskip(NEXT) | instid1(VALU_DEP_2)
	v_fma_f32 v1, v6, v2, -v1
	v_dual_fmac_f32 v12, v9, v4 :: v_dual_fmac_f32 v3, v7, v2
	s_delay_alu instid0(VALU_DEP_2) | instskip(NEXT) | instid1(VALU_DEP_2)
	v_add_f32_e32 v1, 0, v1
	v_add_f32_e32 v3, 0, v3
	v_mul_f32_e32 v5, v9, v5
	s_delay_alu instid0(VALU_DEP_1) | instskip(NEXT) | instid1(VALU_DEP_1)
	v_fma_f32 v2, v8, v4, -v5
	v_dual_add_f32 v1, v1, v2 :: v_dual_add_f32 v2, v3, v12
	s_wait_loadcnt 0x0
	s_delay_alu instid0(VALU_DEP_1)
	v_dual_sub_f32 v1, v10, v1 :: v_dual_sub_f32 v2, v11, v2
	scratch_store_b64 off, v[1:2], off offset:456
	v_cmpx_lt_u32_e32 56, v0
	s_cbranch_execz .LBB123_261
; %bb.260:
	scratch_load_b64 v[1:2], off, off offset:448
	v_mov_b32_e32 v3, 0
	s_delay_alu instid0(VALU_DEP_1)
	v_mov_b32_e32 v4, v3
	scratch_store_b64 off, v[3:4], off offset:448
	s_wait_loadcnt 0x0
	ds_store_b64 v155, v[1:2]
.LBB123_261:
	s_wait_alu 0xfffe
	s_or_b32 exec_lo, exec_lo, s0
	s_wait_storecnt_dscnt 0x0
	s_barrier_signal -1
	s_barrier_wait -1
	global_inv scope:SCOPE_SE
	s_clause 0x2
	scratch_load_b128 v[2:5], off, off offset:456
	scratch_load_b64 v[10:11], off, off offset:472
	scratch_load_b64 v[12:13], off, off offset:448
	v_mov_b32_e32 v1, 0
	ds_load_2addr_b64 v[6:9], v1 offset0:117 offset1:118
	ds_load_b64 v[14:15], v1 offset:952
	s_mov_b32 s0, exec_lo
	s_wait_loadcnt_dscnt 0x201
	v_dual_mul_f32 v16, v7, v3 :: v_dual_mul_f32 v17, v8, v5
	s_wait_loadcnt_dscnt 0x100
	v_mul_f32_e32 v18, v14, v11
	v_mul_f32_e32 v3, v6, v3
	;; [unrolled: 1-line block ×3, first 2 shown]
	v_fma_f32 v6, v6, v2, -v16
	s_delay_alu instid0(VALU_DEP_4) | instskip(NEXT) | instid1(VALU_DEP_4)
	v_fmac_f32_e32 v18, v15, v10
	v_fmac_f32_e32 v3, v7, v2
	v_mul_f32_e32 v2, v15, v11
	s_delay_alu instid0(VALU_DEP_1) | instskip(SKIP_3) | instid1(VALU_DEP_1)
	v_fma_f32 v2, v14, v10, -v2
	v_fmac_f32_e32 v17, v9, v4
	v_fma_f32 v4, v8, v4, -v5
	v_add_f32_e32 v5, 0, v6
	v_add_f32_e32 v4, v5, v4
	s_delay_alu instid0(VALU_DEP_1) | instskip(SKIP_1) | instid1(VALU_DEP_1)
	v_dual_add_f32 v2, v4, v2 :: v_dual_add_f32 v3, 0, v3
	s_wait_loadcnt 0x0
	v_dual_sub_f32 v2, v12, v2 :: v_dual_add_f32 v3, v3, v17
	s_delay_alu instid0(VALU_DEP_1) | instskip(NEXT) | instid1(VALU_DEP_1)
	v_add_f32_e32 v3, v3, v18
	v_sub_f32_e32 v3, v13, v3
	scratch_store_b64 off, v[2:3], off offset:448
	v_cmpx_lt_u32_e32 55, v0
	s_cbranch_execz .LBB123_263
; %bb.262:
	scratch_load_b64 v[3:4], off, off offset:440
	v_mov_b32_e32 v2, v1
	scratch_store_b64 off, v[1:2], off offset:440
	s_wait_loadcnt 0x0
	ds_store_b64 v155, v[3:4]
.LBB123_263:
	s_wait_alu 0xfffe
	s_or_b32 exec_lo, exec_lo, s0
	s_wait_storecnt_dscnt 0x0
	s_barrier_signal -1
	s_barrier_wait -1
	global_inv scope:SCOPE_SE
	s_clause 0x2
	scratch_load_b128 v[2:5], off, off offset:448
	scratch_load_b128 v[6:9], off, off offset:464
	scratch_load_b64 v[18:19], off, off offset:440
	ds_load_b128 v[10:13], v1 offset:928
	ds_load_b128 v[14:17], v1 offset:944
	s_mov_b32 s0, exec_lo
	s_wait_loadcnt_dscnt 0x201
	v_dual_mul_f32 v1, v10, v3 :: v_dual_mul_f32 v20, v12, v5
	s_wait_loadcnt_dscnt 0x100
	v_dual_mul_f32 v3, v11, v3 :: v_dual_mul_f32 v22, v16, v9
	v_mul_f32_e32 v5, v13, v5
	s_delay_alu instid0(VALU_DEP_3) | instskip(NEXT) | instid1(VALU_DEP_3)
	v_dual_mul_f32 v21, v14, v7 :: v_dual_fmac_f32 v20, v13, v4
	v_fma_f32 v3, v10, v2, -v3
	s_delay_alu instid0(VALU_DEP_4) | instskip(SKIP_2) | instid1(VALU_DEP_4)
	v_dual_fmac_f32 v1, v11, v2 :: v_dual_fmac_f32 v22, v17, v8
	v_mul_f32_e32 v2, v15, v7
	v_fma_f32 v4, v12, v4, -v5
	v_add_f32_e32 v3, 0, v3
	v_fmac_f32_e32 v21, v15, v6
	s_delay_alu instid0(VALU_DEP_4) | instskip(NEXT) | instid1(VALU_DEP_3)
	v_fma_f32 v2, v14, v6, -v2
	v_add_f32_e32 v3, v3, v4
	s_delay_alu instid0(VALU_DEP_1) | instskip(NEXT) | instid1(VALU_DEP_1)
	v_dual_add_f32 v1, 0, v1 :: v_dual_add_f32 v2, v3, v2
	v_add_f32_e32 v1, v1, v20
	s_delay_alu instid0(VALU_DEP_1) | instskip(NEXT) | instid1(VALU_DEP_1)
	v_add_f32_e32 v1, v1, v21
	v_add_f32_e32 v3, v1, v22
	v_mul_f32_e32 v5, v17, v9
	s_delay_alu instid0(VALU_DEP_1) | instskip(NEXT) | instid1(VALU_DEP_1)
	v_fma_f32 v4, v16, v8, -v5
	v_add_f32_e32 v2, v2, v4
	s_wait_loadcnt 0x0
	s_delay_alu instid0(VALU_DEP_1)
	v_dual_sub_f32 v1, v18, v2 :: v_dual_sub_f32 v2, v19, v3
	scratch_store_b64 off, v[1:2], off offset:440
	v_cmpx_lt_u32_e32 54, v0
	s_cbranch_execz .LBB123_265
; %bb.264:
	scratch_load_b64 v[1:2], off, off offset:432
	v_mov_b32_e32 v3, 0
	s_delay_alu instid0(VALU_DEP_1)
	v_mov_b32_e32 v4, v3
	scratch_store_b64 off, v[3:4], off offset:432
	s_wait_loadcnt 0x0
	ds_store_b64 v155, v[1:2]
.LBB123_265:
	s_wait_alu 0xfffe
	s_or_b32 exec_lo, exec_lo, s0
	s_wait_storecnt_dscnt 0x0
	s_barrier_signal -1
	s_barrier_wait -1
	global_inv scope:SCOPE_SE
	s_clause 0x3
	scratch_load_b128 v[2:5], off, off offset:440
	scratch_load_b128 v[6:9], off, off offset:456
	scratch_load_b64 v[18:19], off, off offset:472
	scratch_load_b64 v[20:21], off, off offset:432
	v_mov_b32_e32 v1, 0
	ds_load_2addr_b64 v[10:13], v1 offset0:115 offset1:116
	ds_load_2addr_b64 v[14:17], v1 offset0:117 offset1:118
	ds_load_b64 v[22:23], v1 offset:952
	s_mov_b32 s0, exec_lo
	s_wait_loadcnt_dscnt 0x302
	v_dual_mul_f32 v24, v10, v3 :: v_dual_mul_f32 v25, v12, v5
	s_wait_loadcnt_dscnt 0x201
	v_dual_mul_f32 v26, v14, v7 :: v_dual_mul_f32 v5, v13, v5
	;; [unrolled: 2-line block ×3, first 2 shown]
	v_dual_fmac_f32 v24, v11, v2 :: v_dual_fmac_f32 v25, v13, v4
	s_delay_alu instid0(VALU_DEP_3) | instskip(SKIP_1) | instid1(VALU_DEP_3)
	v_fmac_f32_e32 v26, v15, v6
	v_fma_f32 v4, v12, v4, -v5
	v_dual_fmac_f32 v28, v23, v18 :: v_dual_add_f32 v5, 0, v24
	v_mul_f32_e32 v3, v11, v3
	s_delay_alu instid0(VALU_DEP_1) | instskip(SKIP_1) | instid1(VALU_DEP_2)
	v_fma_f32 v3, v10, v2, -v3
	v_dual_mul_f32 v2, v15, v7 :: v_dual_mul_f32 v7, v17, v9
	v_add_f32_e32 v3, 0, v3
	s_delay_alu instid0(VALU_DEP_2) | instskip(NEXT) | instid1(VALU_DEP_3)
	v_fma_f32 v2, v14, v6, -v2
	v_fma_f32 v6, v16, v8, -v7
	s_delay_alu instid0(VALU_DEP_3) | instskip(NEXT) | instid1(VALU_DEP_1)
	v_add_f32_e32 v3, v3, v4
	v_add_f32_e32 v2, v3, v2
	;; [unrolled: 1-line block ×3, first 2 shown]
	s_delay_alu instid0(VALU_DEP_2) | instskip(NEXT) | instid1(VALU_DEP_2)
	v_dual_add_f32 v2, v2, v6 :: v_dual_mul_f32 v5, v23, v19
	v_add_f32_e32 v3, v4, v26
	s_delay_alu instid0(VALU_DEP_2) | instskip(NEXT) | instid1(VALU_DEP_1)
	v_fma_f32 v4, v22, v18, -v5
	v_add_f32_e32 v2, v2, v4
	s_wait_loadcnt 0x0
	s_delay_alu instid0(VALU_DEP_1) | instskip(NEXT) | instid1(VALU_DEP_1)
	v_dual_fmac_f32 v27, v17, v8 :: v_dual_sub_f32 v2, v20, v2
	v_add_f32_e32 v3, v3, v27
	s_delay_alu instid0(VALU_DEP_1) | instskip(NEXT) | instid1(VALU_DEP_1)
	v_add_f32_e32 v3, v3, v28
	v_sub_f32_e32 v3, v21, v3
	scratch_store_b64 off, v[2:3], off offset:432
	v_cmpx_lt_u32_e32 53, v0
	s_cbranch_execz .LBB123_267
; %bb.266:
	scratch_load_b64 v[3:4], off, off offset:424
	v_mov_b32_e32 v2, v1
	scratch_store_b64 off, v[1:2], off offset:424
	s_wait_loadcnt 0x0
	ds_store_b64 v155, v[3:4]
.LBB123_267:
	s_wait_alu 0xfffe
	s_or_b32 exec_lo, exec_lo, s0
	s_wait_storecnt_dscnt 0x0
	s_barrier_signal -1
	s_barrier_wait -1
	global_inv scope:SCOPE_SE
	s_clause 0x3
	scratch_load_b128 v[2:5], off, off offset:432
	scratch_load_b128 v[6:9], off, off offset:448
	;; [unrolled: 1-line block ×3, first 2 shown]
	scratch_load_b64 v[26:27], off, off offset:424
	ds_load_b128 v[14:17], v1 offset:912
	ds_load_b128 v[18:21], v1 offset:928
	;; [unrolled: 1-line block ×3, first 2 shown]
	s_mov_b32 s0, exec_lo
	s_wait_loadcnt_dscnt 0x302
	v_dual_mul_f32 v1, v14, v3 :: v_dual_mul_f32 v28, v16, v5
	s_wait_loadcnt_dscnt 0x100
	v_dual_mul_f32 v3, v15, v3 :: v_dual_mul_f32 v32, v24, v13
	v_dual_mul_f32 v29, v18, v7 :: v_dual_mul_f32 v30, v20, v9
	v_mul_f32_e32 v5, v17, v5
	s_delay_alu instid0(VALU_DEP_3)
	v_fma_f32 v3, v14, v2, -v3
	v_fmac_f32_e32 v1, v15, v2
	v_mul_f32_e32 v2, v19, v7
	v_dual_mul_f32 v31, v22, v11 :: v_dual_fmac_f32 v28, v17, v4
	v_fma_f32 v4, v16, v4, -v5
	v_fmac_f32_e32 v30, v21, v8
	s_delay_alu instid0(VALU_DEP_4) | instskip(SKIP_4) | instid1(VALU_DEP_4)
	v_fma_f32 v2, v18, v6, -v2
	v_mul_f32_e32 v5, v21, v9
	v_add_f32_e32 v1, 0, v1
	v_dual_fmac_f32 v29, v19, v6 :: v_dual_fmac_f32 v32, v25, v12
	v_fmac_f32_e32 v31, v23, v10
	v_fma_f32 v5, v20, v8, -v5
	v_add_f32_e32 v3, 0, v3
	s_delay_alu instid0(VALU_DEP_1) | instskip(SKIP_1) | instid1(VALU_DEP_2)
	v_add_f32_e32 v3, v3, v4
	v_mul_f32_e32 v4, v23, v11
	v_add_f32_e32 v2, v3, v2
	s_delay_alu instid0(VALU_DEP_2) | instskip(NEXT) | instid1(VALU_DEP_2)
	v_fma_f32 v4, v22, v10, -v4
	v_add_f32_e32 v2, v2, v5
	s_delay_alu instid0(VALU_DEP_1) | instskip(NEXT) | instid1(VALU_DEP_1)
	v_dual_mul_f32 v3, v25, v13 :: v_dual_add_f32 v2, v2, v4
	v_fma_f32 v3, v24, v12, -v3
	s_delay_alu instid0(VALU_DEP_1) | instskip(NEXT) | instid1(VALU_DEP_1)
	v_dual_add_f32 v1, v1, v28 :: v_dual_add_f32 v2, v2, v3
	v_add_f32_e32 v1, v1, v29
	s_delay_alu instid0(VALU_DEP_1) | instskip(NEXT) | instid1(VALU_DEP_1)
	v_add_f32_e32 v1, v1, v30
	v_add_f32_e32 v1, v1, v31
	s_delay_alu instid0(VALU_DEP_1) | instskip(SKIP_1) | instid1(VALU_DEP_1)
	v_add_f32_e32 v3, v1, v32
	s_wait_loadcnt 0x0
	v_dual_sub_f32 v1, v26, v2 :: v_dual_sub_f32 v2, v27, v3
	scratch_store_b64 off, v[1:2], off offset:424
	v_cmpx_lt_u32_e32 52, v0
	s_cbranch_execz .LBB123_269
; %bb.268:
	scratch_load_b64 v[1:2], off, off offset:416
	v_mov_b32_e32 v3, 0
	s_delay_alu instid0(VALU_DEP_1)
	v_mov_b32_e32 v4, v3
	scratch_store_b64 off, v[3:4], off offset:416
	s_wait_loadcnt 0x0
	ds_store_b64 v155, v[1:2]
.LBB123_269:
	s_wait_alu 0xfffe
	s_or_b32 exec_lo, exec_lo, s0
	s_wait_storecnt_dscnt 0x0
	s_barrier_signal -1
	s_barrier_wait -1
	global_inv scope:SCOPE_SE
	s_clause 0x4
	scratch_load_b128 v[2:5], off, off offset:424
	scratch_load_b128 v[6:9], off, off offset:440
	;; [unrolled: 1-line block ×3, first 2 shown]
	scratch_load_b64 v[26:27], off, off offset:472
	scratch_load_b64 v[28:29], off, off offset:416
	v_mov_b32_e32 v1, 0
	ds_load_2addr_b64 v[14:17], v1 offset0:113 offset1:114
	ds_load_2addr_b64 v[18:21], v1 offset0:115 offset1:116
	ds_load_2addr_b64 v[22:25], v1 offset0:117 offset1:118
	ds_load_b64 v[30:31], v1 offset:952
	s_mov_b32 s0, exec_lo
	s_wait_loadcnt_dscnt 0x403
	v_mul_f32_e32 v32, v14, v3
	s_wait_loadcnt_dscnt 0x302
	v_dual_mul_f32 v156, v20, v9 :: v_dual_mul_f32 v3, v15, v3
	v_dual_mul_f32 v153, v16, v5 :: v_dual_mul_f32 v154, v18, v7
	s_wait_loadcnt_dscnt 0x100
	v_dual_mul_f32 v159, v30, v27 :: v_dual_fmac_f32 v32, v15, v2
	v_mul_f32_e32 v5, v17, v5
	v_fma_f32 v3, v14, v2, -v3
	v_dual_mul_f32 v2, v19, v7 :: v_dual_fmac_f32 v153, v17, v4
	v_fmac_f32_e32 v154, v19, v6
	s_delay_alu instid0(VALU_DEP_4) | instskip(SKIP_1) | instid1(VALU_DEP_4)
	v_fma_f32 v4, v16, v4, -v5
	v_dual_mul_f32 v157, v22, v11 :: v_dual_mul_f32 v158, v24, v13
	v_fma_f32 v2, v18, v6, -v2
	v_add_f32_e32 v5, 0, v32
	v_dual_add_f32 v3, 0, v3 :: v_dual_fmac_f32 v156, v21, v8
	s_delay_alu instid0(VALU_DEP_4) | instskip(NEXT) | instid1(VALU_DEP_2)
	v_dual_fmac_f32 v157, v23, v10 :: v_dual_fmac_f32 v158, v25, v12
	v_add_f32_e32 v3, v3, v4
	s_delay_alu instid0(VALU_DEP_1) | instskip(SKIP_1) | instid1(VALU_DEP_2)
	v_dual_add_f32 v2, v3, v2 :: v_dual_mul_f32 v7, v21, v9
	v_dual_add_f32 v4, v5, v153 :: v_dual_mul_f32 v5, v23, v11
	v_fma_f32 v6, v20, v8, -v7
	s_delay_alu instid0(VALU_DEP_2) | instskip(NEXT) | instid1(VALU_DEP_3)
	v_dual_add_f32 v3, v4, v154 :: v_dual_mul_f32 v4, v25, v13
	v_fma_f32 v5, v22, v10, -v5
	s_delay_alu instid0(VALU_DEP_3) | instskip(SKIP_1) | instid1(VALU_DEP_4)
	v_add_f32_e32 v2, v2, v6
	v_mul_f32_e32 v6, v31, v27
	v_add_f32_e32 v3, v3, v156
	v_fma_f32 v4, v24, v12, -v4
	s_delay_alu instid0(VALU_DEP_4) | instskip(NEXT) | instid1(VALU_DEP_4)
	v_add_f32_e32 v2, v2, v5
	v_fma_f32 v5, v30, v26, -v6
	s_delay_alu instid0(VALU_DEP_2) | instskip(SKIP_1) | instid1(VALU_DEP_2)
	v_dual_add_f32 v3, v3, v157 :: v_dual_add_f32 v2, v2, v4
	v_fmac_f32_e32 v159, v31, v26
	v_dual_add_f32 v3, v3, v158 :: v_dual_add_f32 v2, v2, v5
	s_wait_loadcnt 0x0
	s_delay_alu instid0(VALU_DEP_1) | instskip(NEXT) | instid1(VALU_DEP_1)
	v_dual_add_f32 v3, v3, v159 :: v_dual_sub_f32 v2, v28, v2
	v_sub_f32_e32 v3, v29, v3
	scratch_store_b64 off, v[2:3], off offset:416
	v_cmpx_lt_u32_e32 51, v0
	s_cbranch_execz .LBB123_271
; %bb.270:
	scratch_load_b64 v[3:4], off, off offset:408
	v_mov_b32_e32 v2, v1
	scratch_store_b64 off, v[1:2], off offset:408
	s_wait_loadcnt 0x0
	ds_store_b64 v155, v[3:4]
.LBB123_271:
	s_wait_alu 0xfffe
	s_or_b32 exec_lo, exec_lo, s0
	s_wait_storecnt_dscnt 0x0
	s_barrier_signal -1
	s_barrier_wait -1
	global_inv scope:SCOPE_SE
	s_clause 0x4
	scratch_load_b128 v[2:5], off, off offset:416
	scratch_load_b128 v[6:9], off, off offset:432
	;; [unrolled: 1-line block ×4, first 2 shown]
	scratch_load_b64 v[30:31], off, off offset:408
	ds_load_b128 v[18:21], v1 offset:896
	ds_load_b128 v[22:25], v1 offset:912
	;; [unrolled: 1-line block ×4, first 2 shown]
	s_mov_b32 s0, exec_lo
	s_wait_loadcnt_dscnt 0x403
	v_dual_mul_f32 v1, v18, v3 :: v_dual_mul_f32 v32, v20, v5
	v_mul_f32_e32 v3, v19, v3
	v_mul_f32_e32 v5, v21, v5
	s_wait_loadcnt_dscnt 0x302
	v_dual_mul_f32 v153, v22, v7 :: v_dual_mul_f32 v154, v24, v9
	v_fmac_f32_e32 v32, v21, v4
	v_fma_f32 v3, v18, v2, -v3
	s_wait_loadcnt_dscnt 0x201
	v_dual_mul_f32 v160, v26, v11 :: v_dual_mul_f32 v161, v28, v13
	s_wait_loadcnt_dscnt 0x100
	v_dual_mul_f32 v162, v156, v15 :: v_dual_mul_f32 v163, v158, v17
	v_dual_fmac_f32 v1, v19, v2 :: v_dual_fmac_f32 v154, v25, v8
	v_mul_f32_e32 v2, v23, v7
	v_fma_f32 v4, v20, v4, -v5
	v_dual_add_f32 v3, 0, v3 :: v_dual_fmac_f32 v160, v27, v10
	v_fmac_f32_e32 v162, v157, v14
	s_delay_alu instid0(VALU_DEP_4) | instskip(SKIP_1) | instid1(VALU_DEP_4)
	v_fma_f32 v2, v22, v6, -v2
	v_add_f32_e32 v1, 0, v1
	v_add_f32_e32 v3, v3, v4
	v_dual_mul_f32 v5, v25, v9 :: v_dual_mul_f32 v4, v27, v11
	v_fmac_f32_e32 v163, v159, v16
	s_delay_alu instid0(VALU_DEP_3) | instskip(NEXT) | instid1(VALU_DEP_3)
	v_dual_add_f32 v1, v1, v32 :: v_dual_add_f32 v2, v3, v2
	v_fma_f32 v5, v24, v8, -v5
	v_fmac_f32_e32 v153, v23, v6
	v_fma_f32 v4, v26, v10, -v4
	s_delay_alu instid0(VALU_DEP_3) | instskip(SKIP_1) | instid1(VALU_DEP_2)
	v_add_f32_e32 v2, v2, v5
	v_mul_f32_e32 v3, v29, v13
	v_dual_mul_f32 v5, v157, v15 :: v_dual_add_f32 v2, v2, v4
	s_delay_alu instid0(VALU_DEP_2) | instskip(SKIP_2) | instid1(VALU_DEP_4)
	v_fma_f32 v3, v28, v12, -v3
	v_mul_f32_e32 v4, v159, v17
	v_add_f32_e32 v1, v1, v153
	v_fma_f32 v5, v156, v14, -v5
	s_delay_alu instid0(VALU_DEP_4) | instskip(NEXT) | instid1(VALU_DEP_4)
	v_add_f32_e32 v2, v2, v3
	v_fma_f32 v3, v158, v16, -v4
	s_delay_alu instid0(VALU_DEP_2) | instskip(SKIP_1) | instid1(VALU_DEP_2)
	v_dual_add_f32 v1, v1, v154 :: v_dual_add_f32 v2, v2, v5
	v_fmac_f32_e32 v161, v29, v12
	v_dual_add_f32 v1, v1, v160 :: v_dual_add_f32 v2, v2, v3
	s_delay_alu instid0(VALU_DEP_1) | instskip(NEXT) | instid1(VALU_DEP_1)
	v_add_f32_e32 v1, v1, v161
	v_add_f32_e32 v1, v1, v162
	s_delay_alu instid0(VALU_DEP_1) | instskip(SKIP_1) | instid1(VALU_DEP_1)
	v_add_f32_e32 v3, v1, v163
	s_wait_loadcnt 0x0
	v_dual_sub_f32 v1, v30, v2 :: v_dual_sub_f32 v2, v31, v3
	scratch_store_b64 off, v[1:2], off offset:408
	v_cmpx_lt_u32_e32 50, v0
	s_cbranch_execz .LBB123_273
; %bb.272:
	scratch_load_b64 v[1:2], off, off offset:400
	v_mov_b32_e32 v3, 0
	s_delay_alu instid0(VALU_DEP_1)
	v_mov_b32_e32 v4, v3
	scratch_store_b64 off, v[3:4], off offset:400
	s_wait_loadcnt 0x0
	ds_store_b64 v155, v[1:2]
.LBB123_273:
	s_wait_alu 0xfffe
	s_or_b32 exec_lo, exec_lo, s0
	s_wait_storecnt_dscnt 0x0
	s_barrier_signal -1
	s_barrier_wait -1
	global_inv scope:SCOPE_SE
	s_clause 0x5
	scratch_load_b128 v[2:5], off, off offset:408
	scratch_load_b128 v[6:9], off, off offset:424
	;; [unrolled: 1-line block ×4, first 2 shown]
	scratch_load_b64 v[30:31], off, off offset:472
	scratch_load_b64 v[153:154], off, off offset:400
	v_mov_b32_e32 v1, 0
	ds_load_2addr_b64 v[18:21], v1 offset0:111 offset1:112
	ds_load_2addr_b64 v[22:25], v1 offset0:113 offset1:114
	;; [unrolled: 1-line block ×4, first 2 shown]
	ds_load_b64 v[160:161], v1 offset:952
	s_mov_b32 s0, exec_lo
	s_wait_loadcnt_dscnt 0x504
	v_mul_f32_e32 v32, v18, v3
	s_wait_loadcnt_dscnt 0x302
	v_dual_mul_f32 v3, v19, v3 :: v_dual_mul_f32 v166, v28, v13
	v_dual_mul_f32 v162, v20, v5 :: v_dual_mul_f32 v163, v22, v7
	v_mul_f32_e32 v5, v21, v5
	s_delay_alu instid0(VALU_DEP_3) | instskip(SKIP_3) | instid1(VALU_DEP_3)
	v_fma_f32 v3, v18, v2, -v3
	s_wait_loadcnt_dscnt 0x100
	v_dual_mul_f32 v169, v160, v31 :: v_dual_fmac_f32 v32, v19, v2
	v_mul_f32_e32 v2, v23, v7
	v_dual_fmac_f32 v162, v21, v4 :: v_dual_add_f32 v3, 0, v3
	v_fma_f32 v4, v20, v4, -v5
	v_dual_mul_f32 v164, v24, v9 :: v_dual_mul_f32 v165, v26, v11
	s_delay_alu instid0(VALU_DEP_4) | instskip(SKIP_1) | instid1(VALU_DEP_4)
	v_fma_f32 v2, v22, v6, -v2
	v_fmac_f32_e32 v163, v23, v6
	v_add_f32_e32 v3, v3, v4
	v_add_f32_e32 v5, 0, v32
	v_dual_fmac_f32 v164, v25, v8 :: v_dual_fmac_f32 v165, v27, v10
	v_dual_mul_f32 v167, v156, v15 :: v_dual_mul_f32 v168, v158, v17
	s_delay_alu instid0(VALU_DEP_4) | instskip(NEXT) | instid1(VALU_DEP_4)
	v_dual_add_f32 v2, v3, v2 :: v_dual_mul_f32 v7, v25, v9
	v_dual_add_f32 v4, v5, v162 :: v_dual_mul_f32 v5, v27, v11
	v_fmac_f32_e32 v166, v29, v12
	s_delay_alu instid0(VALU_DEP_4) | instskip(NEXT) | instid1(VALU_DEP_4)
	v_dual_fmac_f32 v167, v157, v14 :: v_dual_fmac_f32 v168, v159, v16
	v_fma_f32 v6, v24, v8, -v7
	s_delay_alu instid0(VALU_DEP_4) | instskip(SKIP_1) | instid1(VALU_DEP_2)
	v_dual_add_f32 v3, v4, v163 :: v_dual_mul_f32 v4, v29, v13
	v_fma_f32 v5, v26, v10, -v5
	v_dual_add_f32 v2, v2, v6 :: v_dual_add_f32 v3, v3, v164
	v_mul_f32_e32 v6, v157, v15
	s_delay_alu instid0(VALU_DEP_4) | instskip(NEXT) | instid1(VALU_DEP_3)
	v_fma_f32 v4, v28, v12, -v4
	v_add_f32_e32 v2, v2, v5
	s_delay_alu instid0(VALU_DEP_4) | instskip(SKIP_2) | instid1(VALU_DEP_4)
	v_add_f32_e32 v3, v3, v165
	v_mul_f32_e32 v5, v159, v17
	v_fma_f32 v6, v156, v14, -v6
	v_add_f32_e32 v2, v2, v4
	v_mul_f32_e32 v4, v161, v31
	s_delay_alu instid0(VALU_DEP_4) | instskip(NEXT) | instid1(VALU_DEP_3)
	v_fma_f32 v5, v158, v16, -v5
	v_add_f32_e32 v2, v2, v6
	v_add_f32_e32 v3, v3, v166
	s_delay_alu instid0(VALU_DEP_4) | instskip(NEXT) | instid1(VALU_DEP_2)
	v_fma_f32 v4, v160, v30, -v4
	v_dual_add_f32 v2, v2, v5 :: v_dual_add_f32 v3, v3, v167
	s_delay_alu instid0(VALU_DEP_1) | instskip(SKIP_1) | instid1(VALU_DEP_1)
	v_dual_fmac_f32 v169, v161, v30 :: v_dual_add_f32 v2, v2, v4
	s_wait_loadcnt 0x0
	v_dual_add_f32 v3, v3, v168 :: v_dual_sub_f32 v2, v153, v2
	s_delay_alu instid0(VALU_DEP_1) | instskip(NEXT) | instid1(VALU_DEP_1)
	v_add_f32_e32 v3, v3, v169
	v_sub_f32_e32 v3, v154, v3
	scratch_store_b64 off, v[2:3], off offset:400
	v_cmpx_lt_u32_e32 49, v0
	s_cbranch_execz .LBB123_275
; %bb.274:
	scratch_load_b64 v[3:4], off, off offset:392
	v_mov_b32_e32 v2, v1
	scratch_store_b64 off, v[1:2], off offset:392
	s_wait_loadcnt 0x0
	ds_store_b64 v155, v[3:4]
.LBB123_275:
	s_wait_alu 0xfffe
	s_or_b32 exec_lo, exec_lo, s0
	s_wait_storecnt_dscnt 0x0
	s_barrier_signal -1
	s_barrier_wait -1
	global_inv scope:SCOPE_SE
	s_clause 0x5
	scratch_load_b128 v[2:5], off, off offset:400
	scratch_load_b128 v[6:9], off, off offset:416
	;; [unrolled: 1-line block ×5, first 2 shown]
	scratch_load_b64 v[30:31], off, off offset:392
	ds_load_b128 v[22:25], v1 offset:880
	ds_load_b128 v[26:29], v1 offset:896
	;; [unrolled: 1-line block ×5, first 2 shown]
	s_mov_b32 s0, exec_lo
	s_wait_loadcnt_dscnt 0x504
	v_dual_mul_f32 v1, v22, v3 :: v_dual_mul_f32 v32, v24, v5
	v_mul_f32_e32 v3, v23, v3
	v_mul_f32_e32 v5, v25, v5
	s_wait_loadcnt_dscnt 0x403
	v_dual_mul_f32 v153, v26, v7 :: v_dual_mul_f32 v154, v28, v9
	v_fmac_f32_e32 v32, v25, v4
	v_fma_f32 v3, v22, v2, -v3
	v_fmac_f32_e32 v1, v23, v2
	v_mul_f32_e32 v2, v27, v7
	v_fma_f32 v4, v24, v4, -v5
	s_wait_loadcnt_dscnt 0x302
	v_dual_mul_f32 v168, v156, v11 :: v_dual_mul_f32 v169, v158, v13
	v_dual_add_f32 v3, 0, v3 :: v_dual_fmac_f32 v154, v29, v8
	v_fma_f32 v2, v26, v6, -v2
	s_delay_alu instid0(VALU_DEP_3) | instskip(SKIP_3) | instid1(VALU_DEP_2)
	v_fmac_f32_e32 v168, v157, v10
	s_wait_loadcnt_dscnt 0x201
	v_dual_mul_f32 v170, v160, v15 :: v_dual_mul_f32 v171, v162, v17
	v_dual_add_f32 v3, v3, v4 :: v_dual_mul_f32 v4, v157, v11
	v_dual_add_f32 v1, 0, v1 :: v_dual_fmac_f32 v170, v161, v14
	s_wait_loadcnt_dscnt 0x100
	v_dual_mul_f32 v172, v164, v19 :: v_dual_mul_f32 v173, v166, v21
	s_delay_alu instid0(VALU_DEP_3) | instskip(SKIP_4) | instid1(VALU_DEP_4)
	v_fma_f32 v4, v156, v10, -v4
	v_dual_mul_f32 v5, v29, v9 :: v_dual_add_f32 v2, v3, v2
	v_add_f32_e32 v1, v1, v32
	v_mul_f32_e32 v3, v159, v13
	v_dual_fmac_f32 v169, v159, v12 :: v_dual_fmac_f32 v172, v165, v18
	v_fma_f32 v5, v28, v8, -v5
	v_fmac_f32_e32 v153, v27, v6
	s_delay_alu instid0(VALU_DEP_4) | instskip(SKIP_1) | instid1(VALU_DEP_4)
	v_fma_f32 v3, v158, v12, -v3
	v_fmac_f32_e32 v171, v163, v16
	v_dual_fmac_f32 v173, v167, v20 :: v_dual_add_f32 v2, v2, v5
	s_delay_alu instid0(VALU_DEP_1) | instskip(SKIP_1) | instid1(VALU_DEP_2)
	v_add_f32_e32 v2, v2, v4
	v_mul_f32_e32 v4, v163, v17
	v_dual_add_f32 v1, v1, v153 :: v_dual_add_f32 v2, v2, v3
	s_delay_alu instid0(VALU_DEP_2) | instskip(SKIP_2) | instid1(VALU_DEP_2)
	v_fma_f32 v4, v162, v16, -v4
	v_mul_f32_e32 v5, v161, v15
	v_mul_f32_e32 v3, v165, v19
	v_fma_f32 v5, v160, v14, -v5
	v_add_f32_e32 v1, v1, v154
	s_delay_alu instid0(VALU_DEP_3) | instskip(NEXT) | instid1(VALU_DEP_3)
	v_fma_f32 v3, v164, v18, -v3
	v_add_f32_e32 v2, v2, v5
	s_delay_alu instid0(VALU_DEP_1) | instskip(NEXT) | instid1(VALU_DEP_4)
	v_dual_mul_f32 v5, v167, v21 :: v_dual_add_f32 v2, v2, v4
	v_add_f32_e32 v1, v1, v168
	s_delay_alu instid0(VALU_DEP_2) | instskip(NEXT) | instid1(VALU_DEP_2)
	v_fma_f32 v4, v166, v20, -v5
	v_dual_add_f32 v2, v2, v3 :: v_dual_add_f32 v1, v1, v169
	s_delay_alu instid0(VALU_DEP_1) | instskip(NEXT) | instid1(VALU_DEP_1)
	v_dual_add_f32 v2, v2, v4 :: v_dual_add_f32 v1, v1, v170
	v_add_f32_e32 v1, v1, v171
	s_delay_alu instid0(VALU_DEP_1) | instskip(NEXT) | instid1(VALU_DEP_1)
	v_add_f32_e32 v1, v1, v172
	v_add_f32_e32 v3, v1, v173
	s_wait_loadcnt 0x0
	s_delay_alu instid0(VALU_DEP_1)
	v_dual_sub_f32 v1, v30, v2 :: v_dual_sub_f32 v2, v31, v3
	scratch_store_b64 off, v[1:2], off offset:392
	v_cmpx_lt_u32_e32 48, v0
	s_cbranch_execz .LBB123_277
; %bb.276:
	scratch_load_b64 v[1:2], off, off offset:384
	v_mov_b32_e32 v3, 0
	s_delay_alu instid0(VALU_DEP_1)
	v_mov_b32_e32 v4, v3
	scratch_store_b64 off, v[3:4], off offset:384
	s_wait_loadcnt 0x0
	ds_store_b64 v155, v[1:2]
.LBB123_277:
	s_wait_alu 0xfffe
	s_or_b32 exec_lo, exec_lo, s0
	s_wait_storecnt_dscnt 0x0
	s_barrier_signal -1
	s_barrier_wait -1
	global_inv scope:SCOPE_SE
	s_clause 0x6
	scratch_load_b128 v[2:5], off, off offset:392
	scratch_load_b128 v[6:9], off, off offset:408
	;; [unrolled: 1-line block ×5, first 2 shown]
	scratch_load_b64 v[30:31], off, off offset:472
	scratch_load_b64 v[153:154], off, off offset:384
	v_mov_b32_e32 v1, 0
	ds_load_2addr_b64 v[22:25], v1 offset0:109 offset1:110
	ds_load_2addr_b64 v[26:29], v1 offset0:111 offset1:112
	ds_load_2addr_b64 v[156:159], v1 offset0:113 offset1:114
	ds_load_2addr_b64 v[160:163], v1 offset0:115 offset1:116
	ds_load_2addr_b64 v[164:167], v1 offset0:117 offset1:118
	ds_load_b64 v[168:169], v1 offset:952
	s_mov_b32 s0, exec_lo
	s_wait_loadcnt_dscnt 0x605
	v_mul_f32_e32 v32, v22, v3
	s_wait_loadcnt_dscnt 0x504
	v_dual_mul_f32 v172, v28, v9 :: v_dual_mul_f32 v3, v23, v3
	v_dual_mul_f32 v170, v24, v5 :: v_dual_mul_f32 v171, v26, v7
	v_mul_f32_e32 v5, v25, v5
	s_wait_loadcnt_dscnt 0x100
	v_dual_mul_f32 v179, v168, v31 :: v_dual_fmac_f32 v32, v23, v2
	v_fma_f32 v3, v22, v2, -v3
	v_mul_f32_e32 v2, v27, v7
	v_fmac_f32_e32 v170, v25, v4
	v_fma_f32 v4, v24, v4, -v5
	v_dual_fmac_f32 v171, v27, v6 :: v_dual_fmac_f32 v172, v29, v8
	v_add_f32_e32 v3, 0, v3
	v_fma_f32 v2, v26, v6, -v2
	v_dual_mul_f32 v173, v156, v11 :: v_dual_mul_f32 v174, v158, v13
	v_dual_mul_f32 v175, v160, v15 :: v_dual_mul_f32 v176, v162, v17
	s_delay_alu instid0(VALU_DEP_4) | instskip(SKIP_1) | instid1(VALU_DEP_3)
	v_add_f32_e32 v3, v3, v4
	v_add_f32_e32 v5, 0, v32
	v_dual_fmac_f32 v174, v159, v12 :: v_dual_fmac_f32 v175, v161, v14
	s_delay_alu instid0(VALU_DEP_4) | instskip(NEXT) | instid1(VALU_DEP_4)
	v_fmac_f32_e32 v176, v163, v16
	v_dual_add_f32 v2, v3, v2 :: v_dual_mul_f32 v7, v29, v9
	s_delay_alu instid0(VALU_DEP_4) | instskip(SKIP_2) | instid1(VALU_DEP_4)
	v_add_f32_e32 v4, v5, v170
	v_mul_f32_e32 v5, v157, v11
	v_dual_mul_f32 v177, v164, v19 :: v_dual_mul_f32 v178, v166, v21
	v_fma_f32 v6, v28, v8, -v7
	s_delay_alu instid0(VALU_DEP_4) | instskip(NEXT) | instid1(VALU_DEP_4)
	v_dual_add_f32 v3, v4, v171 :: v_dual_mul_f32 v4, v159, v13
	v_fma_f32 v5, v156, v10, -v5
	s_delay_alu instid0(VALU_DEP_4) | instskip(NEXT) | instid1(VALU_DEP_4)
	v_fmac_f32_e32 v177, v165, v18
	v_add_f32_e32 v2, v2, v6
	v_fmac_f32_e32 v173, v157, v10
	v_dual_add_f32 v3, v3, v172 :: v_dual_mul_f32 v6, v161, v15
	v_fma_f32 v4, v158, v12, -v4
	s_delay_alu instid0(VALU_DEP_4) | instskip(SKIP_1) | instid1(VALU_DEP_4)
	v_add_f32_e32 v2, v2, v5
	v_mul_f32_e32 v5, v163, v17
	v_add_f32_e32 v3, v3, v173
	v_fma_f32 v6, v160, v14, -v6
	v_fmac_f32_e32 v178, v167, v20
	v_add_f32_e32 v2, v2, v4
	v_mul_f32_e32 v4, v165, v19
	v_fma_f32 v5, v162, v16, -v5
	s_delay_alu instid0(VALU_DEP_3) | instskip(SKIP_3) | instid1(VALU_DEP_3)
	v_add_f32_e32 v2, v2, v6
	v_add_f32_e32 v3, v3, v174
	v_mul_f32_e32 v6, v167, v21
	v_fma_f32 v4, v164, v18, -v4
	v_dual_add_f32 v2, v2, v5 :: v_dual_add_f32 v3, v3, v175
	s_delay_alu instid0(VALU_DEP_3) | instskip(NEXT) | instid1(VALU_DEP_2)
	v_fma_f32 v6, v166, v20, -v6
	v_dual_mul_f32 v5, v169, v31 :: v_dual_add_f32 v2, v2, v4
	s_delay_alu instid0(VALU_DEP_3) | instskip(NEXT) | instid1(VALU_DEP_2)
	v_add_f32_e32 v3, v3, v176
	v_fma_f32 v4, v168, v30, -v5
	s_delay_alu instid0(VALU_DEP_2) | instskip(NEXT) | instid1(VALU_DEP_1)
	v_dual_add_f32 v2, v2, v6 :: v_dual_add_f32 v3, v3, v177
	v_dual_fmac_f32 v179, v169, v30 :: v_dual_add_f32 v2, v2, v4
	s_delay_alu instid0(VALU_DEP_2) | instskip(SKIP_1) | instid1(VALU_DEP_1)
	v_add_f32_e32 v3, v3, v178
	s_wait_loadcnt 0x0
	v_dual_sub_f32 v2, v153, v2 :: v_dual_add_f32 v3, v3, v179
	s_delay_alu instid0(VALU_DEP_1)
	v_sub_f32_e32 v3, v154, v3
	scratch_store_b64 off, v[2:3], off offset:384
	v_cmpx_lt_u32_e32 47, v0
	s_cbranch_execz .LBB123_279
; %bb.278:
	scratch_load_b64 v[3:4], off, off offset:376
	v_mov_b32_e32 v2, v1
	scratch_store_b64 off, v[1:2], off offset:376
	s_wait_loadcnt 0x0
	ds_store_b64 v155, v[3:4]
.LBB123_279:
	s_wait_alu 0xfffe
	s_or_b32 exec_lo, exec_lo, s0
	s_wait_storecnt_dscnt 0x0
	s_barrier_signal -1
	s_barrier_wait -1
	global_inv scope:SCOPE_SE
	s_clause 0x6
	scratch_load_b128 v[2:5], off, off offset:384
	scratch_load_b128 v[6:9], off, off offset:400
	;; [unrolled: 1-line block ×6, first 2 shown]
	scratch_load_b64 v[30:31], off, off offset:376
	ds_load_b128 v[26:29], v1 offset:864
	ds_load_b128 v[156:159], v1 offset:880
	;; [unrolled: 1-line block ×6, first 2 shown]
	s_mov_b32 s0, exec_lo
	s_wait_loadcnt_dscnt 0x605
	v_dual_mul_f32 v1, v26, v3 :: v_dual_mul_f32 v32, v28, v5
	v_mul_f32_e32 v3, v27, v3
	s_wait_loadcnt_dscnt 0x504
	v_dual_mul_f32 v153, v156, v7 :: v_dual_mul_f32 v154, v158, v9
	v_mul_f32_e32 v5, v29, v5
	v_fmac_f32_e32 v32, v29, v4
	v_fma_f32 v3, v26, v2, -v3
	s_wait_loadcnt_dscnt 0x403
	v_dual_mul_f32 v176, v160, v11 :: v_dual_mul_f32 v177, v162, v13
	v_dual_fmac_f32 v1, v27, v2 :: v_dual_mul_f32 v2, v157, v7
	s_delay_alu instid0(VALU_DEP_2)
	v_dual_add_f32 v3, 0, v3 :: v_dual_fmac_f32 v176, v161, v10
	v_fmac_f32_e32 v154, v159, v8
	v_fma_f32 v4, v28, v4, -v5
	s_wait_loadcnt_dscnt 0x302
	v_dual_mul_f32 v178, v164, v15 :: v_dual_mul_f32 v179, v166, v17
	v_add_f32_e32 v1, 0, v1
	v_fma_f32 v2, v156, v6, -v2
	s_delay_alu instid0(VALU_DEP_3) | instskip(SKIP_3) | instid1(VALU_DEP_3)
	v_dual_add_f32 v3, v3, v4 :: v_dual_fmac_f32 v178, v165, v14
	v_mul_f32_e32 v4, v161, v11
	s_wait_loadcnt_dscnt 0x201
	v_dual_add_f32 v1, v1, v32 :: v_dual_mul_f32 v180, v168, v19
	v_dual_mul_f32 v181, v170, v21 :: v_dual_add_f32 v2, v3, v2
	s_delay_alu instid0(VALU_DEP_3) | instskip(SKIP_1) | instid1(VALU_DEP_4)
	v_fma_f32 v4, v160, v10, -v4
	v_mul_f32_e32 v5, v159, v9
	v_dual_mul_f32 v3, v163, v13 :: v_dual_fmac_f32 v180, v169, v18
	s_wait_loadcnt_dscnt 0x100
	v_dual_mul_f32 v182, v172, v23 :: v_dual_mul_f32 v183, v174, v25
	s_delay_alu instid0(VALU_DEP_3) | instskip(SKIP_3) | instid1(VALU_DEP_4)
	v_fma_f32 v5, v158, v8, -v5
	v_fmac_f32_e32 v153, v157, v6
	v_fma_f32 v3, v162, v12, -v3
	v_fmac_f32_e32 v179, v167, v16
	v_dual_fmac_f32 v181, v171, v20 :: v_dual_add_f32 v2, v2, v5
	v_dual_fmac_f32 v183, v175, v24 :: v_dual_fmac_f32 v182, v173, v22
	s_delay_alu instid0(VALU_DEP_2) | instskip(SKIP_1) | instid1(VALU_DEP_2)
	v_dual_add_f32 v2, v2, v4 :: v_dual_add_f32 v1, v1, v153
	v_mul_f32_e32 v4, v167, v17
	v_dual_add_f32 v2, v2, v3 :: v_dual_add_f32 v1, v1, v154
	s_delay_alu instid0(VALU_DEP_2) | instskip(SKIP_1) | instid1(VALU_DEP_1)
	v_fma_f32 v4, v166, v16, -v4
	v_mul_f32_e32 v5, v165, v15
	v_fma_f32 v5, v164, v14, -v5
	s_delay_alu instid0(VALU_DEP_1) | instskip(NEXT) | instid1(VALU_DEP_1)
	v_dual_fmac_f32 v177, v163, v12 :: v_dual_add_f32 v2, v2, v5
	v_dual_mul_f32 v5, v171, v21 :: v_dual_add_f32 v2, v2, v4
	s_delay_alu instid0(VALU_DEP_1) | instskip(SKIP_2) | instid1(VALU_DEP_2)
	v_fma_f32 v5, v170, v20, -v5
	v_mul_f32_e32 v3, v169, v19
	v_mul_f32_e32 v4, v173, v23
	v_fma_f32 v3, v168, v18, -v3
	v_add_f32_e32 v1, v1, v176
	s_delay_alu instid0(VALU_DEP_3) | instskip(NEXT) | instid1(VALU_DEP_3)
	v_fma_f32 v4, v172, v22, -v4
	v_dual_add_f32 v2, v2, v3 :: v_dual_mul_f32 v3, v175, v25
	s_delay_alu instid0(VALU_DEP_1) | instskip(NEXT) | instid1(VALU_DEP_4)
	v_add_f32_e32 v2, v2, v5
	v_add_f32_e32 v1, v1, v177
	s_delay_alu instid0(VALU_DEP_3) | instskip(NEXT) | instid1(VALU_DEP_2)
	v_fma_f32 v3, v174, v24, -v3
	v_dual_add_f32 v2, v2, v4 :: v_dual_add_f32 v1, v1, v178
	s_delay_alu instid0(VALU_DEP_1) | instskip(NEXT) | instid1(VALU_DEP_2)
	v_add_f32_e32 v2, v2, v3
	v_add_f32_e32 v1, v1, v179
	s_delay_alu instid0(VALU_DEP_1) | instskip(NEXT) | instid1(VALU_DEP_1)
	v_add_f32_e32 v1, v1, v180
	v_add_f32_e32 v1, v1, v181
	s_delay_alu instid0(VALU_DEP_1) | instskip(NEXT) | instid1(VALU_DEP_1)
	v_add_f32_e32 v1, v1, v182
	v_add_f32_e32 v3, v1, v183
	s_wait_loadcnt 0x0
	s_delay_alu instid0(VALU_DEP_1)
	v_dual_sub_f32 v1, v30, v2 :: v_dual_sub_f32 v2, v31, v3
	scratch_store_b64 off, v[1:2], off offset:376
	v_cmpx_lt_u32_e32 46, v0
	s_cbranch_execz .LBB123_281
; %bb.280:
	scratch_load_b64 v[1:2], off, off offset:368
	v_mov_b32_e32 v3, 0
	s_delay_alu instid0(VALU_DEP_1)
	v_mov_b32_e32 v4, v3
	scratch_store_b64 off, v[3:4], off offset:368
	s_wait_loadcnt 0x0
	ds_store_b64 v155, v[1:2]
.LBB123_281:
	s_wait_alu 0xfffe
	s_or_b32 exec_lo, exec_lo, s0
	s_wait_storecnt_dscnt 0x0
	s_barrier_signal -1
	s_barrier_wait -1
	global_inv scope:SCOPE_SE
	s_clause 0x7
	scratch_load_b128 v[2:5], off, off offset:376
	scratch_load_b128 v[6:9], off, off offset:392
	;; [unrolled: 1-line block ×6, first 2 shown]
	scratch_load_b64 v[30:31], off, off offset:472
	scratch_load_b64 v[153:154], off, off offset:368
	v_mov_b32_e32 v1, 0
	ds_load_2addr_b64 v[26:29], v1 offset0:107 offset1:108
	ds_load_2addr_b64 v[156:159], v1 offset0:109 offset1:110
	;; [unrolled: 1-line block ×6, first 2 shown]
	ds_load_b64 v[176:177], v1 offset:952
	s_mov_b32 s0, exec_lo
	s_wait_loadcnt_dscnt 0x706
	v_mul_f32_e32 v32, v26, v3
	v_dual_mul_f32 v178, v28, v5 :: v_dual_mul_f32 v3, v27, v3
	s_wait_loadcnt_dscnt 0x605
	v_dual_mul_f32 v179, v156, v7 :: v_dual_mul_f32 v180, v158, v9
	v_mul_f32_e32 v5, v29, v5
	s_wait_loadcnt_dscnt 0x100
	v_dual_mul_f32 v189, v176, v31 :: v_dual_fmac_f32 v32, v27, v2
	v_fma_f32 v3, v26, v2, -v3
	v_mul_f32_e32 v2, v157, v7
	v_fmac_f32_e32 v178, v29, v4
	v_fmac_f32_e32 v180, v159, v8
	v_fma_f32 v4, v28, v4, -v5
	v_add_f32_e32 v3, 0, v3
	v_add_f32_e32 v5, 0, v32
	v_mul_f32_e32 v7, v159, v9
	v_fma_f32 v2, v156, v6, -v2
	v_fmac_f32_e32 v179, v157, v6
	s_delay_alu instid0(VALU_DEP_4) | instskip(SKIP_3) | instid1(VALU_DEP_4)
	v_dual_add_f32 v3, v3, v4 :: v_dual_add_f32 v4, v5, v178
	v_mul_f32_e32 v5, v161, v11
	v_fma_f32 v6, v158, v8, -v7
	v_dual_mul_f32 v181, v160, v11 :: v_dual_mul_f32 v182, v162, v13
	v_dual_add_f32 v2, v3, v2 :: v_dual_add_f32 v3, v4, v179
	v_mul_f32_e32 v4, v163, v13
	v_fma_f32 v5, v160, v10, -v5
	s_delay_alu instid0(VALU_DEP_4) | instskip(NEXT) | instid1(VALU_DEP_4)
	v_fmac_f32_e32 v182, v163, v12
	v_add_f32_e32 v2, v2, v6
	v_fmac_f32_e32 v181, v161, v10
	v_dual_add_f32 v3, v3, v180 :: v_dual_mul_f32 v6, v165, v15
	v_fma_f32 v4, v162, v12, -v4
	s_delay_alu instid0(VALU_DEP_4) | instskip(SKIP_1) | instid1(VALU_DEP_4)
	v_dual_add_f32 v2, v2, v5 :: v_dual_mul_f32 v183, v164, v15
	v_mul_f32_e32 v184, v166, v17
	v_add_f32_e32 v3, v3, v181
	v_mul_f32_e32 v5, v167, v17
	v_fma_f32 v6, v164, v14, -v6
	v_dual_add_f32 v2, v2, v4 :: v_dual_fmac_f32 v183, v165, v14
	v_fmac_f32_e32 v184, v167, v16
	v_mul_f32_e32 v4, v169, v19
	v_fma_f32 v5, v166, v16, -v5
	s_delay_alu instid0(VALU_DEP_4) | instskip(SKIP_4) | instid1(VALU_DEP_4)
	v_add_f32_e32 v2, v2, v6
	v_add_f32_e32 v3, v3, v182
	v_dual_mul_f32 v185, v168, v19 :: v_dual_mul_f32 v186, v170, v21
	v_mul_f32_e32 v6, v171, v21
	v_fma_f32 v4, v168, v18, -v4
	v_dual_add_f32 v2, v2, v5 :: v_dual_add_f32 v3, v3, v183
	s_delay_alu instid0(VALU_DEP_4) | instskip(NEXT) | instid1(VALU_DEP_4)
	v_fmac_f32_e32 v185, v169, v18
	v_fma_f32 v6, v170, v20, -v6
	v_dual_mul_f32 v187, v172, v23 :: v_dual_mul_f32 v188, v174, v25
	s_delay_alu instid0(VALU_DEP_4) | instskip(SKIP_2) | instid1(VALU_DEP_4)
	v_add_f32_e32 v2, v2, v4
	v_add_f32_e32 v3, v3, v184
	v_dual_mul_f32 v5, v173, v23 :: v_dual_fmac_f32 v186, v171, v20
	v_dual_mul_f32 v4, v175, v25 :: v_dual_fmac_f32 v187, v173, v22
	s_delay_alu instid0(VALU_DEP_3) | instskip(NEXT) | instid1(VALU_DEP_3)
	v_dual_add_f32 v2, v2, v6 :: v_dual_add_f32 v3, v3, v185
	v_fma_f32 v5, v172, v22, -v5
	v_mul_f32_e32 v6, v177, v31
	v_dual_fmac_f32 v188, v175, v24 :: v_dual_fmac_f32 v189, v177, v30
	s_delay_alu instid0(VALU_DEP_4) | instskip(SKIP_3) | instid1(VALU_DEP_4)
	v_add_f32_e32 v3, v3, v186
	v_fma_f32 v4, v174, v24, -v4
	v_add_f32_e32 v2, v2, v5
	v_fma_f32 v5, v176, v30, -v6
	v_add_f32_e32 v3, v3, v187
	s_delay_alu instid0(VALU_DEP_1) | instskip(NEXT) | instid1(VALU_DEP_1)
	v_add_f32_e32 v3, v3, v188
	v_dual_add_f32 v2, v2, v4 :: v_dual_add_f32 v3, v3, v189
	s_delay_alu instid0(VALU_DEP_1) | instskip(SKIP_1) | instid1(VALU_DEP_1)
	v_add_f32_e32 v2, v2, v5
	s_wait_loadcnt 0x0
	v_dual_sub_f32 v3, v154, v3 :: v_dual_sub_f32 v2, v153, v2
	scratch_store_b64 off, v[2:3], off offset:368
	v_cmpx_lt_u32_e32 45, v0
	s_cbranch_execz .LBB123_283
; %bb.282:
	scratch_load_b64 v[3:4], off, off offset:360
	v_mov_b32_e32 v2, v1
	scratch_store_b64 off, v[1:2], off offset:360
	s_wait_loadcnt 0x0
	ds_store_b64 v155, v[3:4]
.LBB123_283:
	s_wait_alu 0xfffe
	s_or_b32 exec_lo, exec_lo, s0
	s_wait_storecnt_dscnt 0x0
	s_barrier_signal -1
	s_barrier_wait -1
	global_inv scope:SCOPE_SE
	s_clause 0x7
	scratch_load_b128 v[2:5], off, off offset:368
	scratch_load_b128 v[6:9], off, off offset:384
	;; [unrolled: 1-line block ×7, first 2 shown]
	scratch_load_b64 v[30:31], off, off offset:360
	ds_load_b128 v[156:159], v1 offset:848
	ds_load_b128 v[160:163], v1 offset:864
	;; [unrolled: 1-line block ×7, first 2 shown]
	s_mov_b32 s0, exec_lo
	s_wait_loadcnt_dscnt 0x706
	v_dual_mul_f32 v1, v156, v3 :: v_dual_mul_f32 v32, v158, v5
	v_mul_f32_e32 v3, v157, v3
	v_mul_f32_e32 v5, v159, v5
	s_wait_loadcnt_dscnt 0x605
	v_dual_mul_f32 v153, v160, v7 :: v_dual_mul_f32 v154, v162, v9
	v_fmac_f32_e32 v32, v159, v4
	v_fma_f32 v3, v156, v2, -v3
	s_wait_loadcnt_dscnt 0x504
	v_dual_mul_f32 v184, v164, v11 :: v_dual_mul_f32 v185, v166, v13
	v_dual_fmac_f32 v1, v157, v2 :: v_dual_fmac_f32 v154, v163, v8
	v_mul_f32_e32 v2, v161, v7
	v_fma_f32 v4, v158, v4, -v5
	s_delay_alu instid0(VALU_DEP_4) | instskip(SKIP_3) | instid1(VALU_DEP_3)
	v_dual_add_f32 v3, 0, v3 :: v_dual_fmac_f32 v184, v165, v10
	s_wait_loadcnt_dscnt 0x403
	v_dual_mul_f32 v186, v168, v15 :: v_dual_mul_f32 v187, v170, v17
	v_add_f32_e32 v1, 0, v1
	v_dual_add_f32 v3, v3, v4 :: v_dual_mul_f32 v4, v165, v11
	v_fma_f32 v2, v160, v6, -v2
	s_delay_alu instid0(VALU_DEP_4)
	v_fmac_f32_e32 v186, v169, v14
	s_wait_loadcnt_dscnt 0x302
	v_dual_add_f32 v1, v1, v32 :: v_dual_mul_f32 v188, v172, v19
	v_mul_f32_e32 v189, v174, v21
	v_fma_f32 v4, v164, v10, -v4
	v_mul_f32_e32 v5, v163, v9
	v_add_f32_e32 v2, v3, v2
	v_dual_mul_f32 v3, v167, v13 :: v_dual_fmac_f32 v188, v173, v18
	s_wait_loadcnt_dscnt 0x201
	v_dual_mul_f32 v190, v176, v23 :: v_dual_mul_f32 v191, v178, v25
	v_fma_f32 v5, v162, v8, -v5
	v_fmac_f32_e32 v153, v161, v6
	v_fma_f32 v3, v166, v12, -v3
	s_wait_loadcnt_dscnt 0x100
	v_dual_fmac_f32 v187, v171, v16 :: v_dual_mul_f32 v192, v180, v27
	v_mul_f32_e32 v193, v182, v29
	v_dual_add_f32 v2, v2, v5 :: v_dual_fmac_f32 v189, v175, v20
	v_fmac_f32_e32 v190, v177, v22
	s_delay_alu instid0(VALU_DEP_3) | instskip(NEXT) | instid1(VALU_DEP_3)
	v_dual_fmac_f32 v192, v181, v26 :: v_dual_fmac_f32 v193, v183, v28
	v_dual_add_f32 v2, v2, v4 :: v_dual_add_f32 v1, v1, v153
	v_mul_f32_e32 v4, v171, v17
	s_delay_alu instid0(VALU_DEP_2) | instskip(NEXT) | instid1(VALU_DEP_2)
	v_dual_add_f32 v2, v2, v3 :: v_dual_add_f32 v1, v1, v154
	v_fma_f32 v4, v170, v16, -v4
	v_mul_f32_e32 v5, v169, v15
	s_delay_alu instid0(VALU_DEP_1) | instskip(NEXT) | instid1(VALU_DEP_1)
	v_fma_f32 v5, v168, v14, -v5
	v_dual_fmac_f32 v185, v167, v12 :: v_dual_add_f32 v2, v2, v5
	s_delay_alu instid0(VALU_DEP_1) | instskip(NEXT) | instid1(VALU_DEP_1)
	v_dual_mul_f32 v5, v175, v21 :: v_dual_add_f32 v2, v2, v4
	v_fma_f32 v5, v174, v20, -v5
	v_mul_f32_e32 v3, v173, v19
	v_mul_f32_e32 v4, v177, v23
	s_delay_alu instid0(VALU_DEP_2) | instskip(SKIP_1) | instid1(VALU_DEP_3)
	v_fma_f32 v3, v172, v18, -v3
	v_add_f32_e32 v1, v1, v184
	v_fma_f32 v4, v176, v22, -v4
	s_delay_alu instid0(VALU_DEP_3) | instskip(NEXT) | instid1(VALU_DEP_1)
	v_dual_add_f32 v2, v2, v3 :: v_dual_mul_f32 v3, v179, v25
	v_add_f32_e32 v2, v2, v5
	s_delay_alu instid0(VALU_DEP_4) | instskip(SKIP_1) | instid1(VALU_DEP_4)
	v_add_f32_e32 v1, v1, v185
	v_mul_f32_e32 v5, v181, v27
	v_fma_f32 v3, v178, v24, -v3
	s_delay_alu instid0(VALU_DEP_3) | instskip(SKIP_3) | instid1(VALU_DEP_4)
	v_dual_add_f32 v2, v2, v4 :: v_dual_add_f32 v1, v1, v186
	v_mul_f32_e32 v4, v183, v29
	v_fmac_f32_e32 v191, v179, v24
	v_fma_f32 v5, v180, v26, -v5
	v_add_f32_e32 v2, v2, v3
	v_add_f32_e32 v1, v1, v187
	v_fma_f32 v3, v182, v28, -v4
	s_delay_alu instid0(VALU_DEP_2) | instskip(NEXT) | instid1(VALU_DEP_1)
	v_dual_add_f32 v2, v2, v5 :: v_dual_add_f32 v1, v1, v188
	v_dual_add_f32 v2, v2, v3 :: v_dual_add_f32 v1, v1, v189
	s_delay_alu instid0(VALU_DEP_1) | instskip(NEXT) | instid1(VALU_DEP_1)
	v_add_f32_e32 v1, v1, v190
	v_add_f32_e32 v1, v1, v191
	s_delay_alu instid0(VALU_DEP_1) | instskip(NEXT) | instid1(VALU_DEP_1)
	v_add_f32_e32 v1, v1, v192
	v_add_f32_e32 v3, v1, v193
	s_wait_loadcnt 0x0
	s_delay_alu instid0(VALU_DEP_1)
	v_dual_sub_f32 v1, v30, v2 :: v_dual_sub_f32 v2, v31, v3
	scratch_store_b64 off, v[1:2], off offset:360
	v_cmpx_lt_u32_e32 44, v0
	s_cbranch_execz .LBB123_285
; %bb.284:
	scratch_load_b64 v[1:2], off, off offset:352
	v_mov_b32_e32 v3, 0
	s_delay_alu instid0(VALU_DEP_1)
	v_mov_b32_e32 v4, v3
	scratch_store_b64 off, v[3:4], off offset:352
	s_wait_loadcnt 0x0
	ds_store_b64 v155, v[1:2]
.LBB123_285:
	s_wait_alu 0xfffe
	s_or_b32 exec_lo, exec_lo, s0
	s_wait_storecnt_dscnt 0x0
	s_barrier_signal -1
	s_barrier_wait -1
	global_inv scope:SCOPE_SE
	s_clause 0x8
	scratch_load_b128 v[2:5], off, off offset:360
	scratch_load_b128 v[6:9], off, off offset:376
	;; [unrolled: 1-line block ×7, first 2 shown]
	scratch_load_b64 v[30:31], off, off offset:472
	scratch_load_b64 v[153:154], off, off offset:352
	v_mov_b32_e32 v1, 0
	ds_load_2addr_b64 v[156:159], v1 offset0:105 offset1:106
	ds_load_2addr_b64 v[160:163], v1 offset0:107 offset1:108
	;; [unrolled: 1-line block ×7, first 2 shown]
	ds_load_b64 v[184:185], v1 offset:952
	s_mov_b32 s0, exec_lo
	s_wait_loadcnt_dscnt 0x807
	v_mul_f32_e32 v32, v156, v3
	v_dual_mul_f32 v3, v157, v3 :: v_dual_mul_f32 v186, v158, v5
	s_wait_loadcnt_dscnt 0x706
	v_mul_f32_e32 v187, v160, v7
	v_mul_f32_e32 v5, v159, v5
	s_wait_loadcnt_dscnt 0x302
	v_mul_f32_e32 v196, v178, v25
	v_fma_f32 v3, v156, v2, -v3
	s_wait_loadcnt_dscnt 0x100
	v_dual_mul_f32 v199, v184, v31 :: v_dual_fmac_f32 v32, v157, v2
	v_mul_f32_e32 v2, v161, v7
	s_delay_alu instid0(VALU_DEP_3) | instskip(SKIP_2) | instid1(VALU_DEP_4)
	v_dual_fmac_f32 v186, v159, v4 :: v_dual_add_f32 v3, 0, v3
	v_fma_f32 v4, v158, v4, -v5
	v_dual_mul_f32 v188, v162, v9 :: v_dual_mul_f32 v189, v164, v11
	v_fma_f32 v2, v160, v6, -v2
	v_fmac_f32_e32 v187, v161, v6
	s_delay_alu instid0(VALU_DEP_4) | instskip(SKIP_2) | instid1(VALU_DEP_3)
	v_add_f32_e32 v3, v3, v4
	v_dual_add_f32 v5, 0, v32 :: v_dual_mul_f32 v190, v166, v13
	v_dual_mul_f32 v191, v168, v15 :: v_dual_fmac_f32 v188, v163, v8
	v_add_f32_e32 v2, v3, v2
	s_delay_alu instid0(VALU_DEP_3) | instskip(NEXT) | instid1(VALU_DEP_4)
	v_dual_mul_f32 v7, v163, v9 :: v_dual_add_f32 v4, v5, v186
	v_dual_mul_f32 v5, v165, v11 :: v_dual_fmac_f32 v190, v167, v12
	v_dual_mul_f32 v192, v170, v17 :: v_dual_mul_f32 v193, v172, v19
	s_delay_alu instid0(VALU_DEP_3) | instskip(NEXT) | instid1(VALU_DEP_4)
	v_fma_f32 v6, v162, v8, -v7
	v_dual_add_f32 v3, v4, v187 :: v_dual_mul_f32 v4, v167, v13
	s_delay_alu instid0(VALU_DEP_4) | instskip(NEXT) | instid1(VALU_DEP_4)
	v_fma_f32 v5, v164, v10, -v5
	v_dual_fmac_f32 v191, v169, v14 :: v_dual_fmac_f32 v192, v171, v16
	s_delay_alu instid0(VALU_DEP_4) | instskip(SKIP_3) | instid1(VALU_DEP_4)
	v_add_f32_e32 v2, v2, v6
	v_fmac_f32_e32 v189, v165, v10
	v_dual_add_f32 v3, v3, v188 :: v_dual_mul_f32 v6, v169, v15
	v_fma_f32 v4, v166, v12, -v4
	v_add_f32_e32 v2, v2, v5
	v_mul_f32_e32 v5, v171, v17
	s_delay_alu instid0(VALU_DEP_4)
	v_add_f32_e32 v3, v3, v189
	v_fma_f32 v6, v168, v14, -v6
	v_dual_mul_f32 v194, v174, v21 :: v_dual_mul_f32 v195, v176, v23
	v_add_f32_e32 v2, v2, v4
	v_mul_f32_e32 v4, v173, v19
	v_fma_f32 v5, v170, v16, -v5
	v_fmac_f32_e32 v193, v173, v18
	v_dual_mul_f32 v197, v180, v27 :: v_dual_mul_f32 v198, v182, v29
	v_add_f32_e32 v2, v2, v6
	v_add_f32_e32 v3, v3, v190
	v_mul_f32_e32 v6, v175, v21
	v_fma_f32 v4, v172, v18, -v4
	v_fmac_f32_e32 v194, v175, v20
	s_delay_alu instid0(VALU_DEP_4) | instskip(NEXT) | instid1(VALU_DEP_4)
	v_dual_add_f32 v2, v2, v5 :: v_dual_add_f32 v3, v3, v191
	v_fma_f32 v6, v174, v20, -v6
	v_mul_f32_e32 v5, v177, v23
	s_delay_alu instid0(VALU_DEP_3) | instskip(NEXT) | instid1(VALU_DEP_4)
	v_dual_fmac_f32 v195, v177, v22 :: v_dual_add_f32 v2, v2, v4
	v_add_f32_e32 v3, v3, v192
	v_mul_f32_e32 v4, v179, v25
	s_delay_alu instid0(VALU_DEP_4) | instskip(SKIP_1) | instid1(VALU_DEP_4)
	v_fma_f32 v5, v176, v22, -v5
	v_dual_fmac_f32 v196, v179, v24 :: v_dual_fmac_f32 v197, v181, v26
	v_dual_add_f32 v2, v2, v6 :: v_dual_add_f32 v3, v3, v193
	v_mul_f32_e32 v6, v181, v27
	v_fma_f32 v4, v178, v24, -v4
	v_dual_fmac_f32 v198, v183, v28 :: v_dual_fmac_f32 v199, v185, v30
	s_delay_alu instid0(VALU_DEP_4) | instskip(NEXT) | instid1(VALU_DEP_4)
	v_dual_add_f32 v3, v3, v194 :: v_dual_add_f32 v2, v2, v5
	v_fma_f32 v6, v180, v26, -v6
	s_delay_alu instid0(VALU_DEP_2) | instskip(NEXT) | instid1(VALU_DEP_3)
	v_add_f32_e32 v3, v3, v195
	v_dual_mul_f32 v5, v183, v29 :: v_dual_add_f32 v2, v2, v4
	s_delay_alu instid0(VALU_DEP_2) | instskip(NEXT) | instid1(VALU_DEP_2)
	v_dual_mul_f32 v4, v185, v31 :: v_dual_add_f32 v3, v3, v196
	v_fma_f32 v5, v182, v28, -v5
	s_delay_alu instid0(VALU_DEP_3) | instskip(NEXT) | instid1(VALU_DEP_3)
	v_add_f32_e32 v2, v2, v6
	v_fma_f32 v4, v184, v30, -v4
	s_delay_alu instid0(VALU_DEP_4) | instskip(NEXT) | instid1(VALU_DEP_1)
	v_add_f32_e32 v3, v3, v197
	v_dual_add_f32 v2, v2, v5 :: v_dual_add_f32 v3, v3, v198
	s_delay_alu instid0(VALU_DEP_1) | instskip(SKIP_1) | instid1(VALU_DEP_1)
	v_dual_add_f32 v2, v2, v4 :: v_dual_add_f32 v3, v3, v199
	s_wait_loadcnt 0x0
	v_dual_sub_f32 v2, v153, v2 :: v_dual_sub_f32 v3, v154, v3
	scratch_store_b64 off, v[2:3], off offset:352
	v_cmpx_lt_u32_e32 43, v0
	s_cbranch_execz .LBB123_287
; %bb.286:
	scratch_load_b64 v[3:4], off, off offset:344
	v_mov_b32_e32 v2, v1
	scratch_store_b64 off, v[1:2], off offset:344
	s_wait_loadcnt 0x0
	ds_store_b64 v155, v[3:4]
.LBB123_287:
	s_wait_alu 0xfffe
	s_or_b32 exec_lo, exec_lo, s0
	s_wait_storecnt_dscnt 0x0
	s_barrier_signal -1
	s_barrier_wait -1
	global_inv scope:SCOPE_SE
	s_clause 0x8
	scratch_load_b128 v[2:5], off, off offset:352
	scratch_load_b128 v[6:9], off, off offset:368
	;; [unrolled: 1-line block ×8, first 2 shown]
	scratch_load_b64 v[30:31], off, off offset:344
	ds_load_b128 v[160:163], v1 offset:832
	ds_load_b128 v[164:167], v1 offset:848
	;; [unrolled: 1-line block ×8, first 2 shown]
	s_mov_b32 s0, exec_lo
	s_wait_loadcnt_dscnt 0x807
	v_dual_mul_f32 v1, v160, v3 :: v_dual_mul_f32 v32, v162, v5
	v_mul_f32_e32 v3, v161, v3
	v_mul_f32_e32 v5, v163, v5
	s_wait_loadcnt_dscnt 0x706
	v_dual_mul_f32 v153, v164, v7 :: v_dual_mul_f32 v154, v166, v9
	s_wait_loadcnt_dscnt 0x605
	v_dual_mul_f32 v192, v168, v11 :: v_dual_mul_f32 v193, v170, v13
	s_wait_loadcnt_dscnt 0x100
	v_mul_f32_e32 v202, v188, v157
	v_fma_f32 v3, v160, v2, -v3
	v_dual_mul_f32 v203, v190, v159 :: v_dual_fmac_f32 v32, v163, v4
	v_dual_fmac_f32 v1, v161, v2 :: v_dual_fmac_f32 v154, v167, v8
	v_mul_f32_e32 v2, v165, v7
	v_fma_f32 v4, v162, v4, -v5
	v_dual_add_f32 v3, 0, v3 :: v_dual_fmac_f32 v192, v169, v10
	v_dual_mul_f32 v194, v172, v15 :: v_dual_mul_f32 v195, v174, v17
	v_add_f32_e32 v1, 0, v1
	s_delay_alu instid0(VALU_DEP_3) | instskip(SKIP_1) | instid1(VALU_DEP_4)
	v_dual_add_f32 v3, v3, v4 :: v_dual_mul_f32 v4, v169, v11
	v_fma_f32 v2, v164, v6, -v2
	v_fmac_f32_e32 v194, v173, v14
	s_delay_alu instid0(VALU_DEP_4)
	v_dual_add_f32 v1, v1, v32 :: v_dual_mul_f32 v196, v176, v19
	v_mul_f32_e32 v197, v178, v21
	v_fma_f32 v4, v168, v10, -v4
	v_mul_f32_e32 v5, v167, v9
	v_add_f32_e32 v2, v3, v2
	v_dual_mul_f32 v3, v171, v13 :: v_dual_fmac_f32 v196, v177, v18
	v_dual_mul_f32 v198, v180, v23 :: v_dual_mul_f32 v199, v182, v25
	s_delay_alu instid0(VALU_DEP_4) | instskip(SKIP_1) | instid1(VALU_DEP_4)
	v_fma_f32 v5, v166, v8, -v5
	v_fmac_f32_e32 v153, v165, v6
	v_fma_f32 v3, v170, v12, -v3
	v_dual_fmac_f32 v195, v175, v16 :: v_dual_mul_f32 v200, v184, v27
	v_mul_f32_e32 v201, v186, v29
	v_dual_add_f32 v2, v2, v5 :: v_dual_fmac_f32 v197, v179, v20
	v_fmac_f32_e32 v203, v191, v158
	s_delay_alu instid0(VALU_DEP_3) | instskip(NEXT) | instid1(VALU_DEP_3)
	v_dual_fmac_f32 v200, v185, v26 :: v_dual_fmac_f32 v201, v187, v28
	v_dual_add_f32 v2, v2, v4 :: v_dual_add_f32 v1, v1, v153
	v_mul_f32_e32 v4, v175, v17
	v_fmac_f32_e32 v198, v181, v22
	v_fmac_f32_e32 v202, v189, v156
	s_delay_alu instid0(VALU_DEP_4) | instskip(NEXT) | instid1(VALU_DEP_4)
	v_dual_add_f32 v2, v2, v3 :: v_dual_add_f32 v1, v1, v154
	v_fma_f32 v4, v174, v16, -v4
	v_mul_f32_e32 v5, v173, v15
	s_delay_alu instid0(VALU_DEP_1) | instskip(NEXT) | instid1(VALU_DEP_1)
	v_fma_f32 v5, v172, v14, -v5
	v_dual_fmac_f32 v193, v171, v12 :: v_dual_add_f32 v2, v2, v5
	s_delay_alu instid0(VALU_DEP_1) | instskip(NEXT) | instid1(VALU_DEP_1)
	v_dual_mul_f32 v5, v179, v21 :: v_dual_add_f32 v2, v2, v4
	v_fma_f32 v5, v178, v20, -v5
	v_mul_f32_e32 v3, v177, v19
	v_mul_f32_e32 v4, v181, v23
	s_delay_alu instid0(VALU_DEP_2) | instskip(SKIP_1) | instid1(VALU_DEP_3)
	v_fma_f32 v3, v176, v18, -v3
	v_add_f32_e32 v1, v1, v192
	v_fma_f32 v4, v180, v22, -v4
	s_delay_alu instid0(VALU_DEP_3) | instskip(NEXT) | instid1(VALU_DEP_1)
	v_dual_add_f32 v2, v2, v3 :: v_dual_mul_f32 v3, v183, v25
	v_add_f32_e32 v2, v2, v5
	s_delay_alu instid0(VALU_DEP_4) | instskip(NEXT) | instid1(VALU_DEP_3)
	v_add_f32_e32 v1, v1, v193
	v_fma_f32 v3, v182, v24, -v3
	s_delay_alu instid0(VALU_DEP_2) | instskip(SKIP_1) | instid1(VALU_DEP_2)
	v_dual_add_f32 v2, v2, v4 :: v_dual_add_f32 v1, v1, v194
	v_mul_f32_e32 v4, v187, v29
	v_dual_fmac_f32 v199, v183, v24 :: v_dual_add_f32 v2, v2, v3
	v_mul_f32_e32 v3, v189, v157
	s_delay_alu instid0(VALU_DEP_3) | instskip(SKIP_1) | instid1(VALU_DEP_3)
	v_fma_f32 v4, v186, v28, -v4
	v_mul_f32_e32 v5, v185, v27
	v_fma_f32 v3, v188, v156, -v3
	s_delay_alu instid0(VALU_DEP_2) | instskip(NEXT) | instid1(VALU_DEP_1)
	v_fma_f32 v5, v184, v26, -v5
	v_dual_add_f32 v1, v1, v195 :: v_dual_add_f32 v2, v2, v5
	s_delay_alu instid0(VALU_DEP_1) | instskip(NEXT) | instid1(VALU_DEP_2)
	v_dual_mul_f32 v5, v191, v159 :: v_dual_add_f32 v2, v2, v4
	v_add_f32_e32 v1, v1, v196
	s_delay_alu instid0(VALU_DEP_2) | instskip(NEXT) | instid1(VALU_DEP_2)
	v_fma_f32 v4, v190, v158, -v5
	v_dual_add_f32 v2, v2, v3 :: v_dual_add_f32 v1, v1, v197
	s_delay_alu instid0(VALU_DEP_1) | instskip(NEXT) | instid1(VALU_DEP_1)
	v_dual_add_f32 v2, v2, v4 :: v_dual_add_f32 v1, v1, v198
	v_add_f32_e32 v1, v1, v199
	s_delay_alu instid0(VALU_DEP_1) | instskip(NEXT) | instid1(VALU_DEP_1)
	v_add_f32_e32 v1, v1, v200
	v_add_f32_e32 v1, v1, v201
	s_delay_alu instid0(VALU_DEP_1) | instskip(NEXT) | instid1(VALU_DEP_1)
	v_add_f32_e32 v1, v1, v202
	v_add_f32_e32 v3, v1, v203
	s_wait_loadcnt 0x0
	s_delay_alu instid0(VALU_DEP_1)
	v_dual_sub_f32 v1, v30, v2 :: v_dual_sub_f32 v2, v31, v3
	scratch_store_b64 off, v[1:2], off offset:344
	v_cmpx_lt_u32_e32 42, v0
	s_cbranch_execz .LBB123_289
; %bb.288:
	scratch_load_b64 v[1:2], off, off offset:336
	v_mov_b32_e32 v3, 0
	s_delay_alu instid0(VALU_DEP_1)
	v_mov_b32_e32 v4, v3
	scratch_store_b64 off, v[3:4], off offset:336
	s_wait_loadcnt 0x0
	ds_store_b64 v155, v[1:2]
.LBB123_289:
	s_wait_alu 0xfffe
	s_or_b32 exec_lo, exec_lo, s0
	s_wait_storecnt_dscnt 0x0
	s_barrier_signal -1
	s_barrier_wait -1
	global_inv scope:SCOPE_SE
	s_clause 0x9
	scratch_load_b128 v[2:5], off, off offset:344
	scratch_load_b128 v[6:9], off, off offset:360
	;; [unrolled: 1-line block ×8, first 2 shown]
	scratch_load_b64 v[30:31], off, off offset:472
	scratch_load_b64 v[153:154], off, off offset:336
	v_mov_b32_e32 v1, 0
	ds_load_2addr_b64 v[160:163], v1 offset0:103 offset1:104
	ds_load_2addr_b64 v[164:167], v1 offset0:105 offset1:106
	;; [unrolled: 1-line block ×8, first 2 shown]
	ds_load_b64 v[192:193], v1 offset:952
	s_mov_b32 s0, exec_lo
	s_wait_loadcnt_dscnt 0x908
	v_mul_f32_e32 v32, v160, v3
	s_wait_loadcnt_dscnt 0x807
	v_dual_mul_f32 v194, v162, v5 :: v_dual_mul_f32 v195, v164, v7
	v_mul_f32_e32 v3, v161, v3
	s_delay_alu instid0(VALU_DEP_3)
	v_dual_mul_f32 v5, v163, v5 :: v_dual_fmac_f32 v32, v161, v2
	s_wait_loadcnt_dscnt 0x302
	v_mul_f32_e32 v206, v186, v29
	v_dual_mul_f32 v196, v166, v9 :: v_dual_mul_f32 v197, v168, v11
	v_fma_f32 v3, v160, v2, -v3
	s_wait_loadcnt_dscnt 0x100
	v_mul_f32_e32 v209, v192, v31
	v_mul_f32_e32 v2, v165, v7
	v_fmac_f32_e32 v194, v163, v4
	v_fma_f32 v4, v162, v4, -v5
	v_add_f32_e32 v3, 0, v3
	v_dual_fmac_f32 v195, v165, v6 :: v_dual_fmac_f32 v196, v167, v8
	v_fma_f32 v2, v164, v6, -v2
	v_dual_mul_f32 v198, v170, v13 :: v_dual_mul_f32 v199, v172, v15
	s_delay_alu instid0(VALU_DEP_4) | instskip(SKIP_2) | instid1(VALU_DEP_4)
	v_add_f32_e32 v3, v3, v4
	v_dual_add_f32 v5, 0, v32 :: v_dual_mul_f32 v200, v174, v17
	v_mul_f32_e32 v201, v176, v19
	v_fmac_f32_e32 v199, v173, v14
	s_delay_alu instid0(VALU_DEP_4) | instskip(NEXT) | instid1(VALU_DEP_4)
	v_add_f32_e32 v2, v3, v2
	v_dual_mul_f32 v7, v167, v9 :: v_dual_add_f32 v4, v5, v194
	v_dual_mul_f32 v5, v169, v11 :: v_dual_fmac_f32 v198, v171, v12
	v_fmac_f32_e32 v200, v175, v16
	s_delay_alu instid0(VALU_DEP_3) | instskip(NEXT) | instid1(VALU_DEP_4)
	v_fma_f32 v6, v166, v8, -v7
	v_dual_add_f32 v3, v4, v195 :: v_dual_mul_f32 v4, v171, v13
	s_delay_alu instid0(VALU_DEP_4) | instskip(SKIP_1) | instid1(VALU_DEP_4)
	v_fma_f32 v5, v168, v10, -v5
	v_dual_mul_f32 v202, v178, v21 :: v_dual_mul_f32 v203, v180, v23
	v_add_f32_e32 v2, v2, v6
	v_fmac_f32_e32 v197, v169, v10
	v_dual_add_f32 v3, v3, v196 :: v_dual_mul_f32 v6, v173, v15
	v_fma_f32 v4, v170, v12, -v4
	s_delay_alu instid0(VALU_DEP_4) | instskip(SKIP_1) | instid1(VALU_DEP_4)
	v_add_f32_e32 v2, v2, v5
	v_mul_f32_e32 v5, v175, v17
	v_add_f32_e32 v3, v3, v197
	v_fma_f32 v6, v172, v14, -v6
	v_dual_mul_f32 v204, v182, v25 :: v_dual_mul_f32 v205, v184, v27
	v_add_f32_e32 v2, v2, v4
	v_mul_f32_e32 v4, v177, v19
	v_fma_f32 v5, v174, v16, -v5
	v_dual_fmac_f32 v201, v177, v18 :: v_dual_fmac_f32 v202, v179, v20
	s_delay_alu instid0(VALU_DEP_4) | instskip(SKIP_3) | instid1(VALU_DEP_4)
	v_add_f32_e32 v2, v2, v6
	v_add_f32_e32 v3, v3, v198
	v_mul_f32_e32 v6, v179, v21
	v_fma_f32 v4, v176, v18, -v4
	v_dual_fmac_f32 v203, v181, v22 :: v_dual_add_f32 v2, v2, v5
	s_delay_alu instid0(VALU_DEP_4) | instskip(NEXT) | instid1(VALU_DEP_4)
	v_add_f32_e32 v3, v3, v199
	v_fma_f32 v6, v178, v20, -v6
	v_dual_mul_f32 v5, v181, v23 :: v_dual_fmac_f32 v204, v183, v24
	s_delay_alu instid0(VALU_DEP_4) | instskip(NEXT) | instid1(VALU_DEP_4)
	v_dual_fmac_f32 v205, v185, v26 :: v_dual_add_f32 v2, v2, v4
	v_add_f32_e32 v3, v3, v200
	v_mul_f32_e32 v4, v183, v25
	s_delay_alu instid0(VALU_DEP_4) | instskip(SKIP_1) | instid1(VALU_DEP_4)
	v_fma_f32 v5, v180, v22, -v5
	v_dual_mul_f32 v207, v188, v157 :: v_dual_mul_f32 v208, v190, v159
	v_dual_add_f32 v2, v2, v6 :: v_dual_add_f32 v3, v3, v201
	v_mul_f32_e32 v6, v185, v27
	v_fma_f32 v4, v182, v24, -v4
	v_fmac_f32_e32 v206, v187, v28
	v_fmac_f32_e32 v208, v191, v158
	v_dual_add_f32 v3, v3, v202 :: v_dual_add_f32 v2, v2, v5
	v_fma_f32 v6, v184, v26, -v6
	v_fmac_f32_e32 v207, v189, v156
	s_delay_alu instid0(VALU_DEP_3) | instskip(NEXT) | instid1(VALU_DEP_4)
	v_add_f32_e32 v3, v3, v203
	v_dual_mul_f32 v5, v187, v29 :: v_dual_add_f32 v2, v2, v4
	s_delay_alu instid0(VALU_DEP_2) | instskip(NEXT) | instid1(VALU_DEP_2)
	v_dual_mul_f32 v4, v189, v157 :: v_dual_add_f32 v3, v3, v204
	v_fma_f32 v5, v186, v28, -v5
	s_delay_alu instid0(VALU_DEP_3) | instskip(SKIP_1) | instid1(VALU_DEP_4)
	v_add_f32_e32 v2, v2, v6
	v_mul_f32_e32 v6, v191, v159
	v_fma_f32 v4, v188, v156, -v4
	v_add_f32_e32 v3, v3, v205
	s_delay_alu instid0(VALU_DEP_4) | instskip(NEXT) | instid1(VALU_DEP_4)
	v_dual_add_f32 v2, v2, v5 :: v_dual_mul_f32 v5, v193, v31
	v_fma_f32 v6, v190, v158, -v6
	s_delay_alu instid0(VALU_DEP_2) | instskip(NEXT) | instid1(VALU_DEP_3)
	v_dual_add_f32 v3, v3, v206 :: v_dual_add_f32 v2, v2, v4
	v_fma_f32 v4, v192, v30, -v5
	s_delay_alu instid0(VALU_DEP_2) | instskip(NEXT) | instid1(VALU_DEP_1)
	v_dual_add_f32 v3, v3, v207 :: v_dual_add_f32 v2, v2, v6
	v_add_f32_e32 v3, v3, v208
	s_delay_alu instid0(VALU_DEP_2) | instskip(SKIP_1) | instid1(VALU_DEP_1)
	v_dual_fmac_f32 v209, v193, v30 :: v_dual_add_f32 v2, v2, v4
	s_wait_loadcnt 0x0
	v_dual_add_f32 v3, v3, v209 :: v_dual_sub_f32 v2, v153, v2
	s_delay_alu instid0(VALU_DEP_1)
	v_sub_f32_e32 v3, v154, v3
	scratch_store_b64 off, v[2:3], off offset:336
	v_cmpx_lt_u32_e32 41, v0
	s_cbranch_execz .LBB123_291
; %bb.290:
	scratch_load_b64 v[3:4], off, off offset:328
	v_mov_b32_e32 v2, v1
	scratch_store_b64 off, v[1:2], off offset:328
	s_wait_loadcnt 0x0
	ds_store_b64 v155, v[3:4]
.LBB123_291:
	s_wait_alu 0xfffe
	s_or_b32 exec_lo, exec_lo, s0
	s_wait_storecnt_dscnt 0x0
	s_barrier_signal -1
	s_barrier_wait -1
	global_inv scope:SCOPE_SE
	s_clause 0x9
	scratch_load_b128 v[2:5], off, off offset:336
	scratch_load_b128 v[6:9], off, off offset:352
	;; [unrolled: 1-line block ×9, first 2 shown]
	scratch_load_b64 v[30:31], off, off offset:328
	ds_load_b128 v[164:167], v1 offset:816
	ds_load_b128 v[168:171], v1 offset:832
	;; [unrolled: 1-line block ×9, first 2 shown]
	s_mov_b32 s0, exec_lo
	s_wait_loadcnt_dscnt 0x908
	v_dual_mul_f32 v1, v164, v3 :: v_dual_mul_f32 v32, v166, v5
	v_mul_f32_e32 v5, v167, v5
	v_mul_f32_e32 v3, v165, v3
	s_wait_loadcnt_dscnt 0x807
	v_dual_mul_f32 v153, v168, v7 :: v_dual_mul_f32 v154, v170, v9
	s_wait_loadcnt_dscnt 0x706
	v_dual_mul_f32 v200, v172, v11 :: v_dual_mul_f32 v201, v174, v13
	s_wait_loadcnt_dscnt 0x201
	v_mul_f32_e32 v210, v192, v157
	v_fma_f32 v3, v164, v2, -v3
	s_wait_loadcnt_dscnt 0x100
	v_dual_mul_f32 v213, v198, v163 :: v_dual_fmac_f32 v32, v167, v4
	v_dual_fmac_f32 v1, v165, v2 :: v_dual_fmac_f32 v154, v171, v8
	v_mul_f32_e32 v2, v169, v7
	v_fma_f32 v4, v166, v4, -v5
	v_dual_add_f32 v3, 0, v3 :: v_dual_fmac_f32 v200, v173, v10
	v_dual_mul_f32 v202, v176, v15 :: v_dual_mul_f32 v203, v178, v17
	v_add_f32_e32 v1, 0, v1
	s_delay_alu instid0(VALU_DEP_3) | instskip(SKIP_1) | instid1(VALU_DEP_4)
	v_dual_add_f32 v3, v3, v4 :: v_dual_mul_f32 v4, v173, v11
	v_fma_f32 v2, v168, v6, -v2
	v_fmac_f32_e32 v202, v177, v14
	s_delay_alu instid0(VALU_DEP_4)
	v_dual_add_f32 v1, v1, v32 :: v_dual_mul_f32 v204, v180, v19
	v_mul_f32_e32 v205, v182, v21
	v_fma_f32 v4, v172, v10, -v4
	v_mul_f32_e32 v5, v171, v9
	v_add_f32_e32 v2, v3, v2
	v_dual_mul_f32 v3, v175, v13 :: v_dual_fmac_f32 v204, v181, v18
	v_dual_mul_f32 v206, v184, v23 :: v_dual_mul_f32 v207, v186, v25
	s_delay_alu instid0(VALU_DEP_4) | instskip(SKIP_1) | instid1(VALU_DEP_4)
	v_fma_f32 v5, v170, v8, -v5
	v_fmac_f32_e32 v153, v169, v6
	v_fma_f32 v3, v174, v12, -v3
	v_dual_fmac_f32 v203, v179, v16 :: v_dual_mul_f32 v208, v188, v27
	v_mul_f32_e32 v209, v190, v29
	v_add_f32_e32 v2, v2, v5
	v_dual_mul_f32 v211, v194, v159 :: v_dual_mul_f32 v212, v196, v161
	s_delay_alu instid0(VALU_DEP_4) | instskip(NEXT) | instid1(VALU_DEP_3)
	v_dual_fmac_f32 v205, v183, v20 :: v_dual_fmac_f32 v208, v189, v26
	v_dual_add_f32 v2, v2, v4 :: v_dual_add_f32 v1, v1, v153
	v_mul_f32_e32 v4, v179, v17
	v_fmac_f32_e32 v209, v191, v28
	s_delay_alu instid0(VALU_DEP_3) | instskip(NEXT) | instid1(VALU_DEP_4)
	v_dual_fmac_f32 v213, v199, v162 :: v_dual_add_f32 v2, v2, v3
	v_add_f32_e32 v1, v1, v154
	s_delay_alu instid0(VALU_DEP_4) | instskip(SKIP_4) | instid1(VALU_DEP_4)
	v_fma_f32 v4, v178, v16, -v4
	v_mul_f32_e32 v5, v177, v15
	v_fmac_f32_e32 v206, v185, v22
	v_fmac_f32_e32 v210, v193, v156
	;; [unrolled: 1-line block ×3, first 2 shown]
	v_fma_f32 v5, v176, v14, -v5
	s_delay_alu instid0(VALU_DEP_1) | instskip(NEXT) | instid1(VALU_DEP_1)
	v_dual_fmac_f32 v201, v175, v12 :: v_dual_add_f32 v2, v2, v5
	v_dual_mul_f32 v5, v183, v21 :: v_dual_add_f32 v2, v2, v4
	s_delay_alu instid0(VALU_DEP_1) | instskip(SKIP_2) | instid1(VALU_DEP_2)
	v_fma_f32 v5, v182, v20, -v5
	v_mul_f32_e32 v3, v181, v19
	v_mul_f32_e32 v4, v185, v23
	v_fma_f32 v3, v180, v18, -v3
	v_add_f32_e32 v1, v1, v200
	s_delay_alu instid0(VALU_DEP_3) | instskip(NEXT) | instid1(VALU_DEP_3)
	v_fma_f32 v4, v184, v22, -v4
	v_dual_add_f32 v2, v2, v3 :: v_dual_mul_f32 v3, v187, v25
	s_delay_alu instid0(VALU_DEP_1) | instskip(NEXT) | instid1(VALU_DEP_4)
	v_add_f32_e32 v2, v2, v5
	v_add_f32_e32 v1, v1, v201
	s_delay_alu instid0(VALU_DEP_3) | instskip(NEXT) | instid1(VALU_DEP_2)
	v_fma_f32 v3, v186, v24, -v3
	v_dual_add_f32 v2, v2, v4 :: v_dual_add_f32 v1, v1, v202
	v_mul_f32_e32 v4, v191, v29
	s_delay_alu instid0(VALU_DEP_2) | instskip(SKIP_1) | instid1(VALU_DEP_3)
	v_dual_fmac_f32 v207, v187, v24 :: v_dual_add_f32 v2, v2, v3
	v_mul_f32_e32 v3, v193, v157
	v_fma_f32 v4, v190, v28, -v4
	v_mul_f32_e32 v5, v189, v27
	s_delay_alu instid0(VALU_DEP_3) | instskip(NEXT) | instid1(VALU_DEP_2)
	v_fma_f32 v3, v192, v156, -v3
	v_fma_f32 v5, v188, v26, -v5
	s_delay_alu instid0(VALU_DEP_1) | instskip(NEXT) | instid1(VALU_DEP_1)
	v_dual_add_f32 v1, v1, v203 :: v_dual_add_f32 v2, v2, v5
	v_dual_mul_f32 v5, v195, v159 :: v_dual_add_f32 v2, v2, v4
	s_delay_alu instid0(VALU_DEP_2) | instskip(SKIP_1) | instid1(VALU_DEP_3)
	v_add_f32_e32 v1, v1, v204
	v_mul_f32_e32 v4, v197, v161
	v_fma_f32 v5, v194, v158, -v5
	s_delay_alu instid0(VALU_DEP_4) | instskip(SKIP_1) | instid1(VALU_DEP_4)
	v_dual_add_f32 v2, v2, v3 :: v_dual_fmac_f32 v211, v195, v158
	v_mul_f32_e32 v3, v199, v163
	v_fma_f32 v4, v196, v160, -v4
	s_delay_alu instid0(VALU_DEP_3) | instskip(SKIP_1) | instid1(VALU_DEP_4)
	v_add_f32_e32 v2, v2, v5
	v_add_f32_e32 v1, v1, v205
	v_fma_f32 v3, v198, v162, -v3
	s_delay_alu instid0(VALU_DEP_2) | instskip(NEXT) | instid1(VALU_DEP_1)
	v_dual_add_f32 v2, v2, v4 :: v_dual_add_f32 v1, v1, v206
	v_add_f32_e32 v2, v2, v3
	s_delay_alu instid0(VALU_DEP_2) | instskip(NEXT) | instid1(VALU_DEP_1)
	v_add_f32_e32 v1, v1, v207
	v_add_f32_e32 v1, v1, v208
	s_delay_alu instid0(VALU_DEP_1) | instskip(NEXT) | instid1(VALU_DEP_1)
	v_add_f32_e32 v1, v1, v209
	v_add_f32_e32 v1, v1, v210
	s_delay_alu instid0(VALU_DEP_1) | instskip(NEXT) | instid1(VALU_DEP_1)
	v_add_f32_e32 v1, v1, v211
	v_add_f32_e32 v1, v1, v212
	s_delay_alu instid0(VALU_DEP_1) | instskip(SKIP_1) | instid1(VALU_DEP_1)
	v_add_f32_e32 v3, v1, v213
	s_wait_loadcnt 0x0
	v_dual_sub_f32 v1, v30, v2 :: v_dual_sub_f32 v2, v31, v3
	scratch_store_b64 off, v[1:2], off offset:328
	v_cmpx_lt_u32_e32 40, v0
	s_cbranch_execz .LBB123_293
; %bb.292:
	scratch_load_b64 v[1:2], off, off offset:320
	v_mov_b32_e32 v3, 0
	s_delay_alu instid0(VALU_DEP_1)
	v_mov_b32_e32 v4, v3
	scratch_store_b64 off, v[3:4], off offset:320
	s_wait_loadcnt 0x0
	ds_store_b64 v155, v[1:2]
.LBB123_293:
	s_wait_alu 0xfffe
	s_or_b32 exec_lo, exec_lo, s0
	s_wait_storecnt_dscnt 0x0
	s_barrier_signal -1
	s_barrier_wait -1
	global_inv scope:SCOPE_SE
	s_clause 0xa
	scratch_load_b128 v[2:5], off, off offset:328
	scratch_load_b128 v[6:9], off, off offset:344
	;; [unrolled: 1-line block ×9, first 2 shown]
	scratch_load_b64 v[30:31], off, off offset:472
	scratch_load_b64 v[153:154], off, off offset:320
	v_mov_b32_e32 v1, 0
	ds_load_2addr_b64 v[164:167], v1 offset0:101 offset1:102
	ds_load_2addr_b64 v[168:171], v1 offset0:103 offset1:104
	;; [unrolled: 1-line block ×9, first 2 shown]
	ds_load_b64 v[200:201], v1 offset:952
	s_mov_b32 s0, exec_lo
	s_wait_loadcnt_dscnt 0xa09
	v_mul_f32_e32 v32, v164, v3
	s_wait_loadcnt_dscnt 0x908
	v_dual_mul_f32 v202, v166, v5 :: v_dual_mul_f32 v203, v168, v7
	v_mul_f32_e32 v3, v165, v3
	s_delay_alu instid0(VALU_DEP_3)
	v_dual_mul_f32 v5, v167, v5 :: v_dual_fmac_f32 v32, v165, v2
	s_wait_loadcnt_dscnt 0x403
	v_mul_f32_e32 v214, v190, v29
	v_dual_mul_f32 v204, v170, v9 :: v_dual_mul_f32 v205, v172, v11
	v_fma_f32 v3, v164, v2, -v3
	s_wait_loadcnt_dscnt 0x100
	v_mul_f32_e32 v219, v200, v31
	v_mul_f32_e32 v2, v169, v7
	v_fmac_f32_e32 v202, v167, v4
	v_fma_f32 v4, v166, v4, -v5
	v_add_f32_e32 v3, 0, v3
	v_dual_fmac_f32 v203, v169, v6 :: v_dual_fmac_f32 v204, v171, v8
	v_fma_f32 v2, v168, v6, -v2
	v_dual_mul_f32 v206, v174, v13 :: v_dual_mul_f32 v207, v176, v15
	s_delay_alu instid0(VALU_DEP_4) | instskip(SKIP_2) | instid1(VALU_DEP_4)
	v_add_f32_e32 v3, v3, v4
	v_dual_add_f32 v5, 0, v32 :: v_dual_mul_f32 v208, v178, v17
	v_mul_f32_e32 v209, v180, v19
	v_fmac_f32_e32 v207, v177, v14
	s_delay_alu instid0(VALU_DEP_4) | instskip(NEXT) | instid1(VALU_DEP_4)
	v_add_f32_e32 v2, v3, v2
	v_dual_mul_f32 v7, v171, v9 :: v_dual_add_f32 v4, v5, v202
	v_dual_mul_f32 v5, v173, v11 :: v_dual_fmac_f32 v206, v175, v12
	v_fmac_f32_e32 v208, v179, v16
	s_delay_alu instid0(VALU_DEP_3) | instskip(NEXT) | instid1(VALU_DEP_4)
	v_fma_f32 v6, v170, v8, -v7
	v_dual_add_f32 v3, v4, v203 :: v_dual_mul_f32 v4, v175, v13
	s_delay_alu instid0(VALU_DEP_4) | instskip(SKIP_1) | instid1(VALU_DEP_4)
	v_fma_f32 v5, v172, v10, -v5
	v_dual_mul_f32 v210, v182, v21 :: v_dual_mul_f32 v211, v184, v23
	v_add_f32_e32 v2, v2, v6
	v_fmac_f32_e32 v205, v173, v10
	v_dual_add_f32 v3, v3, v204 :: v_dual_mul_f32 v6, v177, v15
	v_fma_f32 v4, v174, v12, -v4
	s_delay_alu instid0(VALU_DEP_4) | instskip(SKIP_1) | instid1(VALU_DEP_4)
	v_add_f32_e32 v2, v2, v5
	v_mul_f32_e32 v5, v179, v17
	v_add_f32_e32 v3, v3, v205
	v_fma_f32 v6, v176, v14, -v6
	v_dual_mul_f32 v212, v186, v25 :: v_dual_mul_f32 v213, v188, v27
	v_add_f32_e32 v2, v2, v4
	v_mul_f32_e32 v4, v181, v19
	v_fma_f32 v5, v178, v16, -v5
	v_dual_fmac_f32 v209, v181, v18 :: v_dual_fmac_f32 v210, v183, v20
	s_delay_alu instid0(VALU_DEP_4) | instskip(SKIP_3) | instid1(VALU_DEP_4)
	v_add_f32_e32 v2, v2, v6
	v_add_f32_e32 v3, v3, v206
	v_mul_f32_e32 v6, v183, v21
	v_fma_f32 v4, v180, v18, -v4
	v_dual_fmac_f32 v211, v185, v22 :: v_dual_add_f32 v2, v2, v5
	s_delay_alu instid0(VALU_DEP_4) | instskip(NEXT) | instid1(VALU_DEP_4)
	v_add_f32_e32 v3, v3, v207
	v_fma_f32 v6, v182, v20, -v6
	v_dual_mul_f32 v5, v185, v23 :: v_dual_fmac_f32 v212, v187, v24
	s_delay_alu instid0(VALU_DEP_4) | instskip(NEXT) | instid1(VALU_DEP_4)
	v_dual_fmac_f32 v213, v189, v26 :: v_dual_add_f32 v2, v2, v4
	v_add_f32_e32 v3, v3, v208
	v_mul_f32_e32 v4, v187, v25
	s_delay_alu instid0(VALU_DEP_4) | instskip(SKIP_1) | instid1(VALU_DEP_4)
	v_fma_f32 v5, v184, v22, -v5
	v_dual_mul_f32 v215, v192, v157 :: v_dual_mul_f32 v216, v194, v159
	v_dual_add_f32 v2, v2, v6 :: v_dual_add_f32 v3, v3, v209
	v_mul_f32_e32 v6, v189, v27
	v_fma_f32 v4, v186, v24, -v4
	v_dual_fmac_f32 v214, v191, v28 :: v_dual_mul_f32 v217, v196, v161
	s_delay_alu instid0(VALU_DEP_4)
	v_dual_mul_f32 v218, v198, v163 :: v_dual_add_f32 v3, v3, v210
	v_add_f32_e32 v2, v2, v5
	v_fma_f32 v6, v188, v26, -v6
	v_dual_fmac_f32 v215, v193, v156 :: v_dual_fmac_f32 v216, v195, v158
	v_fmac_f32_e32 v217, v197, v160
	v_add_f32_e32 v3, v3, v211
	v_dual_mul_f32 v5, v191, v29 :: v_dual_add_f32 v2, v2, v4
	v_mul_f32_e32 v4, v193, v157
	v_fmac_f32_e32 v218, v199, v162
	s_delay_alu instid0(VALU_DEP_4) | instskip(NEXT) | instid1(VALU_DEP_4)
	v_add_f32_e32 v3, v3, v212
	v_fma_f32 v5, v190, v28, -v5
	v_add_f32_e32 v2, v2, v6
	v_mul_f32_e32 v6, v195, v159
	v_fma_f32 v4, v192, v156, -v4
	v_add_f32_e32 v3, v3, v213
	s_delay_alu instid0(VALU_DEP_4) | instskip(SKIP_2) | instid1(VALU_DEP_3)
	v_dual_fmac_f32 v219, v201, v30 :: v_dual_add_f32 v2, v2, v5
	v_mul_f32_e32 v5, v197, v161
	v_fma_f32 v6, v194, v158, -v6
	v_dual_add_f32 v3, v3, v214 :: v_dual_add_f32 v2, v2, v4
	v_mul_f32_e32 v4, v199, v163
	s_delay_alu instid0(VALU_DEP_4) | instskip(NEXT) | instid1(VALU_DEP_3)
	v_fma_f32 v5, v196, v160, -v5
	v_dual_add_f32 v3, v3, v215 :: v_dual_add_f32 v2, v2, v6
	s_delay_alu instid0(VALU_DEP_3) | instskip(NEXT) | instid1(VALU_DEP_2)
	v_fma_f32 v4, v198, v162, -v4
	v_dual_add_f32 v3, v3, v216 :: v_dual_mul_f32 v6, v201, v31
	s_delay_alu instid0(VALU_DEP_1) | instskip(NEXT) | instid1(VALU_DEP_4)
	v_add_f32_e32 v3, v3, v217
	v_add_f32_e32 v2, v2, v5
	s_delay_alu instid0(VALU_DEP_3) | instskip(NEXT) | instid1(VALU_DEP_2)
	v_fma_f32 v5, v200, v30, -v6
	v_dual_add_f32 v3, v3, v218 :: v_dual_add_f32 v2, v2, v4
	s_delay_alu instid0(VALU_DEP_1) | instskip(SKIP_1) | instid1(VALU_DEP_1)
	v_dual_add_f32 v3, v3, v219 :: v_dual_add_f32 v2, v2, v5
	s_wait_loadcnt 0x0
	v_dual_sub_f32 v3, v154, v3 :: v_dual_sub_f32 v2, v153, v2
	scratch_store_b64 off, v[2:3], off offset:320
	v_cmpx_lt_u32_e32 39, v0
	s_cbranch_execz .LBB123_295
; %bb.294:
	scratch_load_b64 v[3:4], off, off offset:312
	v_mov_b32_e32 v2, v1
	scratch_store_b64 off, v[1:2], off offset:312
	s_wait_loadcnt 0x0
	ds_store_b64 v155, v[3:4]
.LBB123_295:
	s_wait_alu 0xfffe
	s_or_b32 exec_lo, exec_lo, s0
	s_wait_storecnt_dscnt 0x0
	s_barrier_signal -1
	s_barrier_wait -1
	global_inv scope:SCOPE_SE
	s_clause 0xa
	scratch_load_b128 v[2:5], off, off offset:320
	scratch_load_b128 v[6:9], off, off offset:336
	;; [unrolled: 1-line block ×10, first 2 shown]
	scratch_load_b64 v[30:31], off, off offset:312
	ds_load_b128 v[168:171], v1 offset:800
	ds_load_b128 v[172:175], v1 offset:816
	ds_load_b128 v[176:179], v1 offset:832
	ds_load_b128 v[180:183], v1 offset:848
	ds_load_b128 v[184:187], v1 offset:864
	ds_load_b128 v[188:191], v1 offset:880
	ds_load_b128 v[192:195], v1 offset:896
	ds_load_b128 v[196:199], v1 offset:912
	ds_load_b128 v[200:203], v1 offset:928
	ds_load_b128 v[204:207], v1 offset:944
	s_mov_b32 s0, exec_lo
	s_wait_loadcnt_dscnt 0xa09
	v_dual_mul_f32 v1, v168, v3 :: v_dual_mul_f32 v32, v170, v5
	v_mul_f32_e32 v5, v171, v5
	s_wait_loadcnt_dscnt 0x908
	v_dual_mul_f32 v153, v172, v7 :: v_dual_mul_f32 v154, v174, v9
	v_mul_f32_e32 v3, v169, v3
	s_wait_loadcnt_dscnt 0x807
	v_dual_mul_f32 v208, v176, v11 :: v_dual_mul_f32 v209, v178, v13
	s_wait_loadcnt_dscnt 0x100
	v_dual_mul_f32 v220, v200, v161 :: v_dual_mul_f32 v223, v206, v167
	v_fmac_f32_e32 v32, v171, v4
	v_fma_f32 v3, v168, v2, -v3
	v_dual_fmac_f32 v1, v169, v2 :: v_dual_fmac_f32 v154, v175, v8
	v_mul_f32_e32 v2, v173, v7
	v_fma_f32 v4, v170, v4, -v5
	s_delay_alu instid0(VALU_DEP_4) | instskip(SKIP_2) | instid1(VALU_DEP_3)
	v_dual_add_f32 v3, 0, v3 :: v_dual_fmac_f32 v208, v177, v10
	v_dual_mul_f32 v210, v180, v15 :: v_dual_mul_f32 v211, v182, v17
	v_add_f32_e32 v1, 0, v1
	v_dual_add_f32 v3, v3, v4 :: v_dual_mul_f32 v4, v177, v11
	v_fma_f32 v2, v172, v6, -v2
	s_delay_alu instid0(VALU_DEP_4) | instskip(NEXT) | instid1(VALU_DEP_4)
	v_fmac_f32_e32 v210, v181, v14
	v_dual_add_f32 v1, v1, v32 :: v_dual_mul_f32 v212, v184, v19
	v_mul_f32_e32 v213, v186, v21
	v_fma_f32 v4, v176, v10, -v4
	v_mul_f32_e32 v5, v175, v9
	v_add_f32_e32 v2, v3, v2
	v_dual_mul_f32 v3, v179, v13 :: v_dual_fmac_f32 v212, v185, v18
	v_dual_mul_f32 v214, v188, v23 :: v_dual_mul_f32 v215, v190, v25
	s_delay_alu instid0(VALU_DEP_4) | instskip(SKIP_1) | instid1(VALU_DEP_4)
	v_fma_f32 v5, v174, v8, -v5
	v_fmac_f32_e32 v153, v173, v6
	v_fma_f32 v3, v178, v12, -v3
	v_dual_fmac_f32 v211, v183, v16 :: v_dual_mul_f32 v218, v196, v157
	v_mul_f32_e32 v219, v198, v159
	v_add_f32_e32 v2, v2, v5
	v_dual_mul_f32 v216, v192, v27 :: v_dual_mul_f32 v217, v194, v29
	v_fmac_f32_e32 v213, v187, v20
	v_dual_mul_f32 v221, v202, v163 :: v_dual_mul_f32 v222, v204, v165
	s_delay_alu instid0(VALU_DEP_4) | instskip(SKIP_2) | instid1(VALU_DEP_3)
	v_dual_add_f32 v2, v2, v4 :: v_dual_add_f32 v1, v1, v153
	v_mul_f32_e32 v4, v183, v17
	v_dual_fmac_f32 v217, v195, v28 :: v_dual_fmac_f32 v216, v193, v26
	v_dual_add_f32 v2, v2, v3 :: v_dual_add_f32 v1, v1, v154
	s_delay_alu instid0(VALU_DEP_3)
	v_fma_f32 v4, v182, v16, -v4
	v_mul_f32_e32 v5, v181, v15
	v_fmac_f32_e32 v221, v203, v162
	v_fmac_f32_e32 v223, v207, v166
	;; [unrolled: 1-line block ×4, first 2 shown]
	v_fma_f32 v5, v180, v14, -v5
	v_fmac_f32_e32 v209, v179, v12
	v_fmac_f32_e32 v220, v201, v160
	;; [unrolled: 1-line block ×3, first 2 shown]
	s_delay_alu instid0(VALU_DEP_4) | instskip(NEXT) | instid1(VALU_DEP_1)
	v_add_f32_e32 v2, v2, v5
	v_dual_mul_f32 v5, v187, v21 :: v_dual_add_f32 v2, v2, v4
	s_delay_alu instid0(VALU_DEP_1) | instskip(SKIP_2) | instid1(VALU_DEP_2)
	v_fma_f32 v5, v186, v20, -v5
	v_mul_f32_e32 v3, v185, v19
	v_mul_f32_e32 v4, v189, v23
	v_fma_f32 v3, v184, v18, -v3
	v_add_f32_e32 v1, v1, v208
	s_delay_alu instid0(VALU_DEP_3) | instskip(NEXT) | instid1(VALU_DEP_3)
	v_fma_f32 v4, v188, v22, -v4
	v_dual_add_f32 v2, v2, v3 :: v_dual_mul_f32 v3, v191, v25
	s_delay_alu instid0(VALU_DEP_1) | instskip(NEXT) | instid1(VALU_DEP_4)
	v_add_f32_e32 v2, v2, v5
	v_add_f32_e32 v1, v1, v209
	s_delay_alu instid0(VALU_DEP_3) | instskip(NEXT) | instid1(VALU_DEP_2)
	v_fma_f32 v3, v190, v24, -v3
	v_dual_add_f32 v2, v2, v4 :: v_dual_add_f32 v1, v1, v210
	v_mul_f32_e32 v4, v195, v29
	s_delay_alu instid0(VALU_DEP_2) | instskip(SKIP_1) | instid1(VALU_DEP_3)
	v_dual_fmac_f32 v215, v191, v24 :: v_dual_add_f32 v2, v2, v3
	v_mul_f32_e32 v3, v197, v157
	v_fma_f32 v4, v194, v28, -v4
	v_mul_f32_e32 v5, v193, v27
	s_delay_alu instid0(VALU_DEP_3) | instskip(NEXT) | instid1(VALU_DEP_2)
	v_fma_f32 v3, v196, v156, -v3
	v_fma_f32 v5, v192, v26, -v5
	s_delay_alu instid0(VALU_DEP_1) | instskip(NEXT) | instid1(VALU_DEP_1)
	v_dual_add_f32 v1, v1, v211 :: v_dual_add_f32 v2, v2, v5
	v_dual_mul_f32 v5, v199, v159 :: v_dual_add_f32 v2, v2, v4
	s_delay_alu instid0(VALU_DEP_2) | instskip(SKIP_1) | instid1(VALU_DEP_3)
	v_add_f32_e32 v1, v1, v212
	v_mul_f32_e32 v4, v201, v161
	v_fma_f32 v5, v198, v158, -v5
	s_delay_alu instid0(VALU_DEP_4) | instskip(SKIP_1) | instid1(VALU_DEP_4)
	v_dual_add_f32 v2, v2, v3 :: v_dual_fmac_f32 v219, v199, v158
	v_mul_f32_e32 v3, v203, v163
	v_fma_f32 v4, v200, v160, -v4
	s_delay_alu instid0(VALU_DEP_3) | instskip(SKIP_1) | instid1(VALU_DEP_4)
	v_add_f32_e32 v2, v2, v5
	v_add_f32_e32 v1, v1, v213
	v_fma_f32 v3, v202, v162, -v3
	s_delay_alu instid0(VALU_DEP_2) | instskip(SKIP_1) | instid1(VALU_DEP_2)
	v_dual_add_f32 v2, v2, v4 :: v_dual_add_f32 v1, v1, v214
	v_dual_mul_f32 v4, v207, v167 :: v_dual_mul_f32 v5, v205, v165
	v_add_f32_e32 v2, v2, v3
	s_delay_alu instid0(VALU_DEP_2) | instskip(NEXT) | instid1(VALU_DEP_3)
	v_fma_f32 v3, v206, v166, -v4
	v_fma_f32 v5, v204, v164, -v5
	s_delay_alu instid0(VALU_DEP_1) | instskip(NEXT) | instid1(VALU_DEP_1)
	v_dual_add_f32 v1, v1, v215 :: v_dual_add_f32 v2, v2, v5
	v_dual_add_f32 v1, v1, v216 :: v_dual_add_f32 v2, v2, v3
	s_delay_alu instid0(VALU_DEP_1) | instskip(NEXT) | instid1(VALU_DEP_1)
	v_add_f32_e32 v1, v1, v217
	v_add_f32_e32 v1, v1, v218
	s_delay_alu instid0(VALU_DEP_1) | instskip(NEXT) | instid1(VALU_DEP_1)
	v_add_f32_e32 v1, v1, v219
	v_add_f32_e32 v1, v1, v220
	;; [unrolled: 3-line block ×3, first 2 shown]
	s_delay_alu instid0(VALU_DEP_1) | instskip(SKIP_1) | instid1(VALU_DEP_1)
	v_add_f32_e32 v3, v1, v223
	s_wait_loadcnt 0x0
	v_dual_sub_f32 v1, v30, v2 :: v_dual_sub_f32 v2, v31, v3
	scratch_store_b64 off, v[1:2], off offset:312
	v_cmpx_lt_u32_e32 38, v0
	s_cbranch_execz .LBB123_297
; %bb.296:
	scratch_load_b64 v[1:2], off, off offset:304
	v_mov_b32_e32 v3, 0
	s_delay_alu instid0(VALU_DEP_1)
	v_mov_b32_e32 v4, v3
	scratch_store_b64 off, v[3:4], off offset:304
	s_wait_loadcnt 0x0
	ds_store_b64 v155, v[1:2]
.LBB123_297:
	s_wait_alu 0xfffe
	s_or_b32 exec_lo, exec_lo, s0
	s_wait_storecnt_dscnt 0x0
	s_barrier_signal -1
	s_barrier_wait -1
	global_inv scope:SCOPE_SE
	s_clause 0xb
	scratch_load_b128 v[2:5], off, off offset:312
	scratch_load_b128 v[6:9], off, off offset:328
	scratch_load_b128 v[10:13], off, off offset:344
	scratch_load_b128 v[14:17], off, off offset:360
	scratch_load_b128 v[18:21], off, off offset:376
	scratch_load_b128 v[22:25], off, off offset:392
	scratch_load_b128 v[26:29], off, off offset:408
	scratch_load_b128 v[156:159], off, off offset:424
	scratch_load_b128 v[160:163], off, off offset:440
	scratch_load_b128 v[164:167], off, off offset:456
	scratch_load_b64 v[30:31], off, off offset:472
	scratch_load_b64 v[153:154], off, off offset:304
	v_mov_b32_e32 v1, 0
	ds_load_2addr_b64 v[168:171], v1 offset0:99 offset1:100
	ds_load_2addr_b64 v[172:175], v1 offset0:101 offset1:102
	;; [unrolled: 1-line block ×10, first 2 shown]
	ds_load_b64 v[208:209], v1 offset:952
	s_mov_b32 s0, exec_lo
	s_wait_loadcnt_dscnt 0xb0a
	v_mul_f32_e32 v32, v168, v3
	s_wait_loadcnt_dscnt 0xa09
	v_dual_mul_f32 v210, v170, v5 :: v_dual_mul_f32 v211, v172, v7
	v_mul_f32_e32 v3, v169, v3
	v_mul_f32_e32 v5, v171, v5
	s_wait_loadcnt_dscnt 0x908
	v_dual_mul_f32 v212, v174, v9 :: v_dual_mul_f32 v213, v176, v11
	s_wait_loadcnt_dscnt 0x504
	v_mul_f32_e32 v222, v194, v29
	v_fma_f32 v3, v168, v2, -v3
	s_wait_loadcnt_dscnt 0x100
	v_dual_fmac_f32 v32, v169, v2 :: v_dual_mul_f32 v229, v208, v31
	v_mul_f32_e32 v2, v173, v7
	s_delay_alu instid0(VALU_DEP_3) | instskip(SKIP_2) | instid1(VALU_DEP_4)
	v_dual_fmac_f32 v210, v171, v4 :: v_dual_add_f32 v3, 0, v3
	v_fma_f32 v4, v170, v4, -v5
	v_dual_fmac_f32 v211, v173, v6 :: v_dual_fmac_f32 v212, v175, v8
	v_fma_f32 v2, v172, v6, -v2
	v_dual_mul_f32 v214, v178, v13 :: v_dual_mul_f32 v215, v180, v15
	s_delay_alu instid0(VALU_DEP_4) | instskip(SKIP_2) | instid1(VALU_DEP_4)
	v_add_f32_e32 v3, v3, v4
	v_dual_add_f32 v5, 0, v32 :: v_dual_mul_f32 v216, v182, v17
	v_mul_f32_e32 v217, v184, v19
	v_fmac_f32_e32 v215, v181, v14
	s_delay_alu instid0(VALU_DEP_4) | instskip(NEXT) | instid1(VALU_DEP_4)
	v_add_f32_e32 v2, v3, v2
	v_dual_mul_f32 v7, v175, v9 :: v_dual_add_f32 v4, v5, v210
	v_dual_mul_f32 v5, v177, v11 :: v_dual_fmac_f32 v214, v179, v12
	v_fmac_f32_e32 v216, v183, v16
	s_delay_alu instid0(VALU_DEP_3) | instskip(NEXT) | instid1(VALU_DEP_4)
	v_fma_f32 v6, v174, v8, -v7
	v_dual_add_f32 v3, v4, v211 :: v_dual_mul_f32 v4, v179, v13
	s_delay_alu instid0(VALU_DEP_4) | instskip(SKIP_1) | instid1(VALU_DEP_4)
	v_fma_f32 v5, v176, v10, -v5
	v_dual_mul_f32 v218, v186, v21 :: v_dual_mul_f32 v219, v188, v23
	v_add_f32_e32 v2, v2, v6
	v_fmac_f32_e32 v213, v177, v10
	v_dual_add_f32 v3, v3, v212 :: v_dual_mul_f32 v6, v181, v15
	v_fma_f32 v4, v178, v12, -v4
	s_delay_alu instid0(VALU_DEP_4) | instskip(SKIP_1) | instid1(VALU_DEP_4)
	v_add_f32_e32 v2, v2, v5
	v_mul_f32_e32 v5, v183, v17
	v_add_f32_e32 v3, v3, v213
	v_fma_f32 v6, v180, v14, -v6
	v_dual_mul_f32 v220, v190, v25 :: v_dual_mul_f32 v221, v192, v27
	v_add_f32_e32 v2, v2, v4
	v_mul_f32_e32 v4, v185, v19
	v_fma_f32 v5, v182, v16, -v5
	v_dual_fmac_f32 v217, v185, v18 :: v_dual_fmac_f32 v218, v187, v20
	s_delay_alu instid0(VALU_DEP_4) | instskip(SKIP_3) | instid1(VALU_DEP_4)
	v_add_f32_e32 v2, v2, v6
	v_add_f32_e32 v3, v3, v214
	v_mul_f32_e32 v6, v187, v21
	v_fma_f32 v4, v184, v18, -v4
	v_dual_fmac_f32 v219, v189, v22 :: v_dual_add_f32 v2, v2, v5
	s_delay_alu instid0(VALU_DEP_4) | instskip(NEXT) | instid1(VALU_DEP_4)
	v_add_f32_e32 v3, v3, v215
	v_fma_f32 v6, v186, v20, -v6
	v_dual_mul_f32 v5, v189, v23 :: v_dual_fmac_f32 v220, v191, v24
	s_delay_alu instid0(VALU_DEP_4) | instskip(NEXT) | instid1(VALU_DEP_4)
	v_dual_fmac_f32 v221, v193, v26 :: v_dual_add_f32 v2, v2, v4
	v_add_f32_e32 v3, v3, v216
	v_mul_f32_e32 v4, v191, v25
	s_delay_alu instid0(VALU_DEP_4) | instskip(SKIP_1) | instid1(VALU_DEP_4)
	v_fma_f32 v5, v188, v22, -v5
	v_dual_mul_f32 v223, v196, v157 :: v_dual_mul_f32 v224, v198, v159
	v_dual_add_f32 v2, v2, v6 :: v_dual_add_f32 v3, v3, v217
	v_mul_f32_e32 v6, v193, v27
	v_fma_f32 v4, v190, v24, -v4
	v_dual_fmac_f32 v222, v195, v28 :: v_dual_mul_f32 v225, v200, v161
	s_delay_alu instid0(VALU_DEP_4)
	v_dual_mul_f32 v226, v202, v163 :: v_dual_add_f32 v3, v3, v218
	v_add_f32_e32 v2, v2, v5
	v_fma_f32 v6, v192, v26, -v6
	v_dual_fmac_f32 v223, v197, v156 :: v_dual_fmac_f32 v224, v199, v158
	v_fmac_f32_e32 v225, v201, v160
	v_add_f32_e32 v3, v3, v219
	v_dual_mul_f32 v5, v195, v29 :: v_dual_add_f32 v2, v2, v4
	v_mul_f32_e32 v4, v197, v157
	v_dual_mul_f32 v227, v204, v165 :: v_dual_mul_f32 v228, v206, v167
	s_delay_alu instid0(VALU_DEP_4) | instskip(NEXT) | instid1(VALU_DEP_4)
	v_add_f32_e32 v3, v3, v220
	v_fma_f32 v5, v194, v28, -v5
	v_add_f32_e32 v2, v2, v6
	v_mul_f32_e32 v6, v199, v159
	v_fma_f32 v4, v196, v156, -v4
	v_add_f32_e32 v3, v3, v221
	v_fmac_f32_e32 v226, v203, v162
	v_add_f32_e32 v2, v2, v5
	v_mul_f32_e32 v5, v201, v161
	v_fma_f32 v6, v198, v158, -v6
	v_add_f32_e32 v3, v3, v222
	v_fmac_f32_e32 v227, v205, v164
	;; [unrolled: 5-line block ×3, first 2 shown]
	v_add_f32_e32 v2, v2, v6
	v_mul_f32_e32 v6, v205, v165
	v_fma_f32 v4, v202, v162, -v4
	v_add_f32_e32 v3, v3, v224
	s_delay_alu instid0(VALU_DEP_1) | instskip(SKIP_2) | instid1(VALU_DEP_2)
	v_add_f32_e32 v3, v3, v225
	v_dual_add_f32 v2, v2, v5 :: v_dual_mul_f32 v5, v207, v167
	v_fma_f32 v6, v204, v164, -v6
	v_dual_add_f32 v3, v3, v226 :: v_dual_add_f32 v2, v2, v4
	s_delay_alu instid0(VALU_DEP_3) | instskip(NEXT) | instid1(VALU_DEP_2)
	v_fma_f32 v5, v206, v166, -v5
	v_dual_add_f32 v3, v3, v227 :: v_dual_add_f32 v2, v2, v6
	v_mul_f32_e32 v4, v209, v31
	v_fmac_f32_e32 v229, v209, v30
	s_delay_alu instid0(VALU_DEP_3) | instskip(NEXT) | instid1(VALU_DEP_3)
	v_dual_add_f32 v3, v3, v228 :: v_dual_add_f32 v2, v2, v5
	v_fma_f32 v4, v208, v30, -v4
	s_delay_alu instid0(VALU_DEP_1) | instskip(SKIP_1) | instid1(VALU_DEP_1)
	v_dual_add_f32 v3, v3, v229 :: v_dual_add_f32 v2, v2, v4
	s_wait_loadcnt 0x0
	v_dual_sub_f32 v3, v154, v3 :: v_dual_sub_f32 v2, v153, v2
	scratch_store_b64 off, v[2:3], off offset:304
	v_cmpx_lt_u32_e32 37, v0
	s_cbranch_execz .LBB123_299
; %bb.298:
	scratch_load_b64 v[3:4], off, off offset:296
	v_mov_b32_e32 v2, v1
	scratch_store_b64 off, v[1:2], off offset:296
	s_wait_loadcnt 0x0
	ds_store_b64 v155, v[3:4]
.LBB123_299:
	s_wait_alu 0xfffe
	s_or_b32 exec_lo, exec_lo, s0
	s_wait_storecnt_dscnt 0x0
	s_barrier_signal -1
	s_barrier_wait -1
	global_inv scope:SCOPE_SE
	s_clause 0xb
	scratch_load_b128 v[2:5], off, off offset:304
	scratch_load_b128 v[6:9], off, off offset:320
	scratch_load_b128 v[10:13], off, off offset:336
	scratch_load_b128 v[14:17], off, off offset:352
	scratch_load_b128 v[18:21], off, off offset:368
	scratch_load_b128 v[22:25], off, off offset:384
	scratch_load_b128 v[26:29], off, off offset:400
	scratch_load_b128 v[156:159], off, off offset:416
	scratch_load_b128 v[160:163], off, off offset:432
	scratch_load_b128 v[164:167], off, off offset:448
	scratch_load_b128 v[168:171], off, off offset:464
	scratch_load_b64 v[30:31], off, off offset:296
	ds_load_b128 v[172:175], v1 offset:784
	ds_load_b128 v[176:179], v1 offset:800
	;; [unrolled: 1-line block ×11, first 2 shown]
	s_mov_b32 s0, exec_lo
	s_wait_loadcnt_dscnt 0xb0a
	v_dual_mul_f32 v1, v172, v3 :: v_dual_mul_f32 v32, v174, v5
	v_mul_f32_e32 v5, v175, v5
	s_wait_loadcnt_dscnt 0xa09
	v_dual_mul_f32 v153, v176, v7 :: v_dual_mul_f32 v154, v178, v9
	v_mul_f32_e32 v3, v173, v3
	s_wait_loadcnt_dscnt 0x908
	v_dual_mul_f32 v216, v180, v11 :: v_dual_mul_f32 v217, v182, v13
	s_delay_alu instid0(VALU_DEP_3)
	v_dual_fmac_f32 v1, v173, v2 :: v_dual_fmac_f32 v154, v179, v8
	s_wait_loadcnt_dscnt 0x201
	v_mul_f32_e32 v230, v208, v165
	v_fma_f32 v3, v172, v2, -v3
	s_wait_loadcnt_dscnt 0x100
	v_dual_mul_f32 v233, v214, v171 :: v_dual_fmac_f32 v32, v175, v4
	v_mul_f32_e32 v2, v177, v7
	v_fma_f32 v4, v174, v4, -v5
	v_dual_add_f32 v3, 0, v3 :: v_dual_fmac_f32 v216, v181, v10
	v_dual_mul_f32 v218, v184, v15 :: v_dual_mul_f32 v219, v186, v17
	v_add_f32_e32 v1, 0, v1
	s_delay_alu instid0(VALU_DEP_3) | instskip(SKIP_1) | instid1(VALU_DEP_4)
	v_dual_add_f32 v3, v3, v4 :: v_dual_mul_f32 v4, v181, v11
	v_fma_f32 v2, v176, v6, -v2
	v_fmac_f32_e32 v218, v185, v14
	s_delay_alu instid0(VALU_DEP_4)
	v_dual_add_f32 v1, v1, v32 :: v_dual_mul_f32 v220, v188, v19
	v_mul_f32_e32 v221, v190, v21
	v_fma_f32 v4, v180, v10, -v4
	v_mul_f32_e32 v5, v179, v9
	v_add_f32_e32 v2, v3, v2
	v_dual_mul_f32 v3, v183, v13 :: v_dual_fmac_f32 v220, v189, v18
	v_dual_mul_f32 v222, v192, v23 :: v_dual_mul_f32 v223, v194, v25
	s_delay_alu instid0(VALU_DEP_4) | instskip(SKIP_1) | instid1(VALU_DEP_4)
	v_fma_f32 v5, v178, v8, -v5
	v_fmac_f32_e32 v153, v177, v6
	v_fma_f32 v3, v182, v12, -v3
	v_dual_fmac_f32 v219, v187, v16 :: v_dual_mul_f32 v226, v200, v157
	v_mul_f32_e32 v227, v202, v159
	v_add_f32_e32 v2, v2, v5
	v_dual_mul_f32 v224, v196, v27 :: v_dual_mul_f32 v225, v198, v29
	v_dual_mul_f32 v228, v204, v161 :: v_dual_mul_f32 v229, v206, v163
	s_delay_alu instid0(VALU_DEP_3) | instskip(SKIP_1) | instid1(VALU_DEP_4)
	v_dual_add_f32 v2, v2, v4 :: v_dual_add_f32 v1, v1, v153
	v_mul_f32_e32 v4, v187, v17
	v_fmac_f32_e32 v225, v199, v28
	v_dual_fmac_f32 v221, v191, v20 :: v_dual_fmac_f32 v224, v197, v26
	s_delay_alu instid0(VALU_DEP_4) | instskip(NEXT) | instid1(VALU_DEP_4)
	v_dual_add_f32 v2, v2, v3 :: v_dual_add_f32 v1, v1, v154
	v_fma_f32 v4, v186, v16, -v4
	v_mul_f32_e32 v5, v185, v15
	v_dual_mul_f32 v231, v210, v167 :: v_dual_mul_f32 v232, v212, v169
	v_fmac_f32_e32 v229, v207, v162
	v_fmac_f32_e32 v233, v215, v170
	s_delay_alu instid0(VALU_DEP_4) | instskip(SKIP_2) | instid1(VALU_DEP_3)
	v_fma_f32 v5, v184, v14, -v5
	v_dual_fmac_f32 v217, v183, v12 :: v_dual_fmac_f32 v222, v193, v22
	v_dual_fmac_f32 v232, v213, v168 :: v_dual_fmac_f32 v231, v211, v166
	v_add_f32_e32 v2, v2, v5
	v_dual_mul_f32 v5, v191, v21 :: v_dual_fmac_f32 v226, v201, v156
	v_fmac_f32_e32 v228, v205, v160
	v_fmac_f32_e32 v230, v209, v164
	s_delay_alu instid0(VALU_DEP_4) | instskip(NEXT) | instid1(VALU_DEP_4)
	v_add_f32_e32 v2, v2, v4
	v_fma_f32 v5, v190, v20, -v5
	v_mul_f32_e32 v3, v189, v19
	v_mul_f32_e32 v4, v193, v23
	s_delay_alu instid0(VALU_DEP_2) | instskip(SKIP_1) | instid1(VALU_DEP_3)
	v_fma_f32 v3, v188, v18, -v3
	v_add_f32_e32 v1, v1, v216
	v_fma_f32 v4, v192, v22, -v4
	s_delay_alu instid0(VALU_DEP_3) | instskip(NEXT) | instid1(VALU_DEP_1)
	v_dual_add_f32 v2, v2, v3 :: v_dual_mul_f32 v3, v195, v25
	v_add_f32_e32 v2, v2, v5
	s_delay_alu instid0(VALU_DEP_4) | instskip(NEXT) | instid1(VALU_DEP_3)
	v_add_f32_e32 v1, v1, v217
	v_fma_f32 v3, v194, v24, -v3
	s_delay_alu instid0(VALU_DEP_2) | instskip(SKIP_1) | instid1(VALU_DEP_2)
	v_dual_add_f32 v2, v2, v4 :: v_dual_add_f32 v1, v1, v218
	v_mul_f32_e32 v4, v199, v29
	v_dual_fmac_f32 v223, v195, v24 :: v_dual_add_f32 v2, v2, v3
	v_mul_f32_e32 v3, v201, v157
	s_delay_alu instid0(VALU_DEP_3) | instskip(SKIP_1) | instid1(VALU_DEP_3)
	v_fma_f32 v4, v198, v28, -v4
	v_mul_f32_e32 v5, v197, v27
	v_fma_f32 v3, v200, v156, -v3
	s_delay_alu instid0(VALU_DEP_2) | instskip(NEXT) | instid1(VALU_DEP_1)
	v_fma_f32 v5, v196, v26, -v5
	v_dual_add_f32 v1, v1, v219 :: v_dual_add_f32 v2, v2, v5
	s_delay_alu instid0(VALU_DEP_1) | instskip(NEXT) | instid1(VALU_DEP_2)
	v_dual_mul_f32 v5, v203, v159 :: v_dual_add_f32 v2, v2, v4
	v_add_f32_e32 v1, v1, v220
	v_mul_f32_e32 v4, v205, v161
	s_delay_alu instid0(VALU_DEP_3) | instskip(NEXT) | instid1(VALU_DEP_4)
	v_fma_f32 v5, v202, v158, -v5
	v_dual_add_f32 v2, v2, v3 :: v_dual_fmac_f32 v227, v203, v158
	v_mul_f32_e32 v3, v207, v163
	s_delay_alu instid0(VALU_DEP_4) | instskip(NEXT) | instid1(VALU_DEP_3)
	v_fma_f32 v4, v204, v160, -v4
	v_add_f32_e32 v2, v2, v5
	v_add_f32_e32 v1, v1, v221
	s_delay_alu instid0(VALU_DEP_4) | instskip(NEXT) | instid1(VALU_DEP_3)
	v_fma_f32 v3, v206, v162, -v3
	v_dual_add_f32 v2, v2, v4 :: v_dual_mul_f32 v5, v209, v165
	s_delay_alu instid0(VALU_DEP_3) | instskip(NEXT) | instid1(VALU_DEP_2)
	v_dual_add_f32 v1, v1, v222 :: v_dual_mul_f32 v4, v211, v167
	v_add_f32_e32 v2, v2, v3
	s_delay_alu instid0(VALU_DEP_3) | instskip(NEXT) | instid1(VALU_DEP_3)
	v_fma_f32 v5, v208, v164, -v5
	v_add_f32_e32 v1, v1, v223
	v_mul_f32_e32 v3, v213, v169
	v_fma_f32 v4, v210, v166, -v4
	s_delay_alu instid0(VALU_DEP_4) | instskip(NEXT) | instid1(VALU_DEP_3)
	v_dual_add_f32 v2, v2, v5 :: v_dual_mul_f32 v5, v215, v171
	v_fma_f32 v3, v212, v168, -v3
	s_delay_alu instid0(VALU_DEP_2) | instskip(SKIP_1) | instid1(VALU_DEP_4)
	v_add_f32_e32 v2, v2, v4
	v_add_f32_e32 v1, v1, v224
	v_fma_f32 v4, v214, v170, -v5
	s_delay_alu instid0(VALU_DEP_2) | instskip(NEXT) | instid1(VALU_DEP_1)
	v_dual_add_f32 v2, v2, v3 :: v_dual_add_f32 v1, v1, v225
	v_dual_add_f32 v2, v2, v4 :: v_dual_add_f32 v1, v1, v226
	s_delay_alu instid0(VALU_DEP_1) | instskip(NEXT) | instid1(VALU_DEP_1)
	v_add_f32_e32 v1, v1, v227
	v_add_f32_e32 v1, v1, v228
	s_delay_alu instid0(VALU_DEP_1) | instskip(NEXT) | instid1(VALU_DEP_1)
	v_add_f32_e32 v1, v1, v229
	v_add_f32_e32 v1, v1, v230
	;; [unrolled: 3-line block ×3, first 2 shown]
	s_delay_alu instid0(VALU_DEP_1) | instskip(SKIP_1) | instid1(VALU_DEP_1)
	v_add_f32_e32 v3, v1, v233
	s_wait_loadcnt 0x0
	v_dual_sub_f32 v1, v30, v2 :: v_dual_sub_f32 v2, v31, v3
	scratch_store_b64 off, v[1:2], off offset:296
	v_cmpx_lt_u32_e32 36, v0
	s_cbranch_execz .LBB123_301
; %bb.300:
	scratch_load_b64 v[1:2], off, off offset:288
	v_mov_b32_e32 v3, 0
	s_delay_alu instid0(VALU_DEP_1)
	v_mov_b32_e32 v4, v3
	scratch_store_b64 off, v[3:4], off offset:288
	s_wait_loadcnt 0x0
	ds_store_b64 v155, v[1:2]
.LBB123_301:
	s_wait_alu 0xfffe
	s_or_b32 exec_lo, exec_lo, s0
	s_wait_storecnt_dscnt 0x0
	s_barrier_signal -1
	s_barrier_wait -1
	global_inv scope:SCOPE_SE
	s_clause 0xc
	scratch_load_b128 v[2:5], off, off offset:296
	scratch_load_b128 v[6:9], off, off offset:312
	;; [unrolled: 1-line block ×11, first 2 shown]
	scratch_load_b64 v[30:31], off, off offset:472
	scratch_load_b64 v[153:154], off, off offset:288
	v_mov_b32_e32 v1, 0
	ds_load_2addr_b64 v[172:175], v1 offset0:97 offset1:98
	ds_load_2addr_b64 v[176:179], v1 offset0:99 offset1:100
	;; [unrolled: 1-line block ×11, first 2 shown]
	ds_load_b64 v[216:217], v1 offset:952
	s_mov_b32 s0, exec_lo
	s_wait_loadcnt_dscnt 0xc0b
	v_mul_f32_e32 v32, v172, v3
	s_wait_loadcnt_dscnt 0xb0a
	v_dual_mul_f32 v218, v174, v5 :: v_dual_mul_f32 v219, v176, v7
	v_mul_f32_e32 v3, v173, v3
	v_mul_f32_e32 v5, v175, v5
	s_wait_loadcnt_dscnt 0xa09
	v_dual_mul_f32 v220, v178, v9 :: v_dual_mul_f32 v221, v180, v11
	s_wait_loadcnt_dscnt 0x605
	v_mul_f32_e32 v230, v198, v29
	v_fma_f32 v3, v172, v2, -v3
	v_fmac_f32_e32 v32, v173, v2
	v_mul_f32_e32 v2, v177, v7
	s_wait_loadcnt_dscnt 0x100
	v_dual_mul_f32 v239, v216, v31 :: v_dual_fmac_f32 v218, v175, v4
	v_add_f32_e32 v3, 0, v3
	v_fma_f32 v4, v174, v4, -v5
	v_fma_f32 v2, v176, v6, -v2
	v_dual_fmac_f32 v219, v177, v6 :: v_dual_fmac_f32 v220, v179, v8
	v_dual_mul_f32 v222, v182, v13 :: v_dual_mul_f32 v223, v184, v15
	s_delay_alu instid0(VALU_DEP_4) | instskip(SKIP_2) | instid1(VALU_DEP_4)
	v_add_f32_e32 v3, v3, v4
	v_dual_add_f32 v5, 0, v32 :: v_dual_mul_f32 v224, v186, v17
	v_mul_f32_e32 v225, v188, v19
	v_fmac_f32_e32 v223, v185, v14
	s_delay_alu instid0(VALU_DEP_4) | instskip(NEXT) | instid1(VALU_DEP_4)
	v_add_f32_e32 v2, v3, v2
	v_dual_mul_f32 v7, v179, v9 :: v_dual_add_f32 v4, v5, v218
	v_dual_mul_f32 v5, v181, v11 :: v_dual_fmac_f32 v222, v183, v12
	v_fmac_f32_e32 v224, v187, v16
	s_delay_alu instid0(VALU_DEP_3) | instskip(NEXT) | instid1(VALU_DEP_4)
	v_fma_f32 v6, v178, v8, -v7
	v_dual_add_f32 v3, v4, v219 :: v_dual_mul_f32 v4, v183, v13
	s_delay_alu instid0(VALU_DEP_4) | instskip(SKIP_1) | instid1(VALU_DEP_4)
	v_fma_f32 v5, v180, v10, -v5
	v_dual_mul_f32 v226, v190, v21 :: v_dual_mul_f32 v227, v192, v23
	v_add_f32_e32 v2, v2, v6
	v_fmac_f32_e32 v221, v181, v10
	v_dual_add_f32 v3, v3, v220 :: v_dual_mul_f32 v6, v185, v15
	v_fma_f32 v4, v182, v12, -v4
	s_delay_alu instid0(VALU_DEP_4) | instskip(SKIP_1) | instid1(VALU_DEP_4)
	v_add_f32_e32 v2, v2, v5
	v_mul_f32_e32 v5, v187, v17
	v_add_f32_e32 v3, v3, v221
	v_fma_f32 v6, v184, v14, -v6
	v_dual_mul_f32 v228, v194, v25 :: v_dual_mul_f32 v229, v196, v27
	v_add_f32_e32 v2, v2, v4
	v_mul_f32_e32 v4, v189, v19
	v_fma_f32 v5, v186, v16, -v5
	v_dual_fmac_f32 v225, v189, v18 :: v_dual_fmac_f32 v226, v191, v20
	s_delay_alu instid0(VALU_DEP_4) | instskip(SKIP_3) | instid1(VALU_DEP_4)
	v_add_f32_e32 v2, v2, v6
	v_add_f32_e32 v3, v3, v222
	v_mul_f32_e32 v6, v191, v21
	v_fma_f32 v4, v188, v18, -v4
	v_dual_fmac_f32 v227, v193, v22 :: v_dual_add_f32 v2, v2, v5
	s_delay_alu instid0(VALU_DEP_4) | instskip(NEXT) | instid1(VALU_DEP_4)
	v_add_f32_e32 v3, v3, v223
	v_fma_f32 v6, v190, v20, -v6
	v_dual_mul_f32 v5, v193, v23 :: v_dual_fmac_f32 v228, v195, v24
	s_delay_alu instid0(VALU_DEP_4) | instskip(NEXT) | instid1(VALU_DEP_4)
	v_dual_fmac_f32 v229, v197, v26 :: v_dual_add_f32 v2, v2, v4
	v_add_f32_e32 v3, v3, v224
	v_mul_f32_e32 v4, v195, v25
	s_delay_alu instid0(VALU_DEP_4) | instskip(SKIP_1) | instid1(VALU_DEP_4)
	v_fma_f32 v5, v192, v22, -v5
	v_dual_mul_f32 v231, v200, v157 :: v_dual_mul_f32 v232, v202, v159
	v_dual_add_f32 v2, v2, v6 :: v_dual_add_f32 v3, v3, v225
	v_mul_f32_e32 v6, v197, v27
	v_fma_f32 v4, v194, v24, -v4
	v_dual_fmac_f32 v230, v199, v28 :: v_dual_mul_f32 v233, v204, v161
	s_delay_alu instid0(VALU_DEP_4)
	v_dual_mul_f32 v234, v206, v163 :: v_dual_add_f32 v3, v3, v226
	v_add_f32_e32 v2, v2, v5
	v_fma_f32 v6, v196, v26, -v6
	v_dual_fmac_f32 v231, v201, v156 :: v_dual_fmac_f32 v232, v203, v158
	v_fmac_f32_e32 v233, v205, v160
	v_add_f32_e32 v3, v3, v227
	v_dual_mul_f32 v5, v199, v29 :: v_dual_add_f32 v2, v2, v4
	v_mul_f32_e32 v4, v201, v157
	v_dual_mul_f32 v235, v208, v165 :: v_dual_mul_f32 v236, v210, v167
	s_delay_alu instid0(VALU_DEP_4) | instskip(NEXT) | instid1(VALU_DEP_4)
	v_add_f32_e32 v3, v3, v228
	v_fma_f32 v5, v198, v28, -v5
	v_add_f32_e32 v2, v2, v6
	v_mul_f32_e32 v6, v203, v159
	v_fma_f32 v4, v200, v156, -v4
	v_add_f32_e32 v3, v3, v229
	v_dual_mul_f32 v237, v212, v169 :: v_dual_mul_f32 v238, v214, v171
	v_add_f32_e32 v2, v2, v5
	v_mul_f32_e32 v5, v205, v161
	s_delay_alu instid0(VALU_DEP_4) | instskip(SKIP_2) | instid1(VALU_DEP_3)
	v_add_f32_e32 v3, v3, v230
	v_fma_f32 v6, v202, v158, -v6
	v_dual_fmac_f32 v234, v207, v162 :: v_dual_fmac_f32 v237, v213, v168
	v_dual_add_f32 v2, v2, v4 :: v_dual_add_f32 v3, v3, v231
	v_dual_mul_f32 v4, v207, v163 :: v_dual_fmac_f32 v235, v209, v164
	v_fma_f32 v5, v204, v160, -v5
	s_delay_alu instid0(VALU_DEP_3) | instskip(SKIP_1) | instid1(VALU_DEP_4)
	v_dual_add_f32 v2, v2, v6 :: v_dual_add_f32 v3, v3, v232
	v_mul_f32_e32 v6, v209, v165
	v_fma_f32 v4, v206, v162, -v4
	v_fmac_f32_e32 v236, v211, v166
	v_fmac_f32_e32 v238, v215, v170
	v_add_f32_e32 v3, v3, v233
	v_dual_add_f32 v2, v2, v5 :: v_dual_mul_f32 v5, v211, v167
	v_fma_f32 v6, v208, v164, -v6
	v_fmac_f32_e32 v239, v217, v30
	s_delay_alu instid0(VALU_DEP_3) | instskip(SKIP_2) | instid1(VALU_DEP_3)
	v_dual_add_f32 v3, v3, v234 :: v_dual_add_f32 v2, v2, v4
	v_mul_f32_e32 v4, v213, v169
	v_fma_f32 v5, v210, v166, -v5
	v_dual_add_f32 v3, v3, v235 :: v_dual_add_f32 v2, v2, v6
	v_mul_f32_e32 v6, v215, v171
	s_delay_alu instid0(VALU_DEP_4) | instskip(NEXT) | instid1(VALU_DEP_3)
	v_fma_f32 v4, v212, v168, -v4
	v_dual_add_f32 v2, v2, v5 :: v_dual_mul_f32 v5, v217, v31
	s_delay_alu instid0(VALU_DEP_4) | instskip(NEXT) | instid1(VALU_DEP_4)
	v_add_f32_e32 v3, v3, v236
	v_fma_f32 v6, v214, v170, -v6
	s_delay_alu instid0(VALU_DEP_2) | instskip(NEXT) | instid1(VALU_DEP_1)
	v_add_f32_e32 v3, v3, v237
	v_dual_add_f32 v3, v3, v238 :: v_dual_add_f32 v2, v2, v4
	v_fma_f32 v4, v216, v30, -v5
	s_delay_alu instid0(VALU_DEP_2) | instskip(SKIP_1) | instid1(VALU_DEP_1)
	v_dual_add_f32 v3, v3, v239 :: v_dual_add_f32 v2, v2, v6
	s_wait_loadcnt 0x0
	v_sub_f32_e32 v3, v154, v3
	s_delay_alu instid0(VALU_DEP_2) | instskip(NEXT) | instid1(VALU_DEP_1)
	v_add_f32_e32 v2, v2, v4
	v_sub_f32_e32 v2, v153, v2
	scratch_store_b64 off, v[2:3], off offset:288
	v_cmpx_lt_u32_e32 35, v0
	s_cbranch_execz .LBB123_303
; %bb.302:
	scratch_load_b64 v[3:4], off, off offset:280
	v_mov_b32_e32 v2, v1
	scratch_store_b64 off, v[1:2], off offset:280
	s_wait_loadcnt 0x0
	ds_store_b64 v155, v[3:4]
.LBB123_303:
	s_wait_alu 0xfffe
	s_or_b32 exec_lo, exec_lo, s0
	s_wait_storecnt_dscnt 0x0
	s_barrier_signal -1
	s_barrier_wait -1
	global_inv scope:SCOPE_SE
	s_clause 0xc
	scratch_load_b128 v[2:5], off, off offset:288
	scratch_load_b128 v[6:9], off, off offset:304
	;; [unrolled: 1-line block ×12, first 2 shown]
	scratch_load_b64 v[30:31], off, off offset:280
	ds_load_b128 v[176:179], v1 offset:768
	ds_load_b128 v[180:183], v1 offset:784
	;; [unrolled: 1-line block ×12, first 2 shown]
	s_mov_b32 s0, exec_lo
	s_wait_loadcnt_dscnt 0xc0b
	v_dual_mul_f32 v1, v176, v3 :: v_dual_mul_f32 v32, v178, v5
	v_mul_f32_e32 v5, v179, v5
	s_wait_loadcnt_dscnt 0xb0a
	v_dual_mul_f32 v153, v180, v7 :: v_dual_mul_f32 v154, v182, v9
	s_wait_loadcnt_dscnt 0xa09
	v_dual_mul_f32 v224, v184, v11 :: v_dual_mul_f32 v225, v186, v13
	v_mul_f32_e32 v3, v177, v3
	s_delay_alu instid0(VALU_DEP_3)
	v_dual_fmac_f32 v1, v177, v2 :: v_dual_fmac_f32 v154, v183, v8
	s_wait_loadcnt_dscnt 0x100
	v_dual_mul_f32 v240, v216, v169 :: v_dual_mul_f32 v243, v222, v175
	v_fmac_f32_e32 v32, v179, v4
	v_fma_f32 v3, v176, v2, -v3
	v_mul_f32_e32 v2, v181, v7
	v_fma_f32 v4, v178, v4, -v5
	v_dual_mul_f32 v226, v188, v15 :: v_dual_mul_f32 v227, v190, v17
	s_delay_alu instid0(VALU_DEP_4) | instskip(SKIP_2) | instid1(VALU_DEP_3)
	v_dual_add_f32 v3, 0, v3 :: v_dual_fmac_f32 v224, v185, v10
	v_add_f32_e32 v1, 0, v1
	v_fma_f32 v2, v180, v6, -v2
	v_dual_fmac_f32 v226, v189, v14 :: v_dual_add_f32 v3, v3, v4
	v_mul_f32_e32 v4, v185, v11
	s_delay_alu instid0(VALU_DEP_4) | instskip(NEXT) | instid1(VALU_DEP_3)
	v_dual_add_f32 v1, v1, v32 :: v_dual_mul_f32 v228, v192, v19
	v_dual_mul_f32 v229, v194, v21 :: v_dual_add_f32 v2, v3, v2
	s_delay_alu instid0(VALU_DEP_3) | instskip(SKIP_1) | instid1(VALU_DEP_4)
	v_fma_f32 v4, v184, v10, -v4
	v_mul_f32_e32 v5, v183, v9
	v_dual_mul_f32 v3, v187, v13 :: v_dual_fmac_f32 v228, v193, v18
	v_dual_mul_f32 v230, v196, v23 :: v_dual_mul_f32 v231, v198, v25
	s_delay_alu instid0(VALU_DEP_3) | instskip(SKIP_1) | instid1(VALU_DEP_4)
	v_fma_f32 v5, v182, v8, -v5
	v_fmac_f32_e32 v153, v181, v6
	v_fma_f32 v3, v186, v12, -v3
	v_dual_fmac_f32 v227, v191, v16 :: v_dual_mul_f32 v234, v204, v157
	v_mul_f32_e32 v235, v206, v159
	v_add_f32_e32 v2, v2, v5
	v_dual_mul_f32 v232, v200, v27 :: v_dual_mul_f32 v233, v202, v29
	v_dual_mul_f32 v236, v208, v161 :: v_dual_mul_f32 v237, v210, v163
	s_delay_alu instid0(VALU_DEP_3) | instskip(SKIP_1) | instid1(VALU_DEP_4)
	v_dual_add_f32 v2, v2, v4 :: v_dual_add_f32 v1, v1, v153
	v_mul_f32_e32 v4, v191, v17
	v_dual_fmac_f32 v233, v203, v28 :: v_dual_mul_f32 v238, v212, v165
	v_mul_f32_e32 v239, v214, v167
	s_delay_alu instid0(VALU_DEP_4) | instskip(NEXT) | instid1(VALU_DEP_4)
	v_dual_add_f32 v2, v2, v3 :: v_dual_add_f32 v1, v1, v154
	v_fma_f32 v4, v190, v16, -v4
	v_mul_f32_e32 v5, v189, v15
	v_dual_fmac_f32 v229, v195, v20 :: v_dual_fmac_f32 v232, v201, v26
	v_dual_mul_f32 v241, v218, v171 :: v_dual_mul_f32 v242, v220, v173
	s_delay_alu instid0(VALU_DEP_3) | instskip(SKIP_3) | instid1(VALU_DEP_4)
	v_fma_f32 v5, v188, v14, -v5
	v_dual_fmac_f32 v225, v187, v12 :: v_dual_fmac_f32 v230, v197, v22
	v_fmac_f32_e32 v239, v215, v166
	v_dual_fmac_f32 v237, v211, v162 :: v_dual_fmac_f32 v240, v217, v168
	v_add_f32_e32 v2, v2, v5
	v_mul_f32_e32 v5, v195, v21
	v_dual_fmac_f32 v243, v223, v174 :: v_dual_fmac_f32 v234, v205, v156
	v_fmac_f32_e32 v236, v209, v160
	s_delay_alu instid0(VALU_DEP_4) | instskip(NEXT) | instid1(VALU_DEP_4)
	v_add_f32_e32 v2, v2, v4
	v_fma_f32 v5, v194, v20, -v5
	v_mul_f32_e32 v3, v193, v19
	v_mul_f32_e32 v4, v197, v23
	v_fmac_f32_e32 v238, v213, v164
	v_fmac_f32_e32 v242, v221, v172
	s_delay_alu instid0(VALU_DEP_4) | instskip(SKIP_2) | instid1(VALU_DEP_3)
	v_fma_f32 v3, v192, v18, -v3
	v_add_f32_e32 v1, v1, v224
	v_fma_f32 v4, v196, v22, -v4
	v_dual_add_f32 v2, v2, v3 :: v_dual_mul_f32 v3, v199, v25
	s_delay_alu instid0(VALU_DEP_1) | instskip(NEXT) | instid1(VALU_DEP_4)
	v_add_f32_e32 v2, v2, v5
	v_add_f32_e32 v1, v1, v225
	s_delay_alu instid0(VALU_DEP_3) | instskip(NEXT) | instid1(VALU_DEP_2)
	v_fma_f32 v3, v198, v24, -v3
	v_dual_add_f32 v2, v2, v4 :: v_dual_add_f32 v1, v1, v226
	v_mul_f32_e32 v4, v203, v29
	s_delay_alu instid0(VALU_DEP_2) | instskip(SKIP_1) | instid1(VALU_DEP_3)
	v_dual_fmac_f32 v231, v199, v24 :: v_dual_add_f32 v2, v2, v3
	v_mul_f32_e32 v3, v205, v157
	v_fma_f32 v4, v202, v28, -v4
	v_mul_f32_e32 v5, v201, v27
	s_delay_alu instid0(VALU_DEP_3) | instskip(NEXT) | instid1(VALU_DEP_2)
	v_fma_f32 v3, v204, v156, -v3
	v_fma_f32 v5, v200, v26, -v5
	s_delay_alu instid0(VALU_DEP_1) | instskip(NEXT) | instid1(VALU_DEP_1)
	v_dual_add_f32 v1, v1, v227 :: v_dual_add_f32 v2, v2, v5
	v_dual_mul_f32 v5, v207, v159 :: v_dual_add_f32 v2, v2, v4
	s_delay_alu instid0(VALU_DEP_2) | instskip(SKIP_1) | instid1(VALU_DEP_3)
	v_add_f32_e32 v1, v1, v228
	v_mul_f32_e32 v4, v209, v161
	v_fma_f32 v5, v206, v158, -v5
	s_delay_alu instid0(VALU_DEP_4) | instskip(SKIP_1) | instid1(VALU_DEP_4)
	v_dual_add_f32 v2, v2, v3 :: v_dual_fmac_f32 v235, v207, v158
	v_mul_f32_e32 v3, v211, v163
	v_fma_f32 v4, v208, v160, -v4
	s_delay_alu instid0(VALU_DEP_3) | instskip(SKIP_1) | instid1(VALU_DEP_4)
	v_add_f32_e32 v2, v2, v5
	v_add_f32_e32 v1, v1, v229
	v_fma_f32 v3, v210, v162, -v3
	s_delay_alu instid0(VALU_DEP_3) | instskip(NEXT) | instid1(VALU_DEP_3)
	v_dual_add_f32 v2, v2, v4 :: v_dual_mul_f32 v5, v213, v165
	v_dual_add_f32 v1, v1, v230 :: v_dual_mul_f32 v4, v215, v167
	s_delay_alu instid0(VALU_DEP_2) | instskip(NEXT) | instid1(VALU_DEP_3)
	v_add_f32_e32 v2, v2, v3
	v_fma_f32 v5, v212, v164, -v5
	s_delay_alu instid0(VALU_DEP_3) | instskip(SKIP_2) | instid1(VALU_DEP_4)
	v_add_f32_e32 v1, v1, v231
	v_mul_f32_e32 v3, v217, v169
	v_fma_f32 v4, v214, v166, -v4
	v_dual_add_f32 v2, v2, v5 :: v_dual_mul_f32 v5, v219, v171
	s_delay_alu instid0(VALU_DEP_3) | instskip(NEXT) | instid1(VALU_DEP_2)
	v_fma_f32 v3, v216, v168, -v3
	v_add_f32_e32 v2, v2, v4
	v_add_f32_e32 v1, v1, v232
	v_mul_f32_e32 v4, v221, v173
	v_fma_f32 v5, v218, v170, -v5
	s_delay_alu instid0(VALU_DEP_4) | instskip(SKIP_1) | instid1(VALU_DEP_4)
	v_dual_add_f32 v2, v2, v3 :: v_dual_fmac_f32 v241, v219, v170
	v_mul_f32_e32 v3, v223, v175
	v_fma_f32 v4, v220, v172, -v4
	s_delay_alu instid0(VALU_DEP_3) | instskip(SKIP_1) | instid1(VALU_DEP_4)
	v_add_f32_e32 v2, v2, v5
	v_add_f32_e32 v1, v1, v233
	v_fma_f32 v3, v222, v174, -v3
	s_delay_alu instid0(VALU_DEP_2) | instskip(NEXT) | instid1(VALU_DEP_1)
	v_dual_add_f32 v2, v2, v4 :: v_dual_add_f32 v1, v1, v234
	v_add_f32_e32 v2, v2, v3
	s_delay_alu instid0(VALU_DEP_2) | instskip(NEXT) | instid1(VALU_DEP_1)
	v_add_f32_e32 v1, v1, v235
	v_add_f32_e32 v1, v1, v236
	s_delay_alu instid0(VALU_DEP_1) | instskip(NEXT) | instid1(VALU_DEP_1)
	v_add_f32_e32 v1, v1, v237
	v_add_f32_e32 v1, v1, v238
	s_delay_alu instid0(VALU_DEP_1) | instskip(NEXT) | instid1(VALU_DEP_1)
	;; [unrolled: 3-line block ×3, first 2 shown]
	v_add_f32_e32 v1, v1, v241
	v_add_f32_e32 v1, v1, v242
	s_delay_alu instid0(VALU_DEP_1) | instskip(SKIP_1) | instid1(VALU_DEP_1)
	v_add_f32_e32 v3, v1, v243
	s_wait_loadcnt 0x0
	v_dual_sub_f32 v1, v30, v2 :: v_dual_sub_f32 v2, v31, v3
	scratch_store_b64 off, v[1:2], off offset:280
	v_cmpx_lt_u32_e32 34, v0
	s_cbranch_execz .LBB123_305
; %bb.304:
	scratch_load_b64 v[1:2], off, off offset:272
	v_mov_b32_e32 v3, 0
	s_delay_alu instid0(VALU_DEP_1)
	v_mov_b32_e32 v4, v3
	scratch_store_b64 off, v[3:4], off offset:272
	s_wait_loadcnt 0x0
	ds_store_b64 v155, v[1:2]
.LBB123_305:
	s_wait_alu 0xfffe
	s_or_b32 exec_lo, exec_lo, s0
	s_wait_storecnt_dscnt 0x0
	s_barrier_signal -1
	s_barrier_wait -1
	global_inv scope:SCOPE_SE
	s_clause 0xd
	scratch_load_b128 v[2:5], off, off offset:280
	scratch_load_b128 v[6:9], off, off offset:296
	;; [unrolled: 1-line block ×12, first 2 shown]
	scratch_load_b64 v[30:31], off, off offset:472
	scratch_load_b64 v[153:154], off, off offset:272
	v_mov_b32_e32 v1, 0
	ds_load_2addr_b64 v[176:179], v1 offset0:95 offset1:96
	ds_load_2addr_b64 v[180:183], v1 offset0:97 offset1:98
	;; [unrolled: 1-line block ×12, first 2 shown]
	ds_load_b64 v[224:225], v1 offset:952
	s_mov_b32 s0, exec_lo
	s_wait_loadcnt_dscnt 0xd0c
	v_mul_f32_e32 v32, v176, v3
	s_wait_loadcnt_dscnt 0xc0b
	v_dual_mul_f32 v226, v178, v5 :: v_dual_mul_f32 v227, v180, v7
	v_mul_f32_e32 v3, v177, v3
	v_mul_f32_e32 v5, v179, v5
	s_wait_loadcnt_dscnt 0xb0a
	v_dual_mul_f32 v228, v182, v9 :: v_dual_mul_f32 v229, v184, v11
	s_wait_loadcnt_dscnt 0x706
	v_mul_f32_e32 v238, v202, v29
	v_fma_f32 v3, v176, v2, -v3
	v_fmac_f32_e32 v32, v177, v2
	v_mul_f32_e32 v2, v181, v7
	s_wait_loadcnt_dscnt 0x100
	v_dual_fmac_f32 v226, v179, v4 :: v_dual_mul_f32 v249, v224, v31
	v_fma_f32 v4, v178, v4, -v5
	v_add_f32_e32 v3, 0, v3
	v_fma_f32 v2, v180, v6, -v2
	v_dual_fmac_f32 v227, v181, v6 :: v_dual_fmac_f32 v228, v183, v8
	v_dual_mul_f32 v230, v186, v13 :: v_dual_mul_f32 v231, v188, v15
	s_delay_alu instid0(VALU_DEP_4) | instskip(SKIP_2) | instid1(VALU_DEP_4)
	v_add_f32_e32 v3, v3, v4
	v_dual_add_f32 v5, 0, v32 :: v_dual_mul_f32 v232, v190, v17
	v_mul_f32_e32 v233, v192, v19
	v_fmac_f32_e32 v231, v189, v14
	s_delay_alu instid0(VALU_DEP_4) | instskip(NEXT) | instid1(VALU_DEP_4)
	v_add_f32_e32 v2, v3, v2
	v_dual_mul_f32 v7, v183, v9 :: v_dual_add_f32 v4, v5, v226
	v_dual_mul_f32 v5, v185, v11 :: v_dual_fmac_f32 v230, v187, v12
	v_fmac_f32_e32 v232, v191, v16
	s_delay_alu instid0(VALU_DEP_3) | instskip(NEXT) | instid1(VALU_DEP_4)
	v_fma_f32 v6, v182, v8, -v7
	v_dual_add_f32 v3, v4, v227 :: v_dual_mul_f32 v4, v187, v13
	s_delay_alu instid0(VALU_DEP_4) | instskip(SKIP_1) | instid1(VALU_DEP_4)
	v_fma_f32 v5, v184, v10, -v5
	v_dual_mul_f32 v234, v194, v21 :: v_dual_mul_f32 v235, v196, v23
	v_add_f32_e32 v2, v2, v6
	v_fmac_f32_e32 v229, v185, v10
	v_dual_add_f32 v3, v3, v228 :: v_dual_mul_f32 v6, v189, v15
	v_fma_f32 v4, v186, v12, -v4
	s_delay_alu instid0(VALU_DEP_4) | instskip(SKIP_1) | instid1(VALU_DEP_4)
	v_add_f32_e32 v2, v2, v5
	v_mul_f32_e32 v5, v191, v17
	v_add_f32_e32 v3, v3, v229
	v_fma_f32 v6, v188, v14, -v6
	v_dual_mul_f32 v236, v198, v25 :: v_dual_mul_f32 v237, v200, v27
	v_add_f32_e32 v2, v2, v4
	v_mul_f32_e32 v4, v193, v19
	v_fma_f32 v5, v190, v16, -v5
	v_dual_fmac_f32 v233, v193, v18 :: v_dual_fmac_f32 v234, v195, v20
	s_delay_alu instid0(VALU_DEP_4) | instskip(SKIP_3) | instid1(VALU_DEP_4)
	v_add_f32_e32 v2, v2, v6
	v_add_f32_e32 v3, v3, v230
	v_mul_f32_e32 v6, v195, v21
	v_fma_f32 v4, v192, v18, -v4
	v_dual_fmac_f32 v235, v197, v22 :: v_dual_add_f32 v2, v2, v5
	s_delay_alu instid0(VALU_DEP_4) | instskip(NEXT) | instid1(VALU_DEP_4)
	v_add_f32_e32 v3, v3, v231
	v_fma_f32 v6, v194, v20, -v6
	v_dual_mul_f32 v5, v197, v23 :: v_dual_fmac_f32 v236, v199, v24
	s_delay_alu instid0(VALU_DEP_4) | instskip(NEXT) | instid1(VALU_DEP_4)
	v_dual_fmac_f32 v237, v201, v26 :: v_dual_add_f32 v2, v2, v4
	v_add_f32_e32 v3, v3, v232
	v_mul_f32_e32 v4, v199, v25
	s_delay_alu instid0(VALU_DEP_4) | instskip(SKIP_1) | instid1(VALU_DEP_4)
	v_fma_f32 v5, v196, v22, -v5
	v_dual_mul_f32 v239, v204, v157 :: v_dual_mul_f32 v240, v206, v159
	v_dual_add_f32 v2, v2, v6 :: v_dual_add_f32 v3, v3, v233
	v_mul_f32_e32 v6, v201, v27
	v_fma_f32 v4, v198, v24, -v4
	v_dual_fmac_f32 v238, v203, v28 :: v_dual_mul_f32 v241, v208, v161
	s_delay_alu instid0(VALU_DEP_4)
	v_dual_mul_f32 v242, v210, v163 :: v_dual_add_f32 v3, v3, v234
	v_add_f32_e32 v2, v2, v5
	v_fma_f32 v6, v200, v26, -v6
	v_dual_fmac_f32 v239, v205, v156 :: v_dual_fmac_f32 v240, v207, v158
	v_fmac_f32_e32 v241, v209, v160
	v_add_f32_e32 v3, v3, v235
	v_dual_mul_f32 v5, v203, v29 :: v_dual_add_f32 v2, v2, v4
	v_mul_f32_e32 v4, v205, v157
	v_dual_mul_f32 v243, v212, v165 :: v_dual_mul_f32 v244, v214, v167
	s_delay_alu instid0(VALU_DEP_4) | instskip(NEXT) | instid1(VALU_DEP_4)
	v_add_f32_e32 v3, v3, v236
	v_fma_f32 v5, v202, v28, -v5
	v_add_f32_e32 v2, v2, v6
	v_mul_f32_e32 v6, v207, v159
	v_fma_f32 v4, v204, v156, -v4
	v_add_f32_e32 v3, v3, v237
	v_dual_mul_f32 v245, v216, v169 :: v_dual_mul_f32 v246, v218, v171
	v_add_f32_e32 v2, v2, v5
	v_mul_f32_e32 v5, v209, v161
	s_delay_alu instid0(VALU_DEP_4) | instskip(SKIP_2) | instid1(VALU_DEP_3)
	v_add_f32_e32 v3, v3, v238
	v_fma_f32 v6, v206, v158, -v6
	v_dual_fmac_f32 v242, v211, v162 :: v_dual_fmac_f32 v245, v217, v168
	v_dual_add_f32 v2, v2, v4 :: v_dual_add_f32 v3, v3, v239
	v_dual_mul_f32 v4, v211, v163 :: v_dual_fmac_f32 v243, v213, v164
	v_fma_f32 v5, v208, v160, -v5
	s_delay_alu instid0(VALU_DEP_3) | instskip(SKIP_1) | instid1(VALU_DEP_4)
	v_dual_add_f32 v2, v2, v6 :: v_dual_add_f32 v3, v3, v240
	v_mul_f32_e32 v6, v213, v165
	v_fma_f32 v4, v210, v162, -v4
	v_dual_fmac_f32 v244, v215, v166 :: v_dual_mul_f32 v247, v220, v173
	s_delay_alu instid0(VALU_DEP_4) | instskip(SKIP_3) | instid1(VALU_DEP_3)
	v_dual_mul_f32 v248, v222, v175 :: v_dual_add_f32 v3, v3, v241
	v_dual_add_f32 v2, v2, v5 :: v_dual_mul_f32 v5, v215, v167
	v_fma_f32 v6, v212, v164, -v6
	v_fmac_f32_e32 v246, v219, v170
	v_dual_add_f32 v3, v3, v242 :: v_dual_add_f32 v2, v2, v4
	v_mul_f32_e32 v4, v217, v169
	v_fma_f32 v5, v214, v166, -v5
	v_fmac_f32_e32 v247, v221, v172
	s_delay_alu instid0(VALU_DEP_4) | instskip(SKIP_3) | instid1(VALU_DEP_4)
	v_dual_add_f32 v3, v3, v243 :: v_dual_add_f32 v2, v2, v6
	v_mul_f32_e32 v6, v219, v171
	v_fma_f32 v4, v216, v168, -v4
	v_fmac_f32_e32 v248, v223, v174
	v_dual_fmac_f32 v249, v225, v30 :: v_dual_add_f32 v2, v2, v5
	v_mul_f32_e32 v5, v221, v173
	v_add_f32_e32 v3, v3, v244
	v_fma_f32 v6, v218, v170, -v6
	s_delay_alu instid0(VALU_DEP_3) | instskip(NEXT) | instid1(VALU_DEP_3)
	v_fma_f32 v5, v220, v172, -v5
	v_add_f32_e32 v3, v3, v245
	s_delay_alu instid0(VALU_DEP_1) | instskip(SKIP_1) | instid1(VALU_DEP_2)
	v_dual_add_f32 v3, v3, v246 :: v_dual_add_f32 v2, v2, v4
	v_mul_f32_e32 v4, v223, v175
	v_dual_add_f32 v3, v3, v247 :: v_dual_add_f32 v2, v2, v6
	v_mul_f32_e32 v6, v225, v31
	s_delay_alu instid0(VALU_DEP_3) | instskip(NEXT) | instid1(VALU_DEP_3)
	v_fma_f32 v4, v222, v174, -v4
	v_dual_add_f32 v3, v3, v248 :: v_dual_add_f32 v2, v2, v5
	s_delay_alu instid0(VALU_DEP_3) | instskip(NEXT) | instid1(VALU_DEP_2)
	v_fma_f32 v5, v224, v30, -v6
	v_dual_add_f32 v3, v3, v249 :: v_dual_add_f32 v2, v2, v4
	s_wait_loadcnt 0x0
	s_delay_alu instid0(VALU_DEP_1) | instskip(NEXT) | instid1(VALU_DEP_2)
	v_sub_f32_e32 v3, v154, v3
	v_add_f32_e32 v2, v2, v5
	s_delay_alu instid0(VALU_DEP_1)
	v_sub_f32_e32 v2, v153, v2
	scratch_store_b64 off, v[2:3], off offset:272
	v_cmpx_lt_u32_e32 33, v0
	s_cbranch_execz .LBB123_307
; %bb.306:
	scratch_load_b64 v[3:4], off, off offset:264
	v_mov_b32_e32 v2, v1
	scratch_store_b64 off, v[1:2], off offset:264
	s_wait_loadcnt 0x0
	ds_store_b64 v155, v[3:4]
.LBB123_307:
	s_wait_alu 0xfffe
	s_or_b32 exec_lo, exec_lo, s0
	s_wait_storecnt_dscnt 0x0
	s_barrier_signal -1
	s_barrier_wait -1
	global_inv scope:SCOPE_SE
	s_clause 0xd
	scratch_load_b128 v[2:5], off, off offset:272
	scratch_load_b128 v[6:9], off, off offset:288
	;; [unrolled: 1-line block ×13, first 2 shown]
	scratch_load_b64 v[30:31], off, off offset:264
	ds_load_b128 v[180:183], v1 offset:752
	ds_load_b128 v[184:187], v1 offset:768
	;; [unrolled: 1-line block ×13, first 2 shown]
	s_mov_b32 s0, exec_lo
	s_wait_loadcnt_dscnt 0xd0c
	v_dual_mul_f32 v1, v180, v3 :: v_dual_mul_f32 v32, v182, v5
	v_mul_f32_e32 v5, v183, v5
	s_wait_loadcnt_dscnt 0xc0b
	v_dual_mul_f32 v153, v184, v7 :: v_dual_mul_f32 v154, v186, v9
	s_wait_loadcnt_dscnt 0xb0a
	v_dual_mul_f32 v232, v188, v11 :: v_dual_mul_f32 v233, v190, v13
	v_mul_f32_e32 v3, v181, v3
	s_delay_alu instid0(VALU_DEP_3)
	v_dual_fmac_f32 v1, v181, v2 :: v_dual_fmac_f32 v154, v187, v8
	v_fmac_f32_e32 v32, v183, v4
	s_wait_loadcnt_dscnt 0x201
	v_mul_f32_e32 v250, v224, v173
	v_fma_f32 v3, v180, v2, -v3
	s_wait_loadcnt_dscnt 0x100
	v_mul_f32_e32 v253, v230, v179
	v_mul_f32_e32 v2, v185, v7
	v_fma_f32 v4, v182, v4, -v5
	v_dual_mul_f32 v234, v192, v15 :: v_dual_mul_f32 v235, v194, v17
	v_dual_add_f32 v3, 0, v3 :: v_dual_fmac_f32 v232, v189, v10
	v_add_f32_e32 v1, 0, v1
	v_fma_f32 v2, v184, v6, -v2
	s_delay_alu instid0(VALU_DEP_3) | instskip(SKIP_1) | instid1(VALU_DEP_4)
	v_dual_fmac_f32 v234, v193, v14 :: v_dual_add_f32 v3, v3, v4
	v_mul_f32_e32 v4, v189, v11
	v_dual_add_f32 v1, v1, v32 :: v_dual_mul_f32 v236, v196, v19
	s_delay_alu instid0(VALU_DEP_3) | instskip(NEXT) | instid1(VALU_DEP_3)
	v_dual_mul_f32 v237, v198, v21 :: v_dual_add_f32 v2, v3, v2
	v_fma_f32 v4, v188, v10, -v4
	v_mul_f32_e32 v5, v187, v9
	s_delay_alu instid0(VALU_DEP_4) | instskip(SKIP_1) | instid1(VALU_DEP_3)
	v_dual_mul_f32 v3, v191, v13 :: v_dual_fmac_f32 v236, v197, v18
	v_dual_mul_f32 v238, v200, v23 :: v_dual_mul_f32 v239, v202, v25
	v_fma_f32 v5, v186, v8, -v5
	v_fmac_f32_e32 v153, v185, v6
	s_delay_alu instid0(VALU_DEP_4)
	v_fma_f32 v3, v190, v12, -v3
	v_dual_fmac_f32 v235, v195, v16 :: v_dual_mul_f32 v242, v208, v157
	v_mul_f32_e32 v243, v210, v159
	v_add_f32_e32 v2, v2, v5
	v_dual_mul_f32 v240, v204, v27 :: v_dual_mul_f32 v241, v206, v29
	v_dual_mul_f32 v244, v212, v161 :: v_dual_mul_f32 v245, v214, v163
	s_delay_alu instid0(VALU_DEP_3) | instskip(SKIP_1) | instid1(VALU_DEP_4)
	v_dual_add_f32 v2, v2, v4 :: v_dual_add_f32 v1, v1, v153
	v_mul_f32_e32 v4, v195, v17
	v_dual_fmac_f32 v241, v207, v28 :: v_dual_mul_f32 v246, v216, v165
	v_mul_f32_e32 v247, v218, v167
	s_delay_alu instid0(VALU_DEP_4) | instskip(NEXT) | instid1(VALU_DEP_4)
	v_dual_add_f32 v2, v2, v3 :: v_dual_add_f32 v1, v1, v154
	v_fma_f32 v4, v194, v16, -v4
	v_mul_f32_e32 v5, v193, v15
	v_dual_fmac_f32 v237, v199, v20 :: v_dual_fmac_f32 v240, v205, v26
	v_dual_mul_f32 v248, v220, v169 :: v_dual_mul_f32 v249, v222, v171
	s_delay_alu instid0(VALU_DEP_3) | instskip(SKIP_3) | instid1(VALU_DEP_4)
	v_fma_f32 v5, v192, v14, -v5
	v_dual_fmac_f32 v233, v191, v12 :: v_dual_fmac_f32 v238, v201, v22
	v_fmac_f32_e32 v247, v219, v166
	v_dual_mul_f32 v251, v226, v175 :: v_dual_mul_f32 v252, v228, v177
	v_add_f32_e32 v2, v2, v5
	v_mul_f32_e32 v5, v199, v21
	v_dual_fmac_f32 v245, v215, v162 :: v_dual_fmac_f32 v248, v221, v168
	s_delay_alu instid0(VALU_DEP_3) | instskip(NEXT) | instid1(VALU_DEP_3)
	v_dual_fmac_f32 v251, v227, v174 :: v_dual_add_f32 v2, v2, v4
	v_fma_f32 v5, v198, v20, -v5
	v_mul_f32_e32 v3, v197, v19
	v_dual_mul_f32 v4, v201, v23 :: v_dual_fmac_f32 v253, v231, v178
	v_fmac_f32_e32 v242, v209, v156
	v_fmac_f32_e32 v244, v213, v160
	s_delay_alu instid0(VALU_DEP_4)
	v_fma_f32 v3, v196, v18, -v3
	v_add_f32_e32 v1, v1, v232
	v_fma_f32 v4, v200, v22, -v4
	v_fmac_f32_e32 v246, v217, v164
	v_fmac_f32_e32 v250, v225, v172
	v_dual_add_f32 v2, v2, v3 :: v_dual_mul_f32 v3, v203, v25
	v_fmac_f32_e32 v252, v229, v176
	s_delay_alu instid0(VALU_DEP_2) | instskip(SKIP_1) | instid1(VALU_DEP_4)
	v_add_f32_e32 v2, v2, v5
	v_add_f32_e32 v1, v1, v233
	v_fma_f32 v3, v202, v24, -v3
	s_delay_alu instid0(VALU_DEP_2) | instskip(SKIP_1) | instid1(VALU_DEP_2)
	v_dual_add_f32 v2, v2, v4 :: v_dual_add_f32 v1, v1, v234
	v_mul_f32_e32 v4, v207, v29
	v_dual_fmac_f32 v239, v203, v24 :: v_dual_add_f32 v2, v2, v3
	v_mul_f32_e32 v3, v209, v157
	s_delay_alu instid0(VALU_DEP_3) | instskip(SKIP_1) | instid1(VALU_DEP_3)
	v_fma_f32 v4, v206, v28, -v4
	v_mul_f32_e32 v5, v205, v27
	v_fma_f32 v3, v208, v156, -v3
	s_delay_alu instid0(VALU_DEP_2) | instskip(NEXT) | instid1(VALU_DEP_1)
	v_fma_f32 v5, v204, v26, -v5
	v_dual_add_f32 v1, v1, v235 :: v_dual_add_f32 v2, v2, v5
	s_delay_alu instid0(VALU_DEP_1) | instskip(NEXT) | instid1(VALU_DEP_2)
	v_dual_mul_f32 v5, v211, v159 :: v_dual_add_f32 v2, v2, v4
	v_add_f32_e32 v1, v1, v236
	v_mul_f32_e32 v4, v213, v161
	s_delay_alu instid0(VALU_DEP_3) | instskip(NEXT) | instid1(VALU_DEP_4)
	v_fma_f32 v5, v210, v158, -v5
	v_dual_add_f32 v2, v2, v3 :: v_dual_fmac_f32 v243, v211, v158
	v_mul_f32_e32 v3, v215, v163
	s_delay_alu instid0(VALU_DEP_4) | instskip(NEXT) | instid1(VALU_DEP_3)
	v_fma_f32 v4, v212, v160, -v4
	v_add_f32_e32 v2, v2, v5
	v_add_f32_e32 v1, v1, v237
	s_delay_alu instid0(VALU_DEP_4) | instskip(NEXT) | instid1(VALU_DEP_3)
	v_fma_f32 v3, v214, v162, -v3
	v_dual_add_f32 v2, v2, v4 :: v_dual_mul_f32 v5, v217, v165
	s_delay_alu instid0(VALU_DEP_3) | instskip(NEXT) | instid1(VALU_DEP_2)
	v_dual_add_f32 v1, v1, v238 :: v_dual_mul_f32 v4, v219, v167
	v_add_f32_e32 v2, v2, v3
	s_delay_alu instid0(VALU_DEP_3) | instskip(NEXT) | instid1(VALU_DEP_3)
	v_fma_f32 v5, v216, v164, -v5
	v_add_f32_e32 v1, v1, v239
	v_mul_f32_e32 v3, v221, v169
	v_fma_f32 v4, v218, v166, -v4
	s_delay_alu instid0(VALU_DEP_4) | instskip(NEXT) | instid1(VALU_DEP_3)
	v_dual_add_f32 v2, v2, v5 :: v_dual_mul_f32 v5, v223, v171
	v_fma_f32 v3, v220, v168, -v3
	s_delay_alu instid0(VALU_DEP_2) | instskip(SKIP_3) | instid1(VALU_DEP_4)
	v_add_f32_e32 v2, v2, v4
	v_add_f32_e32 v1, v1, v240
	v_mul_f32_e32 v4, v225, v173
	v_fma_f32 v5, v222, v170, -v5
	v_dual_add_f32 v2, v2, v3 :: v_dual_fmac_f32 v249, v223, v170
	v_mul_f32_e32 v3, v227, v175
	s_delay_alu instid0(VALU_DEP_4) | instskip(NEXT) | instid1(VALU_DEP_3)
	v_fma_f32 v4, v224, v172, -v4
	v_add_f32_e32 v2, v2, v5
	v_add_f32_e32 v1, v1, v241
	s_delay_alu instid0(VALU_DEP_4) | instskip(NEXT) | instid1(VALU_DEP_2)
	v_fma_f32 v3, v226, v174, -v3
	v_dual_add_f32 v2, v2, v4 :: v_dual_add_f32 v1, v1, v242
	v_dual_mul_f32 v4, v231, v179 :: v_dual_mul_f32 v5, v229, v177
	s_delay_alu instid0(VALU_DEP_2) | instskip(NEXT) | instid1(VALU_DEP_2)
	v_add_f32_e32 v2, v2, v3
	v_fma_f32 v3, v230, v178, -v4
	s_delay_alu instid0(VALU_DEP_3) | instskip(NEXT) | instid1(VALU_DEP_1)
	v_fma_f32 v5, v228, v176, -v5
	v_dual_add_f32 v1, v1, v243 :: v_dual_add_f32 v2, v2, v5
	s_delay_alu instid0(VALU_DEP_1) | instskip(NEXT) | instid1(VALU_DEP_1)
	v_dual_add_f32 v1, v1, v244 :: v_dual_add_f32 v2, v2, v3
	v_add_f32_e32 v1, v1, v245
	s_delay_alu instid0(VALU_DEP_1) | instskip(NEXT) | instid1(VALU_DEP_1)
	v_add_f32_e32 v1, v1, v246
	v_add_f32_e32 v1, v1, v247
	s_delay_alu instid0(VALU_DEP_1) | instskip(NEXT) | instid1(VALU_DEP_1)
	v_add_f32_e32 v1, v1, v248
	;; [unrolled: 3-line block ×4, first 2 shown]
	v_add_f32_e32 v3, v1, v253
	s_wait_loadcnt 0x0
	s_delay_alu instid0(VALU_DEP_1)
	v_dual_sub_f32 v1, v30, v2 :: v_dual_sub_f32 v2, v31, v3
	scratch_store_b64 off, v[1:2], off offset:264
	v_cmpx_lt_u32_e32 32, v0
	s_cbranch_execz .LBB123_309
; %bb.308:
	scratch_load_b64 v[1:2], off, off offset:256
	v_mov_b32_e32 v3, 0
	s_delay_alu instid0(VALU_DEP_1)
	v_mov_b32_e32 v4, v3
	scratch_store_b64 off, v[3:4], off offset:256
	s_wait_loadcnt 0x0
	ds_store_b64 v155, v[1:2]
.LBB123_309:
	s_wait_alu 0xfffe
	s_or_b32 exec_lo, exec_lo, s0
	s_wait_storecnt_dscnt 0x0
	s_barrier_signal -1
	s_barrier_wait -1
	global_inv scope:SCOPE_SE
	s_clause 0x4
	scratch_load_b128 v[2:5], off, off offset:264
	scratch_load_b128 v[6:9], off, off offset:280
	;; [unrolled: 1-line block ×5, first 2 shown]
	v_mov_b32_e32 v1, 0
	ds_load_2addr_b64 v[22:25], v1 offset0:93 offset1:94
	ds_load_2addr_b64 v[26:29], v1 offset0:95 offset1:96
	;; [unrolled: 1-line block ×3, first 2 shown]
	scratch_load_b64 v[30:31], off, off offset:256
	s_mov_b32 s0, exec_lo
	s_wait_loadcnt_dscnt 0x502
	v_mul_f32_e32 v32, v23, v3
	v_dual_mul_f32 v153, v22, v3 :: v_dual_mul_f32 v154, v24, v5
	v_mul_f32_e32 v3, v25, v5
	s_wait_loadcnt_dscnt 0x300
	v_mul_f32_e32 v160, v158, v13
	v_fma_f32 v22, v22, v2, -v32
	v_dual_fmac_f32 v153, v23, v2 :: v_dual_fmac_f32 v154, v25, v4
	v_fma_f32 v23, v24, v4, -v3
	v_mul_f32_e32 v24, v26, v7
	v_mul_f32_e32 v7, v27, v7
	;; [unrolled: 1-line block ×3, first 2 shown]
	v_dual_mul_f32 v9, v29, v9 :: v_dual_mul_f32 v32, v156, v11
	ds_load_2addr_b64 v[2:5], v1 offset0:99 offset1:100
	v_fmac_f32_e32 v24, v27, v6
	v_fma_f32 v26, v26, v6, -v7
	v_fmac_f32_e32 v25, v29, v8
	v_fma_f32 v27, v28, v8, -v9
	scratch_load_b128 v[6:9], off, off offset:344
	v_dual_mul_f32 v11, v157, v11 :: v_dual_fmac_f32 v160, v159, v12
	v_dual_mul_f32 v13, v159, v13 :: v_dual_fmac_f32 v32, v157, v10
	s_delay_alu instid0(VALU_DEP_2) | instskip(NEXT) | instid1(VALU_DEP_2)
	v_fma_f32 v28, v156, v10, -v11
	v_fma_f32 v29, v158, v12, -v13
	ds_load_2addr_b64 v[10:13], v1 offset0:101 offset1:102
	s_wait_loadcnt_dscnt 0x301
	v_mul_f32_e32 v156, v2, v15
	v_mul_f32_e32 v15, v3, v15
	;; [unrolled: 1-line block ×3, first 2 shown]
	s_delay_alu instid0(VALU_DEP_3) | instskip(SKIP_1) | instid1(VALU_DEP_2)
	v_dual_mul_f32 v17, v5, v17 :: v_dual_fmac_f32 v156, v3, v14
	s_wait_loadcnt_dscnt 0x200
	v_dual_fmac_f32 v157, v5, v16 :: v_dual_mul_f32 v162, v12, v21
	v_fma_f32 v158, v2, v14, -v15
	v_mul_f32_e32 v14, v11, v19
	v_fma_f32 v159, v4, v16, -v17
	ds_load_2addr_b64 v[2:5], v1 offset0:103 offset1:104
	v_dual_mul_f32 v161, v10, v19 :: v_dual_fmac_f32 v162, v13, v20
	v_mul_f32_e32 v15, v13, v21
	s_delay_alu instid0(VALU_DEP_1) | instskip(SKIP_1) | instid1(VALU_DEP_3)
	v_fma_f32 v19, v12, v20, -v15
	s_wait_loadcnt_dscnt 0x0
	v_dual_mul_f32 v164, v4, v9 :: v_dual_fmac_f32 v161, v11, v18
	v_fma_f32 v18, v10, v18, -v14
	scratch_load_b128 v[10:13], off, off offset:360
	v_mul_f32_e32 v163, v2, v7
	v_mul_f32_e32 v7, v3, v7
	;; [unrolled: 1-line block ×3, first 2 shown]
	s_delay_alu instid0(VALU_DEP_3) | instskip(NEXT) | instid1(VALU_DEP_3)
	v_dual_fmac_f32 v164, v5, v8 :: v_dual_fmac_f32 v163, v3, v6
	v_fma_f32 v165, v2, v6, -v7
	s_delay_alu instid0(VALU_DEP_3)
	v_fma_f32 v166, v4, v8, -v9
	ds_load_2addr_b64 v[2:5], v1 offset0:105 offset1:106
	ds_load_2addr_b64 v[6:9], v1 offset0:107 offset1:108
	s_wait_loadcnt_dscnt 0x1
	v_mul_f32_e32 v167, v2, v11
	v_dual_mul_f32 v11, v3, v11 :: v_dual_mul_f32 v168, v4, v13
	s_delay_alu instid0(VALU_DEP_2) | instskip(NEXT) | instid1(VALU_DEP_2)
	v_fmac_f32_e32 v167, v3, v10
	v_fma_f32 v169, v2, v10, -v11
	v_mul_f32_e32 v2, v5, v13
	s_delay_alu instid0(VALU_DEP_4) | instskip(NEXT) | instid1(VALU_DEP_2)
	v_fmac_f32_e32 v168, v5, v12
	v_fma_f32 v170, v4, v12, -v2
	s_clause 0x1
	scratch_load_b128 v[2:5], off, off offset:376
	scratch_load_b128 v[10:13], off, off offset:392
	s_wait_loadcnt_dscnt 0x100
	v_mul_f32_e32 v171, v6, v3
	v_mul_f32_e32 v3, v7, v3
	;; [unrolled: 1-line block ×3, first 2 shown]
	s_delay_alu instid0(VALU_DEP_2) | instskip(SKIP_1) | instid1(VALU_DEP_1)
	v_fma_f32 v172, v6, v2, -v3
	v_add_f32_e32 v3, 0, v153
	v_add_f32_e32 v6, v3, v154
	s_delay_alu instid0(VALU_DEP_1) | instskip(NEXT) | instid1(VALU_DEP_1)
	v_add_f32_e32 v14, v6, v24
	v_dual_add_f32 v14, v14, v25 :: v_dual_fmac_f32 v171, v7, v2
	v_mul_f32_e32 v2, v9, v5
	s_delay_alu instid0(VALU_DEP_2) | instskip(NEXT) | instid1(VALU_DEP_2)
	v_add_f32_e32 v14, v14, v32
	v_fma_f32 v174, v8, v4, -v2
	s_delay_alu instid0(VALU_DEP_2) | instskip(NEXT) | instid1(VALU_DEP_1)
	v_dual_add_f32 v2, 0, v22 :: v_dual_add_f32 v21, v14, v160
	v_dual_add_f32 v2, v2, v23 :: v_dual_add_f32 v21, v21, v156
	s_delay_alu instid0(VALU_DEP_1) | instskip(NEXT) | instid1(VALU_DEP_1)
	v_add_f32_e32 v21, v21, v157
	v_dual_add_f32 v7, v2, v26 :: v_dual_add_f32 v22, v21, v161
	s_delay_alu instid0(VALU_DEP_1)
	v_add_f32_e32 v15, v7, v27
	scratch_load_b64 v[26:27], off, off offset:472
	v_dual_add_f32 v22, v22, v162 :: v_dual_add_f32 v15, v15, v28
	v_fmac_f32_e32 v173, v9, v4
	scratch_load_b128 v[2:5], off, off offset:408
	ds_load_2addr_b64 v[6:9], v1 offset0:109 offset1:110
	v_add_f32_e32 v22, v22, v163
	v_add_f32_e32 v20, v15, v29
	ds_load_2addr_b64 v[14:17], v1 offset0:111 offset1:112
	v_add_f32_e32 v22, v22, v164
	v_add_f32_e32 v20, v20, v158
	s_delay_alu instid0(VALU_DEP_1) | instskip(NEXT) | instid1(VALU_DEP_1)
	v_add_f32_e32 v20, v20, v159
	v_add_f32_e32 v18, v20, v18
	s_wait_loadcnt_dscnt 0x201
	v_mul_f32_e32 v32, v6, v11
	v_mul_f32_e32 v11, v7, v11
	;; [unrolled: 1-line block ×4, first 2 shown]
	s_delay_alu instid0(VALU_DEP_4) | instskip(NEXT) | instid1(VALU_DEP_4)
	v_dual_add_f32 v23, v18, v19 :: v_dual_fmac_f32 v32, v7, v10
	v_fma_f32 v154, v6, v10, -v11
	s_delay_alu instid0(VALU_DEP_4) | instskip(NEXT) | instid1(VALU_DEP_4)
	v_fmac_f32_e32 v153, v9, v12
	v_fma_f32 v156, v8, v12, -v13
	s_clause 0x2
	scratch_load_b128 v[6:9], off, off offset:424
	scratch_load_b128 v[10:13], off, off offset:440
	;; [unrolled: 1-line block ×3, first 2 shown]
	v_add_f32_e32 v23, v23, v165
	s_wait_loadcnt_dscnt 0x300
	v_dual_mul_f32 v158, v16, v5 :: v_dual_mul_f32 v157, v14, v3
	s_delay_alu instid0(VALU_DEP_1) | instskip(NEXT) | instid1(VALU_DEP_1)
	v_dual_mul_f32 v3, v15, v3 :: v_dual_fmac_f32 v158, v17, v4
	v_fma_f32 v159, v14, v2, -v3
	v_add_f32_e32 v14, v22, v167
	s_delay_alu instid0(VALU_DEP_1) | instskip(NEXT) | instid1(VALU_DEP_1)
	v_add_f32_e32 v22, v14, v168
	v_add_f32_e32 v29, v22, v171
	s_delay_alu instid0(VALU_DEP_1) | instskip(NEXT) | instid1(VALU_DEP_1)
	v_dual_add_f32 v23, v23, v166 :: v_dual_add_f32 v162, v29, v173
	v_dual_add_f32 v23, v23, v169 :: v_dual_add_f32 v32, v162, v32
	s_delay_alu instid0(VALU_DEP_1) | instskip(NEXT) | instid1(VALU_DEP_2)
	v_dual_add_f32 v32, v32, v153 :: v_dual_fmac_f32 v157, v15, v2
	v_add_f32_e32 v15, v23, v170
	ds_load_2addr_b64 v[22:25], v1 offset0:117 offset1:118
	v_add_f32_e32 v28, v15, v172
	s_delay_alu instid0(VALU_DEP_1) | instskip(SKIP_2) | instid1(VALU_DEP_1)
	v_add_f32_e32 v161, v28, v174
	ds_load_b64 v[28:29], v1 offset:952
	v_add_f32_e32 v154, v161, v154
	v_dual_add_f32 v154, v154, v156 :: v_dual_mul_f32 v5, v17, v5
	s_delay_alu instid0(VALU_DEP_1) | instskip(NEXT) | instid1(VALU_DEP_2)
	v_add_f32_e32 v154, v154, v159
	v_fma_f32 v160, v16, v4, -v5
	ds_load_2addr_b64 v[2:5], v1 offset0:113 offset1:114
	ds_load_2addr_b64 v[14:17], v1 offset0:115 offset1:116
	s_wait_loadcnt_dscnt 0x3
	v_mul_f32_e32 v159, v22, v19
	v_add_f32_e32 v154, v154, v160
	v_mul_f32_e32 v160, v24, v21
	s_wait_dscnt 0x1
	s_delay_alu instid0(VALU_DEP_1)
	v_dual_fmac_f32 v160, v25, v20 :: v_dual_mul_f32 v153, v4, v9
	s_wait_dscnt 0x0
	v_mul_f32_e32 v156, v14, v11
	v_dual_add_f32 v32, v32, v157 :: v_dual_mul_f32 v161, v2, v7
	v_mul_f32_e32 v7, v3, v7
	v_mul_f32_e32 v9, v5, v9
	s_delay_alu instid0(VALU_DEP_4) | instskip(NEXT) | instid1(VALU_DEP_4)
	v_dual_mul_f32 v157, v16, v13 :: v_dual_fmac_f32 v156, v15, v10
	v_add_f32_e32 v32, v32, v158
	s_delay_alu instid0(VALU_DEP_4) | instskip(SKIP_1) | instid1(VALU_DEP_2)
	v_fma_f32 v2, v2, v6, -v7
	v_mul_f32_e32 v158, v28, v27
	v_add_f32_e32 v2, v154, v2
	v_fmac_f32_e32 v161, v3, v6
	v_fma_f32 v3, v4, v8, -v9
	v_mul_f32_e32 v4, v15, v11
	v_dual_mul_f32 v6, v17, v13 :: v_dual_fmac_f32 v159, v23, v18
	v_fmac_f32_e32 v158, v29, v26
	s_delay_alu instid0(VALU_DEP_4) | instskip(NEXT) | instid1(VALU_DEP_4)
	v_add_f32_e32 v2, v2, v3
	v_fma_f32 v4, v14, v10, -v4
	s_delay_alu instid0(VALU_DEP_4) | instskip(NEXT) | instid1(VALU_DEP_2)
	v_fma_f32 v6, v16, v12, -v6
	v_add_f32_e32 v2, v2, v4
	v_fmac_f32_e32 v153, v5, v8
	v_add_f32_e32 v5, v32, v161
	v_mul_f32_e32 v4, v25, v21
	s_delay_alu instid0(VALU_DEP_4) | instskip(SKIP_1) | instid1(VALU_DEP_3)
	v_add_f32_e32 v2, v2, v6
	v_mul_f32_e32 v6, v29, v27
	v_fma_f32 v4, v24, v20, -v4
	v_add_f32_e32 v3, v5, v153
	v_mul_f32_e32 v5, v23, v19
	s_delay_alu instid0(VALU_DEP_1) | instskip(NEXT) | instid1(VALU_DEP_1)
	v_fma_f32 v5, v22, v18, -v5
	v_dual_fmac_f32 v157, v17, v12 :: v_dual_add_f32 v2, v2, v5
	v_fma_f32 v5, v28, v26, -v6
	s_delay_alu instid0(VALU_DEP_2) | instskip(NEXT) | instid1(VALU_DEP_1)
	v_add_f32_e32 v2, v2, v4
	v_dual_add_f32 v3, v3, v156 :: v_dual_add_f32 v2, v2, v5
	s_delay_alu instid0(VALU_DEP_1) | instskip(NEXT) | instid1(VALU_DEP_1)
	v_dual_add_f32 v3, v3, v157 :: v_dual_sub_f32 v2, v30, v2
	v_add_f32_e32 v3, v3, v159
	s_delay_alu instid0(VALU_DEP_1) | instskip(NEXT) | instid1(VALU_DEP_1)
	v_add_f32_e32 v3, v3, v160
	v_add_f32_e32 v3, v3, v158
	s_delay_alu instid0(VALU_DEP_1)
	v_sub_f32_e32 v3, v31, v3
	scratch_store_b64 off, v[2:3], off offset:256
	v_cmpx_lt_u32_e32 31, v0
	s_cbranch_execz .LBB123_311
; %bb.310:
	scratch_load_b64 v[3:4], off, off offset:248
	v_mov_b32_e32 v2, v1
	scratch_store_b64 off, v[1:2], off offset:248
	s_wait_loadcnt 0x0
	ds_store_b64 v155, v[3:4]
.LBB123_311:
	s_wait_alu 0xfffe
	s_or_b32 exec_lo, exec_lo, s0
	s_wait_storecnt_dscnt 0x0
	s_barrier_signal -1
	s_barrier_wait -1
	global_inv scope:SCOPE_SE
	s_clause 0x4
	scratch_load_b128 v[2:5], off, off offset:256
	scratch_load_b128 v[6:9], off, off offset:272
	;; [unrolled: 1-line block ×5, first 2 shown]
	ds_load_b128 v[22:25], v1 offset:736
	ds_load_b128 v[26:29], v1 offset:752
	;; [unrolled: 1-line block ×3, first 2 shown]
	scratch_load_b64 v[30:31], off, off offset:248
	s_mov_b32 s0, exec_lo
	s_wait_loadcnt_dscnt 0x502
	v_mul_f32_e32 v32, v23, v3
	v_dual_mul_f32 v153, v22, v3 :: v_dual_mul_f32 v154, v24, v5
	v_mul_f32_e32 v3, v25, v5
	s_wait_loadcnt_dscnt 0x300
	v_mul_f32_e32 v160, v158, v13
	v_fma_f32 v22, v22, v2, -v32
	v_dual_fmac_f32 v153, v23, v2 :: v_dual_fmac_f32 v154, v25, v4
	v_fma_f32 v23, v24, v4, -v3
	ds_load_b128 v[2:5], v1 offset:784
	v_dual_mul_f32 v24, v26, v7 :: v_dual_mul_f32 v25, v28, v9
	v_mul_f32_e32 v7, v27, v7
	v_dual_mul_f32 v9, v29, v9 :: v_dual_mul_f32 v32, v156, v11
	s_delay_alu instid0(VALU_DEP_3) | instskip(SKIP_2) | instid1(VALU_DEP_4)
	v_dual_mul_f32 v11, v157, v11 :: v_dual_fmac_f32 v24, v27, v6
	v_mul_f32_e32 v13, v159, v13
	v_fmac_f32_e32 v25, v29, v8
	v_fma_f32 v27, v28, v8, -v9
	v_fmac_f32_e32 v32, v157, v10
	v_fma_f32 v28, v156, v10, -v11
	;; [unrolled: 2-line block ×3, first 2 shown]
	ds_load_b128 v[10:13], v1 offset:800
	v_fma_f32 v26, v26, v6, -v7
	scratch_load_b128 v[6:9], off, off offset:336
	s_wait_loadcnt_dscnt 0x301
	v_mul_f32_e32 v156, v2, v15
	v_mul_f32_e32 v15, v3, v15
	;; [unrolled: 1-line block ×3, first 2 shown]
	s_delay_alu instid0(VALU_DEP_3) | instskip(NEXT) | instid1(VALU_DEP_3)
	v_dual_mul_f32 v17, v5, v17 :: v_dual_fmac_f32 v156, v3, v14
	v_fma_f32 v14, v2, v14, -v15
	s_delay_alu instid0(VALU_DEP_3) | instskip(NEXT) | instid1(VALU_DEP_3)
	v_fmac_f32_e32 v157, v5, v16
	v_fma_f32 v15, v4, v16, -v17
	ds_load_b128 v[2:5], v1 offset:816
	s_wait_loadcnt_dscnt 0x201
	v_mul_f32_e32 v16, v10, v19
	v_mul_f32_e32 v17, v11, v19
	;; [unrolled: 1-line block ×3, first 2 shown]
	s_delay_alu instid0(VALU_DEP_3) | instskip(NEXT) | instid1(VALU_DEP_3)
	v_dual_mul_f32 v21, v13, v21 :: v_dual_fmac_f32 v16, v11, v18
	v_fma_f32 v17, v10, v18, -v17
	s_delay_alu instid0(VALU_DEP_3) | instskip(NEXT) | instid1(VALU_DEP_3)
	v_fmac_f32_e32 v19, v13, v20
	v_fma_f32 v18, v12, v20, -v21
	scratch_load_b128 v[10:13], off, off offset:352
	s_wait_loadcnt_dscnt 0x100
	v_mul_f32_e32 v20, v2, v7
	v_mul_f32_e32 v7, v3, v7
	;; [unrolled: 1-line block ×3, first 2 shown]
	s_delay_alu instid0(VALU_DEP_3) | instskip(NEXT) | instid1(VALU_DEP_3)
	v_dual_mul_f32 v9, v5, v9 :: v_dual_fmac_f32 v20, v3, v6
	v_fma_f32 v158, v2, v6, -v7
	s_delay_alu instid0(VALU_DEP_3) | instskip(NEXT) | instid1(VALU_DEP_3)
	v_fmac_f32_e32 v21, v5, v8
	v_fma_f32 v159, v4, v8, -v9
	ds_load_b128 v[2:5], v1 offset:832
	ds_load_b128 v[6:9], v1 offset:848
	s_wait_loadcnt_dscnt 0x1
	v_mul_f32_e32 v161, v2, v11
	v_dual_mul_f32 v11, v3, v11 :: v_dual_mul_f32 v162, v4, v13
	s_delay_alu instid0(VALU_DEP_2) | instskip(NEXT) | instid1(VALU_DEP_2)
	v_fmac_f32_e32 v161, v3, v10
	v_fma_f32 v163, v2, v10, -v11
	v_mul_f32_e32 v2, v5, v13
	s_delay_alu instid0(VALU_DEP_4) | instskip(NEXT) | instid1(VALU_DEP_2)
	v_fmac_f32_e32 v162, v5, v12
	v_fma_f32 v164, v4, v12, -v2
	s_clause 0x1
	scratch_load_b128 v[2:5], off, off offset:368
	scratch_load_b128 v[10:13], off, off offset:384
	s_wait_loadcnt_dscnt 0x100
	v_mul_f32_e32 v165, v6, v3
	v_mul_f32_e32 v3, v7, v3
	v_mul_f32_e32 v167, v8, v5
	s_delay_alu instid0(VALU_DEP_3) | instskip(NEXT) | instid1(VALU_DEP_3)
	v_fmac_f32_e32 v165, v7, v2
	v_fma_f32 v166, v6, v2, -v3
	v_mul_f32_e32 v2, v9, v5
	s_delay_alu instid0(VALU_DEP_4) | instskip(NEXT) | instid1(VALU_DEP_2)
	v_fmac_f32_e32 v167, v9, v4
	v_fma_f32 v168, v8, v4, -v2
	ds_load_b128 v[2:5], v1 offset:864
	ds_load_b128 v[6:9], v1 offset:880
	s_wait_loadcnt_dscnt 0x1
	v_mul_f32_e32 v169, v2, v11
	v_mul_f32_e32 v171, v4, v13
	s_delay_alu instid0(VALU_DEP_2) | instskip(SKIP_1) | instid1(VALU_DEP_3)
	v_fmac_f32_e32 v169, v3, v10
	v_mul_f32_e32 v3, v3, v11
	v_fmac_f32_e32 v171, v5, v12
	s_delay_alu instid0(VALU_DEP_2) | instskip(SKIP_1) | instid1(VALU_DEP_1)
	v_fma_f32 v170, v2, v10, -v3
	v_mul_f32_e32 v2, v5, v13
	v_fma_f32 v172, v4, v12, -v2
	s_clause 0x1
	scratch_load_b128 v[2:5], off, off offset:400
	scratch_load_b128 v[10:13], off, off offset:416
	s_wait_loadcnt_dscnt 0x100
	v_mul_f32_e32 v173, v6, v3
	v_mul_f32_e32 v3, v7, v3
	s_delay_alu instid0(VALU_DEP_2) | instskip(NEXT) | instid1(VALU_DEP_2)
	v_fmac_f32_e32 v173, v7, v2
	v_fma_f32 v174, v6, v2, -v3
	v_mul_f32_e32 v2, v9, v5
	v_add_f32_e32 v3, 0, v153
	s_delay_alu instid0(VALU_DEP_2) | instskip(SKIP_1) | instid1(VALU_DEP_1)
	v_fma_f32 v176, v8, v4, -v2
	v_add_f32_e32 v2, 0, v22
	v_dual_add_f32 v3, v3, v154 :: v_dual_add_f32 v2, v2, v23
	s_delay_alu instid0(VALU_DEP_1) | instskip(NEXT) | instid1(VALU_DEP_1)
	v_dual_add_f32 v3, v3, v24 :: v_dual_add_f32 v2, v2, v26
	v_add_f32_e32 v2, v2, v27
	s_delay_alu instid0(VALU_DEP_1) | instskip(NEXT) | instid1(VALU_DEP_1)
	v_add_f32_e32 v2, v2, v28
	v_add_f32_e32 v7, v2, v29
	s_delay_alu instid0(VALU_DEP_1) | instskip(NEXT) | instid1(VALU_DEP_1)
	v_add_f32_e32 v7, v7, v14
	;; [unrolled: 3-line block ×3, first 2 shown]
	v_dual_add_f32 v14, v14, v18 :: v_dual_add_f32 v3, v3, v25
	s_delay_alu instid0(VALU_DEP_1) | instskip(NEXT) | instid1(VALU_DEP_2)
	v_add_f32_e32 v14, v14, v158
	v_add_f32_e32 v6, v3, v32
	s_delay_alu instid0(VALU_DEP_1) | instskip(NEXT) | instid1(VALU_DEP_1)
	v_add_f32_e32 v6, v6, v160
	v_add_f32_e32 v6, v6, v156
	s_delay_alu instid0(VALU_DEP_1) | instskip(NEXT) | instid1(VALU_DEP_1)
	;; [unrolled: 3-line block ×3, first 2 shown]
	v_add_f32_e32 v15, v15, v19
	v_dual_add_f32 v19, v14, v159 :: v_dual_add_f32 v18, v15, v20
	scratch_load_b128 v[14:17], off, off offset:464
	v_dual_add_f32 v19, v19, v163 :: v_dual_add_f32 v18, v18, v21
	s_delay_alu instid0(VALU_DEP_1) | instskip(NEXT) | instid1(VALU_DEP_1)
	v_dual_add_f32 v19, v19, v164 :: v_dual_add_f32 v18, v18, v161
	v_dual_mul_f32 v175, v8, v5 :: v_dual_add_f32 v22, v19, v166
	s_delay_alu instid0(VALU_DEP_1)
	v_dual_add_f32 v18, v18, v162 :: v_dual_fmac_f32 v175, v9, v4
	ds_load_b128 v[2:5], v1 offset:896
	ds_load_b128 v[6:9], v1 offset:912
	v_add_f32_e32 v32, v22, v168
	v_add_f32_e32 v23, v18, v165
	ds_load_b128 v[18:21], v1 offset:928
	v_add_f32_e32 v153, v23, v167
	ds_load_b128 v[22:25], v1 offset:944
	v_dual_add_f32 v1, v32, v170 :: v_dual_add_f32 v32, v153, v169
	s_delay_alu instid0(VALU_DEP_1)
	v_add_f32_e32 v32, v32, v171
	s_wait_loadcnt_dscnt 0x103
	v_dual_mul_f32 v26, v2, v11 :: v_dual_mul_f32 v27, v4, v13
	v_mul_f32_e32 v11, v3, v11
	v_mul_f32_e32 v13, v5, v13
	v_add_f32_e32 v32, v32, v173
	s_delay_alu instid0(VALU_DEP_4) | instskip(NEXT) | instid1(VALU_DEP_4)
	v_dual_fmac_f32 v26, v3, v10 :: v_dual_fmac_f32 v27, v5, v12
	v_fma_f32 v28, v2, v10, -v11
	s_delay_alu instid0(VALU_DEP_3) | instskip(NEXT) | instid1(VALU_DEP_1)
	v_add_f32_e32 v32, v32, v175
	v_add_f32_e32 v26, v32, v26
	s_wait_loadcnt_dscnt 0x0
	v_mul_f32_e32 v158, v22, v15
	v_fma_f32 v29, v4, v12, -v13
	s_clause 0x1
	scratch_load_b128 v[2:5], off, off offset:432
	scratch_load_b128 v[10:13], off, off offset:448
	s_wait_loadcnt 0x1
	v_dual_fmac_f32 v158, v23, v14 :: v_dual_mul_f32 v153, v6, v3
	v_dual_mul_f32 v3, v7, v3 :: v_dual_mul_f32 v154, v8, v5
	s_wait_loadcnt 0x0
	v_dual_mul_f32 v156, v18, v11 :: v_dual_mul_f32 v5, v9, v5
	s_delay_alu instid0(VALU_DEP_3) | instskip(NEXT) | instid1(VALU_DEP_3)
	v_fmac_f32_e32 v153, v7, v2
	v_fma_f32 v3, v6, v2, -v3
	v_mul_f32_e32 v6, v19, v11
	v_add_f32_e32 v2, v26, v27
	v_fmac_f32_e32 v154, v9, v4
	v_fmac_f32_e32 v156, v19, v10
	v_fma_f32 v4, v8, v4, -v5
	v_fma_f32 v5, v18, v10, -v6
	v_add_f32_e32 v2, v2, v153
	s_delay_alu instid0(VALU_DEP_1) | instskip(NEXT) | instid1(VALU_DEP_1)
	v_dual_add_f32 v2, v2, v154 :: v_dual_mul_f32 v157, v20, v13
	v_add_f32_e32 v2, v2, v156
	s_delay_alu instid0(VALU_DEP_2) | instskip(NEXT) | instid1(VALU_DEP_1)
	v_fmac_f32_e32 v157, v21, v12
	v_dual_add_f32 v1, v1, v172 :: v_dual_add_f32 v2, v2, v157
	s_delay_alu instid0(VALU_DEP_1) | instskip(NEXT) | instid1(VALU_DEP_2)
	v_add_f32_e32 v2, v2, v158
	v_add_f32_e32 v1, v1, v174
	s_delay_alu instid0(VALU_DEP_1) | instskip(NEXT) | instid1(VALU_DEP_1)
	v_add_f32_e32 v1, v1, v176
	v_dual_add_f32 v1, v1, v28 :: v_dual_mul_f32 v28, v24, v17
	s_delay_alu instid0(VALU_DEP_1) | instskip(NEXT) | instid1(VALU_DEP_2)
	v_add_f32_e32 v1, v1, v29
	v_fmac_f32_e32 v28, v25, v16
	s_delay_alu instid0(VALU_DEP_2) | instskip(NEXT) | instid1(VALU_DEP_2)
	v_add_f32_e32 v1, v1, v3
	v_dual_mul_f32 v3, v21, v13 :: v_dual_add_f32 v2, v2, v28
	s_delay_alu instid0(VALU_DEP_2) | instskip(NEXT) | instid1(VALU_DEP_2)
	v_dual_add_f32 v1, v1, v4 :: v_dual_mul_f32 v4, v23, v15
	v_fma_f32 v3, v20, v12, -v3
	s_delay_alu instid0(VALU_DEP_2) | instskip(SKIP_1) | instid1(VALU_DEP_4)
	v_dual_sub_f32 v2, v31, v2 :: v_dual_add_f32 v1, v1, v5
	v_mul_f32_e32 v5, v25, v17
	v_fma_f32 v4, v22, v14, -v4
	s_delay_alu instid0(VALU_DEP_3) | instskip(NEXT) | instid1(VALU_DEP_3)
	v_add_f32_e32 v1, v1, v3
	v_fma_f32 v3, v24, v16, -v5
	s_delay_alu instid0(VALU_DEP_2) | instskip(NEXT) | instid1(VALU_DEP_1)
	v_add_f32_e32 v1, v1, v4
	v_add_f32_e32 v1, v1, v3
	s_delay_alu instid0(VALU_DEP_1)
	v_sub_f32_e32 v1, v30, v1
	scratch_store_b64 off, v[1:2], off offset:248
	v_cmpx_lt_u32_e32 30, v0
	s_cbranch_execz .LBB123_313
; %bb.312:
	scratch_load_b64 v[1:2], off, off offset:240
	v_mov_b32_e32 v3, 0
	s_delay_alu instid0(VALU_DEP_1)
	v_mov_b32_e32 v4, v3
	scratch_store_b64 off, v[3:4], off offset:240
	s_wait_loadcnt 0x0
	ds_store_b64 v155, v[1:2]
.LBB123_313:
	s_wait_alu 0xfffe
	s_or_b32 exec_lo, exec_lo, s0
	s_wait_storecnt_dscnt 0x0
	s_barrier_signal -1
	s_barrier_wait -1
	global_inv scope:SCOPE_SE
	s_clause 0x4
	scratch_load_b128 v[2:5], off, off offset:248
	scratch_load_b128 v[6:9], off, off offset:264
	;; [unrolled: 1-line block ×5, first 2 shown]
	v_mov_b32_e32 v1, 0
	ds_load_2addr_b64 v[22:25], v1 offset0:91 offset1:92
	ds_load_2addr_b64 v[26:29], v1 offset0:93 offset1:94
	;; [unrolled: 1-line block ×3, first 2 shown]
	scratch_load_b64 v[30:31], off, off offset:240
	s_mov_b32 s0, exec_lo
	s_wait_loadcnt_dscnt 0x502
	v_mul_f32_e32 v32, v23, v3
	v_dual_mul_f32 v153, v22, v3 :: v_dual_mul_f32 v154, v24, v5
	v_mul_f32_e32 v3, v25, v5
	s_wait_loadcnt_dscnt 0x300
	v_mul_f32_e32 v160, v158, v13
	v_fma_f32 v22, v22, v2, -v32
	v_dual_fmac_f32 v153, v23, v2 :: v_dual_fmac_f32 v154, v25, v4
	v_fma_f32 v23, v24, v4, -v3
	ds_load_2addr_b64 v[2:5], v1 offset0:97 offset1:98
	v_mul_f32_e32 v24, v26, v7
	v_mul_f32_e32 v7, v27, v7
	;; [unrolled: 1-line block ×3, first 2 shown]
	v_dual_mul_f32 v9, v29, v9 :: v_dual_mul_f32 v32, v156, v11
	v_dual_mul_f32 v11, v157, v11 :: v_dual_fmac_f32 v160, v159, v12
	v_mul_f32_e32 v13, v159, v13
	s_delay_alu instid0(VALU_DEP_4) | instskip(NEXT) | instid1(VALU_DEP_4)
	v_dual_fmac_f32 v24, v27, v6 :: v_dual_fmac_f32 v25, v29, v8
	v_fma_f32 v27, v28, v8, -v9
	v_fmac_f32_e32 v32, v157, v10
	v_fma_f32 v28, v156, v10, -v11
	v_fma_f32 v29, v158, v12, -v13
	ds_load_2addr_b64 v[10:13], v1 offset0:99 offset1:100
	v_fma_f32 v26, v26, v6, -v7
	scratch_load_b128 v[6:9], off, off offset:328
	s_wait_loadcnt_dscnt 0x301
	v_mul_f32_e32 v156, v2, v15
	v_mul_f32_e32 v15, v3, v15
	;; [unrolled: 1-line block ×3, first 2 shown]
	s_delay_alu instid0(VALU_DEP_3) | instskip(NEXT) | instid1(VALU_DEP_3)
	v_dual_mul_f32 v17, v5, v17 :: v_dual_fmac_f32 v156, v3, v14
	v_fma_f32 v14, v2, v14, -v15
	s_delay_alu instid0(VALU_DEP_3) | instskip(NEXT) | instid1(VALU_DEP_3)
	v_fmac_f32_e32 v157, v5, v16
	v_fma_f32 v15, v4, v16, -v17
	ds_load_2addr_b64 v[2:5], v1 offset0:101 offset1:102
	s_wait_loadcnt_dscnt 0x201
	v_mul_f32_e32 v16, v10, v19
	v_mul_f32_e32 v17, v11, v19
	;; [unrolled: 1-line block ×3, first 2 shown]
	s_delay_alu instid0(VALU_DEP_3) | instskip(NEXT) | instid1(VALU_DEP_3)
	v_dual_mul_f32 v21, v13, v21 :: v_dual_fmac_f32 v16, v11, v18
	v_fma_f32 v17, v10, v18, -v17
	s_delay_alu instid0(VALU_DEP_3) | instskip(NEXT) | instid1(VALU_DEP_3)
	v_fmac_f32_e32 v19, v13, v20
	v_fma_f32 v18, v12, v20, -v21
	scratch_load_b128 v[10:13], off, off offset:344
	s_wait_loadcnt_dscnt 0x100
	v_mul_f32_e32 v20, v2, v7
	v_mul_f32_e32 v7, v3, v7
	;; [unrolled: 1-line block ×3, first 2 shown]
	s_delay_alu instid0(VALU_DEP_3) | instskip(NEXT) | instid1(VALU_DEP_3)
	v_dual_mul_f32 v9, v5, v9 :: v_dual_fmac_f32 v20, v3, v6
	v_fma_f32 v158, v2, v6, -v7
	s_delay_alu instid0(VALU_DEP_3) | instskip(NEXT) | instid1(VALU_DEP_3)
	v_fmac_f32_e32 v21, v5, v8
	v_fma_f32 v159, v4, v8, -v9
	ds_load_2addr_b64 v[2:5], v1 offset0:103 offset1:104
	ds_load_2addr_b64 v[6:9], v1 offset0:105 offset1:106
	s_wait_loadcnt_dscnt 0x1
	v_mul_f32_e32 v161, v2, v11
	v_dual_mul_f32 v11, v3, v11 :: v_dual_mul_f32 v162, v4, v13
	s_delay_alu instid0(VALU_DEP_2) | instskip(NEXT) | instid1(VALU_DEP_2)
	v_fmac_f32_e32 v161, v3, v10
	v_fma_f32 v163, v2, v10, -v11
	v_mul_f32_e32 v2, v5, v13
	s_delay_alu instid0(VALU_DEP_4) | instskip(NEXT) | instid1(VALU_DEP_2)
	v_fmac_f32_e32 v162, v5, v12
	v_fma_f32 v164, v4, v12, -v2
	s_clause 0x1
	scratch_load_b128 v[2:5], off, off offset:360
	scratch_load_b128 v[10:13], off, off offset:376
	s_wait_loadcnt_dscnt 0x100
	v_mul_f32_e32 v165, v6, v3
	v_mul_f32_e32 v3, v7, v3
	;; [unrolled: 1-line block ×3, first 2 shown]
	s_delay_alu instid0(VALU_DEP_3) | instskip(NEXT) | instid1(VALU_DEP_3)
	v_fmac_f32_e32 v165, v7, v2
	v_fma_f32 v166, v6, v2, -v3
	v_mul_f32_e32 v2, v9, v5
	s_delay_alu instid0(VALU_DEP_4) | instskip(NEXT) | instid1(VALU_DEP_2)
	v_fmac_f32_e32 v167, v9, v4
	v_fma_f32 v168, v8, v4, -v2
	ds_load_2addr_b64 v[2:5], v1 offset0:107 offset1:108
	ds_load_2addr_b64 v[6:9], v1 offset0:109 offset1:110
	s_wait_loadcnt_dscnt 0x1
	v_mul_f32_e32 v169, v2, v11
	v_mul_f32_e32 v171, v4, v13
	s_delay_alu instid0(VALU_DEP_2) | instskip(SKIP_1) | instid1(VALU_DEP_3)
	v_fmac_f32_e32 v169, v3, v10
	v_mul_f32_e32 v3, v3, v11
	v_fmac_f32_e32 v171, v5, v12
	s_delay_alu instid0(VALU_DEP_2) | instskip(SKIP_1) | instid1(VALU_DEP_1)
	v_fma_f32 v170, v2, v10, -v3
	v_mul_f32_e32 v2, v5, v13
	v_fma_f32 v172, v4, v12, -v2
	s_clause 0x1
	scratch_load_b128 v[2:5], off, off offset:392
	scratch_load_b128 v[10:13], off, off offset:408
	s_wait_loadcnt_dscnt 0x100
	v_mul_f32_e32 v173, v6, v3
	v_mul_f32_e32 v3, v7, v3
	s_delay_alu instid0(VALU_DEP_2) | instskip(NEXT) | instid1(VALU_DEP_2)
	v_fmac_f32_e32 v173, v7, v2
	v_fma_f32 v174, v6, v2, -v3
	v_mul_f32_e32 v2, v9, v5
	s_delay_alu instid0(VALU_DEP_1) | instskip(SKIP_1) | instid1(VALU_DEP_1)
	v_fma_f32 v176, v8, v4, -v2
	v_add_f32_e32 v2, 0, v22
	v_add_f32_e32 v2, v2, v23
	s_delay_alu instid0(VALU_DEP_1) | instskip(NEXT) | instid1(VALU_DEP_1)
	v_add_f32_e32 v2, v2, v26
	v_add_f32_e32 v2, v2, v27
	scratch_load_b64 v[26:27], off, off offset:472
	v_add_f32_e32 v2, v2, v28
	s_delay_alu instid0(VALU_DEP_1) | instskip(NEXT) | instid1(VALU_DEP_1)
	v_add_f32_e32 v7, v2, v29
	v_add_f32_e32 v7, v7, v14
	s_delay_alu instid0(VALU_DEP_1) | instskip(NEXT) | instid1(VALU_DEP_1)
	v_dual_add_f32 v14, v7, v15 :: v_dual_add_f32 v3, 0, v153
	v_dual_add_f32 v14, v14, v17 :: v_dual_add_f32 v3, v3, v154
	s_delay_alu instid0(VALU_DEP_1) | instskip(NEXT) | instid1(VALU_DEP_1)
	v_dual_add_f32 v14, v14, v18 :: v_dual_add_f32 v3, v3, v24
	v_dual_add_f32 v14, v14, v158 :: v_dual_add_f32 v3, v3, v25
	s_delay_alu instid0(VALU_DEP_1) | instskip(NEXT) | instid1(VALU_DEP_1)
	v_add_f32_e32 v6, v3, v32
	v_add_f32_e32 v6, v6, v160
	s_delay_alu instid0(VALU_DEP_1) | instskip(NEXT) | instid1(VALU_DEP_1)
	v_add_f32_e32 v6, v6, v156
	v_add_f32_e32 v15, v6, v157
	;; [unrolled: 3-line block ×4, first 2 shown]
	s_delay_alu instid0(VALU_DEP_1) | instskip(NEXT) | instid1(VALU_DEP_1)
	v_add_f32_e32 v18, v18, v161
	v_dual_mul_f32 v175, v8, v5 :: v_dual_add_f32 v18, v18, v162
	s_delay_alu instid0(VALU_DEP_1)
	v_fmac_f32_e32 v175, v9, v4
	ds_load_2addr_b64 v[2:5], v1 offset0:111 offset1:112
	ds_load_2addr_b64 v[6:9], v1 offset0:113 offset1:114
	v_add_f32_e32 v19, v14, v159
	scratch_load_b128 v[14:17], off, off offset:456
	v_dual_add_f32 v18, v18, v165 :: v_dual_add_f32 v19, v19, v163
	s_delay_alu instid0(VALU_DEP_1) | instskip(NEXT) | instid1(VALU_DEP_1)
	v_dual_add_f32 v22, v18, v167 :: v_dual_add_f32 v19, v19, v164
	v_add_f32_e32 v29, v22, v169
	ds_load_2addr_b64 v[22:25], v1 offset0:117 offset1:118
	v_dual_add_f32 v19, v19, v166 :: v_dual_add_f32 v158, v29, v171
	s_wait_loadcnt_dscnt 0x202
	s_delay_alu instid0(VALU_DEP_1) | instskip(NEXT) | instid1(VALU_DEP_2)
	v_dual_mul_f32 v32, v2, v11 :: v_dual_add_f32 v19, v19, v168
	v_add_f32_e32 v158, v158, v173
	s_delay_alu instid0(VALU_DEP_2) | instskip(NEXT) | instid1(VALU_DEP_3)
	v_fmac_f32_e32 v32, v3, v10
	v_add_f32_e32 v28, v19, v170
	ds_load_2addr_b64 v[18:21], v1 offset0:115 offset1:116
	v_add_f32_e32 v158, v158, v175
	v_mul_f32_e32 v11, v3, v11
	v_add_f32_e32 v157, v28, v172
	ds_load_b64 v[28:29], v1 offset:952
	v_add_f32_e32 v32, v158, v32
	v_fma_f32 v154, v2, v10, -v11
	v_add_f32_e32 v157, v157, v174
	s_delay_alu instid0(VALU_DEP_1) | instskip(NEXT) | instid1(VALU_DEP_1)
	v_add_f32_e32 v157, v157, v176
	v_dual_add_f32 v154, v157, v154 :: v_dual_mul_f32 v153, v4, v13
	v_mul_f32_e32 v13, v5, v13
	s_delay_alu instid0(VALU_DEP_1) | instskip(NEXT) | instid1(VALU_DEP_1)
	v_fma_f32 v156, v4, v12, -v13
	v_add_f32_e32 v154, v154, v156
	s_delay_alu instid0(VALU_DEP_4)
	v_fmac_f32_e32 v153, v5, v12
	s_clause 0x1
	scratch_load_b128 v[2:5], off, off offset:424
	scratch_load_b128 v[10:13], off, off offset:440
	s_wait_loadcnt_dscnt 0x202
	v_mul_f32_e32 v156, v24, v17
	v_dual_add_f32 v32, v32, v153 :: v_dual_mul_f32 v161, v22, v15
	s_delay_alu instid0(VALU_DEP_1)
	v_dual_fmac_f32 v156, v25, v16 :: v_dual_fmac_f32 v161, v23, v14
	s_wait_loadcnt 0x1
	v_mul_f32_e32 v159, v6, v3
	v_dual_mul_f32 v3, v7, v3 :: v_dual_mul_f32 v160, v8, v5
	v_mul_f32_e32 v5, v9, v5
	s_wait_loadcnt_dscnt 0x1
	v_mul_f32_e32 v157, v18, v11
	v_fmac_f32_e32 v159, v7, v2
	v_fma_f32 v3, v6, v2, -v3
	v_fmac_f32_e32 v160, v9, v4
	v_fma_f32 v2, v8, v4, -v5
	v_mul_f32_e32 v4, v19, v11
	v_add_f32_e32 v5, v32, v159
	v_dual_add_f32 v3, v154, v3 :: v_dual_mul_f32 v6, v21, v13
	v_mul_f32_e32 v158, v20, v13
	s_delay_alu instid0(VALU_DEP_4) | instskip(SKIP_1) | instid1(VALU_DEP_4)
	v_fma_f32 v4, v18, v10, -v4
	v_fmac_f32_e32 v157, v19, v10
	v_dual_add_f32 v2, v3, v2 :: v_dual_add_f32 v3, v5, v160
	v_mul_f32_e32 v5, v23, v15
	v_fma_f32 v6, v20, v12, -v6
	v_fmac_f32_e32 v158, v21, v12
	s_delay_alu instid0(VALU_DEP_4) | instskip(SKIP_2) | instid1(VALU_DEP_3)
	v_dual_add_f32 v2, v2, v4 :: v_dual_add_f32 v3, v3, v157
	v_mul_f32_e32 v4, v25, v17
	v_fma_f32 v5, v22, v14, -v5
	v_add_f32_e32 v2, v2, v6
	s_wait_dscnt 0x0
	v_dual_add_f32 v3, v3, v158 :: v_dual_mul_f32 v6, v29, v27
	v_fma_f32 v4, v24, v16, -v4
	s_delay_alu instid0(VALU_DEP_3) | instskip(NEXT) | instid1(VALU_DEP_3)
	v_add_f32_e32 v2, v2, v5
	v_add_f32_e32 v3, v3, v161
	s_delay_alu instid0(VALU_DEP_4) | instskip(NEXT) | instid1(VALU_DEP_3)
	v_fma_f32 v5, v28, v26, -v6
	v_dual_add_f32 v2, v2, v4 :: v_dual_mul_f32 v153, v28, v27
	s_delay_alu instid0(VALU_DEP_1) | instskip(NEXT) | instid1(VALU_DEP_2)
	v_dual_add_f32 v3, v3, v156 :: v_dual_add_f32 v2, v2, v5
	v_fmac_f32_e32 v153, v29, v26
	s_delay_alu instid0(VALU_DEP_1) | instskip(NEXT) | instid1(VALU_DEP_1)
	v_dual_sub_f32 v2, v30, v2 :: v_dual_add_f32 v3, v3, v153
	v_sub_f32_e32 v3, v31, v3
	scratch_store_b64 off, v[2:3], off offset:240
	v_cmpx_lt_u32_e32 29, v0
	s_cbranch_execz .LBB123_315
; %bb.314:
	scratch_load_b64 v[3:4], off, off offset:232
	v_mov_b32_e32 v2, v1
	scratch_store_b64 off, v[1:2], off offset:232
	s_wait_loadcnt 0x0
	ds_store_b64 v155, v[3:4]
.LBB123_315:
	s_wait_alu 0xfffe
	s_or_b32 exec_lo, exec_lo, s0
	s_wait_storecnt_dscnt 0x0
	s_barrier_signal -1
	s_barrier_wait -1
	global_inv scope:SCOPE_SE
	s_clause 0x4
	scratch_load_b128 v[2:5], off, off offset:240
	scratch_load_b128 v[6:9], off, off offset:256
	;; [unrolled: 1-line block ×5, first 2 shown]
	ds_load_b128 v[22:25], v1 offset:720
	ds_load_b128 v[26:29], v1 offset:736
	;; [unrolled: 1-line block ×3, first 2 shown]
	scratch_load_b64 v[30:31], off, off offset:232
	s_mov_b32 s0, exec_lo
	s_wait_loadcnt_dscnt 0x502
	v_mul_f32_e32 v32, v23, v3
	v_dual_mul_f32 v153, v22, v3 :: v_dual_mul_f32 v154, v24, v5
	v_mul_f32_e32 v3, v25, v5
	s_wait_loadcnt_dscnt 0x300
	v_mul_f32_e32 v160, v158, v13
	v_fma_f32 v22, v22, v2, -v32
	v_dual_fmac_f32 v153, v23, v2 :: v_dual_fmac_f32 v154, v25, v4
	v_fma_f32 v23, v24, v4, -v3
	ds_load_b128 v[2:5], v1 offset:768
	v_dual_mul_f32 v24, v26, v7 :: v_dual_mul_f32 v25, v28, v9
	v_mul_f32_e32 v7, v27, v7
	v_dual_mul_f32 v9, v29, v9 :: v_dual_mul_f32 v32, v156, v11
	s_delay_alu instid0(VALU_DEP_3) | instskip(SKIP_2) | instid1(VALU_DEP_4)
	v_dual_mul_f32 v11, v157, v11 :: v_dual_fmac_f32 v24, v27, v6
	v_mul_f32_e32 v13, v159, v13
	v_fmac_f32_e32 v25, v29, v8
	v_fma_f32 v27, v28, v8, -v9
	v_fmac_f32_e32 v32, v157, v10
	v_fma_f32 v28, v156, v10, -v11
	;; [unrolled: 2-line block ×3, first 2 shown]
	ds_load_b128 v[10:13], v1 offset:784
	v_fma_f32 v26, v26, v6, -v7
	scratch_load_b128 v[6:9], off, off offset:320
	s_wait_loadcnt_dscnt 0x301
	v_mul_f32_e32 v156, v2, v15
	v_mul_f32_e32 v15, v3, v15
	v_mul_f32_e32 v157, v4, v17
	s_delay_alu instid0(VALU_DEP_3) | instskip(NEXT) | instid1(VALU_DEP_3)
	v_dual_mul_f32 v17, v5, v17 :: v_dual_fmac_f32 v156, v3, v14
	v_fma_f32 v14, v2, v14, -v15
	s_delay_alu instid0(VALU_DEP_3) | instskip(NEXT) | instid1(VALU_DEP_3)
	v_fmac_f32_e32 v157, v5, v16
	v_fma_f32 v15, v4, v16, -v17
	ds_load_b128 v[2:5], v1 offset:800
	s_wait_loadcnt_dscnt 0x201
	v_mul_f32_e32 v16, v10, v19
	v_mul_f32_e32 v17, v11, v19
	;; [unrolled: 1-line block ×3, first 2 shown]
	s_delay_alu instid0(VALU_DEP_3) | instskip(NEXT) | instid1(VALU_DEP_3)
	v_dual_mul_f32 v21, v13, v21 :: v_dual_fmac_f32 v16, v11, v18
	v_fma_f32 v17, v10, v18, -v17
	s_delay_alu instid0(VALU_DEP_3) | instskip(NEXT) | instid1(VALU_DEP_3)
	v_fmac_f32_e32 v19, v13, v20
	v_fma_f32 v18, v12, v20, -v21
	scratch_load_b128 v[10:13], off, off offset:336
	s_wait_loadcnt_dscnt 0x100
	v_mul_f32_e32 v20, v2, v7
	v_mul_f32_e32 v7, v3, v7
	;; [unrolled: 1-line block ×3, first 2 shown]
	s_delay_alu instid0(VALU_DEP_3) | instskip(NEXT) | instid1(VALU_DEP_3)
	v_dual_mul_f32 v9, v5, v9 :: v_dual_fmac_f32 v20, v3, v6
	v_fma_f32 v158, v2, v6, -v7
	s_delay_alu instid0(VALU_DEP_3) | instskip(NEXT) | instid1(VALU_DEP_3)
	v_fmac_f32_e32 v21, v5, v8
	v_fma_f32 v159, v4, v8, -v9
	ds_load_b128 v[2:5], v1 offset:816
	ds_load_b128 v[6:9], v1 offset:832
	s_wait_loadcnt_dscnt 0x1
	v_mul_f32_e32 v161, v2, v11
	v_dual_mul_f32 v11, v3, v11 :: v_dual_mul_f32 v162, v4, v13
	s_delay_alu instid0(VALU_DEP_2) | instskip(NEXT) | instid1(VALU_DEP_2)
	v_fmac_f32_e32 v161, v3, v10
	v_fma_f32 v163, v2, v10, -v11
	v_mul_f32_e32 v2, v5, v13
	s_delay_alu instid0(VALU_DEP_4) | instskip(NEXT) | instid1(VALU_DEP_2)
	v_fmac_f32_e32 v162, v5, v12
	v_fma_f32 v164, v4, v12, -v2
	s_clause 0x1
	scratch_load_b128 v[2:5], off, off offset:352
	scratch_load_b128 v[10:13], off, off offset:368
	s_wait_loadcnt_dscnt 0x100
	v_mul_f32_e32 v165, v6, v3
	v_mul_f32_e32 v3, v7, v3
	;; [unrolled: 1-line block ×3, first 2 shown]
	s_delay_alu instid0(VALU_DEP_3) | instskip(NEXT) | instid1(VALU_DEP_3)
	v_fmac_f32_e32 v165, v7, v2
	v_fma_f32 v166, v6, v2, -v3
	v_mul_f32_e32 v2, v9, v5
	s_delay_alu instid0(VALU_DEP_4) | instskip(NEXT) | instid1(VALU_DEP_2)
	v_fmac_f32_e32 v167, v9, v4
	v_fma_f32 v168, v8, v4, -v2
	ds_load_b128 v[2:5], v1 offset:848
	ds_load_b128 v[6:9], v1 offset:864
	s_wait_loadcnt_dscnt 0x1
	v_mul_f32_e32 v169, v2, v11
	v_mul_f32_e32 v171, v4, v13
	s_delay_alu instid0(VALU_DEP_2) | instskip(SKIP_1) | instid1(VALU_DEP_3)
	v_fmac_f32_e32 v169, v3, v10
	v_mul_f32_e32 v3, v3, v11
	v_fmac_f32_e32 v171, v5, v12
	s_delay_alu instid0(VALU_DEP_2) | instskip(SKIP_1) | instid1(VALU_DEP_1)
	v_fma_f32 v170, v2, v10, -v3
	v_mul_f32_e32 v2, v5, v13
	v_fma_f32 v172, v4, v12, -v2
	s_clause 0x1
	scratch_load_b128 v[2:5], off, off offset:384
	scratch_load_b128 v[10:13], off, off offset:400
	s_wait_loadcnt_dscnt 0x100
	v_mul_f32_e32 v173, v6, v3
	v_mul_f32_e32 v3, v7, v3
	s_delay_alu instid0(VALU_DEP_2) | instskip(NEXT) | instid1(VALU_DEP_2)
	v_fmac_f32_e32 v173, v7, v2
	v_fma_f32 v174, v6, v2, -v3
	v_mul_f32_e32 v2, v9, v5
	v_add_f32_e32 v3, 0, v153
	s_delay_alu instid0(VALU_DEP_2) | instskip(SKIP_1) | instid1(VALU_DEP_1)
	v_fma_f32 v176, v8, v4, -v2
	v_add_f32_e32 v2, 0, v22
	v_add_f32_e32 v2, v2, v23
	s_delay_alu instid0(VALU_DEP_1) | instskip(NEXT) | instid1(VALU_DEP_1)
	v_add_f32_e32 v2, v2, v26
	v_dual_add_f32 v2, v2, v27 :: v_dual_add_f32 v3, v3, v154
	s_delay_alu instid0(VALU_DEP_1) | instskip(NEXT) | instid1(VALU_DEP_1)
	v_add_f32_e32 v2, v2, v28
	v_dual_add_f32 v2, v2, v29 :: v_dual_add_f32 v3, v3, v24
	s_delay_alu instid0(VALU_DEP_1) | instskip(NEXT) | instid1(VALU_DEP_2)
	v_add_f32_e32 v7, v2, v14
	v_add_f32_e32 v3, v3, v25
	s_delay_alu instid0(VALU_DEP_2) | instskip(NEXT) | instid1(VALU_DEP_2)
	v_add_f32_e32 v15, v7, v15
	v_add_f32_e32 v3, v3, v32
	s_delay_alu instid0(VALU_DEP_2) | instskip(NEXT) | instid1(VALU_DEP_2)
	;; [unrolled: 3-line block ×5, first 2 shown]
	v_add_f32_e32 v18, v18, v159
	v_dual_add_f32 v14, v14, v16 :: v_dual_mul_f32 v175, v8, v5
	s_delay_alu instid0(VALU_DEP_2) | instskip(NEXT) | instid1(VALU_DEP_2)
	v_add_f32_e32 v18, v18, v163
	v_add_f32_e32 v19, v14, v19
	ds_load_b128 v[14:17], v1 offset:896
	v_add_f32_e32 v23, v18, v164
	v_add_f32_e32 v19, v19, v20
	s_delay_alu instid0(VALU_DEP_2) | instskip(NEXT) | instid1(VALU_DEP_2)
	v_add_f32_e32 v23, v23, v166
	v_add_f32_e32 v19, v19, v21
	v_fmac_f32_e32 v175, v9, v4
	scratch_load_b128 v[6:9], off, off offset:416
	ds_load_b128 v[2:5], v1 offset:880
	v_add_f32_e32 v23, v23, v168
	v_add_f32_e32 v22, v19, v161
	scratch_load_b128 v[18:21], off, off offset:464
	v_add_f32_e32 v22, v22, v162
	s_delay_alu instid0(VALU_DEP_1) | instskip(SKIP_4) | instid1(VALU_DEP_3)
	v_add_f32_e32 v22, v22, v165
	s_wait_loadcnt_dscnt 0x200
	v_mul_f32_e32 v26, v2, v11
	v_mul_f32_e32 v11, v3, v11
	;; [unrolled: 1-line block ×3, first 2 shown]
	v_dual_mul_f32 v13, v5, v13 :: v_dual_fmac_f32 v26, v3, v10
	s_delay_alu instid0(VALU_DEP_3) | instskip(NEXT) | instid1(VALU_DEP_3)
	v_fma_f32 v28, v2, v10, -v11
	v_fmac_f32_e32 v27, v5, v12
	s_delay_alu instid0(VALU_DEP_3)
	v_fma_f32 v29, v4, v12, -v13
	s_clause 0x1
	scratch_load_b128 v[2:5], off, off offset:432
	scratch_load_b128 v[10:13], off, off offset:448
	s_wait_loadcnt 0x3
	v_mul_f32_e32 v32, v14, v7
	v_mul_f32_e32 v7, v15, v7
	s_delay_alu instid0(VALU_DEP_2) | instskip(NEXT) | instid1(VALU_DEP_2)
	v_fmac_f32_e32 v32, v15, v6
	v_fma_f32 v154, v14, v6, -v7
	v_add_f32_e32 v14, v22, v167
	s_delay_alu instid0(VALU_DEP_1) | instskip(NEXT) | instid1(VALU_DEP_1)
	v_dual_add_f32 v22, v23, v170 :: v_dual_add_f32 v23, v14, v169
	v_dual_add_f32 v157, v22, v172 :: v_dual_add_f32 v158, v23, v171
	ds_load_b128 v[22:25], v1 offset:944
	v_mul_f32_e32 v153, v16, v9
	v_mul_f32_e32 v9, v17, v9
	s_delay_alu instid0(VALU_DEP_2) | instskip(NEXT) | instid1(VALU_DEP_2)
	v_fmac_f32_e32 v153, v17, v8
	v_fma_f32 v156, v16, v8, -v9
	ds_load_b128 v[6:9], v1 offset:912
	ds_load_b128 v[14:17], v1 offset:928
	v_add_f32_e32 v1, v157, v174
	v_add_f32_e32 v157, v158, v173
	s_delay_alu instid0(VALU_DEP_2) | instskip(NEXT) | instid1(VALU_DEP_2)
	v_add_f32_e32 v1, v1, v176
	v_add_f32_e32 v157, v157, v175
	s_delay_alu instid0(VALU_DEP_2) | instskip(NEXT) | instid1(VALU_DEP_2)
	v_add_f32_e32 v1, v1, v28
	v_add_f32_e32 v26, v157, v26
	s_delay_alu instid0(VALU_DEP_2) | instskip(SKIP_3) | instid1(VALU_DEP_3)
	v_add_f32_e32 v1, v1, v29
	s_wait_loadcnt_dscnt 0x101
	v_dual_mul_f32 v29, v24, v21 :: v_dual_mul_f32 v158, v6, v3
	v_mul_f32_e32 v3, v7, v3
	v_dual_add_f32 v1, v1, v154 :: v_dual_mul_f32 v28, v8, v5
	s_delay_alu instid0(VALU_DEP_3) | instskip(NEXT) | instid1(VALU_DEP_3)
	v_dual_mul_f32 v5, v9, v5 :: v_dual_fmac_f32 v158, v7, v2
	v_fma_f32 v3, v6, v2, -v3
	s_wait_loadcnt_dscnt 0x0
	v_mul_f32_e32 v6, v15, v11
	v_dual_add_f32 v26, v26, v27 :: v_dual_add_f32 v1, v1, v156
	v_dual_mul_f32 v157, v14, v11 :: v_dual_fmac_f32 v28, v9, v4
	v_fma_f32 v4, v8, v4, -v5
	s_delay_alu instid0(VALU_DEP_3) | instskip(SKIP_2) | instid1(VALU_DEP_3)
	v_dual_add_f32 v26, v26, v32 :: v_dual_add_f32 v1, v1, v3
	v_mul_f32_e32 v159, v16, v13
	v_mul_f32_e32 v3, v17, v13
	v_dual_fmac_f32 v157, v15, v10 :: v_dual_add_f32 v2, v26, v153
	v_fma_f32 v5, v14, v10, -v6
	v_add_f32_e32 v1, v1, v4
	v_mul_f32_e32 v27, v22, v19
	v_mul_f32_e32 v4, v23, v19
	v_dual_add_f32 v2, v2, v158 :: v_dual_fmac_f32 v159, v17, v12
	v_fma_f32 v3, v16, v12, -v3
	v_add_f32_e32 v1, v1, v5
	s_delay_alu instid0(VALU_DEP_3) | instskip(SKIP_2) | instid1(VALU_DEP_4)
	v_dual_mul_f32 v5, v25, v21 :: v_dual_add_f32 v2, v2, v28
	v_fmac_f32_e32 v27, v23, v18
	v_fma_f32 v4, v22, v18, -v4
	v_add_f32_e32 v1, v1, v3
	s_delay_alu instid0(VALU_DEP_4) | instskip(SKIP_1) | instid1(VALU_DEP_2)
	v_dual_fmac_f32 v29, v25, v20 :: v_dual_add_f32 v2, v2, v157
	v_fma_f32 v3, v24, v20, -v5
	v_dual_add_f32 v1, v1, v4 :: v_dual_add_f32 v2, v2, v159
	s_delay_alu instid0(VALU_DEP_1) | instskip(NEXT) | instid1(VALU_DEP_2)
	v_add_f32_e32 v1, v1, v3
	v_add_f32_e32 v2, v2, v27
	s_delay_alu instid0(VALU_DEP_2) | instskip(NEXT) | instid1(VALU_DEP_2)
	v_sub_f32_e32 v1, v30, v1
	v_add_f32_e32 v2, v2, v29
	s_delay_alu instid0(VALU_DEP_1)
	v_sub_f32_e32 v2, v31, v2
	scratch_store_b64 off, v[1:2], off offset:232
	v_cmpx_lt_u32_e32 28, v0
	s_cbranch_execz .LBB123_317
; %bb.316:
	scratch_load_b64 v[1:2], off, off offset:224
	v_mov_b32_e32 v3, 0
	s_delay_alu instid0(VALU_DEP_1)
	v_mov_b32_e32 v4, v3
	scratch_store_b64 off, v[3:4], off offset:224
	s_wait_loadcnt 0x0
	ds_store_b64 v155, v[1:2]
.LBB123_317:
	s_wait_alu 0xfffe
	s_or_b32 exec_lo, exec_lo, s0
	s_wait_storecnt_dscnt 0x0
	s_barrier_signal -1
	s_barrier_wait -1
	global_inv scope:SCOPE_SE
	s_clause 0x4
	scratch_load_b128 v[5:8], off, off offset:232
	scratch_load_b128 v[1:4], off, off offset:248
	;; [unrolled: 1-line block ×5, first 2 shown]
	v_mov_b32_e32 v21, 0
	ds_load_2addr_b64 v[22:25], v21 offset0:89 offset1:90
	ds_load_2addr_b64 v[26:29], v21 offset0:91 offset1:92
	;; [unrolled: 1-line block ×3, first 2 shown]
	scratch_load_b64 v[30:31], off, off offset:224
	s_mov_b32 s0, exec_lo
	s_wait_loadcnt_dscnt 0x502
	v_mul_f32_e32 v32, v23, v6
	v_dual_mul_f32 v153, v22, v6 :: v_dual_mul_f32 v154, v24, v8
	v_mul_f32_e32 v6, v25, v8
	s_wait_loadcnt_dscnt 0x300
	v_mul_f32_e32 v160, v158, v12
	v_fma_f32 v22, v22, v5, -v32
	v_dual_fmac_f32 v153, v23, v5 :: v_dual_fmac_f32 v154, v25, v7
	v_mul_f32_e32 v25, v28, v4
	v_fma_f32 v23, v24, v7, -v6
	ds_load_2addr_b64 v[5:8], v21 offset0:95 offset1:96
	v_mul_f32_e32 v24, v26, v2
	v_mul_f32_e32 v4, v29, v4
	v_mul_f32_e32 v32, v156, v10
	v_mul_f32_e32 v10, v157, v10
	v_mul_f32_e32 v12, v159, v12
	v_dual_mul_f32 v2, v27, v2 :: v_dual_fmac_f32 v25, v29, v3
	v_fmac_f32_e32 v24, v27, v1
	v_fma_f32 v27, v28, v3, -v4
	v_fmac_f32_e32 v32, v157, v9
	v_fma_f32 v28, v156, v9, -v10
	;; [unrolled: 2-line block ×3, first 2 shown]
	ds_load_2addr_b64 v[9:12], v21 offset0:97 offset1:98
	s_wait_loadcnt_dscnt 0x201
	v_dual_mul_f32 v157, v7, v16 :: v_dual_mul_f32 v156, v5, v14
	v_mul_f32_e32 v14, v6, v14
	v_mul_f32_e32 v16, v8, v16
	s_delay_alu instid0(VALU_DEP_3)
	v_fmac_f32_e32 v157, v8, v15
	v_fma_f32 v26, v26, v1, -v2
	scratch_load_b128 v[1:4], off, off offset:312
	v_fmac_f32_e32 v156, v6, v13
	v_fma_f32 v13, v5, v13, -v14
	v_fma_f32 v14, v7, v15, -v16
	ds_load_2addr_b64 v[5:8], v21 offset0:99 offset1:100
	s_wait_loadcnt_dscnt 0x201
	v_mul_f32_e32 v15, v9, v18
	v_mul_f32_e32 v16, v10, v18
	;; [unrolled: 1-line block ×3, first 2 shown]
	s_delay_alu instid0(VALU_DEP_3) | instskip(NEXT) | instid1(VALU_DEP_3)
	v_dual_mul_f32 v20, v12, v20 :: v_dual_fmac_f32 v15, v10, v17
	v_fma_f32 v16, v9, v17, -v16
	s_delay_alu instid0(VALU_DEP_3) | instskip(NEXT) | instid1(VALU_DEP_3)
	v_fmac_f32_e32 v18, v12, v19
	v_fma_f32 v17, v11, v19, -v20
	scratch_load_b128 v[9:12], off, off offset:328
	s_wait_loadcnt_dscnt 0x100
	v_mul_f32_e32 v19, v5, v2
	v_mul_f32_e32 v2, v6, v2
	;; [unrolled: 1-line block ×3, first 2 shown]
	s_delay_alu instid0(VALU_DEP_3) | instskip(NEXT) | instid1(VALU_DEP_3)
	v_dual_mul_f32 v4, v8, v4 :: v_dual_fmac_f32 v19, v6, v1
	v_fma_f32 v158, v5, v1, -v2
	s_delay_alu instid0(VALU_DEP_3) | instskip(NEXT) | instid1(VALU_DEP_3)
	v_fmac_f32_e32 v20, v8, v3
	v_fma_f32 v159, v7, v3, -v4
	ds_load_2addr_b64 v[1:4], v21 offset0:101 offset1:102
	ds_load_2addr_b64 v[5:8], v21 offset0:103 offset1:104
	s_wait_loadcnt_dscnt 0x1
	v_mul_f32_e32 v161, v1, v10
	v_mul_f32_e32 v10, v2, v10
	s_delay_alu instid0(VALU_DEP_2) | instskip(NEXT) | instid1(VALU_DEP_2)
	v_dual_mul_f32 v162, v3, v12 :: v_dual_fmac_f32 v161, v2, v9
	v_fma_f32 v163, v1, v9, -v10
	v_mul_f32_e32 v1, v4, v12
	s_delay_alu instid0(VALU_DEP_3) | instskip(NEXT) | instid1(VALU_DEP_2)
	v_fmac_f32_e32 v162, v4, v11
	v_fma_f32 v164, v3, v11, -v1
	s_clause 0x1
	scratch_load_b128 v[1:4], off, off offset:344
	scratch_load_b128 v[9:12], off, off offset:360
	s_wait_loadcnt_dscnt 0x100
	v_mul_f32_e32 v165, v5, v2
	v_dual_mul_f32 v2, v6, v2 :: v_dual_mul_f32 v167, v7, v4
	s_delay_alu instid0(VALU_DEP_2) | instskip(NEXT) | instid1(VALU_DEP_2)
	v_fmac_f32_e32 v165, v6, v1
	v_fma_f32 v166, v5, v1, -v2
	v_mul_f32_e32 v1, v8, v4
	s_delay_alu instid0(VALU_DEP_4) | instskip(NEXT) | instid1(VALU_DEP_2)
	v_fmac_f32_e32 v167, v8, v3
	v_fma_f32 v168, v7, v3, -v1
	ds_load_2addr_b64 v[1:4], v21 offset0:105 offset1:106
	ds_load_2addr_b64 v[5:8], v21 offset0:107 offset1:108
	s_wait_loadcnt_dscnt 0x1
	v_mul_f32_e32 v169, v1, v10
	v_mul_f32_e32 v171, v3, v12
	s_delay_alu instid0(VALU_DEP_2) | instskip(NEXT) | instid1(VALU_DEP_2)
	v_fmac_f32_e32 v169, v2, v9
	v_dual_mul_f32 v2, v2, v10 :: v_dual_fmac_f32 v171, v4, v11
	s_delay_alu instid0(VALU_DEP_1) | instskip(SKIP_1) | instid1(VALU_DEP_1)
	v_fma_f32 v170, v1, v9, -v2
	v_mul_f32_e32 v1, v4, v12
	v_fma_f32 v172, v3, v11, -v1
	s_clause 0x1
	scratch_load_b128 v[1:4], off, off offset:376
	scratch_load_b128 v[9:12], off, off offset:392
	s_wait_loadcnt_dscnt 0x100
	v_mul_f32_e32 v173, v5, v2
	v_dual_mul_f32 v2, v6, v2 :: v_dual_mul_f32 v175, v7, v4
	s_delay_alu instid0(VALU_DEP_2) | instskip(NEXT) | instid1(VALU_DEP_2)
	v_fmac_f32_e32 v173, v6, v1
	v_fma_f32 v174, v5, v1, -v2
	v_mul_f32_e32 v1, v8, v4
	s_delay_alu instid0(VALU_DEP_4) | instskip(NEXT) | instid1(VALU_DEP_2)
	v_fmac_f32_e32 v175, v8, v3
	v_fma_f32 v176, v7, v3, -v1
	v_add_f32_e32 v1, 0, v22
	s_delay_alu instid0(VALU_DEP_1) | instskip(NEXT) | instid1(VALU_DEP_1)
	v_dual_add_f32 v1, v1, v23 :: v_dual_add_f32 v2, 0, v153
	v_add_f32_e32 v1, v1, v26
	s_delay_alu instid0(VALU_DEP_1) | instskip(SKIP_2) | instid1(VALU_DEP_1)
	v_dual_add_f32 v1, v1, v27 :: v_dual_add_f32 v2, v2, v154
	scratch_load_b64 v[26:27], off, off offset:472
	v_add_f32_e32 v1, v1, v28
	v_dual_add_f32 v2, v2, v24 :: v_dual_add_f32 v1, v1, v29
	s_delay_alu instid0(VALU_DEP_1) | instskip(NEXT) | instid1(VALU_DEP_2)
	v_add_f32_e32 v2, v2, v25
	v_add_f32_e32 v6, v1, v13
	s_delay_alu instid0(VALU_DEP_2) | instskip(NEXT) | instid1(VALU_DEP_1)
	v_add_f32_e32 v2, v2, v32
	v_add_f32_e32 v5, v2, v160
	scratch_load_b128 v[1:4], off, off offset:408
	v_add_f32_e32 v13, v5, v156
	s_delay_alu instid0(VALU_DEP_1) | instskip(SKIP_2) | instid1(VALU_DEP_1)
	v_dual_add_f32 v13, v13, v157 :: v_dual_add_f32 v14, v6, v14
	ds_load_2addr_b64 v[5:8], v21 offset0:109 offset1:110
	v_dual_add_f32 v13, v13, v15 :: v_dual_add_f32 v14, v14, v16
	v_dual_add_f32 v18, v13, v18 :: v_dual_add_f32 v17, v14, v17
	ds_load_2addr_b64 v[13:16], v21 offset0:111 offset1:112
	v_add_f32_e32 v17, v17, v158
	s_delay_alu instid0(VALU_DEP_1) | instskip(SKIP_3) | instid1(VALU_DEP_3)
	v_add_f32_e32 v17, v17, v159
	s_wait_loadcnt_dscnt 0x201
	v_dual_mul_f32 v32, v5, v10 :: v_dual_mul_f32 v153, v7, v12
	v_mul_f32_e32 v10, v6, v10
	v_dual_mul_f32 v12, v8, v12 :: v_dual_add_f32 v17, v17, v163
	s_delay_alu instid0(VALU_DEP_3) | instskip(NEXT) | instid1(VALU_DEP_3)
	v_dual_fmac_f32 v32, v6, v9 :: v_dual_fmac_f32 v153, v8, v11
	v_fma_f32 v154, v5, v9, -v10
	s_delay_alu instid0(VALU_DEP_3) | instskip(SKIP_4) | instid1(VALU_DEP_1)
	v_fma_f32 v156, v7, v11, -v12
	scratch_load_b128 v[5:8], off, off offset:424
	v_dual_add_f32 v18, v18, v19 :: v_dual_add_f32 v23, v17, v164
	scratch_load_b128 v[9:12], off, off offset:440
	v_dual_add_f32 v18, v18, v20 :: v_dual_add_f32 v23, v23, v166
	v_dual_add_f32 v22, v18, v161 :: v_dual_add_f32 v23, v23, v168
	scratch_load_b128 v[17:20], off, off offset:456
	v_add_f32_e32 v23, v23, v170
	s_wait_loadcnt_dscnt 0x300
	v_mul_f32_e32 v157, v13, v2
	v_mul_f32_e32 v2, v14, v2
	;; [unrolled: 1-line block ×3, first 2 shown]
	s_delay_alu instid0(VALU_DEP_3) | instskip(SKIP_1) | instid1(VALU_DEP_4)
	v_dual_mul_f32 v4, v16, v4 :: v_dual_fmac_f32 v157, v14, v1
	v_add_f32_e32 v14, v23, v172
	v_fma_f32 v159, v13, v1, -v2
	s_delay_alu instid0(VALU_DEP_4) | instskip(NEXT) | instid1(VALU_DEP_4)
	v_fmac_f32_e32 v158, v16, v3
	v_fma_f32 v160, v15, v3, -v4
	ds_load_2addr_b64 v[1:4], v21 offset0:113 offset1:114
	v_add_f32_e32 v28, v14, v174
	s_delay_alu instid0(VALU_DEP_1) | instskip(NEXT) | instid1(VALU_DEP_1)
	v_dual_add_f32 v22, v22, v162 :: v_dual_add_f32 v161, v28, v176
	v_add_f32_e32 v22, v22, v165
	s_delay_alu instid0(VALU_DEP_1) | instskip(NEXT) | instid1(VALU_DEP_1)
	v_add_f32_e32 v22, v22, v167
	v_add_f32_e32 v13, v22, v169
	s_delay_alu instid0(VALU_DEP_1)
	v_add_f32_e32 v22, v13, v171
	ds_load_2addr_b64 v[13:16], v21 offset0:115 offset1:116
	v_dual_add_f32 v154, v161, v154 :: v_dual_add_f32 v29, v22, v173
	ds_load_2addr_b64 v[22:25], v21 offset0:117 offset1:118
	s_wait_loadcnt_dscnt 0x202
	v_mul_f32_e32 v161, v1, v6
	v_mul_f32_e32 v6, v2, v6
	v_add_f32_e32 v162, v29, v175
	ds_load_b64 v[28:29], v21 offset:952
	v_fmac_f32_e32 v161, v2, v5
	v_add_f32_e32 v154, v154, v156
	v_fma_f32 v1, v1, v5, -v6
	s_wait_loadcnt_dscnt 0x102
	s_delay_alu instid0(VALU_DEP_2) | instskip(SKIP_2) | instid1(VALU_DEP_2)
	v_dual_add_f32 v154, v154, v159 :: v_dual_mul_f32 v5, v16, v12
	s_wait_loadcnt_dscnt 0x1
	v_mul_f32_e32 v159, v22, v18
	v_add_f32_e32 v154, v154, v160
	s_delay_alu instid0(VALU_DEP_3) | instskip(NEXT) | instid1(VALU_DEP_3)
	v_fma_f32 v5, v15, v11, -v5
	v_dual_fmac_f32 v159, v23, v17 :: v_dual_mul_f32 v156, v13, v10
	s_delay_alu instid0(VALU_DEP_3) | instskip(SKIP_1) | instid1(VALU_DEP_3)
	v_add_f32_e32 v1, v154, v1
	v_add_f32_e32 v32, v162, v32
	v_fmac_f32_e32 v156, v14, v9
	s_delay_alu instid0(VALU_DEP_2) | instskip(SKIP_1) | instid1(VALU_DEP_2)
	v_dual_add_f32 v32, v32, v153 :: v_dual_mul_f32 v153, v3, v8
	v_mul_f32_e32 v8, v4, v8
	v_fmac_f32_e32 v153, v4, v7
	s_delay_alu instid0(VALU_DEP_2) | instskip(NEXT) | instid1(VALU_DEP_4)
	v_fma_f32 v2, v3, v7, -v8
	v_dual_mul_f32 v3, v14, v10 :: v_dual_add_f32 v32, v32, v157
	v_mul_f32_e32 v157, v15, v12
	s_delay_alu instid0(VALU_DEP_3) | instskip(NEXT) | instid1(VALU_DEP_3)
	v_add_f32_e32 v1, v1, v2
	v_fma_f32 v3, v13, v9, -v3
	s_delay_alu instid0(VALU_DEP_3) | instskip(NEXT) | instid1(VALU_DEP_2)
	v_fmac_f32_e32 v157, v16, v11
	v_dual_add_f32 v1, v1, v3 :: v_dual_mul_f32 v160, v24, v20
	v_mul_f32_e32 v3, v25, v20
	s_delay_alu instid0(VALU_DEP_2) | instskip(SKIP_2) | instid1(VALU_DEP_3)
	v_add_f32_e32 v1, v1, v5
	s_wait_dscnt 0x0
	v_dual_mul_f32 v5, v29, v27 :: v_dual_add_f32 v32, v32, v158
	v_fma_f32 v3, v24, v19, -v3
	v_fmac_f32_e32 v160, v25, v19
	s_delay_alu instid0(VALU_DEP_3) | instskip(NEXT) | instid1(VALU_DEP_1)
	v_add_f32_e32 v4, v32, v161
	v_add_f32_e32 v2, v4, v153
	v_mul_f32_e32 v4, v23, v18
	s_delay_alu instid0(VALU_DEP_2) | instskip(NEXT) | instid1(VALU_DEP_2)
	v_add_f32_e32 v2, v2, v156
	v_fma_f32 v4, v22, v17, -v4
	s_delay_alu instid0(VALU_DEP_1) | instskip(SKIP_1) | instid1(VALU_DEP_2)
	v_dual_add_f32 v2, v2, v157 :: v_dual_add_f32 v1, v1, v4
	v_fma_f32 v4, v28, v26, -v5
	v_add_f32_e32 v2, v2, v159
	s_delay_alu instid0(VALU_DEP_3) | instskip(SKIP_1) | instid1(VALU_DEP_3)
	v_add_f32_e32 v1, v1, v3
	v_mul_f32_e32 v158, v28, v27
	v_add_f32_e32 v2, v2, v160
	s_delay_alu instid0(VALU_DEP_3) | instskip(NEXT) | instid1(VALU_DEP_1)
	v_add_f32_e32 v1, v1, v4
	v_dual_fmac_f32 v158, v29, v26 :: v_dual_sub_f32 v1, v30, v1
	s_delay_alu instid0(VALU_DEP_1) | instskip(NEXT) | instid1(VALU_DEP_1)
	v_add_f32_e32 v2, v2, v158
	v_sub_f32_e32 v2, v31, v2
	scratch_store_b64 off, v[1:2], off offset:224
	v_cmpx_lt_u32_e32 27, v0
	s_cbranch_execz .LBB123_319
; %bb.318:
	scratch_load_b64 v[1:2], off, off offset:216
	v_mov_b32_e32 v22, v21
	scratch_store_b64 off, v[21:22], off offset:216
	s_wait_loadcnt 0x0
	ds_store_b64 v155, v[1:2]
.LBB123_319:
	s_wait_alu 0xfffe
	s_or_b32 exec_lo, exec_lo, s0
	s_wait_storecnt_dscnt 0x0
	s_barrier_signal -1
	s_barrier_wait -1
	global_inv scope:SCOPE_SE
	s_clause 0x4
	scratch_load_b128 v[5:8], off, off offset:224
	scratch_load_b128 v[1:4], off, off offset:240
	scratch_load_b128 v[9:12], off, off offset:256
	scratch_load_b128 v[13:16], off, off offset:272
	scratch_load_b128 v[17:20], off, off offset:288
	ds_load_b128 v[22:25], v21 offset:704
	ds_load_b128 v[26:29], v21 offset:720
	;; [unrolled: 1-line block ×3, first 2 shown]
	scratch_load_b64 v[30:31], off, off offset:216
	s_mov_b32 s0, exec_lo
	s_wait_loadcnt_dscnt 0x502
	v_mul_f32_e32 v32, v23, v6
	v_dual_mul_f32 v153, v22, v6 :: v_dual_mul_f32 v154, v24, v8
	v_mul_f32_e32 v6, v25, v8
	s_wait_loadcnt_dscnt 0x300
	v_mul_f32_e32 v160, v158, v12
	v_mul_f32_e32 v12, v159, v12
	v_dual_fmac_f32 v153, v23, v5 :: v_dual_fmac_f32 v154, v25, v7
	v_fma_f32 v23, v24, v7, -v6
	v_mul_f32_e32 v25, v28, v4
	v_fma_f32 v22, v22, v5, -v32
	ds_load_b128 v[5:8], v21 offset:752
	v_mul_f32_e32 v24, v26, v2
	v_mul_f32_e32 v4, v29, v4
	v_mul_f32_e32 v32, v156, v10
	v_mul_f32_e32 v10, v157, v10
	v_dual_mul_f32 v2, v27, v2 :: v_dual_fmac_f32 v25, v29, v3
	v_fmac_f32_e32 v24, v27, v1
	v_fma_f32 v27, v28, v3, -v4
	v_fmac_f32_e32 v32, v157, v9
	v_fma_f32 v28, v156, v9, -v10
	;; [unrolled: 2-line block ×3, first 2 shown]
	ds_load_b128 v[9:12], v21 offset:768
	s_wait_loadcnt_dscnt 0x201
	v_dual_mul_f32 v157, v7, v16 :: v_dual_mul_f32 v156, v5, v14
	v_mul_f32_e32 v14, v6, v14
	v_mul_f32_e32 v16, v8, v16
	s_delay_alu instid0(VALU_DEP_3)
	v_fmac_f32_e32 v157, v8, v15
	v_fma_f32 v26, v26, v1, -v2
	scratch_load_b128 v[1:4], off, off offset:304
	v_fmac_f32_e32 v156, v6, v13
	v_fma_f32 v13, v5, v13, -v14
	v_fma_f32 v14, v7, v15, -v16
	ds_load_b128 v[5:8], v21 offset:784
	s_wait_loadcnt_dscnt 0x201
	v_mul_f32_e32 v15, v9, v18
	v_mul_f32_e32 v16, v10, v18
	;; [unrolled: 1-line block ×3, first 2 shown]
	s_delay_alu instid0(VALU_DEP_3) | instskip(NEXT) | instid1(VALU_DEP_3)
	v_dual_mul_f32 v20, v12, v20 :: v_dual_fmac_f32 v15, v10, v17
	v_fma_f32 v16, v9, v17, -v16
	s_delay_alu instid0(VALU_DEP_3) | instskip(NEXT) | instid1(VALU_DEP_3)
	v_fmac_f32_e32 v18, v12, v19
	v_fma_f32 v17, v11, v19, -v20
	scratch_load_b128 v[9:12], off, off offset:320
	s_wait_loadcnt_dscnt 0x100
	v_mul_f32_e32 v19, v5, v2
	v_mul_f32_e32 v2, v6, v2
	;; [unrolled: 1-line block ×3, first 2 shown]
	s_delay_alu instid0(VALU_DEP_3) | instskip(NEXT) | instid1(VALU_DEP_3)
	v_dual_mul_f32 v4, v8, v4 :: v_dual_fmac_f32 v19, v6, v1
	v_fma_f32 v158, v5, v1, -v2
	s_delay_alu instid0(VALU_DEP_3) | instskip(NEXT) | instid1(VALU_DEP_3)
	v_fmac_f32_e32 v20, v8, v3
	v_fma_f32 v159, v7, v3, -v4
	ds_load_b128 v[1:4], v21 offset:800
	ds_load_b128 v[5:8], v21 offset:816
	s_wait_loadcnt_dscnt 0x1
	v_mul_f32_e32 v161, v1, v10
	v_mul_f32_e32 v10, v2, v10
	s_delay_alu instid0(VALU_DEP_2) | instskip(NEXT) | instid1(VALU_DEP_2)
	v_dual_mul_f32 v162, v3, v12 :: v_dual_fmac_f32 v161, v2, v9
	v_fma_f32 v163, v1, v9, -v10
	v_mul_f32_e32 v1, v4, v12
	s_delay_alu instid0(VALU_DEP_3) | instskip(NEXT) | instid1(VALU_DEP_2)
	v_fmac_f32_e32 v162, v4, v11
	v_fma_f32 v164, v3, v11, -v1
	s_clause 0x1
	scratch_load_b128 v[1:4], off, off offset:336
	scratch_load_b128 v[9:12], off, off offset:352
	s_wait_loadcnt_dscnt 0x100
	v_mul_f32_e32 v165, v5, v2
	v_dual_mul_f32 v2, v6, v2 :: v_dual_mul_f32 v167, v7, v4
	s_delay_alu instid0(VALU_DEP_2) | instskip(NEXT) | instid1(VALU_DEP_2)
	v_fmac_f32_e32 v165, v6, v1
	v_fma_f32 v166, v5, v1, -v2
	v_mul_f32_e32 v1, v8, v4
	s_delay_alu instid0(VALU_DEP_4) | instskip(NEXT) | instid1(VALU_DEP_2)
	v_fmac_f32_e32 v167, v8, v3
	v_fma_f32 v168, v7, v3, -v1
	ds_load_b128 v[1:4], v21 offset:832
	ds_load_b128 v[5:8], v21 offset:848
	s_wait_loadcnt_dscnt 0x1
	v_mul_f32_e32 v169, v1, v10
	v_mul_f32_e32 v171, v3, v12
	s_delay_alu instid0(VALU_DEP_2) | instskip(NEXT) | instid1(VALU_DEP_2)
	v_fmac_f32_e32 v169, v2, v9
	v_dual_mul_f32 v2, v2, v10 :: v_dual_fmac_f32 v171, v4, v11
	s_delay_alu instid0(VALU_DEP_1) | instskip(SKIP_1) | instid1(VALU_DEP_1)
	v_fma_f32 v170, v1, v9, -v2
	v_mul_f32_e32 v1, v4, v12
	v_fma_f32 v172, v3, v11, -v1
	s_clause 0x1
	scratch_load_b128 v[1:4], off, off offset:368
	scratch_load_b128 v[9:12], off, off offset:384
	s_wait_loadcnt_dscnt 0x100
	v_mul_f32_e32 v173, v5, v2
	v_dual_mul_f32 v2, v6, v2 :: v_dual_mul_f32 v175, v7, v4
	s_delay_alu instid0(VALU_DEP_2) | instskip(NEXT) | instid1(VALU_DEP_2)
	v_fmac_f32_e32 v173, v6, v1
	v_fma_f32 v174, v5, v1, -v2
	v_mul_f32_e32 v1, v8, v4
	s_delay_alu instid0(VALU_DEP_4) | instskip(NEXT) | instid1(VALU_DEP_2)
	v_fmac_f32_e32 v175, v8, v3
	v_fma_f32 v176, v7, v3, -v1
	ds_load_b128 v[1:4], v21 offset:864
	ds_load_b128 v[5:8], v21 offset:880
	s_wait_loadcnt_dscnt 0x1
	v_mul_f32_e32 v177, v1, v10
	v_mul_f32_e32 v179, v3, v12
	s_delay_alu instid0(VALU_DEP_2) | instskip(NEXT) | instid1(VALU_DEP_2)
	v_fmac_f32_e32 v177, v2, v9
	v_dual_mul_f32 v2, v2, v10 :: v_dual_fmac_f32 v179, v4, v11
	s_delay_alu instid0(VALU_DEP_1) | instskip(SKIP_1) | instid1(VALU_DEP_1)
	v_fma_f32 v178, v1, v9, -v2
	v_mul_f32_e32 v1, v4, v12
	v_fma_f32 v180, v3, v11, -v1
	s_clause 0x1
	scratch_load_b128 v[1:4], off, off offset:400
	scratch_load_b128 v[9:12], off, off offset:416
	s_wait_loadcnt_dscnt 0x100
	v_mul_f32_e32 v181, v5, v2
	v_dual_mul_f32 v2, v6, v2 :: v_dual_mul_f32 v183, v7, v4
	s_delay_alu instid0(VALU_DEP_1) | instskip(NEXT) | instid1(VALU_DEP_2)
	v_fma_f32 v182, v5, v1, -v2
	v_dual_add_f32 v2, 0, v153 :: v_dual_fmac_f32 v183, v8, v3
	s_delay_alu instid0(VALU_DEP_1) | instskip(NEXT) | instid1(VALU_DEP_1)
	v_add_f32_e32 v2, v2, v154
	v_add_f32_e32 v2, v2, v24
	s_delay_alu instid0(VALU_DEP_1) | instskip(NEXT) | instid1(VALU_DEP_1)
	v_add_f32_e32 v2, v2, v25
	v_add_f32_e32 v2, v2, v32
	;; [unrolled: 3-line block ×5, first 2 shown]
	v_fmac_f32_e32 v181, v6, v1
	v_mul_f32_e32 v1, v8, v4
	s_delay_alu instid0(VALU_DEP_1) | instskip(SKIP_1) | instid1(VALU_DEP_1)
	v_fma_f32 v184, v7, v3, -v1
	v_add_f32_e32 v1, 0, v22
	v_add_f32_e32 v1, v1, v23
	s_delay_alu instid0(VALU_DEP_1) | instskip(NEXT) | instid1(VALU_DEP_1)
	v_add_f32_e32 v1, v1, v26
	v_add_f32_e32 v1, v1, v27
	s_delay_alu instid0(VALU_DEP_1) | instskip(NEXT) | instid1(VALU_DEP_1)
	;; [unrolled: 3-line block ×3, first 2 shown]
	v_add_f32_e32 v1, v1, v13
	v_add_f32_e32 v1, v1, v14
	;; [unrolled: 1-line block ×3, first 2 shown]
	s_delay_alu instid0(VALU_DEP_1) | instskip(NEXT) | instid1(VALU_DEP_1)
	v_dual_add_f32 v1, v1, v16 :: v_dual_add_f32 v14, v14, v161
	v_add_f32_e32 v6, v1, v17
	s_delay_alu instid0(VALU_DEP_2) | instskip(SKIP_3) | instid1(VALU_DEP_1)
	v_add_f32_e32 v14, v14, v162
	ds_load_b128 v[1:4], v21 offset:896
	v_add_f32_e32 v6, v6, v158
	v_add_f32_e32 v17, v14, v165
	;; [unrolled: 1-line block ×3, first 2 shown]
	s_delay_alu instid0(VALU_DEP_1) | instskip(NEXT) | instid1(VALU_DEP_1)
	v_add_f32_e32 v17, v17, v169
	v_add_f32_e32 v17, v17, v171
	s_delay_alu instid0(VALU_DEP_1) | instskip(NEXT) | instid1(VALU_DEP_1)
	v_add_f32_e32 v23, v17, v173
	v_add_f32_e32 v32, v23, v175
	;; [unrolled: 1-line block ×3, first 2 shown]
	ds_load_b128 v[5:8], v21 offset:912
	s_wait_loadcnt_dscnt 0x1
	v_mul_f32_e32 v26, v3, v12
	v_mul_f32_e32 v12, v4, v12
	v_dual_add_f32 v32, v32, v177 :: v_dual_add_f32 v13, v13, v163
	s_delay_alu instid0(VALU_DEP_3) | instskip(NEXT) | instid1(VALU_DEP_3)
	v_fmac_f32_e32 v26, v4, v11
	v_fma_f32 v28, v3, v11, -v12
	s_delay_alu instid0(VALU_DEP_3) | instskip(NEXT) | instid1(VALU_DEP_1)
	v_dual_add_f32 v32, v32, v179 :: v_dual_add_f32 v13, v13, v164
	v_dual_add_f32 v32, v32, v181 :: v_dual_add_f32 v13, v13, v166
	s_delay_alu instid0(VALU_DEP_1) | instskip(NEXT) | instid1(VALU_DEP_2)
	v_add_f32_e32 v32, v32, v183
	v_add_f32_e32 v18, v13, v168
	scratch_load_b128 v[13:16], off, off offset:464
	v_add_f32_e32 v18, v18, v170
	v_mul_f32_e32 v25, v1, v10
	v_mul_f32_e32 v10, v2, v10
	s_delay_alu instid0(VALU_DEP_3) | instskip(NEXT) | instid1(VALU_DEP_3)
	v_add_f32_e32 v18, v18, v172
	v_fmac_f32_e32 v25, v2, v9
	s_delay_alu instid0(VALU_DEP_3)
	v_fma_f32 v27, v1, v9, -v10
	s_clause 0x1
	scratch_load_b128 v[1:4], off, off offset:432
	scratch_load_b128 v[9:12], off, off offset:448
	v_add_f32_e32 v22, v18, v174
	ds_load_b128 v[17:20], v21 offset:928
	v_add_f32_e32 v29, v22, v176
	ds_load_b128 v[21:24], v21 offset:944
	s_wait_loadcnt_dscnt 0x200
	v_mul_f32_e32 v158, v21, v14
	s_delay_alu instid0(VALU_DEP_1)
	v_fmac_f32_e32 v158, v22, v13
	s_wait_loadcnt 0x1
	v_mul_f32_e32 v154, v7, v4
	s_wait_loadcnt 0x0
	v_mul_f32_e32 v156, v17, v10
	v_dual_add_f32 v29, v29, v178 :: v_dual_mul_f32 v4, v8, v4
	s_delay_alu instid0(VALU_DEP_3) | instskip(NEXT) | instid1(VALU_DEP_2)
	v_dual_mul_f32 v153, v5, v2 :: v_dual_fmac_f32 v154, v8, v3
	v_dual_mul_f32 v2, v6, v2 :: v_dual_add_f32 v29, v29, v180
	s_delay_alu instid0(VALU_DEP_3)
	v_fma_f32 v3, v7, v3, -v4
	v_mul_f32_e32 v4, v20, v12
	v_add_f32_e32 v25, v32, v25
	v_fmac_f32_e32 v153, v6, v1
	v_add_f32_e32 v29, v29, v182
	v_dual_mul_f32 v6, v18, v10 :: v_dual_mul_f32 v157, v19, v12
	v_fma_f32 v2, v5, v1, -v2
	s_delay_alu instid0(VALU_DEP_3) | instskip(SKIP_1) | instid1(VALU_DEP_4)
	v_dual_fmac_f32 v156, v18, v9 :: v_dual_add_f32 v29, v29, v184
	v_add_f32_e32 v5, v25, v26
	v_fmac_f32_e32 v157, v20, v11
	v_fma_f32 v4, v19, v11, -v4
	s_delay_alu instid0(VALU_DEP_4) | instskip(SKIP_1) | instid1(VALU_DEP_2)
	v_add_f32_e32 v27, v29, v27
	v_mul_f32_e32 v29, v23, v16
	v_add_f32_e32 v1, v27, v28
	s_delay_alu instid0(VALU_DEP_1) | instskip(SKIP_2) | instid1(VALU_DEP_2)
	v_add_f32_e32 v1, v1, v2
	v_add_f32_e32 v2, v5, v153
	v_fma_f32 v5, v17, v9, -v6
	v_dual_fmac_f32 v29, v24, v15 :: v_dual_add_f32 v2, v2, v154
	s_delay_alu instid0(VALU_DEP_1) | instskip(NEXT) | instid1(VALU_DEP_1)
	v_add_f32_e32 v2, v2, v156
	v_dual_add_f32 v2, v2, v157 :: v_dual_add_f32 v1, v1, v3
	v_mul_f32_e32 v3, v22, v14
	s_delay_alu instid0(VALU_DEP_2) | instskip(SKIP_1) | instid1(VALU_DEP_3)
	v_dual_add_f32 v2, v2, v158 :: v_dual_add_f32 v1, v1, v5
	v_mul_f32_e32 v5, v24, v16
	v_fma_f32 v3, v21, v13, -v3
	s_delay_alu instid0(VALU_DEP_3) | instskip(NEXT) | instid1(VALU_DEP_3)
	v_dual_add_f32 v2, v2, v29 :: v_dual_add_f32 v1, v1, v4
	v_fma_f32 v4, v23, v15, -v5
	s_delay_alu instid0(VALU_DEP_2) | instskip(NEXT) | instid1(VALU_DEP_1)
	v_dual_sub_f32 v2, v31, v2 :: v_dual_add_f32 v1, v1, v3
	v_add_f32_e32 v1, v1, v4
	s_delay_alu instid0(VALU_DEP_1)
	v_sub_f32_e32 v1, v30, v1
	scratch_store_b64 off, v[1:2], off offset:216
	v_cmpx_lt_u32_e32 26, v0
	s_cbranch_execz .LBB123_321
; %bb.320:
	scratch_load_b64 v[1:2], off, off offset:208
	v_mov_b32_e32 v3, 0
	s_delay_alu instid0(VALU_DEP_1)
	v_mov_b32_e32 v4, v3
	scratch_store_b64 off, v[3:4], off offset:208
	s_wait_loadcnt 0x0
	ds_store_b64 v155, v[1:2]
.LBB123_321:
	s_wait_alu 0xfffe
	s_or_b32 exec_lo, exec_lo, s0
	s_wait_storecnt_dscnt 0x0
	s_barrier_signal -1
	s_barrier_wait -1
	global_inv scope:SCOPE_SE
	s_clause 0x4
	scratch_load_b128 v[5:8], off, off offset:216
	scratch_load_b128 v[1:4], off, off offset:232
	;; [unrolled: 1-line block ×5, first 2 shown]
	v_mov_b32_e32 v21, 0
	ds_load_2addr_b64 v[22:25], v21 offset0:87 offset1:88
	ds_load_2addr_b64 v[26:29], v21 offset0:89 offset1:90
	;; [unrolled: 1-line block ×3, first 2 shown]
	scratch_load_b64 v[30:31], off, off offset:208
	s_mov_b32 s0, exec_lo
	s_wait_loadcnt_dscnt 0x502
	v_mul_f32_e32 v32, v23, v6
	v_dual_mul_f32 v153, v22, v6 :: v_dual_mul_f32 v154, v24, v8
	v_mul_f32_e32 v6, v25, v8
	s_wait_loadcnt_dscnt 0x300
	v_mul_f32_e32 v160, v158, v12
	v_fma_f32 v22, v22, v5, -v32
	v_dual_fmac_f32 v153, v23, v5 :: v_dual_fmac_f32 v154, v25, v7
	v_mul_f32_e32 v25, v28, v4
	v_fma_f32 v23, v24, v7, -v6
	ds_load_2addr_b64 v[5:8], v21 offset0:93 offset1:94
	v_mul_f32_e32 v24, v26, v2
	v_mul_f32_e32 v4, v29, v4
	;; [unrolled: 1-line block ×5, first 2 shown]
	v_dual_mul_f32 v2, v27, v2 :: v_dual_fmac_f32 v25, v29, v3
	v_fmac_f32_e32 v24, v27, v1
	v_fma_f32 v27, v28, v3, -v4
	v_fmac_f32_e32 v32, v157, v9
	v_fma_f32 v28, v156, v9, -v10
	v_fmac_f32_e32 v160, v159, v11
	v_fma_f32 v29, v158, v11, -v12
	ds_load_2addr_b64 v[9:12], v21 offset0:95 offset1:96
	s_wait_loadcnt_dscnt 0x201
	v_dual_mul_f32 v157, v7, v16 :: v_dual_mul_f32 v156, v5, v14
	v_mul_f32_e32 v14, v6, v14
	v_mul_f32_e32 v16, v8, v16
	s_delay_alu instid0(VALU_DEP_3)
	v_fmac_f32_e32 v157, v8, v15
	v_fma_f32 v26, v26, v1, -v2
	scratch_load_b128 v[1:4], off, off offset:296
	v_fmac_f32_e32 v156, v6, v13
	v_fma_f32 v13, v5, v13, -v14
	v_fma_f32 v14, v7, v15, -v16
	ds_load_2addr_b64 v[5:8], v21 offset0:97 offset1:98
	s_wait_loadcnt_dscnt 0x201
	v_mul_f32_e32 v15, v9, v18
	v_mul_f32_e32 v16, v10, v18
	;; [unrolled: 1-line block ×3, first 2 shown]
	s_delay_alu instid0(VALU_DEP_3) | instskip(NEXT) | instid1(VALU_DEP_3)
	v_dual_mul_f32 v20, v12, v20 :: v_dual_fmac_f32 v15, v10, v17
	v_fma_f32 v16, v9, v17, -v16
	s_delay_alu instid0(VALU_DEP_3) | instskip(NEXT) | instid1(VALU_DEP_3)
	v_fmac_f32_e32 v18, v12, v19
	v_fma_f32 v17, v11, v19, -v20
	scratch_load_b128 v[9:12], off, off offset:312
	s_wait_loadcnt_dscnt 0x100
	v_mul_f32_e32 v19, v5, v2
	v_mul_f32_e32 v2, v6, v2
	;; [unrolled: 1-line block ×3, first 2 shown]
	s_delay_alu instid0(VALU_DEP_3) | instskip(NEXT) | instid1(VALU_DEP_3)
	v_dual_mul_f32 v4, v8, v4 :: v_dual_fmac_f32 v19, v6, v1
	v_fma_f32 v158, v5, v1, -v2
	s_delay_alu instid0(VALU_DEP_3) | instskip(NEXT) | instid1(VALU_DEP_3)
	v_fmac_f32_e32 v20, v8, v3
	v_fma_f32 v159, v7, v3, -v4
	ds_load_2addr_b64 v[1:4], v21 offset0:99 offset1:100
	ds_load_2addr_b64 v[5:8], v21 offset0:101 offset1:102
	s_wait_loadcnt_dscnt 0x1
	v_mul_f32_e32 v161, v1, v10
	v_mul_f32_e32 v10, v2, v10
	s_delay_alu instid0(VALU_DEP_2) | instskip(NEXT) | instid1(VALU_DEP_2)
	v_dual_mul_f32 v162, v3, v12 :: v_dual_fmac_f32 v161, v2, v9
	v_fma_f32 v163, v1, v9, -v10
	v_mul_f32_e32 v1, v4, v12
	s_delay_alu instid0(VALU_DEP_3) | instskip(NEXT) | instid1(VALU_DEP_2)
	v_fmac_f32_e32 v162, v4, v11
	v_fma_f32 v164, v3, v11, -v1
	s_clause 0x1
	scratch_load_b128 v[1:4], off, off offset:328
	scratch_load_b128 v[9:12], off, off offset:344
	s_wait_loadcnt_dscnt 0x100
	v_mul_f32_e32 v165, v5, v2
	v_dual_mul_f32 v2, v6, v2 :: v_dual_mul_f32 v167, v7, v4
	s_delay_alu instid0(VALU_DEP_2) | instskip(NEXT) | instid1(VALU_DEP_2)
	v_fmac_f32_e32 v165, v6, v1
	v_fma_f32 v166, v5, v1, -v2
	v_mul_f32_e32 v1, v8, v4
	s_delay_alu instid0(VALU_DEP_4) | instskip(NEXT) | instid1(VALU_DEP_2)
	v_fmac_f32_e32 v167, v8, v3
	v_fma_f32 v168, v7, v3, -v1
	ds_load_2addr_b64 v[1:4], v21 offset0:103 offset1:104
	ds_load_2addr_b64 v[5:8], v21 offset0:105 offset1:106
	s_wait_loadcnt_dscnt 0x1
	v_mul_f32_e32 v169, v1, v10
	v_mul_f32_e32 v171, v3, v12
	s_delay_alu instid0(VALU_DEP_2) | instskip(NEXT) | instid1(VALU_DEP_2)
	v_fmac_f32_e32 v169, v2, v9
	v_dual_mul_f32 v2, v2, v10 :: v_dual_fmac_f32 v171, v4, v11
	s_delay_alu instid0(VALU_DEP_1) | instskip(SKIP_1) | instid1(VALU_DEP_1)
	v_fma_f32 v170, v1, v9, -v2
	v_mul_f32_e32 v1, v4, v12
	v_fma_f32 v172, v3, v11, -v1
	s_clause 0x1
	scratch_load_b128 v[1:4], off, off offset:360
	scratch_load_b128 v[9:12], off, off offset:376
	s_wait_loadcnt_dscnt 0x100
	v_mul_f32_e32 v173, v5, v2
	v_dual_mul_f32 v2, v6, v2 :: v_dual_mul_f32 v175, v7, v4
	s_delay_alu instid0(VALU_DEP_2) | instskip(NEXT) | instid1(VALU_DEP_2)
	v_fmac_f32_e32 v173, v6, v1
	v_fma_f32 v174, v5, v1, -v2
	v_mul_f32_e32 v1, v8, v4
	s_delay_alu instid0(VALU_DEP_4) | instskip(NEXT) | instid1(VALU_DEP_2)
	v_fmac_f32_e32 v175, v8, v3
	v_fma_f32 v176, v7, v3, -v1
	ds_load_2addr_b64 v[1:4], v21 offset0:107 offset1:108
	ds_load_2addr_b64 v[5:8], v21 offset0:109 offset1:110
	s_wait_loadcnt_dscnt 0x1
	v_mul_f32_e32 v177, v1, v10
	v_mul_f32_e32 v179, v3, v12
	s_delay_alu instid0(VALU_DEP_2) | instskip(NEXT) | instid1(VALU_DEP_2)
	v_fmac_f32_e32 v177, v2, v9
	v_dual_mul_f32 v2, v2, v10 :: v_dual_fmac_f32 v179, v4, v11
	s_delay_alu instid0(VALU_DEP_1) | instskip(SKIP_1) | instid1(VALU_DEP_1)
	v_fma_f32 v178, v1, v9, -v2
	v_mul_f32_e32 v1, v4, v12
	v_fma_f32 v180, v3, v11, -v1
	s_clause 0x1
	scratch_load_b128 v[1:4], off, off offset:392
	scratch_load_b128 v[9:12], off, off offset:408
	s_wait_loadcnt_dscnt 0x100
	v_mul_f32_e32 v181, v5, v2
	v_dual_mul_f32 v2, v6, v2 :: v_dual_mul_f32 v183, v7, v4
	s_delay_alu instid0(VALU_DEP_1) | instskip(NEXT) | instid1(VALU_DEP_2)
	v_fma_f32 v182, v5, v1, -v2
	v_dual_add_f32 v2, 0, v153 :: v_dual_fmac_f32 v183, v8, v3
	s_delay_alu instid0(VALU_DEP_4) | instskip(NEXT) | instid1(VALU_DEP_2)
	v_fmac_f32_e32 v181, v6, v1
	v_add_f32_e32 v2, v2, v154
	s_delay_alu instid0(VALU_DEP_1) | instskip(NEXT) | instid1(VALU_DEP_1)
	v_add_f32_e32 v2, v2, v24
	v_dual_mul_f32 v1, v8, v4 :: v_dual_add_f32 v2, v2, v25
	s_delay_alu instid0(VALU_DEP_1) | instskip(NEXT) | instid1(VALU_DEP_2)
	v_fma_f32 v184, v7, v3, -v1
	v_dual_add_f32 v1, 0, v22 :: v_dual_add_f32 v2, v2, v32
	s_delay_alu instid0(VALU_DEP_1) | instskip(NEXT) | instid1(VALU_DEP_1)
	v_dual_add_f32 v1, v1, v23 :: v_dual_add_f32 v2, v2, v160
	v_dual_add_f32 v1, v1, v26 :: v_dual_add_f32 v2, v2, v156
	s_delay_alu instid0(VALU_DEP_1) | instskip(SKIP_2) | instid1(VALU_DEP_1)
	v_add_f32_e32 v1, v1, v27
	scratch_load_b64 v[26:27], off, off offset:472
	v_dual_add_f32 v2, v2, v157 :: v_dual_add_f32 v1, v1, v28
	v_add_f32_e32 v5, v2, v15
	s_delay_alu instid0(VALU_DEP_2) | instskip(NEXT) | instid1(VALU_DEP_2)
	v_add_f32_e32 v1, v1, v29
	v_add_f32_e32 v5, v5, v18
	s_delay_alu instid0(VALU_DEP_2) | instskip(NEXT) | instid1(VALU_DEP_2)
	v_add_f32_e32 v1, v1, v13
	;; [unrolled: 3-line block ×3, first 2 shown]
	v_add_f32_e32 v14, v5, v20
	s_delay_alu instid0(VALU_DEP_1) | instskip(NEXT) | instid1(VALU_DEP_1)
	v_dual_add_f32 v14, v14, v161 :: v_dual_add_f32 v1, v1, v16
	v_add_f32_e32 v14, v14, v162
	s_delay_alu instid0(VALU_DEP_2) | instskip(SKIP_3) | instid1(VALU_DEP_1)
	v_add_f32_e32 v6, v1, v17
	ds_load_2addr_b64 v[1:4], v21 offset0:111 offset1:112
	v_add_f32_e32 v17, v14, v165
	v_add_f32_e32 v6, v6, v158
	;; [unrolled: 1-line block ×3, first 2 shown]
	ds_load_2addr_b64 v[5:8], v21 offset0:113 offset1:114
	s_wait_loadcnt_dscnt 0x101
	v_mul_f32_e32 v32, v1, v10
	v_dual_mul_f32 v10, v2, v10 :: v_dual_mul_f32 v153, v3, v12
	v_mul_f32_e32 v12, v4, v12
	s_delay_alu instid0(VALU_DEP_3) | instskip(NEXT) | instid1(VALU_DEP_3)
	v_fmac_f32_e32 v32, v2, v9
	v_fma_f32 v154, v1, v9, -v10
	s_delay_alu instid0(VALU_DEP_4) | instskip(NEXT) | instid1(VALU_DEP_4)
	v_fmac_f32_e32 v153, v4, v11
	v_fma_f32 v156, v3, v11, -v12
	s_clause 0x1
	scratch_load_b128 v[1:4], off, off offset:424
	scratch_load_b128 v[9:12], off, off offset:440
	s_wait_loadcnt_dscnt 0x100
	v_dual_mul_f32 v160, v7, v4 :: v_dual_add_f32 v13, v13, v163
	v_mul_f32_e32 v159, v5, v2
	v_mul_f32_e32 v2, v6, v2
	;; [unrolled: 1-line block ×3, first 2 shown]
	s_delay_alu instid0(VALU_DEP_4) | instskip(NEXT) | instid1(VALU_DEP_3)
	v_dual_fmac_f32 v160, v8, v3 :: v_dual_add_f32 v13, v13, v164
	v_fma_f32 v2, v5, v1, -v2
	s_delay_alu instid0(VALU_DEP_2) | instskip(NEXT) | instid1(VALU_DEP_1)
	v_add_f32_e32 v13, v13, v166
	v_add_f32_e32 v18, v13, v168
	scratch_load_b128 v[13:16], off, off offset:456
	v_add_f32_e32 v18, v18, v170
	s_delay_alu instid0(VALU_DEP_1) | instskip(NEXT) | instid1(VALU_DEP_1)
	v_add_f32_e32 v18, v18, v172
	v_dual_add_f32 v18, v18, v174 :: v_dual_add_f32 v17, v17, v167
	s_delay_alu instid0(VALU_DEP_1) | instskip(NEXT) | instid1(VALU_DEP_1)
	v_dual_add_f32 v18, v18, v176 :: v_dual_add_f32 v17, v17, v169
	v_dual_add_f32 v28, v18, v178 :: v_dual_add_f32 v17, v17, v171
	s_delay_alu instid0(VALU_DEP_1) | instskip(NEXT) | instid1(VALU_DEP_2)
	v_add_f32_e32 v157, v28, v180
	v_add_f32_e32 v17, v17, v173
	s_delay_alu instid0(VALU_DEP_1)
	v_add_f32_e32 v22, v17, v175
	ds_load_2addr_b64 v[17:20], v21 offset0:115 offset1:116
	v_add_f32_e32 v29, v22, v177
	ds_load_2addr_b64 v[22:25], v21 offset0:117 offset1:118
	v_add_f32_e32 v158, v29, v179
	ds_load_b64 v[28:29], v21 offset:952
	v_add_f32_e32 v158, v158, v181
	s_delay_alu instid0(VALU_DEP_1) | instskip(SKIP_2) | instid1(VALU_DEP_2)
	v_dual_add_f32 v158, v158, v183 :: v_dual_add_f32 v157, v157, v182
	s_wait_loadcnt_dscnt 0x102
	v_mul_f32_e32 v5, v20, v12
	v_add_f32_e32 v32, v158, v32
	s_delay_alu instid0(VALU_DEP_3) | instskip(SKIP_2) | instid1(VALU_DEP_4)
	v_add_f32_e32 v157, v157, v184
	v_dual_mul_f32 v158, v19, v12 :: v_dual_fmac_f32 v159, v6, v1
	v_fma_f32 v1, v7, v3, -v4
	v_add_f32_e32 v32, v32, v153
	s_wait_dscnt 0x0
	v_dual_add_f32 v154, v157, v154 :: v_dual_mul_f32 v153, v28, v27
	v_mul_f32_e32 v157, v17, v10
	s_delay_alu instid0(VALU_DEP_3) | instskip(NEXT) | instid1(VALU_DEP_3)
	v_dual_mul_f32 v3, v18, v10 :: v_dual_add_f32 v4, v32, v159
	v_add_f32_e32 v154, v154, v156
	s_delay_alu instid0(VALU_DEP_3) | instskip(NEXT) | instid1(VALU_DEP_3)
	v_dual_fmac_f32 v158, v20, v11 :: v_dual_fmac_f32 v157, v18, v9
	v_fma_f32 v3, v17, v9, -v3
	v_fma_f32 v5, v19, v11, -v5
	s_delay_alu instid0(VALU_DEP_4) | instskip(SKIP_1) | instid1(VALU_DEP_2)
	v_add_f32_e32 v2, v154, v2
	v_fmac_f32_e32 v153, v29, v26
	v_dual_add_f32 v1, v2, v1 :: v_dual_add_f32 v2, v4, v160
	s_delay_alu instid0(VALU_DEP_1) | instskip(SKIP_2) | instid1(VALU_DEP_3)
	v_add_f32_e32 v2, v2, v157
	s_wait_loadcnt 0x0
	v_dual_mul_f32 v161, v22, v14 :: v_dual_mul_f32 v156, v24, v16
	v_dual_mul_f32 v4, v23, v14 :: v_dual_add_f32 v1, v1, v3
	v_mul_f32_e32 v3, v25, v16
	s_delay_alu instid0(VALU_DEP_3) | instskip(NEXT) | instid1(VALU_DEP_4)
	v_dual_fmac_f32 v161, v23, v13 :: v_dual_add_f32 v2, v2, v158
	v_fmac_f32_e32 v156, v25, v15
	s_delay_alu instid0(VALU_DEP_4) | instskip(NEXT) | instid1(VALU_DEP_4)
	v_fma_f32 v4, v22, v13, -v4
	v_fma_f32 v3, v24, v15, -v3
	s_delay_alu instid0(VALU_DEP_4) | instskip(NEXT) | instid1(VALU_DEP_1)
	v_add_f32_e32 v2, v2, v161
	v_dual_add_f32 v1, v1, v5 :: v_dual_add_f32 v2, v2, v156
	s_delay_alu instid0(VALU_DEP_1) | instskip(NEXT) | instid1(VALU_DEP_2)
	v_dual_mul_f32 v5, v29, v27 :: v_dual_add_f32 v2, v2, v153
	v_add_f32_e32 v1, v1, v4
	s_delay_alu instid0(VALU_DEP_2) | instskip(NEXT) | instid1(VALU_DEP_2)
	v_fma_f32 v4, v28, v26, -v5
	v_dual_sub_f32 v2, v31, v2 :: v_dual_add_f32 v1, v1, v3
	s_delay_alu instid0(VALU_DEP_1) | instskip(NEXT) | instid1(VALU_DEP_1)
	v_add_f32_e32 v1, v1, v4
	v_sub_f32_e32 v1, v30, v1
	scratch_store_b64 off, v[1:2], off offset:208
	v_cmpx_lt_u32_e32 25, v0
	s_cbranch_execz .LBB123_323
; %bb.322:
	scratch_load_b64 v[1:2], off, off offset:200
	v_mov_b32_e32 v22, v21
	scratch_store_b64 off, v[21:22], off offset:200
	s_wait_loadcnt 0x0
	ds_store_b64 v155, v[1:2]
.LBB123_323:
	s_wait_alu 0xfffe
	s_or_b32 exec_lo, exec_lo, s0
	s_wait_storecnt_dscnt 0x0
	s_barrier_signal -1
	s_barrier_wait -1
	global_inv scope:SCOPE_SE
	s_clause 0x4
	scratch_load_b128 v[5:8], off, off offset:208
	scratch_load_b128 v[1:4], off, off offset:224
	;; [unrolled: 1-line block ×5, first 2 shown]
	ds_load_b128 v[22:25], v21 offset:688
	ds_load_b128 v[26:29], v21 offset:704
	;; [unrolled: 1-line block ×3, first 2 shown]
	scratch_load_b64 v[30:31], off, off offset:200
	s_mov_b32 s0, exec_lo
	s_wait_loadcnt_dscnt 0x502
	v_mul_f32_e32 v32, v23, v6
	v_dual_mul_f32 v153, v22, v6 :: v_dual_mul_f32 v154, v24, v8
	v_mul_f32_e32 v6, v25, v8
	s_wait_loadcnt_dscnt 0x300
	v_mul_f32_e32 v160, v158, v12
	v_mul_f32_e32 v12, v159, v12
	v_dual_fmac_f32 v153, v23, v5 :: v_dual_fmac_f32 v154, v25, v7
	v_fma_f32 v23, v24, v7, -v6
	v_mul_f32_e32 v25, v28, v4
	v_fma_f32 v22, v22, v5, -v32
	ds_load_b128 v[5:8], v21 offset:736
	v_mul_f32_e32 v24, v26, v2
	v_mul_f32_e32 v4, v29, v4
	;; [unrolled: 1-line block ×4, first 2 shown]
	v_dual_mul_f32 v2, v27, v2 :: v_dual_fmac_f32 v25, v29, v3
	v_fmac_f32_e32 v24, v27, v1
	v_fma_f32 v27, v28, v3, -v4
	v_fmac_f32_e32 v32, v157, v9
	v_fma_f32 v28, v156, v9, -v10
	;; [unrolled: 2-line block ×3, first 2 shown]
	ds_load_b128 v[9:12], v21 offset:752
	s_wait_loadcnt_dscnt 0x201
	v_dual_mul_f32 v157, v7, v16 :: v_dual_mul_f32 v156, v5, v14
	v_mul_f32_e32 v14, v6, v14
	v_mul_f32_e32 v16, v8, v16
	s_delay_alu instid0(VALU_DEP_3)
	v_fmac_f32_e32 v157, v8, v15
	v_fma_f32 v26, v26, v1, -v2
	scratch_load_b128 v[1:4], off, off offset:288
	v_fmac_f32_e32 v156, v6, v13
	v_fma_f32 v13, v5, v13, -v14
	v_fma_f32 v14, v7, v15, -v16
	ds_load_b128 v[5:8], v21 offset:768
	s_wait_loadcnt_dscnt 0x201
	v_mul_f32_e32 v15, v9, v18
	v_mul_f32_e32 v16, v10, v18
	v_mul_f32_e32 v18, v11, v20
	s_delay_alu instid0(VALU_DEP_3) | instskip(NEXT) | instid1(VALU_DEP_3)
	v_dual_mul_f32 v20, v12, v20 :: v_dual_fmac_f32 v15, v10, v17
	v_fma_f32 v16, v9, v17, -v16
	s_delay_alu instid0(VALU_DEP_3) | instskip(NEXT) | instid1(VALU_DEP_3)
	v_fmac_f32_e32 v18, v12, v19
	v_fma_f32 v17, v11, v19, -v20
	scratch_load_b128 v[9:12], off, off offset:304
	s_wait_loadcnt_dscnt 0x100
	v_mul_f32_e32 v19, v5, v2
	v_mul_f32_e32 v2, v6, v2
	;; [unrolled: 1-line block ×3, first 2 shown]
	s_delay_alu instid0(VALU_DEP_3) | instskip(NEXT) | instid1(VALU_DEP_3)
	v_dual_mul_f32 v4, v8, v4 :: v_dual_fmac_f32 v19, v6, v1
	v_fma_f32 v158, v5, v1, -v2
	s_delay_alu instid0(VALU_DEP_3) | instskip(NEXT) | instid1(VALU_DEP_3)
	v_fmac_f32_e32 v20, v8, v3
	v_fma_f32 v159, v7, v3, -v4
	ds_load_b128 v[1:4], v21 offset:784
	ds_load_b128 v[5:8], v21 offset:800
	s_wait_loadcnt_dscnt 0x1
	v_mul_f32_e32 v161, v1, v10
	v_mul_f32_e32 v10, v2, v10
	s_delay_alu instid0(VALU_DEP_2) | instskip(NEXT) | instid1(VALU_DEP_2)
	v_dual_mul_f32 v162, v3, v12 :: v_dual_fmac_f32 v161, v2, v9
	v_fma_f32 v163, v1, v9, -v10
	v_mul_f32_e32 v1, v4, v12
	s_delay_alu instid0(VALU_DEP_3) | instskip(NEXT) | instid1(VALU_DEP_2)
	v_fmac_f32_e32 v162, v4, v11
	v_fma_f32 v164, v3, v11, -v1
	s_clause 0x1
	scratch_load_b128 v[1:4], off, off offset:320
	scratch_load_b128 v[9:12], off, off offset:336
	s_wait_loadcnt_dscnt 0x100
	v_mul_f32_e32 v165, v5, v2
	v_dual_mul_f32 v2, v6, v2 :: v_dual_mul_f32 v167, v7, v4
	s_delay_alu instid0(VALU_DEP_2) | instskip(NEXT) | instid1(VALU_DEP_2)
	v_fmac_f32_e32 v165, v6, v1
	v_fma_f32 v166, v5, v1, -v2
	v_mul_f32_e32 v1, v8, v4
	s_delay_alu instid0(VALU_DEP_4) | instskip(NEXT) | instid1(VALU_DEP_2)
	v_fmac_f32_e32 v167, v8, v3
	v_fma_f32 v168, v7, v3, -v1
	ds_load_b128 v[1:4], v21 offset:816
	ds_load_b128 v[5:8], v21 offset:832
	s_wait_loadcnt_dscnt 0x1
	v_mul_f32_e32 v169, v1, v10
	v_mul_f32_e32 v171, v3, v12
	s_delay_alu instid0(VALU_DEP_2) | instskip(NEXT) | instid1(VALU_DEP_2)
	v_fmac_f32_e32 v169, v2, v9
	v_dual_mul_f32 v2, v2, v10 :: v_dual_fmac_f32 v171, v4, v11
	s_delay_alu instid0(VALU_DEP_1) | instskip(SKIP_1) | instid1(VALU_DEP_1)
	v_fma_f32 v170, v1, v9, -v2
	v_mul_f32_e32 v1, v4, v12
	v_fma_f32 v172, v3, v11, -v1
	s_clause 0x1
	scratch_load_b128 v[1:4], off, off offset:352
	scratch_load_b128 v[9:12], off, off offset:368
	s_wait_loadcnt_dscnt 0x100
	v_mul_f32_e32 v173, v5, v2
	v_dual_mul_f32 v2, v6, v2 :: v_dual_mul_f32 v175, v7, v4
	s_delay_alu instid0(VALU_DEP_2) | instskip(NEXT) | instid1(VALU_DEP_2)
	v_fmac_f32_e32 v173, v6, v1
	v_fma_f32 v174, v5, v1, -v2
	v_mul_f32_e32 v1, v8, v4
	s_delay_alu instid0(VALU_DEP_4) | instskip(NEXT) | instid1(VALU_DEP_2)
	v_fmac_f32_e32 v175, v8, v3
	v_fma_f32 v176, v7, v3, -v1
	ds_load_b128 v[1:4], v21 offset:848
	ds_load_b128 v[5:8], v21 offset:864
	s_wait_loadcnt_dscnt 0x1
	v_mul_f32_e32 v177, v1, v10
	v_mul_f32_e32 v179, v3, v12
	s_delay_alu instid0(VALU_DEP_2) | instskip(NEXT) | instid1(VALU_DEP_2)
	v_fmac_f32_e32 v177, v2, v9
	v_dual_mul_f32 v2, v2, v10 :: v_dual_fmac_f32 v179, v4, v11
	s_delay_alu instid0(VALU_DEP_1) | instskip(SKIP_1) | instid1(VALU_DEP_1)
	v_fma_f32 v178, v1, v9, -v2
	v_mul_f32_e32 v1, v4, v12
	v_fma_f32 v180, v3, v11, -v1
	s_clause 0x1
	scratch_load_b128 v[1:4], off, off offset:384
	scratch_load_b128 v[9:12], off, off offset:400
	s_wait_loadcnt_dscnt 0x100
	v_mul_f32_e32 v181, v5, v2
	v_dual_mul_f32 v2, v6, v2 :: v_dual_mul_f32 v183, v7, v4
	s_delay_alu instid0(VALU_DEP_1) | instskip(NEXT) | instid1(VALU_DEP_2)
	v_fma_f32 v182, v5, v1, -v2
	v_dual_add_f32 v2, 0, v153 :: v_dual_fmac_f32 v183, v8, v3
	s_delay_alu instid0(VALU_DEP_4) | instskip(NEXT) | instid1(VALU_DEP_2)
	v_fmac_f32_e32 v181, v6, v1
	v_add_f32_e32 v2, v2, v154
	s_delay_alu instid0(VALU_DEP_1) | instskip(NEXT) | instid1(VALU_DEP_1)
	v_add_f32_e32 v2, v2, v24
	v_dual_mul_f32 v1, v8, v4 :: v_dual_add_f32 v2, v2, v25
	s_delay_alu instid0(VALU_DEP_1) | instskip(NEXT) | instid1(VALU_DEP_2)
	v_fma_f32 v184, v7, v3, -v1
	v_dual_add_f32 v1, 0, v22 :: v_dual_add_f32 v2, v2, v32
	s_delay_alu instid0(VALU_DEP_1) | instskip(NEXT) | instid1(VALU_DEP_1)
	v_dual_add_f32 v1, v1, v23 :: v_dual_add_f32 v2, v2, v160
	v_dual_add_f32 v1, v1, v26 :: v_dual_add_f32 v2, v2, v156
	s_delay_alu instid0(VALU_DEP_1) | instskip(NEXT) | instid1(VALU_DEP_1)
	v_dual_add_f32 v1, v1, v27 :: v_dual_add_f32 v2, v2, v157
	v_dual_add_f32 v1, v1, v28 :: v_dual_add_f32 v2, v2, v15
	s_delay_alu instid0(VALU_DEP_1) | instskip(NEXT) | instid1(VALU_DEP_2)
	v_add_f32_e32 v1, v1, v29
	v_add_f32_e32 v5, v2, v18
	s_delay_alu instid0(VALU_DEP_2) | instskip(NEXT) | instid1(VALU_DEP_2)
	v_add_f32_e32 v1, v1, v13
	v_add_f32_e32 v13, v5, v19
	s_delay_alu instid0(VALU_DEP_2) | instskip(NEXT) | instid1(VALU_DEP_1)
	v_add_f32_e32 v1, v1, v14
	v_add_f32_e32 v1, v1, v16
	s_delay_alu instid0(VALU_DEP_1) | instskip(NEXT) | instid1(VALU_DEP_1)
	v_add_f32_e32 v1, v1, v17
	v_add_f32_e32 v6, v1, v158
	ds_load_b128 v[1:4], v21 offset:880
	v_dual_add_f32 v13, v13, v20 :: v_dual_add_f32 v14, v6, v159
	scratch_load_b128 v[5:8], off, off offset:416
	v_dual_add_f32 v13, v13, v161 :: v_dual_add_f32 v14, v14, v163
	s_delay_alu instid0(VALU_DEP_1) | instskip(SKIP_4) | instid1(VALU_DEP_2)
	v_dual_add_f32 v18, v13, v162 :: v_dual_add_f32 v17, v14, v164
	ds_load_b128 v[13:16], v21 offset:896
	v_add_f32_e32 v18, v18, v165
	s_wait_loadcnt_dscnt 0x101
	v_mul_f32_e32 v26, v3, v12
	v_dual_add_f32 v18, v18, v167 :: v_dual_add_f32 v17, v17, v166
	v_mul_f32_e32 v12, v4, v12
	s_delay_alu instid0(VALU_DEP_3) | instskip(NEXT) | instid1(VALU_DEP_3)
	v_fmac_f32_e32 v26, v4, v11
	v_dual_add_f32 v22, v18, v169 :: v_dual_mul_f32 v25, v1, v10
	v_mul_f32_e32 v10, v2, v10
	s_delay_alu instid0(VALU_DEP_4) | instskip(NEXT) | instid1(VALU_DEP_3)
	v_fma_f32 v28, v3, v11, -v12
	v_add_f32_e32 v22, v22, v171
	s_delay_alu instid0(VALU_DEP_4) | instskip(NEXT) | instid1(VALU_DEP_4)
	v_fmac_f32_e32 v25, v2, v9
	v_fma_f32 v27, v1, v9, -v10
	scratch_load_b128 v[1:4], off, off offset:432
	v_add_f32_e32 v17, v17, v168
	scratch_load_b128 v[9:12], off, off offset:448
	s_wait_loadcnt_dscnt 0x200
	v_dual_add_f32 v22, v22, v173 :: v_dual_mul_f32 v29, v13, v6
	v_mul_f32_e32 v6, v14, v6
	v_dual_add_f32 v17, v17, v170 :: v_dual_mul_f32 v32, v15, v8
	v_mul_f32_e32 v8, v16, v8
	s_delay_alu instid0(VALU_DEP_3) | instskip(NEXT) | instid1(VALU_DEP_3)
	v_fma_f32 v153, v13, v5, -v6
	v_dual_add_f32 v23, v17, v172 :: v_dual_fmac_f32 v32, v16, v7
	scratch_load_b128 v[17:20], off, off offset:464
	v_fma_f32 v154, v15, v7, -v8
	v_add_f32_e32 v23, v23, v174
	s_delay_alu instid0(VALU_DEP_1) | instskip(NEXT) | instid1(VALU_DEP_1)
	v_add_f32_e32 v23, v23, v176
	v_dual_add_f32 v13, v22, v175 :: v_dual_add_f32 v22, v23, v178
	s_delay_alu instid0(VALU_DEP_1) | instskip(NEXT) | instid1(VALU_DEP_1)
	v_add_f32_e32 v156, v22, v180
	v_dual_add_f32 v156, v156, v182 :: v_dual_fmac_f32 v29, v14, v5
	ds_load_b128 v[5:8], v21 offset:912
	v_add_f32_e32 v23, v13, v177
	ds_load_b128 v[13:16], v21 offset:928
	v_add_f32_e32 v156, v156, v184
	s_wait_loadcnt_dscnt 0x201
	s_delay_alu instid0(VALU_DEP_1)
	v_dual_add_f32 v27, v156, v27 :: v_dual_mul_f32 v156, v7, v4
	v_dual_add_f32 v157, v23, v179 :: v_dual_mul_f32 v158, v5, v2
	ds_load_b128 v[21:24], v21 offset:944
	v_mul_f32_e32 v2, v6, v2
	v_dual_mul_f32 v4, v8, v4 :: v_dual_add_f32 v157, v157, v181
	s_wait_loadcnt_dscnt 0x101
	v_dual_fmac_f32 v158, v6, v1 :: v_dual_mul_f32 v159, v15, v12
	v_mul_f32_e32 v6, v14, v10
	v_fma_f32 v2, v5, v1, -v2
	v_add_f32_e32 v157, v157, v183
	v_fmac_f32_e32 v156, v8, v3
	v_fma_f32 v3, v7, v3, -v4
	s_delay_alu instid0(VALU_DEP_3) | instskip(SKIP_1) | instid1(VALU_DEP_2)
	v_dual_mul_f32 v4, v16, v12 :: v_dual_add_f32 v25, v157, v25
	v_mul_f32_e32 v157, v13, v10
	v_fma_f32 v4, v15, v11, -v4
	s_delay_alu instid0(VALU_DEP_3) | instskip(NEXT) | instid1(VALU_DEP_1)
	v_add_f32_e32 v25, v25, v26
	v_add_f32_e32 v25, v25, v29
	s_wait_loadcnt_dscnt 0x0
	v_dual_mul_f32 v26, v21, v18 :: v_dual_add_f32 v27, v27, v28
	v_mul_f32_e32 v28, v23, v20
	s_delay_alu instid0(VALU_DEP_3) | instskip(SKIP_1) | instid1(VALU_DEP_4)
	v_add_f32_e32 v5, v25, v32
	v_fmac_f32_e32 v157, v14, v9
	v_fmac_f32_e32 v26, v22, v17
	s_delay_alu instid0(VALU_DEP_4) | instskip(SKIP_1) | instid1(VALU_DEP_2)
	v_dual_add_f32 v27, v27, v153 :: v_dual_fmac_f32 v28, v24, v19
	v_fmac_f32_e32 v159, v16, v11
	v_add_f32_e32 v1, v27, v154
	s_delay_alu instid0(VALU_DEP_1) | instskip(SKIP_2) | instid1(VALU_DEP_2)
	v_add_f32_e32 v1, v1, v2
	v_add_f32_e32 v2, v5, v158
	v_fma_f32 v5, v13, v9, -v6
	v_add_f32_e32 v2, v2, v156
	s_delay_alu instid0(VALU_DEP_1) | instskip(NEXT) | instid1(VALU_DEP_1)
	v_add_f32_e32 v2, v2, v157
	v_add_f32_e32 v2, v2, v159
	v_add_f32_e32 v1, v1, v3
	v_mul_f32_e32 v3, v22, v18
	s_delay_alu instid0(VALU_DEP_3) | instskip(NEXT) | instid1(VALU_DEP_2)
	v_add_f32_e32 v2, v2, v26
	v_fma_f32 v3, v21, v17, -v3
	s_delay_alu instid0(VALU_DEP_2) | instskip(NEXT) | instid1(VALU_DEP_1)
	v_dual_add_f32 v2, v2, v28 :: v_dual_add_f32 v1, v1, v5
	v_dual_mul_f32 v5, v24, v20 :: v_dual_sub_f32 v2, v31, v2
	s_delay_alu instid0(VALU_DEP_2) | instskip(NEXT) | instid1(VALU_DEP_2)
	v_add_f32_e32 v1, v1, v4
	v_fma_f32 v4, v23, v19, -v5
	s_delay_alu instid0(VALU_DEP_2) | instskip(NEXT) | instid1(VALU_DEP_1)
	v_add_f32_e32 v1, v1, v3
	v_add_f32_e32 v1, v1, v4
	s_delay_alu instid0(VALU_DEP_1)
	v_sub_f32_e32 v1, v30, v1
	scratch_store_b64 off, v[1:2], off offset:200
	v_cmpx_lt_u32_e32 24, v0
	s_cbranch_execz .LBB123_325
; %bb.324:
	scratch_load_b64 v[1:2], off, off offset:192
	v_mov_b32_e32 v3, 0
	s_delay_alu instid0(VALU_DEP_1)
	v_mov_b32_e32 v4, v3
	scratch_store_b64 off, v[3:4], off offset:192
	s_wait_loadcnt 0x0
	ds_store_b64 v155, v[1:2]
.LBB123_325:
	s_wait_alu 0xfffe
	s_or_b32 exec_lo, exec_lo, s0
	s_wait_storecnt_dscnt 0x0
	s_barrier_signal -1
	s_barrier_wait -1
	global_inv scope:SCOPE_SE
	s_clause 0x4
	scratch_load_b128 v[5:8], off, off offset:200
	scratch_load_b128 v[1:4], off, off offset:216
	;; [unrolled: 1-line block ×5, first 2 shown]
	v_mov_b32_e32 v21, 0
	ds_load_2addr_b64 v[22:25], v21 offset0:85 offset1:86
	ds_load_2addr_b64 v[26:29], v21 offset0:87 offset1:88
	;; [unrolled: 1-line block ×3, first 2 shown]
	scratch_load_b64 v[30:31], off, off offset:192
	s_mov_b32 s0, exec_lo
	s_wait_loadcnt_dscnt 0x502
	v_mul_f32_e32 v32, v23, v6
	v_dual_mul_f32 v153, v22, v6 :: v_dual_mul_f32 v154, v24, v8
	v_mul_f32_e32 v6, v25, v8
	s_wait_loadcnt_dscnt 0x300
	v_mul_f32_e32 v160, v158, v12
	v_fma_f32 v22, v22, v5, -v32
	v_dual_fmac_f32 v153, v23, v5 :: v_dual_fmac_f32 v154, v25, v7
	v_mul_f32_e32 v25, v28, v4
	v_fma_f32 v23, v24, v7, -v6
	ds_load_2addr_b64 v[5:8], v21 offset0:91 offset1:92
	v_mul_f32_e32 v24, v26, v2
	v_mul_f32_e32 v4, v29, v4
	;; [unrolled: 1-line block ×5, first 2 shown]
	v_dual_mul_f32 v2, v27, v2 :: v_dual_fmac_f32 v25, v29, v3
	v_fmac_f32_e32 v24, v27, v1
	v_fma_f32 v27, v28, v3, -v4
	v_fmac_f32_e32 v32, v157, v9
	v_fma_f32 v28, v156, v9, -v10
	;; [unrolled: 2-line block ×3, first 2 shown]
	ds_load_2addr_b64 v[9:12], v21 offset0:93 offset1:94
	s_wait_loadcnt_dscnt 0x201
	v_dual_mul_f32 v157, v7, v16 :: v_dual_mul_f32 v156, v5, v14
	v_mul_f32_e32 v14, v6, v14
	v_mul_f32_e32 v16, v8, v16
	s_delay_alu instid0(VALU_DEP_3)
	v_fmac_f32_e32 v157, v8, v15
	v_fma_f32 v26, v26, v1, -v2
	scratch_load_b128 v[1:4], off, off offset:280
	v_fmac_f32_e32 v156, v6, v13
	v_fma_f32 v13, v5, v13, -v14
	v_fma_f32 v14, v7, v15, -v16
	ds_load_2addr_b64 v[5:8], v21 offset0:95 offset1:96
	s_wait_loadcnt_dscnt 0x201
	v_mul_f32_e32 v15, v9, v18
	v_mul_f32_e32 v16, v10, v18
	;; [unrolled: 1-line block ×3, first 2 shown]
	s_delay_alu instid0(VALU_DEP_3) | instskip(NEXT) | instid1(VALU_DEP_3)
	v_dual_mul_f32 v20, v12, v20 :: v_dual_fmac_f32 v15, v10, v17
	v_fma_f32 v16, v9, v17, -v16
	s_delay_alu instid0(VALU_DEP_3) | instskip(NEXT) | instid1(VALU_DEP_3)
	v_fmac_f32_e32 v18, v12, v19
	v_fma_f32 v17, v11, v19, -v20
	scratch_load_b128 v[9:12], off, off offset:296
	s_wait_loadcnt_dscnt 0x100
	v_mul_f32_e32 v19, v5, v2
	v_mul_f32_e32 v2, v6, v2
	v_mul_f32_e32 v20, v7, v4
	s_delay_alu instid0(VALU_DEP_3) | instskip(NEXT) | instid1(VALU_DEP_3)
	v_dual_mul_f32 v4, v8, v4 :: v_dual_fmac_f32 v19, v6, v1
	v_fma_f32 v158, v5, v1, -v2
	s_delay_alu instid0(VALU_DEP_3) | instskip(NEXT) | instid1(VALU_DEP_3)
	v_fmac_f32_e32 v20, v8, v3
	v_fma_f32 v159, v7, v3, -v4
	ds_load_2addr_b64 v[1:4], v21 offset0:97 offset1:98
	ds_load_2addr_b64 v[5:8], v21 offset0:99 offset1:100
	s_wait_loadcnt_dscnt 0x1
	v_mul_f32_e32 v161, v1, v10
	v_mul_f32_e32 v10, v2, v10
	s_delay_alu instid0(VALU_DEP_2) | instskip(NEXT) | instid1(VALU_DEP_2)
	v_dual_mul_f32 v162, v3, v12 :: v_dual_fmac_f32 v161, v2, v9
	v_fma_f32 v163, v1, v9, -v10
	v_mul_f32_e32 v1, v4, v12
	s_delay_alu instid0(VALU_DEP_3) | instskip(NEXT) | instid1(VALU_DEP_2)
	v_fmac_f32_e32 v162, v4, v11
	v_fma_f32 v164, v3, v11, -v1
	s_clause 0x1
	scratch_load_b128 v[1:4], off, off offset:312
	scratch_load_b128 v[9:12], off, off offset:328
	s_wait_loadcnt_dscnt 0x100
	v_mul_f32_e32 v165, v5, v2
	v_dual_mul_f32 v2, v6, v2 :: v_dual_mul_f32 v167, v7, v4
	s_delay_alu instid0(VALU_DEP_2) | instskip(NEXT) | instid1(VALU_DEP_2)
	v_fmac_f32_e32 v165, v6, v1
	v_fma_f32 v166, v5, v1, -v2
	v_mul_f32_e32 v1, v8, v4
	s_delay_alu instid0(VALU_DEP_4) | instskip(NEXT) | instid1(VALU_DEP_2)
	v_fmac_f32_e32 v167, v8, v3
	v_fma_f32 v168, v7, v3, -v1
	ds_load_2addr_b64 v[1:4], v21 offset0:101 offset1:102
	ds_load_2addr_b64 v[5:8], v21 offset0:103 offset1:104
	s_wait_loadcnt_dscnt 0x1
	v_mul_f32_e32 v169, v1, v10
	v_mul_f32_e32 v171, v3, v12
	s_delay_alu instid0(VALU_DEP_2) | instskip(NEXT) | instid1(VALU_DEP_2)
	v_fmac_f32_e32 v169, v2, v9
	v_dual_mul_f32 v2, v2, v10 :: v_dual_fmac_f32 v171, v4, v11
	s_delay_alu instid0(VALU_DEP_1) | instskip(SKIP_1) | instid1(VALU_DEP_1)
	v_fma_f32 v170, v1, v9, -v2
	v_mul_f32_e32 v1, v4, v12
	v_fma_f32 v172, v3, v11, -v1
	s_clause 0x1
	scratch_load_b128 v[1:4], off, off offset:344
	scratch_load_b128 v[9:12], off, off offset:360
	s_wait_loadcnt_dscnt 0x100
	v_mul_f32_e32 v173, v5, v2
	v_dual_mul_f32 v2, v6, v2 :: v_dual_mul_f32 v175, v7, v4
	s_delay_alu instid0(VALU_DEP_2) | instskip(NEXT) | instid1(VALU_DEP_2)
	v_fmac_f32_e32 v173, v6, v1
	v_fma_f32 v174, v5, v1, -v2
	v_mul_f32_e32 v1, v8, v4
	s_delay_alu instid0(VALU_DEP_4) | instskip(NEXT) | instid1(VALU_DEP_2)
	v_fmac_f32_e32 v175, v8, v3
	v_fma_f32 v176, v7, v3, -v1
	ds_load_2addr_b64 v[1:4], v21 offset0:105 offset1:106
	ds_load_2addr_b64 v[5:8], v21 offset0:107 offset1:108
	s_wait_loadcnt_dscnt 0x1
	v_mul_f32_e32 v177, v1, v10
	v_mul_f32_e32 v179, v3, v12
	s_delay_alu instid0(VALU_DEP_2) | instskip(NEXT) | instid1(VALU_DEP_2)
	v_fmac_f32_e32 v177, v2, v9
	v_dual_mul_f32 v2, v2, v10 :: v_dual_fmac_f32 v179, v4, v11
	s_delay_alu instid0(VALU_DEP_1) | instskip(SKIP_1) | instid1(VALU_DEP_1)
	v_fma_f32 v178, v1, v9, -v2
	v_mul_f32_e32 v1, v4, v12
	v_fma_f32 v180, v3, v11, -v1
	s_clause 0x1
	scratch_load_b128 v[1:4], off, off offset:376
	scratch_load_b128 v[9:12], off, off offset:392
	s_wait_loadcnt_dscnt 0x100
	v_mul_f32_e32 v181, v5, v2
	v_dual_mul_f32 v2, v6, v2 :: v_dual_mul_f32 v183, v7, v4
	s_delay_alu instid0(VALU_DEP_1) | instskip(NEXT) | instid1(VALU_DEP_2)
	v_fma_f32 v182, v5, v1, -v2
	v_dual_add_f32 v2, 0, v153 :: v_dual_fmac_f32 v183, v8, v3
	s_delay_alu instid0(VALU_DEP_4) | instskip(NEXT) | instid1(VALU_DEP_2)
	v_fmac_f32_e32 v181, v6, v1
	v_add_f32_e32 v2, v2, v154
	s_delay_alu instid0(VALU_DEP_1) | instskip(NEXT) | instid1(VALU_DEP_1)
	v_add_f32_e32 v2, v2, v24
	v_dual_mul_f32 v1, v8, v4 :: v_dual_add_f32 v2, v2, v25
	s_delay_alu instid0(VALU_DEP_1) | instskip(NEXT) | instid1(VALU_DEP_2)
	v_fma_f32 v184, v7, v3, -v1
	v_dual_add_f32 v1, 0, v22 :: v_dual_add_f32 v2, v2, v32
	s_delay_alu instid0(VALU_DEP_1) | instskip(NEXT) | instid1(VALU_DEP_1)
	v_dual_add_f32 v1, v1, v23 :: v_dual_add_f32 v2, v2, v160
	v_dual_add_f32 v1, v1, v26 :: v_dual_add_f32 v2, v2, v156
	s_delay_alu instid0(VALU_DEP_1) | instskip(SKIP_2) | instid1(VALU_DEP_1)
	v_add_f32_e32 v1, v1, v27
	scratch_load_b64 v[26:27], off, off offset:472
	v_dual_add_f32 v2, v2, v157 :: v_dual_add_f32 v1, v1, v28
	v_dual_add_f32 v2, v2, v15 :: v_dual_add_f32 v1, v1, v29
	s_delay_alu instid0(VALU_DEP_1) | instskip(NEXT) | instid1(VALU_DEP_2)
	v_add_f32_e32 v5, v2, v18
	v_add_f32_e32 v1, v1, v13
	s_delay_alu instid0(VALU_DEP_2) | instskip(NEXT) | instid1(VALU_DEP_2)
	v_add_f32_e32 v13, v5, v19
	v_add_f32_e32 v1, v1, v14
	s_delay_alu instid0(VALU_DEP_1) | instskip(NEXT) | instid1(VALU_DEP_1)
	v_add_f32_e32 v1, v1, v16
	v_add_f32_e32 v1, v1, v17
	s_delay_alu instid0(VALU_DEP_1) | instskip(SKIP_4) | instid1(VALU_DEP_1)
	v_add_f32_e32 v6, v1, v158
	scratch_load_b128 v[1:4], off, off offset:408
	v_add_f32_e32 v14, v6, v159
	ds_load_2addr_b64 v[5:8], v21 offset0:109 offset1:110
	v_dual_add_f32 v13, v13, v20 :: v_dual_add_f32 v14, v14, v163
	v_add_f32_e32 v13, v13, v161
	s_delay_alu instid0(VALU_DEP_1) | instskip(SKIP_4) | instid1(VALU_DEP_2)
	v_dual_add_f32 v17, v14, v164 :: v_dual_add_f32 v18, v13, v162
	ds_load_2addr_b64 v[13:16], v21 offset0:111 offset1:112
	v_add_f32_e32 v18, v18, v165
	s_wait_loadcnt_dscnt 0x201
	v_mul_f32_e32 v32, v5, v10
	v_dual_add_f32 v18, v18, v167 :: v_dual_add_f32 v17, v17, v166
	v_mul_f32_e32 v10, v6, v10
	s_delay_alu instid0(VALU_DEP_3) | instskip(NEXT) | instid1(VALU_DEP_3)
	v_fmac_f32_e32 v32, v6, v9
	v_dual_add_f32 v22, v18, v169 :: v_dual_mul_f32 v153, v7, v12
	v_mul_f32_e32 v12, v8, v12
	s_delay_alu instid0(VALU_DEP_4) | instskip(NEXT) | instid1(VALU_DEP_3)
	v_fma_f32 v154, v5, v9, -v10
	v_add_f32_e32 v22, v22, v171
	s_delay_alu instid0(VALU_DEP_4) | instskip(NEXT) | instid1(VALU_DEP_4)
	v_fmac_f32_e32 v153, v8, v11
	v_fma_f32 v156, v7, v11, -v12
	scratch_load_b128 v[5:8], off, off offset:424
	v_dual_add_f32 v17, v17, v168 :: v_dual_add_f32 v22, v22, v173
	scratch_load_b128 v[9:12], off, off offset:440
	v_dual_add_f32 v17, v17, v170 :: v_dual_add_f32 v22, v22, v175
	s_wait_loadcnt_dscnt 0x200
	v_mul_f32_e32 v158, v15, v4
	s_delay_alu instid0(VALU_DEP_2)
	v_add_f32_e32 v23, v17, v172
	scratch_load_b128 v[17:20], off, off offset:456
	v_mul_f32_e32 v157, v13, v2
	v_mul_f32_e32 v2, v14, v2
	;; [unrolled: 1-line block ×3, first 2 shown]
	v_dual_fmac_f32 v158, v16, v3 :: v_dual_add_f32 v23, v23, v174
	s_delay_alu instid0(VALU_DEP_4) | instskip(NEXT) | instid1(VALU_DEP_4)
	v_fmac_f32_e32 v157, v14, v1
	v_fma_f32 v159, v13, v1, -v2
	s_delay_alu instid0(VALU_DEP_4) | instskip(SKIP_2) | instid1(VALU_DEP_1)
	v_fma_f32 v160, v15, v3, -v4
	ds_load_2addr_b64 v[1:4], v21 offset0:113 offset1:114
	v_add_f32_e32 v13, v22, v177
	v_dual_add_f32 v23, v23, v176 :: v_dual_add_f32 v22, v13, v179
	s_delay_alu instid0(VALU_DEP_1) | instskip(NEXT) | instid1(VALU_DEP_1)
	v_add_f32_e32 v29, v22, v181
	v_dual_add_f32 v23, v23, v178 :: v_dual_add_f32 v162, v29, v183
	s_delay_alu instid0(VALU_DEP_1)
	v_add_f32_e32 v14, v23, v180
	ds_load_2addr_b64 v[22:25], v21 offset0:117 offset1:118
	v_add_f32_e32 v28, v14, v182
	ds_load_2addr_b64 v[13:16], v21 offset0:115 offset1:116
	v_add_f32_e32 v32, v162, v32
	s_wait_loadcnt_dscnt 0x202
	s_delay_alu instid0(VALU_DEP_1)
	v_dual_add_f32 v32, v32, v153 :: v_dual_mul_f32 v153, v3, v8
	v_add_f32_e32 v161, v28, v184
	ds_load_b64 v[28:29], v21 offset:952
	v_mul_f32_e32 v8, v4, v8
	v_dual_fmac_f32 v153, v4, v7 :: v_dual_add_f32 v154, v161, v154
	v_mul_f32_e32 v161, v1, v6
	v_mul_f32_e32 v6, v2, v6
	v_add_f32_e32 v32, v32, v157
	s_delay_alu instid0(VALU_DEP_4) | instskip(NEXT) | instid1(VALU_DEP_4)
	v_add_f32_e32 v154, v154, v156
	v_fmac_f32_e32 v161, v2, v5
	s_delay_alu instid0(VALU_DEP_4)
	v_fma_f32 v1, v1, v5, -v6
	v_fma_f32 v2, v3, v7, -v8
	s_wait_loadcnt_dscnt 0x101
	v_dual_mul_f32 v5, v16, v12 :: v_dual_add_f32 v154, v154, v159
	v_mul_f32_e32 v3, v14, v10
	v_dual_mul_f32 v156, v13, v10 :: v_dual_mul_f32 v157, v15, v12
	s_delay_alu instid0(VALU_DEP_3) | instskip(NEXT) | instid1(VALU_DEP_4)
	v_fma_f32 v5, v15, v11, -v5
	v_add_f32_e32 v154, v154, v160
	s_delay_alu instid0(VALU_DEP_4) | instskip(NEXT) | instid1(VALU_DEP_4)
	v_fma_f32 v3, v13, v9, -v3
	v_dual_fmac_f32 v156, v14, v9 :: v_dual_fmac_f32 v157, v16, v11
	s_delay_alu instid0(VALU_DEP_3) | instskip(NEXT) | instid1(VALU_DEP_1)
	v_add_f32_e32 v1, v154, v1
	v_add_f32_e32 v1, v1, v2
	s_delay_alu instid0(VALU_DEP_1) | instskip(NEXT) | instid1(VALU_DEP_1)
	v_add_f32_e32 v1, v1, v3
	v_add_f32_e32 v1, v1, v5
	s_wait_dscnt 0x0
	v_mul_f32_e32 v5, v29, v27
	s_wait_loadcnt 0x0
	v_mul_f32_e32 v159, v22, v18
	v_add_f32_e32 v32, v32, v158
	v_mul_f32_e32 v160, v24, v20
	v_dual_mul_f32 v158, v28, v27 :: v_dual_mul_f32 v3, v25, v20
	s_delay_alu instid0(VALU_DEP_4) | instskip(NEXT) | instid1(VALU_DEP_4)
	v_fmac_f32_e32 v159, v23, v17
	v_add_f32_e32 v4, v32, v161
	s_delay_alu instid0(VALU_DEP_3) | instskip(NEXT) | instid1(VALU_DEP_4)
	v_fmac_f32_e32 v158, v29, v26
	v_fma_f32 v3, v24, v19, -v3
	s_delay_alu instid0(VALU_DEP_3) | instskip(SKIP_1) | instid1(VALU_DEP_2)
	v_add_f32_e32 v2, v4, v153
	v_mul_f32_e32 v4, v23, v18
	v_add_f32_e32 v2, v2, v156
	s_delay_alu instid0(VALU_DEP_2) | instskip(NEXT) | instid1(VALU_DEP_1)
	v_fma_f32 v4, v22, v17, -v4
	v_dual_add_f32 v2, v2, v157 :: v_dual_add_f32 v1, v1, v4
	v_fma_f32 v4, v28, v26, -v5
	s_delay_alu instid0(VALU_DEP_2) | instskip(NEXT) | instid1(VALU_DEP_3)
	v_add_f32_e32 v2, v2, v159
	v_add_f32_e32 v1, v1, v3
	s_delay_alu instid0(VALU_DEP_1) | instskip(NEXT) | instid1(VALU_DEP_1)
	v_add_f32_e32 v1, v1, v4
	v_dual_fmac_f32 v160, v25, v19 :: v_dual_sub_f32 v1, v30, v1
	s_delay_alu instid0(VALU_DEP_1) | instskip(NEXT) | instid1(VALU_DEP_1)
	v_add_f32_e32 v2, v2, v160
	v_add_f32_e32 v2, v2, v158
	s_delay_alu instid0(VALU_DEP_1)
	v_sub_f32_e32 v2, v31, v2
	scratch_store_b64 off, v[1:2], off offset:192
	v_cmpx_lt_u32_e32 23, v0
	s_cbranch_execz .LBB123_327
; %bb.326:
	scratch_load_b64 v[1:2], off, off offset:184
	v_mov_b32_e32 v22, v21
	scratch_store_b64 off, v[21:22], off offset:184
	s_wait_loadcnt 0x0
	ds_store_b64 v155, v[1:2]
.LBB123_327:
	s_wait_alu 0xfffe
	s_or_b32 exec_lo, exec_lo, s0
	s_wait_storecnt_dscnt 0x0
	s_barrier_signal -1
	s_barrier_wait -1
	global_inv scope:SCOPE_SE
	s_clause 0x4
	scratch_load_b128 v[5:8], off, off offset:192
	scratch_load_b128 v[1:4], off, off offset:208
	;; [unrolled: 1-line block ×5, first 2 shown]
	ds_load_b128 v[22:25], v21 offset:672
	ds_load_b128 v[26:29], v21 offset:688
	;; [unrolled: 1-line block ×3, first 2 shown]
	scratch_load_b64 v[30:31], off, off offset:184
	s_mov_b32 s0, exec_lo
	s_wait_loadcnt_dscnt 0x502
	v_mul_f32_e32 v32, v23, v6
	v_dual_mul_f32 v153, v22, v6 :: v_dual_mul_f32 v154, v24, v8
	v_mul_f32_e32 v6, v25, v8
	s_wait_loadcnt_dscnt 0x300
	v_mul_f32_e32 v160, v158, v12
	v_mul_f32_e32 v12, v159, v12
	v_dual_fmac_f32 v153, v23, v5 :: v_dual_fmac_f32 v154, v25, v7
	v_fma_f32 v23, v24, v7, -v6
	v_mul_f32_e32 v25, v28, v4
	v_fma_f32 v22, v22, v5, -v32
	ds_load_b128 v[5:8], v21 offset:720
	v_mul_f32_e32 v24, v26, v2
	v_mul_f32_e32 v4, v29, v4
	;; [unrolled: 1-line block ×4, first 2 shown]
	v_dual_mul_f32 v2, v27, v2 :: v_dual_fmac_f32 v25, v29, v3
	v_fmac_f32_e32 v24, v27, v1
	v_fma_f32 v27, v28, v3, -v4
	v_fmac_f32_e32 v32, v157, v9
	v_fma_f32 v28, v156, v9, -v10
	;; [unrolled: 2-line block ×3, first 2 shown]
	ds_load_b128 v[9:12], v21 offset:736
	s_wait_loadcnt_dscnt 0x201
	v_dual_mul_f32 v157, v7, v16 :: v_dual_mul_f32 v156, v5, v14
	v_mul_f32_e32 v14, v6, v14
	v_mul_f32_e32 v16, v8, v16
	s_delay_alu instid0(VALU_DEP_3)
	v_fmac_f32_e32 v157, v8, v15
	v_fma_f32 v26, v26, v1, -v2
	scratch_load_b128 v[1:4], off, off offset:272
	v_fmac_f32_e32 v156, v6, v13
	v_fma_f32 v13, v5, v13, -v14
	v_fma_f32 v14, v7, v15, -v16
	ds_load_b128 v[5:8], v21 offset:752
	s_wait_loadcnt_dscnt 0x201
	v_mul_f32_e32 v15, v9, v18
	v_mul_f32_e32 v16, v10, v18
	;; [unrolled: 1-line block ×3, first 2 shown]
	s_delay_alu instid0(VALU_DEP_3) | instskip(NEXT) | instid1(VALU_DEP_3)
	v_dual_mul_f32 v20, v12, v20 :: v_dual_fmac_f32 v15, v10, v17
	v_fma_f32 v16, v9, v17, -v16
	s_delay_alu instid0(VALU_DEP_3) | instskip(NEXT) | instid1(VALU_DEP_3)
	v_fmac_f32_e32 v18, v12, v19
	v_fma_f32 v17, v11, v19, -v20
	scratch_load_b128 v[9:12], off, off offset:288
	s_wait_loadcnt_dscnt 0x100
	v_mul_f32_e32 v19, v5, v2
	v_mul_f32_e32 v2, v6, v2
	;; [unrolled: 1-line block ×3, first 2 shown]
	s_delay_alu instid0(VALU_DEP_3) | instskip(NEXT) | instid1(VALU_DEP_3)
	v_dual_mul_f32 v4, v8, v4 :: v_dual_fmac_f32 v19, v6, v1
	v_fma_f32 v158, v5, v1, -v2
	s_delay_alu instid0(VALU_DEP_3) | instskip(NEXT) | instid1(VALU_DEP_3)
	v_fmac_f32_e32 v20, v8, v3
	v_fma_f32 v159, v7, v3, -v4
	ds_load_b128 v[1:4], v21 offset:768
	ds_load_b128 v[5:8], v21 offset:784
	s_wait_loadcnt_dscnt 0x1
	v_mul_f32_e32 v161, v1, v10
	v_mul_f32_e32 v10, v2, v10
	s_delay_alu instid0(VALU_DEP_2) | instskip(NEXT) | instid1(VALU_DEP_2)
	v_dual_mul_f32 v162, v3, v12 :: v_dual_fmac_f32 v161, v2, v9
	v_fma_f32 v163, v1, v9, -v10
	v_mul_f32_e32 v1, v4, v12
	s_delay_alu instid0(VALU_DEP_3) | instskip(NEXT) | instid1(VALU_DEP_2)
	v_fmac_f32_e32 v162, v4, v11
	v_fma_f32 v164, v3, v11, -v1
	s_clause 0x1
	scratch_load_b128 v[1:4], off, off offset:304
	scratch_load_b128 v[9:12], off, off offset:320
	s_wait_loadcnt_dscnt 0x100
	v_mul_f32_e32 v165, v5, v2
	v_dual_mul_f32 v2, v6, v2 :: v_dual_mul_f32 v167, v7, v4
	s_delay_alu instid0(VALU_DEP_2) | instskip(NEXT) | instid1(VALU_DEP_2)
	v_fmac_f32_e32 v165, v6, v1
	v_fma_f32 v166, v5, v1, -v2
	v_mul_f32_e32 v1, v8, v4
	s_delay_alu instid0(VALU_DEP_4) | instskip(NEXT) | instid1(VALU_DEP_2)
	v_fmac_f32_e32 v167, v8, v3
	v_fma_f32 v168, v7, v3, -v1
	ds_load_b128 v[1:4], v21 offset:800
	ds_load_b128 v[5:8], v21 offset:816
	s_wait_loadcnt_dscnt 0x1
	v_mul_f32_e32 v169, v1, v10
	v_mul_f32_e32 v171, v3, v12
	s_delay_alu instid0(VALU_DEP_2) | instskip(NEXT) | instid1(VALU_DEP_2)
	v_fmac_f32_e32 v169, v2, v9
	v_dual_mul_f32 v2, v2, v10 :: v_dual_fmac_f32 v171, v4, v11
	s_delay_alu instid0(VALU_DEP_1) | instskip(SKIP_1) | instid1(VALU_DEP_1)
	v_fma_f32 v170, v1, v9, -v2
	v_mul_f32_e32 v1, v4, v12
	v_fma_f32 v172, v3, v11, -v1
	s_clause 0x1
	scratch_load_b128 v[1:4], off, off offset:336
	scratch_load_b128 v[9:12], off, off offset:352
	s_wait_loadcnt_dscnt 0x100
	v_mul_f32_e32 v173, v5, v2
	v_dual_mul_f32 v2, v6, v2 :: v_dual_mul_f32 v175, v7, v4
	s_delay_alu instid0(VALU_DEP_2) | instskip(NEXT) | instid1(VALU_DEP_2)
	v_fmac_f32_e32 v173, v6, v1
	v_fma_f32 v174, v5, v1, -v2
	v_mul_f32_e32 v1, v8, v4
	s_delay_alu instid0(VALU_DEP_4) | instskip(NEXT) | instid1(VALU_DEP_2)
	v_fmac_f32_e32 v175, v8, v3
	v_fma_f32 v176, v7, v3, -v1
	ds_load_b128 v[1:4], v21 offset:832
	ds_load_b128 v[5:8], v21 offset:848
	s_wait_loadcnt_dscnt 0x1
	v_mul_f32_e32 v177, v1, v10
	v_mul_f32_e32 v179, v3, v12
	s_delay_alu instid0(VALU_DEP_2) | instskip(NEXT) | instid1(VALU_DEP_2)
	v_fmac_f32_e32 v177, v2, v9
	v_dual_mul_f32 v2, v2, v10 :: v_dual_fmac_f32 v179, v4, v11
	s_delay_alu instid0(VALU_DEP_1) | instskip(SKIP_1) | instid1(VALU_DEP_1)
	v_fma_f32 v178, v1, v9, -v2
	v_mul_f32_e32 v1, v4, v12
	v_fma_f32 v180, v3, v11, -v1
	s_clause 0x1
	scratch_load_b128 v[1:4], off, off offset:368
	scratch_load_b128 v[9:12], off, off offset:384
	s_wait_loadcnt_dscnt 0x100
	v_mul_f32_e32 v181, v5, v2
	v_dual_mul_f32 v2, v6, v2 :: v_dual_mul_f32 v183, v7, v4
	s_delay_alu instid0(VALU_DEP_2) | instskip(NEXT) | instid1(VALU_DEP_2)
	v_fmac_f32_e32 v181, v6, v1
	v_fma_f32 v182, v5, v1, -v2
	v_mul_f32_e32 v1, v8, v4
	s_delay_alu instid0(VALU_DEP_4) | instskip(NEXT) | instid1(VALU_DEP_2)
	v_fmac_f32_e32 v183, v8, v3
	v_fma_f32 v184, v7, v3, -v1
	ds_load_b128 v[1:4], v21 offset:864
	ds_load_b128 v[5:8], v21 offset:880
	s_wait_loadcnt_dscnt 0x1
	v_mul_f32_e32 v185, v1, v10
	v_mul_f32_e32 v187, v3, v12
	s_delay_alu instid0(VALU_DEP_2) | instskip(NEXT) | instid1(VALU_DEP_2)
	v_fmac_f32_e32 v185, v2, v9
	v_dual_mul_f32 v2, v2, v10 :: v_dual_fmac_f32 v187, v4, v11
	s_delay_alu instid0(VALU_DEP_1) | instskip(SKIP_1) | instid1(VALU_DEP_1)
	v_fma_f32 v186, v1, v9, -v2
	v_mul_f32_e32 v1, v4, v12
	v_fma_f32 v188, v3, v11, -v1
	s_clause 0x1
	scratch_load_b128 v[1:4], off, off offset:400
	scratch_load_b128 v[9:12], off, off offset:416
	s_wait_loadcnt_dscnt 0x100
	v_mul_f32_e32 v189, v5, v2
	v_mul_f32_e32 v2, v6, v2
	s_delay_alu instid0(VALU_DEP_1) | instskip(SKIP_1) | instid1(VALU_DEP_1)
	v_fma_f32 v190, v5, v1, -v2
	v_add_f32_e32 v2, 0, v153
	v_add_f32_e32 v2, v2, v154
	s_delay_alu instid0(VALU_DEP_1) | instskip(NEXT) | instid1(VALU_DEP_1)
	v_add_f32_e32 v2, v2, v24
	v_add_f32_e32 v2, v2, v25
	s_delay_alu instid0(VALU_DEP_1) | instskip(SKIP_1) | instid1(VALU_DEP_2)
	v_add_f32_e32 v2, v2, v32
	v_fmac_f32_e32 v189, v6, v1
	v_add_f32_e32 v2, v2, v160
	s_delay_alu instid0(VALU_DEP_1) | instskip(NEXT) | instid1(VALU_DEP_1)
	v_add_f32_e32 v2, v2, v156
	v_dual_add_f32 v2, v2, v157 :: v_dual_mul_f32 v191, v7, v4
	s_delay_alu instid0(VALU_DEP_1) | instskip(NEXT) | instid1(VALU_DEP_1)
	v_add_f32_e32 v2, v2, v15
	v_dual_fmac_f32 v191, v8, v3 :: v_dual_add_f32 v2, v2, v18
	s_delay_alu instid0(VALU_DEP_1) | instskip(NEXT) | instid1(VALU_DEP_1)
	v_dual_mul_f32 v1, v8, v4 :: v_dual_add_f32 v2, v2, v19
	v_fma_f32 v192, v7, v3, -v1
	s_delay_alu instid0(VALU_DEP_2) | instskip(NEXT) | instid1(VALU_DEP_1)
	v_dual_add_f32 v1, 0, v22 :: v_dual_add_f32 v2, v2, v20
	v_add_f32_e32 v1, v1, v23
	s_delay_alu instid0(VALU_DEP_2) | instskip(NEXT) | instid1(VALU_DEP_2)
	v_add_f32_e32 v5, v2, v161
	v_add_f32_e32 v1, v1, v26
	s_delay_alu instid0(VALU_DEP_2) | instskip(NEXT) | instid1(VALU_DEP_2)
	v_add_f32_e32 v5, v5, v162
	;; [unrolled: 3-line block ×3, first 2 shown]
	v_add_f32_e32 v1, v1, v28
	s_delay_alu instid0(VALU_DEP_1) | instskip(NEXT) | instid1(VALU_DEP_1)
	v_add_f32_e32 v1, v1, v29
	v_add_f32_e32 v1, v1, v13
	s_delay_alu instid0(VALU_DEP_1) | instskip(SKIP_1) | instid1(VALU_DEP_1)
	v_add_f32_e32 v1, v1, v14
	v_add_f32_e32 v14, v5, v167
	v_dual_add_f32 v14, v14, v169 :: v_dual_add_f32 v1, v1, v16
	s_delay_alu instid0(VALU_DEP_1) | instskip(NEXT) | instid1(VALU_DEP_1)
	v_dual_add_f32 v14, v14, v171 :: v_dual_add_f32 v1, v1, v17
	v_add_f32_e32 v17, v14, v173
	s_delay_alu instid0(VALU_DEP_2) | instskip(NEXT) | instid1(VALU_DEP_2)
	v_add_f32_e32 v1, v1, v158
	v_add_f32_e32 v17, v17, v175
	s_delay_alu instid0(VALU_DEP_2) | instskip(NEXT) | instid1(VALU_DEP_2)
	v_add_f32_e32 v1, v1, v159
	;; [unrolled: 3-line block ×3, first 2 shown]
	v_add_f32_e32 v17, v17, v179
	s_delay_alu instid0(VALU_DEP_2) | instskip(SKIP_2) | instid1(VALU_DEP_1)
	v_add_f32_e32 v6, v1, v164
	ds_load_b128 v[1:4], v21 offset:896
	v_dual_add_f32 v23, v17, v181 :: v_dual_add_f32 v6, v6, v166
	v_add_f32_e32 v32, v23, v183
	s_delay_alu instid0(VALU_DEP_1) | instskip(NEXT) | instid1(VALU_DEP_1)
	v_add_f32_e32 v32, v32, v185
	v_dual_add_f32 v32, v32, v187 :: v_dual_add_f32 v13, v6, v168
	ds_load_b128 v[5:8], v21 offset:912
	s_wait_loadcnt_dscnt 0x1
	v_mul_f32_e32 v26, v3, v12
	v_mul_f32_e32 v12, v4, v12
	v_dual_add_f32 v32, v32, v189 :: v_dual_mul_f32 v25, v1, v10
	v_mul_f32_e32 v10, v2, v10
	s_delay_alu instid0(VALU_DEP_4) | instskip(NEXT) | instid1(VALU_DEP_4)
	v_fmac_f32_e32 v26, v4, v11
	v_fma_f32 v28, v3, v11, -v12
	s_delay_alu instid0(VALU_DEP_4) | instskip(NEXT) | instid1(VALU_DEP_4)
	v_dual_add_f32 v32, v32, v191 :: v_dual_fmac_f32 v25, v2, v9
	v_fma_f32 v27, v1, v9, -v10
	s_clause 0x1
	scratch_load_b128 v[1:4], off, off offset:432
	scratch_load_b128 v[9:12], off, off offset:448
	s_wait_loadcnt_dscnt 0x100
	v_dual_add_f32 v13, v13, v170 :: v_dual_mul_f32 v154, v7, v4
	s_delay_alu instid0(VALU_DEP_1) | instskip(SKIP_3) | instid1(VALU_DEP_4)
	v_add_f32_e32 v13, v13, v172
	v_mul_f32_e32 v153, v5, v2
	v_mul_f32_e32 v2, v6, v2
	;; [unrolled: 1-line block ×3, first 2 shown]
	v_dual_fmac_f32 v154, v8, v3 :: v_dual_add_f32 v13, v13, v174
	s_delay_alu instid0(VALU_DEP_4) | instskip(NEXT) | instid1(VALU_DEP_4)
	v_fmac_f32_e32 v153, v6, v1
	v_fma_f32 v2, v5, v1, -v2
	s_delay_alu instid0(VALU_DEP_4) | instskip(NEXT) | instid1(VALU_DEP_4)
	v_fma_f32 v3, v7, v3, -v4
	v_add_f32_e32 v18, v13, v176
	scratch_load_b128 v[13:16], off, off offset:464
	v_add_f32_e32 v18, v18, v178
	s_delay_alu instid0(VALU_DEP_1) | instskip(NEXT) | instid1(VALU_DEP_1)
	v_add_f32_e32 v18, v18, v180
	v_add_f32_e32 v22, v18, v182
	ds_load_b128 v[17:20], v21 offset:928
	s_wait_loadcnt_dscnt 0x100
	v_dual_mul_f32 v156, v17, v10 :: v_dual_add_f32 v25, v32, v25
	v_mul_f32_e32 v6, v18, v10
	v_mul_f32_e32 v4, v20, v12
	s_delay_alu instid0(VALU_DEP_3)
	v_dual_fmac_f32 v156, v18, v9 :: v_dual_add_f32 v5, v25, v26
	v_add_f32_e32 v29, v22, v184
	ds_load_b128 v[21:24], v21 offset:944
	v_fma_f32 v4, v19, v11, -v4
	v_add_f32_e32 v29, v29, v186
	s_wait_loadcnt_dscnt 0x0
	v_mul_f32_e32 v158, v21, v14
	s_delay_alu instid0(VALU_DEP_1) | instskip(SKIP_1) | instid1(VALU_DEP_1)
	v_dual_add_f32 v29, v29, v188 :: v_dual_fmac_f32 v158, v22, v13
	v_mul_f32_e32 v157, v19, v12
	v_fmac_f32_e32 v157, v20, v11
	s_delay_alu instid0(VALU_DEP_3) | instskip(NEXT) | instid1(VALU_DEP_1)
	v_add_f32_e32 v29, v29, v190
	v_add_f32_e32 v29, v29, v192
	s_delay_alu instid0(VALU_DEP_1) | instskip(SKIP_1) | instid1(VALU_DEP_2)
	v_add_f32_e32 v27, v29, v27
	v_mul_f32_e32 v29, v23, v16
	v_add_f32_e32 v1, v27, v28
	s_delay_alu instid0(VALU_DEP_2) | instskip(NEXT) | instid1(VALU_DEP_2)
	v_fmac_f32_e32 v29, v24, v15
	v_add_f32_e32 v1, v1, v2
	v_add_f32_e32 v2, v5, v153
	v_fma_f32 v5, v17, v9, -v6
	s_delay_alu instid0(VALU_DEP_2) | instskip(SKIP_1) | instid1(VALU_DEP_2)
	v_dual_add_f32 v1, v1, v3 :: v_dual_add_f32 v2, v2, v154
	v_mul_f32_e32 v3, v22, v14
	v_dual_add_f32 v1, v1, v5 :: v_dual_add_f32 v2, v2, v156
	v_mul_f32_e32 v5, v24, v16
	s_delay_alu instid0(VALU_DEP_3) | instskip(NEXT) | instid1(VALU_DEP_3)
	v_fma_f32 v3, v21, v13, -v3
	v_dual_add_f32 v1, v1, v4 :: v_dual_add_f32 v2, v2, v157
	s_delay_alu instid0(VALU_DEP_3) | instskip(NEXT) | instid1(VALU_DEP_2)
	v_fma_f32 v4, v23, v15, -v5
	v_dual_add_f32 v1, v1, v3 :: v_dual_add_f32 v2, v2, v158
	s_delay_alu instid0(VALU_DEP_1) | instskip(NEXT) | instid1(VALU_DEP_1)
	v_dual_add_f32 v1, v1, v4 :: v_dual_add_f32 v2, v2, v29
	v_dual_sub_f32 v1, v30, v1 :: v_dual_sub_f32 v2, v31, v2
	scratch_store_b64 off, v[1:2], off offset:184
	v_cmpx_lt_u32_e32 22, v0
	s_cbranch_execz .LBB123_329
; %bb.328:
	scratch_load_b64 v[1:2], off, off offset:176
	v_mov_b32_e32 v3, 0
	s_delay_alu instid0(VALU_DEP_1)
	v_mov_b32_e32 v4, v3
	scratch_store_b64 off, v[3:4], off offset:176
	s_wait_loadcnt 0x0
	ds_store_b64 v155, v[1:2]
.LBB123_329:
	s_wait_alu 0xfffe
	s_or_b32 exec_lo, exec_lo, s0
	s_wait_storecnt_dscnt 0x0
	s_barrier_signal -1
	s_barrier_wait -1
	global_inv scope:SCOPE_SE
	s_clause 0x4
	scratch_load_b128 v[5:8], off, off offset:184
	scratch_load_b128 v[1:4], off, off offset:200
	;; [unrolled: 1-line block ×5, first 2 shown]
	v_mov_b32_e32 v21, 0
	ds_load_2addr_b64 v[22:25], v21 offset0:83 offset1:84
	ds_load_2addr_b64 v[26:29], v21 offset0:85 offset1:86
	;; [unrolled: 1-line block ×3, first 2 shown]
	scratch_load_b64 v[30:31], off, off offset:176
	s_mov_b32 s0, exec_lo
	s_wait_loadcnt_dscnt 0x502
	v_mul_f32_e32 v32, v23, v6
	v_dual_mul_f32 v153, v22, v6 :: v_dual_mul_f32 v154, v24, v8
	v_mul_f32_e32 v6, v25, v8
	s_wait_loadcnt_dscnt 0x300
	v_mul_f32_e32 v160, v158, v12
	v_fma_f32 v22, v22, v5, -v32
	v_dual_fmac_f32 v153, v23, v5 :: v_dual_fmac_f32 v154, v25, v7
	v_mul_f32_e32 v25, v28, v4
	v_fma_f32 v23, v24, v7, -v6
	ds_load_2addr_b64 v[5:8], v21 offset0:89 offset1:90
	v_mul_f32_e32 v24, v26, v2
	v_mul_f32_e32 v4, v29, v4
	;; [unrolled: 1-line block ×5, first 2 shown]
	v_dual_mul_f32 v2, v27, v2 :: v_dual_fmac_f32 v25, v29, v3
	v_fmac_f32_e32 v24, v27, v1
	v_fma_f32 v27, v28, v3, -v4
	v_fmac_f32_e32 v32, v157, v9
	v_fma_f32 v28, v156, v9, -v10
	;; [unrolled: 2-line block ×3, first 2 shown]
	ds_load_2addr_b64 v[9:12], v21 offset0:91 offset1:92
	s_wait_loadcnt_dscnt 0x201
	v_dual_mul_f32 v157, v7, v16 :: v_dual_mul_f32 v156, v5, v14
	v_mul_f32_e32 v14, v6, v14
	v_mul_f32_e32 v16, v8, v16
	s_delay_alu instid0(VALU_DEP_3)
	v_fmac_f32_e32 v157, v8, v15
	v_fma_f32 v26, v26, v1, -v2
	scratch_load_b128 v[1:4], off, off offset:264
	v_fmac_f32_e32 v156, v6, v13
	v_fma_f32 v13, v5, v13, -v14
	v_fma_f32 v14, v7, v15, -v16
	ds_load_2addr_b64 v[5:8], v21 offset0:93 offset1:94
	s_wait_loadcnt_dscnt 0x201
	v_mul_f32_e32 v15, v9, v18
	v_mul_f32_e32 v16, v10, v18
	;; [unrolled: 1-line block ×3, first 2 shown]
	s_delay_alu instid0(VALU_DEP_3) | instskip(NEXT) | instid1(VALU_DEP_3)
	v_dual_mul_f32 v20, v12, v20 :: v_dual_fmac_f32 v15, v10, v17
	v_fma_f32 v16, v9, v17, -v16
	s_delay_alu instid0(VALU_DEP_3) | instskip(NEXT) | instid1(VALU_DEP_3)
	v_fmac_f32_e32 v18, v12, v19
	v_fma_f32 v17, v11, v19, -v20
	scratch_load_b128 v[9:12], off, off offset:280
	s_wait_loadcnt_dscnt 0x100
	v_mul_f32_e32 v19, v5, v2
	v_mul_f32_e32 v2, v6, v2
	;; [unrolled: 1-line block ×3, first 2 shown]
	s_delay_alu instid0(VALU_DEP_3) | instskip(NEXT) | instid1(VALU_DEP_3)
	v_dual_mul_f32 v4, v8, v4 :: v_dual_fmac_f32 v19, v6, v1
	v_fma_f32 v158, v5, v1, -v2
	s_delay_alu instid0(VALU_DEP_3) | instskip(NEXT) | instid1(VALU_DEP_3)
	v_fmac_f32_e32 v20, v8, v3
	v_fma_f32 v159, v7, v3, -v4
	ds_load_2addr_b64 v[1:4], v21 offset0:95 offset1:96
	ds_load_2addr_b64 v[5:8], v21 offset0:97 offset1:98
	s_wait_loadcnt_dscnt 0x1
	v_mul_f32_e32 v161, v1, v10
	v_mul_f32_e32 v10, v2, v10
	s_delay_alu instid0(VALU_DEP_2) | instskip(NEXT) | instid1(VALU_DEP_2)
	v_dual_mul_f32 v162, v3, v12 :: v_dual_fmac_f32 v161, v2, v9
	v_fma_f32 v163, v1, v9, -v10
	v_mul_f32_e32 v1, v4, v12
	s_delay_alu instid0(VALU_DEP_3) | instskip(NEXT) | instid1(VALU_DEP_2)
	v_fmac_f32_e32 v162, v4, v11
	v_fma_f32 v164, v3, v11, -v1
	s_clause 0x1
	scratch_load_b128 v[1:4], off, off offset:296
	scratch_load_b128 v[9:12], off, off offset:312
	s_wait_loadcnt_dscnt 0x100
	v_mul_f32_e32 v165, v5, v2
	v_dual_mul_f32 v2, v6, v2 :: v_dual_mul_f32 v167, v7, v4
	s_delay_alu instid0(VALU_DEP_2) | instskip(NEXT) | instid1(VALU_DEP_2)
	v_fmac_f32_e32 v165, v6, v1
	v_fma_f32 v166, v5, v1, -v2
	v_mul_f32_e32 v1, v8, v4
	s_delay_alu instid0(VALU_DEP_4) | instskip(NEXT) | instid1(VALU_DEP_2)
	v_fmac_f32_e32 v167, v8, v3
	v_fma_f32 v168, v7, v3, -v1
	ds_load_2addr_b64 v[1:4], v21 offset0:99 offset1:100
	ds_load_2addr_b64 v[5:8], v21 offset0:101 offset1:102
	s_wait_loadcnt_dscnt 0x1
	v_mul_f32_e32 v169, v1, v10
	v_mul_f32_e32 v171, v3, v12
	s_delay_alu instid0(VALU_DEP_2) | instskip(NEXT) | instid1(VALU_DEP_2)
	v_fmac_f32_e32 v169, v2, v9
	v_dual_mul_f32 v2, v2, v10 :: v_dual_fmac_f32 v171, v4, v11
	s_delay_alu instid0(VALU_DEP_1) | instskip(SKIP_1) | instid1(VALU_DEP_1)
	v_fma_f32 v170, v1, v9, -v2
	v_mul_f32_e32 v1, v4, v12
	v_fma_f32 v172, v3, v11, -v1
	s_clause 0x1
	scratch_load_b128 v[1:4], off, off offset:328
	scratch_load_b128 v[9:12], off, off offset:344
	s_wait_loadcnt_dscnt 0x100
	v_mul_f32_e32 v173, v5, v2
	v_dual_mul_f32 v2, v6, v2 :: v_dual_mul_f32 v175, v7, v4
	s_delay_alu instid0(VALU_DEP_2) | instskip(NEXT) | instid1(VALU_DEP_2)
	v_fmac_f32_e32 v173, v6, v1
	v_fma_f32 v174, v5, v1, -v2
	v_mul_f32_e32 v1, v8, v4
	s_delay_alu instid0(VALU_DEP_4) | instskip(NEXT) | instid1(VALU_DEP_2)
	v_fmac_f32_e32 v175, v8, v3
	v_fma_f32 v176, v7, v3, -v1
	ds_load_2addr_b64 v[1:4], v21 offset0:103 offset1:104
	ds_load_2addr_b64 v[5:8], v21 offset0:105 offset1:106
	s_wait_loadcnt_dscnt 0x1
	v_mul_f32_e32 v177, v1, v10
	v_mul_f32_e32 v179, v3, v12
	s_delay_alu instid0(VALU_DEP_2) | instskip(NEXT) | instid1(VALU_DEP_2)
	v_fmac_f32_e32 v177, v2, v9
	v_dual_mul_f32 v2, v2, v10 :: v_dual_fmac_f32 v179, v4, v11
	s_delay_alu instid0(VALU_DEP_1) | instskip(SKIP_1) | instid1(VALU_DEP_1)
	v_fma_f32 v178, v1, v9, -v2
	v_mul_f32_e32 v1, v4, v12
	;; [unrolled: 25-line block ×3, first 2 shown]
	v_fma_f32 v188, v3, v11, -v1
	s_clause 0x1
	scratch_load_b128 v[1:4], off, off offset:392
	scratch_load_b128 v[9:12], off, off offset:408
	s_wait_loadcnt_dscnt 0x100
	v_mul_f32_e32 v189, v5, v2
	v_mul_f32_e32 v2, v6, v2
	s_delay_alu instid0(VALU_DEP_1) | instskip(SKIP_1) | instid1(VALU_DEP_1)
	v_fma_f32 v190, v5, v1, -v2
	v_add_f32_e32 v2, 0, v153
	v_add_f32_e32 v2, v2, v154
	s_delay_alu instid0(VALU_DEP_1) | instskip(NEXT) | instid1(VALU_DEP_1)
	v_add_f32_e32 v2, v2, v24
	v_add_f32_e32 v2, v2, v25
	s_delay_alu instid0(VALU_DEP_1) | instskip(SKIP_1) | instid1(VALU_DEP_2)
	v_add_f32_e32 v2, v2, v32
	v_fmac_f32_e32 v189, v6, v1
	v_add_f32_e32 v2, v2, v160
	s_delay_alu instid0(VALU_DEP_1) | instskip(NEXT) | instid1(VALU_DEP_1)
	v_add_f32_e32 v2, v2, v156
	v_dual_add_f32 v2, v2, v157 :: v_dual_mul_f32 v191, v7, v4
	s_delay_alu instid0(VALU_DEP_1) | instskip(NEXT) | instid1(VALU_DEP_1)
	v_add_f32_e32 v2, v2, v15
	v_dual_fmac_f32 v191, v8, v3 :: v_dual_add_f32 v2, v2, v18
	s_delay_alu instid0(VALU_DEP_1) | instskip(NEXT) | instid1(VALU_DEP_1)
	v_dual_mul_f32 v1, v8, v4 :: v_dual_add_f32 v2, v2, v19
	v_fma_f32 v192, v7, v3, -v1
	s_delay_alu instid0(VALU_DEP_2) | instskip(NEXT) | instid1(VALU_DEP_1)
	v_dual_add_f32 v1, 0, v22 :: v_dual_add_f32 v2, v2, v20
	v_add_f32_e32 v1, v1, v23
	s_delay_alu instid0(VALU_DEP_1) | instskip(NEXT) | instid1(VALU_DEP_1)
	v_add_f32_e32 v1, v1, v26
	v_add_f32_e32 v1, v1, v27
	scratch_load_b64 v[26:27], off, off offset:472
	v_add_f32_e32 v1, v1, v28
	s_delay_alu instid0(VALU_DEP_1) | instskip(NEXT) | instid1(VALU_DEP_1)
	v_add_f32_e32 v1, v1, v29
	v_add_f32_e32 v1, v1, v13
	s_delay_alu instid0(VALU_DEP_1) | instskip(NEXT) | instid1(VALU_DEP_1)
	v_add_f32_e32 v1, v1, v14
	;; [unrolled: 3-line block ×7, first 2 shown]
	v_add_f32_e32 v13, v13, v174
	v_add_f32_e32 v5, v2, v161
	ds_load_2addr_b64 v[1:4], v21 offset0:111 offset1:112
	v_add_f32_e32 v18, v13, v176
	v_add_f32_e32 v5, v5, v162
	s_delay_alu instid0(VALU_DEP_1) | instskip(NEXT) | instid1(VALU_DEP_1)
	v_dual_add_f32 v18, v18, v178 :: v_dual_add_f32 v5, v5, v165
	v_add_f32_e32 v18, v18, v180
	s_delay_alu instid0(VALU_DEP_2)
	v_add_f32_e32 v14, v5, v167
	ds_load_2addr_b64 v[5:8], v21 offset0:113 offset1:114
	v_add_f32_e32 v18, v18, v182
	v_add_f32_e32 v14, v14, v169
	s_wait_loadcnt_dscnt 0x101
	v_mul_f32_e32 v32, v1, v10
	v_mul_f32_e32 v10, v2, v10
	v_add_f32_e32 v18, v18, v184
	v_add_f32_e32 v14, v14, v171
	s_delay_alu instid0(VALU_DEP_4) | instskip(NEXT) | instid1(VALU_DEP_4)
	v_fmac_f32_e32 v32, v2, v9
	v_fma_f32 v154, v1, v9, -v10
	s_delay_alu instid0(VALU_DEP_4) | instskip(NEXT) | instid1(VALU_DEP_1)
	v_add_f32_e32 v28, v18, v186
	v_add_f32_e32 v157, v28, v188
	s_delay_alu instid0(VALU_DEP_1) | instskip(NEXT) | instid1(VALU_DEP_1)
	v_add_f32_e32 v157, v157, v190
	v_add_f32_e32 v157, v157, v192
	;; [unrolled: 1-line block ×3, first 2 shown]
	scratch_load_b128 v[13:16], off, off offset:456
	v_add_f32_e32 v154, v157, v154
	v_add_f32_e32 v17, v17, v175
	s_delay_alu instid0(VALU_DEP_1) | instskip(NEXT) | instid1(VALU_DEP_1)
	v_add_f32_e32 v17, v17, v177
	v_add_f32_e32 v17, v17, v179
	s_delay_alu instid0(VALU_DEP_1) | instskip(NEXT) | instid1(VALU_DEP_1)
	v_add_f32_e32 v17, v17, v181
	v_add_f32_e32 v22, v17, v183
	ds_load_2addr_b64 v[17:20], v21 offset0:115 offset1:116
	v_add_f32_e32 v29, v22, v185
	v_mul_f32_e32 v153, v3, v12
	v_mul_f32_e32 v12, v4, v12
	ds_load_2addr_b64 v[22:25], v21 offset0:117 offset1:118
	v_add_f32_e32 v158, v29, v187
	v_fmac_f32_e32 v153, v4, v11
	v_fma_f32 v156, v3, v11, -v12
	s_clause 0x1
	scratch_load_b128 v[1:4], off, off offset:424
	scratch_load_b128 v[9:12], off, off offset:440
	v_add_f32_e32 v158, v158, v189
	ds_load_b64 v[28:29], v21 offset:952
	v_add_f32_e32 v154, v154, v156
	v_add_f32_e32 v158, v158, v191
	s_delay_alu instid0(VALU_DEP_1) | instskip(SKIP_2) | instid1(VALU_DEP_1)
	v_add_f32_e32 v32, v158, v32
	s_wait_loadcnt_dscnt 0x201
	v_dual_mul_f32 v156, v24, v16 :: v_dual_mul_f32 v161, v22, v14
	v_dual_fmac_f32 v156, v25, v15 :: v_dual_fmac_f32 v161, v23, v13
	s_wait_loadcnt 0x1
	v_mul_f32_e32 v160, v7, v4
	v_mul_f32_e32 v4, v8, v4
	v_add_f32_e32 v32, v32, v153
	s_wait_loadcnt 0x0
	v_dual_mul_f32 v158, v19, v12 :: v_dual_mul_f32 v157, v17, v10
	v_dual_fmac_f32 v160, v8, v3 :: v_dual_mul_f32 v159, v5, v2
	v_mul_f32_e32 v2, v6, v2
	s_delay_alu instid0(VALU_DEP_3) | instskip(NEXT) | instid1(VALU_DEP_3)
	v_dual_fmac_f32 v158, v20, v11 :: v_dual_fmac_f32 v157, v18, v9
	v_fmac_f32_e32 v159, v6, v1
	s_delay_alu instid0(VALU_DEP_3) | instskip(SKIP_1) | instid1(VALU_DEP_3)
	v_fma_f32 v2, v5, v1, -v2
	v_fma_f32 v1, v7, v3, -v4
	v_dual_mul_f32 v3, v18, v10 :: v_dual_add_f32 v4, v32, v159
	s_delay_alu instid0(VALU_DEP_3) | instskip(NEXT) | instid1(VALU_DEP_2)
	v_add_f32_e32 v2, v154, v2
	v_fma_f32 v3, v17, v9, -v3
	s_delay_alu instid0(VALU_DEP_2) | instskip(SKIP_2) | instid1(VALU_DEP_2)
	v_dual_add_f32 v1, v2, v1 :: v_dual_add_f32 v2, v4, v160
	s_wait_dscnt 0x0
	v_dual_mul_f32 v153, v28, v27 :: v_dual_mul_f32 v4, v23, v14
	v_dual_add_f32 v2, v2, v157 :: v_dual_mul_f32 v5, v20, v12
	s_delay_alu instid0(VALU_DEP_2) | instskip(NEXT) | instid1(VALU_DEP_3)
	v_fma_f32 v4, v22, v13, -v4
	v_fmac_f32_e32 v153, v29, v26
	s_delay_alu instid0(VALU_DEP_3) | instskip(NEXT) | instid1(VALU_DEP_4)
	v_add_f32_e32 v2, v2, v158
	v_fma_f32 v5, v19, v11, -v5
	s_delay_alu instid0(VALU_DEP_2) | instskip(NEXT) | instid1(VALU_DEP_1)
	v_dual_add_f32 v1, v1, v3 :: v_dual_add_f32 v2, v2, v161
	v_add_f32_e32 v1, v1, v5
	s_delay_alu instid0(VALU_DEP_2) | instskip(SKIP_1) | instid1(VALU_DEP_3)
	v_dual_mul_f32 v5, v29, v27 :: v_dual_add_f32 v2, v2, v156
	v_mul_f32_e32 v3, v25, v16
	v_add_f32_e32 v1, v1, v4
	s_delay_alu instid0(VALU_DEP_3) | instskip(NEXT) | instid1(VALU_DEP_4)
	v_fma_f32 v4, v28, v26, -v5
	v_add_f32_e32 v2, v2, v153
	s_delay_alu instid0(VALU_DEP_4) | instskip(NEXT) | instid1(VALU_DEP_1)
	v_fma_f32 v3, v24, v15, -v3
	v_dual_sub_f32 v2, v31, v2 :: v_dual_add_f32 v1, v1, v3
	s_delay_alu instid0(VALU_DEP_1) | instskip(NEXT) | instid1(VALU_DEP_1)
	v_add_f32_e32 v1, v1, v4
	v_sub_f32_e32 v1, v30, v1
	scratch_store_b64 off, v[1:2], off offset:176
	v_cmpx_lt_u32_e32 21, v0
	s_cbranch_execz .LBB123_331
; %bb.330:
	scratch_load_b64 v[1:2], off, off offset:168
	v_mov_b32_e32 v22, v21
	scratch_store_b64 off, v[21:22], off offset:168
	s_wait_loadcnt 0x0
	ds_store_b64 v155, v[1:2]
.LBB123_331:
	s_wait_alu 0xfffe
	s_or_b32 exec_lo, exec_lo, s0
	s_wait_storecnt_dscnt 0x0
	s_barrier_signal -1
	s_barrier_wait -1
	global_inv scope:SCOPE_SE
	s_clause 0x4
	scratch_load_b128 v[5:8], off, off offset:176
	scratch_load_b128 v[1:4], off, off offset:192
	;; [unrolled: 1-line block ×5, first 2 shown]
	ds_load_b128 v[22:25], v21 offset:656
	ds_load_b128 v[26:29], v21 offset:672
	;; [unrolled: 1-line block ×3, first 2 shown]
	scratch_load_b64 v[30:31], off, off offset:168
	s_mov_b32 s0, exec_lo
	s_wait_loadcnt_dscnt 0x502
	v_mul_f32_e32 v32, v23, v6
	v_dual_mul_f32 v153, v22, v6 :: v_dual_mul_f32 v154, v24, v8
	v_mul_f32_e32 v6, v25, v8
	s_wait_loadcnt_dscnt 0x300
	v_mul_f32_e32 v160, v158, v12
	v_mul_f32_e32 v12, v159, v12
	v_dual_fmac_f32 v153, v23, v5 :: v_dual_fmac_f32 v154, v25, v7
	v_fma_f32 v23, v24, v7, -v6
	v_mul_f32_e32 v25, v28, v4
	v_fma_f32 v22, v22, v5, -v32
	ds_load_b128 v[5:8], v21 offset:704
	v_mul_f32_e32 v24, v26, v2
	v_mul_f32_e32 v4, v29, v4
	v_mul_f32_e32 v32, v156, v10
	v_mul_f32_e32 v10, v157, v10
	v_dual_mul_f32 v2, v27, v2 :: v_dual_fmac_f32 v25, v29, v3
	v_fmac_f32_e32 v24, v27, v1
	v_fma_f32 v27, v28, v3, -v4
	v_fmac_f32_e32 v32, v157, v9
	v_fma_f32 v28, v156, v9, -v10
	;; [unrolled: 2-line block ×3, first 2 shown]
	ds_load_b128 v[9:12], v21 offset:720
	s_wait_loadcnt_dscnt 0x201
	v_dual_mul_f32 v157, v7, v16 :: v_dual_mul_f32 v156, v5, v14
	v_mul_f32_e32 v14, v6, v14
	v_mul_f32_e32 v16, v8, v16
	s_delay_alu instid0(VALU_DEP_3)
	v_fmac_f32_e32 v157, v8, v15
	v_fma_f32 v26, v26, v1, -v2
	scratch_load_b128 v[1:4], off, off offset:256
	v_fmac_f32_e32 v156, v6, v13
	v_fma_f32 v13, v5, v13, -v14
	v_fma_f32 v14, v7, v15, -v16
	ds_load_b128 v[5:8], v21 offset:736
	s_wait_loadcnt_dscnt 0x201
	v_mul_f32_e32 v15, v9, v18
	v_mul_f32_e32 v16, v10, v18
	;; [unrolled: 1-line block ×3, first 2 shown]
	s_delay_alu instid0(VALU_DEP_3) | instskip(NEXT) | instid1(VALU_DEP_3)
	v_dual_mul_f32 v20, v12, v20 :: v_dual_fmac_f32 v15, v10, v17
	v_fma_f32 v16, v9, v17, -v16
	s_delay_alu instid0(VALU_DEP_3) | instskip(NEXT) | instid1(VALU_DEP_3)
	v_fmac_f32_e32 v18, v12, v19
	v_fma_f32 v17, v11, v19, -v20
	scratch_load_b128 v[9:12], off, off offset:272
	s_wait_loadcnt_dscnt 0x100
	v_mul_f32_e32 v19, v5, v2
	v_mul_f32_e32 v2, v6, v2
	;; [unrolled: 1-line block ×3, first 2 shown]
	s_delay_alu instid0(VALU_DEP_3) | instskip(NEXT) | instid1(VALU_DEP_3)
	v_dual_mul_f32 v4, v8, v4 :: v_dual_fmac_f32 v19, v6, v1
	v_fma_f32 v158, v5, v1, -v2
	s_delay_alu instid0(VALU_DEP_3) | instskip(NEXT) | instid1(VALU_DEP_3)
	v_fmac_f32_e32 v20, v8, v3
	v_fma_f32 v159, v7, v3, -v4
	ds_load_b128 v[1:4], v21 offset:752
	ds_load_b128 v[5:8], v21 offset:768
	s_wait_loadcnt_dscnt 0x1
	v_mul_f32_e32 v161, v1, v10
	v_mul_f32_e32 v10, v2, v10
	s_delay_alu instid0(VALU_DEP_2) | instskip(NEXT) | instid1(VALU_DEP_2)
	v_dual_mul_f32 v162, v3, v12 :: v_dual_fmac_f32 v161, v2, v9
	v_fma_f32 v163, v1, v9, -v10
	v_mul_f32_e32 v1, v4, v12
	s_delay_alu instid0(VALU_DEP_3) | instskip(NEXT) | instid1(VALU_DEP_2)
	v_fmac_f32_e32 v162, v4, v11
	v_fma_f32 v164, v3, v11, -v1
	s_clause 0x1
	scratch_load_b128 v[1:4], off, off offset:288
	scratch_load_b128 v[9:12], off, off offset:304
	s_wait_loadcnt_dscnt 0x100
	v_mul_f32_e32 v165, v5, v2
	v_dual_mul_f32 v2, v6, v2 :: v_dual_mul_f32 v167, v7, v4
	s_delay_alu instid0(VALU_DEP_2) | instskip(NEXT) | instid1(VALU_DEP_2)
	v_fmac_f32_e32 v165, v6, v1
	v_fma_f32 v166, v5, v1, -v2
	v_mul_f32_e32 v1, v8, v4
	s_delay_alu instid0(VALU_DEP_4) | instskip(NEXT) | instid1(VALU_DEP_2)
	v_fmac_f32_e32 v167, v8, v3
	v_fma_f32 v168, v7, v3, -v1
	ds_load_b128 v[1:4], v21 offset:784
	ds_load_b128 v[5:8], v21 offset:800
	s_wait_loadcnt_dscnt 0x1
	v_mul_f32_e32 v169, v1, v10
	v_mul_f32_e32 v171, v3, v12
	s_delay_alu instid0(VALU_DEP_2) | instskip(NEXT) | instid1(VALU_DEP_2)
	v_fmac_f32_e32 v169, v2, v9
	v_dual_mul_f32 v2, v2, v10 :: v_dual_fmac_f32 v171, v4, v11
	s_delay_alu instid0(VALU_DEP_1) | instskip(SKIP_1) | instid1(VALU_DEP_1)
	v_fma_f32 v170, v1, v9, -v2
	v_mul_f32_e32 v1, v4, v12
	v_fma_f32 v172, v3, v11, -v1
	s_clause 0x1
	scratch_load_b128 v[1:4], off, off offset:320
	scratch_load_b128 v[9:12], off, off offset:336
	s_wait_loadcnt_dscnt 0x100
	v_mul_f32_e32 v173, v5, v2
	v_dual_mul_f32 v2, v6, v2 :: v_dual_mul_f32 v175, v7, v4
	s_delay_alu instid0(VALU_DEP_2) | instskip(NEXT) | instid1(VALU_DEP_2)
	v_fmac_f32_e32 v173, v6, v1
	v_fma_f32 v174, v5, v1, -v2
	v_mul_f32_e32 v1, v8, v4
	s_delay_alu instid0(VALU_DEP_4) | instskip(NEXT) | instid1(VALU_DEP_2)
	v_fmac_f32_e32 v175, v8, v3
	v_fma_f32 v176, v7, v3, -v1
	ds_load_b128 v[1:4], v21 offset:816
	ds_load_b128 v[5:8], v21 offset:832
	s_wait_loadcnt_dscnt 0x1
	v_mul_f32_e32 v177, v1, v10
	v_mul_f32_e32 v179, v3, v12
	s_delay_alu instid0(VALU_DEP_2) | instskip(NEXT) | instid1(VALU_DEP_2)
	v_fmac_f32_e32 v177, v2, v9
	v_dual_mul_f32 v2, v2, v10 :: v_dual_fmac_f32 v179, v4, v11
	s_delay_alu instid0(VALU_DEP_1) | instskip(SKIP_1) | instid1(VALU_DEP_1)
	v_fma_f32 v178, v1, v9, -v2
	v_mul_f32_e32 v1, v4, v12
	;; [unrolled: 25-line block ×3, first 2 shown]
	v_fma_f32 v188, v3, v11, -v1
	s_clause 0x1
	scratch_load_b128 v[1:4], off, off offset:384
	scratch_load_b128 v[9:12], off, off offset:400
	s_wait_loadcnt_dscnt 0x100
	v_mul_f32_e32 v189, v5, v2
	v_mul_f32_e32 v2, v6, v2
	s_delay_alu instid0(VALU_DEP_1) | instskip(SKIP_1) | instid1(VALU_DEP_1)
	v_fma_f32 v190, v5, v1, -v2
	v_add_f32_e32 v2, 0, v153
	v_add_f32_e32 v2, v2, v154
	s_delay_alu instid0(VALU_DEP_1) | instskip(NEXT) | instid1(VALU_DEP_1)
	v_add_f32_e32 v2, v2, v24
	v_add_f32_e32 v2, v2, v25
	s_delay_alu instid0(VALU_DEP_1) | instskip(SKIP_1) | instid1(VALU_DEP_2)
	v_add_f32_e32 v2, v2, v32
	v_fmac_f32_e32 v189, v6, v1
	v_add_f32_e32 v2, v2, v160
	s_delay_alu instid0(VALU_DEP_1) | instskip(NEXT) | instid1(VALU_DEP_1)
	v_add_f32_e32 v2, v2, v156
	v_dual_add_f32 v2, v2, v157 :: v_dual_mul_f32 v191, v7, v4
	s_delay_alu instid0(VALU_DEP_1) | instskip(NEXT) | instid1(VALU_DEP_1)
	v_add_f32_e32 v2, v2, v15
	v_dual_fmac_f32 v191, v8, v3 :: v_dual_add_f32 v2, v2, v18
	s_delay_alu instid0(VALU_DEP_1) | instskip(NEXT) | instid1(VALU_DEP_1)
	v_dual_mul_f32 v1, v8, v4 :: v_dual_add_f32 v2, v2, v19
	v_fma_f32 v192, v7, v3, -v1
	s_delay_alu instid0(VALU_DEP_2) | instskip(NEXT) | instid1(VALU_DEP_1)
	v_dual_add_f32 v1, 0, v22 :: v_dual_add_f32 v2, v2, v20
	v_dual_add_f32 v1, v1, v23 :: v_dual_add_f32 v2, v2, v161
	s_delay_alu instid0(VALU_DEP_1) | instskip(NEXT) | instid1(VALU_DEP_2)
	v_add_f32_e32 v1, v1, v26
	v_add_f32_e32 v5, v2, v162
	s_delay_alu instid0(VALU_DEP_2) | instskip(NEXT) | instid1(VALU_DEP_1)
	v_add_f32_e32 v1, v1, v27
	v_add_f32_e32 v1, v1, v28
	s_delay_alu instid0(VALU_DEP_1) | instskip(NEXT) | instid1(VALU_DEP_1)
	v_add_f32_e32 v1, v1, v29
	v_add_f32_e32 v1, v1, v13
	;; [unrolled: 1-line block ×3, first 2 shown]
	s_delay_alu instid0(VALU_DEP_2) | instskip(NEXT) | instid1(VALU_DEP_2)
	v_add_f32_e32 v1, v1, v14
	v_add_f32_e32 v13, v13, v167
	s_delay_alu instid0(VALU_DEP_1) | instskip(NEXT) | instid1(VALU_DEP_1)
	v_add_f32_e32 v13, v13, v169
	v_add_f32_e32 v18, v13, v171
	s_delay_alu instid0(VALU_DEP_1) | instskip(NEXT) | instid1(VALU_DEP_1)
	v_dual_add_f32 v1, v1, v16 :: v_dual_add_f32 v18, v18, v173
	v_dual_add_f32 v1, v1, v17 :: v_dual_add_f32 v18, v18, v175
	s_delay_alu instid0(VALU_DEP_1) | instskip(NEXT) | instid1(VALU_DEP_1)
	v_dual_add_f32 v1, v1, v158 :: v_dual_add_f32 v22, v18, v177
	v_add_f32_e32 v1, v1, v159
	s_delay_alu instid0(VALU_DEP_2) | instskip(NEXT) | instid1(VALU_DEP_2)
	v_add_f32_e32 v22, v22, v179
	v_add_f32_e32 v1, v1, v163
	s_delay_alu instid0(VALU_DEP_1) | instskip(NEXT) | instid1(VALU_DEP_1)
	v_add_f32_e32 v1, v1, v164
	v_add_f32_e32 v6, v1, v166
	ds_load_b128 v[1:4], v21 offset:880
	v_add_f32_e32 v22, v22, v181
	v_add_f32_e32 v14, v6, v168
	scratch_load_b128 v[5:8], off, off offset:416
	v_add_f32_e32 v14, v14, v170
	s_delay_alu instid0(VALU_DEP_1)
	v_add_f32_e32 v17, v14, v172
	ds_load_b128 v[13:16], v21 offset:896
	v_add_f32_e32 v17, v17, v174
	s_wait_loadcnt_dscnt 0x101
	v_mul_f32_e32 v25, v1, v10
	v_mul_f32_e32 v10, v2, v10
	;; [unrolled: 1-line block ×4, first 2 shown]
	v_add_f32_e32 v17, v17, v176
	v_fmac_f32_e32 v25, v2, v9
	v_fma_f32 v27, v1, v9, -v10
	v_fmac_f32_e32 v26, v4, v11
	v_fma_f32 v28, v3, v11, -v12
	s_clause 0x1
	scratch_load_b128 v[1:4], off, off offset:432
	scratch_load_b128 v[9:12], off, off offset:448
	s_wait_loadcnt_dscnt 0x200
	v_mul_f32_e32 v29, v13, v6
	v_mul_f32_e32 v6, v14, v6
	;; [unrolled: 1-line block ×3, first 2 shown]
	s_delay_alu instid0(VALU_DEP_3) | instskip(NEXT) | instid1(VALU_DEP_3)
	v_dual_mul_f32 v8, v16, v8 :: v_dual_fmac_f32 v29, v14, v5
	v_fma_f32 v153, v13, v5, -v6
	s_delay_alu instid0(VALU_DEP_3) | instskip(NEXT) | instid1(VALU_DEP_3)
	v_fmac_f32_e32 v32, v16, v7
	v_fma_f32 v154, v15, v7, -v8
	ds_load_b128 v[5:8], v21 offset:912
	v_add_f32_e32 v17, v17, v178
	v_add_f32_e32 v13, v22, v183
	s_delay_alu instid0(VALU_DEP_2) | instskip(SKIP_2) | instid1(VALU_DEP_1)
	v_add_f32_e32 v23, v17, v180
	scratch_load_b128 v[17:20], off, off offset:464
	v_add_f32_e32 v23, v23, v182
	v_add_f32_e32 v23, v23, v184
	s_delay_alu instid0(VALU_DEP_1)
	v_dual_add_f32 v22, v23, v186 :: v_dual_add_f32 v23, v13, v185
	ds_load_b128 v[13:16], v21 offset:928
	s_wait_loadcnt_dscnt 0x201
	v_mul_f32_e32 v158, v5, v2
	v_mul_f32_e32 v2, v6, v2
	v_add_f32_e32 v156, v22, v188
	s_delay_alu instid0(VALU_DEP_3) | instskip(NEXT) | instid1(VALU_DEP_3)
	v_fmac_f32_e32 v158, v6, v1
	v_fma_f32 v2, v5, v1, -v2
	s_delay_alu instid0(VALU_DEP_3) | instskip(NEXT) | instid1(VALU_DEP_1)
	v_add_f32_e32 v156, v156, v190
	v_add_f32_e32 v156, v156, v192
	s_delay_alu instid0(VALU_DEP_1)
	v_dual_add_f32 v27, v156, v27 :: v_dual_mul_f32 v156, v7, v4
	v_mul_f32_e32 v4, v8, v4
	s_wait_loadcnt_dscnt 0x100
	v_dual_mul_f32 v6, v14, v10 :: v_dual_add_f32 v157, v23, v187
	ds_load_b128 v[21:24], v21 offset:944
	v_fmac_f32_e32 v156, v8, v3
	v_fma_f32 v3, v7, v3, -v4
	v_dual_mul_f32 v4, v16, v12 :: v_dual_add_f32 v157, v157, v189
	v_mul_f32_e32 v159, v15, v12
	s_delay_alu instid0(VALU_DEP_2) | instskip(NEXT) | instid1(VALU_DEP_3)
	v_fma_f32 v4, v15, v11, -v4
	v_add_f32_e32 v157, v157, v191
	s_delay_alu instid0(VALU_DEP_3) | instskip(NEXT) | instid1(VALU_DEP_2)
	v_fmac_f32_e32 v159, v16, v11
	v_add_f32_e32 v25, v157, v25
	s_delay_alu instid0(VALU_DEP_1) | instskip(NEXT) | instid1(VALU_DEP_1)
	v_add_f32_e32 v25, v25, v26
	v_add_f32_e32 v25, v25, v29
	s_delay_alu instid0(VALU_DEP_1) | instskip(SKIP_2) | instid1(VALU_DEP_1)
	v_add_f32_e32 v5, v25, v32
	s_wait_loadcnt_dscnt 0x0
	v_mul_f32_e32 v26, v21, v18
	v_dual_fmac_f32 v26, v22, v17 :: v_dual_add_f32 v27, v27, v28
	v_dual_mul_f32 v28, v23, v20 :: v_dual_mul_f32 v157, v13, v10
	s_delay_alu instid0(VALU_DEP_1) | instskip(NEXT) | instid1(VALU_DEP_2)
	v_dual_add_f32 v27, v27, v153 :: v_dual_fmac_f32 v28, v24, v19
	v_fmac_f32_e32 v157, v14, v9
	s_delay_alu instid0(VALU_DEP_2) | instskip(NEXT) | instid1(VALU_DEP_1)
	v_add_f32_e32 v1, v27, v154
	v_add_f32_e32 v1, v1, v2
	;; [unrolled: 1-line block ×3, first 2 shown]
	v_fma_f32 v5, v13, v9, -v6
	s_delay_alu instid0(VALU_DEP_2) | instskip(SKIP_1) | instid1(VALU_DEP_2)
	v_dual_add_f32 v1, v1, v3 :: v_dual_add_f32 v2, v2, v156
	v_mul_f32_e32 v3, v22, v18
	v_add_f32_e32 v1, v1, v5
	s_delay_alu instid0(VALU_DEP_3) | instskip(NEXT) | instid1(VALU_DEP_3)
	v_dual_add_f32 v2, v2, v157 :: v_dual_mul_f32 v5, v24, v20
	v_fma_f32 v3, v21, v17, -v3
	s_delay_alu instid0(VALU_DEP_2) | instskip(NEXT) | instid1(VALU_DEP_3)
	v_dual_add_f32 v1, v1, v4 :: v_dual_add_f32 v2, v2, v159
	v_fma_f32 v4, v23, v19, -v5
	s_delay_alu instid0(VALU_DEP_2) | instskip(NEXT) | instid1(VALU_DEP_1)
	v_dual_add_f32 v1, v1, v3 :: v_dual_add_f32 v2, v2, v26
	v_add_f32_e32 v1, v1, v4
	s_delay_alu instid0(VALU_DEP_2) | instskip(NEXT) | instid1(VALU_DEP_1)
	v_add_f32_e32 v2, v2, v28
	v_dual_sub_f32 v1, v30, v1 :: v_dual_sub_f32 v2, v31, v2
	scratch_store_b64 off, v[1:2], off offset:168
	v_cmpx_lt_u32_e32 20, v0
	s_cbranch_execz .LBB123_333
; %bb.332:
	scratch_load_b64 v[1:2], off, off offset:160
	v_mov_b32_e32 v3, 0
	s_delay_alu instid0(VALU_DEP_1)
	v_mov_b32_e32 v4, v3
	scratch_store_b64 off, v[3:4], off offset:160
	s_wait_loadcnt 0x0
	ds_store_b64 v155, v[1:2]
.LBB123_333:
	s_wait_alu 0xfffe
	s_or_b32 exec_lo, exec_lo, s0
	s_wait_storecnt_dscnt 0x0
	s_barrier_signal -1
	s_barrier_wait -1
	global_inv scope:SCOPE_SE
	s_clause 0x4
	scratch_load_b128 v[5:8], off, off offset:168
	scratch_load_b128 v[1:4], off, off offset:184
	;; [unrolled: 1-line block ×5, first 2 shown]
	v_mov_b32_e32 v21, 0
	ds_load_2addr_b64 v[22:25], v21 offset0:81 offset1:82
	ds_load_2addr_b64 v[26:29], v21 offset0:83 offset1:84
	;; [unrolled: 1-line block ×3, first 2 shown]
	scratch_load_b64 v[30:31], off, off offset:160
	s_mov_b32 s0, exec_lo
	s_wait_loadcnt_dscnt 0x502
	v_mul_f32_e32 v32, v23, v6
	v_dual_mul_f32 v153, v22, v6 :: v_dual_mul_f32 v154, v24, v8
	v_mul_f32_e32 v6, v25, v8
	s_wait_loadcnt_dscnt 0x300
	v_mul_f32_e32 v160, v158, v12
	v_fma_f32 v22, v22, v5, -v32
	v_dual_fmac_f32 v153, v23, v5 :: v_dual_fmac_f32 v154, v25, v7
	v_mul_f32_e32 v25, v28, v4
	v_fma_f32 v23, v24, v7, -v6
	ds_load_2addr_b64 v[5:8], v21 offset0:87 offset1:88
	v_mul_f32_e32 v24, v26, v2
	v_mul_f32_e32 v4, v29, v4
	;; [unrolled: 1-line block ×5, first 2 shown]
	v_dual_mul_f32 v2, v27, v2 :: v_dual_fmac_f32 v25, v29, v3
	v_fmac_f32_e32 v24, v27, v1
	v_fma_f32 v27, v28, v3, -v4
	v_fmac_f32_e32 v32, v157, v9
	v_fma_f32 v28, v156, v9, -v10
	;; [unrolled: 2-line block ×3, first 2 shown]
	ds_load_2addr_b64 v[9:12], v21 offset0:89 offset1:90
	s_wait_loadcnt_dscnt 0x201
	v_dual_mul_f32 v157, v7, v16 :: v_dual_mul_f32 v156, v5, v14
	v_mul_f32_e32 v14, v6, v14
	v_mul_f32_e32 v16, v8, v16
	s_delay_alu instid0(VALU_DEP_3)
	v_fmac_f32_e32 v157, v8, v15
	v_fma_f32 v26, v26, v1, -v2
	scratch_load_b128 v[1:4], off, off offset:248
	v_fmac_f32_e32 v156, v6, v13
	v_fma_f32 v13, v5, v13, -v14
	v_fma_f32 v14, v7, v15, -v16
	ds_load_2addr_b64 v[5:8], v21 offset0:91 offset1:92
	s_wait_loadcnt_dscnt 0x201
	v_mul_f32_e32 v15, v9, v18
	v_mul_f32_e32 v16, v10, v18
	;; [unrolled: 1-line block ×3, first 2 shown]
	s_delay_alu instid0(VALU_DEP_3) | instskip(NEXT) | instid1(VALU_DEP_3)
	v_dual_mul_f32 v20, v12, v20 :: v_dual_fmac_f32 v15, v10, v17
	v_fma_f32 v16, v9, v17, -v16
	s_delay_alu instid0(VALU_DEP_3) | instskip(NEXT) | instid1(VALU_DEP_3)
	v_fmac_f32_e32 v18, v12, v19
	v_fma_f32 v17, v11, v19, -v20
	scratch_load_b128 v[9:12], off, off offset:264
	s_wait_loadcnt_dscnt 0x100
	v_mul_f32_e32 v19, v5, v2
	v_mul_f32_e32 v2, v6, v2
	;; [unrolled: 1-line block ×3, first 2 shown]
	s_delay_alu instid0(VALU_DEP_3) | instskip(NEXT) | instid1(VALU_DEP_3)
	v_dual_mul_f32 v4, v8, v4 :: v_dual_fmac_f32 v19, v6, v1
	v_fma_f32 v158, v5, v1, -v2
	s_delay_alu instid0(VALU_DEP_3) | instskip(NEXT) | instid1(VALU_DEP_3)
	v_fmac_f32_e32 v20, v8, v3
	v_fma_f32 v159, v7, v3, -v4
	ds_load_2addr_b64 v[1:4], v21 offset0:93 offset1:94
	ds_load_2addr_b64 v[5:8], v21 offset0:95 offset1:96
	s_wait_loadcnt_dscnt 0x1
	v_mul_f32_e32 v161, v1, v10
	v_mul_f32_e32 v10, v2, v10
	s_delay_alu instid0(VALU_DEP_2) | instskip(NEXT) | instid1(VALU_DEP_2)
	v_dual_mul_f32 v162, v3, v12 :: v_dual_fmac_f32 v161, v2, v9
	v_fma_f32 v163, v1, v9, -v10
	v_mul_f32_e32 v1, v4, v12
	s_delay_alu instid0(VALU_DEP_3) | instskip(NEXT) | instid1(VALU_DEP_2)
	v_fmac_f32_e32 v162, v4, v11
	v_fma_f32 v164, v3, v11, -v1
	s_clause 0x1
	scratch_load_b128 v[1:4], off, off offset:280
	scratch_load_b128 v[9:12], off, off offset:296
	s_wait_loadcnt_dscnt 0x100
	v_mul_f32_e32 v165, v5, v2
	v_dual_mul_f32 v2, v6, v2 :: v_dual_mul_f32 v167, v7, v4
	s_delay_alu instid0(VALU_DEP_2) | instskip(NEXT) | instid1(VALU_DEP_2)
	v_fmac_f32_e32 v165, v6, v1
	v_fma_f32 v166, v5, v1, -v2
	v_mul_f32_e32 v1, v8, v4
	s_delay_alu instid0(VALU_DEP_4) | instskip(NEXT) | instid1(VALU_DEP_2)
	v_fmac_f32_e32 v167, v8, v3
	v_fma_f32 v168, v7, v3, -v1
	ds_load_2addr_b64 v[1:4], v21 offset0:97 offset1:98
	ds_load_2addr_b64 v[5:8], v21 offset0:99 offset1:100
	s_wait_loadcnt_dscnt 0x1
	v_mul_f32_e32 v169, v1, v10
	v_mul_f32_e32 v171, v3, v12
	s_delay_alu instid0(VALU_DEP_2) | instskip(NEXT) | instid1(VALU_DEP_2)
	v_fmac_f32_e32 v169, v2, v9
	v_dual_mul_f32 v2, v2, v10 :: v_dual_fmac_f32 v171, v4, v11
	s_delay_alu instid0(VALU_DEP_1) | instskip(SKIP_1) | instid1(VALU_DEP_1)
	v_fma_f32 v170, v1, v9, -v2
	v_mul_f32_e32 v1, v4, v12
	v_fma_f32 v172, v3, v11, -v1
	s_clause 0x1
	scratch_load_b128 v[1:4], off, off offset:312
	scratch_load_b128 v[9:12], off, off offset:328
	s_wait_loadcnt_dscnt 0x100
	v_mul_f32_e32 v173, v5, v2
	v_dual_mul_f32 v2, v6, v2 :: v_dual_mul_f32 v175, v7, v4
	s_delay_alu instid0(VALU_DEP_2) | instskip(NEXT) | instid1(VALU_DEP_2)
	v_fmac_f32_e32 v173, v6, v1
	v_fma_f32 v174, v5, v1, -v2
	v_mul_f32_e32 v1, v8, v4
	s_delay_alu instid0(VALU_DEP_4) | instskip(NEXT) | instid1(VALU_DEP_2)
	v_fmac_f32_e32 v175, v8, v3
	v_fma_f32 v176, v7, v3, -v1
	ds_load_2addr_b64 v[1:4], v21 offset0:101 offset1:102
	ds_load_2addr_b64 v[5:8], v21 offset0:103 offset1:104
	s_wait_loadcnt_dscnt 0x1
	v_mul_f32_e32 v177, v1, v10
	v_mul_f32_e32 v179, v3, v12
	s_delay_alu instid0(VALU_DEP_2) | instskip(NEXT) | instid1(VALU_DEP_2)
	v_fmac_f32_e32 v177, v2, v9
	v_dual_mul_f32 v2, v2, v10 :: v_dual_fmac_f32 v179, v4, v11
	s_delay_alu instid0(VALU_DEP_1) | instskip(SKIP_1) | instid1(VALU_DEP_1)
	v_fma_f32 v178, v1, v9, -v2
	v_mul_f32_e32 v1, v4, v12
	;; [unrolled: 25-line block ×3, first 2 shown]
	v_fma_f32 v188, v3, v11, -v1
	s_clause 0x1
	scratch_load_b128 v[1:4], off, off offset:376
	scratch_load_b128 v[9:12], off, off offset:392
	s_wait_loadcnt_dscnt 0x100
	v_mul_f32_e32 v189, v5, v2
	v_mul_f32_e32 v2, v6, v2
	s_delay_alu instid0(VALU_DEP_1) | instskip(SKIP_1) | instid1(VALU_DEP_1)
	v_fma_f32 v190, v5, v1, -v2
	v_add_f32_e32 v2, 0, v153
	v_add_f32_e32 v2, v2, v154
	s_delay_alu instid0(VALU_DEP_1) | instskip(NEXT) | instid1(VALU_DEP_1)
	v_add_f32_e32 v2, v2, v24
	v_add_f32_e32 v2, v2, v25
	s_delay_alu instid0(VALU_DEP_1) | instskip(SKIP_1) | instid1(VALU_DEP_2)
	v_add_f32_e32 v2, v2, v32
	v_fmac_f32_e32 v189, v6, v1
	v_add_f32_e32 v2, v2, v160
	s_delay_alu instid0(VALU_DEP_1) | instskip(NEXT) | instid1(VALU_DEP_1)
	v_add_f32_e32 v2, v2, v156
	v_dual_add_f32 v2, v2, v157 :: v_dual_mul_f32 v191, v7, v4
	s_delay_alu instid0(VALU_DEP_1) | instskip(NEXT) | instid1(VALU_DEP_1)
	v_add_f32_e32 v2, v2, v15
	v_dual_fmac_f32 v191, v8, v3 :: v_dual_add_f32 v2, v2, v18
	s_delay_alu instid0(VALU_DEP_1) | instskip(NEXT) | instid1(VALU_DEP_1)
	v_dual_mul_f32 v1, v8, v4 :: v_dual_add_f32 v2, v2, v19
	v_fma_f32 v192, v7, v3, -v1
	s_delay_alu instid0(VALU_DEP_2) | instskip(NEXT) | instid1(VALU_DEP_1)
	v_dual_add_f32 v1, 0, v22 :: v_dual_add_f32 v2, v2, v20
	v_dual_add_f32 v1, v1, v23 :: v_dual_add_f32 v2, v2, v161
	s_delay_alu instid0(VALU_DEP_1) | instskip(NEXT) | instid1(VALU_DEP_2)
	v_add_f32_e32 v1, v1, v26
	v_add_f32_e32 v5, v2, v162
	s_delay_alu instid0(VALU_DEP_2) | instskip(SKIP_2) | instid1(VALU_DEP_1)
	v_add_f32_e32 v1, v1, v27
	scratch_load_b64 v[26:27], off, off offset:472
	v_add_f32_e32 v1, v1, v28
	v_add_f32_e32 v1, v1, v29
	s_delay_alu instid0(VALU_DEP_1) | instskip(SKIP_1) | instid1(VALU_DEP_2)
	v_add_f32_e32 v1, v1, v13
	v_add_f32_e32 v13, v5, v165
	;; [unrolled: 1-line block ×3, first 2 shown]
	s_delay_alu instid0(VALU_DEP_2) | instskip(NEXT) | instid1(VALU_DEP_1)
	v_add_f32_e32 v13, v13, v167
	v_add_f32_e32 v13, v13, v169
	s_delay_alu instid0(VALU_DEP_1) | instskip(NEXT) | instid1(VALU_DEP_1)
	v_add_f32_e32 v18, v13, v171
	v_dual_add_f32 v1, v1, v16 :: v_dual_add_f32 v18, v18, v173
	s_delay_alu instid0(VALU_DEP_1) | instskip(NEXT) | instid1(VALU_DEP_1)
	v_dual_add_f32 v1, v1, v17 :: v_dual_add_f32 v18, v18, v175
	v_add_f32_e32 v1, v1, v158
	s_delay_alu instid0(VALU_DEP_1) | instskip(NEXT) | instid1(VALU_DEP_1)
	v_add_f32_e32 v1, v1, v159
	v_add_f32_e32 v1, v1, v163
	s_delay_alu instid0(VALU_DEP_1) | instskip(NEXT) | instid1(VALU_DEP_1)
	v_add_f32_e32 v1, v1, v164
	v_add_f32_e32 v6, v1, v166
	scratch_load_b128 v[1:4], off, off offset:408
	v_add_f32_e32 v22, v18, v177
	v_add_f32_e32 v14, v6, v168
	ds_load_2addr_b64 v[5:8], v21 offset0:109 offset1:110
	v_add_f32_e32 v22, v22, v179
	v_add_f32_e32 v14, v14, v170
	s_delay_alu instid0(VALU_DEP_2) | instskip(NEXT) | instid1(VALU_DEP_2)
	v_add_f32_e32 v22, v22, v181
	v_add_f32_e32 v17, v14, v172
	ds_load_2addr_b64 v[13:16], v21 offset0:111 offset1:112
	v_add_f32_e32 v22, v22, v183
	s_wait_loadcnt_dscnt 0x201
	v_mul_f32_e32 v32, v5, v10
	v_dual_mul_f32 v10, v6, v10 :: v_dual_mul_f32 v153, v7, v12
	v_mul_f32_e32 v12, v8, v12
	s_delay_alu instid0(VALU_DEP_3) | instskip(NEXT) | instid1(VALU_DEP_3)
	v_fmac_f32_e32 v32, v6, v9
	v_fma_f32 v154, v5, v9, -v10
	s_delay_alu instid0(VALU_DEP_4) | instskip(NEXT) | instid1(VALU_DEP_4)
	v_fmac_f32_e32 v153, v8, v11
	v_fma_f32 v156, v7, v11, -v12
	s_clause 0x1
	scratch_load_b128 v[5:8], off, off offset:424
	scratch_load_b128 v[9:12], off, off offset:440
	s_wait_loadcnt_dscnt 0x200
	v_mul_f32_e32 v157, v13, v2
	v_mul_f32_e32 v2, v14, v2
	;; [unrolled: 1-line block ×4, first 2 shown]
	s_delay_alu instid0(VALU_DEP_3) | instskip(NEXT) | instid1(VALU_DEP_3)
	v_fma_f32 v159, v13, v1, -v2
	v_dual_add_f32 v13, v22, v185 :: v_dual_fmac_f32 v158, v16, v3
	s_delay_alu instid0(VALU_DEP_3) | instskip(NEXT) | instid1(VALU_DEP_2)
	v_fma_f32 v160, v15, v3, -v4
	v_add_f32_e32 v22, v13, v187
	v_add_f32_e32 v17, v17, v174
	s_delay_alu instid0(VALU_DEP_2) | instskip(SKIP_4) | instid1(VALU_DEP_1)
	v_add_f32_e32 v29, v22, v189
	v_fmac_f32_e32 v157, v14, v1
	ds_load_2addr_b64 v[1:4], v21 offset0:113 offset1:114
	v_add_f32_e32 v17, v17, v176
	v_add_f32_e32 v162, v29, v191
	v_dual_add_f32 v17, v17, v178 :: v_dual_add_f32 v32, v162, v32
	s_delay_alu instid0(VALU_DEP_1) | instskip(SKIP_2) | instid1(VALU_DEP_1)
	v_add_f32_e32 v23, v17, v180
	scratch_load_b128 v[17:20], off, off offset:456
	v_add_f32_e32 v23, v23, v182
	v_add_f32_e32 v23, v23, v184
	s_delay_alu instid0(VALU_DEP_1) | instskip(NEXT) | instid1(VALU_DEP_1)
	v_add_f32_e32 v23, v23, v186
	v_add_f32_e32 v14, v23, v188
	ds_load_2addr_b64 v[22:25], v21 offset0:117 offset1:118
	v_add_f32_e32 v28, v14, v190
	ds_load_2addr_b64 v[13:16], v21 offset0:115 offset1:116
	v_add_f32_e32 v161, v28, v192
	ds_load_b64 v[28:29], v21 offset:952
	v_add_f32_e32 v154, v161, v154
	v_add_f32_e32 v32, v32, v153
	s_delay_alu instid0(VALU_DEP_2) | instskip(SKIP_1) | instid1(VALU_DEP_2)
	v_add_f32_e32 v154, v154, v156
	s_wait_loadcnt_dscnt 0x203
	v_dual_add_f32 v32, v32, v157 :: v_dual_mul_f32 v153, v3, v8
	v_mul_f32_e32 v8, v4, v8
	s_delay_alu instid0(VALU_DEP_3)
	v_dual_add_f32 v154, v154, v159 :: v_dual_mul_f32 v161, v1, v6
	v_mul_f32_e32 v6, v2, v6
	s_wait_loadcnt_dscnt 0x101
	v_mul_f32_e32 v156, v13, v10
	v_add_f32_e32 v32, v32, v158
	v_add_f32_e32 v154, v154, v160
	v_fmac_f32_e32 v161, v2, v5
	v_fma_f32 v1, v1, v5, -v6
	v_fma_f32 v2, v3, v7, -v8
	v_dual_fmac_f32 v156, v14, v9 :: v_dual_fmac_f32 v153, v4, v7
	s_wait_dscnt 0x0
	v_dual_mul_f32 v157, v15, v12 :: v_dual_mul_f32 v158, v28, v27
	v_dual_add_f32 v4, v32, v161 :: v_dual_mul_f32 v3, v14, v10
	s_delay_alu instid0(VALU_DEP_2) | instskip(SKIP_3) | instid1(VALU_DEP_2)
	v_dual_fmac_f32 v157, v16, v11 :: v_dual_fmac_f32 v158, v29, v26
	s_wait_loadcnt 0x0
	v_dual_mul_f32 v159, v22, v18 :: v_dual_mul_f32 v160, v24, v20
	v_add_f32_e32 v1, v154, v1
	v_dual_fmac_f32 v159, v23, v17 :: v_dual_fmac_f32 v160, v25, v19
	s_delay_alu instid0(VALU_DEP_2) | instskip(SKIP_2) | instid1(VALU_DEP_3)
	v_dual_add_f32 v1, v1, v2 :: v_dual_add_f32 v2, v4, v153
	v_fma_f32 v3, v13, v9, -v3
	v_mul_f32_e32 v4, v23, v18
	v_add_f32_e32 v2, v2, v156
	v_mul_f32_e32 v5, v16, v12
	s_delay_alu instid0(VALU_DEP_3) | instskip(NEXT) | instid1(VALU_DEP_3)
	v_fma_f32 v4, v22, v17, -v4
	v_add_f32_e32 v2, v2, v157
	s_delay_alu instid0(VALU_DEP_3) | instskip(NEXT) | instid1(VALU_DEP_2)
	v_fma_f32 v5, v15, v11, -v5
	v_add_f32_e32 v2, v2, v159
	s_delay_alu instid0(VALU_DEP_1) | instskip(NEXT) | instid1(VALU_DEP_1)
	v_dual_add_f32 v1, v1, v3 :: v_dual_add_f32 v2, v2, v160
	v_dual_mul_f32 v3, v25, v20 :: v_dual_add_f32 v2, v2, v158
	s_delay_alu instid0(VALU_DEP_2) | instskip(SKIP_1) | instid1(VALU_DEP_3)
	v_add_f32_e32 v1, v1, v5
	v_mul_f32_e32 v5, v29, v27
	v_fma_f32 v3, v24, v19, -v3
	s_delay_alu instid0(VALU_DEP_3) | instskip(NEXT) | instid1(VALU_DEP_3)
	v_dual_sub_f32 v2, v31, v2 :: v_dual_add_f32 v1, v1, v4
	v_fma_f32 v4, v28, v26, -v5
	s_delay_alu instid0(VALU_DEP_2) | instskip(NEXT) | instid1(VALU_DEP_1)
	v_add_f32_e32 v1, v1, v3
	v_add_f32_e32 v1, v1, v4
	s_delay_alu instid0(VALU_DEP_1)
	v_sub_f32_e32 v1, v30, v1
	scratch_store_b64 off, v[1:2], off offset:160
	v_cmpx_lt_u32_e32 19, v0
	s_cbranch_execz .LBB123_335
; %bb.334:
	scratch_load_b64 v[1:2], off, off offset:152
	v_mov_b32_e32 v22, v21
	scratch_store_b64 off, v[21:22], off offset:152
	s_wait_loadcnt 0x0
	ds_store_b64 v155, v[1:2]
.LBB123_335:
	s_wait_alu 0xfffe
	s_or_b32 exec_lo, exec_lo, s0
	s_wait_storecnt_dscnt 0x0
	s_barrier_signal -1
	s_barrier_wait -1
	global_inv scope:SCOPE_SE
	s_clause 0x4
	scratch_load_b128 v[5:8], off, off offset:160
	scratch_load_b128 v[1:4], off, off offset:176
	scratch_load_b128 v[9:12], off, off offset:192
	scratch_load_b128 v[13:16], off, off offset:208
	scratch_load_b128 v[17:20], off, off offset:224
	ds_load_b128 v[22:25], v21 offset:640
	ds_load_b128 v[26:29], v21 offset:656
	;; [unrolled: 1-line block ×3, first 2 shown]
	scratch_load_b64 v[30:31], off, off offset:152
	s_mov_b32 s0, exec_lo
	s_wait_loadcnt_dscnt 0x502
	v_mul_f32_e32 v32, v23, v6
	v_dual_mul_f32 v153, v22, v6 :: v_dual_mul_f32 v154, v24, v8
	v_mul_f32_e32 v6, v25, v8
	s_wait_loadcnt_dscnt 0x300
	v_mul_f32_e32 v160, v158, v12
	v_mul_f32_e32 v12, v159, v12
	v_dual_fmac_f32 v153, v23, v5 :: v_dual_fmac_f32 v154, v25, v7
	v_fma_f32 v23, v24, v7, -v6
	v_mul_f32_e32 v25, v28, v4
	v_fma_f32 v22, v22, v5, -v32
	ds_load_b128 v[5:8], v21 offset:688
	v_mul_f32_e32 v24, v26, v2
	v_mul_f32_e32 v4, v29, v4
	v_mul_f32_e32 v32, v156, v10
	v_mul_f32_e32 v10, v157, v10
	v_dual_mul_f32 v2, v27, v2 :: v_dual_fmac_f32 v25, v29, v3
	v_fmac_f32_e32 v24, v27, v1
	v_fma_f32 v27, v28, v3, -v4
	v_fmac_f32_e32 v32, v157, v9
	v_fma_f32 v28, v156, v9, -v10
	;; [unrolled: 2-line block ×3, first 2 shown]
	ds_load_b128 v[9:12], v21 offset:704
	s_wait_loadcnt_dscnt 0x201
	v_dual_mul_f32 v157, v7, v16 :: v_dual_mul_f32 v156, v5, v14
	v_mul_f32_e32 v14, v6, v14
	v_mul_f32_e32 v16, v8, v16
	s_delay_alu instid0(VALU_DEP_3)
	v_fmac_f32_e32 v157, v8, v15
	v_fma_f32 v26, v26, v1, -v2
	scratch_load_b128 v[1:4], off, off offset:240
	v_fmac_f32_e32 v156, v6, v13
	v_fma_f32 v13, v5, v13, -v14
	v_fma_f32 v14, v7, v15, -v16
	ds_load_b128 v[5:8], v21 offset:720
	s_wait_loadcnt_dscnt 0x201
	v_mul_f32_e32 v15, v9, v18
	v_mul_f32_e32 v16, v10, v18
	;; [unrolled: 1-line block ×3, first 2 shown]
	s_delay_alu instid0(VALU_DEP_3) | instskip(NEXT) | instid1(VALU_DEP_3)
	v_dual_mul_f32 v20, v12, v20 :: v_dual_fmac_f32 v15, v10, v17
	v_fma_f32 v16, v9, v17, -v16
	s_delay_alu instid0(VALU_DEP_3) | instskip(NEXT) | instid1(VALU_DEP_3)
	v_fmac_f32_e32 v18, v12, v19
	v_fma_f32 v17, v11, v19, -v20
	scratch_load_b128 v[9:12], off, off offset:256
	s_wait_loadcnt_dscnt 0x100
	v_mul_f32_e32 v19, v5, v2
	v_mul_f32_e32 v2, v6, v2
	;; [unrolled: 1-line block ×3, first 2 shown]
	s_delay_alu instid0(VALU_DEP_3) | instskip(NEXT) | instid1(VALU_DEP_3)
	v_dual_mul_f32 v4, v8, v4 :: v_dual_fmac_f32 v19, v6, v1
	v_fma_f32 v158, v5, v1, -v2
	s_delay_alu instid0(VALU_DEP_3) | instskip(NEXT) | instid1(VALU_DEP_3)
	v_fmac_f32_e32 v20, v8, v3
	v_fma_f32 v159, v7, v3, -v4
	ds_load_b128 v[1:4], v21 offset:736
	ds_load_b128 v[5:8], v21 offset:752
	s_wait_loadcnt_dscnt 0x1
	v_mul_f32_e32 v161, v1, v10
	v_mul_f32_e32 v10, v2, v10
	s_delay_alu instid0(VALU_DEP_2) | instskip(NEXT) | instid1(VALU_DEP_2)
	v_dual_mul_f32 v162, v3, v12 :: v_dual_fmac_f32 v161, v2, v9
	v_fma_f32 v163, v1, v9, -v10
	v_mul_f32_e32 v1, v4, v12
	s_delay_alu instid0(VALU_DEP_3) | instskip(NEXT) | instid1(VALU_DEP_2)
	v_fmac_f32_e32 v162, v4, v11
	v_fma_f32 v164, v3, v11, -v1
	s_clause 0x1
	scratch_load_b128 v[1:4], off, off offset:272
	scratch_load_b128 v[9:12], off, off offset:288
	s_wait_loadcnt_dscnt 0x100
	v_mul_f32_e32 v165, v5, v2
	v_dual_mul_f32 v2, v6, v2 :: v_dual_mul_f32 v167, v7, v4
	s_delay_alu instid0(VALU_DEP_2) | instskip(NEXT) | instid1(VALU_DEP_2)
	v_fmac_f32_e32 v165, v6, v1
	v_fma_f32 v166, v5, v1, -v2
	v_mul_f32_e32 v1, v8, v4
	s_delay_alu instid0(VALU_DEP_4) | instskip(NEXT) | instid1(VALU_DEP_2)
	v_fmac_f32_e32 v167, v8, v3
	v_fma_f32 v168, v7, v3, -v1
	ds_load_b128 v[1:4], v21 offset:768
	ds_load_b128 v[5:8], v21 offset:784
	s_wait_loadcnt_dscnt 0x1
	v_mul_f32_e32 v169, v1, v10
	v_mul_f32_e32 v171, v3, v12
	s_delay_alu instid0(VALU_DEP_2) | instskip(NEXT) | instid1(VALU_DEP_2)
	v_fmac_f32_e32 v169, v2, v9
	v_dual_mul_f32 v2, v2, v10 :: v_dual_fmac_f32 v171, v4, v11
	s_delay_alu instid0(VALU_DEP_1) | instskip(SKIP_1) | instid1(VALU_DEP_1)
	v_fma_f32 v170, v1, v9, -v2
	v_mul_f32_e32 v1, v4, v12
	v_fma_f32 v172, v3, v11, -v1
	s_clause 0x1
	scratch_load_b128 v[1:4], off, off offset:304
	scratch_load_b128 v[9:12], off, off offset:320
	s_wait_loadcnt_dscnt 0x100
	v_mul_f32_e32 v173, v5, v2
	v_dual_mul_f32 v2, v6, v2 :: v_dual_mul_f32 v175, v7, v4
	s_delay_alu instid0(VALU_DEP_2) | instskip(NEXT) | instid1(VALU_DEP_2)
	v_fmac_f32_e32 v173, v6, v1
	v_fma_f32 v174, v5, v1, -v2
	v_mul_f32_e32 v1, v8, v4
	s_delay_alu instid0(VALU_DEP_4) | instskip(NEXT) | instid1(VALU_DEP_2)
	v_fmac_f32_e32 v175, v8, v3
	v_fma_f32 v176, v7, v3, -v1
	ds_load_b128 v[1:4], v21 offset:800
	ds_load_b128 v[5:8], v21 offset:816
	s_wait_loadcnt_dscnt 0x1
	v_mul_f32_e32 v177, v1, v10
	v_mul_f32_e32 v179, v3, v12
	s_delay_alu instid0(VALU_DEP_2) | instskip(NEXT) | instid1(VALU_DEP_2)
	v_fmac_f32_e32 v177, v2, v9
	v_dual_mul_f32 v2, v2, v10 :: v_dual_fmac_f32 v179, v4, v11
	s_delay_alu instid0(VALU_DEP_1) | instskip(SKIP_1) | instid1(VALU_DEP_1)
	v_fma_f32 v178, v1, v9, -v2
	v_mul_f32_e32 v1, v4, v12
	;; [unrolled: 25-line block ×4, first 2 shown]
	v_fma_f32 v196, v3, v11, -v1
	s_clause 0x1
	scratch_load_b128 v[1:4], off, off offset:400
	scratch_load_b128 v[9:12], off, off offset:416
	s_wait_loadcnt_dscnt 0x100
	v_mul_f32_e32 v197, v5, v2
	v_mul_f32_e32 v2, v6, v2
	s_delay_alu instid0(VALU_DEP_1) | instskip(SKIP_1) | instid1(VALU_DEP_1)
	v_fma_f32 v198, v5, v1, -v2
	v_add_f32_e32 v2, 0, v153
	v_add_f32_e32 v2, v2, v154
	s_delay_alu instid0(VALU_DEP_1) | instskip(NEXT) | instid1(VALU_DEP_1)
	v_add_f32_e32 v2, v2, v24
	v_add_f32_e32 v2, v2, v25
	s_delay_alu instid0(VALU_DEP_1) | instskip(NEXT) | instid1(VALU_DEP_1)
	;; [unrolled: 3-line block ×5, first 2 shown]
	v_add_f32_e32 v2, v2, v19
	v_add_f32_e32 v2, v2, v20
	v_mul_f32_e32 v199, v7, v4
	v_fmac_f32_e32 v197, v6, v1
	s_delay_alu instid0(VALU_DEP_2) | instskip(NEXT) | instid1(VALU_DEP_1)
	v_dual_add_f32 v2, v2, v161 :: v_dual_fmac_f32 v199, v8, v3
	v_dual_add_f32 v2, v2, v162 :: v_dual_mul_f32 v1, v8, v4
	s_delay_alu instid0(VALU_DEP_1) | instskip(NEXT) | instid1(VALU_DEP_2)
	v_add_f32_e32 v2, v2, v165
	v_fma_f32 v200, v7, v3, -v1
	s_delay_alu instid0(VALU_DEP_2) | instskip(NEXT) | instid1(VALU_DEP_1)
	v_dual_add_f32 v1, 0, v22 :: v_dual_add_f32 v2, v2, v167
	v_add_f32_e32 v1, v1, v23
	s_delay_alu instid0(VALU_DEP_1) | instskip(NEXT) | instid1(VALU_DEP_1)
	v_add_f32_e32 v1, v1, v26
	v_add_f32_e32 v1, v1, v27
	s_delay_alu instid0(VALU_DEP_1) | instskip(NEXT) | instid1(VALU_DEP_1)
	v_add_f32_e32 v1, v1, v28
	;; [unrolled: 3-line block ×10, first 2 shown]
	v_add_f32_e32 v13, v13, v180
	s_delay_alu instid0(VALU_DEP_1) | instskip(SKIP_3) | instid1(VALU_DEP_1)
	v_add_f32_e32 v13, v13, v182
	v_add_f32_e32 v5, v2, v169
	ds_load_b128 v[1:4], v21 offset:896
	v_add_f32_e32 v18, v13, v184
	v_dual_add_f32 v5, v5, v171 :: v_dual_add_f32 v18, v18, v186
	s_delay_alu instid0(VALU_DEP_1) | instskip(NEXT) | instid1(VALU_DEP_1)
	v_dual_add_f32 v5, v5, v173 :: v_dual_add_f32 v18, v18, v188
	v_add_f32_e32 v14, v5, v175
	ds_load_b128 v[5:8], v21 offset:912
	v_add_f32_e32 v22, v18, v190
	s_wait_loadcnt_dscnt 0x1
	v_dual_add_f32 v14, v14, v177 :: v_dual_mul_f32 v25, v1, v10
	v_mul_f32_e32 v26, v3, v12
	v_mul_f32_e32 v10, v2, v10
	;; [unrolled: 1-line block ×3, first 2 shown]
	s_delay_alu instid0(VALU_DEP_4) | instskip(NEXT) | instid1(VALU_DEP_4)
	v_add_f32_e32 v14, v14, v179
	v_dual_add_f32 v29, v22, v192 :: v_dual_fmac_f32 v26, v4, v11
	s_delay_alu instid0(VALU_DEP_4) | instskip(NEXT) | instid1(VALU_DEP_4)
	v_fma_f32 v27, v1, v9, -v10
	v_fma_f32 v28, v3, v11, -v12
	s_delay_alu instid0(VALU_DEP_4) | instskip(SKIP_3) | instid1(VALU_DEP_2)
	v_add_f32_e32 v17, v14, v181
	scratch_load_b128 v[13:16], off, off offset:464
	v_add_f32_e32 v29, v29, v194
	v_add_f32_e32 v17, v17, v183
	;; [unrolled: 1-line block ×3, first 2 shown]
	s_delay_alu instid0(VALU_DEP_2) | instskip(NEXT) | instid1(VALU_DEP_2)
	v_add_f32_e32 v17, v17, v185
	v_add_f32_e32 v29, v29, v198
	s_delay_alu instid0(VALU_DEP_2) | instskip(NEXT) | instid1(VALU_DEP_2)
	v_add_f32_e32 v17, v17, v187
	v_add_f32_e32 v29, v29, v200
	s_delay_alu instid0(VALU_DEP_2)
	v_add_f32_e32 v23, v17, v189
	ds_load_b128 v[17:20], v21 offset:928
	v_add_f32_e32 v27, v29, v27
	v_add_f32_e32 v32, v23, v191
	ds_load_b128 v[21:24], v21 offset:944
	v_fmac_f32_e32 v25, v2, v9
	s_clause 0x1
	scratch_load_b128 v[1:4], off, off offset:432
	scratch_load_b128 v[9:12], off, off offset:448
	v_add_f32_e32 v32, v32, v193
	s_delay_alu instid0(VALU_DEP_1) | instskip(NEXT) | instid1(VALU_DEP_1)
	v_add_f32_e32 v32, v32, v195
	v_add_f32_e32 v32, v32, v197
	s_delay_alu instid0(VALU_DEP_1) | instskip(SKIP_1) | instid1(VALU_DEP_1)
	v_add_f32_e32 v32, v32, v199
	s_wait_loadcnt_dscnt 0x200
	v_dual_mul_f32 v158, v21, v14 :: v_dual_add_f32 v25, v32, v25
	s_delay_alu instid0(VALU_DEP_1) | instskip(NEXT) | instid1(VALU_DEP_1)
	v_dual_mul_f32 v29, v23, v16 :: v_dual_fmac_f32 v158, v22, v13
	v_fmac_f32_e32 v29, v24, v15
	s_wait_loadcnt 0x1
	v_mul_f32_e32 v153, v5, v2
	v_mul_f32_e32 v2, v6, v2
	v_mul_f32_e32 v154, v7, v4
	v_mul_f32_e32 v4, v8, v4
	s_wait_loadcnt 0x0
	v_dual_mul_f32 v156, v17, v10 :: v_dual_fmac_f32 v153, v6, v1
	v_fma_f32 v2, v5, v1, -v2
	v_add_f32_e32 v1, v27, v28
	v_add_f32_e32 v5, v25, v26
	v_mul_f32_e32 v6, v18, v10
	v_fmac_f32_e32 v154, v8, v3
	v_fma_f32 v3, v7, v3, -v4
	v_add_f32_e32 v1, v1, v2
	v_dual_add_f32 v2, v5, v153 :: v_dual_mul_f32 v157, v19, v12
	v_mul_f32_e32 v4, v20, v12
	v_fmac_f32_e32 v156, v18, v9
	v_fma_f32 v5, v17, v9, -v6
	s_delay_alu instid0(VALU_DEP_4) | instskip(SKIP_3) | instid1(VALU_DEP_4)
	v_dual_add_f32 v1, v1, v3 :: v_dual_add_f32 v2, v2, v154
	v_mul_f32_e32 v3, v22, v14
	v_fmac_f32_e32 v157, v20, v11
	v_fma_f32 v4, v19, v11, -v4
	v_dual_add_f32 v1, v1, v5 :: v_dual_add_f32 v2, v2, v156
	v_mul_f32_e32 v5, v24, v16
	v_fma_f32 v3, v21, v13, -v3
	s_delay_alu instid0(VALU_DEP_3) | instskip(NEXT) | instid1(VALU_DEP_3)
	v_dual_add_f32 v1, v1, v4 :: v_dual_add_f32 v2, v2, v157
	v_fma_f32 v4, v23, v15, -v5
	s_delay_alu instid0(VALU_DEP_2) | instskip(NEXT) | instid1(VALU_DEP_1)
	v_dual_add_f32 v1, v1, v3 :: v_dual_add_f32 v2, v2, v158
	v_dual_add_f32 v1, v1, v4 :: v_dual_add_f32 v2, v2, v29
	s_delay_alu instid0(VALU_DEP_1)
	v_dual_sub_f32 v1, v30, v1 :: v_dual_sub_f32 v2, v31, v2
	scratch_store_b64 off, v[1:2], off offset:152
	v_cmpx_lt_u32_e32 18, v0
	s_cbranch_execz .LBB123_337
; %bb.336:
	scratch_load_b64 v[1:2], off, off offset:144
	v_mov_b32_e32 v3, 0
	s_delay_alu instid0(VALU_DEP_1)
	v_mov_b32_e32 v4, v3
	scratch_store_b64 off, v[3:4], off offset:144
	s_wait_loadcnt 0x0
	ds_store_b64 v155, v[1:2]
.LBB123_337:
	s_wait_alu 0xfffe
	s_or_b32 exec_lo, exec_lo, s0
	s_wait_storecnt_dscnt 0x0
	s_barrier_signal -1
	s_barrier_wait -1
	global_inv scope:SCOPE_SE
	s_clause 0x4
	scratch_load_b128 v[5:8], off, off offset:152
	scratch_load_b128 v[1:4], off, off offset:168
	scratch_load_b128 v[9:12], off, off offset:184
	scratch_load_b128 v[13:16], off, off offset:200
	scratch_load_b128 v[17:20], off, off offset:216
	v_mov_b32_e32 v21, 0
	ds_load_2addr_b64 v[22:25], v21 offset0:79 offset1:80
	ds_load_2addr_b64 v[26:29], v21 offset0:81 offset1:82
	;; [unrolled: 1-line block ×3, first 2 shown]
	scratch_load_b64 v[30:31], off, off offset:144
	s_mov_b32 s0, exec_lo
	s_wait_loadcnt_dscnt 0x502
	v_mul_f32_e32 v32, v23, v6
	v_dual_mul_f32 v153, v22, v6 :: v_dual_mul_f32 v154, v24, v8
	v_mul_f32_e32 v6, v25, v8
	s_wait_loadcnt_dscnt 0x300
	v_mul_f32_e32 v160, v158, v12
	v_fma_f32 v22, v22, v5, -v32
	v_dual_fmac_f32 v153, v23, v5 :: v_dual_fmac_f32 v154, v25, v7
	v_mul_f32_e32 v25, v28, v4
	v_fma_f32 v23, v24, v7, -v6
	ds_load_2addr_b64 v[5:8], v21 offset0:85 offset1:86
	v_mul_f32_e32 v24, v26, v2
	v_mul_f32_e32 v4, v29, v4
	;; [unrolled: 1-line block ×5, first 2 shown]
	v_dual_mul_f32 v2, v27, v2 :: v_dual_fmac_f32 v25, v29, v3
	v_fmac_f32_e32 v24, v27, v1
	v_fma_f32 v27, v28, v3, -v4
	v_fmac_f32_e32 v32, v157, v9
	v_fma_f32 v28, v156, v9, -v10
	;; [unrolled: 2-line block ×3, first 2 shown]
	ds_load_2addr_b64 v[9:12], v21 offset0:87 offset1:88
	s_wait_loadcnt_dscnt 0x201
	v_dual_mul_f32 v157, v7, v16 :: v_dual_mul_f32 v156, v5, v14
	v_mul_f32_e32 v14, v6, v14
	v_mul_f32_e32 v16, v8, v16
	s_delay_alu instid0(VALU_DEP_3)
	v_fmac_f32_e32 v157, v8, v15
	v_fma_f32 v26, v26, v1, -v2
	scratch_load_b128 v[1:4], off, off offset:232
	v_fmac_f32_e32 v156, v6, v13
	v_fma_f32 v13, v5, v13, -v14
	v_fma_f32 v14, v7, v15, -v16
	ds_load_2addr_b64 v[5:8], v21 offset0:89 offset1:90
	s_wait_loadcnt_dscnt 0x201
	v_mul_f32_e32 v15, v9, v18
	v_mul_f32_e32 v16, v10, v18
	;; [unrolled: 1-line block ×3, first 2 shown]
	s_delay_alu instid0(VALU_DEP_3) | instskip(NEXT) | instid1(VALU_DEP_3)
	v_dual_mul_f32 v20, v12, v20 :: v_dual_fmac_f32 v15, v10, v17
	v_fma_f32 v16, v9, v17, -v16
	s_delay_alu instid0(VALU_DEP_3) | instskip(NEXT) | instid1(VALU_DEP_3)
	v_fmac_f32_e32 v18, v12, v19
	v_fma_f32 v17, v11, v19, -v20
	scratch_load_b128 v[9:12], off, off offset:248
	s_wait_loadcnt_dscnt 0x100
	v_mul_f32_e32 v19, v5, v2
	v_mul_f32_e32 v2, v6, v2
	;; [unrolled: 1-line block ×3, first 2 shown]
	s_delay_alu instid0(VALU_DEP_3) | instskip(NEXT) | instid1(VALU_DEP_3)
	v_dual_mul_f32 v4, v8, v4 :: v_dual_fmac_f32 v19, v6, v1
	v_fma_f32 v158, v5, v1, -v2
	s_delay_alu instid0(VALU_DEP_3) | instskip(NEXT) | instid1(VALU_DEP_3)
	v_fmac_f32_e32 v20, v8, v3
	v_fma_f32 v159, v7, v3, -v4
	ds_load_2addr_b64 v[1:4], v21 offset0:91 offset1:92
	ds_load_2addr_b64 v[5:8], v21 offset0:93 offset1:94
	s_wait_loadcnt_dscnt 0x1
	v_mul_f32_e32 v161, v1, v10
	v_mul_f32_e32 v10, v2, v10
	s_delay_alu instid0(VALU_DEP_2) | instskip(NEXT) | instid1(VALU_DEP_2)
	v_dual_mul_f32 v162, v3, v12 :: v_dual_fmac_f32 v161, v2, v9
	v_fma_f32 v163, v1, v9, -v10
	v_mul_f32_e32 v1, v4, v12
	s_delay_alu instid0(VALU_DEP_3) | instskip(NEXT) | instid1(VALU_DEP_2)
	v_fmac_f32_e32 v162, v4, v11
	v_fma_f32 v164, v3, v11, -v1
	s_clause 0x1
	scratch_load_b128 v[1:4], off, off offset:264
	scratch_load_b128 v[9:12], off, off offset:280
	s_wait_loadcnt_dscnt 0x100
	v_mul_f32_e32 v165, v5, v2
	v_dual_mul_f32 v2, v6, v2 :: v_dual_mul_f32 v167, v7, v4
	s_delay_alu instid0(VALU_DEP_2) | instskip(NEXT) | instid1(VALU_DEP_2)
	v_fmac_f32_e32 v165, v6, v1
	v_fma_f32 v166, v5, v1, -v2
	v_mul_f32_e32 v1, v8, v4
	s_delay_alu instid0(VALU_DEP_4) | instskip(NEXT) | instid1(VALU_DEP_2)
	v_fmac_f32_e32 v167, v8, v3
	v_fma_f32 v168, v7, v3, -v1
	ds_load_2addr_b64 v[1:4], v21 offset0:95 offset1:96
	ds_load_2addr_b64 v[5:8], v21 offset0:97 offset1:98
	s_wait_loadcnt_dscnt 0x1
	v_mul_f32_e32 v169, v1, v10
	v_mul_f32_e32 v171, v3, v12
	s_delay_alu instid0(VALU_DEP_2) | instskip(NEXT) | instid1(VALU_DEP_2)
	v_fmac_f32_e32 v169, v2, v9
	v_dual_mul_f32 v2, v2, v10 :: v_dual_fmac_f32 v171, v4, v11
	s_delay_alu instid0(VALU_DEP_1) | instskip(SKIP_1) | instid1(VALU_DEP_1)
	v_fma_f32 v170, v1, v9, -v2
	v_mul_f32_e32 v1, v4, v12
	v_fma_f32 v172, v3, v11, -v1
	s_clause 0x1
	scratch_load_b128 v[1:4], off, off offset:296
	scratch_load_b128 v[9:12], off, off offset:312
	s_wait_loadcnt_dscnt 0x100
	v_mul_f32_e32 v173, v5, v2
	v_dual_mul_f32 v2, v6, v2 :: v_dual_mul_f32 v175, v7, v4
	s_delay_alu instid0(VALU_DEP_2) | instskip(NEXT) | instid1(VALU_DEP_2)
	v_fmac_f32_e32 v173, v6, v1
	v_fma_f32 v174, v5, v1, -v2
	v_mul_f32_e32 v1, v8, v4
	s_delay_alu instid0(VALU_DEP_4) | instskip(NEXT) | instid1(VALU_DEP_2)
	v_fmac_f32_e32 v175, v8, v3
	v_fma_f32 v176, v7, v3, -v1
	ds_load_2addr_b64 v[1:4], v21 offset0:99 offset1:100
	ds_load_2addr_b64 v[5:8], v21 offset0:101 offset1:102
	s_wait_loadcnt_dscnt 0x1
	v_mul_f32_e32 v177, v1, v10
	v_mul_f32_e32 v179, v3, v12
	s_delay_alu instid0(VALU_DEP_2) | instskip(NEXT) | instid1(VALU_DEP_2)
	v_fmac_f32_e32 v177, v2, v9
	v_dual_mul_f32 v2, v2, v10 :: v_dual_fmac_f32 v179, v4, v11
	s_delay_alu instid0(VALU_DEP_1) | instskip(SKIP_1) | instid1(VALU_DEP_1)
	v_fma_f32 v178, v1, v9, -v2
	v_mul_f32_e32 v1, v4, v12
	;; [unrolled: 25-line block ×4, first 2 shown]
	v_fma_f32 v196, v3, v11, -v1
	s_clause 0x1
	scratch_load_b128 v[1:4], off, off offset:392
	scratch_load_b128 v[9:12], off, off offset:408
	s_wait_loadcnt_dscnt 0x100
	v_mul_f32_e32 v197, v5, v2
	v_mul_f32_e32 v2, v6, v2
	s_delay_alu instid0(VALU_DEP_1) | instskip(SKIP_1) | instid1(VALU_DEP_1)
	v_fma_f32 v198, v5, v1, -v2
	v_add_f32_e32 v2, 0, v153
	v_add_f32_e32 v2, v2, v154
	s_delay_alu instid0(VALU_DEP_1) | instskip(NEXT) | instid1(VALU_DEP_1)
	v_add_f32_e32 v2, v2, v24
	v_add_f32_e32 v2, v2, v25
	s_delay_alu instid0(VALU_DEP_1) | instskip(NEXT) | instid1(VALU_DEP_1)
	;; [unrolled: 3-line block ×5, first 2 shown]
	v_add_f32_e32 v2, v2, v19
	v_add_f32_e32 v2, v2, v20
	v_mul_f32_e32 v199, v7, v4
	v_fmac_f32_e32 v197, v6, v1
	s_delay_alu instid0(VALU_DEP_2) | instskip(NEXT) | instid1(VALU_DEP_1)
	v_dual_add_f32 v2, v2, v161 :: v_dual_fmac_f32 v199, v8, v3
	v_dual_add_f32 v2, v2, v162 :: v_dual_mul_f32 v1, v8, v4
	s_delay_alu instid0(VALU_DEP_1) | instskip(NEXT) | instid1(VALU_DEP_2)
	v_add_f32_e32 v2, v2, v165
	v_fma_f32 v200, v7, v3, -v1
	s_delay_alu instid0(VALU_DEP_2) | instskip(NEXT) | instid1(VALU_DEP_1)
	v_dual_add_f32 v1, 0, v22 :: v_dual_add_f32 v2, v2, v167
	v_add_f32_e32 v1, v1, v23
	s_delay_alu instid0(VALU_DEP_2) | instskip(NEXT) | instid1(VALU_DEP_2)
	v_add_f32_e32 v5, v2, v169
	v_add_f32_e32 v1, v1, v26
	s_delay_alu instid0(VALU_DEP_2) | instskip(NEXT) | instid1(VALU_DEP_2)
	v_add_f32_e32 v5, v5, v171
	v_add_f32_e32 v1, v1, v27
	scratch_load_b64 v[26:27], off, off offset:472
	v_add_f32_e32 v5, v5, v173
	v_add_f32_e32 v1, v1, v28
	s_delay_alu instid0(VALU_DEP_1) | instskip(NEXT) | instid1(VALU_DEP_1)
	v_add_f32_e32 v1, v1, v29
	v_add_f32_e32 v1, v1, v13
	s_delay_alu instid0(VALU_DEP_1) | instskip(SKIP_1) | instid1(VALU_DEP_2)
	v_add_f32_e32 v1, v1, v14
	v_add_f32_e32 v14, v5, v175
	;; [unrolled: 1-line block ×3, first 2 shown]
	s_delay_alu instid0(VALU_DEP_1) | instskip(NEXT) | instid1(VALU_DEP_1)
	v_add_f32_e32 v1, v1, v17
	v_add_f32_e32 v1, v1, v158
	s_delay_alu instid0(VALU_DEP_1) | instskip(NEXT) | instid1(VALU_DEP_1)
	v_add_f32_e32 v1, v1, v159
	v_add_f32_e32 v1, v1, v163
	;; [unrolled: 3-line block ×4, first 2 shown]
	s_delay_alu instid0(VALU_DEP_1) | instskip(SKIP_3) | instid1(VALU_DEP_2)
	v_add_f32_e32 v6, v1, v172
	ds_load_2addr_b64 v[1:4], v21 offset0:111 offset1:112
	v_add_f32_e32 v14, v14, v177
	v_add_f32_e32 v6, v6, v174
	;; [unrolled: 1-line block ×3, first 2 shown]
	s_delay_alu instid0(VALU_DEP_2)
	v_add_f32_e32 v13, v6, v176
	ds_load_2addr_b64 v[5:8], v21 offset0:113 offset1:114
	s_wait_loadcnt_dscnt 0x101
	v_mul_f32_e32 v32, v1, v10
	v_dual_mul_f32 v10, v2, v10 :: v_dual_mul_f32 v153, v3, v12
	v_mul_f32_e32 v12, v4, v12
	s_delay_alu instid0(VALU_DEP_3) | instskip(NEXT) | instid1(VALU_DEP_3)
	v_fmac_f32_e32 v32, v2, v9
	v_fma_f32 v154, v1, v9, -v10
	s_delay_alu instid0(VALU_DEP_4) | instskip(NEXT) | instid1(VALU_DEP_4)
	v_fmac_f32_e32 v153, v4, v11
	v_fma_f32 v156, v3, v11, -v12
	s_clause 0x1
	scratch_load_b128 v[1:4], off, off offset:424
	scratch_load_b128 v[9:12], off, off offset:440
	v_add_f32_e32 v13, v13, v178
	s_wait_loadcnt_dscnt 0x100
	v_mul_f32_e32 v159, v5, v2
	v_mul_f32_e32 v2, v6, v2
	v_mul_f32_e32 v160, v7, v4
	s_delay_alu instid0(VALU_DEP_3) | instskip(NEXT) | instid1(VALU_DEP_3)
	v_dual_mul_f32 v4, v8, v4 :: v_dual_fmac_f32 v159, v6, v1
	v_fma_f32 v2, v5, v1, -v2
	v_add_f32_e32 v13, v13, v180
	s_delay_alu instid0(VALU_DEP_4) | instskip(NEXT) | instid1(VALU_DEP_4)
	v_dual_add_f32 v17, v14, v181 :: v_dual_fmac_f32 v160, v8, v3
	v_fma_f32 v1, v7, v3, -v4
	s_delay_alu instid0(VALU_DEP_3) | instskip(NEXT) | instid1(VALU_DEP_3)
	v_add_f32_e32 v13, v13, v182
	v_add_f32_e32 v17, v17, v183
	s_delay_alu instid0(VALU_DEP_2) | instskip(SKIP_2) | instid1(VALU_DEP_1)
	v_add_f32_e32 v18, v13, v184
	scratch_load_b128 v[13:16], off, off offset:456
	v_dual_add_f32 v17, v17, v185 :: v_dual_add_f32 v18, v18, v186
	v_dual_add_f32 v17, v17, v187 :: v_dual_add_f32 v18, v18, v188
	s_delay_alu instid0(VALU_DEP_1) | instskip(NEXT) | instid1(VALU_DEP_1)
	v_dual_add_f32 v17, v17, v189 :: v_dual_add_f32 v18, v18, v190
	v_add_f32_e32 v22, v17, v191
	s_delay_alu instid0(VALU_DEP_2) | instskip(NEXT) | instid1(VALU_DEP_2)
	v_add_f32_e32 v18, v18, v192
	v_add_f32_e32 v29, v22, v193
	ds_load_2addr_b64 v[22:25], v21 offset0:117 offset1:118
	v_add_f32_e32 v28, v18, v194
	ds_load_2addr_b64 v[17:20], v21 offset0:115 offset1:116
	s_wait_loadcnt_dscnt 0x100
	v_mul_f32_e32 v3, v18, v10
	v_mul_f32_e32 v5, v20, v12
	s_delay_alu instid0(VALU_DEP_2) | instskip(NEXT) | instid1(VALU_DEP_2)
	v_fma_f32 v3, v17, v9, -v3
	v_fma_f32 v5, v19, v11, -v5
	s_wait_loadcnt 0x0
	v_mul_f32_e32 v161, v22, v14
	s_delay_alu instid0(VALU_DEP_1) | instskip(SKIP_1) | instid1(VALU_DEP_1)
	v_fmac_f32_e32 v161, v23, v13
	v_add_f32_e32 v157, v28, v196
	v_add_f32_e32 v157, v157, v198
	s_delay_alu instid0(VALU_DEP_1) | instskip(NEXT) | instid1(VALU_DEP_1)
	v_add_f32_e32 v157, v157, v200
	v_add_f32_e32 v154, v157, v154
	s_delay_alu instid0(VALU_DEP_1) | instskip(NEXT) | instid1(VALU_DEP_1)
	v_dual_mul_f32 v157, v17, v10 :: v_dual_add_f32 v154, v154, v156
	v_dual_mul_f32 v156, v24, v16 :: v_dual_fmac_f32 v157, v18, v9
	s_delay_alu instid0(VALU_DEP_2) | instskip(NEXT) | instid1(VALU_DEP_2)
	v_add_f32_e32 v2, v154, v2
	v_fmac_f32_e32 v156, v25, v15
	v_add_f32_e32 v158, v29, v195
	ds_load_b64 v[28:29], v21 offset:952
	v_add_f32_e32 v1, v2, v1
	s_delay_alu instid0(VALU_DEP_1) | instskip(NEXT) | instid1(VALU_DEP_1)
	v_dual_add_f32 v158, v158, v197 :: v_dual_add_f32 v1, v1, v3
	v_dual_mul_f32 v3, v25, v16 :: v_dual_add_f32 v158, v158, v199
	s_delay_alu instid0(VALU_DEP_2) | instskip(NEXT) | instid1(VALU_DEP_2)
	v_add_f32_e32 v1, v1, v5
	v_fma_f32 v3, v24, v15, -v3
	s_delay_alu instid0(VALU_DEP_3) | instskip(SKIP_1) | instid1(VALU_DEP_2)
	v_add_f32_e32 v32, v158, v32
	v_mul_f32_e32 v158, v19, v12
	v_add_f32_e32 v32, v32, v153
	s_delay_alu instid0(VALU_DEP_2) | instskip(SKIP_3) | instid1(VALU_DEP_2)
	v_fmac_f32_e32 v158, v20, v11
	s_wait_dscnt 0x0
	v_mul_f32_e32 v153, v28, v27
	v_mul_f32_e32 v5, v29, v27
	v_dual_add_f32 v4, v32, v159 :: v_dual_fmac_f32 v153, v29, v26
	s_delay_alu instid0(VALU_DEP_1) | instskip(SKIP_1) | instid1(VALU_DEP_2)
	v_add_f32_e32 v2, v4, v160
	v_mul_f32_e32 v4, v23, v14
	v_add_f32_e32 v2, v2, v157
	s_delay_alu instid0(VALU_DEP_2) | instskip(NEXT) | instid1(VALU_DEP_1)
	v_fma_f32 v4, v22, v13, -v4
	v_dual_add_f32 v2, v2, v158 :: v_dual_add_f32 v1, v1, v4
	v_fma_f32 v4, v28, v26, -v5
	s_delay_alu instid0(VALU_DEP_2) | instskip(NEXT) | instid1(VALU_DEP_1)
	v_dual_add_f32 v2, v2, v161 :: v_dual_add_f32 v1, v1, v3
	v_add_f32_e32 v2, v2, v156
	s_delay_alu instid0(VALU_DEP_1) | instskip(NEXT) | instid1(VALU_DEP_1)
	v_dual_add_f32 v1, v1, v4 :: v_dual_add_f32 v2, v2, v153
	v_dual_sub_f32 v1, v30, v1 :: v_dual_sub_f32 v2, v31, v2
	scratch_store_b64 off, v[1:2], off offset:144
	v_cmpx_lt_u32_e32 17, v0
	s_cbranch_execz .LBB123_339
; %bb.338:
	scratch_load_b64 v[1:2], off, off offset:136
	v_mov_b32_e32 v22, v21
	scratch_store_b64 off, v[21:22], off offset:136
	s_wait_loadcnt 0x0
	ds_store_b64 v155, v[1:2]
.LBB123_339:
	s_wait_alu 0xfffe
	s_or_b32 exec_lo, exec_lo, s0
	s_wait_storecnt_dscnt 0x0
	s_barrier_signal -1
	s_barrier_wait -1
	global_inv scope:SCOPE_SE
	s_clause 0x4
	scratch_load_b128 v[5:8], off, off offset:144
	scratch_load_b128 v[1:4], off, off offset:160
	;; [unrolled: 1-line block ×5, first 2 shown]
	ds_load_b128 v[22:25], v21 offset:624
	ds_load_b128 v[26:29], v21 offset:640
	;; [unrolled: 1-line block ×3, first 2 shown]
	scratch_load_b64 v[30:31], off, off offset:136
	s_mov_b32 s0, exec_lo
	s_wait_loadcnt_dscnt 0x502
	v_mul_f32_e32 v32, v23, v6
	v_dual_mul_f32 v153, v22, v6 :: v_dual_mul_f32 v154, v24, v8
	v_mul_f32_e32 v6, v25, v8
	s_wait_loadcnt_dscnt 0x300
	v_mul_f32_e32 v160, v158, v12
	v_mul_f32_e32 v12, v159, v12
	v_dual_fmac_f32 v153, v23, v5 :: v_dual_fmac_f32 v154, v25, v7
	v_fma_f32 v23, v24, v7, -v6
	v_mul_f32_e32 v25, v28, v4
	v_fma_f32 v22, v22, v5, -v32
	ds_load_b128 v[5:8], v21 offset:672
	v_mul_f32_e32 v24, v26, v2
	v_mul_f32_e32 v4, v29, v4
	v_mul_f32_e32 v32, v156, v10
	v_mul_f32_e32 v10, v157, v10
	v_dual_mul_f32 v2, v27, v2 :: v_dual_fmac_f32 v25, v29, v3
	v_fmac_f32_e32 v24, v27, v1
	v_fma_f32 v27, v28, v3, -v4
	v_fmac_f32_e32 v32, v157, v9
	v_fma_f32 v28, v156, v9, -v10
	;; [unrolled: 2-line block ×3, first 2 shown]
	ds_load_b128 v[9:12], v21 offset:688
	s_wait_loadcnt_dscnt 0x201
	v_dual_mul_f32 v157, v7, v16 :: v_dual_mul_f32 v156, v5, v14
	v_mul_f32_e32 v14, v6, v14
	v_mul_f32_e32 v16, v8, v16
	s_delay_alu instid0(VALU_DEP_3)
	v_fmac_f32_e32 v157, v8, v15
	v_fma_f32 v26, v26, v1, -v2
	scratch_load_b128 v[1:4], off, off offset:224
	v_fmac_f32_e32 v156, v6, v13
	v_fma_f32 v13, v5, v13, -v14
	v_fma_f32 v14, v7, v15, -v16
	ds_load_b128 v[5:8], v21 offset:704
	s_wait_loadcnt_dscnt 0x201
	v_mul_f32_e32 v15, v9, v18
	v_mul_f32_e32 v16, v10, v18
	;; [unrolled: 1-line block ×3, first 2 shown]
	s_delay_alu instid0(VALU_DEP_3) | instskip(NEXT) | instid1(VALU_DEP_3)
	v_dual_mul_f32 v20, v12, v20 :: v_dual_fmac_f32 v15, v10, v17
	v_fma_f32 v16, v9, v17, -v16
	s_delay_alu instid0(VALU_DEP_3) | instskip(NEXT) | instid1(VALU_DEP_3)
	v_fmac_f32_e32 v18, v12, v19
	v_fma_f32 v17, v11, v19, -v20
	scratch_load_b128 v[9:12], off, off offset:240
	s_wait_loadcnt_dscnt 0x100
	v_mul_f32_e32 v19, v5, v2
	v_mul_f32_e32 v2, v6, v2
	;; [unrolled: 1-line block ×3, first 2 shown]
	s_delay_alu instid0(VALU_DEP_3) | instskip(NEXT) | instid1(VALU_DEP_3)
	v_dual_mul_f32 v4, v8, v4 :: v_dual_fmac_f32 v19, v6, v1
	v_fma_f32 v158, v5, v1, -v2
	s_delay_alu instid0(VALU_DEP_3) | instskip(NEXT) | instid1(VALU_DEP_3)
	v_fmac_f32_e32 v20, v8, v3
	v_fma_f32 v159, v7, v3, -v4
	ds_load_b128 v[1:4], v21 offset:720
	ds_load_b128 v[5:8], v21 offset:736
	s_wait_loadcnt_dscnt 0x1
	v_mul_f32_e32 v161, v1, v10
	v_mul_f32_e32 v10, v2, v10
	s_delay_alu instid0(VALU_DEP_2) | instskip(NEXT) | instid1(VALU_DEP_2)
	v_dual_mul_f32 v162, v3, v12 :: v_dual_fmac_f32 v161, v2, v9
	v_fma_f32 v163, v1, v9, -v10
	v_mul_f32_e32 v1, v4, v12
	s_delay_alu instid0(VALU_DEP_3) | instskip(NEXT) | instid1(VALU_DEP_2)
	v_fmac_f32_e32 v162, v4, v11
	v_fma_f32 v164, v3, v11, -v1
	s_clause 0x1
	scratch_load_b128 v[1:4], off, off offset:256
	scratch_load_b128 v[9:12], off, off offset:272
	s_wait_loadcnt_dscnt 0x100
	v_mul_f32_e32 v165, v5, v2
	v_dual_mul_f32 v2, v6, v2 :: v_dual_mul_f32 v167, v7, v4
	s_delay_alu instid0(VALU_DEP_2) | instskip(NEXT) | instid1(VALU_DEP_2)
	v_fmac_f32_e32 v165, v6, v1
	v_fma_f32 v166, v5, v1, -v2
	v_mul_f32_e32 v1, v8, v4
	s_delay_alu instid0(VALU_DEP_4) | instskip(NEXT) | instid1(VALU_DEP_2)
	v_fmac_f32_e32 v167, v8, v3
	v_fma_f32 v168, v7, v3, -v1
	ds_load_b128 v[1:4], v21 offset:752
	ds_load_b128 v[5:8], v21 offset:768
	s_wait_loadcnt_dscnt 0x1
	v_mul_f32_e32 v169, v1, v10
	v_mul_f32_e32 v171, v3, v12
	s_delay_alu instid0(VALU_DEP_2) | instskip(NEXT) | instid1(VALU_DEP_2)
	v_fmac_f32_e32 v169, v2, v9
	v_dual_mul_f32 v2, v2, v10 :: v_dual_fmac_f32 v171, v4, v11
	s_delay_alu instid0(VALU_DEP_1) | instskip(SKIP_1) | instid1(VALU_DEP_1)
	v_fma_f32 v170, v1, v9, -v2
	v_mul_f32_e32 v1, v4, v12
	v_fma_f32 v172, v3, v11, -v1
	s_clause 0x1
	scratch_load_b128 v[1:4], off, off offset:288
	scratch_load_b128 v[9:12], off, off offset:304
	s_wait_loadcnt_dscnt 0x100
	v_mul_f32_e32 v173, v5, v2
	v_dual_mul_f32 v2, v6, v2 :: v_dual_mul_f32 v175, v7, v4
	s_delay_alu instid0(VALU_DEP_2) | instskip(NEXT) | instid1(VALU_DEP_2)
	v_fmac_f32_e32 v173, v6, v1
	v_fma_f32 v174, v5, v1, -v2
	v_mul_f32_e32 v1, v8, v4
	s_delay_alu instid0(VALU_DEP_4) | instskip(NEXT) | instid1(VALU_DEP_2)
	v_fmac_f32_e32 v175, v8, v3
	v_fma_f32 v176, v7, v3, -v1
	ds_load_b128 v[1:4], v21 offset:784
	ds_load_b128 v[5:8], v21 offset:800
	s_wait_loadcnt_dscnt 0x1
	v_mul_f32_e32 v177, v1, v10
	v_mul_f32_e32 v179, v3, v12
	s_delay_alu instid0(VALU_DEP_2) | instskip(NEXT) | instid1(VALU_DEP_2)
	v_fmac_f32_e32 v177, v2, v9
	v_dual_mul_f32 v2, v2, v10 :: v_dual_fmac_f32 v179, v4, v11
	s_delay_alu instid0(VALU_DEP_1) | instskip(SKIP_1) | instid1(VALU_DEP_1)
	v_fma_f32 v178, v1, v9, -v2
	v_mul_f32_e32 v1, v4, v12
	;; [unrolled: 25-line block ×4, first 2 shown]
	v_fma_f32 v196, v3, v11, -v1
	s_clause 0x1
	scratch_load_b128 v[1:4], off, off offset:384
	scratch_load_b128 v[9:12], off, off offset:400
	s_wait_loadcnt_dscnt 0x100
	v_mul_f32_e32 v197, v5, v2
	v_mul_f32_e32 v2, v6, v2
	s_delay_alu instid0(VALU_DEP_1) | instskip(SKIP_1) | instid1(VALU_DEP_1)
	v_fma_f32 v198, v5, v1, -v2
	v_add_f32_e32 v2, 0, v153
	v_add_f32_e32 v2, v2, v154
	s_delay_alu instid0(VALU_DEP_1) | instskip(NEXT) | instid1(VALU_DEP_1)
	v_add_f32_e32 v2, v2, v24
	v_add_f32_e32 v2, v2, v25
	s_delay_alu instid0(VALU_DEP_1) | instskip(NEXT) | instid1(VALU_DEP_1)
	;; [unrolled: 3-line block ×5, first 2 shown]
	v_add_f32_e32 v2, v2, v19
	v_add_f32_e32 v2, v2, v20
	v_mul_f32_e32 v199, v7, v4
	v_fmac_f32_e32 v197, v6, v1
	s_delay_alu instid0(VALU_DEP_2) | instskip(NEXT) | instid1(VALU_DEP_1)
	v_dual_add_f32 v2, v2, v161 :: v_dual_fmac_f32 v199, v8, v3
	v_dual_add_f32 v2, v2, v162 :: v_dual_mul_f32 v1, v8, v4
	s_delay_alu instid0(VALU_DEP_1) | instskip(NEXT) | instid1(VALU_DEP_2)
	v_add_f32_e32 v2, v2, v165
	v_fma_f32 v200, v7, v3, -v1
	s_delay_alu instid0(VALU_DEP_2) | instskip(NEXT) | instid1(VALU_DEP_1)
	v_dual_add_f32 v1, 0, v22 :: v_dual_add_f32 v2, v2, v167
	v_dual_add_f32 v1, v1, v23 :: v_dual_add_f32 v2, v2, v169
	s_delay_alu instid0(VALU_DEP_1) | instskip(NEXT) | instid1(VALU_DEP_2)
	v_add_f32_e32 v1, v1, v26
	v_add_f32_e32 v5, v2, v171
	s_delay_alu instid0(VALU_DEP_2) | instskip(NEXT) | instid1(VALU_DEP_1)
	v_add_f32_e32 v1, v1, v27
	v_add_f32_e32 v1, v1, v28
	s_delay_alu instid0(VALU_DEP_1) | instskip(NEXT) | instid1(VALU_DEP_1)
	v_add_f32_e32 v1, v1, v29
	v_add_f32_e32 v1, v1, v13
	;; [unrolled: 1-line block ×3, first 2 shown]
	s_delay_alu instid0(VALU_DEP_1) | instskip(NEXT) | instid1(VALU_DEP_1)
	v_add_f32_e32 v13, v13, v175
	v_add_f32_e32 v13, v13, v177
	s_delay_alu instid0(VALU_DEP_1) | instskip(SKIP_1) | instid1(VALU_DEP_1)
	v_add_f32_e32 v18, v13, v179
	v_add_f32_e32 v1, v1, v14
	;; [unrolled: 1-line block ×3, first 2 shown]
	s_delay_alu instid0(VALU_DEP_1) | instskip(NEXT) | instid1(VALU_DEP_1)
	v_add_f32_e32 v1, v1, v17
	v_add_f32_e32 v1, v1, v158
	s_delay_alu instid0(VALU_DEP_1) | instskip(NEXT) | instid1(VALU_DEP_1)
	v_add_f32_e32 v1, v1, v159
	v_add_f32_e32 v1, v1, v163
	;; [unrolled: 3-line block ×5, first 2 shown]
	ds_load_b128 v[1:4], v21 offset:880
	v_add_f32_e32 v18, v18, v181
	v_add_f32_e32 v14, v6, v176
	scratch_load_b128 v[5:8], off, off offset:416
	v_add_f32_e32 v18, v18, v183
	v_add_f32_e32 v14, v14, v178
	s_delay_alu instid0(VALU_DEP_2) | instskip(NEXT) | instid1(VALU_DEP_2)
	v_add_f32_e32 v22, v18, v185
	v_add_f32_e32 v17, v14, v180
	ds_load_b128 v[13:16], v21 offset:896
	s_wait_loadcnt_dscnt 0x101
	v_dual_add_f32 v22, v22, v187 :: v_dual_mul_f32 v25, v1, v10
	v_mul_f32_e32 v10, v2, v10
	v_mul_f32_e32 v26, v3, v12
	;; [unrolled: 1-line block ×3, first 2 shown]
	s_delay_alu instid0(VALU_DEP_4)
	v_add_f32_e32 v22, v22, v189
	v_fmac_f32_e32 v25, v2, v9
	v_fma_f32 v27, v1, v9, -v10
	v_fmac_f32_e32 v26, v4, v11
	v_fma_f32 v28, v3, v11, -v12
	s_clause 0x1
	scratch_load_b128 v[1:4], off, off offset:432
	scratch_load_b128 v[9:12], off, off offset:448
	s_wait_loadcnt_dscnt 0x200
	v_mul_f32_e32 v29, v13, v6
	v_mul_f32_e32 v6, v14, v6
	;; [unrolled: 1-line block ×3, first 2 shown]
	s_delay_alu instid0(VALU_DEP_3) | instskip(NEXT) | instid1(VALU_DEP_3)
	v_dual_mul_f32 v8, v16, v8 :: v_dual_fmac_f32 v29, v14, v5
	v_fma_f32 v153, v13, v5, -v6
	s_delay_alu instid0(VALU_DEP_3) | instskip(NEXT) | instid1(VALU_DEP_3)
	v_fmac_f32_e32 v32, v16, v7
	v_fma_f32 v154, v15, v7, -v8
	ds_load_b128 v[5:8], v21 offset:912
	v_add_f32_e32 v17, v17, v182
	v_add_f32_e32 v13, v22, v191
	s_delay_alu instid0(VALU_DEP_2) | instskip(NEXT) | instid1(VALU_DEP_1)
	v_add_f32_e32 v17, v17, v184
	v_add_f32_e32 v17, v17, v186
	s_delay_alu instid0(VALU_DEP_1) | instskip(SKIP_2) | instid1(VALU_DEP_1)
	v_add_f32_e32 v23, v17, v188
	scratch_load_b128 v[17:20], off, off offset:464
	v_add_f32_e32 v23, v23, v190
	v_add_f32_e32 v23, v23, v192
	s_delay_alu instid0(VALU_DEP_1)
	v_dual_add_f32 v22, v23, v194 :: v_dual_add_f32 v23, v13, v193
	ds_load_b128 v[13:16], v21 offset:928
	s_wait_loadcnt_dscnt 0x201
	v_mul_f32_e32 v158, v5, v2
	v_mul_f32_e32 v2, v6, v2
	v_dual_add_f32 v156, v22, v196 :: v_dual_add_f32 v157, v23, v195
	ds_load_b128 v[21:24], v21 offset:944
	v_fmac_f32_e32 v158, v6, v1
	v_fma_f32 v2, v5, v1, -v2
	v_add_f32_e32 v156, v156, v198
	s_delay_alu instid0(VALU_DEP_1) | instskip(NEXT) | instid1(VALU_DEP_1)
	v_add_f32_e32 v156, v156, v200
	v_dual_add_f32 v27, v156, v27 :: v_dual_mul_f32 v156, v7, v4
	v_mul_f32_e32 v4, v8, v4
	s_wait_loadcnt_dscnt 0x101
	v_dual_mul_f32 v6, v14, v10 :: v_dual_mul_f32 v159, v15, v12
	s_delay_alu instid0(VALU_DEP_3) | instskip(NEXT) | instid1(VALU_DEP_3)
	v_dual_add_f32 v27, v27, v28 :: v_dual_fmac_f32 v156, v8, v3
	v_fma_f32 v3, v7, v3, -v4
	v_mul_f32_e32 v4, v16, v12
	s_delay_alu instid0(VALU_DEP_4) | instskip(NEXT) | instid1(VALU_DEP_4)
	v_fmac_f32_e32 v159, v16, v11
	v_add_f32_e32 v27, v27, v153
	s_delay_alu instid0(VALU_DEP_3) | instskip(NEXT) | instid1(VALU_DEP_2)
	v_fma_f32 v4, v15, v11, -v4
	v_add_f32_e32 v1, v27, v154
	s_delay_alu instid0(VALU_DEP_1) | instskip(SKIP_1) | instid1(VALU_DEP_1)
	v_add_f32_e32 v1, v1, v2
	s_wait_loadcnt_dscnt 0x0
	v_dual_add_f32 v1, v1, v3 :: v_dual_mul_f32 v28, v23, v20
	s_delay_alu instid0(VALU_DEP_1) | instskip(SKIP_1) | instid1(VALU_DEP_2)
	v_dual_mul_f32 v3, v22, v18 :: v_dual_fmac_f32 v28, v24, v19
	v_add_f32_e32 v157, v157, v197
	v_fma_f32 v3, v21, v17, -v3
	s_delay_alu instid0(VALU_DEP_2) | instskip(NEXT) | instid1(VALU_DEP_1)
	v_add_f32_e32 v157, v157, v199
	v_add_f32_e32 v25, v157, v25
	v_mul_f32_e32 v157, v13, v10
	s_delay_alu instid0(VALU_DEP_2) | instskip(NEXT) | instid1(VALU_DEP_2)
	v_add_f32_e32 v25, v25, v26
	v_dual_fmac_f32 v157, v14, v9 :: v_dual_mul_f32 v26, v21, v18
	s_delay_alu instid0(VALU_DEP_2) | instskip(NEXT) | instid1(VALU_DEP_1)
	v_add_f32_e32 v25, v25, v29
	v_dual_fmac_f32 v26, v22, v17 :: v_dual_add_f32 v5, v25, v32
	s_delay_alu instid0(VALU_DEP_1) | instskip(SKIP_1) | instid1(VALU_DEP_1)
	v_add_f32_e32 v2, v5, v158
	v_fma_f32 v5, v13, v9, -v6
	v_dual_add_f32 v2, v2, v156 :: v_dual_add_f32 v1, v1, v5
	s_delay_alu instid0(VALU_DEP_1) | instskip(NEXT) | instid1(VALU_DEP_2)
	v_dual_mul_f32 v5, v24, v20 :: v_dual_add_f32 v2, v2, v157
	v_add_f32_e32 v1, v1, v4
	s_delay_alu instid0(VALU_DEP_2) | instskip(NEXT) | instid1(VALU_DEP_3)
	v_fma_f32 v4, v23, v19, -v5
	v_add_f32_e32 v2, v2, v159
	s_delay_alu instid0(VALU_DEP_1) | instskip(NEXT) | instid1(VALU_DEP_1)
	v_dual_add_f32 v1, v1, v3 :: v_dual_add_f32 v2, v2, v26
	v_add_f32_e32 v1, v1, v4
	s_delay_alu instid0(VALU_DEP_2) | instskip(NEXT) | instid1(VALU_DEP_1)
	v_add_f32_e32 v2, v2, v28
	v_dual_sub_f32 v1, v30, v1 :: v_dual_sub_f32 v2, v31, v2
	scratch_store_b64 off, v[1:2], off offset:136
	v_cmpx_lt_u32_e32 16, v0
	s_cbranch_execz .LBB123_341
; %bb.340:
	scratch_load_b64 v[1:2], off, off offset:128
	v_mov_b32_e32 v3, 0
	s_delay_alu instid0(VALU_DEP_1)
	v_mov_b32_e32 v4, v3
	scratch_store_b64 off, v[3:4], off offset:128
	s_wait_loadcnt 0x0
	ds_store_b64 v155, v[1:2]
.LBB123_341:
	s_wait_alu 0xfffe
	s_or_b32 exec_lo, exec_lo, s0
	s_wait_storecnt_dscnt 0x0
	s_barrier_signal -1
	s_barrier_wait -1
	global_inv scope:SCOPE_SE
	s_clause 0x4
	scratch_load_b128 v[5:8], off, off offset:136
	scratch_load_b128 v[1:4], off, off offset:152
	;; [unrolled: 1-line block ×5, first 2 shown]
	v_mov_b32_e32 v21, 0
	ds_load_2addr_b64 v[22:25], v21 offset0:77 offset1:78
	ds_load_2addr_b64 v[26:29], v21 offset0:79 offset1:80
	;; [unrolled: 1-line block ×3, first 2 shown]
	scratch_load_b64 v[30:31], off, off offset:128
	s_mov_b32 s0, exec_lo
	s_wait_loadcnt_dscnt 0x502
	v_mul_f32_e32 v32, v23, v6
	v_dual_mul_f32 v153, v22, v6 :: v_dual_mul_f32 v154, v24, v8
	v_mul_f32_e32 v6, v25, v8
	s_wait_loadcnt_dscnt 0x300
	v_mul_f32_e32 v160, v158, v12
	v_fma_f32 v22, v22, v5, -v32
	v_dual_fmac_f32 v153, v23, v5 :: v_dual_fmac_f32 v154, v25, v7
	v_mul_f32_e32 v25, v28, v4
	v_fma_f32 v23, v24, v7, -v6
	ds_load_2addr_b64 v[5:8], v21 offset0:83 offset1:84
	v_mul_f32_e32 v24, v26, v2
	v_mul_f32_e32 v4, v29, v4
	;; [unrolled: 1-line block ×5, first 2 shown]
	v_dual_mul_f32 v2, v27, v2 :: v_dual_fmac_f32 v25, v29, v3
	v_fmac_f32_e32 v24, v27, v1
	v_fma_f32 v27, v28, v3, -v4
	v_fmac_f32_e32 v32, v157, v9
	v_fma_f32 v28, v156, v9, -v10
	v_fmac_f32_e32 v160, v159, v11
	v_fma_f32 v29, v158, v11, -v12
	ds_load_2addr_b64 v[9:12], v21 offset0:85 offset1:86
	s_wait_loadcnt_dscnt 0x201
	v_dual_mul_f32 v157, v7, v16 :: v_dual_mul_f32 v156, v5, v14
	v_mul_f32_e32 v14, v6, v14
	v_mul_f32_e32 v16, v8, v16
	s_delay_alu instid0(VALU_DEP_3)
	v_fmac_f32_e32 v157, v8, v15
	v_fma_f32 v26, v26, v1, -v2
	scratch_load_b128 v[1:4], off, off offset:216
	v_fmac_f32_e32 v156, v6, v13
	v_fma_f32 v13, v5, v13, -v14
	v_fma_f32 v14, v7, v15, -v16
	ds_load_2addr_b64 v[5:8], v21 offset0:87 offset1:88
	s_wait_loadcnt_dscnt 0x201
	v_mul_f32_e32 v15, v9, v18
	v_mul_f32_e32 v16, v10, v18
	v_mul_f32_e32 v18, v11, v20
	s_delay_alu instid0(VALU_DEP_3) | instskip(NEXT) | instid1(VALU_DEP_3)
	v_dual_mul_f32 v20, v12, v20 :: v_dual_fmac_f32 v15, v10, v17
	v_fma_f32 v16, v9, v17, -v16
	s_delay_alu instid0(VALU_DEP_3) | instskip(NEXT) | instid1(VALU_DEP_3)
	v_fmac_f32_e32 v18, v12, v19
	v_fma_f32 v17, v11, v19, -v20
	scratch_load_b128 v[9:12], off, off offset:232
	s_wait_loadcnt_dscnt 0x100
	v_mul_f32_e32 v19, v5, v2
	v_mul_f32_e32 v2, v6, v2
	;; [unrolled: 1-line block ×3, first 2 shown]
	s_delay_alu instid0(VALU_DEP_3) | instskip(NEXT) | instid1(VALU_DEP_3)
	v_dual_mul_f32 v4, v8, v4 :: v_dual_fmac_f32 v19, v6, v1
	v_fma_f32 v158, v5, v1, -v2
	s_delay_alu instid0(VALU_DEP_3) | instskip(NEXT) | instid1(VALU_DEP_3)
	v_fmac_f32_e32 v20, v8, v3
	v_fma_f32 v159, v7, v3, -v4
	ds_load_2addr_b64 v[1:4], v21 offset0:89 offset1:90
	ds_load_2addr_b64 v[5:8], v21 offset0:91 offset1:92
	s_wait_loadcnt_dscnt 0x1
	v_mul_f32_e32 v161, v1, v10
	v_mul_f32_e32 v10, v2, v10
	s_delay_alu instid0(VALU_DEP_2) | instskip(NEXT) | instid1(VALU_DEP_2)
	v_dual_mul_f32 v162, v3, v12 :: v_dual_fmac_f32 v161, v2, v9
	v_fma_f32 v163, v1, v9, -v10
	v_mul_f32_e32 v1, v4, v12
	s_delay_alu instid0(VALU_DEP_3) | instskip(NEXT) | instid1(VALU_DEP_2)
	v_fmac_f32_e32 v162, v4, v11
	v_fma_f32 v164, v3, v11, -v1
	s_clause 0x1
	scratch_load_b128 v[1:4], off, off offset:248
	scratch_load_b128 v[9:12], off, off offset:264
	s_wait_loadcnt_dscnt 0x100
	v_mul_f32_e32 v165, v5, v2
	v_dual_mul_f32 v2, v6, v2 :: v_dual_mul_f32 v167, v7, v4
	s_delay_alu instid0(VALU_DEP_2) | instskip(NEXT) | instid1(VALU_DEP_2)
	v_fmac_f32_e32 v165, v6, v1
	v_fma_f32 v166, v5, v1, -v2
	v_mul_f32_e32 v1, v8, v4
	s_delay_alu instid0(VALU_DEP_4) | instskip(NEXT) | instid1(VALU_DEP_2)
	v_fmac_f32_e32 v167, v8, v3
	v_fma_f32 v168, v7, v3, -v1
	ds_load_2addr_b64 v[1:4], v21 offset0:93 offset1:94
	ds_load_2addr_b64 v[5:8], v21 offset0:95 offset1:96
	s_wait_loadcnt_dscnt 0x1
	v_mul_f32_e32 v169, v1, v10
	v_mul_f32_e32 v171, v3, v12
	s_delay_alu instid0(VALU_DEP_2) | instskip(NEXT) | instid1(VALU_DEP_2)
	v_fmac_f32_e32 v169, v2, v9
	v_dual_mul_f32 v2, v2, v10 :: v_dual_fmac_f32 v171, v4, v11
	s_delay_alu instid0(VALU_DEP_1) | instskip(SKIP_1) | instid1(VALU_DEP_1)
	v_fma_f32 v170, v1, v9, -v2
	v_mul_f32_e32 v1, v4, v12
	v_fma_f32 v172, v3, v11, -v1
	s_clause 0x1
	scratch_load_b128 v[1:4], off, off offset:280
	scratch_load_b128 v[9:12], off, off offset:296
	s_wait_loadcnt_dscnt 0x100
	v_mul_f32_e32 v173, v5, v2
	v_dual_mul_f32 v2, v6, v2 :: v_dual_mul_f32 v175, v7, v4
	s_delay_alu instid0(VALU_DEP_2) | instskip(NEXT) | instid1(VALU_DEP_2)
	v_fmac_f32_e32 v173, v6, v1
	v_fma_f32 v174, v5, v1, -v2
	v_mul_f32_e32 v1, v8, v4
	s_delay_alu instid0(VALU_DEP_4) | instskip(NEXT) | instid1(VALU_DEP_2)
	v_fmac_f32_e32 v175, v8, v3
	v_fma_f32 v176, v7, v3, -v1
	ds_load_2addr_b64 v[1:4], v21 offset0:97 offset1:98
	ds_load_2addr_b64 v[5:8], v21 offset0:99 offset1:100
	s_wait_loadcnt_dscnt 0x1
	v_mul_f32_e32 v177, v1, v10
	v_mul_f32_e32 v179, v3, v12
	s_delay_alu instid0(VALU_DEP_2) | instskip(NEXT) | instid1(VALU_DEP_2)
	v_fmac_f32_e32 v177, v2, v9
	v_dual_mul_f32 v2, v2, v10 :: v_dual_fmac_f32 v179, v4, v11
	s_delay_alu instid0(VALU_DEP_1) | instskip(SKIP_1) | instid1(VALU_DEP_1)
	v_fma_f32 v178, v1, v9, -v2
	v_mul_f32_e32 v1, v4, v12
	;; [unrolled: 25-line block ×4, first 2 shown]
	v_fma_f32 v196, v3, v11, -v1
	s_clause 0x1
	scratch_load_b128 v[1:4], off, off offset:376
	scratch_load_b128 v[9:12], off, off offset:392
	s_wait_loadcnt_dscnt 0x100
	v_mul_f32_e32 v197, v5, v2
	v_mul_f32_e32 v2, v6, v2
	s_delay_alu instid0(VALU_DEP_1) | instskip(SKIP_1) | instid1(VALU_DEP_1)
	v_fma_f32 v198, v5, v1, -v2
	v_add_f32_e32 v2, 0, v153
	v_add_f32_e32 v2, v2, v154
	s_delay_alu instid0(VALU_DEP_1) | instskip(NEXT) | instid1(VALU_DEP_1)
	v_add_f32_e32 v2, v2, v24
	v_add_f32_e32 v2, v2, v25
	s_delay_alu instid0(VALU_DEP_1) | instskip(NEXT) | instid1(VALU_DEP_1)
	;; [unrolled: 3-line block ×5, first 2 shown]
	v_add_f32_e32 v2, v2, v19
	v_add_f32_e32 v2, v2, v20
	v_mul_f32_e32 v199, v7, v4
	v_fmac_f32_e32 v197, v6, v1
	s_delay_alu instid0(VALU_DEP_2) | instskip(NEXT) | instid1(VALU_DEP_1)
	v_dual_add_f32 v2, v2, v161 :: v_dual_fmac_f32 v199, v8, v3
	v_dual_add_f32 v2, v2, v162 :: v_dual_mul_f32 v1, v8, v4
	s_delay_alu instid0(VALU_DEP_1) | instskip(NEXT) | instid1(VALU_DEP_2)
	v_add_f32_e32 v2, v2, v165
	v_fma_f32 v200, v7, v3, -v1
	s_delay_alu instid0(VALU_DEP_2) | instskip(NEXT) | instid1(VALU_DEP_1)
	v_dual_add_f32 v1, 0, v22 :: v_dual_add_f32 v2, v2, v167
	v_dual_add_f32 v1, v1, v23 :: v_dual_add_f32 v2, v2, v169
	s_delay_alu instid0(VALU_DEP_1) | instskip(NEXT) | instid1(VALU_DEP_2)
	v_add_f32_e32 v1, v1, v26
	v_add_f32_e32 v5, v2, v171
	s_delay_alu instid0(VALU_DEP_2) | instskip(SKIP_2) | instid1(VALU_DEP_1)
	v_add_f32_e32 v1, v1, v27
	scratch_load_b64 v[26:27], off, off offset:472
	v_add_f32_e32 v1, v1, v28
	v_add_f32_e32 v1, v1, v29
	s_delay_alu instid0(VALU_DEP_1) | instskip(SKIP_1) | instid1(VALU_DEP_2)
	v_add_f32_e32 v1, v1, v13
	v_add_f32_e32 v13, v5, v173
	;; [unrolled: 1-line block ×3, first 2 shown]
	s_delay_alu instid0(VALU_DEP_2) | instskip(NEXT) | instid1(VALU_DEP_2)
	v_add_f32_e32 v13, v13, v175
	v_add_f32_e32 v1, v1, v16
	s_delay_alu instid0(VALU_DEP_1) | instskip(NEXT) | instid1(VALU_DEP_1)
	v_add_f32_e32 v1, v1, v17
	v_add_f32_e32 v1, v1, v158
	s_delay_alu instid0(VALU_DEP_1) | instskip(NEXT) | instid1(VALU_DEP_1)
	;; [unrolled: 3-line block ×5, first 2 shown]
	v_add_f32_e32 v1, v1, v172
	v_add_f32_e32 v6, v1, v174
	scratch_load_b128 v[1:4], off, off offset:408
	v_dual_add_f32 v13, v13, v177 :: v_dual_add_f32 v14, v6, v176
	ds_load_2addr_b64 v[5:8], v21 offset0:109 offset1:110
	v_add_f32_e32 v18, v13, v179
	v_add_f32_e32 v14, v14, v178
	s_delay_alu instid0(VALU_DEP_2) | instskip(NEXT) | instid1(VALU_DEP_2)
	v_add_f32_e32 v18, v18, v181
	v_add_f32_e32 v17, v14, v180
	ds_load_2addr_b64 v[13:16], v21 offset0:111 offset1:112
	v_add_f32_e32 v18, v18, v183
	s_wait_loadcnt_dscnt 0x201
	v_mul_f32_e32 v32, v5, v10
	s_delay_alu instid0(VALU_DEP_2) | instskip(SKIP_2) | instid1(VALU_DEP_4)
	v_add_f32_e32 v22, v18, v185
	v_dual_mul_f32 v10, v6, v10 :: v_dual_mul_f32 v153, v7, v12
	v_mul_f32_e32 v12, v8, v12
	v_fmac_f32_e32 v32, v6, v9
	s_delay_alu instid0(VALU_DEP_4) | instskip(NEXT) | instid1(VALU_DEP_4)
	v_add_f32_e32 v22, v22, v187
	v_fma_f32 v154, v5, v9, -v10
	v_fmac_f32_e32 v153, v8, v11
	v_fma_f32 v156, v7, v11, -v12
	scratch_load_b128 v[5:8], off, off offset:424
	v_add_f32_e32 v22, v22, v189
	scratch_load_b128 v[9:12], off, off offset:440
	s_wait_loadcnt_dscnt 0x200
	v_dual_add_f32 v22, v22, v191 :: v_dual_mul_f32 v157, v13, v2
	v_mul_f32_e32 v2, v14, v2
	v_mul_f32_e32 v158, v15, v4
	s_delay_alu instid0(VALU_DEP_3) | instskip(NEXT) | instid1(VALU_DEP_3)
	v_dual_mul_f32 v4, v16, v4 :: v_dual_fmac_f32 v157, v14, v1
	v_fma_f32 v159, v13, v1, -v2
	v_add_f32_e32 v13, v22, v193
	s_delay_alu instid0(VALU_DEP_3) | instskip(SKIP_4) | instid1(VALU_DEP_2)
	v_fma_f32 v160, v15, v3, -v4
	v_fmac_f32_e32 v158, v16, v3
	ds_load_2addr_b64 v[1:4], v21 offset0:113 offset1:114
	v_add_f32_e32 v22, v13, v195
	v_add_f32_e32 v17, v17, v182
	;; [unrolled: 1-line block ×3, first 2 shown]
	s_delay_alu instid0(VALU_DEP_1) | instskip(NEXT) | instid1(VALU_DEP_1)
	v_add_f32_e32 v162, v29, v199
	v_add_f32_e32 v32, v162, v32
	s_delay_alu instid0(VALU_DEP_1) | instskip(NEXT) | instid1(VALU_DEP_1)
	v_dual_add_f32 v32, v32, v153 :: v_dual_add_f32 v17, v17, v184
	v_dual_add_f32 v32, v32, v157 :: v_dual_add_f32 v17, v17, v186
	s_delay_alu instid0(VALU_DEP_1) | instskip(SKIP_2) | instid1(VALU_DEP_1)
	v_dual_add_f32 v32, v32, v158 :: v_dual_add_f32 v23, v17, v188
	scratch_load_b128 v[17:20], off, off offset:456
	v_add_f32_e32 v23, v23, v190
	v_add_f32_e32 v23, v23, v192
	s_delay_alu instid0(VALU_DEP_1) | instskip(NEXT) | instid1(VALU_DEP_1)
	v_add_f32_e32 v23, v23, v194
	v_add_f32_e32 v14, v23, v196
	ds_load_2addr_b64 v[22:25], v21 offset0:117 offset1:118
	v_add_f32_e32 v28, v14, v198
	ds_load_2addr_b64 v[13:16], v21 offset0:115 offset1:116
	s_wait_loadcnt_dscnt 0x100
	v_mul_f32_e32 v157, v15, v12
	s_delay_alu instid0(VALU_DEP_1) | instskip(SKIP_3) | instid1(VALU_DEP_1)
	v_fmac_f32_e32 v157, v16, v11
	v_add_f32_e32 v161, v28, v200
	ds_load_b64 v[28:29], v21 offset:952
	v_add_f32_e32 v154, v161, v154
	v_add_f32_e32 v154, v154, v156
	v_mul_f32_e32 v156, v13, v10
	s_delay_alu instid0(VALU_DEP_2) | instskip(NEXT) | instid1(VALU_DEP_2)
	v_add_f32_e32 v154, v154, v159
	v_fmac_f32_e32 v156, v14, v9
	s_delay_alu instid0(VALU_DEP_2) | instskip(SKIP_2) | instid1(VALU_DEP_1)
	v_add_f32_e32 v154, v154, v160
	s_wait_dscnt 0x0
	v_mul_f32_e32 v158, v28, v27
	v_fmac_f32_e32 v158, v29, v26
	s_wait_loadcnt 0x0
	v_dual_mul_f32 v159, v22, v18 :: v_dual_mul_f32 v160, v24, v20
	s_delay_alu instid0(VALU_DEP_1) | instskip(SKIP_2) | instid1(VALU_DEP_4)
	v_fmac_f32_e32 v159, v23, v17
	v_mul_f32_e32 v153, v3, v8
	v_mul_f32_e32 v8, v4, v8
	v_fmac_f32_e32 v160, v25, v19
	s_delay_alu instid0(VALU_DEP_3) | instskip(SKIP_2) | instid1(VALU_DEP_2)
	v_fmac_f32_e32 v153, v4, v7
	v_mul_f32_e32 v161, v1, v6
	v_mul_f32_e32 v6, v2, v6
	v_fmac_f32_e32 v161, v2, v5
	s_delay_alu instid0(VALU_DEP_2) | instskip(SKIP_1) | instid1(VALU_DEP_3)
	v_fma_f32 v1, v1, v5, -v6
	v_fma_f32 v2, v3, v7, -v8
	v_dual_mul_f32 v3, v14, v10 :: v_dual_add_f32 v4, v32, v161
	s_delay_alu instid0(VALU_DEP_3) | instskip(NEXT) | instid1(VALU_DEP_2)
	v_add_f32_e32 v1, v154, v1
	v_fma_f32 v3, v13, v9, -v3
	s_delay_alu instid0(VALU_DEP_2) | instskip(SKIP_1) | instid1(VALU_DEP_2)
	v_dual_add_f32 v1, v1, v2 :: v_dual_add_f32 v2, v4, v153
	v_mul_f32_e32 v4, v23, v18
	v_add_f32_e32 v2, v2, v156
	s_delay_alu instid0(VALU_DEP_2) | instskip(NEXT) | instid1(VALU_DEP_2)
	v_fma_f32 v4, v22, v17, -v4
	v_add_f32_e32 v2, v2, v157
	s_delay_alu instid0(VALU_DEP_1) | instskip(NEXT) | instid1(VALU_DEP_1)
	v_add_f32_e32 v2, v2, v159
	v_add_f32_e32 v2, v2, v160
	v_mul_f32_e32 v5, v16, v12
	v_add_f32_e32 v1, v1, v3
	s_delay_alu instid0(VALU_DEP_3) | instskip(NEXT) | instid1(VALU_DEP_3)
	v_dual_mul_f32 v3, v25, v20 :: v_dual_add_f32 v2, v2, v158
	v_fma_f32 v5, v15, v11, -v5
	s_delay_alu instid0(VALU_DEP_2) | instskip(NEXT) | instid1(VALU_DEP_2)
	v_fma_f32 v3, v24, v19, -v3
	v_dual_sub_f32 v2, v31, v2 :: v_dual_add_f32 v1, v1, v5
	v_mul_f32_e32 v5, v29, v27
	s_delay_alu instid0(VALU_DEP_2) | instskip(NEXT) | instid1(VALU_DEP_2)
	v_add_f32_e32 v1, v1, v4
	v_fma_f32 v4, v28, v26, -v5
	s_delay_alu instid0(VALU_DEP_2) | instskip(NEXT) | instid1(VALU_DEP_1)
	v_add_f32_e32 v1, v1, v3
	v_add_f32_e32 v1, v1, v4
	s_delay_alu instid0(VALU_DEP_1)
	v_sub_f32_e32 v1, v30, v1
	scratch_store_b64 off, v[1:2], off offset:128
	v_cmpx_lt_u32_e32 15, v0
	s_cbranch_execz .LBB123_343
; %bb.342:
	scratch_load_b64 v[1:2], off, off offset:120
	v_mov_b32_e32 v22, v21
	scratch_store_b64 off, v[21:22], off offset:120
	s_wait_loadcnt 0x0
	ds_store_b64 v155, v[1:2]
.LBB123_343:
	s_wait_alu 0xfffe
	s_or_b32 exec_lo, exec_lo, s0
	s_wait_storecnt_dscnt 0x0
	s_barrier_signal -1
	s_barrier_wait -1
	global_inv scope:SCOPE_SE
	s_clause 0x4
	scratch_load_b128 v[5:8], off, off offset:128
	scratch_load_b128 v[1:4], off, off offset:144
	;; [unrolled: 1-line block ×5, first 2 shown]
	ds_load_b128 v[22:25], v21 offset:608
	ds_load_b128 v[26:29], v21 offset:624
	;; [unrolled: 1-line block ×3, first 2 shown]
	scratch_load_b64 v[30:31], off, off offset:120
	s_mov_b32 s0, exec_lo
	s_wait_loadcnt_dscnt 0x502
	v_mul_f32_e32 v32, v23, v6
	v_dual_mul_f32 v153, v22, v6 :: v_dual_mul_f32 v154, v24, v8
	v_mul_f32_e32 v6, v25, v8
	s_wait_loadcnt_dscnt 0x300
	v_mul_f32_e32 v160, v158, v12
	v_mul_f32_e32 v12, v159, v12
	v_dual_fmac_f32 v153, v23, v5 :: v_dual_fmac_f32 v154, v25, v7
	v_fma_f32 v23, v24, v7, -v6
	v_mul_f32_e32 v25, v28, v4
	v_fma_f32 v22, v22, v5, -v32
	ds_load_b128 v[5:8], v21 offset:656
	v_mul_f32_e32 v24, v26, v2
	v_mul_f32_e32 v4, v29, v4
	;; [unrolled: 1-line block ×4, first 2 shown]
	v_dual_mul_f32 v2, v27, v2 :: v_dual_fmac_f32 v25, v29, v3
	v_fmac_f32_e32 v24, v27, v1
	v_fma_f32 v27, v28, v3, -v4
	v_fmac_f32_e32 v32, v157, v9
	v_fma_f32 v28, v156, v9, -v10
	;; [unrolled: 2-line block ×3, first 2 shown]
	ds_load_b128 v[9:12], v21 offset:672
	s_wait_loadcnt_dscnt 0x201
	v_dual_mul_f32 v157, v7, v16 :: v_dual_mul_f32 v156, v5, v14
	v_mul_f32_e32 v14, v6, v14
	v_mul_f32_e32 v16, v8, v16
	s_delay_alu instid0(VALU_DEP_3)
	v_fmac_f32_e32 v157, v8, v15
	v_fma_f32 v26, v26, v1, -v2
	scratch_load_b128 v[1:4], off, off offset:208
	v_fmac_f32_e32 v156, v6, v13
	v_fma_f32 v13, v5, v13, -v14
	v_fma_f32 v14, v7, v15, -v16
	ds_load_b128 v[5:8], v21 offset:688
	s_wait_loadcnt_dscnt 0x201
	v_mul_f32_e32 v15, v9, v18
	v_mul_f32_e32 v16, v10, v18
	;; [unrolled: 1-line block ×3, first 2 shown]
	s_delay_alu instid0(VALU_DEP_3) | instskip(NEXT) | instid1(VALU_DEP_3)
	v_dual_mul_f32 v20, v12, v20 :: v_dual_fmac_f32 v15, v10, v17
	v_fma_f32 v16, v9, v17, -v16
	s_delay_alu instid0(VALU_DEP_3) | instskip(NEXT) | instid1(VALU_DEP_3)
	v_fmac_f32_e32 v18, v12, v19
	v_fma_f32 v17, v11, v19, -v20
	scratch_load_b128 v[9:12], off, off offset:224
	s_wait_loadcnt_dscnt 0x100
	v_mul_f32_e32 v19, v5, v2
	v_mul_f32_e32 v2, v6, v2
	;; [unrolled: 1-line block ×3, first 2 shown]
	s_delay_alu instid0(VALU_DEP_3) | instskip(NEXT) | instid1(VALU_DEP_3)
	v_dual_mul_f32 v4, v8, v4 :: v_dual_fmac_f32 v19, v6, v1
	v_fma_f32 v158, v5, v1, -v2
	s_delay_alu instid0(VALU_DEP_3) | instskip(NEXT) | instid1(VALU_DEP_3)
	v_fmac_f32_e32 v20, v8, v3
	v_fma_f32 v159, v7, v3, -v4
	ds_load_b128 v[1:4], v21 offset:704
	ds_load_b128 v[5:8], v21 offset:720
	s_wait_loadcnt_dscnt 0x1
	v_mul_f32_e32 v161, v1, v10
	v_mul_f32_e32 v10, v2, v10
	s_delay_alu instid0(VALU_DEP_2) | instskip(NEXT) | instid1(VALU_DEP_2)
	v_dual_mul_f32 v162, v3, v12 :: v_dual_fmac_f32 v161, v2, v9
	v_fma_f32 v163, v1, v9, -v10
	v_mul_f32_e32 v1, v4, v12
	s_delay_alu instid0(VALU_DEP_3) | instskip(NEXT) | instid1(VALU_DEP_2)
	v_fmac_f32_e32 v162, v4, v11
	v_fma_f32 v164, v3, v11, -v1
	s_clause 0x1
	scratch_load_b128 v[1:4], off, off offset:240
	scratch_load_b128 v[9:12], off, off offset:256
	s_wait_loadcnt_dscnt 0x100
	v_mul_f32_e32 v165, v5, v2
	v_dual_mul_f32 v2, v6, v2 :: v_dual_mul_f32 v167, v7, v4
	s_delay_alu instid0(VALU_DEP_2) | instskip(NEXT) | instid1(VALU_DEP_2)
	v_fmac_f32_e32 v165, v6, v1
	v_fma_f32 v166, v5, v1, -v2
	v_mul_f32_e32 v1, v8, v4
	s_delay_alu instid0(VALU_DEP_4) | instskip(NEXT) | instid1(VALU_DEP_2)
	v_fmac_f32_e32 v167, v8, v3
	v_fma_f32 v168, v7, v3, -v1
	ds_load_b128 v[1:4], v21 offset:736
	ds_load_b128 v[5:8], v21 offset:752
	s_wait_loadcnt_dscnt 0x1
	v_mul_f32_e32 v169, v1, v10
	v_mul_f32_e32 v171, v3, v12
	s_delay_alu instid0(VALU_DEP_2) | instskip(NEXT) | instid1(VALU_DEP_2)
	v_fmac_f32_e32 v169, v2, v9
	v_dual_mul_f32 v2, v2, v10 :: v_dual_fmac_f32 v171, v4, v11
	s_delay_alu instid0(VALU_DEP_1) | instskip(SKIP_1) | instid1(VALU_DEP_1)
	v_fma_f32 v170, v1, v9, -v2
	v_mul_f32_e32 v1, v4, v12
	v_fma_f32 v172, v3, v11, -v1
	s_clause 0x1
	scratch_load_b128 v[1:4], off, off offset:272
	scratch_load_b128 v[9:12], off, off offset:288
	s_wait_loadcnt_dscnt 0x100
	v_mul_f32_e32 v173, v5, v2
	v_dual_mul_f32 v2, v6, v2 :: v_dual_mul_f32 v175, v7, v4
	s_delay_alu instid0(VALU_DEP_2) | instskip(NEXT) | instid1(VALU_DEP_2)
	v_fmac_f32_e32 v173, v6, v1
	v_fma_f32 v174, v5, v1, -v2
	v_mul_f32_e32 v1, v8, v4
	s_delay_alu instid0(VALU_DEP_4) | instskip(NEXT) | instid1(VALU_DEP_2)
	v_fmac_f32_e32 v175, v8, v3
	v_fma_f32 v176, v7, v3, -v1
	ds_load_b128 v[1:4], v21 offset:768
	ds_load_b128 v[5:8], v21 offset:784
	s_wait_loadcnt_dscnt 0x1
	v_mul_f32_e32 v177, v1, v10
	v_mul_f32_e32 v179, v3, v12
	s_delay_alu instid0(VALU_DEP_2) | instskip(NEXT) | instid1(VALU_DEP_2)
	v_fmac_f32_e32 v177, v2, v9
	v_dual_mul_f32 v2, v2, v10 :: v_dual_fmac_f32 v179, v4, v11
	s_delay_alu instid0(VALU_DEP_1) | instskip(SKIP_1) | instid1(VALU_DEP_1)
	v_fma_f32 v178, v1, v9, -v2
	v_mul_f32_e32 v1, v4, v12
	;; [unrolled: 25-line block ×5, first 2 shown]
	v_fma_f32 v204, v3, v11, -v1
	s_clause 0x1
	scratch_load_b128 v[1:4], off, off offset:400
	scratch_load_b128 v[9:12], off, off offset:416
	s_wait_loadcnt_dscnt 0x100
	v_mul_f32_e32 v205, v5, v2
	v_mul_f32_e32 v2, v6, v2
	s_delay_alu instid0(VALU_DEP_1) | instskip(SKIP_1) | instid1(VALU_DEP_1)
	v_fma_f32 v206, v5, v1, -v2
	v_add_f32_e32 v2, 0, v153
	v_add_f32_e32 v2, v2, v154
	s_delay_alu instid0(VALU_DEP_1) | instskip(NEXT) | instid1(VALU_DEP_1)
	v_add_f32_e32 v2, v2, v24
	v_add_f32_e32 v2, v2, v25
	s_delay_alu instid0(VALU_DEP_1) | instskip(NEXT) | instid1(VALU_DEP_1)
	;; [unrolled: 3-line block ×8, first 2 shown]
	v_add_f32_e32 v2, v2, v169
	v_add_f32_e32 v2, v2, v171
	v_fmac_f32_e32 v205, v6, v1
	s_delay_alu instid0(VALU_DEP_2) | instskip(NEXT) | instid1(VALU_DEP_1)
	v_dual_mul_f32 v207, v7, v4 :: v_dual_add_f32 v2, v2, v173
	v_dual_mul_f32 v1, v8, v4 :: v_dual_add_f32 v2, v2, v175
	s_delay_alu instid0(VALU_DEP_1) | instskip(SKIP_1) | instid1(VALU_DEP_3)
	v_fma_f32 v208, v7, v3, -v1
	v_add_f32_e32 v1, 0, v22
	v_add_f32_e32 v5, v2, v177
	s_delay_alu instid0(VALU_DEP_2) | instskip(NEXT) | instid1(VALU_DEP_2)
	v_add_f32_e32 v1, v1, v23
	v_add_f32_e32 v5, v5, v179
	s_delay_alu instid0(VALU_DEP_2) | instskip(NEXT) | instid1(VALU_DEP_1)
	v_add_f32_e32 v1, v1, v26
	v_add_f32_e32 v1, v1, v27
	s_delay_alu instid0(VALU_DEP_1) | instskip(NEXT) | instid1(VALU_DEP_1)
	v_add_f32_e32 v1, v1, v28
	v_add_f32_e32 v1, v1, v29
	s_delay_alu instid0(VALU_DEP_1) | instskip(NEXT) | instid1(VALU_DEP_1)
	;; [unrolled: 3-line block ×9, first 2 shown]
	v_add_f32_e32 v1, v1, v178
	v_dual_add_f32 v6, v1, v180 :: v_dual_fmac_f32 v207, v8, v3
	ds_load_b128 v[1:4], v21 offset:896
	v_dual_add_f32 v5, v5, v181 :: v_dual_add_f32 v6, v6, v182
	s_delay_alu instid0(VALU_DEP_1) | instskip(SKIP_2) | instid1(VALU_DEP_1)
	v_dual_add_f32 v14, v5, v183 :: v_dual_add_f32 v13, v6, v184
	ds_load_b128 v[5:8], v21 offset:912
	v_dual_add_f32 v14, v14, v185 :: v_dual_add_f32 v13, v13, v186
	v_dual_add_f32 v14, v14, v187 :: v_dual_add_f32 v13, v13, v188
	s_wait_loadcnt_dscnt 0x1
	v_dual_mul_f32 v25, v1, v10 :: v_dual_mul_f32 v26, v3, v12
	v_mul_f32_e32 v10, v2, v10
	s_delay_alu instid0(VALU_DEP_3) | instskip(NEXT) | instid1(VALU_DEP_3)
	v_dual_mul_f32 v12, v4, v12 :: v_dual_add_f32 v13, v13, v190
	v_dual_fmac_f32 v25, v2, v9 :: v_dual_fmac_f32 v26, v4, v11
	s_delay_alu instid0(VALU_DEP_3) | instskip(NEXT) | instid1(VALU_DEP_3)
	v_fma_f32 v27, v1, v9, -v10
	v_fma_f32 v28, v3, v11, -v12
	s_clause 0x1
	scratch_load_b128 v[1:4], off, off offset:432
	scratch_load_b128 v[9:12], off, off offset:448
	v_dual_add_f32 v17, v14, v189 :: v_dual_add_f32 v18, v13, v192
	scratch_load_b128 v[13:16], off, off offset:464
	v_dual_add_f32 v17, v17, v191 :: v_dual_add_f32 v18, v18, v194
	s_delay_alu instid0(VALU_DEP_1) | instskip(NEXT) | instid1(VALU_DEP_1)
	v_dual_add_f32 v17, v17, v193 :: v_dual_add_f32 v18, v18, v196
	v_dual_add_f32 v17, v17, v195 :: v_dual_add_f32 v22, v18, v198
	s_delay_alu instid0(VALU_DEP_1) | instskip(SKIP_2) | instid1(VALU_DEP_1)
	v_add_f32_e32 v23, v17, v197
	ds_load_b128 v[17:20], v21 offset:928
	v_add_f32_e32 v32, v23, v199
	v_add_f32_e32 v32, v32, v201
	s_delay_alu instid0(VALU_DEP_1) | instskip(NEXT) | instid1(VALU_DEP_1)
	v_add_f32_e32 v32, v32, v203
	v_add_f32_e32 v32, v32, v205
	s_delay_alu instid0(VALU_DEP_1) | instskip(NEXT) | instid1(VALU_DEP_1)
	v_add_f32_e32 v32, v32, v207
	v_add_f32_e32 v25, v32, v25
	s_wait_loadcnt_dscnt 0x201
	v_mul_f32_e32 v153, v5, v2
	v_mul_f32_e32 v2, v6, v2
	;; [unrolled: 1-line block ×4, first 2 shown]
	s_wait_loadcnt_dscnt 0x100
	v_dual_mul_f32 v156, v17, v10 :: v_dual_fmac_f32 v153, v6, v1
	v_fma_f32 v2, v5, v1, -v2
	v_add_f32_e32 v5, v25, v26
	v_add_f32_e32 v29, v22, v200
	ds_load_b128 v[21:24], v21 offset:944
	v_mul_f32_e32 v6, v18, v10
	v_fmac_f32_e32 v154, v8, v3
	v_fma_f32 v3, v7, v3, -v4
	v_add_f32_e32 v29, v29, v202
	v_mul_f32_e32 v157, v19, v12
	v_mul_f32_e32 v4, v20, v12
	s_delay_alu instid0(VALU_DEP_3) | instskip(NEXT) | instid1(VALU_DEP_3)
	v_dual_fmac_f32 v156, v18, v9 :: v_dual_add_f32 v29, v29, v204
	v_fmac_f32_e32 v157, v20, v11
	s_delay_alu instid0(VALU_DEP_3) | instskip(NEXT) | instid1(VALU_DEP_3)
	v_fma_f32 v4, v19, v11, -v4
	v_add_f32_e32 v29, v29, v206
	s_delay_alu instid0(VALU_DEP_1) | instskip(SKIP_2) | instid1(VALU_DEP_2)
	v_add_f32_e32 v29, v29, v208
	s_wait_loadcnt_dscnt 0x0
	v_mul_f32_e32 v158, v21, v14
	v_add_f32_e32 v27, v29, v27
	s_delay_alu instid0(VALU_DEP_2) | instskip(NEXT) | instid1(VALU_DEP_2)
	v_dual_mul_f32 v29, v23, v16 :: v_dual_fmac_f32 v158, v22, v13
	v_add_f32_e32 v1, v27, v28
	s_delay_alu instid0(VALU_DEP_2) | instskip(NEXT) | instid1(VALU_DEP_2)
	v_fmac_f32_e32 v29, v24, v15
	v_add_f32_e32 v1, v1, v2
	v_add_f32_e32 v2, v5, v153
	v_fma_f32 v5, v17, v9, -v6
	s_delay_alu instid0(VALU_DEP_2) | instskip(SKIP_1) | instid1(VALU_DEP_2)
	v_dual_add_f32 v1, v1, v3 :: v_dual_add_f32 v2, v2, v154
	v_mul_f32_e32 v3, v22, v14
	v_dual_add_f32 v1, v1, v5 :: v_dual_add_f32 v2, v2, v156
	v_mul_f32_e32 v5, v24, v16
	s_delay_alu instid0(VALU_DEP_3) | instskip(NEXT) | instid1(VALU_DEP_3)
	v_fma_f32 v3, v21, v13, -v3
	v_dual_add_f32 v1, v1, v4 :: v_dual_add_f32 v2, v2, v157
	s_delay_alu instid0(VALU_DEP_3) | instskip(NEXT) | instid1(VALU_DEP_2)
	v_fma_f32 v4, v23, v15, -v5
	v_dual_add_f32 v1, v1, v3 :: v_dual_add_f32 v2, v2, v158
	s_delay_alu instid0(VALU_DEP_1) | instskip(NEXT) | instid1(VALU_DEP_1)
	v_dual_add_f32 v1, v1, v4 :: v_dual_add_f32 v2, v2, v29
	v_dual_sub_f32 v1, v30, v1 :: v_dual_sub_f32 v2, v31, v2
	scratch_store_b64 off, v[1:2], off offset:120
	v_cmpx_lt_u32_e32 14, v0
	s_cbranch_execz .LBB123_345
; %bb.344:
	scratch_load_b64 v[1:2], off, off offset:112
	v_mov_b32_e32 v3, 0
	s_delay_alu instid0(VALU_DEP_1)
	v_mov_b32_e32 v4, v3
	scratch_store_b64 off, v[3:4], off offset:112
	s_wait_loadcnt 0x0
	ds_store_b64 v155, v[1:2]
.LBB123_345:
	s_wait_alu 0xfffe
	s_or_b32 exec_lo, exec_lo, s0
	s_wait_storecnt_dscnt 0x0
	s_barrier_signal -1
	s_barrier_wait -1
	global_inv scope:SCOPE_SE
	s_clause 0x4
	scratch_load_b128 v[5:8], off, off offset:120
	scratch_load_b128 v[1:4], off, off offset:136
	;; [unrolled: 1-line block ×5, first 2 shown]
	v_mov_b32_e32 v21, 0
	ds_load_2addr_b64 v[22:25], v21 offset0:75 offset1:76
	ds_load_2addr_b64 v[26:29], v21 offset0:77 offset1:78
	;; [unrolled: 1-line block ×3, first 2 shown]
	scratch_load_b64 v[30:31], off, off offset:112
	s_mov_b32 s0, exec_lo
	s_wait_loadcnt_dscnt 0x502
	v_mul_f32_e32 v32, v23, v6
	v_dual_mul_f32 v153, v22, v6 :: v_dual_mul_f32 v154, v24, v8
	v_mul_f32_e32 v6, v25, v8
	s_wait_loadcnt_dscnt 0x300
	v_mul_f32_e32 v160, v158, v12
	v_fma_f32 v22, v22, v5, -v32
	v_dual_fmac_f32 v153, v23, v5 :: v_dual_fmac_f32 v154, v25, v7
	v_mul_f32_e32 v25, v28, v4
	v_fma_f32 v23, v24, v7, -v6
	ds_load_2addr_b64 v[5:8], v21 offset0:81 offset1:82
	v_mul_f32_e32 v24, v26, v2
	v_mul_f32_e32 v4, v29, v4
	;; [unrolled: 1-line block ×5, first 2 shown]
	v_dual_mul_f32 v2, v27, v2 :: v_dual_fmac_f32 v25, v29, v3
	v_fmac_f32_e32 v24, v27, v1
	v_fma_f32 v27, v28, v3, -v4
	v_fmac_f32_e32 v32, v157, v9
	v_fma_f32 v28, v156, v9, -v10
	;; [unrolled: 2-line block ×3, first 2 shown]
	ds_load_2addr_b64 v[9:12], v21 offset0:83 offset1:84
	s_wait_loadcnt_dscnt 0x201
	v_dual_mul_f32 v157, v7, v16 :: v_dual_mul_f32 v156, v5, v14
	v_mul_f32_e32 v14, v6, v14
	v_mul_f32_e32 v16, v8, v16
	s_delay_alu instid0(VALU_DEP_3)
	v_fmac_f32_e32 v157, v8, v15
	v_fma_f32 v26, v26, v1, -v2
	scratch_load_b128 v[1:4], off, off offset:200
	v_fmac_f32_e32 v156, v6, v13
	v_fma_f32 v13, v5, v13, -v14
	v_fma_f32 v14, v7, v15, -v16
	ds_load_2addr_b64 v[5:8], v21 offset0:85 offset1:86
	s_wait_loadcnt_dscnt 0x201
	v_mul_f32_e32 v15, v9, v18
	v_mul_f32_e32 v16, v10, v18
	;; [unrolled: 1-line block ×3, first 2 shown]
	s_delay_alu instid0(VALU_DEP_3) | instskip(NEXT) | instid1(VALU_DEP_3)
	v_dual_mul_f32 v20, v12, v20 :: v_dual_fmac_f32 v15, v10, v17
	v_fma_f32 v16, v9, v17, -v16
	s_delay_alu instid0(VALU_DEP_3) | instskip(NEXT) | instid1(VALU_DEP_3)
	v_fmac_f32_e32 v18, v12, v19
	v_fma_f32 v17, v11, v19, -v20
	scratch_load_b128 v[9:12], off, off offset:216
	s_wait_loadcnt_dscnt 0x100
	v_mul_f32_e32 v19, v5, v2
	v_mul_f32_e32 v2, v6, v2
	v_mul_f32_e32 v20, v7, v4
	s_delay_alu instid0(VALU_DEP_3) | instskip(NEXT) | instid1(VALU_DEP_3)
	v_dual_mul_f32 v4, v8, v4 :: v_dual_fmac_f32 v19, v6, v1
	v_fma_f32 v158, v5, v1, -v2
	s_delay_alu instid0(VALU_DEP_3) | instskip(NEXT) | instid1(VALU_DEP_3)
	v_fmac_f32_e32 v20, v8, v3
	v_fma_f32 v159, v7, v3, -v4
	ds_load_2addr_b64 v[1:4], v21 offset0:87 offset1:88
	ds_load_2addr_b64 v[5:8], v21 offset0:89 offset1:90
	s_wait_loadcnt_dscnt 0x1
	v_mul_f32_e32 v161, v1, v10
	v_mul_f32_e32 v10, v2, v10
	s_delay_alu instid0(VALU_DEP_2) | instskip(NEXT) | instid1(VALU_DEP_2)
	v_dual_mul_f32 v162, v3, v12 :: v_dual_fmac_f32 v161, v2, v9
	v_fma_f32 v163, v1, v9, -v10
	v_mul_f32_e32 v1, v4, v12
	s_delay_alu instid0(VALU_DEP_3) | instskip(NEXT) | instid1(VALU_DEP_2)
	v_fmac_f32_e32 v162, v4, v11
	v_fma_f32 v164, v3, v11, -v1
	s_clause 0x1
	scratch_load_b128 v[1:4], off, off offset:232
	scratch_load_b128 v[9:12], off, off offset:248
	s_wait_loadcnt_dscnt 0x100
	v_mul_f32_e32 v165, v5, v2
	v_dual_mul_f32 v2, v6, v2 :: v_dual_mul_f32 v167, v7, v4
	s_delay_alu instid0(VALU_DEP_2) | instskip(NEXT) | instid1(VALU_DEP_2)
	v_fmac_f32_e32 v165, v6, v1
	v_fma_f32 v166, v5, v1, -v2
	v_mul_f32_e32 v1, v8, v4
	s_delay_alu instid0(VALU_DEP_4) | instskip(NEXT) | instid1(VALU_DEP_2)
	v_fmac_f32_e32 v167, v8, v3
	v_fma_f32 v168, v7, v3, -v1
	ds_load_2addr_b64 v[1:4], v21 offset0:91 offset1:92
	ds_load_2addr_b64 v[5:8], v21 offset0:93 offset1:94
	s_wait_loadcnt_dscnt 0x1
	v_mul_f32_e32 v169, v1, v10
	v_mul_f32_e32 v171, v3, v12
	s_delay_alu instid0(VALU_DEP_2) | instskip(NEXT) | instid1(VALU_DEP_2)
	v_fmac_f32_e32 v169, v2, v9
	v_dual_mul_f32 v2, v2, v10 :: v_dual_fmac_f32 v171, v4, v11
	s_delay_alu instid0(VALU_DEP_1) | instskip(SKIP_1) | instid1(VALU_DEP_1)
	v_fma_f32 v170, v1, v9, -v2
	v_mul_f32_e32 v1, v4, v12
	v_fma_f32 v172, v3, v11, -v1
	s_clause 0x1
	scratch_load_b128 v[1:4], off, off offset:264
	scratch_load_b128 v[9:12], off, off offset:280
	s_wait_loadcnt_dscnt 0x100
	v_mul_f32_e32 v173, v5, v2
	v_dual_mul_f32 v2, v6, v2 :: v_dual_mul_f32 v175, v7, v4
	s_delay_alu instid0(VALU_DEP_2) | instskip(NEXT) | instid1(VALU_DEP_2)
	v_fmac_f32_e32 v173, v6, v1
	v_fma_f32 v174, v5, v1, -v2
	v_mul_f32_e32 v1, v8, v4
	s_delay_alu instid0(VALU_DEP_4) | instskip(NEXT) | instid1(VALU_DEP_2)
	v_fmac_f32_e32 v175, v8, v3
	v_fma_f32 v176, v7, v3, -v1
	ds_load_2addr_b64 v[1:4], v21 offset0:95 offset1:96
	ds_load_2addr_b64 v[5:8], v21 offset0:97 offset1:98
	s_wait_loadcnt_dscnt 0x1
	v_mul_f32_e32 v177, v1, v10
	v_mul_f32_e32 v179, v3, v12
	s_delay_alu instid0(VALU_DEP_2) | instskip(NEXT) | instid1(VALU_DEP_2)
	v_fmac_f32_e32 v177, v2, v9
	v_dual_mul_f32 v2, v2, v10 :: v_dual_fmac_f32 v179, v4, v11
	s_delay_alu instid0(VALU_DEP_1) | instskip(SKIP_1) | instid1(VALU_DEP_1)
	v_fma_f32 v178, v1, v9, -v2
	v_mul_f32_e32 v1, v4, v12
	v_fma_f32 v180, v3, v11, -v1
	s_clause 0x1
	scratch_load_b128 v[1:4], off, off offset:296
	scratch_load_b128 v[9:12], off, off offset:312
	s_wait_loadcnt_dscnt 0x100
	v_mul_f32_e32 v181, v5, v2
	v_dual_mul_f32 v2, v6, v2 :: v_dual_mul_f32 v183, v7, v4
	s_delay_alu instid0(VALU_DEP_1) | instskip(NEXT) | instid1(VALU_DEP_2)
	v_fma_f32 v182, v5, v1, -v2
	v_fmac_f32_e32 v183, v8, v3
	s_delay_alu instid0(VALU_DEP_4) | instskip(SKIP_1) | instid1(VALU_DEP_1)
	v_fmac_f32_e32 v181, v6, v1
	v_mul_f32_e32 v1, v8, v4
	v_fma_f32 v184, v7, v3, -v1
	ds_load_2addr_b64 v[1:4], v21 offset0:99 offset1:100
	ds_load_2addr_b64 v[5:8], v21 offset0:101 offset1:102
	s_wait_loadcnt_dscnt 0x1
	v_mul_f32_e32 v185, v1, v10
	v_mul_f32_e32 v187, v3, v12
	s_delay_alu instid0(VALU_DEP_2) | instskip(NEXT) | instid1(VALU_DEP_2)
	v_fmac_f32_e32 v185, v2, v9
	v_dual_mul_f32 v2, v2, v10 :: v_dual_fmac_f32 v187, v4, v11
	s_delay_alu instid0(VALU_DEP_1) | instskip(SKIP_1) | instid1(VALU_DEP_1)
	v_fma_f32 v186, v1, v9, -v2
	v_mul_f32_e32 v1, v4, v12
	v_fma_f32 v188, v3, v11, -v1
	s_clause 0x1
	scratch_load_b128 v[1:4], off, off offset:328
	scratch_load_b128 v[9:12], off, off offset:344
	s_wait_loadcnt_dscnt 0x100
	v_mul_f32_e32 v189, v5, v2
	v_dual_mul_f32 v2, v6, v2 :: v_dual_mul_f32 v191, v7, v4
	s_delay_alu instid0(VALU_DEP_2) | instskip(NEXT) | instid1(VALU_DEP_2)
	v_fmac_f32_e32 v189, v6, v1
	v_fma_f32 v190, v5, v1, -v2
	v_mul_f32_e32 v1, v8, v4
	s_delay_alu instid0(VALU_DEP_4) | instskip(NEXT) | instid1(VALU_DEP_2)
	v_fmac_f32_e32 v191, v8, v3
	v_fma_f32 v192, v7, v3, -v1
	ds_load_2addr_b64 v[1:4], v21 offset0:103 offset1:104
	ds_load_2addr_b64 v[5:8], v21 offset0:105 offset1:106
	s_wait_loadcnt_dscnt 0x1
	v_mul_f32_e32 v193, v1, v10
	v_mul_f32_e32 v195, v3, v12
	s_delay_alu instid0(VALU_DEP_2) | instskip(NEXT) | instid1(VALU_DEP_2)
	v_fmac_f32_e32 v193, v2, v9
	v_dual_mul_f32 v2, v2, v10 :: v_dual_fmac_f32 v195, v4, v11
	s_delay_alu instid0(VALU_DEP_1) | instskip(SKIP_1) | instid1(VALU_DEP_1)
	v_fma_f32 v194, v1, v9, -v2
	v_mul_f32_e32 v1, v4, v12
	v_fma_f32 v196, v3, v11, -v1
	s_clause 0x1
	scratch_load_b128 v[1:4], off, off offset:360
	scratch_load_b128 v[9:12], off, off offset:376
	s_wait_loadcnt_dscnt 0x100
	v_mul_f32_e32 v197, v5, v2
	v_dual_mul_f32 v2, v6, v2 :: v_dual_mul_f32 v199, v7, v4
	s_delay_alu instid0(VALU_DEP_1) | instskip(NEXT) | instid1(VALU_DEP_2)
	v_fma_f32 v198, v5, v1, -v2
	v_fmac_f32_e32 v199, v8, v3
	s_delay_alu instid0(VALU_DEP_4) | instskip(SKIP_1) | instid1(VALU_DEP_1)
	v_fmac_f32_e32 v197, v6, v1
	v_mul_f32_e32 v1, v8, v4
	v_fma_f32 v200, v7, v3, -v1
	ds_load_2addr_b64 v[1:4], v21 offset0:107 offset1:108
	ds_load_2addr_b64 v[5:8], v21 offset0:109 offset1:110
	s_wait_loadcnt_dscnt 0x1
	v_mul_f32_e32 v201, v1, v10
	v_mul_f32_e32 v203, v3, v12
	s_delay_alu instid0(VALU_DEP_1) | instskip(NEXT) | instid1(VALU_DEP_3)
	v_fmac_f32_e32 v203, v4, v11
	v_fmac_f32_e32 v201, v2, v9
	v_mul_f32_e32 v2, v2, v10
	s_delay_alu instid0(VALU_DEP_1) | instskip(SKIP_1) | instid1(VALU_DEP_1)
	v_fma_f32 v202, v1, v9, -v2
	v_mul_f32_e32 v1, v4, v12
	v_fma_f32 v204, v3, v11, -v1
	s_clause 0x1
	scratch_load_b128 v[1:4], off, off offset:392
	scratch_load_b128 v[9:12], off, off offset:408
	s_wait_loadcnt_dscnt 0x100
	v_mul_f32_e32 v205, v5, v2
	v_mul_f32_e32 v2, v6, v2
	s_delay_alu instid0(VALU_DEP_1) | instskip(SKIP_1) | instid1(VALU_DEP_1)
	v_fma_f32 v206, v5, v1, -v2
	v_add_f32_e32 v2, 0, v153
	v_add_f32_e32 v2, v2, v154
	s_delay_alu instid0(VALU_DEP_1) | instskip(NEXT) | instid1(VALU_DEP_1)
	v_add_f32_e32 v2, v2, v24
	v_add_f32_e32 v2, v2, v25
	s_delay_alu instid0(VALU_DEP_1) | instskip(NEXT) | instid1(VALU_DEP_1)
	;; [unrolled: 3-line block ×8, first 2 shown]
	v_add_f32_e32 v2, v2, v169
	v_add_f32_e32 v2, v2, v171
	v_fmac_f32_e32 v205, v6, v1
	s_delay_alu instid0(VALU_DEP_2) | instskip(NEXT) | instid1(VALU_DEP_1)
	v_dual_mul_f32 v207, v7, v4 :: v_dual_add_f32 v2, v2, v173
	v_dual_mul_f32 v1, v8, v4 :: v_dual_add_f32 v2, v2, v175
	s_delay_alu instid0(VALU_DEP_1) | instskip(SKIP_1) | instid1(VALU_DEP_1)
	v_fma_f32 v208, v7, v3, -v1
	v_add_f32_e32 v1, 0, v22
	v_add_f32_e32 v1, v1, v23
	s_delay_alu instid0(VALU_DEP_1) | instskip(NEXT) | instid1(VALU_DEP_1)
	v_add_f32_e32 v1, v1, v26
	v_add_f32_e32 v1, v1, v27
	scratch_load_b64 v[26:27], off, off offset:472
	v_add_f32_e32 v1, v1, v28
	s_delay_alu instid0(VALU_DEP_1) | instskip(NEXT) | instid1(VALU_DEP_1)
	v_add_f32_e32 v1, v1, v29
	v_add_f32_e32 v1, v1, v13
	s_delay_alu instid0(VALU_DEP_1) | instskip(NEXT) | instid1(VALU_DEP_1)
	v_add_f32_e32 v1, v1, v14
	;; [unrolled: 3-line block ×8, first 2 shown]
	v_add_f32_e32 v1, v1, v178
	s_delay_alu instid0(VALU_DEP_1) | instskip(NEXT) | instid1(VALU_DEP_1)
	v_dual_add_f32 v6, v1, v180 :: v_dual_fmac_f32 v207, v8, v3
	v_add_f32_e32 v6, v6, v182
	s_delay_alu instid0(VALU_DEP_1) | instskip(NEXT) | instid1(VALU_DEP_1)
	v_add_f32_e32 v13, v6, v184
	v_add_f32_e32 v13, v13, v186
	s_delay_alu instid0(VALU_DEP_1) | instskip(NEXT) | instid1(VALU_DEP_1)
	v_add_f32_e32 v13, v13, v188
	;; [unrolled: 3-line block ×6, first 2 shown]
	v_add_f32_e32 v157, v157, v206
	s_delay_alu instid0(VALU_DEP_1) | instskip(SKIP_3) | instid1(VALU_DEP_1)
	v_add_f32_e32 v157, v157, v208
	v_add_f32_e32 v5, v2, v177
	ds_load_2addr_b64 v[1:4], v21 offset0:111 offset1:112
	v_add_f32_e32 v5, v5, v179
	v_add_f32_e32 v5, v5, v181
	s_delay_alu instid0(VALU_DEP_1)
	v_add_f32_e32 v14, v5, v183
	ds_load_2addr_b64 v[5:8], v21 offset0:113 offset1:114
	s_wait_loadcnt_dscnt 0x101
	v_mul_f32_e32 v32, v1, v10
	v_dual_add_f32 v14, v14, v185 :: v_dual_mul_f32 v153, v3, v12
	v_mul_f32_e32 v12, v4, v12
	v_mul_f32_e32 v10, v2, v10
	s_delay_alu instid0(VALU_DEP_4) | instskip(NEXT) | instid1(VALU_DEP_4)
	v_fmac_f32_e32 v32, v2, v9
	v_add_f32_e32 v14, v14, v187
	s_delay_alu instid0(VALU_DEP_4) | instskip(NEXT) | instid1(VALU_DEP_4)
	v_fma_f32 v156, v3, v11, -v12
	v_fma_f32 v154, v1, v9, -v10
	s_delay_alu instid0(VALU_DEP_3) | instskip(SKIP_2) | instid1(VALU_DEP_1)
	v_add_f32_e32 v17, v14, v189
	scratch_load_b128 v[13:16], off, off offset:456
	v_add_f32_e32 v154, v157, v154
	v_dual_add_f32 v17, v17, v191 :: v_dual_add_f32 v154, v154, v156
	s_delay_alu instid0(VALU_DEP_1) | instskip(NEXT) | instid1(VALU_DEP_1)
	v_add_f32_e32 v17, v17, v193
	v_add_f32_e32 v17, v17, v195
	s_delay_alu instid0(VALU_DEP_1) | instskip(NEXT) | instid1(VALU_DEP_1)
	v_add_f32_e32 v17, v17, v197
	v_add_f32_e32 v22, v17, v199
	ds_load_2addr_b64 v[17:20], v21 offset0:115 offset1:116
	v_add_f32_e32 v29, v22, v201
	ds_load_2addr_b64 v[22:25], v21 offset0:117 offset1:118
	v_add_f32_e32 v158, v29, v203
	ds_load_b64 v[28:29], v21 offset:952
	s_wait_loadcnt_dscnt 0x1
	v_dual_mul_f32 v156, v24, v16 :: v_dual_mul_f32 v161, v22, v14
	s_delay_alu instid0(VALU_DEP_1)
	v_fmac_f32_e32 v156, v25, v15
	v_fmac_f32_e32 v153, v4, v11
	s_clause 0x1
	scratch_load_b128 v[1:4], off, off offset:424
	scratch_load_b128 v[9:12], off, off offset:440
	v_fmac_f32_e32 v161, v23, v13
	s_wait_loadcnt 0x1
	v_mul_f32_e32 v160, v7, v4
	v_dual_add_f32 v158, v158, v205 :: v_dual_mul_f32 v159, v5, v2
	v_mul_f32_e32 v2, v6, v2
	s_wait_loadcnt 0x0
	v_dual_mul_f32 v4, v8, v4 :: v_dual_mul_f32 v157, v17, v10
	s_delay_alu instid0(VALU_DEP_3)
	v_add_f32_e32 v158, v158, v207
	v_fmac_f32_e32 v159, v6, v1
	v_fma_f32 v2, v5, v1, -v2
	v_fmac_f32_e32 v160, v8, v3
	v_fma_f32 v1, v7, v3, -v4
	v_add_f32_e32 v32, v158, v32
	v_mul_f32_e32 v3, v18, v10
	v_add_f32_e32 v2, v154, v2
	v_mul_f32_e32 v158, v19, v12
	v_mul_f32_e32 v5, v20, v12
	v_add_f32_e32 v32, v32, v153
	v_fmac_f32_e32 v157, v18, v9
	v_fma_f32 v3, v17, v9, -v3
	v_dual_add_f32 v1, v2, v1 :: v_dual_fmac_f32 v158, v20, v11
	s_delay_alu instid0(VALU_DEP_4)
	v_add_f32_e32 v4, v32, v159
	v_fma_f32 v5, v19, v11, -v5
	s_wait_dscnt 0x0
	v_mul_f32_e32 v153, v28, v27
	v_add_f32_e32 v1, v1, v3
	v_mul_f32_e32 v3, v25, v16
	v_add_f32_e32 v2, v4, v160
	v_mul_f32_e32 v4, v23, v14
	v_fmac_f32_e32 v153, v29, v26
	v_add_f32_e32 v1, v1, v5
	s_delay_alu instid0(VALU_DEP_4) | instskip(NEXT) | instid1(VALU_DEP_4)
	v_dual_mul_f32 v5, v29, v27 :: v_dual_add_f32 v2, v2, v157
	v_fma_f32 v4, v22, v13, -v4
	v_fma_f32 v3, v24, v15, -v3
	s_delay_alu instid0(VALU_DEP_2) | instskip(NEXT) | instid1(VALU_DEP_4)
	v_dual_add_f32 v2, v2, v158 :: v_dual_add_f32 v1, v1, v4
	v_fma_f32 v4, v28, v26, -v5
	s_delay_alu instid0(VALU_DEP_2) | instskip(NEXT) | instid1(VALU_DEP_1)
	v_dual_add_f32 v2, v2, v161 :: v_dual_add_f32 v1, v1, v3
	v_add_f32_e32 v2, v2, v156
	s_delay_alu instid0(VALU_DEP_1) | instskip(NEXT) | instid1(VALU_DEP_1)
	v_dual_add_f32 v1, v1, v4 :: v_dual_add_f32 v2, v2, v153
	v_dual_sub_f32 v1, v30, v1 :: v_dual_sub_f32 v2, v31, v2
	scratch_store_b64 off, v[1:2], off offset:112
	v_cmpx_lt_u32_e32 13, v0
	s_cbranch_execz .LBB123_347
; %bb.346:
	scratch_load_b64 v[1:2], off, off offset:104
	v_mov_b32_e32 v22, v21
	scratch_store_b64 off, v[21:22], off offset:104
	s_wait_loadcnt 0x0
	ds_store_b64 v155, v[1:2]
.LBB123_347:
	s_wait_alu 0xfffe
	s_or_b32 exec_lo, exec_lo, s0
	s_wait_storecnt_dscnt 0x0
	s_barrier_signal -1
	s_barrier_wait -1
	global_inv scope:SCOPE_SE
	s_clause 0x4
	scratch_load_b128 v[5:8], off, off offset:112
	scratch_load_b128 v[1:4], off, off offset:128
	;; [unrolled: 1-line block ×5, first 2 shown]
	ds_load_b128 v[22:25], v21 offset:592
	ds_load_b128 v[26:29], v21 offset:608
	;; [unrolled: 1-line block ×3, first 2 shown]
	scratch_load_b64 v[30:31], off, off offset:104
	s_mov_b32 s0, exec_lo
	s_wait_loadcnt_dscnt 0x502
	v_mul_f32_e32 v32, v23, v6
	v_dual_mul_f32 v153, v22, v6 :: v_dual_mul_f32 v154, v24, v8
	v_mul_f32_e32 v6, v25, v8
	s_wait_loadcnt_dscnt 0x300
	v_mul_f32_e32 v160, v158, v12
	v_mul_f32_e32 v12, v159, v12
	v_dual_fmac_f32 v153, v23, v5 :: v_dual_fmac_f32 v154, v25, v7
	v_fma_f32 v23, v24, v7, -v6
	v_mul_f32_e32 v25, v28, v4
	v_fma_f32 v22, v22, v5, -v32
	ds_load_b128 v[5:8], v21 offset:640
	v_mul_f32_e32 v24, v26, v2
	v_mul_f32_e32 v4, v29, v4
	;; [unrolled: 1-line block ×4, first 2 shown]
	v_dual_mul_f32 v2, v27, v2 :: v_dual_fmac_f32 v25, v29, v3
	v_fmac_f32_e32 v24, v27, v1
	v_fma_f32 v27, v28, v3, -v4
	v_fmac_f32_e32 v32, v157, v9
	v_fma_f32 v28, v156, v9, -v10
	;; [unrolled: 2-line block ×3, first 2 shown]
	ds_load_b128 v[9:12], v21 offset:656
	s_wait_loadcnt_dscnt 0x201
	v_dual_mul_f32 v157, v7, v16 :: v_dual_mul_f32 v156, v5, v14
	v_mul_f32_e32 v14, v6, v14
	v_mul_f32_e32 v16, v8, v16
	s_delay_alu instid0(VALU_DEP_3)
	v_fmac_f32_e32 v157, v8, v15
	v_fma_f32 v26, v26, v1, -v2
	scratch_load_b128 v[1:4], off, off offset:192
	v_fmac_f32_e32 v156, v6, v13
	v_fma_f32 v13, v5, v13, -v14
	v_fma_f32 v14, v7, v15, -v16
	ds_load_b128 v[5:8], v21 offset:672
	s_wait_loadcnt_dscnt 0x201
	v_mul_f32_e32 v15, v9, v18
	v_mul_f32_e32 v16, v10, v18
	;; [unrolled: 1-line block ×3, first 2 shown]
	s_delay_alu instid0(VALU_DEP_3) | instskip(NEXT) | instid1(VALU_DEP_3)
	v_dual_mul_f32 v20, v12, v20 :: v_dual_fmac_f32 v15, v10, v17
	v_fma_f32 v16, v9, v17, -v16
	s_delay_alu instid0(VALU_DEP_3) | instskip(NEXT) | instid1(VALU_DEP_3)
	v_fmac_f32_e32 v18, v12, v19
	v_fma_f32 v17, v11, v19, -v20
	scratch_load_b128 v[9:12], off, off offset:208
	s_wait_loadcnt_dscnt 0x100
	v_mul_f32_e32 v19, v5, v2
	v_mul_f32_e32 v2, v6, v2
	;; [unrolled: 1-line block ×3, first 2 shown]
	s_delay_alu instid0(VALU_DEP_3) | instskip(NEXT) | instid1(VALU_DEP_3)
	v_dual_mul_f32 v4, v8, v4 :: v_dual_fmac_f32 v19, v6, v1
	v_fma_f32 v158, v5, v1, -v2
	s_delay_alu instid0(VALU_DEP_3) | instskip(NEXT) | instid1(VALU_DEP_3)
	v_fmac_f32_e32 v20, v8, v3
	v_fma_f32 v159, v7, v3, -v4
	ds_load_b128 v[1:4], v21 offset:688
	ds_load_b128 v[5:8], v21 offset:704
	s_wait_loadcnt_dscnt 0x1
	v_mul_f32_e32 v161, v1, v10
	v_mul_f32_e32 v10, v2, v10
	s_delay_alu instid0(VALU_DEP_2) | instskip(NEXT) | instid1(VALU_DEP_2)
	v_dual_mul_f32 v162, v3, v12 :: v_dual_fmac_f32 v161, v2, v9
	v_fma_f32 v163, v1, v9, -v10
	v_mul_f32_e32 v1, v4, v12
	s_delay_alu instid0(VALU_DEP_3) | instskip(NEXT) | instid1(VALU_DEP_2)
	v_fmac_f32_e32 v162, v4, v11
	v_fma_f32 v164, v3, v11, -v1
	s_clause 0x1
	scratch_load_b128 v[1:4], off, off offset:224
	scratch_load_b128 v[9:12], off, off offset:240
	s_wait_loadcnt_dscnt 0x100
	v_mul_f32_e32 v165, v5, v2
	v_dual_mul_f32 v2, v6, v2 :: v_dual_mul_f32 v167, v7, v4
	s_delay_alu instid0(VALU_DEP_2) | instskip(NEXT) | instid1(VALU_DEP_2)
	v_fmac_f32_e32 v165, v6, v1
	v_fma_f32 v166, v5, v1, -v2
	v_mul_f32_e32 v1, v8, v4
	s_delay_alu instid0(VALU_DEP_4) | instskip(NEXT) | instid1(VALU_DEP_2)
	v_fmac_f32_e32 v167, v8, v3
	v_fma_f32 v168, v7, v3, -v1
	ds_load_b128 v[1:4], v21 offset:720
	ds_load_b128 v[5:8], v21 offset:736
	s_wait_loadcnt_dscnt 0x1
	v_mul_f32_e32 v169, v1, v10
	v_mul_f32_e32 v171, v3, v12
	s_delay_alu instid0(VALU_DEP_2) | instskip(NEXT) | instid1(VALU_DEP_2)
	v_fmac_f32_e32 v169, v2, v9
	v_dual_mul_f32 v2, v2, v10 :: v_dual_fmac_f32 v171, v4, v11
	s_delay_alu instid0(VALU_DEP_1) | instskip(SKIP_1) | instid1(VALU_DEP_1)
	v_fma_f32 v170, v1, v9, -v2
	v_mul_f32_e32 v1, v4, v12
	v_fma_f32 v172, v3, v11, -v1
	s_clause 0x1
	scratch_load_b128 v[1:4], off, off offset:256
	scratch_load_b128 v[9:12], off, off offset:272
	s_wait_loadcnt_dscnt 0x100
	v_mul_f32_e32 v173, v5, v2
	v_dual_mul_f32 v2, v6, v2 :: v_dual_mul_f32 v175, v7, v4
	s_delay_alu instid0(VALU_DEP_2) | instskip(NEXT) | instid1(VALU_DEP_2)
	v_fmac_f32_e32 v173, v6, v1
	v_fma_f32 v174, v5, v1, -v2
	v_mul_f32_e32 v1, v8, v4
	s_delay_alu instid0(VALU_DEP_4) | instskip(NEXT) | instid1(VALU_DEP_2)
	v_fmac_f32_e32 v175, v8, v3
	v_fma_f32 v176, v7, v3, -v1
	ds_load_b128 v[1:4], v21 offset:752
	ds_load_b128 v[5:8], v21 offset:768
	s_wait_loadcnt_dscnt 0x1
	v_mul_f32_e32 v177, v1, v10
	v_mul_f32_e32 v179, v3, v12
	s_delay_alu instid0(VALU_DEP_2) | instskip(NEXT) | instid1(VALU_DEP_2)
	v_fmac_f32_e32 v177, v2, v9
	v_dual_mul_f32 v2, v2, v10 :: v_dual_fmac_f32 v179, v4, v11
	s_delay_alu instid0(VALU_DEP_1) | instskip(SKIP_1) | instid1(VALU_DEP_1)
	v_fma_f32 v178, v1, v9, -v2
	v_mul_f32_e32 v1, v4, v12
	v_fma_f32 v180, v3, v11, -v1
	s_clause 0x1
	scratch_load_b128 v[1:4], off, off offset:288
	scratch_load_b128 v[9:12], off, off offset:304
	s_wait_loadcnt_dscnt 0x100
	v_mul_f32_e32 v181, v5, v2
	v_dual_mul_f32 v2, v6, v2 :: v_dual_mul_f32 v183, v7, v4
	s_delay_alu instid0(VALU_DEP_1) | instskip(NEXT) | instid1(VALU_DEP_3)
	v_fma_f32 v182, v5, v1, -v2
	v_fmac_f32_e32 v181, v6, v1
	v_mul_f32_e32 v1, v8, v4
	s_delay_alu instid0(VALU_DEP_4) | instskip(NEXT) | instid1(VALU_DEP_2)
	v_fmac_f32_e32 v183, v8, v3
	v_fma_f32 v184, v7, v3, -v1
	ds_load_b128 v[1:4], v21 offset:784
	ds_load_b128 v[5:8], v21 offset:800
	s_wait_loadcnt_dscnt 0x1
	v_mul_f32_e32 v185, v1, v10
	v_mul_f32_e32 v187, v3, v12
	s_delay_alu instid0(VALU_DEP_1) | instskip(NEXT) | instid1(VALU_DEP_3)
	v_fmac_f32_e32 v187, v4, v11
	v_fmac_f32_e32 v185, v2, v9
	v_mul_f32_e32 v2, v2, v10
	s_delay_alu instid0(VALU_DEP_1) | instskip(SKIP_1) | instid1(VALU_DEP_1)
	v_fma_f32 v186, v1, v9, -v2
	v_mul_f32_e32 v1, v4, v12
	v_fma_f32 v188, v3, v11, -v1
	s_clause 0x1
	scratch_load_b128 v[1:4], off, off offset:320
	scratch_load_b128 v[9:12], off, off offset:336
	s_wait_loadcnt_dscnt 0x100
	v_mul_f32_e32 v189, v5, v2
	v_dual_mul_f32 v2, v6, v2 :: v_dual_mul_f32 v191, v7, v4
	s_delay_alu instid0(VALU_DEP_2) | instskip(NEXT) | instid1(VALU_DEP_2)
	v_fmac_f32_e32 v189, v6, v1
	v_fma_f32 v190, v5, v1, -v2
	v_mul_f32_e32 v1, v8, v4
	s_delay_alu instid0(VALU_DEP_4) | instskip(NEXT) | instid1(VALU_DEP_2)
	v_fmac_f32_e32 v191, v8, v3
	v_fma_f32 v192, v7, v3, -v1
	ds_load_b128 v[1:4], v21 offset:816
	ds_load_b128 v[5:8], v21 offset:832
	s_wait_loadcnt_dscnt 0x1
	v_mul_f32_e32 v193, v1, v10
	v_mul_f32_e32 v195, v3, v12
	s_delay_alu instid0(VALU_DEP_2) | instskip(NEXT) | instid1(VALU_DEP_2)
	v_fmac_f32_e32 v193, v2, v9
	v_dual_mul_f32 v2, v2, v10 :: v_dual_fmac_f32 v195, v4, v11
	s_delay_alu instid0(VALU_DEP_1) | instskip(SKIP_1) | instid1(VALU_DEP_1)
	v_fma_f32 v194, v1, v9, -v2
	v_mul_f32_e32 v1, v4, v12
	v_fma_f32 v196, v3, v11, -v1
	s_clause 0x1
	scratch_load_b128 v[1:4], off, off offset:352
	scratch_load_b128 v[9:12], off, off offset:368
	s_wait_loadcnt_dscnt 0x100
	v_mul_f32_e32 v197, v5, v2
	v_dual_mul_f32 v2, v6, v2 :: v_dual_mul_f32 v199, v7, v4
	s_delay_alu instid0(VALU_DEP_2) | instskip(NEXT) | instid1(VALU_DEP_2)
	v_fmac_f32_e32 v197, v6, v1
	v_fma_f32 v198, v5, v1, -v2
	v_mul_f32_e32 v1, v8, v4
	s_delay_alu instid0(VALU_DEP_4) | instskip(NEXT) | instid1(VALU_DEP_2)
	v_fmac_f32_e32 v199, v8, v3
	v_fma_f32 v200, v7, v3, -v1
	ds_load_b128 v[1:4], v21 offset:848
	ds_load_b128 v[5:8], v21 offset:864
	s_wait_loadcnt_dscnt 0x1
	v_mul_f32_e32 v201, v1, v10
	v_mul_f32_e32 v203, v3, v12
	s_delay_alu instid0(VALU_DEP_2) | instskip(NEXT) | instid1(VALU_DEP_2)
	v_fmac_f32_e32 v201, v2, v9
	v_dual_mul_f32 v2, v2, v10 :: v_dual_fmac_f32 v203, v4, v11
	s_delay_alu instid0(VALU_DEP_1) | instskip(SKIP_1) | instid1(VALU_DEP_1)
	v_fma_f32 v202, v1, v9, -v2
	v_mul_f32_e32 v1, v4, v12
	v_fma_f32 v204, v3, v11, -v1
	s_clause 0x1
	scratch_load_b128 v[1:4], off, off offset:384
	scratch_load_b128 v[9:12], off, off offset:400
	s_wait_loadcnt_dscnt 0x100
	v_mul_f32_e32 v205, v5, v2
	v_mul_f32_e32 v2, v6, v2
	s_delay_alu instid0(VALU_DEP_1) | instskip(SKIP_1) | instid1(VALU_DEP_1)
	v_fma_f32 v206, v5, v1, -v2
	v_add_f32_e32 v2, 0, v153
	v_add_f32_e32 v2, v2, v154
	s_delay_alu instid0(VALU_DEP_1) | instskip(NEXT) | instid1(VALU_DEP_1)
	v_add_f32_e32 v2, v2, v24
	v_add_f32_e32 v2, v2, v25
	s_delay_alu instid0(VALU_DEP_1) | instskip(NEXT) | instid1(VALU_DEP_1)
	;; [unrolled: 3-line block ×8, first 2 shown]
	v_add_f32_e32 v2, v2, v169
	v_add_f32_e32 v2, v2, v171
	v_fmac_f32_e32 v205, v6, v1
	s_delay_alu instid0(VALU_DEP_2) | instskip(NEXT) | instid1(VALU_DEP_1)
	v_dual_mul_f32 v207, v7, v4 :: v_dual_add_f32 v2, v2, v173
	v_dual_mul_f32 v1, v8, v4 :: v_dual_add_f32 v2, v2, v175
	s_delay_alu instid0(VALU_DEP_1) | instskip(SKIP_1) | instid1(VALU_DEP_3)
	v_fma_f32 v208, v7, v3, -v1
	v_add_f32_e32 v1, 0, v22
	v_dual_fmac_f32 v207, v8, v3 :: v_dual_add_f32 v2, v2, v177
	s_delay_alu instid0(VALU_DEP_2) | instskip(NEXT) | instid1(VALU_DEP_2)
	v_add_f32_e32 v1, v1, v23
	v_add_f32_e32 v5, v2, v179
	s_delay_alu instid0(VALU_DEP_2) | instskip(NEXT) | instid1(VALU_DEP_1)
	v_add_f32_e32 v1, v1, v26
	v_add_f32_e32 v1, v1, v27
	s_delay_alu instid0(VALU_DEP_1) | instskip(NEXT) | instid1(VALU_DEP_1)
	v_add_f32_e32 v1, v1, v28
	v_add_f32_e32 v1, v1, v29
	s_delay_alu instid0(VALU_DEP_1) | instskip(NEXT) | instid1(VALU_DEP_1)
	;; [unrolled: 3-line block ×9, first 2 shown]
	v_add_f32_e32 v1, v1, v178
	v_add_f32_e32 v1, v1, v180
	s_delay_alu instid0(VALU_DEP_1)
	v_add_f32_e32 v6, v1, v182
	v_add_f32_e32 v13, v5, v181
	ds_load_b128 v[1:4], v21 offset:880
	v_add_f32_e32 v14, v6, v184
	scratch_load_b128 v[5:8], off, off offset:416
	v_dual_add_f32 v13, v13, v183 :: v_dual_add_f32 v14, v14, v186
	s_delay_alu instid0(VALU_DEP_1) | instskip(NEXT) | instid1(VALU_DEP_1)
	v_add_f32_e32 v13, v13, v185
	v_dual_add_f32 v17, v14, v188 :: v_dual_add_f32 v18, v13, v187
	ds_load_b128 v[13:16], v21 offset:896
	v_add_f32_e32 v17, v17, v190
	s_wait_loadcnt_dscnt 0x101
	v_mul_f32_e32 v25, v1, v10
	v_mul_f32_e32 v10, v2, v10
	;; [unrolled: 1-line block ×4, first 2 shown]
	v_add_f32_e32 v18, v18, v189
	v_fmac_f32_e32 v25, v2, v9
	v_fma_f32 v27, v1, v9, -v10
	v_fmac_f32_e32 v26, v4, v11
	v_fma_f32 v28, v3, v11, -v12
	scratch_load_b128 v[1:4], off, off offset:432
	v_add_f32_e32 v17, v17, v192
	scratch_load_b128 v[9:12], off, off offset:448
	v_dual_add_f32 v18, v18, v191 :: v_dual_add_f32 v17, v17, v194
	s_delay_alu instid0(VALU_DEP_1) | instskip(SKIP_2) | instid1(VALU_DEP_1)
	v_dual_add_f32 v22, v18, v193 :: v_dual_add_f32 v23, v17, v196
	scratch_load_b128 v[17:20], off, off offset:464
	v_dual_add_f32 v22, v22, v195 :: v_dual_add_f32 v23, v23, v198
	v_dual_add_f32 v22, v22, v197 :: v_dual_add_f32 v23, v23, v200
	s_wait_loadcnt_dscnt 0x300
	v_mul_f32_e32 v29, v13, v6
	v_mul_f32_e32 v6, v14, v6
	;; [unrolled: 1-line block ×3, first 2 shown]
	s_delay_alu instid0(VALU_DEP_3) | instskip(NEXT) | instid1(VALU_DEP_3)
	v_dual_mul_f32 v8, v16, v8 :: v_dual_fmac_f32 v29, v14, v5
	v_fma_f32 v153, v13, v5, -v6
	v_dual_add_f32 v13, v22, v199 :: v_dual_add_f32 v22, v23, v202
	s_delay_alu instid0(VALU_DEP_4) | instskip(NEXT) | instid1(VALU_DEP_4)
	v_fmac_f32_e32 v32, v16, v7
	v_fma_f32 v154, v15, v7, -v8
	ds_load_b128 v[5:8], v21 offset:912
	v_dual_add_f32 v23, v13, v201 :: v_dual_add_f32 v156, v22, v204
	ds_load_b128 v[13:16], v21 offset:928
	v_dual_add_f32 v157, v23, v203 :: v_dual_add_f32 v156, v156, v206
	;; [unrolled: 2-line block ×3, first 2 shown]
	s_delay_alu instid0(VALU_DEP_1) | instskip(SKIP_1) | instid1(VALU_DEP_2)
	v_add_f32_e32 v157, v157, v207
	s_wait_loadcnt_dscnt 0x202
	v_dual_add_f32 v27, v156, v27 :: v_dual_mul_f32 v158, v5, v2
	s_delay_alu instid0(VALU_DEP_2) | instskip(NEXT) | instid1(VALU_DEP_2)
	v_add_f32_e32 v25, v157, v25
	v_dual_add_f32 v27, v27, v28 :: v_dual_mul_f32 v2, v6, v2
	v_mul_f32_e32 v156, v7, v4
	s_delay_alu instid0(VALU_DEP_3) | instskip(NEXT) | instid1(VALU_DEP_3)
	v_dual_mul_f32 v4, v8, v4 :: v_dual_add_f32 v25, v25, v26
	v_add_f32_e32 v27, v27, v153
	s_delay_alu instid0(VALU_DEP_4)
	v_fma_f32 v2, v5, v1, -v2
	s_wait_loadcnt_dscnt 0x101
	v_dual_fmac_f32 v158, v6, v1 :: v_dual_mul_f32 v157, v13, v10
	v_add_f32_e32 v25, v25, v29
	v_add_f32_e32 v1, v27, v154
	v_mul_f32_e32 v6, v14, v10
	v_fmac_f32_e32 v156, v8, v3
	v_fma_f32 v3, v7, v3, -v4
	v_add_f32_e32 v5, v25, v32
	v_add_f32_e32 v1, v1, v2
	v_mul_f32_e32 v159, v15, v12
	v_dual_mul_f32 v4, v16, v12 :: v_dual_fmac_f32 v157, v14, v9
	s_delay_alu instid0(VALU_DEP_4)
	v_add_f32_e32 v2, v5, v158
	v_fma_f32 v5, v13, v9, -v6
	v_add_f32_e32 v1, v1, v3
	s_wait_loadcnt_dscnt 0x0
	v_mul_f32_e32 v26, v21, v18
	v_mul_f32_e32 v3, v22, v18
	v_dual_add_f32 v2, v2, v156 :: v_dual_fmac_f32 v159, v16, v11
	v_fma_f32 v4, v15, v11, -v4
	v_dual_add_f32 v1, v1, v5 :: v_dual_mul_f32 v28, v23, v20
	s_delay_alu instid0(VALU_DEP_3) | instskip(SKIP_2) | instid1(VALU_DEP_3)
	v_dual_add_f32 v2, v2, v157 :: v_dual_mul_f32 v5, v24, v20
	v_fmac_f32_e32 v26, v22, v17
	v_fma_f32 v3, v21, v17, -v3
	v_dual_add_f32 v1, v1, v4 :: v_dual_add_f32 v2, v2, v159
	v_fmac_f32_e32 v28, v24, v19
	v_fma_f32 v4, v23, v19, -v5
	s_delay_alu instid0(VALU_DEP_3) | instskip(NEXT) | instid1(VALU_DEP_1)
	v_dual_add_f32 v1, v1, v3 :: v_dual_add_f32 v2, v2, v26
	v_add_f32_e32 v1, v1, v4
	s_delay_alu instid0(VALU_DEP_2) | instskip(NEXT) | instid1(VALU_DEP_1)
	v_add_f32_e32 v2, v2, v28
	v_dual_sub_f32 v1, v30, v1 :: v_dual_sub_f32 v2, v31, v2
	scratch_store_b64 off, v[1:2], off offset:104
	v_cmpx_lt_u32_e32 12, v0
	s_cbranch_execz .LBB123_349
; %bb.348:
	scratch_load_b64 v[1:2], off, off offset:96
	v_mov_b32_e32 v3, 0
	s_delay_alu instid0(VALU_DEP_1)
	v_mov_b32_e32 v4, v3
	scratch_store_b64 off, v[3:4], off offset:96
	s_wait_loadcnt 0x0
	ds_store_b64 v155, v[1:2]
.LBB123_349:
	s_wait_alu 0xfffe
	s_or_b32 exec_lo, exec_lo, s0
	s_wait_storecnt_dscnt 0x0
	s_barrier_signal -1
	s_barrier_wait -1
	global_inv scope:SCOPE_SE
	s_clause 0x4
	scratch_load_b128 v[5:8], off, off offset:104
	scratch_load_b128 v[1:4], off, off offset:120
	;; [unrolled: 1-line block ×5, first 2 shown]
	v_mov_b32_e32 v21, 0
	ds_load_2addr_b64 v[22:25], v21 offset0:73 offset1:74
	ds_load_2addr_b64 v[26:29], v21 offset0:75 offset1:76
	;; [unrolled: 1-line block ×3, first 2 shown]
	scratch_load_b64 v[30:31], off, off offset:96
	s_mov_b32 s0, exec_lo
	s_wait_loadcnt_dscnt 0x502
	v_mul_f32_e32 v32, v23, v6
	v_dual_mul_f32 v153, v22, v6 :: v_dual_mul_f32 v154, v24, v8
	v_mul_f32_e32 v6, v25, v8
	s_wait_loadcnt_dscnt 0x300
	v_mul_f32_e32 v160, v158, v12
	v_fma_f32 v22, v22, v5, -v32
	v_dual_fmac_f32 v153, v23, v5 :: v_dual_fmac_f32 v154, v25, v7
	v_mul_f32_e32 v25, v28, v4
	v_fma_f32 v23, v24, v7, -v6
	ds_load_2addr_b64 v[5:8], v21 offset0:79 offset1:80
	v_mul_f32_e32 v24, v26, v2
	v_mul_f32_e32 v4, v29, v4
	;; [unrolled: 1-line block ×5, first 2 shown]
	v_dual_mul_f32 v2, v27, v2 :: v_dual_fmac_f32 v25, v29, v3
	v_fmac_f32_e32 v24, v27, v1
	v_fma_f32 v27, v28, v3, -v4
	v_fmac_f32_e32 v32, v157, v9
	v_fma_f32 v28, v156, v9, -v10
	;; [unrolled: 2-line block ×3, first 2 shown]
	ds_load_2addr_b64 v[9:12], v21 offset0:81 offset1:82
	s_wait_loadcnt_dscnt 0x201
	v_dual_mul_f32 v157, v7, v16 :: v_dual_mul_f32 v156, v5, v14
	v_mul_f32_e32 v14, v6, v14
	v_mul_f32_e32 v16, v8, v16
	s_delay_alu instid0(VALU_DEP_3)
	v_fmac_f32_e32 v157, v8, v15
	v_fma_f32 v26, v26, v1, -v2
	scratch_load_b128 v[1:4], off, off offset:184
	v_fmac_f32_e32 v156, v6, v13
	v_fma_f32 v13, v5, v13, -v14
	v_fma_f32 v14, v7, v15, -v16
	ds_load_2addr_b64 v[5:8], v21 offset0:83 offset1:84
	s_wait_loadcnt_dscnt 0x201
	v_mul_f32_e32 v15, v9, v18
	v_mul_f32_e32 v16, v10, v18
	;; [unrolled: 1-line block ×3, first 2 shown]
	s_delay_alu instid0(VALU_DEP_3) | instskip(NEXT) | instid1(VALU_DEP_3)
	v_dual_mul_f32 v20, v12, v20 :: v_dual_fmac_f32 v15, v10, v17
	v_fma_f32 v16, v9, v17, -v16
	s_delay_alu instid0(VALU_DEP_3) | instskip(NEXT) | instid1(VALU_DEP_3)
	v_fmac_f32_e32 v18, v12, v19
	v_fma_f32 v17, v11, v19, -v20
	scratch_load_b128 v[9:12], off, off offset:200
	s_wait_loadcnt_dscnt 0x100
	v_mul_f32_e32 v19, v5, v2
	v_mul_f32_e32 v2, v6, v2
	;; [unrolled: 1-line block ×3, first 2 shown]
	s_delay_alu instid0(VALU_DEP_3) | instskip(NEXT) | instid1(VALU_DEP_3)
	v_dual_mul_f32 v4, v8, v4 :: v_dual_fmac_f32 v19, v6, v1
	v_fma_f32 v158, v5, v1, -v2
	s_delay_alu instid0(VALU_DEP_3) | instskip(NEXT) | instid1(VALU_DEP_3)
	v_fmac_f32_e32 v20, v8, v3
	v_fma_f32 v159, v7, v3, -v4
	ds_load_2addr_b64 v[1:4], v21 offset0:85 offset1:86
	ds_load_2addr_b64 v[5:8], v21 offset0:87 offset1:88
	s_wait_loadcnt_dscnt 0x1
	v_mul_f32_e32 v161, v1, v10
	v_mul_f32_e32 v10, v2, v10
	s_delay_alu instid0(VALU_DEP_2) | instskip(NEXT) | instid1(VALU_DEP_2)
	v_dual_mul_f32 v162, v3, v12 :: v_dual_fmac_f32 v161, v2, v9
	v_fma_f32 v163, v1, v9, -v10
	v_mul_f32_e32 v1, v4, v12
	s_delay_alu instid0(VALU_DEP_3) | instskip(NEXT) | instid1(VALU_DEP_2)
	v_fmac_f32_e32 v162, v4, v11
	v_fma_f32 v164, v3, v11, -v1
	s_clause 0x1
	scratch_load_b128 v[1:4], off, off offset:216
	scratch_load_b128 v[9:12], off, off offset:232
	s_wait_loadcnt_dscnt 0x100
	v_mul_f32_e32 v165, v5, v2
	v_dual_mul_f32 v2, v6, v2 :: v_dual_mul_f32 v167, v7, v4
	s_delay_alu instid0(VALU_DEP_2) | instskip(NEXT) | instid1(VALU_DEP_2)
	v_fmac_f32_e32 v165, v6, v1
	v_fma_f32 v166, v5, v1, -v2
	v_mul_f32_e32 v1, v8, v4
	s_delay_alu instid0(VALU_DEP_4) | instskip(NEXT) | instid1(VALU_DEP_2)
	v_fmac_f32_e32 v167, v8, v3
	v_fma_f32 v168, v7, v3, -v1
	ds_load_2addr_b64 v[1:4], v21 offset0:89 offset1:90
	ds_load_2addr_b64 v[5:8], v21 offset0:91 offset1:92
	s_wait_loadcnt_dscnt 0x1
	v_mul_f32_e32 v169, v1, v10
	v_mul_f32_e32 v171, v3, v12
	s_delay_alu instid0(VALU_DEP_2) | instskip(NEXT) | instid1(VALU_DEP_2)
	v_fmac_f32_e32 v169, v2, v9
	v_dual_mul_f32 v2, v2, v10 :: v_dual_fmac_f32 v171, v4, v11
	s_delay_alu instid0(VALU_DEP_1) | instskip(SKIP_1) | instid1(VALU_DEP_1)
	v_fma_f32 v170, v1, v9, -v2
	v_mul_f32_e32 v1, v4, v12
	v_fma_f32 v172, v3, v11, -v1
	s_clause 0x1
	scratch_load_b128 v[1:4], off, off offset:248
	scratch_load_b128 v[9:12], off, off offset:264
	s_wait_loadcnt_dscnt 0x100
	v_mul_f32_e32 v173, v5, v2
	v_dual_mul_f32 v2, v6, v2 :: v_dual_mul_f32 v175, v7, v4
	s_delay_alu instid0(VALU_DEP_2) | instskip(NEXT) | instid1(VALU_DEP_2)
	v_fmac_f32_e32 v173, v6, v1
	v_fma_f32 v174, v5, v1, -v2
	v_mul_f32_e32 v1, v8, v4
	s_delay_alu instid0(VALU_DEP_4) | instskip(NEXT) | instid1(VALU_DEP_2)
	v_fmac_f32_e32 v175, v8, v3
	v_fma_f32 v176, v7, v3, -v1
	ds_load_2addr_b64 v[1:4], v21 offset0:93 offset1:94
	ds_load_2addr_b64 v[5:8], v21 offset0:95 offset1:96
	s_wait_loadcnt_dscnt 0x1
	v_mul_f32_e32 v177, v1, v10
	v_mul_f32_e32 v179, v3, v12
	s_delay_alu instid0(VALU_DEP_2) | instskip(NEXT) | instid1(VALU_DEP_2)
	v_fmac_f32_e32 v177, v2, v9
	v_dual_mul_f32 v2, v2, v10 :: v_dual_fmac_f32 v179, v4, v11
	s_delay_alu instid0(VALU_DEP_1) | instskip(SKIP_1) | instid1(VALU_DEP_1)
	v_fma_f32 v178, v1, v9, -v2
	v_mul_f32_e32 v1, v4, v12
	;; [unrolled: 25-line block ×5, first 2 shown]
	v_fma_f32 v204, v3, v11, -v1
	s_clause 0x1
	scratch_load_b128 v[1:4], off, off offset:376
	scratch_load_b128 v[9:12], off, off offset:392
	s_wait_loadcnt_dscnt 0x100
	v_mul_f32_e32 v205, v5, v2
	v_mul_f32_e32 v2, v6, v2
	s_delay_alu instid0(VALU_DEP_1) | instskip(SKIP_1) | instid1(VALU_DEP_1)
	v_fma_f32 v206, v5, v1, -v2
	v_add_f32_e32 v2, 0, v153
	v_add_f32_e32 v2, v2, v154
	s_delay_alu instid0(VALU_DEP_1) | instskip(NEXT) | instid1(VALU_DEP_1)
	v_add_f32_e32 v2, v2, v24
	v_add_f32_e32 v2, v2, v25
	s_delay_alu instid0(VALU_DEP_1) | instskip(NEXT) | instid1(VALU_DEP_1)
	;; [unrolled: 3-line block ×8, first 2 shown]
	v_add_f32_e32 v2, v2, v169
	v_add_f32_e32 v2, v2, v171
	v_fmac_f32_e32 v205, v6, v1
	s_delay_alu instid0(VALU_DEP_2) | instskip(NEXT) | instid1(VALU_DEP_1)
	v_dual_mul_f32 v207, v7, v4 :: v_dual_add_f32 v2, v2, v173
	v_dual_mul_f32 v1, v8, v4 :: v_dual_add_f32 v2, v2, v175
	s_delay_alu instid0(VALU_DEP_1) | instskip(SKIP_1) | instid1(VALU_DEP_1)
	v_fma_f32 v208, v7, v3, -v1
	v_add_f32_e32 v1, 0, v22
	v_add_f32_e32 v1, v1, v23
	s_delay_alu instid0(VALU_DEP_1) | instskip(NEXT) | instid1(VALU_DEP_1)
	v_add_f32_e32 v1, v1, v26
	v_add_f32_e32 v1, v1, v27
	scratch_load_b64 v[26:27], off, off offset:472
	v_add_f32_e32 v1, v1, v28
	s_delay_alu instid0(VALU_DEP_1) | instskip(NEXT) | instid1(VALU_DEP_1)
	v_add_f32_e32 v1, v1, v29
	v_add_f32_e32 v1, v1, v13
	s_delay_alu instid0(VALU_DEP_1) | instskip(NEXT) | instid1(VALU_DEP_1)
	v_add_f32_e32 v1, v1, v14
	;; [unrolled: 3-line block ×9, first 2 shown]
	v_dual_add_f32 v6, v1, v182 :: v_dual_fmac_f32 v207, v8, v3
	v_add_f32_e32 v2, v2, v177
	s_delay_alu instid0(VALU_DEP_2) | instskip(NEXT) | instid1(VALU_DEP_2)
	v_add_f32_e32 v14, v6, v184
	v_add_f32_e32 v5, v2, v179
	scratch_load_b128 v[1:4], off, off offset:408
	v_dual_add_f32 v14, v14, v186 :: v_dual_add_f32 v13, v5, v181
	ds_load_2addr_b64 v[5:8], v21 offset0:109 offset1:110
	v_add_f32_e32 v17, v14, v188
	v_add_f32_e32 v13, v13, v183
	s_delay_alu instid0(VALU_DEP_1) | instskip(NEXT) | instid1(VALU_DEP_1)
	v_add_f32_e32 v13, v13, v185
	v_add_f32_e32 v18, v13, v187
	ds_load_2addr_b64 v[13:16], v21 offset0:111 offset1:112
	s_wait_loadcnt_dscnt 0x201
	v_mul_f32_e32 v153, v7, v12
	v_mul_f32_e32 v12, v8, v12
	v_add_f32_e32 v18, v18, v189
	v_mul_f32_e32 v32, v5, v10
	s_delay_alu instid0(VALU_DEP_4) | instskip(NEXT) | instid1(VALU_DEP_4)
	v_dual_mul_f32 v10, v6, v10 :: v_dual_fmac_f32 v153, v8, v11
	v_fma_f32 v156, v7, v11, -v12
	s_delay_alu instid0(VALU_DEP_4) | instskip(NEXT) | instid1(VALU_DEP_4)
	v_add_f32_e32 v18, v18, v191
	v_fmac_f32_e32 v32, v6, v9
	s_delay_alu instid0(VALU_DEP_4)
	v_fma_f32 v154, v5, v9, -v10
	s_clause 0x1
	scratch_load_b128 v[5:8], off, off offset:424
	scratch_load_b128 v[9:12], off, off offset:440
	s_wait_loadcnt_dscnt 0x200
	v_mul_f32_e32 v158, v15, v4
	v_add_f32_e32 v22, v18, v193
	v_dual_mul_f32 v4, v16, v4 :: v_dual_mul_f32 v157, v13, v2
	v_mul_f32_e32 v2, v14, v2
	s_delay_alu instid0(VALU_DEP_4) | instskip(NEXT) | instid1(VALU_DEP_4)
	v_fmac_f32_e32 v158, v16, v3
	v_add_f32_e32 v22, v22, v195
	s_delay_alu instid0(VALU_DEP_4) | instskip(SKIP_4) | instid1(VALU_DEP_1)
	v_fma_f32 v160, v15, v3, -v4
	v_fmac_f32_e32 v157, v14, v1
	v_fma_f32 v159, v13, v1, -v2
	ds_load_2addr_b64 v[1:4], v21 offset0:113 offset1:114
	v_add_f32_e32 v22, v22, v197
	v_add_f32_e32 v22, v22, v199
	s_delay_alu instid0(VALU_DEP_1) | instskip(NEXT) | instid1(VALU_DEP_1)
	v_add_f32_e32 v13, v22, v201
	v_add_f32_e32 v22, v13, v203
	;; [unrolled: 1-line block ×3, first 2 shown]
	s_delay_alu instid0(VALU_DEP_1) | instskip(NEXT) | instid1(VALU_DEP_1)
	v_add_f32_e32 v17, v17, v192
	v_add_f32_e32 v17, v17, v194
	s_delay_alu instid0(VALU_DEP_1) | instskip(SKIP_2) | instid1(VALU_DEP_1)
	v_add_f32_e32 v23, v17, v196
	scratch_load_b128 v[17:20], off, off offset:456
	v_add_f32_e32 v23, v23, v198
	v_add_f32_e32 v23, v23, v200
	s_delay_alu instid0(VALU_DEP_1) | instskip(NEXT) | instid1(VALU_DEP_1)
	v_add_f32_e32 v23, v23, v202
	v_dual_add_f32 v14, v23, v204 :: v_dual_add_f32 v29, v22, v205
	ds_load_2addr_b64 v[22:25], v21 offset0:117 offset1:118
	v_add_f32_e32 v28, v14, v206
	ds_load_2addr_b64 v[13:16], v21 offset0:115 offset1:116
	v_dual_add_f32 v162, v29, v207 :: v_dual_add_f32 v161, v28, v208
	ds_load_b64 v[28:29], v21 offset:952
	v_add_f32_e32 v32, v162, v32
	v_add_f32_e32 v154, v161, v154
	s_wait_loadcnt_dscnt 0x203
	v_mul_f32_e32 v161, v1, v6
	v_mul_f32_e32 v6, v2, v6
	s_delay_alu instid0(VALU_DEP_3) | instskip(NEXT) | instid1(VALU_DEP_3)
	v_add_f32_e32 v154, v154, v156
	v_fmac_f32_e32 v161, v2, v5
	s_delay_alu instid0(VALU_DEP_3) | instskip(NEXT) | instid1(VALU_DEP_3)
	v_fma_f32 v1, v1, v5, -v6
	v_add_f32_e32 v154, v154, v159
	s_wait_loadcnt_dscnt 0x101
	v_mul_f32_e32 v156, v13, v10
	v_dual_add_f32 v32, v32, v153 :: v_dual_mul_f32 v153, v3, v8
	v_mul_f32_e32 v8, v4, v8
	v_add_f32_e32 v154, v154, v160
	v_mul_f32_e32 v5, v16, v12
	s_delay_alu instid0(VALU_DEP_4) | instskip(SKIP_3) | instid1(VALU_DEP_4)
	v_add_f32_e32 v32, v32, v157
	v_fmac_f32_e32 v153, v4, v7
	v_fma_f32 v2, v3, v7, -v8
	v_mul_f32_e32 v3, v14, v10
	v_dual_add_f32 v1, v154, v1 :: v_dual_add_f32 v32, v32, v158
	v_dual_mul_f32 v157, v15, v12 :: v_dual_fmac_f32 v156, v14, v9
	s_delay_alu instid0(VALU_DEP_3) | instskip(NEXT) | instid1(VALU_DEP_3)
	v_fma_f32 v3, v13, v9, -v3
	v_dual_add_f32 v1, v1, v2 :: v_dual_add_f32 v4, v32, v161
	s_delay_alu instid0(VALU_DEP_3) | instskip(SKIP_4) | instid1(VALU_DEP_2)
	v_fmac_f32_e32 v157, v16, v11
	v_fma_f32 v5, v15, v11, -v5
	s_wait_dscnt 0x0
	v_mul_f32_e32 v158, v28, v27
	v_dual_add_f32 v1, v1, v3 :: v_dual_add_f32 v2, v4, v153
	v_fmac_f32_e32 v158, v29, v26
	s_delay_alu instid0(VALU_DEP_2) | instskip(NEXT) | instid1(VALU_DEP_1)
	v_dual_add_f32 v1, v1, v5 :: v_dual_add_f32 v2, v2, v156
	v_dual_mul_f32 v5, v29, v27 :: v_dual_add_f32 v2, v2, v157
	s_wait_loadcnt 0x0
	v_mul_f32_e32 v159, v22, v18
	v_mul_f32_e32 v4, v23, v18
	;; [unrolled: 1-line block ×4, first 2 shown]
	s_delay_alu instid0(VALU_DEP_4) | instskip(NEXT) | instid1(VALU_DEP_4)
	v_fmac_f32_e32 v159, v23, v17
	v_fma_f32 v4, v22, v17, -v4
	s_delay_alu instid0(VALU_DEP_4) | instskip(NEXT) | instid1(VALU_DEP_4)
	v_fmac_f32_e32 v160, v25, v19
	v_fma_f32 v3, v24, v19, -v3
	s_delay_alu instid0(VALU_DEP_3) | instskip(SKIP_1) | instid1(VALU_DEP_2)
	v_dual_add_f32 v2, v2, v159 :: v_dual_add_f32 v1, v1, v4
	v_fma_f32 v4, v28, v26, -v5
	v_dual_add_f32 v2, v2, v160 :: v_dual_add_f32 v1, v1, v3
	s_delay_alu instid0(VALU_DEP_1) | instskip(NEXT) | instid1(VALU_DEP_1)
	v_dual_add_f32 v2, v2, v158 :: v_dual_add_f32 v1, v1, v4
	v_dual_sub_f32 v2, v31, v2 :: v_dual_sub_f32 v1, v30, v1
	scratch_store_b64 off, v[1:2], off offset:96
	v_cmpx_lt_u32_e32 11, v0
	s_cbranch_execz .LBB123_351
; %bb.350:
	scratch_load_b64 v[1:2], off, off offset:88
	v_mov_b32_e32 v22, v21
	scratch_store_b64 off, v[21:22], off offset:88
	s_wait_loadcnt 0x0
	ds_store_b64 v155, v[1:2]
.LBB123_351:
	s_wait_alu 0xfffe
	s_or_b32 exec_lo, exec_lo, s0
	s_wait_storecnt_dscnt 0x0
	s_barrier_signal -1
	s_barrier_wait -1
	global_inv scope:SCOPE_SE
	s_clause 0x4
	scratch_load_b128 v[5:8], off, off offset:96
	scratch_load_b128 v[1:4], off, off offset:112
	;; [unrolled: 1-line block ×5, first 2 shown]
	ds_load_b128 v[22:25], v21 offset:576
	ds_load_b128 v[26:29], v21 offset:592
	;; [unrolled: 1-line block ×3, first 2 shown]
	scratch_load_b64 v[30:31], off, off offset:88
	s_mov_b32 s0, exec_lo
	s_wait_loadcnt_dscnt 0x502
	v_mul_f32_e32 v32, v23, v6
	v_dual_mul_f32 v153, v22, v6 :: v_dual_mul_f32 v154, v24, v8
	v_mul_f32_e32 v6, v25, v8
	s_wait_loadcnt_dscnt 0x300
	v_mul_f32_e32 v160, v158, v12
	v_mul_f32_e32 v12, v159, v12
	v_dual_fmac_f32 v153, v23, v5 :: v_dual_fmac_f32 v154, v25, v7
	v_fma_f32 v23, v24, v7, -v6
	v_mul_f32_e32 v25, v28, v4
	v_fma_f32 v22, v22, v5, -v32
	ds_load_b128 v[5:8], v21 offset:624
	v_mul_f32_e32 v24, v26, v2
	v_mul_f32_e32 v4, v29, v4
	;; [unrolled: 1-line block ×4, first 2 shown]
	v_dual_mul_f32 v2, v27, v2 :: v_dual_fmac_f32 v25, v29, v3
	v_fmac_f32_e32 v24, v27, v1
	v_fma_f32 v27, v28, v3, -v4
	v_fmac_f32_e32 v32, v157, v9
	v_fma_f32 v28, v156, v9, -v10
	;; [unrolled: 2-line block ×3, first 2 shown]
	ds_load_b128 v[9:12], v21 offset:640
	s_wait_loadcnt_dscnt 0x201
	v_dual_mul_f32 v157, v7, v16 :: v_dual_mul_f32 v156, v5, v14
	v_mul_f32_e32 v14, v6, v14
	v_mul_f32_e32 v16, v8, v16
	s_delay_alu instid0(VALU_DEP_3)
	v_fmac_f32_e32 v157, v8, v15
	v_fma_f32 v26, v26, v1, -v2
	scratch_load_b128 v[1:4], off, off offset:176
	v_fmac_f32_e32 v156, v6, v13
	v_fma_f32 v13, v5, v13, -v14
	v_fma_f32 v14, v7, v15, -v16
	ds_load_b128 v[5:8], v21 offset:656
	s_wait_loadcnt_dscnt 0x201
	v_mul_f32_e32 v15, v9, v18
	v_mul_f32_e32 v16, v10, v18
	;; [unrolled: 1-line block ×3, first 2 shown]
	s_delay_alu instid0(VALU_DEP_3) | instskip(NEXT) | instid1(VALU_DEP_3)
	v_dual_mul_f32 v20, v12, v20 :: v_dual_fmac_f32 v15, v10, v17
	v_fma_f32 v16, v9, v17, -v16
	s_delay_alu instid0(VALU_DEP_3) | instskip(NEXT) | instid1(VALU_DEP_3)
	v_fmac_f32_e32 v18, v12, v19
	v_fma_f32 v17, v11, v19, -v20
	scratch_load_b128 v[9:12], off, off offset:192
	s_wait_loadcnt_dscnt 0x100
	v_mul_f32_e32 v19, v5, v2
	v_mul_f32_e32 v2, v6, v2
	;; [unrolled: 1-line block ×3, first 2 shown]
	s_delay_alu instid0(VALU_DEP_3) | instskip(NEXT) | instid1(VALU_DEP_3)
	v_dual_mul_f32 v4, v8, v4 :: v_dual_fmac_f32 v19, v6, v1
	v_fma_f32 v158, v5, v1, -v2
	s_delay_alu instid0(VALU_DEP_3) | instskip(NEXT) | instid1(VALU_DEP_3)
	v_fmac_f32_e32 v20, v8, v3
	v_fma_f32 v159, v7, v3, -v4
	ds_load_b128 v[1:4], v21 offset:672
	ds_load_b128 v[5:8], v21 offset:688
	s_wait_loadcnt_dscnt 0x1
	v_mul_f32_e32 v161, v1, v10
	v_mul_f32_e32 v10, v2, v10
	s_delay_alu instid0(VALU_DEP_2) | instskip(NEXT) | instid1(VALU_DEP_2)
	v_dual_mul_f32 v162, v3, v12 :: v_dual_fmac_f32 v161, v2, v9
	v_fma_f32 v163, v1, v9, -v10
	v_mul_f32_e32 v1, v4, v12
	s_delay_alu instid0(VALU_DEP_3) | instskip(NEXT) | instid1(VALU_DEP_2)
	v_fmac_f32_e32 v162, v4, v11
	v_fma_f32 v164, v3, v11, -v1
	s_clause 0x1
	scratch_load_b128 v[1:4], off, off offset:208
	scratch_load_b128 v[9:12], off, off offset:224
	s_wait_loadcnt_dscnt 0x100
	v_mul_f32_e32 v165, v5, v2
	v_dual_mul_f32 v2, v6, v2 :: v_dual_mul_f32 v167, v7, v4
	s_delay_alu instid0(VALU_DEP_2) | instskip(NEXT) | instid1(VALU_DEP_2)
	v_fmac_f32_e32 v165, v6, v1
	v_fma_f32 v166, v5, v1, -v2
	v_mul_f32_e32 v1, v8, v4
	s_delay_alu instid0(VALU_DEP_4) | instskip(NEXT) | instid1(VALU_DEP_2)
	v_fmac_f32_e32 v167, v8, v3
	v_fma_f32 v168, v7, v3, -v1
	ds_load_b128 v[1:4], v21 offset:704
	ds_load_b128 v[5:8], v21 offset:720
	s_wait_loadcnt_dscnt 0x1
	v_mul_f32_e32 v169, v1, v10
	v_mul_f32_e32 v171, v3, v12
	s_delay_alu instid0(VALU_DEP_2) | instskip(NEXT) | instid1(VALU_DEP_2)
	v_fmac_f32_e32 v169, v2, v9
	v_dual_mul_f32 v2, v2, v10 :: v_dual_fmac_f32 v171, v4, v11
	s_delay_alu instid0(VALU_DEP_1) | instskip(SKIP_1) | instid1(VALU_DEP_1)
	v_fma_f32 v170, v1, v9, -v2
	v_mul_f32_e32 v1, v4, v12
	v_fma_f32 v172, v3, v11, -v1
	s_clause 0x1
	scratch_load_b128 v[1:4], off, off offset:240
	scratch_load_b128 v[9:12], off, off offset:256
	s_wait_loadcnt_dscnt 0x100
	v_mul_f32_e32 v173, v5, v2
	v_dual_mul_f32 v2, v6, v2 :: v_dual_mul_f32 v175, v7, v4
	s_delay_alu instid0(VALU_DEP_2) | instskip(NEXT) | instid1(VALU_DEP_2)
	v_fmac_f32_e32 v173, v6, v1
	v_fma_f32 v174, v5, v1, -v2
	v_mul_f32_e32 v1, v8, v4
	s_delay_alu instid0(VALU_DEP_4) | instskip(NEXT) | instid1(VALU_DEP_2)
	v_fmac_f32_e32 v175, v8, v3
	v_fma_f32 v176, v7, v3, -v1
	ds_load_b128 v[1:4], v21 offset:736
	ds_load_b128 v[5:8], v21 offset:752
	s_wait_loadcnt_dscnt 0x1
	v_mul_f32_e32 v177, v1, v10
	v_mul_f32_e32 v179, v3, v12
	s_delay_alu instid0(VALU_DEP_2) | instskip(NEXT) | instid1(VALU_DEP_2)
	v_fmac_f32_e32 v177, v2, v9
	v_dual_mul_f32 v2, v2, v10 :: v_dual_fmac_f32 v179, v4, v11
	s_delay_alu instid0(VALU_DEP_1) | instskip(SKIP_1) | instid1(VALU_DEP_1)
	v_fma_f32 v178, v1, v9, -v2
	v_mul_f32_e32 v1, v4, v12
	;; [unrolled: 25-line block ×5, first 2 shown]
	v_fma_f32 v204, v3, v11, -v1
	s_clause 0x1
	scratch_load_b128 v[1:4], off, off offset:368
	scratch_load_b128 v[9:12], off, off offset:384
	s_wait_loadcnt_dscnt 0x100
	v_mul_f32_e32 v205, v5, v2
	v_dual_mul_f32 v2, v6, v2 :: v_dual_mul_f32 v207, v7, v4
	s_delay_alu instid0(VALU_DEP_1) | instskip(NEXT) | instid1(VALU_DEP_2)
	v_fma_f32 v206, v5, v1, -v2
	v_fmac_f32_e32 v207, v8, v3
	s_delay_alu instid0(VALU_DEP_4) | instskip(SKIP_1) | instid1(VALU_DEP_1)
	v_fmac_f32_e32 v205, v6, v1
	v_mul_f32_e32 v1, v8, v4
	v_fma_f32 v208, v7, v3, -v1
	ds_load_b128 v[1:4], v21 offset:864
	ds_load_b128 v[5:8], v21 offset:880
	s_wait_loadcnt_dscnt 0x1
	v_mul_f32_e32 v209, v1, v10
	v_mul_f32_e32 v211, v3, v12
	s_delay_alu instid0(VALU_DEP_1) | instskip(NEXT) | instid1(VALU_DEP_3)
	v_fmac_f32_e32 v211, v4, v11
	v_fmac_f32_e32 v209, v2, v9
	v_mul_f32_e32 v2, v2, v10
	s_delay_alu instid0(VALU_DEP_1) | instskip(SKIP_1) | instid1(VALU_DEP_1)
	v_fma_f32 v210, v1, v9, -v2
	v_mul_f32_e32 v1, v4, v12
	v_fma_f32 v212, v3, v11, -v1
	s_clause 0x1
	scratch_load_b128 v[1:4], off, off offset:400
	scratch_load_b128 v[9:12], off, off offset:416
	s_wait_loadcnt_dscnt 0x100
	v_mul_f32_e32 v213, v5, v2
	v_mul_f32_e32 v2, v6, v2
	s_delay_alu instid0(VALU_DEP_2) | instskip(NEXT) | instid1(VALU_DEP_2)
	v_fmac_f32_e32 v213, v6, v1
	v_fma_f32 v214, v5, v1, -v2
	v_dual_add_f32 v2, 0, v153 :: v_dual_mul_f32 v1, v8, v4
	s_delay_alu instid0(VALU_DEP_1) | instskip(NEXT) | instid1(VALU_DEP_2)
	v_add_f32_e32 v2, v2, v154
	v_fma_f32 v216, v7, v3, -v1
	s_delay_alu instid0(VALU_DEP_2) | instskip(NEXT) | instid1(VALU_DEP_1)
	v_add_f32_e32 v2, v2, v24
	v_add_f32_e32 v2, v2, v25
	s_delay_alu instid0(VALU_DEP_1) | instskip(NEXT) | instid1(VALU_DEP_1)
	v_add_f32_e32 v2, v2, v32
	v_dual_add_f32 v2, v2, v160 :: v_dual_add_f32 v1, 0, v22
	s_delay_alu instid0(VALU_DEP_1) | instskip(NEXT) | instid1(VALU_DEP_1)
	v_dual_add_f32 v2, v2, v156 :: v_dual_add_f32 v1, v1, v23
	v_dual_add_f32 v2, v2, v157 :: v_dual_add_f32 v1, v1, v26
	s_delay_alu instid0(VALU_DEP_1) | instskip(NEXT) | instid1(VALU_DEP_1)
	v_add_f32_e32 v2, v2, v15
	v_dual_add_f32 v1, v1, v27 :: v_dual_add_f32 v2, v2, v18
	s_delay_alu instid0(VALU_DEP_1) | instskip(NEXT) | instid1(VALU_DEP_1)
	v_dual_add_f32 v1, v1, v28 :: v_dual_add_f32 v2, v2, v19
	v_dual_add_f32 v1, v1, v29 :: v_dual_add_f32 v2, v2, v20
	s_delay_alu instid0(VALU_DEP_1) | instskip(NEXT) | instid1(VALU_DEP_1)
	v_add_f32_e32 v1, v1, v13
	v_dual_add_f32 v2, v2, v161 :: v_dual_add_f32 v1, v1, v14
	s_delay_alu instid0(VALU_DEP_1) | instskip(NEXT) | instid1(VALU_DEP_1)
	v_dual_add_f32 v2, v2, v162 :: v_dual_add_f32 v1, v1, v16
	v_add_f32_e32 v2, v2, v165
	s_delay_alu instid0(VALU_DEP_1) | instskip(NEXT) | instid1(VALU_DEP_1)
	v_dual_add_f32 v1, v1, v17 :: v_dual_add_f32 v2, v2, v167
	v_dual_add_f32 v1, v1, v158 :: v_dual_add_f32 v2, v2, v169
	s_delay_alu instid0(VALU_DEP_1) | instskip(NEXT) | instid1(VALU_DEP_2)
	v_add_f32_e32 v1, v1, v159
	v_add_f32_e32 v2, v2, v171
	s_delay_alu instid0(VALU_DEP_1) | instskip(NEXT) | instid1(VALU_DEP_1)
	v_dual_add_f32 v1, v1, v163 :: v_dual_add_f32 v2, v2, v173
	v_dual_add_f32 v1, v1, v164 :: v_dual_add_f32 v2, v2, v175
	s_delay_alu instid0(VALU_DEP_1) | instskip(NEXT) | instid1(VALU_DEP_1)
	v_dual_add_f32 v1, v1, v166 :: v_dual_add_f32 v2, v2, v177
	v_dual_add_f32 v1, v1, v168 :: v_dual_add_f32 v2, v2, v179
	s_delay_alu instid0(VALU_DEP_1) | instskip(NEXT) | instid1(VALU_DEP_1)
	v_add_f32_e32 v1, v1, v170
	v_add_f32_e32 v1, v1, v172
	s_delay_alu instid0(VALU_DEP_1) | instskip(NEXT) | instid1(VALU_DEP_1)
	v_add_f32_e32 v1, v1, v174
	v_add_f32_e32 v1, v1, v176
	;; [unrolled: 3-line block ×5, first 2 shown]
	v_dual_add_f32 v2, v2, v181 :: v_dual_mul_f32 v215, v7, v4
	s_delay_alu instid0(VALU_DEP_2) | instskip(NEXT) | instid1(VALU_DEP_2)
	v_add_f32_e32 v6, v6, v190
	v_add_f32_e32 v2, v2, v183
	s_delay_alu instid0(VALU_DEP_2) | instskip(NEXT) | instid1(VALU_DEP_2)
	v_add_f32_e32 v13, v6, v192
	v_add_f32_e32 v5, v2, v185
	s_delay_alu instid0(VALU_DEP_2) | instskip(NEXT) | instid1(VALU_DEP_2)
	v_add_f32_e32 v13, v13, v194
	v_add_f32_e32 v5, v5, v187
	s_delay_alu instid0(VALU_DEP_2) | instskip(NEXT) | instid1(VALU_DEP_2)
	v_add_f32_e32 v13, v13, v196
	v_add_f32_e32 v5, v5, v189
	s_delay_alu instid0(VALU_DEP_2) | instskip(NEXT) | instid1(VALU_DEP_2)
	v_add_f32_e32 v13, v13, v198
	v_add_f32_e32 v14, v5, v191
	v_fmac_f32_e32 v215, v8, v3
	ds_load_b128 v[1:4], v21 offset:896
	ds_load_b128 v[5:8], v21 offset:912
	v_add_f32_e32 v18, v13, v200
	s_delay_alu instid0(VALU_DEP_1) | instskip(NEXT) | instid1(VALU_DEP_1)
	v_add_f32_e32 v18, v18, v202
	v_add_f32_e32 v18, v18, v204
	s_delay_alu instid0(VALU_DEP_1)
	v_add_f32_e32 v22, v18, v206
	s_wait_loadcnt_dscnt 0x1
	v_dual_mul_f32 v25, v1, v10 :: v_dual_mul_f32 v26, v3, v12
	v_mul_f32_e32 v10, v2, v10
	v_mul_f32_e32 v12, v4, v12
	v_add_f32_e32 v14, v14, v193
	s_delay_alu instid0(VALU_DEP_4) | instskip(NEXT) | instid1(VALU_DEP_4)
	v_dual_fmac_f32 v25, v2, v9 :: v_dual_fmac_f32 v26, v4, v11
	v_fma_f32 v27, v1, v9, -v10
	s_delay_alu instid0(VALU_DEP_4) | instskip(SKIP_4) | instid1(VALU_DEP_1)
	v_fma_f32 v28, v3, v11, -v12
	s_clause 0x1
	scratch_load_b128 v[1:4], off, off offset:432
	scratch_load_b128 v[9:12], off, off offset:448
	v_add_f32_e32 v14, v14, v195
	v_add_f32_e32 v17, v14, v197
	scratch_load_b128 v[13:16], off, off offset:464
	v_add_f32_e32 v17, v17, v199
	s_delay_alu instid0(VALU_DEP_1) | instskip(NEXT) | instid1(VALU_DEP_1)
	v_add_f32_e32 v17, v17, v201
	v_add_f32_e32 v17, v17, v203
	s_delay_alu instid0(VALU_DEP_1) | instskip(SKIP_2) | instid1(VALU_DEP_1)
	v_add_f32_e32 v23, v17, v205
	ds_load_b128 v[17:20], v21 offset:928
	v_add_f32_e32 v32, v23, v207
	v_add_f32_e32 v32, v32, v209
	s_delay_alu instid0(VALU_DEP_1) | instskip(SKIP_2) | instid1(VALU_DEP_2)
	v_add_f32_e32 v32, v32, v211
	s_wait_loadcnt_dscnt 0x201
	v_mul_f32_e32 v154, v7, v4
	v_dual_add_f32 v32, v32, v213 :: v_dual_mul_f32 v153, v5, v2
	v_mul_f32_e32 v2, v6, v2
	v_mul_f32_e32 v4, v8, v4
	s_wait_loadcnt_dscnt 0x100
	v_mul_f32_e32 v156, v17, v10
	v_dual_add_f32 v32, v32, v215 :: v_dual_fmac_f32 v153, v6, v1
	v_fma_f32 v2, v5, v1, -v2
	v_mul_f32_e32 v6, v18, v10
	v_fmac_f32_e32 v154, v8, v3
	s_delay_alu instid0(VALU_DEP_4) | instskip(SKIP_3) | instid1(VALU_DEP_4)
	v_add_f32_e32 v25, v32, v25
	v_fma_f32 v3, v7, v3, -v4
	v_mul_f32_e32 v157, v19, v12
	v_mul_f32_e32 v4, v20, v12
	v_dual_fmac_f32 v156, v18, v9 :: v_dual_add_f32 v5, v25, v26
	v_add_f32_e32 v29, v22, v208
	ds_load_b128 v[21:24], v21 offset:944
	v_fmac_f32_e32 v157, v20, v11
	v_fma_f32 v4, v19, v11, -v4
	v_add_f32_e32 v29, v29, v210
	s_delay_alu instid0(VALU_DEP_1) | instskip(NEXT) | instid1(VALU_DEP_1)
	v_add_f32_e32 v29, v29, v212
	v_add_f32_e32 v29, v29, v214
	s_delay_alu instid0(VALU_DEP_1) | instskip(SKIP_2) | instid1(VALU_DEP_2)
	v_add_f32_e32 v29, v29, v216
	s_wait_loadcnt_dscnt 0x0
	v_mul_f32_e32 v158, v21, v14
	v_add_f32_e32 v27, v29, v27
	s_delay_alu instid0(VALU_DEP_2) | instskip(NEXT) | instid1(VALU_DEP_2)
	v_dual_mul_f32 v29, v23, v16 :: v_dual_fmac_f32 v158, v22, v13
	v_add_f32_e32 v1, v27, v28
	s_delay_alu instid0(VALU_DEP_2) | instskip(NEXT) | instid1(VALU_DEP_2)
	v_fmac_f32_e32 v29, v24, v15
	v_add_f32_e32 v1, v1, v2
	v_add_f32_e32 v2, v5, v153
	v_fma_f32 v5, v17, v9, -v6
	s_delay_alu instid0(VALU_DEP_2) | instskip(SKIP_1) | instid1(VALU_DEP_2)
	v_dual_add_f32 v1, v1, v3 :: v_dual_add_f32 v2, v2, v154
	v_mul_f32_e32 v3, v22, v14
	v_dual_add_f32 v1, v1, v5 :: v_dual_add_f32 v2, v2, v156
	v_mul_f32_e32 v5, v24, v16
	s_delay_alu instid0(VALU_DEP_3) | instskip(NEXT) | instid1(VALU_DEP_3)
	v_fma_f32 v3, v21, v13, -v3
	v_dual_add_f32 v1, v1, v4 :: v_dual_add_f32 v2, v2, v157
	s_delay_alu instid0(VALU_DEP_3) | instskip(NEXT) | instid1(VALU_DEP_2)
	v_fma_f32 v4, v23, v15, -v5
	v_dual_add_f32 v1, v1, v3 :: v_dual_add_f32 v2, v2, v158
	s_delay_alu instid0(VALU_DEP_1) | instskip(NEXT) | instid1(VALU_DEP_1)
	v_dual_add_f32 v1, v1, v4 :: v_dual_add_f32 v2, v2, v29
	v_dual_sub_f32 v1, v30, v1 :: v_dual_sub_f32 v2, v31, v2
	scratch_store_b64 off, v[1:2], off offset:88
	v_cmpx_lt_u32_e32 10, v0
	s_cbranch_execz .LBB123_353
; %bb.352:
	scratch_load_b64 v[1:2], off, off offset:80
	v_mov_b32_e32 v3, 0
	s_delay_alu instid0(VALU_DEP_1)
	v_mov_b32_e32 v4, v3
	scratch_store_b64 off, v[3:4], off offset:80
	s_wait_loadcnt 0x0
	ds_store_b64 v155, v[1:2]
.LBB123_353:
	s_wait_alu 0xfffe
	s_or_b32 exec_lo, exec_lo, s0
	s_wait_storecnt_dscnt 0x0
	s_barrier_signal -1
	s_barrier_wait -1
	global_inv scope:SCOPE_SE
	s_clause 0x4
	scratch_load_b128 v[5:8], off, off offset:88
	scratch_load_b128 v[1:4], off, off offset:104
	;; [unrolled: 1-line block ×5, first 2 shown]
	v_mov_b32_e32 v25, 0
	ds_load_2addr_b64 v[21:24], v25 offset0:71 offset1:72
	ds_load_2addr_b64 v[26:29], v25 offset0:73 offset1:74
	;; [unrolled: 1-line block ×3, first 2 shown]
	scratch_load_b64 v[30:31], off, off offset:80
	s_mov_b32 s0, exec_lo
	s_wait_loadcnt_dscnt 0x502
	v_mul_f32_e32 v32, v22, v6
	v_dual_mul_f32 v153, v21, v6 :: v_dual_mul_f32 v154, v23, v8
	v_mul_f32_e32 v6, v24, v8
	s_wait_loadcnt_dscnt 0x300
	v_mul_f32_e32 v160, v158, v12
	v_fma_f32 v21, v21, v5, -v32
	v_dual_fmac_f32 v153, v22, v5 :: v_dual_fmac_f32 v154, v24, v7
	v_fma_f32 v22, v23, v7, -v6
	ds_load_2addr_b64 v[5:8], v25 offset0:77 offset1:78
	v_dual_mul_f32 v23, v26, v2 :: v_dual_mul_f32 v24, v28, v4
	v_mul_f32_e32 v4, v29, v4
	v_mul_f32_e32 v32, v156, v10
	;; [unrolled: 1-line block ×5, first 2 shown]
	v_dual_fmac_f32 v23, v27, v1 :: v_dual_fmac_f32 v24, v29, v3
	v_fma_f32 v27, v28, v3, -v4
	v_fmac_f32_e32 v32, v157, v9
	v_fma_f32 v28, v156, v9, -v10
	v_fmac_f32_e32 v160, v159, v11
	v_fma_f32 v29, v158, v11, -v12
	ds_load_2addr_b64 v[9:12], v25 offset0:79 offset1:80
	s_wait_loadcnt_dscnt 0x201
	v_dual_mul_f32 v157, v7, v16 :: v_dual_mul_f32 v156, v5, v14
	v_mul_f32_e32 v14, v6, v14
	v_mul_f32_e32 v16, v8, v16
	s_delay_alu instid0(VALU_DEP_3)
	v_fmac_f32_e32 v157, v8, v15
	v_fma_f32 v26, v26, v1, -v2
	scratch_load_b128 v[1:4], off, off offset:168
	v_fmac_f32_e32 v156, v6, v13
	v_fma_f32 v13, v5, v13, -v14
	v_fma_f32 v14, v7, v15, -v16
	ds_load_2addr_b64 v[5:8], v25 offset0:81 offset1:82
	s_wait_loadcnt_dscnt 0x201
	v_mul_f32_e32 v15, v9, v18
	v_mul_f32_e32 v16, v10, v18
	;; [unrolled: 1-line block ×3, first 2 shown]
	s_delay_alu instid0(VALU_DEP_3) | instskip(NEXT) | instid1(VALU_DEP_3)
	v_dual_mul_f32 v20, v12, v20 :: v_dual_fmac_f32 v15, v10, v17
	v_fma_f32 v16, v9, v17, -v16
	s_delay_alu instid0(VALU_DEP_3) | instskip(NEXT) | instid1(VALU_DEP_3)
	v_fmac_f32_e32 v18, v12, v19
	v_fma_f32 v17, v11, v19, -v20
	scratch_load_b128 v[9:12], off, off offset:184
	s_wait_loadcnt_dscnt 0x100
	v_mul_f32_e32 v19, v5, v2
	v_mul_f32_e32 v2, v6, v2
	v_mul_f32_e32 v20, v7, v4
	s_delay_alu instid0(VALU_DEP_3) | instskip(NEXT) | instid1(VALU_DEP_3)
	v_dual_mul_f32 v4, v8, v4 :: v_dual_fmac_f32 v19, v6, v1
	v_fma_f32 v158, v5, v1, -v2
	s_delay_alu instid0(VALU_DEP_3) | instskip(NEXT) | instid1(VALU_DEP_3)
	v_fmac_f32_e32 v20, v8, v3
	v_fma_f32 v159, v7, v3, -v4
	ds_load_2addr_b64 v[1:4], v25 offset0:83 offset1:84
	ds_load_2addr_b64 v[5:8], v25 offset0:85 offset1:86
	s_wait_loadcnt_dscnt 0x1
	v_mul_f32_e32 v161, v1, v10
	v_mul_f32_e32 v10, v2, v10
	s_delay_alu instid0(VALU_DEP_2) | instskip(NEXT) | instid1(VALU_DEP_2)
	v_dual_mul_f32 v162, v3, v12 :: v_dual_fmac_f32 v161, v2, v9
	v_fma_f32 v163, v1, v9, -v10
	v_mul_f32_e32 v1, v4, v12
	s_delay_alu instid0(VALU_DEP_3) | instskip(NEXT) | instid1(VALU_DEP_2)
	v_fmac_f32_e32 v162, v4, v11
	v_fma_f32 v164, v3, v11, -v1
	s_clause 0x1
	scratch_load_b128 v[1:4], off, off offset:200
	scratch_load_b128 v[9:12], off, off offset:216
	s_wait_loadcnt_dscnt 0x100
	v_mul_f32_e32 v165, v5, v2
	v_dual_mul_f32 v2, v6, v2 :: v_dual_mul_f32 v167, v7, v4
	s_delay_alu instid0(VALU_DEP_2) | instskip(NEXT) | instid1(VALU_DEP_2)
	v_fmac_f32_e32 v165, v6, v1
	v_fma_f32 v166, v5, v1, -v2
	v_mul_f32_e32 v1, v8, v4
	s_delay_alu instid0(VALU_DEP_4) | instskip(NEXT) | instid1(VALU_DEP_2)
	v_fmac_f32_e32 v167, v8, v3
	v_fma_f32 v168, v7, v3, -v1
	ds_load_2addr_b64 v[1:4], v25 offset0:87 offset1:88
	ds_load_2addr_b64 v[5:8], v25 offset0:89 offset1:90
	s_wait_loadcnt_dscnt 0x1
	v_mul_f32_e32 v169, v1, v10
	v_mul_f32_e32 v171, v3, v12
	s_delay_alu instid0(VALU_DEP_2) | instskip(NEXT) | instid1(VALU_DEP_2)
	v_fmac_f32_e32 v169, v2, v9
	v_dual_mul_f32 v2, v2, v10 :: v_dual_fmac_f32 v171, v4, v11
	s_delay_alu instid0(VALU_DEP_1) | instskip(SKIP_1) | instid1(VALU_DEP_1)
	v_fma_f32 v170, v1, v9, -v2
	v_mul_f32_e32 v1, v4, v12
	v_fma_f32 v172, v3, v11, -v1
	s_clause 0x1
	scratch_load_b128 v[1:4], off, off offset:232
	scratch_load_b128 v[9:12], off, off offset:248
	s_wait_loadcnt_dscnt 0x100
	v_mul_f32_e32 v173, v5, v2
	v_dual_mul_f32 v2, v6, v2 :: v_dual_mul_f32 v175, v7, v4
	s_delay_alu instid0(VALU_DEP_2) | instskip(NEXT) | instid1(VALU_DEP_2)
	v_fmac_f32_e32 v173, v6, v1
	v_fma_f32 v174, v5, v1, -v2
	v_mul_f32_e32 v1, v8, v4
	s_delay_alu instid0(VALU_DEP_4) | instskip(NEXT) | instid1(VALU_DEP_2)
	v_fmac_f32_e32 v175, v8, v3
	v_fma_f32 v176, v7, v3, -v1
	ds_load_2addr_b64 v[1:4], v25 offset0:91 offset1:92
	ds_load_2addr_b64 v[5:8], v25 offset0:93 offset1:94
	s_wait_loadcnt_dscnt 0x1
	v_mul_f32_e32 v177, v1, v10
	v_mul_f32_e32 v179, v3, v12
	s_delay_alu instid0(VALU_DEP_2) | instskip(NEXT) | instid1(VALU_DEP_2)
	v_fmac_f32_e32 v177, v2, v9
	v_dual_mul_f32 v2, v2, v10 :: v_dual_fmac_f32 v179, v4, v11
	s_delay_alu instid0(VALU_DEP_1) | instskip(SKIP_1) | instid1(VALU_DEP_1)
	v_fma_f32 v178, v1, v9, -v2
	v_mul_f32_e32 v1, v4, v12
	;; [unrolled: 25-line block ×6, first 2 shown]
	v_fma_f32 v212, v3, v11, -v1
	s_clause 0x1
	scratch_load_b128 v[1:4], off, off offset:392
	scratch_load_b128 v[9:12], off, off offset:408
	s_wait_loadcnt_dscnt 0x100
	v_mul_f32_e32 v213, v5, v2
	v_mul_f32_e32 v2, v6, v2
	s_delay_alu instid0(VALU_DEP_2) | instskip(NEXT) | instid1(VALU_DEP_2)
	v_fmac_f32_e32 v213, v6, v1
	v_fma_f32 v214, v5, v1, -v2
	v_dual_add_f32 v2, 0, v153 :: v_dual_mul_f32 v1, v8, v4
	s_delay_alu instid0(VALU_DEP_1) | instskip(NEXT) | instid1(VALU_DEP_2)
	v_add_f32_e32 v2, v2, v154
	v_fma_f32 v216, v7, v3, -v1
	s_delay_alu instid0(VALU_DEP_2) | instskip(NEXT) | instid1(VALU_DEP_1)
	v_add_f32_e32 v2, v2, v23
	v_add_f32_e32 v2, v2, v24
	s_delay_alu instid0(VALU_DEP_1) | instskip(NEXT) | instid1(VALU_DEP_1)
	v_add_f32_e32 v2, v2, v32
	v_dual_add_f32 v2, v2, v160 :: v_dual_add_f32 v1, 0, v21
	s_delay_alu instid0(VALU_DEP_1) | instskip(NEXT) | instid1(VALU_DEP_1)
	v_dual_add_f32 v2, v2, v156 :: v_dual_add_f32 v1, v1, v22
	v_dual_add_f32 v2, v2, v157 :: v_dual_add_f32 v1, v1, v26
	s_delay_alu instid0(VALU_DEP_1) | instskip(NEXT) | instid1(VALU_DEP_2)
	v_add_f32_e32 v2, v2, v15
	v_add_f32_e32 v1, v1, v27
	scratch_load_b64 v[26:27], off, off offset:472
	v_dual_add_f32 v2, v2, v18 :: v_dual_add_f32 v1, v1, v28
	s_delay_alu instid0(VALU_DEP_1) | instskip(NEXT) | instid1(VALU_DEP_1)
	v_dual_add_f32 v2, v2, v19 :: v_dual_add_f32 v1, v1, v29
	v_dual_add_f32 v2, v2, v20 :: v_dual_add_f32 v1, v1, v13
	s_delay_alu instid0(VALU_DEP_1) | instskip(NEXT) | instid1(VALU_DEP_1)
	v_dual_add_f32 v2, v2, v161 :: v_dual_add_f32 v1, v1, v14
	v_dual_add_f32 v2, v2, v162 :: v_dual_add_f32 v1, v1, v16
	s_delay_alu instid0(VALU_DEP_1) | instskip(NEXT) | instid1(VALU_DEP_1)
	v_add_f32_e32 v2, v2, v165
	v_dual_add_f32 v1, v1, v17 :: v_dual_add_f32 v2, v2, v167
	s_delay_alu instid0(VALU_DEP_1) | instskip(NEXT) | instid1(VALU_DEP_1)
	v_dual_add_f32 v1, v1, v158 :: v_dual_add_f32 v2, v2, v169
	v_add_f32_e32 v1, v1, v159
	s_delay_alu instid0(VALU_DEP_2) | instskip(NEXT) | instid1(VALU_DEP_1)
	v_add_f32_e32 v2, v2, v171
	v_dual_add_f32 v1, v1, v163 :: v_dual_add_f32 v2, v2, v173
	s_delay_alu instid0(VALU_DEP_1) | instskip(NEXT) | instid1(VALU_DEP_1)
	v_dual_add_f32 v1, v1, v164 :: v_dual_add_f32 v2, v2, v175
	v_add_f32_e32 v1, v1, v166
	s_delay_alu instid0(VALU_DEP_1) | instskip(NEXT) | instid1(VALU_DEP_1)
	v_add_f32_e32 v1, v1, v168
	v_add_f32_e32 v1, v1, v170
	s_delay_alu instid0(VALU_DEP_1) | instskip(NEXT) | instid1(VALU_DEP_1)
	v_add_f32_e32 v1, v1, v172
	;; [unrolled: 3-line block ×5, first 2 shown]
	v_add_f32_e32 v1, v1, v186
	s_delay_alu instid0(VALU_DEP_1) | instskip(SKIP_1) | instid1(VALU_DEP_2)
	v_add_f32_e32 v6, v1, v188
	v_dual_add_f32 v2, v2, v177 :: v_dual_mul_f32 v215, v7, v4
	v_add_f32_e32 v6, v6, v190
	s_delay_alu instid0(VALU_DEP_2) | instskip(NEXT) | instid1(VALU_DEP_3)
	v_add_f32_e32 v2, v2, v179
	v_fmac_f32_e32 v215, v8, v3
	s_delay_alu instid0(VALU_DEP_3) | instskip(NEXT) | instid1(VALU_DEP_1)
	v_add_f32_e32 v13, v6, v192
	v_dual_add_f32 v2, v2, v181 :: v_dual_add_f32 v13, v13, v194
	s_delay_alu instid0(VALU_DEP_1) | instskip(NEXT) | instid1(VALU_DEP_1)
	v_dual_add_f32 v2, v2, v183 :: v_dual_add_f32 v13, v13, v196
	v_add_f32_e32 v5, v2, v185
	ds_load_2addr_b64 v[1:4], v25 offset0:111 offset1:112
	v_add_f32_e32 v13, v13, v198
	v_add_f32_e32 v5, v5, v187
	s_delay_alu instid0(VALU_DEP_2) | instskip(NEXT) | instid1(VALU_DEP_1)
	v_add_f32_e32 v18, v13, v200
	v_dual_add_f32 v5, v5, v189 :: v_dual_add_f32 v18, v18, v202
	s_delay_alu instid0(VALU_DEP_1)
	v_add_f32_e32 v14, v5, v191
	ds_load_2addr_b64 v[5:8], v25 offset0:113 offset1:114
	v_add_f32_e32 v18, v18, v204
	v_add_f32_e32 v14, v14, v193
	s_wait_loadcnt_dscnt 0x101
	v_mul_f32_e32 v32, v1, v10
	v_dual_mul_f32 v10, v2, v10 :: v_dual_mul_f32 v153, v3, v12
	v_mul_f32_e32 v12, v4, v12
	v_add_f32_e32 v14, v14, v195
	s_delay_alu instid0(VALU_DEP_4) | instskip(NEXT) | instid1(VALU_DEP_4)
	v_fmac_f32_e32 v32, v2, v9
	v_fma_f32 v154, v1, v9, -v10
	v_fmac_f32_e32 v153, v4, v11
	v_fma_f32 v156, v3, v11, -v12
	s_clause 0x1
	scratch_load_b128 v[1:4], off, off offset:424
	scratch_load_b128 v[9:12], off, off offset:440
	v_add_f32_e32 v17, v14, v197
	scratch_load_b128 v[13:16], off, off offset:456
	v_dual_add_f32 v18, v18, v206 :: v_dual_add_f32 v17, v17, v199
	s_delay_alu instid0(VALU_DEP_1) | instskip(NEXT) | instid1(VALU_DEP_1)
	v_add_f32_e32 v18, v18, v208
	v_add_f32_e32 v28, v18, v210
	s_delay_alu instid0(VALU_DEP_1) | instskip(NEXT) | instid1(VALU_DEP_1)
	v_add_f32_e32 v157, v28, v212
	v_add_f32_e32 v157, v157, v214
	s_delay_alu instid0(VALU_DEP_1) | instskip(NEXT) | instid1(VALU_DEP_1)
	v_add_f32_e32 v157, v157, v216
	v_add_f32_e32 v154, v157, v154
	s_delay_alu instid0(VALU_DEP_1) | instskip(SKIP_4) | instid1(VALU_DEP_3)
	v_add_f32_e32 v154, v154, v156
	s_wait_loadcnt_dscnt 0x200
	v_dual_mul_f32 v160, v7, v4 :: v_dual_add_f32 v17, v17, v201
	v_dual_mul_f32 v4, v8, v4 :: v_dual_mul_f32 v159, v5, v2
	v_mul_f32_e32 v2, v6, v2
	v_fmac_f32_e32 v160, v8, v3
	s_delay_alu instid0(VALU_DEP_4) | instskip(NEXT) | instid1(VALU_DEP_4)
	v_add_f32_e32 v17, v17, v203
	v_fmac_f32_e32 v159, v6, v1
	s_delay_alu instid0(VALU_DEP_4) | instskip(SKIP_1) | instid1(VALU_DEP_2)
	v_fma_f32 v2, v5, v1, -v2
	v_fma_f32 v1, v7, v3, -v4
	v_dual_add_f32 v17, v17, v205 :: v_dual_add_f32 v2, v154, v2
	s_delay_alu instid0(VALU_DEP_1)
	v_add_f32_e32 v21, v17, v207
	ds_load_2addr_b64 v[17:20], v25 offset0:115 offset1:116
	v_add_f32_e32 v1, v2, v1
	v_add_f32_e32 v29, v21, v209
	ds_load_2addr_b64 v[21:24], v25 offset0:117 offset1:118
	v_add_f32_e32 v158, v29, v211
	ds_load_b64 v[28:29], v25 offset:952
	v_add_f32_e32 v158, v158, v213
	s_wait_loadcnt_dscnt 0x102
	s_delay_alu instid0(VALU_DEP_1) | instskip(SKIP_2) | instid1(VALU_DEP_3)
	v_dual_add_f32 v158, v158, v215 :: v_dual_mul_f32 v157, v17, v10
	v_mul_f32_e32 v3, v18, v10
	v_mul_f32_e32 v5, v20, v12
	v_add_f32_e32 v32, v158, v32
	s_delay_alu instid0(VALU_DEP_4) | instskip(NEXT) | instid1(VALU_DEP_4)
	v_dual_mul_f32 v158, v19, v12 :: v_dual_fmac_f32 v157, v18, v9
	v_fma_f32 v3, v17, v9, -v3
	s_wait_loadcnt_dscnt 0x1
	s_delay_alu instid0(VALU_DEP_3) | instskip(NEXT) | instid1(VALU_DEP_3)
	v_dual_mul_f32 v161, v21, v14 :: v_dual_add_f32 v32, v32, v153
	v_fmac_f32_e32 v158, v20, v11
	v_fma_f32 v5, v19, v11, -v5
	v_dual_add_f32 v1, v1, v3 :: v_dual_mul_f32 v156, v23, v16
	s_delay_alu instid0(VALU_DEP_4) | instskip(SKIP_2) | instid1(VALU_DEP_4)
	v_add_f32_e32 v4, v32, v159
	v_mul_f32_e32 v3, v24, v16
	v_fmac_f32_e32 v161, v22, v13
	v_add_f32_e32 v1, v1, v5
	s_wait_dscnt 0x0
	v_mul_f32_e32 v153, v28, v27
	v_add_f32_e32 v2, v4, v160
	v_dual_mul_f32 v4, v22, v14 :: v_dual_mul_f32 v5, v29, v27
	v_fmac_f32_e32 v156, v24, v15
	v_fma_f32 v3, v23, v15, -v3
	s_delay_alu instid0(VALU_DEP_4) | instskip(NEXT) | instid1(VALU_DEP_4)
	v_add_f32_e32 v2, v2, v157
	v_fma_f32 v4, v21, v13, -v4
	v_fmac_f32_e32 v153, v29, v26
	s_delay_alu instid0(VALU_DEP_2) | instskip(SKIP_1) | instid1(VALU_DEP_2)
	v_dual_add_f32 v2, v2, v158 :: v_dual_add_f32 v1, v1, v4
	v_fma_f32 v4, v28, v26, -v5
	v_dual_add_f32 v2, v2, v161 :: v_dual_add_f32 v1, v1, v3
	s_delay_alu instid0(VALU_DEP_1) | instskip(NEXT) | instid1(VALU_DEP_1)
	v_add_f32_e32 v2, v2, v156
	v_dual_add_f32 v1, v1, v4 :: v_dual_add_f32 v2, v2, v153
	s_delay_alu instid0(VALU_DEP_1)
	v_dual_sub_f32 v1, v30, v1 :: v_dual_sub_f32 v2, v31, v2
	scratch_store_b64 off, v[1:2], off offset:80
	v_cmpx_lt_u32_e32 9, v0
	s_cbranch_execz .LBB123_355
; %bb.354:
	scratch_load_b64 v[1:2], off, off offset:72
	v_mov_b32_e32 v26, v25
	scratch_store_b64 off, v[25:26], off offset:72
	s_wait_loadcnt 0x0
	ds_store_b64 v155, v[1:2]
.LBB123_355:
	s_wait_alu 0xfffe
	s_or_b32 exec_lo, exec_lo, s0
	s_wait_storecnt_dscnt 0x0
	s_barrier_signal -1
	s_barrier_wait -1
	global_inv scope:SCOPE_SE
	s_clause 0x4
	scratch_load_b128 v[5:8], off, off offset:80
	scratch_load_b128 v[1:4], off, off offset:96
	;; [unrolled: 1-line block ×5, first 2 shown]
	ds_load_b128 v[21:24], v25 offset:560
	ds_load_b128 v[26:29], v25 offset:576
	ds_load_b128 v[156:159], v25 offset:592
	scratch_load_b64 v[30:31], off, off offset:72
	s_mov_b32 s0, exec_lo
	s_wait_loadcnt_dscnt 0x502
	v_dual_mul_f32 v32, v21, v6 :: v_dual_mul_f32 v153, v23, v8
	v_mul_f32_e32 v6, v22, v6
	v_mul_f32_e32 v8, v24, v8
	s_wait_loadcnt_dscnt 0x300
	v_mul_f32_e32 v154, v156, v10
	v_dual_fmac_f32 v32, v22, v5 :: v_dual_fmac_f32 v153, v24, v7
	v_fma_f32 v21, v21, v5, -v6
	v_fma_f32 v22, v23, v7, -v8
	ds_load_b128 v[5:8], v25 offset:608
	v_dual_mul_f32 v23, v26, v2 :: v_dual_mul_f32 v24, v28, v4
	v_mul_f32_e32 v4, v29, v4
	v_mul_f32_e32 v10, v157, v10
	v_mul_f32_e32 v160, v158, v12
	v_mul_f32_e32 v12, v159, v12
	v_mul_f32_e32 v2, v27, v2
	v_dual_fmac_f32 v23, v27, v1 :: v_dual_fmac_f32 v24, v29, v3
	v_fma_f32 v27, v28, v3, -v4
	v_fmac_f32_e32 v154, v157, v9
	v_fma_f32 v28, v156, v9, -v10
	v_fmac_f32_e32 v160, v159, v11
	v_fma_f32 v29, v158, v11, -v12
	ds_load_b128 v[9:12], v25 offset:624
	s_wait_loadcnt_dscnt 0x201
	v_dual_mul_f32 v157, v7, v16 :: v_dual_mul_f32 v156, v5, v14
	v_mul_f32_e32 v14, v6, v14
	v_mul_f32_e32 v16, v8, v16
	s_delay_alu instid0(VALU_DEP_3)
	v_fmac_f32_e32 v157, v8, v15
	v_fma_f32 v26, v26, v1, -v2
	scratch_load_b128 v[1:4], off, off offset:160
	v_fmac_f32_e32 v156, v6, v13
	v_fma_f32 v13, v5, v13, -v14
	v_fma_f32 v14, v7, v15, -v16
	ds_load_b128 v[5:8], v25 offset:640
	s_wait_loadcnt_dscnt 0x201
	v_mul_f32_e32 v15, v9, v18
	v_mul_f32_e32 v16, v10, v18
	;; [unrolled: 1-line block ×3, first 2 shown]
	s_delay_alu instid0(VALU_DEP_3) | instskip(NEXT) | instid1(VALU_DEP_3)
	v_dual_mul_f32 v20, v12, v20 :: v_dual_fmac_f32 v15, v10, v17
	v_fma_f32 v16, v9, v17, -v16
	s_delay_alu instid0(VALU_DEP_3) | instskip(NEXT) | instid1(VALU_DEP_3)
	v_fmac_f32_e32 v18, v12, v19
	v_fma_f32 v17, v11, v19, -v20
	scratch_load_b128 v[9:12], off, off offset:176
	s_wait_loadcnt_dscnt 0x100
	v_mul_f32_e32 v19, v5, v2
	v_mul_f32_e32 v2, v6, v2
	;; [unrolled: 1-line block ×3, first 2 shown]
	s_delay_alu instid0(VALU_DEP_3) | instskip(NEXT) | instid1(VALU_DEP_3)
	v_dual_mul_f32 v4, v8, v4 :: v_dual_fmac_f32 v19, v6, v1
	v_fma_f32 v158, v5, v1, -v2
	s_delay_alu instid0(VALU_DEP_3) | instskip(NEXT) | instid1(VALU_DEP_3)
	v_fmac_f32_e32 v20, v8, v3
	v_fma_f32 v159, v7, v3, -v4
	ds_load_b128 v[1:4], v25 offset:656
	ds_load_b128 v[5:8], v25 offset:672
	s_wait_loadcnt_dscnt 0x1
	v_mul_f32_e32 v161, v1, v10
	v_mul_f32_e32 v10, v2, v10
	s_delay_alu instid0(VALU_DEP_2) | instskip(NEXT) | instid1(VALU_DEP_2)
	v_dual_mul_f32 v162, v3, v12 :: v_dual_fmac_f32 v161, v2, v9
	v_fma_f32 v163, v1, v9, -v10
	v_mul_f32_e32 v1, v4, v12
	s_delay_alu instid0(VALU_DEP_3) | instskip(NEXT) | instid1(VALU_DEP_2)
	v_fmac_f32_e32 v162, v4, v11
	v_fma_f32 v164, v3, v11, -v1
	s_clause 0x1
	scratch_load_b128 v[1:4], off, off offset:192
	scratch_load_b128 v[9:12], off, off offset:208
	s_wait_loadcnt_dscnt 0x100
	v_mul_f32_e32 v165, v5, v2
	v_dual_mul_f32 v2, v6, v2 :: v_dual_mul_f32 v167, v7, v4
	s_delay_alu instid0(VALU_DEP_2) | instskip(NEXT) | instid1(VALU_DEP_2)
	v_fmac_f32_e32 v165, v6, v1
	v_fma_f32 v166, v5, v1, -v2
	v_mul_f32_e32 v1, v8, v4
	s_delay_alu instid0(VALU_DEP_4) | instskip(NEXT) | instid1(VALU_DEP_2)
	v_fmac_f32_e32 v167, v8, v3
	v_fma_f32 v168, v7, v3, -v1
	ds_load_b128 v[1:4], v25 offset:688
	ds_load_b128 v[5:8], v25 offset:704
	s_wait_loadcnt_dscnt 0x1
	v_mul_f32_e32 v169, v1, v10
	v_mul_f32_e32 v171, v3, v12
	s_delay_alu instid0(VALU_DEP_2) | instskip(NEXT) | instid1(VALU_DEP_2)
	v_fmac_f32_e32 v169, v2, v9
	v_dual_mul_f32 v2, v2, v10 :: v_dual_fmac_f32 v171, v4, v11
	s_delay_alu instid0(VALU_DEP_1) | instskip(SKIP_1) | instid1(VALU_DEP_1)
	v_fma_f32 v170, v1, v9, -v2
	v_mul_f32_e32 v1, v4, v12
	v_fma_f32 v172, v3, v11, -v1
	s_clause 0x1
	scratch_load_b128 v[1:4], off, off offset:224
	scratch_load_b128 v[9:12], off, off offset:240
	s_wait_loadcnt_dscnt 0x100
	v_mul_f32_e32 v173, v5, v2
	v_dual_mul_f32 v2, v6, v2 :: v_dual_mul_f32 v175, v7, v4
	s_delay_alu instid0(VALU_DEP_2) | instskip(NEXT) | instid1(VALU_DEP_2)
	v_fmac_f32_e32 v173, v6, v1
	v_fma_f32 v174, v5, v1, -v2
	v_mul_f32_e32 v1, v8, v4
	s_delay_alu instid0(VALU_DEP_4) | instskip(NEXT) | instid1(VALU_DEP_2)
	v_fmac_f32_e32 v175, v8, v3
	v_fma_f32 v176, v7, v3, -v1
	ds_load_b128 v[1:4], v25 offset:720
	ds_load_b128 v[5:8], v25 offset:736
	s_wait_loadcnt_dscnt 0x1
	v_mul_f32_e32 v177, v1, v10
	v_mul_f32_e32 v179, v3, v12
	s_delay_alu instid0(VALU_DEP_2) | instskip(NEXT) | instid1(VALU_DEP_2)
	v_fmac_f32_e32 v177, v2, v9
	v_dual_mul_f32 v2, v2, v10 :: v_dual_fmac_f32 v179, v4, v11
	s_delay_alu instid0(VALU_DEP_1) | instskip(SKIP_1) | instid1(VALU_DEP_1)
	v_fma_f32 v178, v1, v9, -v2
	v_mul_f32_e32 v1, v4, v12
	;; [unrolled: 25-line block ×6, first 2 shown]
	v_fma_f32 v212, v3, v11, -v1
	s_clause 0x1
	scratch_load_b128 v[1:4], off, off offset:384
	scratch_load_b128 v[9:12], off, off offset:400
	s_wait_loadcnt_dscnt 0x100
	v_mul_f32_e32 v213, v5, v2
	v_mul_f32_e32 v2, v6, v2
	s_delay_alu instid0(VALU_DEP_2) | instskip(NEXT) | instid1(VALU_DEP_2)
	v_fmac_f32_e32 v213, v6, v1
	v_fma_f32 v214, v5, v1, -v2
	v_add_f32_e32 v2, 0, v32
	s_delay_alu instid0(VALU_DEP_1) | instskip(NEXT) | instid1(VALU_DEP_1)
	v_dual_mul_f32 v1, v8, v4 :: v_dual_add_f32 v2, v2, v153
	v_fma_f32 v216, v7, v3, -v1
	s_delay_alu instid0(VALU_DEP_2) | instskip(NEXT) | instid1(VALU_DEP_1)
	v_dual_add_f32 v1, 0, v21 :: v_dual_add_f32 v2, v2, v23
	v_dual_add_f32 v1, v1, v22 :: v_dual_add_f32 v2, v2, v24
	s_delay_alu instid0(VALU_DEP_1) | instskip(NEXT) | instid1(VALU_DEP_1)
	v_add_f32_e32 v1, v1, v26
	v_dual_add_f32 v2, v2, v154 :: v_dual_add_f32 v1, v1, v27
	s_delay_alu instid0(VALU_DEP_1) | instskip(NEXT) | instid1(VALU_DEP_1)
	v_add_f32_e32 v2, v2, v160
	v_add_f32_e32 v2, v2, v156
	s_delay_alu instid0(VALU_DEP_1) | instskip(NEXT) | instid1(VALU_DEP_1)
	v_add_f32_e32 v2, v2, v157
	v_add_f32_e32 v2, v2, v15
	s_delay_alu instid0(VALU_DEP_1) | instskip(NEXT) | instid1(VALU_DEP_1)
	v_dual_add_f32 v2, v2, v18 :: v_dual_add_f32 v1, v1, v28
	v_dual_add_f32 v2, v2, v19 :: v_dual_add_f32 v1, v1, v29
	s_delay_alu instid0(VALU_DEP_1) | instskip(NEXT) | instid1(VALU_DEP_1)
	v_dual_add_f32 v2, v2, v20 :: v_dual_add_f32 v1, v1, v13
	v_dual_add_f32 v2, v2, v161 :: v_dual_add_f32 v1, v1, v14
	s_delay_alu instid0(VALU_DEP_1) | instskip(NEXT) | instid1(VALU_DEP_1)
	v_dual_add_f32 v2, v2, v162 :: v_dual_add_f32 v1, v1, v16
	v_add_f32_e32 v2, v2, v165
	s_delay_alu instid0(VALU_DEP_1) | instskip(NEXT) | instid1(VALU_DEP_1)
	v_dual_add_f32 v1, v1, v17 :: v_dual_add_f32 v2, v2, v167
	v_dual_add_f32 v1, v1, v158 :: v_dual_add_f32 v2, v2, v169
	s_delay_alu instid0(VALU_DEP_1) | instskip(NEXT) | instid1(VALU_DEP_2)
	v_add_f32_e32 v1, v1, v159
	v_add_f32_e32 v2, v2, v171
	s_delay_alu instid0(VALU_DEP_1) | instskip(NEXT) | instid1(VALU_DEP_1)
	v_dual_add_f32 v1, v1, v163 :: v_dual_add_f32 v2, v2, v173
	v_dual_add_f32 v1, v1, v164 :: v_dual_add_f32 v2, v2, v175
	s_delay_alu instid0(VALU_DEP_1) | instskip(NEXT) | instid1(VALU_DEP_1)
	v_dual_add_f32 v1, v1, v166 :: v_dual_add_f32 v2, v2, v177
	v_dual_add_f32 v1, v1, v168 :: v_dual_add_f32 v2, v2, v179
	s_delay_alu instid0(VALU_DEP_1) | instskip(NEXT) | instid1(VALU_DEP_1)
	v_add_f32_e32 v1, v1, v170
	v_add_f32_e32 v1, v1, v172
	s_delay_alu instid0(VALU_DEP_1) | instskip(NEXT) | instid1(VALU_DEP_1)
	v_add_f32_e32 v1, v1, v174
	v_add_f32_e32 v1, v1, v176
	;; [unrolled: 3-line block ×5, first 2 shown]
	s_delay_alu instid0(VALU_DEP_1) | instskip(SKIP_1) | instid1(VALU_DEP_2)
	v_add_f32_e32 v6, v1, v190
	v_add_f32_e32 v2, v2, v181
	;; [unrolled: 1-line block ×3, first 2 shown]
	s_delay_alu instid0(VALU_DEP_2) | instskip(NEXT) | instid1(VALU_DEP_2)
	v_dual_add_f32 v2, v2, v183 :: v_dual_mul_f32 v215, v7, v4
	v_add_f32_e32 v14, v14, v194
	s_delay_alu instid0(VALU_DEP_2) | instskip(NEXT) | instid1(VALU_DEP_2)
	v_dual_add_f32 v2, v2, v185 :: v_dual_fmac_f32 v215, v8, v3
	v_add_f32_e32 v17, v14, v196
	s_delay_alu instid0(VALU_DEP_2)
	v_add_f32_e32 v5, v2, v187
	ds_load_b128 v[1:4], v25 offset:880
	v_add_f32_e32 v17, v17, v198
	v_add_f32_e32 v13, v5, v189
	scratch_load_b128 v[5:8], off, off offset:416
	v_add_f32_e32 v17, v17, v200
	v_add_f32_e32 v13, v13, v191
	s_delay_alu instid0(VALU_DEP_2) | instskip(NEXT) | instid1(VALU_DEP_2)
	v_add_f32_e32 v17, v17, v202
	v_add_f32_e32 v13, v13, v193
	s_delay_alu instid0(VALU_DEP_2) | instskip(NEXT) | instid1(VALU_DEP_2)
	v_add_f32_e32 v22, v17, v204
	v_add_f32_e32 v18, v13, v195
	ds_load_b128 v[13:16], v25 offset:896
	s_wait_loadcnt_dscnt 0x101
	v_mul_f32_e32 v26, v1, v10
	v_dual_mul_f32 v10, v2, v10 :: v_dual_mul_f32 v27, v3, v12
	v_mul_f32_e32 v12, v4, v12
	v_add_f32_e32 v18, v18, v197
	s_delay_alu instid0(VALU_DEP_4) | instskip(NEXT) | instid1(VALU_DEP_4)
	v_fmac_f32_e32 v26, v2, v9
	v_fma_f32 v28, v1, v9, -v10
	v_fmac_f32_e32 v27, v4, v11
	v_fma_f32 v29, v3, v11, -v12
	s_clause 0x1
	scratch_load_b128 v[1:4], off, off offset:432
	scratch_load_b128 v[9:12], off, off offset:448
	v_add_f32_e32 v18, v18, v199
	v_add_f32_e32 v22, v22, v206
	s_delay_alu instid0(VALU_DEP_1) | instskip(SKIP_1) | instid1(VALU_DEP_3)
	v_add_f32_e32 v22, v22, v208
	s_wait_loadcnt_dscnt 0x200
	v_dual_mul_f32 v32, v13, v6 :: v_dual_add_f32 v21, v18, v201
	scratch_load_b128 v[17:20], off, off offset:464
	v_dual_mul_f32 v6, v14, v6 :: v_dual_mul_f32 v153, v15, v8
	v_dual_mul_f32 v8, v16, v8 :: v_dual_add_f32 v21, v21, v203
	v_fmac_f32_e32 v32, v14, v5
	s_delay_alu instid0(VALU_DEP_3) | instskip(NEXT) | instid1(VALU_DEP_4)
	v_fma_f32 v154, v13, v5, -v6
	v_fmac_f32_e32 v153, v16, v7
	s_delay_alu instid0(VALU_DEP_4) | instskip(SKIP_3) | instid1(VALU_DEP_1)
	v_fma_f32 v156, v15, v7, -v8
	v_add_f32_e32 v21, v21, v205
	ds_load_b128 v[5:8], v25 offset:912
	v_add_f32_e32 v13, v21, v207
	v_dual_add_f32 v21, v22, v210 :: v_dual_add_f32 v22, v13, v209
	s_delay_alu instid0(VALU_DEP_1)
	v_add_f32_e32 v157, v21, v212
	ds_load_b128 v[13:16], v25 offset:928
	v_add_f32_e32 v158, v22, v211
	ds_load_b128 v[21:24], v25 offset:944
	v_add_f32_e32 v25, v157, v214
	s_wait_loadcnt_dscnt 0x202
	v_dual_add_f32 v157, v158, v213 :: v_dual_mul_f32 v158, v5, v2
	s_delay_alu instid0(VALU_DEP_2) | instskip(NEXT) | instid1(VALU_DEP_2)
	v_dual_add_f32 v25, v25, v216 :: v_dual_mul_f32 v2, v6, v2
	v_dual_add_f32 v157, v157, v215 :: v_dual_fmac_f32 v158, v6, v1
	s_delay_alu instid0(VALU_DEP_2) | instskip(SKIP_2) | instid1(VALU_DEP_4)
	v_add_f32_e32 v25, v25, v28
	v_mul_f32_e32 v28, v7, v4
	v_mul_f32_e32 v4, v8, v4
	v_add_f32_e32 v26, v157, v26
	v_fma_f32 v2, v5, v1, -v2
	v_add_f32_e32 v25, v25, v29
	s_wait_loadcnt_dscnt 0x101
	v_mul_f32_e32 v157, v13, v10
	v_mul_f32_e32 v6, v14, v10
	v_add_f32_e32 v26, v26, v27
	v_dual_fmac_f32 v28, v8, v3 :: v_dual_add_f32 v25, v25, v154
	v_fma_f32 v3, v7, v3, -v4
	v_mul_f32_e32 v159, v15, v12
	s_delay_alu instid0(VALU_DEP_4)
	v_add_f32_e32 v26, v26, v32
	v_mul_f32_e32 v4, v16, v12
	v_add_f32_e32 v1, v25, v156
	v_fmac_f32_e32 v157, v14, v9
	v_fmac_f32_e32 v159, v16, v11
	v_add_f32_e32 v5, v26, v153
	v_fma_f32 v4, v15, v11, -v4
	v_add_f32_e32 v1, v1, v2
	s_delay_alu instid0(VALU_DEP_3) | instskip(SKIP_1) | instid1(VALU_DEP_2)
	v_add_f32_e32 v2, v5, v158
	v_fma_f32 v5, v13, v9, -v6
	v_dual_add_f32 v1, v1, v3 :: v_dual_add_f32 v2, v2, v28
	s_delay_alu instid0(VALU_DEP_1) | instskip(NEXT) | instid1(VALU_DEP_1)
	v_add_f32_e32 v1, v1, v5
	v_dual_add_f32 v2, v2, v157 :: v_dual_add_f32 v1, v1, v4
	s_wait_loadcnt_dscnt 0x0
	s_delay_alu instid0(VALU_DEP_1) | instskip(SKIP_3) | instid1(VALU_DEP_4)
	v_dual_add_f32 v2, v2, v159 :: v_dual_mul_f32 v27, v21, v18
	v_mul_f32_e32 v3, v22, v18
	v_mul_f32_e32 v29, v23, v20
	;; [unrolled: 1-line block ×3, first 2 shown]
	v_fmac_f32_e32 v27, v22, v17
	s_delay_alu instid0(VALU_DEP_4) | instskip(NEXT) | instid1(VALU_DEP_4)
	v_fma_f32 v3, v21, v17, -v3
	v_fmac_f32_e32 v29, v24, v19
	s_delay_alu instid0(VALU_DEP_4) | instskip(NEXT) | instid1(VALU_DEP_4)
	v_fma_f32 v4, v23, v19, -v5
	v_add_f32_e32 v2, v2, v27
	s_delay_alu instid0(VALU_DEP_1) | instskip(NEXT) | instid1(VALU_DEP_1)
	v_dual_add_f32 v1, v1, v3 :: v_dual_add_f32 v2, v2, v29
	v_dual_add_f32 v1, v1, v4 :: v_dual_sub_f32 v2, v31, v2
	s_delay_alu instid0(VALU_DEP_1)
	v_sub_f32_e32 v1, v30, v1
	scratch_store_b64 off, v[1:2], off offset:72
	v_cmpx_lt_u32_e32 8, v0
	s_cbranch_execz .LBB123_357
; %bb.356:
	scratch_load_b64 v[1:2], off, off offset:64
	v_mov_b32_e32 v3, 0
	s_delay_alu instid0(VALU_DEP_1)
	v_mov_b32_e32 v4, v3
	scratch_store_b64 off, v[3:4], off offset:64
	s_wait_loadcnt 0x0
	ds_store_b64 v155, v[1:2]
.LBB123_357:
	s_wait_alu 0xfffe
	s_or_b32 exec_lo, exec_lo, s0
	s_wait_storecnt_dscnt 0x0
	s_barrier_signal -1
	s_barrier_wait -1
	global_inv scope:SCOPE_SE
	s_clause 0x4
	scratch_load_b128 v[5:8], off, off offset:72
	scratch_load_b128 v[1:4], off, off offset:88
	;; [unrolled: 1-line block ×5, first 2 shown]
	v_mov_b32_e32 v25, 0
	ds_load_2addr_b64 v[21:24], v25 offset0:69 offset1:70
	ds_load_2addr_b64 v[26:29], v25 offset0:71 offset1:72
	;; [unrolled: 1-line block ×3, first 2 shown]
	scratch_load_b64 v[30:31], off, off offset:64
	s_mov_b32 s0, exec_lo
	s_wait_loadcnt_dscnt 0x502
	v_dual_mul_f32 v32, v21, v6 :: v_dual_mul_f32 v153, v23, v8
	v_mul_f32_e32 v6, v22, v6
	v_mul_f32_e32 v8, v24, v8
	s_wait_loadcnt_dscnt 0x300
	v_mul_f32_e32 v160, v158, v12
	v_dual_fmac_f32 v32, v22, v5 :: v_dual_fmac_f32 v153, v24, v7
	v_fma_f32 v21, v21, v5, -v6
	v_fma_f32 v22, v23, v7, -v8
	ds_load_2addr_b64 v[5:8], v25 offset0:75 offset1:76
	v_dual_mul_f32 v23, v26, v2 :: v_dual_mul_f32 v24, v28, v4
	v_mul_f32_e32 v4, v29, v4
	v_mul_f32_e32 v154, v156, v10
	;; [unrolled: 1-line block ×5, first 2 shown]
	v_dual_fmac_f32 v23, v27, v1 :: v_dual_fmac_f32 v24, v29, v3
	v_fma_f32 v27, v28, v3, -v4
	v_fmac_f32_e32 v154, v157, v9
	v_fma_f32 v28, v156, v9, -v10
	v_fmac_f32_e32 v160, v159, v11
	v_fma_f32 v29, v158, v11, -v12
	ds_load_2addr_b64 v[9:12], v25 offset0:77 offset1:78
	s_wait_loadcnt_dscnt 0x201
	v_dual_mul_f32 v157, v7, v16 :: v_dual_mul_f32 v156, v5, v14
	v_mul_f32_e32 v14, v6, v14
	v_mul_f32_e32 v16, v8, v16
	s_delay_alu instid0(VALU_DEP_3)
	v_fmac_f32_e32 v157, v8, v15
	v_fma_f32 v26, v26, v1, -v2
	scratch_load_b128 v[1:4], off, off offset:152
	v_fmac_f32_e32 v156, v6, v13
	v_fma_f32 v13, v5, v13, -v14
	v_fma_f32 v14, v7, v15, -v16
	ds_load_2addr_b64 v[5:8], v25 offset0:79 offset1:80
	s_wait_loadcnt_dscnt 0x201
	v_mul_f32_e32 v15, v9, v18
	v_mul_f32_e32 v16, v10, v18
	;; [unrolled: 1-line block ×3, first 2 shown]
	s_delay_alu instid0(VALU_DEP_3) | instskip(NEXT) | instid1(VALU_DEP_3)
	v_dual_mul_f32 v20, v12, v20 :: v_dual_fmac_f32 v15, v10, v17
	v_fma_f32 v16, v9, v17, -v16
	s_delay_alu instid0(VALU_DEP_3) | instskip(NEXT) | instid1(VALU_DEP_3)
	v_fmac_f32_e32 v18, v12, v19
	v_fma_f32 v17, v11, v19, -v20
	scratch_load_b128 v[9:12], off, off offset:168
	s_wait_loadcnt_dscnt 0x100
	v_mul_f32_e32 v19, v5, v2
	v_mul_f32_e32 v2, v6, v2
	;; [unrolled: 1-line block ×3, first 2 shown]
	s_delay_alu instid0(VALU_DEP_3) | instskip(NEXT) | instid1(VALU_DEP_3)
	v_dual_mul_f32 v4, v8, v4 :: v_dual_fmac_f32 v19, v6, v1
	v_fma_f32 v158, v5, v1, -v2
	s_delay_alu instid0(VALU_DEP_3) | instskip(NEXT) | instid1(VALU_DEP_3)
	v_fmac_f32_e32 v20, v8, v3
	v_fma_f32 v159, v7, v3, -v4
	ds_load_2addr_b64 v[1:4], v25 offset0:81 offset1:82
	ds_load_2addr_b64 v[5:8], v25 offset0:83 offset1:84
	s_wait_loadcnt_dscnt 0x1
	v_mul_f32_e32 v161, v1, v10
	v_mul_f32_e32 v10, v2, v10
	s_delay_alu instid0(VALU_DEP_2) | instskip(NEXT) | instid1(VALU_DEP_2)
	v_dual_mul_f32 v162, v3, v12 :: v_dual_fmac_f32 v161, v2, v9
	v_fma_f32 v163, v1, v9, -v10
	v_mul_f32_e32 v1, v4, v12
	s_delay_alu instid0(VALU_DEP_3) | instskip(NEXT) | instid1(VALU_DEP_2)
	v_fmac_f32_e32 v162, v4, v11
	v_fma_f32 v164, v3, v11, -v1
	s_clause 0x1
	scratch_load_b128 v[1:4], off, off offset:184
	scratch_load_b128 v[9:12], off, off offset:200
	s_wait_loadcnt_dscnt 0x100
	v_mul_f32_e32 v165, v5, v2
	v_dual_mul_f32 v2, v6, v2 :: v_dual_mul_f32 v167, v7, v4
	s_delay_alu instid0(VALU_DEP_2) | instskip(NEXT) | instid1(VALU_DEP_2)
	v_fmac_f32_e32 v165, v6, v1
	v_fma_f32 v166, v5, v1, -v2
	v_mul_f32_e32 v1, v8, v4
	s_delay_alu instid0(VALU_DEP_4) | instskip(NEXT) | instid1(VALU_DEP_2)
	v_fmac_f32_e32 v167, v8, v3
	v_fma_f32 v168, v7, v3, -v1
	ds_load_2addr_b64 v[1:4], v25 offset0:85 offset1:86
	ds_load_2addr_b64 v[5:8], v25 offset0:87 offset1:88
	s_wait_loadcnt_dscnt 0x1
	v_mul_f32_e32 v169, v1, v10
	v_mul_f32_e32 v171, v3, v12
	s_delay_alu instid0(VALU_DEP_2) | instskip(NEXT) | instid1(VALU_DEP_2)
	v_fmac_f32_e32 v169, v2, v9
	v_dual_mul_f32 v2, v2, v10 :: v_dual_fmac_f32 v171, v4, v11
	s_delay_alu instid0(VALU_DEP_1) | instskip(SKIP_1) | instid1(VALU_DEP_1)
	v_fma_f32 v170, v1, v9, -v2
	v_mul_f32_e32 v1, v4, v12
	v_fma_f32 v172, v3, v11, -v1
	s_clause 0x1
	scratch_load_b128 v[1:4], off, off offset:216
	scratch_load_b128 v[9:12], off, off offset:232
	s_wait_loadcnt_dscnt 0x100
	v_mul_f32_e32 v173, v5, v2
	v_dual_mul_f32 v2, v6, v2 :: v_dual_mul_f32 v175, v7, v4
	s_delay_alu instid0(VALU_DEP_2) | instskip(NEXT) | instid1(VALU_DEP_2)
	v_fmac_f32_e32 v173, v6, v1
	v_fma_f32 v174, v5, v1, -v2
	v_mul_f32_e32 v1, v8, v4
	s_delay_alu instid0(VALU_DEP_4) | instskip(NEXT) | instid1(VALU_DEP_2)
	v_fmac_f32_e32 v175, v8, v3
	v_fma_f32 v176, v7, v3, -v1
	ds_load_2addr_b64 v[1:4], v25 offset0:89 offset1:90
	ds_load_2addr_b64 v[5:8], v25 offset0:91 offset1:92
	s_wait_loadcnt_dscnt 0x1
	v_mul_f32_e32 v177, v1, v10
	v_mul_f32_e32 v179, v3, v12
	s_delay_alu instid0(VALU_DEP_2) | instskip(NEXT) | instid1(VALU_DEP_2)
	v_fmac_f32_e32 v177, v2, v9
	v_dual_mul_f32 v2, v2, v10 :: v_dual_fmac_f32 v179, v4, v11
	s_delay_alu instid0(VALU_DEP_1) | instskip(SKIP_1) | instid1(VALU_DEP_1)
	v_fma_f32 v178, v1, v9, -v2
	v_mul_f32_e32 v1, v4, v12
	;; [unrolled: 25-line block ×6, first 2 shown]
	v_fma_f32 v212, v3, v11, -v1
	s_clause 0x1
	scratch_load_b128 v[1:4], off, off offset:376
	scratch_load_b128 v[9:12], off, off offset:392
	s_wait_loadcnt_dscnt 0x100
	v_mul_f32_e32 v213, v5, v2
	v_dual_mul_f32 v2, v6, v2 :: v_dual_mul_f32 v215, v7, v4
	s_delay_alu instid0(VALU_DEP_1) | instskip(NEXT) | instid1(VALU_DEP_2)
	v_fma_f32 v214, v5, v1, -v2
	v_dual_add_f32 v2, 0, v32 :: v_dual_fmac_f32 v215, v8, v3
	s_delay_alu instid0(VALU_DEP_4) | instskip(NEXT) | instid1(VALU_DEP_2)
	v_fmac_f32_e32 v213, v6, v1
	v_dual_mul_f32 v1, v8, v4 :: v_dual_add_f32 v2, v2, v153
	s_delay_alu instid0(VALU_DEP_1) | instskip(NEXT) | instid1(VALU_DEP_2)
	v_fma_f32 v216, v7, v3, -v1
	v_add_f32_e32 v2, v2, v23
	s_delay_alu instid0(VALU_DEP_1) | instskip(NEXT) | instid1(VALU_DEP_1)
	v_add_f32_e32 v2, v2, v24
	v_add_f32_e32 v2, v2, v154
	s_delay_alu instid0(VALU_DEP_1) | instskip(NEXT) | instid1(VALU_DEP_1)
	v_add_f32_e32 v2, v2, v160
	v_add_f32_e32 v2, v2, v156
	s_delay_alu instid0(VALU_DEP_1) | instskip(NEXT) | instid1(VALU_DEP_1)
	v_add_f32_e32 v2, v2, v157
	v_add_f32_e32 v2, v2, v15
	s_delay_alu instid0(VALU_DEP_1) | instskip(NEXT) | instid1(VALU_DEP_1)
	v_add_f32_e32 v2, v2, v18
	v_add_f32_e32 v2, v2, v19
	s_delay_alu instid0(VALU_DEP_1) | instskip(NEXT) | instid1(VALU_DEP_1)
	v_dual_add_f32 v2, v2, v20 :: v_dual_add_f32 v1, 0, v21
	v_dual_add_f32 v2, v2, v161 :: v_dual_add_f32 v1, v1, v22
	s_delay_alu instid0(VALU_DEP_1) | instskip(NEXT) | instid1(VALU_DEP_1)
	v_add_f32_e32 v2, v2, v162
	v_dual_add_f32 v1, v1, v26 :: v_dual_add_f32 v2, v2, v165
	s_delay_alu instid0(VALU_DEP_1) | instskip(SKIP_2) | instid1(VALU_DEP_1)
	v_add_f32_e32 v1, v1, v27
	scratch_load_b64 v[26:27], off, off offset:472
	v_dual_add_f32 v2, v2, v167 :: v_dual_add_f32 v1, v1, v28
	v_add_f32_e32 v2, v2, v169
	s_delay_alu instid0(VALU_DEP_1) | instskip(NEXT) | instid1(VALU_DEP_1)
	v_dual_add_f32 v1, v1, v29 :: v_dual_add_f32 v2, v2, v171
	v_add_f32_e32 v1, v1, v13
	s_delay_alu instid0(VALU_DEP_1) | instskip(NEXT) | instid1(VALU_DEP_1)
	v_dual_add_f32 v2, v2, v173 :: v_dual_add_f32 v1, v1, v14
	v_dual_add_f32 v2, v2, v175 :: v_dual_add_f32 v1, v1, v16
	s_delay_alu instid0(VALU_DEP_1) | instskip(NEXT) | instid1(VALU_DEP_1)
	v_add_f32_e32 v2, v2, v177
	v_dual_add_f32 v1, v1, v17 :: v_dual_add_f32 v2, v2, v179
	s_delay_alu instid0(VALU_DEP_1) | instskip(NEXT) | instid1(VALU_DEP_1)
	v_add_f32_e32 v1, v1, v158
	v_add_f32_e32 v1, v1, v159
	s_delay_alu instid0(VALU_DEP_1) | instskip(NEXT) | instid1(VALU_DEP_1)
	v_add_f32_e32 v1, v1, v163
	v_add_f32_e32 v1, v1, v164
	;; [unrolled: 3-line block ×8, first 2 shown]
	s_delay_alu instid0(VALU_DEP_1) | instskip(SKIP_1) | instid1(VALU_DEP_2)
	v_add_f32_e32 v6, v1, v190
	v_add_f32_e32 v2, v2, v181
	;; [unrolled: 1-line block ×3, first 2 shown]
	s_delay_alu instid0(VALU_DEP_2) | instskip(NEXT) | instid1(VALU_DEP_2)
	v_add_f32_e32 v2, v2, v183
	v_add_f32_e32 v14, v14, v194
	s_delay_alu instid0(VALU_DEP_2) | instskip(NEXT) | instid1(VALU_DEP_2)
	v_add_f32_e32 v2, v2, v185
	v_add_f32_e32 v17, v14, v196
	s_delay_alu instid0(VALU_DEP_2)
	v_add_f32_e32 v5, v2, v187
	scratch_load_b128 v[1:4], off, off offset:408
	v_add_f32_e32 v17, v17, v198
	v_add_f32_e32 v13, v5, v189
	ds_load_2addr_b64 v[5:8], v25 offset0:109 offset1:110
	v_add_f32_e32 v17, v17, v200
	v_add_f32_e32 v13, v13, v191
	s_delay_alu instid0(VALU_DEP_2) | instskip(NEXT) | instid1(VALU_DEP_2)
	v_add_f32_e32 v17, v17, v202
	v_add_f32_e32 v13, v13, v193
	s_delay_alu instid0(VALU_DEP_2) | instskip(NEXT) | instid1(VALU_DEP_2)
	v_add_f32_e32 v22, v17, v204
	v_add_f32_e32 v18, v13, v195
	ds_load_2addr_b64 v[13:16], v25 offset0:111 offset1:112
	v_add_f32_e32 v22, v22, v206
	v_add_f32_e32 v18, v18, v197
	s_wait_loadcnt_dscnt 0x201
	v_mul_f32_e32 v32, v5, v10
	v_dual_mul_f32 v10, v6, v10 :: v_dual_mul_f32 v153, v7, v12
	v_mul_f32_e32 v12, v8, v12
	v_add_f32_e32 v18, v18, v199
	s_delay_alu instid0(VALU_DEP_4) | instskip(NEXT) | instid1(VALU_DEP_4)
	v_fmac_f32_e32 v32, v6, v9
	v_fma_f32 v154, v5, v9, -v10
	v_fmac_f32_e32 v153, v8, v11
	v_fma_f32 v156, v7, v11, -v12
	s_clause 0x1
	scratch_load_b128 v[5:8], off, off offset:424
	scratch_load_b128 v[9:12], off, off offset:440
	v_add_f32_e32 v22, v22, v208
	s_delay_alu instid0(VALU_DEP_1)
	v_add_f32_e32 v22, v22, v210
	s_wait_loadcnt_dscnt 0x200
	v_dual_mul_f32 v158, v15, v4 :: v_dual_add_f32 v21, v18, v201
	scratch_load_b128 v[17:20], off, off offset:456
	v_dual_mul_f32 v4, v16, v4 :: v_dual_mul_f32 v157, v13, v2
	v_dual_mul_f32 v2, v14, v2 :: v_dual_add_f32 v21, v21, v203
	v_fmac_f32_e32 v158, v16, v3
	s_delay_alu instid0(VALU_DEP_3) | instskip(NEXT) | instid1(VALU_DEP_4)
	v_fma_f32 v160, v15, v3, -v4
	v_fmac_f32_e32 v157, v14, v1
	s_delay_alu instid0(VALU_DEP_4) | instskip(SKIP_3) | instid1(VALU_DEP_1)
	v_fma_f32 v159, v13, v1, -v2
	v_dual_add_f32 v21, v21, v205 :: v_dual_add_f32 v14, v22, v212
	ds_load_2addr_b64 v[1:4], v25 offset0:113 offset1:114
	v_dual_add_f32 v21, v21, v207 :: v_dual_add_f32 v28, v14, v214
	v_add_f32_e32 v13, v21, v209
	s_delay_alu instid0(VALU_DEP_2) | instskip(NEXT) | instid1(VALU_DEP_2)
	v_add_f32_e32 v161, v28, v216
	v_add_f32_e32 v21, v13, v211
	ds_load_2addr_b64 v[13:16], v25 offset0:115 offset1:116
	v_add_f32_e32 v154, v161, v154
	v_add_f32_e32 v29, v21, v213
	ds_load_2addr_b64 v[21:24], v25 offset0:117 offset1:118
	s_wait_loadcnt_dscnt 0x202
	v_dual_add_f32 v154, v154, v156 :: v_dual_mul_f32 v161, v1, v6
	v_mul_f32_e32 v6, v2, v6
	v_add_f32_e32 v162, v29, v215
	ds_load_b64 v[28:29], v25 offset:952
	v_add_f32_e32 v154, v154, v159
	v_fmac_f32_e32 v161, v2, v5
	v_fma_f32 v1, v1, v5, -v6
	v_add_f32_e32 v32, v162, v32
	s_delay_alu instid0(VALU_DEP_4) | instskip(NEXT) | instid1(VALU_DEP_2)
	v_add_f32_e32 v154, v154, v160
	v_dual_add_f32 v32, v32, v153 :: v_dual_mul_f32 v153, v3, v8
	v_mul_f32_e32 v8, v4, v8
	s_wait_loadcnt_dscnt 0x102
	s_delay_alu instid0(VALU_DEP_3) | instskip(NEXT) | instid1(VALU_DEP_3)
	v_dual_mul_f32 v156, v13, v10 :: v_dual_add_f32 v1, v154, v1
	v_add_f32_e32 v32, v32, v157
	v_fmac_f32_e32 v153, v4, v7
	v_fma_f32 v2, v3, v7, -v8
	v_mul_f32_e32 v3, v14, v10
	s_delay_alu instid0(VALU_DEP_4) | instskip(SKIP_1) | instid1(VALU_DEP_3)
	v_dual_mul_f32 v157, v15, v12 :: v_dual_add_f32 v32, v32, v158
	v_dual_mul_f32 v5, v16, v12 :: v_dual_fmac_f32 v156, v14, v9
	v_fma_f32 v3, v13, v9, -v3
	s_delay_alu instid0(VALU_DEP_3) | instskip(NEXT) | instid1(VALU_DEP_4)
	v_dual_add_f32 v1, v1, v2 :: v_dual_add_f32 v4, v32, v161
	v_fmac_f32_e32 v157, v16, v11
	s_delay_alu instid0(VALU_DEP_4) | instskip(SKIP_3) | instid1(VALU_DEP_2)
	v_fma_f32 v5, v15, v11, -v5
	s_wait_dscnt 0x0
	v_mul_f32_e32 v158, v28, v27
	v_dual_add_f32 v1, v1, v3 :: v_dual_add_f32 v2, v4, v153
	v_fmac_f32_e32 v158, v29, v26
	s_delay_alu instid0(VALU_DEP_2) | instskip(NEXT) | instid1(VALU_DEP_1)
	v_dual_add_f32 v1, v1, v5 :: v_dual_add_f32 v2, v2, v156
	v_dual_mul_f32 v5, v29, v27 :: v_dual_add_f32 v2, v2, v157
	s_wait_loadcnt 0x0
	v_mul_f32_e32 v159, v21, v18
	v_mul_f32_e32 v4, v22, v18
	;; [unrolled: 1-line block ×4, first 2 shown]
	s_delay_alu instid0(VALU_DEP_4) | instskip(NEXT) | instid1(VALU_DEP_4)
	v_fmac_f32_e32 v159, v22, v17
	v_fma_f32 v4, v21, v17, -v4
	s_delay_alu instid0(VALU_DEP_4) | instskip(NEXT) | instid1(VALU_DEP_4)
	v_fmac_f32_e32 v160, v24, v19
	v_fma_f32 v3, v23, v19, -v3
	s_delay_alu instid0(VALU_DEP_3) | instskip(SKIP_1) | instid1(VALU_DEP_2)
	v_dual_add_f32 v2, v2, v159 :: v_dual_add_f32 v1, v1, v4
	v_fma_f32 v4, v28, v26, -v5
	v_dual_add_f32 v2, v2, v160 :: v_dual_add_f32 v1, v1, v3
	s_delay_alu instid0(VALU_DEP_1) | instskip(NEXT) | instid1(VALU_DEP_1)
	v_dual_add_f32 v2, v2, v158 :: v_dual_add_f32 v1, v1, v4
	v_dual_sub_f32 v2, v31, v2 :: v_dual_sub_f32 v1, v30, v1
	scratch_store_b64 off, v[1:2], off offset:64
	v_cmpx_lt_u32_e32 7, v0
	s_cbranch_execz .LBB123_359
; %bb.358:
	scratch_load_b64 v[1:2], off, off offset:56
	v_mov_b32_e32 v26, v25
	scratch_store_b64 off, v[25:26], off offset:56
	s_wait_loadcnt 0x0
	ds_store_b64 v155, v[1:2]
.LBB123_359:
	s_wait_alu 0xfffe
	s_or_b32 exec_lo, exec_lo, s0
	s_wait_storecnt_dscnt 0x0
	s_barrier_signal -1
	s_barrier_wait -1
	global_inv scope:SCOPE_SE
	s_clause 0x4
	scratch_load_b128 v[5:8], off, off offset:64
	scratch_load_b128 v[1:4], off, off offset:80
	;; [unrolled: 1-line block ×5, first 2 shown]
	ds_load_b128 v[21:24], v25 offset:544
	ds_load_b128 v[26:29], v25 offset:560
	;; [unrolled: 1-line block ×3, first 2 shown]
	scratch_load_b64 v[30:31], off, off offset:56
	s_mov_b32 s0, exec_lo
	s_wait_loadcnt_dscnt 0x502
	v_dual_mul_f32 v32, v21, v6 :: v_dual_mul_f32 v153, v23, v8
	v_mul_f32_e32 v6, v22, v6
	v_mul_f32_e32 v8, v24, v8
	s_wait_loadcnt_dscnt 0x300
	v_mul_f32_e32 v154, v156, v10
	v_dual_fmac_f32 v32, v22, v5 :: v_dual_fmac_f32 v153, v24, v7
	v_fma_f32 v21, v21, v5, -v6
	v_fma_f32 v22, v23, v7, -v8
	ds_load_b128 v[5:8], v25 offset:592
	v_dual_mul_f32 v23, v26, v2 :: v_dual_mul_f32 v24, v28, v4
	v_mul_f32_e32 v4, v29, v4
	v_mul_f32_e32 v10, v157, v10
	;; [unrolled: 1-line block ×5, first 2 shown]
	v_dual_fmac_f32 v23, v27, v1 :: v_dual_fmac_f32 v24, v29, v3
	v_fma_f32 v27, v28, v3, -v4
	v_fmac_f32_e32 v154, v157, v9
	v_fma_f32 v28, v156, v9, -v10
	v_fmac_f32_e32 v160, v159, v11
	v_fma_f32 v29, v158, v11, -v12
	ds_load_b128 v[9:12], v25 offset:608
	s_wait_loadcnt_dscnt 0x201
	v_dual_mul_f32 v157, v7, v16 :: v_dual_mul_f32 v156, v5, v14
	v_mul_f32_e32 v14, v6, v14
	v_mul_f32_e32 v16, v8, v16
	s_delay_alu instid0(VALU_DEP_3)
	v_fmac_f32_e32 v157, v8, v15
	v_fma_f32 v26, v26, v1, -v2
	scratch_load_b128 v[1:4], off, off offset:144
	v_fmac_f32_e32 v156, v6, v13
	v_fma_f32 v13, v5, v13, -v14
	v_fma_f32 v14, v7, v15, -v16
	ds_load_b128 v[5:8], v25 offset:624
	s_wait_loadcnt_dscnt 0x201
	v_mul_f32_e32 v15, v9, v18
	v_mul_f32_e32 v16, v10, v18
	;; [unrolled: 1-line block ×3, first 2 shown]
	s_delay_alu instid0(VALU_DEP_3) | instskip(NEXT) | instid1(VALU_DEP_3)
	v_dual_mul_f32 v20, v12, v20 :: v_dual_fmac_f32 v15, v10, v17
	v_fma_f32 v16, v9, v17, -v16
	s_delay_alu instid0(VALU_DEP_3) | instskip(NEXT) | instid1(VALU_DEP_3)
	v_fmac_f32_e32 v18, v12, v19
	v_fma_f32 v17, v11, v19, -v20
	scratch_load_b128 v[9:12], off, off offset:160
	s_wait_loadcnt_dscnt 0x100
	v_mul_f32_e32 v19, v5, v2
	v_mul_f32_e32 v2, v6, v2
	;; [unrolled: 1-line block ×3, first 2 shown]
	s_delay_alu instid0(VALU_DEP_3) | instskip(NEXT) | instid1(VALU_DEP_3)
	v_dual_mul_f32 v4, v8, v4 :: v_dual_fmac_f32 v19, v6, v1
	v_fma_f32 v158, v5, v1, -v2
	s_delay_alu instid0(VALU_DEP_3) | instskip(NEXT) | instid1(VALU_DEP_3)
	v_fmac_f32_e32 v20, v8, v3
	v_fma_f32 v159, v7, v3, -v4
	ds_load_b128 v[1:4], v25 offset:640
	ds_load_b128 v[5:8], v25 offset:656
	s_wait_loadcnt_dscnt 0x1
	v_mul_f32_e32 v161, v1, v10
	v_mul_f32_e32 v10, v2, v10
	s_delay_alu instid0(VALU_DEP_2) | instskip(NEXT) | instid1(VALU_DEP_2)
	v_dual_mul_f32 v162, v3, v12 :: v_dual_fmac_f32 v161, v2, v9
	v_fma_f32 v163, v1, v9, -v10
	v_mul_f32_e32 v1, v4, v12
	s_delay_alu instid0(VALU_DEP_3) | instskip(NEXT) | instid1(VALU_DEP_2)
	v_fmac_f32_e32 v162, v4, v11
	v_fma_f32 v164, v3, v11, -v1
	s_clause 0x1
	scratch_load_b128 v[1:4], off, off offset:176
	scratch_load_b128 v[9:12], off, off offset:192
	s_wait_loadcnt_dscnt 0x100
	v_mul_f32_e32 v165, v5, v2
	v_dual_mul_f32 v2, v6, v2 :: v_dual_mul_f32 v167, v7, v4
	s_delay_alu instid0(VALU_DEP_2) | instskip(NEXT) | instid1(VALU_DEP_2)
	v_fmac_f32_e32 v165, v6, v1
	v_fma_f32 v166, v5, v1, -v2
	v_mul_f32_e32 v1, v8, v4
	s_delay_alu instid0(VALU_DEP_4) | instskip(NEXT) | instid1(VALU_DEP_2)
	v_fmac_f32_e32 v167, v8, v3
	v_fma_f32 v168, v7, v3, -v1
	ds_load_b128 v[1:4], v25 offset:672
	ds_load_b128 v[5:8], v25 offset:688
	s_wait_loadcnt_dscnt 0x1
	v_mul_f32_e32 v169, v1, v10
	v_mul_f32_e32 v171, v3, v12
	s_delay_alu instid0(VALU_DEP_2) | instskip(NEXT) | instid1(VALU_DEP_2)
	v_fmac_f32_e32 v169, v2, v9
	v_dual_mul_f32 v2, v2, v10 :: v_dual_fmac_f32 v171, v4, v11
	s_delay_alu instid0(VALU_DEP_1) | instskip(SKIP_1) | instid1(VALU_DEP_1)
	v_fma_f32 v170, v1, v9, -v2
	v_mul_f32_e32 v1, v4, v12
	v_fma_f32 v172, v3, v11, -v1
	s_clause 0x1
	scratch_load_b128 v[1:4], off, off offset:208
	scratch_load_b128 v[9:12], off, off offset:224
	s_wait_loadcnt_dscnt 0x100
	v_mul_f32_e32 v173, v5, v2
	v_dual_mul_f32 v2, v6, v2 :: v_dual_mul_f32 v175, v7, v4
	s_delay_alu instid0(VALU_DEP_2) | instskip(NEXT) | instid1(VALU_DEP_2)
	v_fmac_f32_e32 v173, v6, v1
	v_fma_f32 v174, v5, v1, -v2
	v_mul_f32_e32 v1, v8, v4
	s_delay_alu instid0(VALU_DEP_4) | instskip(NEXT) | instid1(VALU_DEP_2)
	v_fmac_f32_e32 v175, v8, v3
	v_fma_f32 v176, v7, v3, -v1
	ds_load_b128 v[1:4], v25 offset:704
	ds_load_b128 v[5:8], v25 offset:720
	s_wait_loadcnt_dscnt 0x1
	v_mul_f32_e32 v177, v1, v10
	v_mul_f32_e32 v179, v3, v12
	s_delay_alu instid0(VALU_DEP_2) | instskip(NEXT) | instid1(VALU_DEP_2)
	v_fmac_f32_e32 v177, v2, v9
	v_dual_mul_f32 v2, v2, v10 :: v_dual_fmac_f32 v179, v4, v11
	s_delay_alu instid0(VALU_DEP_1) | instskip(SKIP_1) | instid1(VALU_DEP_1)
	v_fma_f32 v178, v1, v9, -v2
	v_mul_f32_e32 v1, v4, v12
	;; [unrolled: 25-line block ×7, first 2 shown]
	v_fma_f32 v220, v3, v11, -v1
	s_clause 0x1
	scratch_load_b128 v[1:4], off, off offset:400
	scratch_load_b128 v[9:12], off, off offset:416
	s_wait_loadcnt_dscnt 0x100
	v_mul_f32_e32 v221, v5, v2
	v_dual_mul_f32 v2, v6, v2 :: v_dual_mul_f32 v223, v7, v4
	s_delay_alu instid0(VALU_DEP_2) | instskip(NEXT) | instid1(VALU_DEP_2)
	v_fmac_f32_e32 v221, v6, v1
	v_fma_f32 v222, v5, v1, -v2
	s_delay_alu instid0(VALU_DEP_3) | instskip(NEXT) | instid1(VALU_DEP_1)
	v_dual_add_f32 v2, 0, v32 :: v_dual_fmac_f32 v223, v8, v3
	v_add_f32_e32 v2, v2, v153
	s_delay_alu instid0(VALU_DEP_1) | instskip(NEXT) | instid1(VALU_DEP_1)
	v_add_f32_e32 v2, v2, v23
	v_add_f32_e32 v2, v2, v24
	s_delay_alu instid0(VALU_DEP_1) | instskip(NEXT) | instid1(VALU_DEP_1)
	v_add_f32_e32 v2, v2, v154
	;; [unrolled: 3-line block ×5, first 2 shown]
	v_add_f32_e32 v2, v2, v20
	s_delay_alu instid0(VALU_DEP_1) | instskip(NEXT) | instid1(VALU_DEP_1)
	v_dual_mul_f32 v1, v8, v4 :: v_dual_add_f32 v2, v2, v161
	v_fma_f32 v224, v7, v3, -v1
	s_delay_alu instid0(VALU_DEP_2) | instskip(NEXT) | instid1(VALU_DEP_1)
	v_dual_add_f32 v1, 0, v21 :: v_dual_add_f32 v2, v2, v162
	v_dual_add_f32 v1, v1, v22 :: v_dual_add_f32 v2, v2, v165
	s_delay_alu instid0(VALU_DEP_1) | instskip(NEXT) | instid1(VALU_DEP_1)
	v_dual_add_f32 v1, v1, v26 :: v_dual_add_f32 v2, v2, v167
	v_dual_add_f32 v1, v1, v27 :: v_dual_add_f32 v2, v2, v169
	s_delay_alu instid0(VALU_DEP_1) | instskip(NEXT) | instid1(VALU_DEP_1)
	v_dual_add_f32 v1, v1, v28 :: v_dual_add_f32 v2, v2, v171
	v_add_f32_e32 v1, v1, v29
	s_delay_alu instid0(VALU_DEP_2) | instskip(NEXT) | instid1(VALU_DEP_1)
	v_add_f32_e32 v2, v2, v173
	v_dual_add_f32 v1, v1, v13 :: v_dual_add_f32 v2, v2, v175
	s_delay_alu instid0(VALU_DEP_1) | instskip(NEXT) | instid1(VALU_DEP_1)
	v_dual_add_f32 v1, v1, v14 :: v_dual_add_f32 v2, v2, v177
	v_dual_add_f32 v1, v1, v16 :: v_dual_add_f32 v2, v2, v179
	s_delay_alu instid0(VALU_DEP_1) | instskip(NEXT) | instid1(VALU_DEP_1)
	v_add_f32_e32 v1, v1, v17
	v_add_f32_e32 v1, v1, v158
	s_delay_alu instid0(VALU_DEP_1) | instskip(NEXT) | instid1(VALU_DEP_1)
	v_add_f32_e32 v1, v1, v159
	v_add_f32_e32 v1, v1, v163
	s_delay_alu instid0(VALU_DEP_1) | instskip(NEXT) | instid1(VALU_DEP_1)
	v_add_f32_e32 v1, v1, v164
	v_add_f32_e32 v1, v1, v166
	s_delay_alu instid0(VALU_DEP_1) | instskip(NEXT) | instid1(VALU_DEP_1)
	v_add_f32_e32 v1, v1, v168
	v_add_f32_e32 v1, v1, v170
	s_delay_alu instid0(VALU_DEP_1) | instskip(NEXT) | instid1(VALU_DEP_1)
	v_add_f32_e32 v1, v1, v172
	v_add_f32_e32 v1, v1, v174
	s_delay_alu instid0(VALU_DEP_1) | instskip(NEXT) | instid1(VALU_DEP_1)
	v_add_f32_e32 v1, v1, v176
	v_add_f32_e32 v1, v1, v178
	s_delay_alu instid0(VALU_DEP_1) | instskip(NEXT) | instid1(VALU_DEP_1)
	v_add_f32_e32 v1, v1, v180
	v_add_f32_e32 v1, v1, v182
	s_delay_alu instid0(VALU_DEP_1) | instskip(NEXT) | instid1(VALU_DEP_1)
	v_add_f32_e32 v1, v1, v184
	v_add_f32_e32 v1, v1, v186
	s_delay_alu instid0(VALU_DEP_1) | instskip(NEXT) | instid1(VALU_DEP_1)
	v_add_f32_e32 v1, v1, v188
	v_add_f32_e32 v1, v1, v190
	s_delay_alu instid0(VALU_DEP_1) | instskip(NEXT) | instid1(VALU_DEP_1)
	v_add_f32_e32 v1, v1, v192
	v_add_f32_e32 v1, v1, v194
	s_delay_alu instid0(VALU_DEP_1) | instskip(SKIP_1) | instid1(VALU_DEP_2)
	v_add_f32_e32 v6, v1, v196
	v_add_f32_e32 v2, v2, v181
	;; [unrolled: 1-line block ×3, first 2 shown]
	s_delay_alu instid0(VALU_DEP_2) | instskip(NEXT) | instid1(VALU_DEP_2)
	v_add_f32_e32 v2, v2, v183
	v_add_f32_e32 v13, v6, v200
	s_delay_alu instid0(VALU_DEP_1) | instskip(NEXT) | instid1(VALU_DEP_1)
	v_dual_add_f32 v2, v2, v185 :: v_dual_add_f32 v13, v13, v202
	v_dual_add_f32 v2, v2, v187 :: v_dual_add_f32 v13, v13, v204
	s_delay_alu instid0(VALU_DEP_1) | instskip(NEXT) | instid1(VALU_DEP_1)
	v_dual_add_f32 v2, v2, v189 :: v_dual_add_f32 v13, v13, v206
	v_add_f32_e32 v2, v2, v191
	s_delay_alu instid0(VALU_DEP_1) | instskip(SKIP_2) | instid1(VALU_DEP_1)
	v_dual_add_f32 v18, v13, v208 :: v_dual_add_f32 v5, v2, v193
	ds_load_b128 v[1:4], v25 offset:896
	v_dual_add_f32 v18, v18, v210 :: v_dual_add_f32 v5, v5, v195
	v_dual_add_f32 v18, v18, v212 :: v_dual_add_f32 v5, v5, v197
	s_delay_alu instid0(VALU_DEP_1)
	v_dual_add_f32 v21, v18, v214 :: v_dual_add_f32 v14, v5, v199
	ds_load_b128 v[5:8], v25 offset:912
	v_add_f32_e32 v32, v21, v216
	v_add_f32_e32 v14, v14, v201
	s_wait_loadcnt_dscnt 0x1
	v_dual_mul_f32 v26, v1, v10 :: v_dual_mul_f32 v27, v3, v12
	v_mul_f32_e32 v10, v2, v10
	v_mul_f32_e32 v12, v4, v12
	v_add_f32_e32 v14, v14, v203
	s_delay_alu instid0(VALU_DEP_4) | instskip(NEXT) | instid1(VALU_DEP_4)
	v_dual_fmac_f32 v26, v2, v9 :: v_dual_fmac_f32 v27, v4, v11
	v_fma_f32 v28, v1, v9, -v10
	s_delay_alu instid0(VALU_DEP_4)
	v_fma_f32 v29, v3, v11, -v12
	s_clause 0x1
	scratch_load_b128 v[1:4], off, off offset:432
	scratch_load_b128 v[9:12], off, off offset:448
	v_add_f32_e32 v17, v14, v205
	scratch_load_b128 v[13:16], off, off offset:464
	s_wait_loadcnt_dscnt 0x200
	v_dual_add_f32 v17, v17, v207 :: v_dual_mul_f32 v154, v7, v4
	s_delay_alu instid0(VALU_DEP_1) | instskip(NEXT) | instid1(VALU_DEP_2)
	v_dual_add_f32 v17, v17, v209 :: v_dual_mul_f32 v4, v8, v4
	v_fmac_f32_e32 v154, v8, v3
	s_delay_alu instid0(VALU_DEP_2) | instskip(NEXT) | instid1(VALU_DEP_3)
	v_add_f32_e32 v17, v17, v211
	v_fma_f32 v3, v7, v3, -v4
	s_delay_alu instid0(VALU_DEP_2)
	v_add_f32_e32 v22, v17, v213
	ds_load_b128 v[17:20], v25 offset:928
	v_add_f32_e32 v153, v22, v215
	ds_load_b128 v[21:24], v25 offset:944
	v_dual_add_f32 v25, v32, v218 :: v_dual_add_f32 v32, v153, v217
	v_mul_f32_e32 v153, v5, v2
	s_delay_alu instid0(VALU_DEP_2) | instskip(NEXT) | instid1(VALU_DEP_2)
	v_dual_add_f32 v25, v25, v220 :: v_dual_mul_f32 v2, v6, v2
	v_dual_add_f32 v32, v32, v219 :: v_dual_fmac_f32 v153, v6, v1
	s_delay_alu instid0(VALU_DEP_2) | instskip(NEXT) | instid1(VALU_DEP_3)
	v_add_f32_e32 v25, v25, v222
	v_fma_f32 v2, v5, v1, -v2
	s_wait_loadcnt_dscnt 0x101
	v_mul_f32_e32 v156, v17, v10
	s_delay_alu instid0(VALU_DEP_3)
	v_dual_add_f32 v25, v25, v224 :: v_dual_mul_f32 v6, v18, v10
	v_mul_f32_e32 v157, v19, v12
	v_mul_f32_e32 v4, v20, v12
	s_wait_loadcnt_dscnt 0x0
	v_mul_f32_e32 v158, v21, v14
	v_dual_add_f32 v32, v32, v221 :: v_dual_add_f32 v25, v25, v28
	v_dual_fmac_f32 v156, v18, v9 :: v_dual_fmac_f32 v157, v20, v11
	v_fma_f32 v4, v19, v11, -v4
	s_delay_alu instid0(VALU_DEP_3) | instskip(SKIP_2) | instid1(VALU_DEP_3)
	v_dual_add_f32 v32, v32, v223 :: v_dual_add_f32 v1, v25, v29
	v_mul_f32_e32 v28, v23, v16
	v_fmac_f32_e32 v158, v22, v13
	v_add_f32_e32 v26, v32, v26
	s_delay_alu instid0(VALU_DEP_3) | instskip(NEXT) | instid1(VALU_DEP_2)
	v_dual_add_f32 v1, v1, v2 :: v_dual_fmac_f32 v28, v24, v15
	v_add_f32_e32 v5, v26, v27
	s_delay_alu instid0(VALU_DEP_2) | instskip(NEXT) | instid1(VALU_DEP_2)
	v_add_f32_e32 v1, v1, v3
	v_dual_mul_f32 v3, v22, v14 :: v_dual_add_f32 v2, v5, v153
	v_fma_f32 v5, v17, v9, -v6
	s_delay_alu instid0(VALU_DEP_2) | instskip(NEXT) | instid1(VALU_DEP_2)
	v_fma_f32 v3, v21, v13, -v3
	v_dual_add_f32 v2, v2, v154 :: v_dual_add_f32 v1, v1, v5
	v_mul_f32_e32 v5, v24, v16
	s_delay_alu instid0(VALU_DEP_2) | instskip(NEXT) | instid1(VALU_DEP_3)
	v_add_f32_e32 v2, v2, v156
	v_add_f32_e32 v1, v1, v4
	s_delay_alu instid0(VALU_DEP_3) | instskip(NEXT) | instid1(VALU_DEP_2)
	v_fma_f32 v4, v23, v15, -v5
	v_dual_add_f32 v2, v2, v157 :: v_dual_add_f32 v1, v1, v3
	s_delay_alu instid0(VALU_DEP_1) | instskip(NEXT) | instid1(VALU_DEP_1)
	v_dual_add_f32 v2, v2, v158 :: v_dual_add_f32 v1, v1, v4
	v_add_f32_e32 v2, v2, v28
	s_delay_alu instid0(VALU_DEP_1)
	v_dual_sub_f32 v1, v30, v1 :: v_dual_sub_f32 v2, v31, v2
	scratch_store_b64 off, v[1:2], off offset:56
	v_cmpx_lt_u32_e32 6, v0
	s_cbranch_execz .LBB123_361
; %bb.360:
	scratch_load_b64 v[1:2], off, off offset:48
	v_mov_b32_e32 v3, 0
	s_delay_alu instid0(VALU_DEP_1)
	v_mov_b32_e32 v4, v3
	scratch_store_b64 off, v[3:4], off offset:48
	s_wait_loadcnt 0x0
	ds_store_b64 v155, v[1:2]
.LBB123_361:
	s_wait_alu 0xfffe
	s_or_b32 exec_lo, exec_lo, s0
	s_wait_storecnt_dscnt 0x0
	s_barrier_signal -1
	s_barrier_wait -1
	global_inv scope:SCOPE_SE
	s_clause 0x4
	scratch_load_b128 v[5:8], off, off offset:56
	scratch_load_b128 v[1:4], off, off offset:72
	;; [unrolled: 1-line block ×5, first 2 shown]
	v_mov_b32_e32 v25, 0
	ds_load_2addr_b64 v[21:24], v25 offset0:67 offset1:68
	ds_load_2addr_b64 v[26:29], v25 offset0:69 offset1:70
	;; [unrolled: 1-line block ×3, first 2 shown]
	scratch_load_b64 v[30:31], off, off offset:48
	s_mov_b32 s0, exec_lo
	s_wait_loadcnt_dscnt 0x502
	v_dual_mul_f32 v32, v21, v6 :: v_dual_mul_f32 v153, v23, v8
	v_mul_f32_e32 v6, v22, v6
	v_mul_f32_e32 v8, v24, v8
	s_wait_loadcnt_dscnt 0x300
	v_mul_f32_e32 v160, v158, v12
	v_dual_fmac_f32 v32, v22, v5 :: v_dual_fmac_f32 v153, v24, v7
	v_fma_f32 v21, v21, v5, -v6
	v_fma_f32 v22, v23, v7, -v8
	ds_load_2addr_b64 v[5:8], v25 offset0:73 offset1:74
	v_dual_mul_f32 v23, v26, v2 :: v_dual_mul_f32 v24, v28, v4
	v_mul_f32_e32 v4, v29, v4
	v_mul_f32_e32 v154, v156, v10
	;; [unrolled: 1-line block ×5, first 2 shown]
	v_dual_fmac_f32 v23, v27, v1 :: v_dual_fmac_f32 v24, v29, v3
	v_fma_f32 v27, v28, v3, -v4
	v_fmac_f32_e32 v154, v157, v9
	v_fmac_f32_e32 v160, v159, v11
	v_fma_f32 v28, v156, v9, -v10
	v_fma_f32 v29, v158, v11, -v12
	ds_load_2addr_b64 v[9:12], v25 offset0:75 offset1:76
	s_wait_loadcnt_dscnt 0x201
	v_dual_mul_f32 v157, v7, v16 :: v_dual_mul_f32 v156, v5, v14
	v_mul_f32_e32 v14, v6, v14
	v_mul_f32_e32 v16, v8, v16
	s_delay_alu instid0(VALU_DEP_3)
	v_fmac_f32_e32 v157, v8, v15
	v_fma_f32 v26, v26, v1, -v2
	scratch_load_b128 v[1:4], off, off offset:136
	v_fmac_f32_e32 v156, v6, v13
	v_fma_f32 v13, v5, v13, -v14
	v_fma_f32 v14, v7, v15, -v16
	ds_load_2addr_b64 v[5:8], v25 offset0:77 offset1:78
	s_wait_loadcnt_dscnt 0x201
	v_mul_f32_e32 v15, v9, v18
	v_mul_f32_e32 v16, v10, v18
	;; [unrolled: 1-line block ×3, first 2 shown]
	s_delay_alu instid0(VALU_DEP_3) | instskip(NEXT) | instid1(VALU_DEP_3)
	v_dual_mul_f32 v20, v12, v20 :: v_dual_fmac_f32 v15, v10, v17
	v_fma_f32 v16, v9, v17, -v16
	s_delay_alu instid0(VALU_DEP_3) | instskip(NEXT) | instid1(VALU_DEP_3)
	v_fmac_f32_e32 v18, v12, v19
	v_fma_f32 v17, v11, v19, -v20
	scratch_load_b128 v[9:12], off, off offset:152
	s_wait_loadcnt_dscnt 0x100
	v_mul_f32_e32 v19, v5, v2
	v_mul_f32_e32 v2, v6, v2
	;; [unrolled: 1-line block ×3, first 2 shown]
	s_delay_alu instid0(VALU_DEP_3) | instskip(NEXT) | instid1(VALU_DEP_3)
	v_dual_mul_f32 v4, v8, v4 :: v_dual_fmac_f32 v19, v6, v1
	v_fma_f32 v158, v5, v1, -v2
	s_delay_alu instid0(VALU_DEP_3) | instskip(NEXT) | instid1(VALU_DEP_3)
	v_fmac_f32_e32 v20, v8, v3
	v_fma_f32 v159, v7, v3, -v4
	ds_load_2addr_b64 v[1:4], v25 offset0:79 offset1:80
	ds_load_2addr_b64 v[5:8], v25 offset0:81 offset1:82
	s_wait_loadcnt_dscnt 0x1
	v_mul_f32_e32 v161, v1, v10
	v_mul_f32_e32 v10, v2, v10
	s_delay_alu instid0(VALU_DEP_2) | instskip(NEXT) | instid1(VALU_DEP_2)
	v_dual_mul_f32 v162, v3, v12 :: v_dual_fmac_f32 v161, v2, v9
	v_fma_f32 v163, v1, v9, -v10
	v_mul_f32_e32 v1, v4, v12
	s_delay_alu instid0(VALU_DEP_3) | instskip(NEXT) | instid1(VALU_DEP_2)
	v_fmac_f32_e32 v162, v4, v11
	v_fma_f32 v164, v3, v11, -v1
	s_clause 0x1
	scratch_load_b128 v[1:4], off, off offset:168
	scratch_load_b128 v[9:12], off, off offset:184
	s_wait_loadcnt_dscnt 0x100
	v_mul_f32_e32 v165, v5, v2
	v_dual_mul_f32 v2, v6, v2 :: v_dual_mul_f32 v167, v7, v4
	s_delay_alu instid0(VALU_DEP_2) | instskip(NEXT) | instid1(VALU_DEP_2)
	v_fmac_f32_e32 v165, v6, v1
	v_fma_f32 v166, v5, v1, -v2
	v_mul_f32_e32 v1, v8, v4
	s_delay_alu instid0(VALU_DEP_4) | instskip(NEXT) | instid1(VALU_DEP_2)
	v_fmac_f32_e32 v167, v8, v3
	v_fma_f32 v168, v7, v3, -v1
	ds_load_2addr_b64 v[1:4], v25 offset0:83 offset1:84
	ds_load_2addr_b64 v[5:8], v25 offset0:85 offset1:86
	s_wait_loadcnt_dscnt 0x1
	v_mul_f32_e32 v169, v1, v10
	v_mul_f32_e32 v171, v3, v12
	s_delay_alu instid0(VALU_DEP_2) | instskip(NEXT) | instid1(VALU_DEP_2)
	v_fmac_f32_e32 v169, v2, v9
	v_dual_mul_f32 v2, v2, v10 :: v_dual_fmac_f32 v171, v4, v11
	s_delay_alu instid0(VALU_DEP_1) | instskip(SKIP_1) | instid1(VALU_DEP_1)
	v_fma_f32 v170, v1, v9, -v2
	v_mul_f32_e32 v1, v4, v12
	v_fma_f32 v172, v3, v11, -v1
	s_clause 0x1
	scratch_load_b128 v[1:4], off, off offset:200
	scratch_load_b128 v[9:12], off, off offset:216
	s_wait_loadcnt_dscnt 0x100
	v_mul_f32_e32 v173, v5, v2
	v_dual_mul_f32 v2, v6, v2 :: v_dual_mul_f32 v175, v7, v4
	s_delay_alu instid0(VALU_DEP_2) | instskip(NEXT) | instid1(VALU_DEP_2)
	v_fmac_f32_e32 v173, v6, v1
	v_fma_f32 v174, v5, v1, -v2
	v_mul_f32_e32 v1, v8, v4
	s_delay_alu instid0(VALU_DEP_4) | instskip(NEXT) | instid1(VALU_DEP_2)
	v_fmac_f32_e32 v175, v8, v3
	v_fma_f32 v176, v7, v3, -v1
	ds_load_2addr_b64 v[1:4], v25 offset0:87 offset1:88
	ds_load_2addr_b64 v[5:8], v25 offset0:89 offset1:90
	s_wait_loadcnt_dscnt 0x1
	v_mul_f32_e32 v177, v1, v10
	v_mul_f32_e32 v179, v3, v12
	s_delay_alu instid0(VALU_DEP_2) | instskip(NEXT) | instid1(VALU_DEP_2)
	v_fmac_f32_e32 v177, v2, v9
	v_dual_mul_f32 v2, v2, v10 :: v_dual_fmac_f32 v179, v4, v11
	s_delay_alu instid0(VALU_DEP_1) | instskip(SKIP_1) | instid1(VALU_DEP_1)
	v_fma_f32 v178, v1, v9, -v2
	v_mul_f32_e32 v1, v4, v12
	v_fma_f32 v180, v3, v11, -v1
	s_clause 0x1
	scratch_load_b128 v[1:4], off, off offset:232
	scratch_load_b128 v[9:12], off, off offset:248
	s_wait_loadcnt_dscnt 0x100
	v_mul_f32_e32 v181, v5, v2
	v_dual_mul_f32 v2, v6, v2 :: v_dual_mul_f32 v183, v7, v4
	s_delay_alu instid0(VALU_DEP_2) | instskip(NEXT) | instid1(VALU_DEP_2)
	v_fmac_f32_e32 v181, v6, v1
	v_fma_f32 v182, v5, v1, -v2
	v_mul_f32_e32 v1, v8, v4
	s_delay_alu instid0(VALU_DEP_4) | instskip(NEXT) | instid1(VALU_DEP_2)
	v_fmac_f32_e32 v183, v8, v3
	v_fma_f32 v184, v7, v3, -v1
	ds_load_2addr_b64 v[1:4], v25 offset0:91 offset1:92
	ds_load_2addr_b64 v[5:8], v25 offset0:93 offset1:94
	s_wait_loadcnt_dscnt 0x1
	v_mul_f32_e32 v185, v1, v10
	v_mul_f32_e32 v187, v3, v12
	s_delay_alu instid0(VALU_DEP_2) | instskip(NEXT) | instid1(VALU_DEP_2)
	v_fmac_f32_e32 v185, v2, v9
	v_dual_mul_f32 v2, v2, v10 :: v_dual_fmac_f32 v187, v4, v11
	s_delay_alu instid0(VALU_DEP_1) | instskip(SKIP_1) | instid1(VALU_DEP_1)
	v_fma_f32 v186, v1, v9, -v2
	v_mul_f32_e32 v1, v4, v12
	v_fma_f32 v188, v3, v11, -v1
	s_clause 0x1
	scratch_load_b128 v[1:4], off, off offset:264
	scratch_load_b128 v[9:12], off, off offset:280
	s_wait_loadcnt_dscnt 0x100
	v_mul_f32_e32 v189, v5, v2
	v_dual_mul_f32 v2, v6, v2 :: v_dual_mul_f32 v191, v7, v4
	s_delay_alu instid0(VALU_DEP_2) | instskip(NEXT) | instid1(VALU_DEP_2)
	v_fmac_f32_e32 v189, v6, v1
	v_fma_f32 v190, v5, v1, -v2
	v_mul_f32_e32 v1, v8, v4
	s_delay_alu instid0(VALU_DEP_4) | instskip(NEXT) | instid1(VALU_DEP_2)
	v_fmac_f32_e32 v191, v8, v3
	v_fma_f32 v192, v7, v3, -v1
	ds_load_2addr_b64 v[1:4], v25 offset0:95 offset1:96
	ds_load_2addr_b64 v[5:8], v25 offset0:97 offset1:98
	s_wait_loadcnt_dscnt 0x1
	v_mul_f32_e32 v193, v1, v10
	v_mul_f32_e32 v195, v3, v12
	s_delay_alu instid0(VALU_DEP_2) | instskip(NEXT) | instid1(VALU_DEP_2)
	v_fmac_f32_e32 v193, v2, v9
	v_dual_mul_f32 v2, v2, v10 :: v_dual_fmac_f32 v195, v4, v11
	s_delay_alu instid0(VALU_DEP_1) | instskip(SKIP_1) | instid1(VALU_DEP_1)
	v_fma_f32 v194, v1, v9, -v2
	v_mul_f32_e32 v1, v4, v12
	v_fma_f32 v196, v3, v11, -v1
	s_clause 0x1
	scratch_load_b128 v[1:4], off, off offset:296
	scratch_load_b128 v[9:12], off, off offset:312
	s_wait_loadcnt_dscnt 0x100
	v_mul_f32_e32 v197, v5, v2
	v_dual_mul_f32 v2, v6, v2 :: v_dual_mul_f32 v199, v7, v4
	s_delay_alu instid0(VALU_DEP_2) | instskip(NEXT) | instid1(VALU_DEP_2)
	v_fmac_f32_e32 v197, v6, v1
	v_fma_f32 v198, v5, v1, -v2
	v_mul_f32_e32 v1, v8, v4
	s_delay_alu instid0(VALU_DEP_4) | instskip(NEXT) | instid1(VALU_DEP_2)
	v_fmac_f32_e32 v199, v8, v3
	v_fma_f32 v200, v7, v3, -v1
	ds_load_2addr_b64 v[1:4], v25 offset0:99 offset1:100
	ds_load_2addr_b64 v[5:8], v25 offset0:101 offset1:102
	s_wait_loadcnt_dscnt 0x1
	v_mul_f32_e32 v201, v1, v10
	v_mul_f32_e32 v203, v3, v12
	s_delay_alu instid0(VALU_DEP_2) | instskip(NEXT) | instid1(VALU_DEP_2)
	v_fmac_f32_e32 v201, v2, v9
	v_dual_mul_f32 v2, v2, v10 :: v_dual_fmac_f32 v203, v4, v11
	s_delay_alu instid0(VALU_DEP_1) | instskip(SKIP_1) | instid1(VALU_DEP_1)
	v_fma_f32 v202, v1, v9, -v2
	v_mul_f32_e32 v1, v4, v12
	v_fma_f32 v204, v3, v11, -v1
	s_clause 0x1
	scratch_load_b128 v[1:4], off, off offset:328
	scratch_load_b128 v[9:12], off, off offset:344
	s_wait_loadcnt_dscnt 0x100
	v_mul_f32_e32 v205, v5, v2
	v_dual_mul_f32 v2, v6, v2 :: v_dual_mul_f32 v207, v7, v4
	s_delay_alu instid0(VALU_DEP_2) | instskip(NEXT) | instid1(VALU_DEP_2)
	v_fmac_f32_e32 v205, v6, v1
	v_fma_f32 v206, v5, v1, -v2
	v_mul_f32_e32 v1, v8, v4
	s_delay_alu instid0(VALU_DEP_4) | instskip(NEXT) | instid1(VALU_DEP_2)
	v_fmac_f32_e32 v207, v8, v3
	v_fma_f32 v208, v7, v3, -v1
	ds_load_2addr_b64 v[1:4], v25 offset0:103 offset1:104
	ds_load_2addr_b64 v[5:8], v25 offset0:105 offset1:106
	s_wait_loadcnt_dscnt 0x1
	v_mul_f32_e32 v209, v1, v10
	v_mul_f32_e32 v211, v3, v12
	s_delay_alu instid0(VALU_DEP_2) | instskip(NEXT) | instid1(VALU_DEP_2)
	v_fmac_f32_e32 v209, v2, v9
	v_dual_mul_f32 v2, v2, v10 :: v_dual_fmac_f32 v211, v4, v11
	s_delay_alu instid0(VALU_DEP_1) | instskip(SKIP_1) | instid1(VALU_DEP_1)
	v_fma_f32 v210, v1, v9, -v2
	v_mul_f32_e32 v1, v4, v12
	v_fma_f32 v212, v3, v11, -v1
	s_clause 0x1
	scratch_load_b128 v[1:4], off, off offset:360
	scratch_load_b128 v[9:12], off, off offset:376
	s_wait_loadcnt_dscnt 0x100
	v_mul_f32_e32 v213, v5, v2
	v_dual_mul_f32 v2, v6, v2 :: v_dual_mul_f32 v215, v7, v4
	s_delay_alu instid0(VALU_DEP_2) | instskip(NEXT) | instid1(VALU_DEP_2)
	v_fmac_f32_e32 v213, v6, v1
	v_fma_f32 v214, v5, v1, -v2
	v_mul_f32_e32 v1, v8, v4
	s_delay_alu instid0(VALU_DEP_4) | instskip(NEXT) | instid1(VALU_DEP_2)
	v_fmac_f32_e32 v215, v8, v3
	v_fma_f32 v216, v7, v3, -v1
	ds_load_2addr_b64 v[1:4], v25 offset0:107 offset1:108
	ds_load_2addr_b64 v[5:8], v25 offset0:109 offset1:110
	s_wait_loadcnt_dscnt 0x1
	v_mul_f32_e32 v217, v1, v10
	v_mul_f32_e32 v219, v3, v12
	s_delay_alu instid0(VALU_DEP_2) | instskip(NEXT) | instid1(VALU_DEP_2)
	v_fmac_f32_e32 v217, v2, v9
	v_dual_mul_f32 v2, v2, v10 :: v_dual_fmac_f32 v219, v4, v11
	s_delay_alu instid0(VALU_DEP_1) | instskip(SKIP_1) | instid1(VALU_DEP_1)
	v_fma_f32 v218, v1, v9, -v2
	v_mul_f32_e32 v1, v4, v12
	v_fma_f32 v220, v3, v11, -v1
	s_clause 0x1
	scratch_load_b128 v[1:4], off, off offset:392
	scratch_load_b128 v[9:12], off, off offset:408
	s_wait_loadcnt_dscnt 0x100
	v_mul_f32_e32 v221, v5, v2
	v_dual_mul_f32 v2, v6, v2 :: v_dual_mul_f32 v223, v7, v4
	s_delay_alu instid0(VALU_DEP_2) | instskip(NEXT) | instid1(VALU_DEP_2)
	v_fmac_f32_e32 v221, v6, v1
	v_fma_f32 v222, v5, v1, -v2
	v_add_f32_e32 v2, 0, v32
	s_delay_alu instid0(VALU_DEP_1) | instskip(NEXT) | instid1(VALU_DEP_1)
	v_add_f32_e32 v2, v2, v153
	v_add_f32_e32 v2, v2, v23
	s_delay_alu instid0(VALU_DEP_1) | instskip(NEXT) | instid1(VALU_DEP_1)
	v_add_f32_e32 v2, v2, v24
	;; [unrolled: 3-line block ×6, first 2 shown]
	v_dual_mul_f32 v1, v8, v4 :: v_dual_add_f32 v2, v2, v161
	s_delay_alu instid0(VALU_DEP_1) | instskip(NEXT) | instid1(VALU_DEP_2)
	v_fma_f32 v224, v7, v3, -v1
	v_dual_add_f32 v1, 0, v21 :: v_dual_add_f32 v2, v2, v162
	s_delay_alu instid0(VALU_DEP_1) | instskip(NEXT) | instid1(VALU_DEP_1)
	v_dual_add_f32 v1, v1, v22 :: v_dual_add_f32 v2, v2, v165
	v_dual_add_f32 v1, v1, v26 :: v_dual_add_f32 v2, v2, v167
	s_delay_alu instid0(VALU_DEP_1) | instskip(SKIP_2) | instid1(VALU_DEP_1)
	v_add_f32_e32 v1, v1, v27
	scratch_load_b64 v[26:27], off, off offset:472
	v_dual_add_f32 v2, v2, v169 :: v_dual_add_f32 v1, v1, v28
	v_dual_add_f32 v2, v2, v171 :: v_dual_add_f32 v1, v1, v29
	s_delay_alu instid0(VALU_DEP_1) | instskip(NEXT) | instid1(VALU_DEP_1)
	v_add_f32_e32 v2, v2, v173
	v_dual_add_f32 v1, v1, v13 :: v_dual_add_f32 v2, v2, v175
	s_delay_alu instid0(VALU_DEP_1) | instskip(NEXT) | instid1(VALU_DEP_1)
	v_dual_add_f32 v1, v1, v14 :: v_dual_add_f32 v2, v2, v177
	v_dual_add_f32 v1, v1, v16 :: v_dual_add_f32 v2, v2, v179
	s_delay_alu instid0(VALU_DEP_1) | instskip(NEXT) | instid1(VALU_DEP_1)
	v_add_f32_e32 v1, v1, v17
	v_add_f32_e32 v1, v1, v158
	s_delay_alu instid0(VALU_DEP_1) | instskip(NEXT) | instid1(VALU_DEP_1)
	v_add_f32_e32 v1, v1, v159
	v_add_f32_e32 v1, v1, v163
	;; [unrolled: 3-line block ×10, first 2 shown]
	s_delay_alu instid0(VALU_DEP_1) | instskip(SKIP_1) | instid1(VALU_DEP_2)
	v_add_f32_e32 v6, v1, v196
	v_add_f32_e32 v2, v2, v181
	;; [unrolled: 1-line block ×3, first 2 shown]
	s_delay_alu instid0(VALU_DEP_2) | instskip(NEXT) | instid1(VALU_DEP_2)
	v_add_f32_e32 v2, v2, v183
	v_add_f32_e32 v13, v6, v200
	s_delay_alu instid0(VALU_DEP_1) | instskip(NEXT) | instid1(VALU_DEP_1)
	v_dual_add_f32 v2, v2, v185 :: v_dual_add_f32 v13, v13, v202
	v_dual_add_f32 v2, v2, v187 :: v_dual_add_f32 v13, v13, v204
	s_delay_alu instid0(VALU_DEP_1) | instskip(NEXT) | instid1(VALU_DEP_1)
	v_dual_add_f32 v2, v2, v189 :: v_dual_add_f32 v13, v13, v206
	v_add_f32_e32 v2, v2, v191
	s_delay_alu instid0(VALU_DEP_2) | instskip(NEXT) | instid1(VALU_DEP_2)
	v_dual_add_f32 v18, v13, v208 :: v_dual_fmac_f32 v223, v8, v3
	v_add_f32_e32 v5, v2, v193
	ds_load_2addr_b64 v[1:4], v25 offset0:111 offset1:112
	v_dual_add_f32 v18, v18, v210 :: v_dual_add_f32 v5, v5, v195
	s_delay_alu instid0(VALU_DEP_1) | instskip(NEXT) | instid1(VALU_DEP_1)
	v_dual_add_f32 v18, v18, v212 :: v_dual_add_f32 v5, v5, v197
	v_add_f32_e32 v18, v18, v214
	s_delay_alu instid0(VALU_DEP_2)
	v_add_f32_e32 v14, v5, v199
	ds_load_2addr_b64 v[5:8], v25 offset0:113 offset1:114
	v_add_f32_e32 v18, v18, v216
	v_add_f32_e32 v14, v14, v201
	s_wait_loadcnt_dscnt 0x101
	v_mul_f32_e32 v32, v1, v10
	v_dual_mul_f32 v10, v2, v10 :: v_dual_mul_f32 v153, v3, v12
	v_mul_f32_e32 v12, v4, v12
	v_add_f32_e32 v14, v14, v203
	s_delay_alu instid0(VALU_DEP_4) | instskip(NEXT) | instid1(VALU_DEP_4)
	v_fmac_f32_e32 v32, v2, v9
	v_fma_f32 v154, v1, v9, -v10
	v_fmac_f32_e32 v153, v4, v11
	v_fma_f32 v156, v3, v11, -v12
	s_clause 0x1
	scratch_load_b128 v[1:4], off, off offset:424
	scratch_load_b128 v[9:12], off, off offset:440
	v_add_f32_e32 v28, v18, v218
	s_delay_alu instid0(VALU_DEP_1) | instskip(NEXT) | instid1(VALU_DEP_1)
	v_add_f32_e32 v157, v28, v220
	v_add_f32_e32 v157, v157, v222
	s_delay_alu instid0(VALU_DEP_1) | instskip(NEXT) | instid1(VALU_DEP_1)
	v_add_f32_e32 v157, v157, v224
	v_add_f32_e32 v154, v157, v154
	s_delay_alu instid0(VALU_DEP_1)
	v_add_f32_e32 v154, v154, v156
	s_wait_loadcnt_dscnt 0x100
	v_dual_mul_f32 v160, v7, v4 :: v_dual_add_f32 v17, v14, v205
	scratch_load_b128 v[13:16], off, off offset:456
	v_dual_mul_f32 v4, v8, v4 :: v_dual_mul_f32 v159, v5, v2
	v_dual_mul_f32 v2, v6, v2 :: v_dual_add_f32 v17, v17, v207
	s_delay_alu instid0(VALU_DEP_2) | instskip(NEXT) | instid1(VALU_DEP_2)
	v_dual_fmac_f32 v160, v8, v3 :: v_dual_fmac_f32 v159, v6, v1
	v_fma_f32 v2, v5, v1, -v2
	s_delay_alu instid0(VALU_DEP_3) | instskip(SKIP_1) | instid1(VALU_DEP_2)
	v_add_f32_e32 v17, v17, v209
	v_fma_f32 v1, v7, v3, -v4
	v_dual_add_f32 v2, v154, v2 :: v_dual_add_f32 v17, v17, v211
	s_delay_alu instid0(VALU_DEP_1) | instskip(NEXT) | instid1(VALU_DEP_2)
	v_add_f32_e32 v1, v2, v1
	v_add_f32_e32 v17, v17, v213
	s_delay_alu instid0(VALU_DEP_1)
	v_add_f32_e32 v21, v17, v215
	ds_load_2addr_b64 v[17:20], v25 offset0:115 offset1:116
	v_add_f32_e32 v29, v21, v217
	ds_load_2addr_b64 v[21:24], v25 offset0:117 offset1:118
	v_add_f32_e32 v158, v29, v219
	ds_load_b64 v[28:29], v25 offset:952
	s_wait_loadcnt_dscnt 0x102
	v_mul_f32_e32 v157, v17, v10
	v_mul_f32_e32 v3, v18, v10
	;; [unrolled: 1-line block ×3, first 2 shown]
	s_delay_alu instid0(VALU_DEP_3) | instskip(NEXT) | instid1(VALU_DEP_3)
	v_fmac_f32_e32 v157, v18, v9
	v_fma_f32 v3, v17, v9, -v3
	s_delay_alu instid0(VALU_DEP_3) | instskip(NEXT) | instid1(VALU_DEP_2)
	v_fma_f32 v5, v19, v11, -v5
	v_add_f32_e32 v1, v1, v3
	s_delay_alu instid0(VALU_DEP_1) | instskip(SKIP_4) | instid1(VALU_DEP_3)
	v_add_f32_e32 v1, v1, v5
	s_wait_loadcnt_dscnt 0x0
	v_dual_mul_f32 v5, v29, v27 :: v_dual_mul_f32 v156, v23, v16
	v_dual_add_f32 v158, v158, v221 :: v_dual_mul_f32 v161, v21, v14
	v_mul_f32_e32 v3, v24, v16
	v_fmac_f32_e32 v156, v24, v15
	s_delay_alu instid0(VALU_DEP_3) | instskip(NEXT) | instid1(VALU_DEP_4)
	v_add_f32_e32 v158, v158, v223
	v_fmac_f32_e32 v161, v22, v13
	s_delay_alu instid0(VALU_DEP_4) | instskip(NEXT) | instid1(VALU_DEP_3)
	v_fma_f32 v3, v23, v15, -v3
	v_add_f32_e32 v32, v158, v32
	v_mul_f32_e32 v158, v19, v12
	s_delay_alu instid0(VALU_DEP_2) | instskip(NEXT) | instid1(VALU_DEP_2)
	v_add_f32_e32 v32, v32, v153
	v_fmac_f32_e32 v158, v20, v11
	v_mul_f32_e32 v153, v28, v27
	s_delay_alu instid0(VALU_DEP_1) | instskip(NEXT) | instid1(VALU_DEP_1)
	v_dual_add_f32 v4, v32, v159 :: v_dual_fmac_f32 v153, v29, v26
	v_add_f32_e32 v2, v4, v160
	v_mul_f32_e32 v4, v22, v14
	s_delay_alu instid0(VALU_DEP_2) | instskip(NEXT) | instid1(VALU_DEP_2)
	v_add_f32_e32 v2, v2, v157
	v_fma_f32 v4, v21, v13, -v4
	s_delay_alu instid0(VALU_DEP_1) | instskip(SKIP_1) | instid1(VALU_DEP_2)
	v_dual_add_f32 v2, v2, v158 :: v_dual_add_f32 v1, v1, v4
	v_fma_f32 v4, v28, v26, -v5
	v_dual_add_f32 v2, v2, v161 :: v_dual_add_f32 v1, v1, v3
	s_delay_alu instid0(VALU_DEP_1) | instskip(NEXT) | instid1(VALU_DEP_1)
	v_add_f32_e32 v2, v2, v156
	v_dual_add_f32 v1, v1, v4 :: v_dual_add_f32 v2, v2, v153
	s_delay_alu instid0(VALU_DEP_1)
	v_dual_sub_f32 v1, v30, v1 :: v_dual_sub_f32 v2, v31, v2
	scratch_store_b64 off, v[1:2], off offset:48
	v_cmpx_lt_u32_e32 5, v0
	s_cbranch_execz .LBB123_363
; %bb.362:
	scratch_load_b64 v[1:2], off, off offset:40
	v_mov_b32_e32 v26, v25
	scratch_store_b64 off, v[25:26], off offset:40
	s_wait_loadcnt 0x0
	ds_store_b64 v155, v[1:2]
.LBB123_363:
	s_wait_alu 0xfffe
	s_or_b32 exec_lo, exec_lo, s0
	s_wait_storecnt_dscnt 0x0
	s_barrier_signal -1
	s_barrier_wait -1
	global_inv scope:SCOPE_SE
	s_clause 0x4
	scratch_load_b128 v[5:8], off, off offset:48
	scratch_load_b128 v[1:4], off, off offset:64
	;; [unrolled: 1-line block ×5, first 2 shown]
	ds_load_b128 v[21:24], v25 offset:528
	ds_load_b128 v[26:29], v25 offset:544
	;; [unrolled: 1-line block ×3, first 2 shown]
	scratch_load_b64 v[30:31], off, off offset:40
	s_mov_b32 s0, exec_lo
	s_wait_loadcnt_dscnt 0x502
	v_dual_mul_f32 v32, v21, v6 :: v_dual_mul_f32 v153, v23, v8
	v_mul_f32_e32 v6, v22, v6
	v_mul_f32_e32 v8, v24, v8
	s_wait_loadcnt_dscnt 0x300
	v_mul_f32_e32 v154, v156, v10
	v_dual_fmac_f32 v32, v22, v5 :: v_dual_fmac_f32 v153, v24, v7
	v_fma_f32 v21, v21, v5, -v6
	v_fma_f32 v22, v23, v7, -v8
	ds_load_b128 v[5:8], v25 offset:576
	v_dual_mul_f32 v23, v26, v2 :: v_dual_mul_f32 v24, v28, v4
	v_mul_f32_e32 v4, v29, v4
	v_mul_f32_e32 v160, v158, v12
	;; [unrolled: 1-line block ×5, first 2 shown]
	v_dual_fmac_f32 v23, v27, v1 :: v_dual_fmac_f32 v24, v29, v3
	v_fma_f32 v27, v28, v3, -v4
	v_fmac_f32_e32 v154, v157, v9
	v_fmac_f32_e32 v160, v159, v11
	v_fma_f32 v28, v156, v9, -v10
	v_fma_f32 v29, v158, v11, -v12
	ds_load_b128 v[9:12], v25 offset:592
	s_wait_loadcnt_dscnt 0x201
	v_dual_mul_f32 v157, v7, v16 :: v_dual_mul_f32 v156, v5, v14
	v_mul_f32_e32 v14, v6, v14
	v_mul_f32_e32 v16, v8, v16
	s_delay_alu instid0(VALU_DEP_3)
	v_fmac_f32_e32 v157, v8, v15
	v_fma_f32 v26, v26, v1, -v2
	scratch_load_b128 v[1:4], off, off offset:128
	v_fmac_f32_e32 v156, v6, v13
	v_fma_f32 v13, v5, v13, -v14
	v_fma_f32 v14, v7, v15, -v16
	ds_load_b128 v[5:8], v25 offset:608
	s_wait_loadcnt_dscnt 0x201
	v_mul_f32_e32 v15, v9, v18
	v_mul_f32_e32 v16, v10, v18
	;; [unrolled: 1-line block ×3, first 2 shown]
	s_delay_alu instid0(VALU_DEP_3) | instskip(NEXT) | instid1(VALU_DEP_3)
	v_dual_mul_f32 v20, v12, v20 :: v_dual_fmac_f32 v15, v10, v17
	v_fma_f32 v16, v9, v17, -v16
	s_delay_alu instid0(VALU_DEP_3) | instskip(NEXT) | instid1(VALU_DEP_3)
	v_fmac_f32_e32 v18, v12, v19
	v_fma_f32 v17, v11, v19, -v20
	scratch_load_b128 v[9:12], off, off offset:144
	s_wait_loadcnt_dscnt 0x100
	v_mul_f32_e32 v19, v5, v2
	v_mul_f32_e32 v2, v6, v2
	;; [unrolled: 1-line block ×3, first 2 shown]
	s_delay_alu instid0(VALU_DEP_3) | instskip(NEXT) | instid1(VALU_DEP_3)
	v_dual_mul_f32 v4, v8, v4 :: v_dual_fmac_f32 v19, v6, v1
	v_fma_f32 v158, v5, v1, -v2
	s_delay_alu instid0(VALU_DEP_3) | instskip(NEXT) | instid1(VALU_DEP_3)
	v_fmac_f32_e32 v20, v8, v3
	v_fma_f32 v159, v7, v3, -v4
	ds_load_b128 v[1:4], v25 offset:624
	ds_load_b128 v[5:8], v25 offset:640
	s_wait_loadcnt_dscnt 0x1
	v_mul_f32_e32 v161, v1, v10
	v_mul_f32_e32 v10, v2, v10
	s_delay_alu instid0(VALU_DEP_2) | instskip(NEXT) | instid1(VALU_DEP_2)
	v_dual_mul_f32 v162, v3, v12 :: v_dual_fmac_f32 v161, v2, v9
	v_fma_f32 v163, v1, v9, -v10
	v_mul_f32_e32 v1, v4, v12
	s_delay_alu instid0(VALU_DEP_3) | instskip(NEXT) | instid1(VALU_DEP_2)
	v_fmac_f32_e32 v162, v4, v11
	v_fma_f32 v164, v3, v11, -v1
	s_clause 0x1
	scratch_load_b128 v[1:4], off, off offset:160
	scratch_load_b128 v[9:12], off, off offset:176
	s_wait_loadcnt_dscnt 0x100
	v_mul_f32_e32 v165, v5, v2
	v_dual_mul_f32 v2, v6, v2 :: v_dual_mul_f32 v167, v7, v4
	s_delay_alu instid0(VALU_DEP_2) | instskip(NEXT) | instid1(VALU_DEP_2)
	v_fmac_f32_e32 v165, v6, v1
	v_fma_f32 v166, v5, v1, -v2
	v_mul_f32_e32 v1, v8, v4
	s_delay_alu instid0(VALU_DEP_4) | instskip(NEXT) | instid1(VALU_DEP_2)
	v_fmac_f32_e32 v167, v8, v3
	v_fma_f32 v168, v7, v3, -v1
	ds_load_b128 v[1:4], v25 offset:656
	ds_load_b128 v[5:8], v25 offset:672
	s_wait_loadcnt_dscnt 0x1
	v_mul_f32_e32 v169, v1, v10
	v_mul_f32_e32 v171, v3, v12
	s_delay_alu instid0(VALU_DEP_2) | instskip(NEXT) | instid1(VALU_DEP_2)
	v_fmac_f32_e32 v169, v2, v9
	v_dual_mul_f32 v2, v2, v10 :: v_dual_fmac_f32 v171, v4, v11
	s_delay_alu instid0(VALU_DEP_1) | instskip(SKIP_1) | instid1(VALU_DEP_1)
	v_fma_f32 v170, v1, v9, -v2
	v_mul_f32_e32 v1, v4, v12
	v_fma_f32 v172, v3, v11, -v1
	s_clause 0x1
	scratch_load_b128 v[1:4], off, off offset:192
	scratch_load_b128 v[9:12], off, off offset:208
	s_wait_loadcnt_dscnt 0x100
	v_mul_f32_e32 v173, v5, v2
	v_dual_mul_f32 v2, v6, v2 :: v_dual_mul_f32 v175, v7, v4
	s_delay_alu instid0(VALU_DEP_2) | instskip(NEXT) | instid1(VALU_DEP_2)
	v_fmac_f32_e32 v173, v6, v1
	v_fma_f32 v174, v5, v1, -v2
	v_mul_f32_e32 v1, v8, v4
	s_delay_alu instid0(VALU_DEP_4) | instskip(NEXT) | instid1(VALU_DEP_2)
	v_fmac_f32_e32 v175, v8, v3
	v_fma_f32 v176, v7, v3, -v1
	ds_load_b128 v[1:4], v25 offset:688
	ds_load_b128 v[5:8], v25 offset:704
	s_wait_loadcnt_dscnt 0x1
	v_mul_f32_e32 v177, v1, v10
	v_mul_f32_e32 v179, v3, v12
	s_delay_alu instid0(VALU_DEP_2) | instskip(NEXT) | instid1(VALU_DEP_2)
	v_fmac_f32_e32 v177, v2, v9
	v_dual_mul_f32 v2, v2, v10 :: v_dual_fmac_f32 v179, v4, v11
	s_delay_alu instid0(VALU_DEP_1) | instskip(SKIP_1) | instid1(VALU_DEP_1)
	v_fma_f32 v178, v1, v9, -v2
	v_mul_f32_e32 v1, v4, v12
	v_fma_f32 v180, v3, v11, -v1
	s_clause 0x1
	scratch_load_b128 v[1:4], off, off offset:224
	scratch_load_b128 v[9:12], off, off offset:240
	s_wait_loadcnt_dscnt 0x100
	v_mul_f32_e32 v181, v5, v2
	v_dual_mul_f32 v2, v6, v2 :: v_dual_mul_f32 v183, v7, v4
	s_delay_alu instid0(VALU_DEP_2) | instskip(NEXT) | instid1(VALU_DEP_2)
	v_fmac_f32_e32 v181, v6, v1
	v_fma_f32 v182, v5, v1, -v2
	v_mul_f32_e32 v1, v8, v4
	s_delay_alu instid0(VALU_DEP_4) | instskip(NEXT) | instid1(VALU_DEP_2)
	v_fmac_f32_e32 v183, v8, v3
	v_fma_f32 v184, v7, v3, -v1
	ds_load_b128 v[1:4], v25 offset:720
	ds_load_b128 v[5:8], v25 offset:736
	s_wait_loadcnt_dscnt 0x1
	v_mul_f32_e32 v185, v1, v10
	v_mul_f32_e32 v187, v3, v12
	s_delay_alu instid0(VALU_DEP_2) | instskip(NEXT) | instid1(VALU_DEP_2)
	v_fmac_f32_e32 v185, v2, v9
	v_dual_mul_f32 v2, v2, v10 :: v_dual_fmac_f32 v187, v4, v11
	s_delay_alu instid0(VALU_DEP_1) | instskip(SKIP_1) | instid1(VALU_DEP_1)
	v_fma_f32 v186, v1, v9, -v2
	v_mul_f32_e32 v1, v4, v12
	v_fma_f32 v188, v3, v11, -v1
	s_clause 0x1
	scratch_load_b128 v[1:4], off, off offset:256
	scratch_load_b128 v[9:12], off, off offset:272
	s_wait_loadcnt_dscnt 0x100
	v_mul_f32_e32 v189, v5, v2
	v_dual_mul_f32 v2, v6, v2 :: v_dual_mul_f32 v191, v7, v4
	s_delay_alu instid0(VALU_DEP_2) | instskip(NEXT) | instid1(VALU_DEP_2)
	v_fmac_f32_e32 v189, v6, v1
	v_fma_f32 v190, v5, v1, -v2
	v_mul_f32_e32 v1, v8, v4
	s_delay_alu instid0(VALU_DEP_4) | instskip(NEXT) | instid1(VALU_DEP_2)
	v_fmac_f32_e32 v191, v8, v3
	v_fma_f32 v192, v7, v3, -v1
	ds_load_b128 v[1:4], v25 offset:752
	ds_load_b128 v[5:8], v25 offset:768
	s_wait_loadcnt_dscnt 0x1
	v_mul_f32_e32 v193, v1, v10
	v_mul_f32_e32 v195, v3, v12
	s_delay_alu instid0(VALU_DEP_2) | instskip(NEXT) | instid1(VALU_DEP_2)
	v_fmac_f32_e32 v193, v2, v9
	v_dual_mul_f32 v2, v2, v10 :: v_dual_fmac_f32 v195, v4, v11
	s_delay_alu instid0(VALU_DEP_1) | instskip(SKIP_1) | instid1(VALU_DEP_1)
	v_fma_f32 v194, v1, v9, -v2
	v_mul_f32_e32 v1, v4, v12
	v_fma_f32 v196, v3, v11, -v1
	s_clause 0x1
	scratch_load_b128 v[1:4], off, off offset:288
	scratch_load_b128 v[9:12], off, off offset:304
	s_wait_loadcnt_dscnt 0x100
	v_mul_f32_e32 v197, v5, v2
	v_dual_mul_f32 v2, v6, v2 :: v_dual_mul_f32 v199, v7, v4
	s_delay_alu instid0(VALU_DEP_2) | instskip(NEXT) | instid1(VALU_DEP_2)
	v_fmac_f32_e32 v197, v6, v1
	v_fma_f32 v198, v5, v1, -v2
	v_mul_f32_e32 v1, v8, v4
	s_delay_alu instid0(VALU_DEP_4) | instskip(NEXT) | instid1(VALU_DEP_2)
	v_fmac_f32_e32 v199, v8, v3
	v_fma_f32 v200, v7, v3, -v1
	ds_load_b128 v[1:4], v25 offset:784
	ds_load_b128 v[5:8], v25 offset:800
	s_wait_loadcnt_dscnt 0x1
	v_mul_f32_e32 v201, v1, v10
	v_mul_f32_e32 v203, v3, v12
	s_delay_alu instid0(VALU_DEP_2) | instskip(NEXT) | instid1(VALU_DEP_2)
	v_fmac_f32_e32 v201, v2, v9
	v_dual_mul_f32 v2, v2, v10 :: v_dual_fmac_f32 v203, v4, v11
	s_delay_alu instid0(VALU_DEP_1) | instskip(SKIP_1) | instid1(VALU_DEP_1)
	v_fma_f32 v202, v1, v9, -v2
	v_mul_f32_e32 v1, v4, v12
	v_fma_f32 v204, v3, v11, -v1
	s_clause 0x1
	scratch_load_b128 v[1:4], off, off offset:320
	scratch_load_b128 v[9:12], off, off offset:336
	s_wait_loadcnt_dscnt 0x100
	v_mul_f32_e32 v205, v5, v2
	v_dual_mul_f32 v2, v6, v2 :: v_dual_mul_f32 v207, v7, v4
	s_delay_alu instid0(VALU_DEP_2) | instskip(NEXT) | instid1(VALU_DEP_2)
	v_fmac_f32_e32 v205, v6, v1
	v_fma_f32 v206, v5, v1, -v2
	v_mul_f32_e32 v1, v8, v4
	s_delay_alu instid0(VALU_DEP_4) | instskip(NEXT) | instid1(VALU_DEP_2)
	v_fmac_f32_e32 v207, v8, v3
	v_fma_f32 v208, v7, v3, -v1
	ds_load_b128 v[1:4], v25 offset:816
	ds_load_b128 v[5:8], v25 offset:832
	s_wait_loadcnt_dscnt 0x1
	v_mul_f32_e32 v209, v1, v10
	v_mul_f32_e32 v211, v3, v12
	s_delay_alu instid0(VALU_DEP_2) | instskip(NEXT) | instid1(VALU_DEP_2)
	v_fmac_f32_e32 v209, v2, v9
	v_dual_mul_f32 v2, v2, v10 :: v_dual_fmac_f32 v211, v4, v11
	s_delay_alu instid0(VALU_DEP_1) | instskip(SKIP_1) | instid1(VALU_DEP_1)
	v_fma_f32 v210, v1, v9, -v2
	v_mul_f32_e32 v1, v4, v12
	v_fma_f32 v212, v3, v11, -v1
	s_clause 0x1
	scratch_load_b128 v[1:4], off, off offset:352
	scratch_load_b128 v[9:12], off, off offset:368
	s_wait_loadcnt_dscnt 0x100
	v_mul_f32_e32 v213, v5, v2
	v_dual_mul_f32 v2, v6, v2 :: v_dual_mul_f32 v215, v7, v4
	s_delay_alu instid0(VALU_DEP_2) | instskip(NEXT) | instid1(VALU_DEP_2)
	v_fmac_f32_e32 v213, v6, v1
	v_fma_f32 v214, v5, v1, -v2
	v_mul_f32_e32 v1, v8, v4
	s_delay_alu instid0(VALU_DEP_4) | instskip(NEXT) | instid1(VALU_DEP_2)
	v_fmac_f32_e32 v215, v8, v3
	v_fma_f32 v216, v7, v3, -v1
	ds_load_b128 v[1:4], v25 offset:848
	ds_load_b128 v[5:8], v25 offset:864
	s_wait_loadcnt_dscnt 0x1
	v_mul_f32_e32 v217, v1, v10
	v_mul_f32_e32 v219, v3, v12
	s_delay_alu instid0(VALU_DEP_2) | instskip(NEXT) | instid1(VALU_DEP_2)
	v_fmac_f32_e32 v217, v2, v9
	v_dual_mul_f32 v2, v2, v10 :: v_dual_fmac_f32 v219, v4, v11
	s_delay_alu instid0(VALU_DEP_1) | instskip(SKIP_1) | instid1(VALU_DEP_1)
	v_fma_f32 v218, v1, v9, -v2
	v_mul_f32_e32 v1, v4, v12
	v_fma_f32 v220, v3, v11, -v1
	s_clause 0x1
	scratch_load_b128 v[1:4], off, off offset:384
	scratch_load_b128 v[9:12], off, off offset:400
	s_wait_loadcnt_dscnt 0x100
	v_mul_f32_e32 v221, v5, v2
	v_mul_f32_e32 v2, v6, v2
	s_delay_alu instid0(VALU_DEP_2) | instskip(NEXT) | instid1(VALU_DEP_2)
	v_fmac_f32_e32 v221, v6, v1
	v_fma_f32 v222, v5, v1, -v2
	v_add_f32_e32 v2, 0, v32
	s_delay_alu instid0(VALU_DEP_1) | instskip(NEXT) | instid1(VALU_DEP_1)
	v_dual_mul_f32 v1, v8, v4 :: v_dual_add_f32 v2, v2, v153
	v_fma_f32 v224, v7, v3, -v1
	s_delay_alu instid0(VALU_DEP_2) | instskip(NEXT) | instid1(VALU_DEP_1)
	v_add_f32_e32 v2, v2, v23
	v_add_f32_e32 v2, v2, v24
	s_delay_alu instid0(VALU_DEP_1) | instskip(NEXT) | instid1(VALU_DEP_1)
	v_add_f32_e32 v2, v2, v154
	v_add_f32_e32 v2, v2, v160
	s_delay_alu instid0(VALU_DEP_1) | instskip(NEXT) | instid1(VALU_DEP_1)
	;; [unrolled: 3-line block ×7, first 2 shown]
	v_add_f32_e32 v2, v2, v169
	v_dual_add_f32 v1, 0, v21 :: v_dual_add_f32 v2, v2, v171
	s_delay_alu instid0(VALU_DEP_1) | instskip(NEXT) | instid1(VALU_DEP_1)
	v_dual_add_f32 v1, v1, v22 :: v_dual_add_f32 v2, v2, v173
	v_dual_add_f32 v1, v1, v26 :: v_dual_add_f32 v2, v2, v175
	s_delay_alu instid0(VALU_DEP_1) | instskip(NEXT) | instid1(VALU_DEP_1)
	v_dual_add_f32 v1, v1, v27 :: v_dual_add_f32 v2, v2, v177
	v_dual_add_f32 v1, v1, v28 :: v_dual_add_f32 v2, v2, v179
	s_delay_alu instid0(VALU_DEP_1) | instskip(NEXT) | instid1(VALU_DEP_1)
	v_add_f32_e32 v1, v1, v29
	v_add_f32_e32 v1, v1, v13
	s_delay_alu instid0(VALU_DEP_1) | instskip(NEXT) | instid1(VALU_DEP_1)
	v_add_f32_e32 v1, v1, v14
	v_add_f32_e32 v1, v1, v16
	;; [unrolled: 3-line block ×13, first 2 shown]
	v_add_f32_e32 v2, v2, v181
	s_delay_alu instid0(VALU_DEP_2) | instskip(NEXT) | instid1(VALU_DEP_2)
	v_add_f32_e32 v14, v6, v200
	v_dual_add_f32 v2, v2, v183 :: v_dual_mul_f32 v223, v7, v4
	s_delay_alu instid0(VALU_DEP_2) | instskip(NEXT) | instid1(VALU_DEP_2)
	v_add_f32_e32 v14, v14, v202
	v_dual_add_f32 v2, v2, v185 :: v_dual_fmac_f32 v223, v8, v3
	s_delay_alu instid0(VALU_DEP_2) | instskip(NEXT) | instid1(VALU_DEP_1)
	v_add_f32_e32 v17, v14, v204
	v_dual_add_f32 v2, v2, v187 :: v_dual_add_f32 v17, v17, v206
	s_delay_alu instid0(VALU_DEP_1) | instskip(NEXT) | instid1(VALU_DEP_1)
	v_dual_add_f32 v2, v2, v189 :: v_dual_add_f32 v17, v17, v208
	v_dual_add_f32 v2, v2, v191 :: v_dual_add_f32 v17, v17, v210
	s_delay_alu instid0(VALU_DEP_1) | instskip(NEXT) | instid1(VALU_DEP_1)
	v_add_f32_e32 v2, v2, v193
	v_dual_add_f32 v22, v17, v212 :: v_dual_add_f32 v5, v2, v195
	ds_load_b128 v[1:4], v25 offset:880
	v_dual_add_f32 v22, v22, v214 :: v_dual_add_f32 v13, v5, v197
	scratch_load_b128 v[5:8], off, off offset:416
	v_dual_add_f32 v22, v22, v216 :: v_dual_add_f32 v13, v13, v199
	s_delay_alu instid0(VALU_DEP_1) | instskip(NEXT) | instid1(VALU_DEP_1)
	v_add_f32_e32 v13, v13, v201
	v_add_f32_e32 v18, v13, v203
	ds_load_b128 v[13:16], v25 offset:896
	s_wait_loadcnt_dscnt 0x101
	v_mul_f32_e32 v26, v1, v10
	v_dual_mul_f32 v10, v2, v10 :: v_dual_mul_f32 v27, v3, v12
	v_mul_f32_e32 v12, v4, v12
	s_delay_alu instid0(VALU_DEP_3) | instskip(NEXT) | instid1(VALU_DEP_3)
	v_fmac_f32_e32 v26, v2, v9
	v_fma_f32 v28, v1, v9, -v10
	s_delay_alu instid0(VALU_DEP_4) | instskip(NEXT) | instid1(VALU_DEP_4)
	v_fmac_f32_e32 v27, v4, v11
	v_fma_f32 v29, v3, v11, -v12
	s_clause 0x1
	scratch_load_b128 v[1:4], off, off offset:432
	scratch_load_b128 v[9:12], off, off offset:448
	s_wait_loadcnt_dscnt 0x200
	v_mul_f32_e32 v153, v15, v8
	v_mul_f32_e32 v8, v16, v8
	v_add_f32_e32 v18, v18, v205
	v_mul_f32_e32 v32, v13, v6
	s_delay_alu instid0(VALU_DEP_4) | instskip(NEXT) | instid1(VALU_DEP_4)
	v_dual_mul_f32 v6, v14, v6 :: v_dual_fmac_f32 v153, v16, v7
	v_fma_f32 v156, v15, v7, -v8
	s_delay_alu instid0(VALU_DEP_4) | instskip(NEXT) | instid1(VALU_DEP_4)
	v_add_f32_e32 v18, v18, v207
	v_fmac_f32_e32 v32, v14, v5
	s_delay_alu instid0(VALU_DEP_4) | instskip(SKIP_4) | instid1(VALU_DEP_1)
	v_fma_f32 v154, v13, v5, -v6
	ds_load_b128 v[5:8], v25 offset:912
	v_add_f32_e32 v21, v18, v209
	scratch_load_b128 v[17:20], off, off offset:464
	v_add_f32_e32 v21, v21, v211
	v_add_f32_e32 v21, v21, v213
	s_delay_alu instid0(VALU_DEP_1) | instskip(NEXT) | instid1(VALU_DEP_1)
	v_add_f32_e32 v13, v21, v215
	v_dual_add_f32 v21, v22, v218 :: v_dual_add_f32 v22, v13, v217
	s_delay_alu instid0(VALU_DEP_1) | instskip(SKIP_4) | instid1(VALU_DEP_1)
	v_add_f32_e32 v157, v21, v220
	ds_load_b128 v[13:16], v25 offset:928
	v_add_f32_e32 v158, v22, v219
	ds_load_b128 v[21:24], v25 offset:944
	v_add_f32_e32 v25, v157, v222
	v_add_f32_e32 v25, v25, v224
	s_delay_alu instid0(VALU_DEP_1)
	v_add_f32_e32 v25, v25, v28
	s_wait_loadcnt_dscnt 0x202
	v_mul_f32_e32 v28, v7, v4
	v_dual_mul_f32 v4, v8, v4 :: v_dual_add_f32 v157, v158, v221
	v_mul_f32_e32 v158, v5, v2
	v_dual_add_f32 v25, v25, v29 :: v_dual_mul_f32 v2, v6, v2
	s_delay_alu instid0(VALU_DEP_4) | instskip(NEXT) | instid1(VALU_DEP_3)
	v_fmac_f32_e32 v28, v8, v3
	v_dual_add_f32 v157, v157, v223 :: v_dual_fmac_f32 v158, v6, v1
	s_delay_alu instid0(VALU_DEP_3) | instskip(NEXT) | instid1(VALU_DEP_4)
	v_add_f32_e32 v25, v25, v154
	v_fma_f32 v2, v5, v1, -v2
	s_wait_loadcnt_dscnt 0x101
	v_mul_f32_e32 v6, v14, v10
	v_add_f32_e32 v26, v157, v26
	v_mul_f32_e32 v157, v13, v10
	v_add_f32_e32 v1, v25, v156
	v_fma_f32 v3, v7, v3, -v4
	s_delay_alu instid0(VALU_DEP_4) | instskip(NEXT) | instid1(VALU_DEP_3)
	v_dual_mul_f32 v159, v15, v12 :: v_dual_add_f32 v26, v26, v27
	v_dual_mul_f32 v4, v16, v12 :: v_dual_add_f32 v1, v1, v2
	v_fmac_f32_e32 v157, v14, v9
	s_delay_alu instid0(VALU_DEP_3) | instskip(NEXT) | instid1(VALU_DEP_3)
	v_dual_fmac_f32 v159, v16, v11 :: v_dual_add_f32 v26, v26, v32
	v_fma_f32 v4, v15, v11, -v4
	s_delay_alu instid0(VALU_DEP_4) | instskip(NEXT) | instid1(VALU_DEP_3)
	v_add_f32_e32 v1, v1, v3
	v_add_f32_e32 v5, v26, v153
	s_delay_alu instid0(VALU_DEP_1) | instskip(SKIP_1) | instid1(VALU_DEP_1)
	v_add_f32_e32 v2, v5, v158
	v_fma_f32 v5, v13, v9, -v6
	v_dual_add_f32 v2, v2, v28 :: v_dual_add_f32 v1, v1, v5
	s_delay_alu instid0(VALU_DEP_1) | instskip(SKIP_1) | instid1(VALU_DEP_1)
	v_dual_add_f32 v2, v2, v157 :: v_dual_add_f32 v1, v1, v4
	s_wait_loadcnt_dscnt 0x0
	v_dual_add_f32 v2, v2, v159 :: v_dual_mul_f32 v27, v21, v18
	v_mul_f32_e32 v3, v22, v18
	v_mul_f32_e32 v29, v23, v20
	;; [unrolled: 1-line block ×3, first 2 shown]
	s_delay_alu instid0(VALU_DEP_4) | instskip(NEXT) | instid1(VALU_DEP_4)
	v_fmac_f32_e32 v27, v22, v17
	v_fma_f32 v3, v21, v17, -v3
	s_delay_alu instid0(VALU_DEP_4) | instskip(NEXT) | instid1(VALU_DEP_4)
	v_fmac_f32_e32 v29, v24, v19
	v_fma_f32 v4, v23, v19, -v5
	s_delay_alu instid0(VALU_DEP_4) | instskip(NEXT) | instid1(VALU_DEP_1)
	v_add_f32_e32 v2, v2, v27
	v_dual_add_f32 v1, v1, v3 :: v_dual_add_f32 v2, v2, v29
	s_delay_alu instid0(VALU_DEP_1) | instskip(NEXT) | instid1(VALU_DEP_1)
	v_dual_add_f32 v1, v1, v4 :: v_dual_sub_f32 v2, v31, v2
	v_sub_f32_e32 v1, v30, v1
	scratch_store_b64 off, v[1:2], off offset:40
	v_cmpx_lt_u32_e32 4, v0
	s_cbranch_execz .LBB123_365
; %bb.364:
	scratch_load_b64 v[1:2], off, off offset:32
	v_mov_b32_e32 v3, 0
	s_delay_alu instid0(VALU_DEP_1)
	v_mov_b32_e32 v4, v3
	scratch_store_b64 off, v[3:4], off offset:32
	s_wait_loadcnt 0x0
	ds_store_b64 v155, v[1:2]
.LBB123_365:
	s_wait_alu 0xfffe
	s_or_b32 exec_lo, exec_lo, s0
	s_wait_storecnt_dscnt 0x0
	s_barrier_signal -1
	s_barrier_wait -1
	global_inv scope:SCOPE_SE
	s_clause 0x4
	scratch_load_b128 v[5:8], off, off offset:40
	scratch_load_b128 v[1:4], off, off offset:56
	;; [unrolled: 1-line block ×5, first 2 shown]
	v_mov_b32_e32 v29, 0
	ds_load_2addr_b64 v[21:24], v29 offset0:65 offset1:66
	ds_load_2addr_b64 v[25:28], v29 offset0:67 offset1:68
	;; [unrolled: 1-line block ×3, first 2 shown]
	scratch_load_b64 v[30:31], off, off offset:32
	s_mov_b32 s0, exec_lo
	s_wait_loadcnt_dscnt 0x502
	v_dual_mul_f32 v32, v21, v6 :: v_dual_mul_f32 v153, v23, v8
	v_mul_f32_e32 v6, v22, v6
	v_mul_f32_e32 v8, v24, v8
	s_wait_loadcnt_dscnt 0x300
	v_mul_f32_e32 v154, v156, v10
	v_dual_fmac_f32 v32, v22, v5 :: v_dual_fmac_f32 v153, v24, v7
	v_fma_f32 v21, v21, v5, -v6
	v_fma_f32 v22, v23, v7, -v8
	ds_load_2addr_b64 v[5:8], v29 offset0:71 offset1:72
	v_dual_mul_f32 v23, v25, v2 :: v_dual_mul_f32 v24, v27, v4
	v_mul_f32_e32 v4, v28, v4
	v_mul_f32_e32 v160, v158, v12
	;; [unrolled: 1-line block ×5, first 2 shown]
	v_dual_fmac_f32 v23, v26, v1 :: v_dual_fmac_f32 v24, v28, v3
	v_fma_f32 v26, v27, v3, -v4
	v_fmac_f32_e32 v154, v157, v9
	v_fmac_f32_e32 v160, v159, v11
	v_fma_f32 v27, v156, v9, -v10
	v_fma_f32 v28, v158, v11, -v12
	ds_load_2addr_b64 v[9:12], v29 offset0:73 offset1:74
	s_wait_loadcnt_dscnt 0x201
	v_mul_f32_e32 v157, v7, v16
	v_fma_f32 v25, v25, v1, -v2
	scratch_load_b128 v[1:4], off, off offset:120
	v_mul_f32_e32 v156, v5, v14
	v_mul_f32_e32 v14, v6, v14
	v_mul_f32_e32 v16, v8, v16
	s_delay_alu instid0(VALU_DEP_3) | instskip(NEXT) | instid1(VALU_DEP_3)
	v_dual_fmac_f32 v157, v8, v15 :: v_dual_fmac_f32 v156, v6, v13
	v_fma_f32 v13, v5, v13, -v14
	s_delay_alu instid0(VALU_DEP_3)
	v_fma_f32 v14, v7, v15, -v16
	ds_load_2addr_b64 v[5:8], v29 offset0:75 offset1:76
	s_wait_loadcnt_dscnt 0x201
	v_mul_f32_e32 v15, v9, v18
	v_mul_f32_e32 v16, v10, v18
	;; [unrolled: 1-line block ×3, first 2 shown]
	s_delay_alu instid0(VALU_DEP_3) | instskip(NEXT) | instid1(VALU_DEP_3)
	v_dual_mul_f32 v20, v12, v20 :: v_dual_fmac_f32 v15, v10, v17
	v_fma_f32 v16, v9, v17, -v16
	s_delay_alu instid0(VALU_DEP_3) | instskip(NEXT) | instid1(VALU_DEP_3)
	v_fmac_f32_e32 v18, v12, v19
	v_fma_f32 v17, v11, v19, -v20
	scratch_load_b128 v[9:12], off, off offset:136
	s_wait_loadcnt_dscnt 0x100
	v_mul_f32_e32 v19, v5, v2
	v_mul_f32_e32 v2, v6, v2
	;; [unrolled: 1-line block ×3, first 2 shown]
	s_delay_alu instid0(VALU_DEP_3) | instskip(NEXT) | instid1(VALU_DEP_3)
	v_dual_mul_f32 v4, v8, v4 :: v_dual_fmac_f32 v19, v6, v1
	v_fma_f32 v158, v5, v1, -v2
	s_delay_alu instid0(VALU_DEP_3) | instskip(NEXT) | instid1(VALU_DEP_3)
	v_fmac_f32_e32 v20, v8, v3
	v_fma_f32 v159, v7, v3, -v4
	ds_load_2addr_b64 v[1:4], v29 offset0:77 offset1:78
	ds_load_2addr_b64 v[5:8], v29 offset0:79 offset1:80
	s_wait_loadcnt_dscnt 0x1
	v_mul_f32_e32 v161, v1, v10
	v_mul_f32_e32 v10, v2, v10
	s_delay_alu instid0(VALU_DEP_2) | instskip(NEXT) | instid1(VALU_DEP_2)
	v_dual_mul_f32 v162, v3, v12 :: v_dual_fmac_f32 v161, v2, v9
	v_fma_f32 v163, v1, v9, -v10
	v_mul_f32_e32 v1, v4, v12
	s_delay_alu instid0(VALU_DEP_3) | instskip(NEXT) | instid1(VALU_DEP_2)
	v_fmac_f32_e32 v162, v4, v11
	v_fma_f32 v164, v3, v11, -v1
	s_clause 0x1
	scratch_load_b128 v[1:4], off, off offset:152
	scratch_load_b128 v[9:12], off, off offset:168
	s_wait_loadcnt_dscnt 0x100
	v_mul_f32_e32 v165, v5, v2
	v_dual_mul_f32 v2, v6, v2 :: v_dual_mul_f32 v167, v7, v4
	s_delay_alu instid0(VALU_DEP_2) | instskip(NEXT) | instid1(VALU_DEP_2)
	v_fmac_f32_e32 v165, v6, v1
	v_fma_f32 v166, v5, v1, -v2
	v_mul_f32_e32 v1, v8, v4
	s_delay_alu instid0(VALU_DEP_4) | instskip(NEXT) | instid1(VALU_DEP_2)
	v_fmac_f32_e32 v167, v8, v3
	v_fma_f32 v168, v7, v3, -v1
	ds_load_2addr_b64 v[1:4], v29 offset0:81 offset1:82
	ds_load_2addr_b64 v[5:8], v29 offset0:83 offset1:84
	s_wait_loadcnt_dscnt 0x1
	v_mul_f32_e32 v169, v1, v10
	v_mul_f32_e32 v171, v3, v12
	s_delay_alu instid0(VALU_DEP_2) | instskip(NEXT) | instid1(VALU_DEP_2)
	v_fmac_f32_e32 v169, v2, v9
	v_dual_mul_f32 v2, v2, v10 :: v_dual_fmac_f32 v171, v4, v11
	s_delay_alu instid0(VALU_DEP_1) | instskip(SKIP_1) | instid1(VALU_DEP_1)
	v_fma_f32 v170, v1, v9, -v2
	v_mul_f32_e32 v1, v4, v12
	v_fma_f32 v172, v3, v11, -v1
	s_clause 0x1
	scratch_load_b128 v[1:4], off, off offset:184
	scratch_load_b128 v[9:12], off, off offset:200
	s_wait_loadcnt_dscnt 0x100
	v_mul_f32_e32 v173, v5, v2
	v_dual_mul_f32 v2, v6, v2 :: v_dual_mul_f32 v175, v7, v4
	s_delay_alu instid0(VALU_DEP_2) | instskip(NEXT) | instid1(VALU_DEP_2)
	v_fmac_f32_e32 v173, v6, v1
	v_fma_f32 v174, v5, v1, -v2
	v_mul_f32_e32 v1, v8, v4
	s_delay_alu instid0(VALU_DEP_4) | instskip(NEXT) | instid1(VALU_DEP_2)
	v_fmac_f32_e32 v175, v8, v3
	v_fma_f32 v176, v7, v3, -v1
	ds_load_2addr_b64 v[1:4], v29 offset0:85 offset1:86
	ds_load_2addr_b64 v[5:8], v29 offset0:87 offset1:88
	s_wait_loadcnt_dscnt 0x1
	v_mul_f32_e32 v177, v1, v10
	v_mul_f32_e32 v179, v3, v12
	s_delay_alu instid0(VALU_DEP_2) | instskip(NEXT) | instid1(VALU_DEP_2)
	v_fmac_f32_e32 v177, v2, v9
	v_dual_mul_f32 v2, v2, v10 :: v_dual_fmac_f32 v179, v4, v11
	s_delay_alu instid0(VALU_DEP_1) | instskip(SKIP_1) | instid1(VALU_DEP_1)
	v_fma_f32 v178, v1, v9, -v2
	v_mul_f32_e32 v1, v4, v12
	;; [unrolled: 25-line block ×7, first 2 shown]
	v_fma_f32 v220, v3, v11, -v1
	s_clause 0x1
	scratch_load_b128 v[1:4], off, off offset:376
	scratch_load_b128 v[9:12], off, off offset:392
	s_wait_loadcnt_dscnt 0x100
	v_mul_f32_e32 v221, v5, v2
	v_dual_mul_f32 v2, v6, v2 :: v_dual_mul_f32 v223, v7, v4
	s_delay_alu instid0(VALU_DEP_2) | instskip(NEXT) | instid1(VALU_DEP_2)
	v_fmac_f32_e32 v221, v6, v1
	v_fma_f32 v222, v5, v1, -v2
	v_add_f32_e32 v2, 0, v32
	s_delay_alu instid0(VALU_DEP_1) | instskip(NEXT) | instid1(VALU_DEP_1)
	v_dual_mul_f32 v1, v8, v4 :: v_dual_add_f32 v2, v2, v153
	v_fma_f32 v224, v7, v3, -v1
	s_delay_alu instid0(VALU_DEP_2) | instskip(NEXT) | instid1(VALU_DEP_1)
	v_add_f32_e32 v2, v2, v23
	v_add_f32_e32 v2, v2, v24
	s_delay_alu instid0(VALU_DEP_1) | instskip(NEXT) | instid1(VALU_DEP_1)
	v_add_f32_e32 v2, v2, v154
	v_add_f32_e32 v2, v2, v160
	s_delay_alu instid0(VALU_DEP_1) | instskip(NEXT) | instid1(VALU_DEP_1)
	;; [unrolled: 3-line block ×7, first 2 shown]
	v_add_f32_e32 v2, v2, v169
	v_dual_add_f32 v1, 0, v21 :: v_dual_add_f32 v2, v2, v171
	s_delay_alu instid0(VALU_DEP_1) | instskip(NEXT) | instid1(VALU_DEP_1)
	v_dual_add_f32 v1, v1, v22 :: v_dual_add_f32 v2, v2, v173
	v_dual_add_f32 v1, v1, v25 :: v_dual_add_f32 v2, v2, v175
	s_delay_alu instid0(VALU_DEP_1) | instskip(SKIP_2) | instid1(VALU_DEP_1)
	v_add_f32_e32 v1, v1, v26
	scratch_load_b64 v[25:26], off, off offset:472
	v_dual_add_f32 v2, v2, v177 :: v_dual_add_f32 v1, v1, v27
	v_dual_add_f32 v2, v2, v179 :: v_dual_add_f32 v1, v1, v28
	s_delay_alu instid0(VALU_DEP_1) | instskip(NEXT) | instid1(VALU_DEP_1)
	v_add_f32_e32 v1, v1, v13
	v_add_f32_e32 v1, v1, v14
	s_delay_alu instid0(VALU_DEP_1) | instskip(NEXT) | instid1(VALU_DEP_1)
	v_add_f32_e32 v1, v1, v16
	v_add_f32_e32 v1, v1, v17
	;; [unrolled: 3-line block ×12, first 2 shown]
	s_delay_alu instid0(VALU_DEP_1) | instskip(SKIP_1) | instid1(VALU_DEP_2)
	v_add_f32_e32 v6, v1, v198
	v_add_f32_e32 v2, v2, v181
	;; [unrolled: 1-line block ×3, first 2 shown]
	s_delay_alu instid0(VALU_DEP_2) | instskip(NEXT) | instid1(VALU_DEP_2)
	v_add_f32_e32 v2, v2, v183
	v_add_f32_e32 v14, v14, v202
	s_delay_alu instid0(VALU_DEP_2) | instskip(NEXT) | instid1(VALU_DEP_2)
	v_add_f32_e32 v2, v2, v185
	v_add_f32_e32 v17, v14, v204
	s_delay_alu instid0(VALU_DEP_1) | instskip(NEXT) | instid1(VALU_DEP_1)
	v_dual_add_f32 v2, v2, v187 :: v_dual_add_f32 v17, v17, v206
	v_dual_add_f32 v2, v2, v189 :: v_dual_add_f32 v17, v17, v208
	s_delay_alu instid0(VALU_DEP_1) | instskip(NEXT) | instid1(VALU_DEP_1)
	v_dual_add_f32 v2, v2, v191 :: v_dual_add_f32 v17, v17, v210
	v_add_f32_e32 v2, v2, v193
	s_delay_alu instid0(VALU_DEP_1) | instskip(NEXT) | instid1(VALU_DEP_1)
	v_dual_add_f32 v22, v17, v212 :: v_dual_add_f32 v5, v2, v195
	v_dual_add_f32 v22, v22, v214 :: v_dual_add_f32 v13, v5, v197
	s_delay_alu instid0(VALU_DEP_1) | instskip(NEXT) | instid1(VALU_DEP_1)
	v_dual_add_f32 v22, v22, v216 :: v_dual_add_f32 v13, v13, v199
	v_dual_add_f32 v22, v22, v218 :: v_dual_add_f32 v13, v13, v201
	s_delay_alu instid0(VALU_DEP_1)
	v_add_f32_e32 v18, v13, v203
	v_fmac_f32_e32 v223, v8, v3
	scratch_load_b128 v[1:4], off, off offset:408
	ds_load_2addr_b64 v[5:8], v29 offset0:109 offset1:110
	ds_load_2addr_b64 v[13:16], v29 offset0:111 offset1:112
	s_wait_loadcnt_dscnt 0x201
	v_mul_f32_e32 v32, v5, v10
	v_dual_mul_f32 v10, v6, v10 :: v_dual_mul_f32 v153, v7, v12
	v_mul_f32_e32 v12, v8, v12
	s_delay_alu instid0(VALU_DEP_3) | instskip(NEXT) | instid1(VALU_DEP_3)
	v_fmac_f32_e32 v32, v6, v9
	v_fma_f32 v154, v5, v9, -v10
	s_delay_alu instid0(VALU_DEP_4) | instskip(NEXT) | instid1(VALU_DEP_4)
	v_fmac_f32_e32 v153, v8, v11
	v_fma_f32 v156, v7, v11, -v12
	s_clause 0x1
	scratch_load_b128 v[5:8], off, off offset:424
	scratch_load_b128 v[9:12], off, off offset:440
	s_wait_loadcnt_dscnt 0x200
	v_mul_f32_e32 v158, v15, v4
	v_mul_f32_e32 v4, v16, v4
	v_dual_add_f32 v18, v18, v205 :: v_dual_mul_f32 v157, v13, v2
	v_mul_f32_e32 v2, v14, v2
	s_delay_alu instid0(VALU_DEP_4) | instskip(NEXT) | instid1(VALU_DEP_4)
	v_fmac_f32_e32 v158, v16, v3
	v_fma_f32 v160, v15, v3, -v4
	s_delay_alu instid0(VALU_DEP_4)
	v_add_f32_e32 v18, v18, v207
	v_fmac_f32_e32 v157, v14, v1
	v_add_f32_e32 v14, v22, v220
	v_fma_f32 v159, v13, v1, -v2
	ds_load_2addr_b64 v[1:4], v29 offset0:113 offset1:114
	v_add_f32_e32 v21, v18, v209
	scratch_load_b128 v[17:20], off, off offset:456
	v_add_f32_e32 v27, v14, v222
	v_add_f32_e32 v21, v21, v211
	s_delay_alu instid0(VALU_DEP_2) | instskip(NEXT) | instid1(VALU_DEP_2)
	v_add_f32_e32 v161, v27, v224
	v_add_f32_e32 v21, v21, v213
	s_delay_alu instid0(VALU_DEP_2) | instskip(NEXT) | instid1(VALU_DEP_1)
	v_add_f32_e32 v154, v161, v154
	v_dual_add_f32 v21, v21, v215 :: v_dual_add_f32 v154, v154, v156
	s_delay_alu instid0(VALU_DEP_1) | instskip(NEXT) | instid1(VALU_DEP_1)
	v_dual_add_f32 v13, v21, v217 :: v_dual_add_f32 v154, v154, v159
	v_add_f32_e32 v21, v13, v219
	ds_load_2addr_b64 v[13:16], v29 offset0:115 offset1:116
	s_wait_loadcnt_dscnt 0x201
	v_mul_f32_e32 v161, v1, v6
	v_mul_f32_e32 v6, v2, v6
	v_add_f32_e32 v154, v154, v160
	v_add_f32_e32 v28, v21, v221
	ds_load_2addr_b64 v[21:24], v29 offset0:117 offset1:118
	v_fmac_f32_e32 v161, v2, v5
	v_fma_f32 v1, v1, v5, -v6
	v_add_f32_e32 v162, v28, v223
	ds_load_b64 v[27:28], v29 offset:952
	v_add_f32_e32 v1, v154, v1
	v_add_f32_e32 v32, v162, v32
	s_delay_alu instid0(VALU_DEP_1) | instskip(SKIP_3) | instid1(VALU_DEP_3)
	v_dual_add_f32 v32, v32, v153 :: v_dual_mul_f32 v153, v3, v8
	v_mul_f32_e32 v8, v4, v8
	s_wait_loadcnt_dscnt 0x102
	v_dual_mul_f32 v156, v13, v10 :: v_dual_mul_f32 v5, v16, v12
	v_add_f32_e32 v32, v32, v157
	v_fmac_f32_e32 v153, v4, v7
	v_fma_f32 v2, v3, v7, -v8
	v_mul_f32_e32 v3, v14, v10
	s_delay_alu instid0(VALU_DEP_4) | instskip(NEXT) | instid1(VALU_DEP_3)
	v_dual_mul_f32 v157, v15, v12 :: v_dual_add_f32 v32, v32, v158
	v_dual_fmac_f32 v156, v14, v9 :: v_dual_add_f32 v1, v1, v2
	s_delay_alu instid0(VALU_DEP_3) | instskip(NEXT) | instid1(VALU_DEP_3)
	v_fma_f32 v3, v13, v9, -v3
	v_fmac_f32_e32 v157, v16, v11
	s_delay_alu instid0(VALU_DEP_4) | instskip(SKIP_3) | instid1(VALU_DEP_3)
	v_add_f32_e32 v4, v32, v161
	v_fma_f32 v5, v15, v11, -v5
	s_wait_dscnt 0x0
	v_dual_mul_f32 v158, v27, v26 :: v_dual_add_f32 v1, v1, v3
	v_add_f32_e32 v2, v4, v153
	s_delay_alu instid0(VALU_DEP_2) | instskip(NEXT) | instid1(VALU_DEP_3)
	v_fmac_f32_e32 v158, v28, v25
	v_add_f32_e32 v1, v1, v5
	s_delay_alu instid0(VALU_DEP_3) | instskip(SKIP_1) | instid1(VALU_DEP_1)
	v_dual_mul_f32 v5, v28, v26 :: v_dual_add_f32 v2, v2, v156
	s_wait_loadcnt 0x0
	v_dual_add_f32 v2, v2, v157 :: v_dual_mul_f32 v159, v21, v18
	v_mul_f32_e32 v4, v22, v18
	v_mul_f32_e32 v160, v23, v20
	;; [unrolled: 1-line block ×3, first 2 shown]
	s_delay_alu instid0(VALU_DEP_4) | instskip(NEXT) | instid1(VALU_DEP_4)
	v_fmac_f32_e32 v159, v22, v17
	v_fma_f32 v4, v21, v17, -v4
	s_delay_alu instid0(VALU_DEP_4) | instskip(NEXT) | instid1(VALU_DEP_4)
	v_fmac_f32_e32 v160, v24, v19
	v_fma_f32 v3, v23, v19, -v3
	s_delay_alu instid0(VALU_DEP_3) | instskip(SKIP_1) | instid1(VALU_DEP_2)
	v_dual_add_f32 v2, v2, v159 :: v_dual_add_f32 v1, v1, v4
	v_fma_f32 v4, v27, v25, -v5
	v_dual_add_f32 v2, v2, v160 :: v_dual_add_f32 v1, v1, v3
	s_delay_alu instid0(VALU_DEP_1) | instskip(NEXT) | instid1(VALU_DEP_1)
	v_dual_add_f32 v2, v2, v158 :: v_dual_add_f32 v1, v1, v4
	v_dual_sub_f32 v2, v31, v2 :: v_dual_sub_f32 v1, v30, v1
	scratch_store_b64 off, v[1:2], off offset:32
	v_cmpx_lt_u32_e32 3, v0
	s_cbranch_execz .LBB123_367
; %bb.366:
	scratch_load_b64 v[1:2], off, off offset:24
	v_mov_b32_e32 v30, v29
	scratch_store_b64 off, v[29:30], off offset:24
	s_wait_loadcnt 0x0
	ds_store_b64 v155, v[1:2]
.LBB123_367:
	s_wait_alu 0xfffe
	s_or_b32 exec_lo, exec_lo, s0
	s_wait_storecnt_dscnt 0x0
	s_barrier_signal -1
	s_barrier_wait -1
	global_inv scope:SCOPE_SE
	s_clause 0x4
	scratch_load_b128 v[5:8], off, off offset:32
	scratch_load_b128 v[1:4], off, off offset:48
	;; [unrolled: 1-line block ×5, first 2 shown]
	ds_load_b128 v[21:24], v29 offset:512
	ds_load_b128 v[25:28], v29 offset:528
	;; [unrolled: 1-line block ×3, first 2 shown]
	scratch_load_b64 v[30:31], off, off offset:24
	s_mov_b32 s0, exec_lo
	s_wait_loadcnt_dscnt 0x502
	v_dual_mul_f32 v32, v21, v6 :: v_dual_mul_f32 v153, v23, v8
	v_mul_f32_e32 v6, v22, v6
	v_mul_f32_e32 v8, v24, v8
	s_wait_loadcnt_dscnt 0x300
	v_mul_f32_e32 v154, v156, v10
	v_dual_fmac_f32 v32, v22, v5 :: v_dual_fmac_f32 v153, v24, v7
	v_fma_f32 v21, v21, v5, -v6
	v_fma_f32 v22, v23, v7, -v8
	ds_load_b128 v[5:8], v29 offset:560
	v_dual_mul_f32 v23, v25, v2 :: v_dual_mul_f32 v24, v27, v4
	v_mul_f32_e32 v4, v28, v4
	v_mul_f32_e32 v160, v158, v12
	;; [unrolled: 1-line block ×5, first 2 shown]
	v_dual_fmac_f32 v23, v26, v1 :: v_dual_fmac_f32 v24, v28, v3
	v_fma_f32 v26, v27, v3, -v4
	v_fmac_f32_e32 v154, v157, v9
	v_fmac_f32_e32 v160, v159, v11
	v_fma_f32 v27, v156, v9, -v10
	v_fma_f32 v28, v158, v11, -v12
	ds_load_b128 v[9:12], v29 offset:576
	s_wait_loadcnt_dscnt 0x201
	v_dual_mul_f32 v157, v7, v16 :: v_dual_mul_f32 v156, v5, v14
	v_mul_f32_e32 v14, v6, v14
	v_mul_f32_e32 v16, v8, v16
	s_delay_alu instid0(VALU_DEP_3)
	v_fmac_f32_e32 v157, v8, v15
	v_fma_f32 v25, v25, v1, -v2
	scratch_load_b128 v[1:4], off, off offset:112
	v_fmac_f32_e32 v156, v6, v13
	v_fma_f32 v13, v5, v13, -v14
	v_fma_f32 v14, v7, v15, -v16
	ds_load_b128 v[5:8], v29 offset:592
	s_wait_loadcnt_dscnt 0x201
	v_mul_f32_e32 v15, v9, v18
	v_mul_f32_e32 v16, v10, v18
	v_mul_f32_e32 v18, v11, v20
	s_delay_alu instid0(VALU_DEP_3) | instskip(NEXT) | instid1(VALU_DEP_3)
	v_dual_mul_f32 v20, v12, v20 :: v_dual_fmac_f32 v15, v10, v17
	v_fma_f32 v16, v9, v17, -v16
	s_delay_alu instid0(VALU_DEP_3) | instskip(NEXT) | instid1(VALU_DEP_3)
	v_fmac_f32_e32 v18, v12, v19
	v_fma_f32 v17, v11, v19, -v20
	scratch_load_b128 v[9:12], off, off offset:128
	s_wait_loadcnt_dscnt 0x100
	v_mul_f32_e32 v19, v5, v2
	v_mul_f32_e32 v2, v6, v2
	v_mul_f32_e32 v20, v7, v4
	s_delay_alu instid0(VALU_DEP_3) | instskip(NEXT) | instid1(VALU_DEP_3)
	v_dual_mul_f32 v4, v8, v4 :: v_dual_fmac_f32 v19, v6, v1
	v_fma_f32 v158, v5, v1, -v2
	s_delay_alu instid0(VALU_DEP_3) | instskip(NEXT) | instid1(VALU_DEP_3)
	v_fmac_f32_e32 v20, v8, v3
	v_fma_f32 v159, v7, v3, -v4
	ds_load_b128 v[1:4], v29 offset:608
	ds_load_b128 v[5:8], v29 offset:624
	s_wait_loadcnt_dscnt 0x1
	v_mul_f32_e32 v161, v1, v10
	v_mul_f32_e32 v10, v2, v10
	s_delay_alu instid0(VALU_DEP_2) | instskip(NEXT) | instid1(VALU_DEP_2)
	v_dual_mul_f32 v162, v3, v12 :: v_dual_fmac_f32 v161, v2, v9
	v_fma_f32 v163, v1, v9, -v10
	v_mul_f32_e32 v1, v4, v12
	s_delay_alu instid0(VALU_DEP_3) | instskip(NEXT) | instid1(VALU_DEP_2)
	v_fmac_f32_e32 v162, v4, v11
	v_fma_f32 v164, v3, v11, -v1
	s_clause 0x1
	scratch_load_b128 v[1:4], off, off offset:144
	scratch_load_b128 v[9:12], off, off offset:160
	s_wait_loadcnt_dscnt 0x100
	v_mul_f32_e32 v165, v5, v2
	v_dual_mul_f32 v2, v6, v2 :: v_dual_mul_f32 v167, v7, v4
	s_delay_alu instid0(VALU_DEP_2) | instskip(NEXT) | instid1(VALU_DEP_2)
	v_fmac_f32_e32 v165, v6, v1
	v_fma_f32 v166, v5, v1, -v2
	v_mul_f32_e32 v1, v8, v4
	s_delay_alu instid0(VALU_DEP_4) | instskip(NEXT) | instid1(VALU_DEP_2)
	v_fmac_f32_e32 v167, v8, v3
	v_fma_f32 v168, v7, v3, -v1
	ds_load_b128 v[1:4], v29 offset:640
	ds_load_b128 v[5:8], v29 offset:656
	s_wait_loadcnt_dscnt 0x1
	v_mul_f32_e32 v169, v1, v10
	v_mul_f32_e32 v171, v3, v12
	s_delay_alu instid0(VALU_DEP_2) | instskip(NEXT) | instid1(VALU_DEP_2)
	v_fmac_f32_e32 v169, v2, v9
	v_dual_mul_f32 v2, v2, v10 :: v_dual_fmac_f32 v171, v4, v11
	s_delay_alu instid0(VALU_DEP_1) | instskip(SKIP_1) | instid1(VALU_DEP_1)
	v_fma_f32 v170, v1, v9, -v2
	v_mul_f32_e32 v1, v4, v12
	v_fma_f32 v172, v3, v11, -v1
	s_clause 0x1
	scratch_load_b128 v[1:4], off, off offset:176
	scratch_load_b128 v[9:12], off, off offset:192
	s_wait_loadcnt_dscnt 0x100
	v_mul_f32_e32 v173, v5, v2
	v_dual_mul_f32 v2, v6, v2 :: v_dual_mul_f32 v175, v7, v4
	s_delay_alu instid0(VALU_DEP_2) | instskip(NEXT) | instid1(VALU_DEP_2)
	v_fmac_f32_e32 v173, v6, v1
	v_fma_f32 v174, v5, v1, -v2
	v_mul_f32_e32 v1, v8, v4
	s_delay_alu instid0(VALU_DEP_4) | instskip(NEXT) | instid1(VALU_DEP_2)
	v_fmac_f32_e32 v175, v8, v3
	v_fma_f32 v176, v7, v3, -v1
	ds_load_b128 v[1:4], v29 offset:672
	ds_load_b128 v[5:8], v29 offset:688
	s_wait_loadcnt_dscnt 0x1
	v_mul_f32_e32 v177, v1, v10
	v_mul_f32_e32 v179, v3, v12
	s_delay_alu instid0(VALU_DEP_2) | instskip(NEXT) | instid1(VALU_DEP_2)
	v_fmac_f32_e32 v177, v2, v9
	v_dual_mul_f32 v2, v2, v10 :: v_dual_fmac_f32 v179, v4, v11
	s_delay_alu instid0(VALU_DEP_1) | instskip(SKIP_1) | instid1(VALU_DEP_1)
	v_fma_f32 v178, v1, v9, -v2
	v_mul_f32_e32 v1, v4, v12
	;; [unrolled: 25-line block ×8, first 2 shown]
	v_fma_f32 v228, v3, v11, -v1
	s_clause 0x1
	scratch_load_b128 v[1:4], off, off offset:400
	scratch_load_b128 v[9:12], off, off offset:416
	s_wait_loadcnt_dscnt 0x100
	v_mul_f32_e32 v229, v5, v2
	v_mul_f32_e32 v2, v6, v2
	s_delay_alu instid0(VALU_DEP_2) | instskip(NEXT) | instid1(VALU_DEP_2)
	v_fmac_f32_e32 v229, v6, v1
	v_fma_f32 v230, v5, v1, -v2
	v_mul_f32_e32 v1, v8, v4
	v_add_f32_e32 v2, 0, v32
	s_delay_alu instid0(VALU_DEP_2) | instskip(SKIP_1) | instid1(VALU_DEP_1)
	v_fma_f32 v232, v7, v3, -v1
	v_add_f32_e32 v1, 0, v21
	v_dual_add_f32 v2, v2, v153 :: v_dual_add_f32 v1, v1, v22
	s_delay_alu instid0(VALU_DEP_1) | instskip(NEXT) | instid1(VALU_DEP_1)
	v_dual_add_f32 v2, v2, v23 :: v_dual_add_f32 v1, v1, v25
	v_dual_add_f32 v2, v2, v24 :: v_dual_add_f32 v1, v1, v26
	s_delay_alu instid0(VALU_DEP_1) | instskip(NEXT) | instid1(VALU_DEP_1)
	v_dual_add_f32 v2, v2, v154 :: v_dual_add_f32 v1, v1, v27
	v_add_f32_e32 v2, v2, v160
	s_delay_alu instid0(VALU_DEP_2) | instskip(NEXT) | instid1(VALU_DEP_1)
	v_add_f32_e32 v1, v1, v28
	v_dual_add_f32 v2, v2, v156 :: v_dual_add_f32 v1, v1, v13
	s_delay_alu instid0(VALU_DEP_1) | instskip(NEXT) | instid1(VALU_DEP_1)
	v_dual_add_f32 v2, v2, v157 :: v_dual_add_f32 v1, v1, v14
	v_dual_add_f32 v2, v2, v15 :: v_dual_add_f32 v1, v1, v16
	s_delay_alu instid0(VALU_DEP_1) | instskip(NEXT) | instid1(VALU_DEP_1)
	v_dual_add_f32 v2, v2, v18 :: v_dual_add_f32 v1, v1, v17
	;; [unrolled: 3-line block ×8, first 2 shown]
	v_add_f32_e32 v1, v1, v182
	s_delay_alu instid0(VALU_DEP_1) | instskip(NEXT) | instid1(VALU_DEP_1)
	v_add_f32_e32 v1, v1, v184
	v_add_f32_e32 v1, v1, v186
	s_delay_alu instid0(VALU_DEP_1) | instskip(NEXT) | instid1(VALU_DEP_1)
	v_add_f32_e32 v1, v1, v188
	;; [unrolled: 3-line block ×5, first 2 shown]
	v_add_f32_e32 v1, v1, v202
	s_delay_alu instid0(VALU_DEP_1) | instskip(SKIP_1) | instid1(VALU_DEP_2)
	v_add_f32_e32 v6, v1, v204
	v_add_f32_e32 v2, v2, v181
	;; [unrolled: 1-line block ×3, first 2 shown]
	s_delay_alu instid0(VALU_DEP_2) | instskip(NEXT) | instid1(VALU_DEP_2)
	v_add_f32_e32 v2, v2, v183
	v_add_f32_e32 v13, v6, v208
	s_delay_alu instid0(VALU_DEP_1) | instskip(NEXT) | instid1(VALU_DEP_1)
	v_dual_add_f32 v2, v2, v185 :: v_dual_add_f32 v13, v13, v210
	v_dual_add_f32 v2, v2, v187 :: v_dual_add_f32 v13, v13, v212
	s_delay_alu instid0(VALU_DEP_1) | instskip(NEXT) | instid1(VALU_DEP_1)
	v_dual_add_f32 v2, v2, v189 :: v_dual_add_f32 v13, v13, v214
	v_add_f32_e32 v2, v2, v191
	s_delay_alu instid0(VALU_DEP_2) | instskip(NEXT) | instid1(VALU_DEP_2)
	v_add_f32_e32 v18, v13, v216
	v_dual_add_f32 v2, v2, v193 :: v_dual_mul_f32 v231, v7, v4
	s_delay_alu instid0(VALU_DEP_2) | instskip(NEXT) | instid1(VALU_DEP_2)
	v_add_f32_e32 v18, v18, v218
	v_add_f32_e32 v2, v2, v195
	s_delay_alu instid0(VALU_DEP_2) | instskip(NEXT) | instid1(VALU_DEP_2)
	v_dual_fmac_f32 v231, v8, v3 :: v_dual_add_f32 v18, v18, v220
	v_add_f32_e32 v2, v2, v197
	s_delay_alu instid0(VALU_DEP_2) | instskip(NEXT) | instid1(VALU_DEP_2)
	v_add_f32_e32 v21, v18, v222
	v_add_f32_e32 v2, v2, v199
	s_delay_alu instid0(VALU_DEP_1) | instskip(SKIP_2) | instid1(VALU_DEP_1)
	v_dual_add_f32 v32, v21, v224 :: v_dual_add_f32 v5, v2, v201
	ds_load_b128 v[1:4], v29 offset:896
	v_add_f32_e32 v5, v5, v203
	v_add_f32_e32 v5, v5, v205
	s_delay_alu instid0(VALU_DEP_1)
	v_add_f32_e32 v14, v5, v207
	ds_load_b128 v[5:8], v29 offset:912
	s_wait_loadcnt_dscnt 0x1
	v_dual_add_f32 v14, v14, v209 :: v_dual_mul_f32 v25, v1, v10
	v_mul_f32_e32 v26, v3, v12
	v_mul_f32_e32 v10, v2, v10
	;; [unrolled: 1-line block ×3, first 2 shown]
	s_delay_alu instid0(VALU_DEP_4) | instskip(NEXT) | instid1(VALU_DEP_4)
	v_add_f32_e32 v14, v14, v211
	v_dual_fmac_f32 v25, v2, v9 :: v_dual_fmac_f32 v26, v4, v11
	s_delay_alu instid0(VALU_DEP_4) | instskip(NEXT) | instid1(VALU_DEP_4)
	v_fma_f32 v27, v1, v9, -v10
	v_fma_f32 v28, v3, v11, -v12
	s_clause 0x1
	scratch_load_b128 v[1:4], off, off offset:432
	scratch_load_b128 v[9:12], off, off offset:448
	s_wait_loadcnt_dscnt 0x100
	v_dual_mul_f32 v154, v7, v4 :: v_dual_add_f32 v17, v14, v213
	scratch_load_b128 v[13:16], off, off offset:464
	v_mul_f32_e32 v4, v8, v4
	v_fmac_f32_e32 v154, v8, v3
	v_add_f32_e32 v17, v17, v215
	s_delay_alu instid0(VALU_DEP_3) | instskip(NEXT) | instid1(VALU_DEP_2)
	v_fma_f32 v3, v7, v3, -v4
	v_add_f32_e32 v17, v17, v217
	s_delay_alu instid0(VALU_DEP_1) | instskip(NEXT) | instid1(VALU_DEP_1)
	v_add_f32_e32 v17, v17, v219
	v_add_f32_e32 v22, v17, v221
	ds_load_b128 v[17:20], v29 offset:928
	v_add_f32_e32 v153, v22, v223
	ds_load_b128 v[21:24], v29 offset:944
	v_add_f32_e32 v29, v32, v226
	s_delay_alu instid0(VALU_DEP_1) | instskip(NEXT) | instid1(VALU_DEP_1)
	v_add_f32_e32 v29, v29, v228
	v_add_f32_e32 v29, v29, v230
	s_wait_loadcnt_dscnt 0x101
	v_mul_f32_e32 v156, v17, v10
	s_delay_alu instid0(VALU_DEP_2) | instskip(SKIP_2) | instid1(VALU_DEP_3)
	v_add_f32_e32 v29, v29, v232
	v_mul_f32_e32 v157, v19, v12
	v_mul_f32_e32 v4, v20, v12
	v_dual_fmac_f32 v156, v18, v9 :: v_dual_add_f32 v27, v29, v27
	s_delay_alu instid0(VALU_DEP_3) | instskip(NEXT) | instid1(VALU_DEP_3)
	v_fmac_f32_e32 v157, v20, v11
	v_fma_f32 v4, v19, v11, -v4
	s_wait_loadcnt_dscnt 0x0
	v_mul_f32_e32 v158, v21, v14
	v_add_f32_e32 v32, v153, v225
	v_mul_f32_e32 v153, v5, v2
	v_dual_mul_f32 v2, v6, v2 :: v_dual_mul_f32 v29, v23, v16
	s_delay_alu instid0(VALU_DEP_4) | instskip(NEXT) | instid1(VALU_DEP_3)
	v_fmac_f32_e32 v158, v22, v13
	v_dual_add_f32 v32, v32, v227 :: v_dual_fmac_f32 v153, v6, v1
	s_delay_alu instid0(VALU_DEP_3) | instskip(SKIP_1) | instid1(VALU_DEP_3)
	v_fma_f32 v2, v5, v1, -v2
	v_dual_add_f32 v1, v27, v28 :: v_dual_mul_f32 v6, v18, v10
	v_add_f32_e32 v32, v32, v229
	v_fmac_f32_e32 v29, v24, v15
	s_delay_alu instid0(VALU_DEP_2) | instskip(NEXT) | instid1(VALU_DEP_1)
	v_dual_add_f32 v1, v1, v2 :: v_dual_add_f32 v32, v32, v231
	v_add_f32_e32 v1, v1, v3
	v_mul_f32_e32 v3, v22, v14
	s_delay_alu instid0(VALU_DEP_3) | instskip(NEXT) | instid1(VALU_DEP_2)
	v_add_f32_e32 v25, v32, v25
	v_fma_f32 v3, v21, v13, -v3
	s_delay_alu instid0(VALU_DEP_2) | instskip(NEXT) | instid1(VALU_DEP_1)
	v_add_f32_e32 v5, v25, v26
	v_add_f32_e32 v2, v5, v153
	v_fma_f32 v5, v17, v9, -v6
	s_delay_alu instid0(VALU_DEP_1) | instskip(SKIP_1) | instid1(VALU_DEP_2)
	v_dual_add_f32 v2, v2, v154 :: v_dual_add_f32 v1, v1, v5
	v_mul_f32_e32 v5, v24, v16
	v_add_f32_e32 v2, v2, v156
	s_delay_alu instid0(VALU_DEP_3) | instskip(NEXT) | instid1(VALU_DEP_3)
	v_add_f32_e32 v1, v1, v4
	v_fma_f32 v4, v23, v15, -v5
	s_delay_alu instid0(VALU_DEP_2) | instskip(NEXT) | instid1(VALU_DEP_1)
	v_dual_add_f32 v2, v2, v157 :: v_dual_add_f32 v1, v1, v3
	v_dual_add_f32 v2, v2, v158 :: v_dual_add_f32 v1, v1, v4
	s_delay_alu instid0(VALU_DEP_1) | instskip(NEXT) | instid1(VALU_DEP_1)
	v_add_f32_e32 v2, v2, v29
	v_dual_sub_f32 v1, v30, v1 :: v_dual_sub_f32 v2, v31, v2
	scratch_store_b64 off, v[1:2], off offset:24
	v_cmpx_lt_u32_e32 2, v0
	s_cbranch_execz .LBB123_369
; %bb.368:
	scratch_load_b64 v[1:2], off, off offset:16
	v_mov_b32_e32 v3, 0
	s_delay_alu instid0(VALU_DEP_1)
	v_mov_b32_e32 v4, v3
	scratch_store_b64 off, v[3:4], off offset:16
	s_wait_loadcnt 0x0
	ds_store_b64 v155, v[1:2]
.LBB123_369:
	s_wait_alu 0xfffe
	s_or_b32 exec_lo, exec_lo, s0
	s_wait_storecnt_dscnt 0x0
	s_barrier_signal -1
	s_barrier_wait -1
	global_inv scope:SCOPE_SE
	s_clause 0x4
	scratch_load_b128 v[5:8], off, off offset:24
	scratch_load_b128 v[1:4], off, off offset:40
	;; [unrolled: 1-line block ×5, first 2 shown]
	v_mov_b32_e32 v153, 0
	ds_load_2addr_b64 v[21:24], v153 offset0:63 offset1:64
	ds_load_2addr_b64 v[25:28], v153 offset0:65 offset1:66
	;; [unrolled: 1-line block ×3, first 2 shown]
	scratch_load_b64 v[156:157], off, off offset:16
	s_mov_b32 s0, exec_lo
	s_wait_loadcnt_dscnt 0x502
	v_mul_f32_e32 v154, v21, v6
	v_mul_f32_e32 v158, v23, v8
	v_mul_f32_e32 v6, v22, v6
	s_wait_loadcnt_dscnt 0x300
	v_dual_mul_f32 v8, v24, v8 :: v_dual_mul_f32 v159, v29, v10
	v_fmac_f32_e32 v154, v22, v5
	v_mul_f32_e32 v160, v31, v12
	v_fma_f32 v21, v21, v5, -v6
	s_delay_alu instid0(VALU_DEP_4)
	v_fma_f32 v22, v23, v7, -v8
	v_dual_mul_f32 v23, v25, v2 :: v_dual_fmac_f32 v158, v24, v7
	ds_load_2addr_b64 v[5:8], v153 offset0:69 offset1:70
	v_dual_mul_f32 v24, v27, v4 :: v_dual_fmac_f32 v159, v30, v9
	v_mul_f32_e32 v2, v26, v2
	v_mul_f32_e32 v4, v28, v4
	;; [unrolled: 1-line block ×3, first 2 shown]
	s_delay_alu instid0(VALU_DEP_4) | instskip(NEXT) | instid1(VALU_DEP_4)
	v_dual_fmac_f32 v23, v26, v1 :: v_dual_fmac_f32 v24, v28, v3
	v_fma_f32 v25, v25, v1, -v2
	s_delay_alu instid0(VALU_DEP_4) | instskip(SKIP_4) | instid1(VALU_DEP_3)
	v_fma_f32 v26, v27, v3, -v4
	scratch_load_b128 v[1:4], off, off offset:104
	v_mul_f32_e32 v12, v32, v12
	v_fmac_f32_e32 v160, v32, v11
	v_fma_f32 v27, v29, v9, -v10
	v_fma_f32 v28, v31, v11, -v12
	ds_load_2addr_b64 v[9:12], v153 offset0:71 offset1:72
	s_wait_loadcnt_dscnt 0x301
	v_dual_mul_f32 v29, v5, v14 :: v_dual_mul_f32 v30, v7, v16
	v_mul_f32_e32 v14, v6, v14
	s_delay_alu instid0(VALU_DEP_2) | instskip(NEXT) | instid1(VALU_DEP_3)
	v_dual_mul_f32 v16, v8, v16 :: v_dual_fmac_f32 v29, v6, v13
	v_fmac_f32_e32 v30, v8, v15
	s_delay_alu instid0(VALU_DEP_3) | instskip(NEXT) | instid1(VALU_DEP_3)
	v_fma_f32 v13, v5, v13, -v14
	v_fma_f32 v14, v7, v15, -v16
	ds_load_2addr_b64 v[5:8], v153 offset0:73 offset1:74
	s_wait_loadcnt_dscnt 0x201
	v_dual_mul_f32 v15, v9, v18 :: v_dual_mul_f32 v16, v11, v20
	v_mul_f32_e32 v18, v10, v18
	s_delay_alu instid0(VALU_DEP_2) | instskip(NEXT) | instid1(VALU_DEP_3)
	v_dual_mul_f32 v20, v12, v20 :: v_dual_fmac_f32 v15, v10, v17
	v_fmac_f32_e32 v16, v12, v19
	s_delay_alu instid0(VALU_DEP_3) | instskip(NEXT) | instid1(VALU_DEP_3)
	v_fma_f32 v17, v9, v17, -v18
	v_fma_f32 v18, v11, v19, -v20
	scratch_load_b128 v[9:12], off, off offset:120
	s_wait_loadcnt_dscnt 0x100
	v_mul_f32_e32 v19, v5, v2
	v_mul_f32_e32 v2, v6, v2
	;; [unrolled: 1-line block ×3, first 2 shown]
	s_delay_alu instid0(VALU_DEP_3) | instskip(NEXT) | instid1(VALU_DEP_3)
	v_dual_mul_f32 v4, v8, v4 :: v_dual_fmac_f32 v19, v6, v1
	v_fma_f32 v31, v5, v1, -v2
	s_delay_alu instid0(VALU_DEP_3) | instskip(NEXT) | instid1(VALU_DEP_3)
	v_fmac_f32_e32 v20, v8, v3
	v_fma_f32 v32, v7, v3, -v4
	ds_load_2addr_b64 v[1:4], v153 offset0:75 offset1:76
	ds_load_2addr_b64 v[5:8], v153 offset0:77 offset1:78
	s_wait_loadcnt_dscnt 0x1
	v_mul_f32_e32 v161, v1, v10
	v_mul_f32_e32 v10, v2, v10
	s_delay_alu instid0(VALU_DEP_2) | instskip(NEXT) | instid1(VALU_DEP_2)
	v_dual_mul_f32 v162, v3, v12 :: v_dual_fmac_f32 v161, v2, v9
	v_fma_f32 v163, v1, v9, -v10
	v_mul_f32_e32 v1, v4, v12
	s_delay_alu instid0(VALU_DEP_3) | instskip(NEXT) | instid1(VALU_DEP_2)
	v_fmac_f32_e32 v162, v4, v11
	v_fma_f32 v164, v3, v11, -v1
	s_clause 0x1
	scratch_load_b128 v[1:4], off, off offset:136
	scratch_load_b128 v[9:12], off, off offset:152
	s_wait_loadcnt_dscnt 0x100
	v_mul_f32_e32 v165, v5, v2
	v_dual_mul_f32 v2, v6, v2 :: v_dual_mul_f32 v167, v7, v4
	s_delay_alu instid0(VALU_DEP_2) | instskip(NEXT) | instid1(VALU_DEP_2)
	v_fmac_f32_e32 v165, v6, v1
	v_fma_f32 v166, v5, v1, -v2
	v_mul_f32_e32 v1, v8, v4
	s_delay_alu instid0(VALU_DEP_4) | instskip(NEXT) | instid1(VALU_DEP_2)
	v_fmac_f32_e32 v167, v8, v3
	v_fma_f32 v168, v7, v3, -v1
	ds_load_2addr_b64 v[1:4], v153 offset0:79 offset1:80
	ds_load_2addr_b64 v[5:8], v153 offset0:81 offset1:82
	s_wait_loadcnt_dscnt 0x1
	v_mul_f32_e32 v169, v1, v10
	v_mul_f32_e32 v171, v3, v12
	s_delay_alu instid0(VALU_DEP_2) | instskip(NEXT) | instid1(VALU_DEP_2)
	v_fmac_f32_e32 v169, v2, v9
	v_dual_mul_f32 v2, v2, v10 :: v_dual_fmac_f32 v171, v4, v11
	s_delay_alu instid0(VALU_DEP_1) | instskip(SKIP_1) | instid1(VALU_DEP_1)
	v_fma_f32 v170, v1, v9, -v2
	v_mul_f32_e32 v1, v4, v12
	v_fma_f32 v172, v3, v11, -v1
	s_clause 0x1
	scratch_load_b128 v[1:4], off, off offset:168
	scratch_load_b128 v[9:12], off, off offset:184
	s_wait_loadcnt_dscnt 0x100
	v_mul_f32_e32 v173, v5, v2
	v_dual_mul_f32 v2, v6, v2 :: v_dual_mul_f32 v175, v7, v4
	s_delay_alu instid0(VALU_DEP_2) | instskip(NEXT) | instid1(VALU_DEP_2)
	v_fmac_f32_e32 v173, v6, v1
	v_fma_f32 v174, v5, v1, -v2
	v_mul_f32_e32 v1, v8, v4
	s_delay_alu instid0(VALU_DEP_4) | instskip(NEXT) | instid1(VALU_DEP_2)
	v_fmac_f32_e32 v175, v8, v3
	v_fma_f32 v176, v7, v3, -v1
	ds_load_2addr_b64 v[1:4], v153 offset0:83 offset1:84
	ds_load_2addr_b64 v[5:8], v153 offset0:85 offset1:86
	s_wait_loadcnt_dscnt 0x1
	v_mul_f32_e32 v177, v1, v10
	v_mul_f32_e32 v179, v3, v12
	s_delay_alu instid0(VALU_DEP_2) | instskip(NEXT) | instid1(VALU_DEP_2)
	v_fmac_f32_e32 v177, v2, v9
	v_dual_mul_f32 v2, v2, v10 :: v_dual_fmac_f32 v179, v4, v11
	s_delay_alu instid0(VALU_DEP_1) | instskip(SKIP_1) | instid1(VALU_DEP_1)
	v_fma_f32 v178, v1, v9, -v2
	v_mul_f32_e32 v1, v4, v12
	;; [unrolled: 25-line block ×8, first 2 shown]
	v_fma_f32 v228, v3, v11, -v1
	s_clause 0x1
	scratch_load_b128 v[1:4], off, off offset:392
	scratch_load_b128 v[9:12], off, off offset:408
	s_wait_loadcnt_dscnt 0x100
	v_mul_f32_e32 v229, v5, v2
	v_mul_f32_e32 v2, v6, v2
	s_delay_alu instid0(VALU_DEP_2) | instskip(NEXT) | instid1(VALU_DEP_2)
	v_fmac_f32_e32 v229, v6, v1
	v_fma_f32 v230, v5, v1, -v2
	v_dual_mul_f32 v1, v8, v4 :: v_dual_add_f32 v2, 0, v154
	s_delay_alu instid0(VALU_DEP_1) | instskip(NEXT) | instid1(VALU_DEP_2)
	v_fma_f32 v232, v7, v3, -v1
	v_dual_add_f32 v1, 0, v21 :: v_dual_add_f32 v2, v2, v158
	s_delay_alu instid0(VALU_DEP_1) | instskip(NEXT) | instid1(VALU_DEP_1)
	v_dual_add_f32 v1, v1, v22 :: v_dual_add_f32 v2, v2, v23
	v_dual_add_f32 v1, v1, v25 :: v_dual_add_f32 v2, v2, v24
	s_delay_alu instid0(VALU_DEP_1) | instskip(SKIP_2) | instid1(VALU_DEP_1)
	v_dual_add_f32 v1, v1, v26 :: v_dual_add_f32 v2, v2, v159
	scratch_load_b64 v[25:26], off, off offset:472
	v_dual_add_f32 v1, v1, v27 :: v_dual_add_f32 v2, v2, v160
	v_dual_add_f32 v1, v1, v28 :: v_dual_add_f32 v2, v2, v29
	s_delay_alu instid0(VALU_DEP_1) | instskip(NEXT) | instid1(VALU_DEP_1)
	v_dual_add_f32 v1, v1, v13 :: v_dual_add_f32 v2, v2, v30
	v_dual_add_f32 v1, v1, v14 :: v_dual_add_f32 v2, v2, v15
	s_delay_alu instid0(VALU_DEP_1) | instskip(NEXT) | instid1(VALU_DEP_1)
	;; [unrolled: 3-line block ×8, first 2 shown]
	v_dual_add_f32 v1, v1, v178 :: v_dual_add_f32 v2, v2, v179
	v_add_f32_e32 v1, v1, v180
	s_delay_alu instid0(VALU_DEP_1) | instskip(NEXT) | instid1(VALU_DEP_1)
	v_add_f32_e32 v1, v1, v182
	v_add_f32_e32 v1, v1, v184
	s_delay_alu instid0(VALU_DEP_1) | instskip(NEXT) | instid1(VALU_DEP_1)
	v_add_f32_e32 v1, v1, v186
	;; [unrolled: 3-line block ×6, first 2 shown]
	v_add_f32_e32 v6, v1, v204
	v_add_f32_e32 v2, v2, v181
	s_delay_alu instid0(VALU_DEP_2) | instskip(NEXT) | instid1(VALU_DEP_2)
	v_add_f32_e32 v6, v6, v206
	v_add_f32_e32 v2, v2, v183
	s_delay_alu instid0(VALU_DEP_2) | instskip(NEXT) | instid1(VALU_DEP_1)
	v_add_f32_e32 v13, v6, v208
	v_dual_add_f32 v2, v2, v185 :: v_dual_add_f32 v13, v13, v210
	s_delay_alu instid0(VALU_DEP_1) | instskip(NEXT) | instid1(VALU_DEP_1)
	v_dual_add_f32 v2, v2, v187 :: v_dual_add_f32 v13, v13, v212
	v_dual_add_f32 v2, v2, v189 :: v_dual_add_f32 v13, v13, v214
	s_delay_alu instid0(VALU_DEP_1) | instskip(NEXT) | instid1(VALU_DEP_2)
	v_add_f32_e32 v2, v2, v191
	v_add_f32_e32 v18, v13, v216
	s_delay_alu instid0(VALU_DEP_2) | instskip(NEXT) | instid1(VALU_DEP_2)
	v_dual_add_f32 v2, v2, v193 :: v_dual_mul_f32 v231, v7, v4
	v_add_f32_e32 v18, v18, v218
	s_delay_alu instid0(VALU_DEP_2) | instskip(NEXT) | instid1(VALU_DEP_2)
	v_add_f32_e32 v2, v2, v195
	v_add_f32_e32 v18, v18, v220
	s_delay_alu instid0(VALU_DEP_2) | instskip(NEXT) | instid1(VALU_DEP_2)
	v_dual_add_f32 v2, v2, v197 :: v_dual_fmac_f32 v231, v8, v3
	v_add_f32_e32 v18, v18, v222
	s_delay_alu instid0(VALU_DEP_2) | instskip(NEXT) | instid1(VALU_DEP_2)
	v_add_f32_e32 v2, v2, v199
	v_add_f32_e32 v18, v18, v224
	s_delay_alu instid0(VALU_DEP_2) | instskip(SKIP_2) | instid1(VALU_DEP_1)
	v_add_f32_e32 v5, v2, v201
	ds_load_2addr_b64 v[1:4], v153 offset0:111 offset1:112
	v_add_f32_e32 v27, v18, v226
	v_dual_add_f32 v5, v5, v203 :: v_dual_add_f32 v154, v27, v228
	s_delay_alu instid0(VALU_DEP_1) | instskip(NEXT) | instid1(VALU_DEP_1)
	v_dual_add_f32 v5, v5, v205 :: v_dual_add_f32 v154, v154, v230
	v_add_f32_e32 v14, v5, v207
	ds_load_2addr_b64 v[5:8], v153 offset0:113 offset1:114
	v_add_f32_e32 v154, v154, v232
	s_wait_loadcnt_dscnt 0x101
	v_dual_add_f32 v14, v14, v209 :: v_dual_mul_f32 v29, v1, v10
	v_mul_f32_e32 v10, v2, v10
	v_mul_f32_e32 v30, v3, v12
	;; [unrolled: 1-line block ×3, first 2 shown]
	s_delay_alu instid0(VALU_DEP_4)
	v_add_f32_e32 v14, v14, v211
	v_fmac_f32_e32 v29, v2, v9
	v_fma_f32 v31, v1, v9, -v10
	v_fmac_f32_e32 v30, v4, v11
	v_fma_f32 v32, v3, v11, -v12
	s_clause 0x1
	scratch_load_b128 v[1:4], off, off offset:424
	scratch_load_b128 v[9:12], off, off offset:440
	v_add_f32_e32 v31, v154, v31
	s_delay_alu instid0(VALU_DEP_1)
	v_add_f32_e32 v31, v31, v32
	s_wait_loadcnt_dscnt 0x100
	v_dual_mul_f32 v160, v7, v4 :: v_dual_add_f32 v17, v14, v213
	scratch_load_b128 v[13:16], off, off offset:456
	v_dual_mul_f32 v4, v8, v4 :: v_dual_mul_f32 v159, v5, v2
	v_dual_mul_f32 v2, v6, v2 :: v_dual_add_f32 v17, v17, v215
	s_delay_alu instid0(VALU_DEP_2) | instskip(NEXT) | instid1(VALU_DEP_2)
	v_dual_fmac_f32 v160, v8, v3 :: v_dual_fmac_f32 v159, v6, v1
	v_fma_f32 v2, v5, v1, -v2
	s_delay_alu instid0(VALU_DEP_3) | instskip(SKIP_1) | instid1(VALU_DEP_2)
	v_add_f32_e32 v17, v17, v217
	v_fma_f32 v1, v7, v3, -v4
	v_dual_add_f32 v2, v31, v2 :: v_dual_add_f32 v17, v17, v219
	s_delay_alu instid0(VALU_DEP_1) | instskip(NEXT) | instid1(VALU_DEP_2)
	v_add_f32_e32 v1, v2, v1
	v_add_f32_e32 v17, v17, v221
	s_delay_alu instid0(VALU_DEP_1)
	v_add_f32_e32 v21, v17, v223
	ds_load_2addr_b64 v[17:20], v153 offset0:115 offset1:116
	v_add_f32_e32 v28, v21, v225
	ds_load_2addr_b64 v[21:24], v153 offset0:117 offset1:118
	v_add_f32_e32 v158, v28, v227
	ds_load_b64 v[27:28], v153 offset:952
	s_wait_loadcnt_dscnt 0x102
	v_mul_f32_e32 v154, v17, v10
	v_mul_f32_e32 v3, v18, v10
	s_delay_alu instid0(VALU_DEP_2) | instskip(NEXT) | instid1(VALU_DEP_2)
	v_dual_mul_f32 v5, v20, v12 :: v_dual_fmac_f32 v154, v18, v9
	v_fma_f32 v3, v17, v9, -v3
	s_delay_alu instid0(VALU_DEP_2) | instskip(NEXT) | instid1(VALU_DEP_2)
	v_fma_f32 v5, v19, v11, -v5
	v_add_f32_e32 v1, v1, v3
	s_delay_alu instid0(VALU_DEP_1) | instskip(SKIP_4) | instid1(VALU_DEP_3)
	v_add_f32_e32 v1, v1, v5
	s_wait_loadcnt_dscnt 0x0
	v_dual_mul_f32 v5, v28, v26 :: v_dual_mul_f32 v32, v23, v16
	v_dual_add_f32 v158, v158, v229 :: v_dual_mul_f32 v161, v21, v14
	v_mul_f32_e32 v3, v24, v16
	v_fmac_f32_e32 v32, v24, v15
	s_delay_alu instid0(VALU_DEP_3) | instskip(NEXT) | instid1(VALU_DEP_4)
	v_add_f32_e32 v158, v158, v231
	v_fmac_f32_e32 v161, v22, v13
	s_delay_alu instid0(VALU_DEP_4) | instskip(NEXT) | instid1(VALU_DEP_3)
	v_fma_f32 v3, v23, v15, -v3
	v_dual_add_f32 v29, v158, v29 :: v_dual_mul_f32 v158, v19, v12
	s_delay_alu instid0(VALU_DEP_1) | instskip(SKIP_1) | instid1(VALU_DEP_2)
	v_dual_add_f32 v29, v29, v30 :: v_dual_fmac_f32 v158, v20, v11
	v_mul_f32_e32 v30, v27, v26
	v_add_f32_e32 v4, v29, v159
	s_delay_alu instid0(VALU_DEP_2) | instskip(NEXT) | instid1(VALU_DEP_2)
	v_fmac_f32_e32 v30, v28, v25
	v_add_f32_e32 v2, v4, v160
	v_mul_f32_e32 v4, v22, v14
	s_delay_alu instid0(VALU_DEP_2) | instskip(NEXT) | instid1(VALU_DEP_2)
	v_add_f32_e32 v2, v2, v154
	v_fma_f32 v4, v21, v13, -v4
	s_delay_alu instid0(VALU_DEP_1) | instskip(SKIP_1) | instid1(VALU_DEP_2)
	v_dual_add_f32 v2, v2, v158 :: v_dual_add_f32 v1, v1, v4
	v_fma_f32 v4, v27, v25, -v5
	v_dual_add_f32 v2, v2, v161 :: v_dual_add_f32 v1, v1, v3
	s_delay_alu instid0(VALU_DEP_1) | instskip(NEXT) | instid1(VALU_DEP_1)
	v_add_f32_e32 v2, v2, v32
	v_dual_add_f32 v1, v1, v4 :: v_dual_add_f32 v2, v2, v30
	s_delay_alu instid0(VALU_DEP_1)
	v_dual_sub_f32 v1, v156, v1 :: v_dual_sub_f32 v2, v157, v2
	scratch_store_b64 off, v[1:2], off offset:16
	v_cmpx_lt_u32_e32 1, v0
	s_cbranch_execz .LBB123_371
; %bb.370:
	scratch_load_b64 v[1:2], off, off offset:8
	v_mov_b32_e32 v154, v153
	scratch_store_b64 off, v[153:154], off offset:8
	s_wait_loadcnt 0x0
	ds_store_b64 v155, v[1:2]
.LBB123_371:
	s_wait_alu 0xfffe
	s_or_b32 exec_lo, exec_lo, s0
	s_wait_storecnt_dscnt 0x0
	s_barrier_signal -1
	s_barrier_wait -1
	global_inv scope:SCOPE_SE
	s_clause 0x4
	scratch_load_b128 v[5:8], off, off offset:16
	scratch_load_b128 v[1:4], off, off offset:32
	scratch_load_b128 v[9:12], off, off offset:48
	scratch_load_b128 v[13:16], off, off offset:64
	scratch_load_b128 v[17:20], off, off offset:80
	ds_load_b128 v[21:24], v153 offset:496
	ds_load_b128 v[25:28], v153 offset:512
	;; [unrolled: 1-line block ×3, first 2 shown]
	scratch_load_b64 v[156:157], off, off offset:8
	s_mov_b32 s0, exec_lo
	s_wait_loadcnt_dscnt 0x502
	v_mul_f32_e32 v154, v21, v6
	v_mul_f32_e32 v158, v23, v8
	;; [unrolled: 1-line block ×3, first 2 shown]
	s_wait_loadcnt_dscnt 0x300
	v_dual_mul_f32 v8, v24, v8 :: v_dual_mul_f32 v159, v29, v10
	v_fmac_f32_e32 v154, v22, v5
	v_mul_f32_e32 v160, v31, v12
	v_fma_f32 v21, v21, v5, -v6
	s_delay_alu instid0(VALU_DEP_4)
	v_fma_f32 v22, v23, v7, -v8
	v_dual_mul_f32 v23, v25, v2 :: v_dual_fmac_f32 v158, v24, v7
	v_fmac_f32_e32 v159, v30, v9
	ds_load_b128 v[5:8], v153 offset:544
	v_mul_f32_e32 v24, v27, v4
	v_mul_f32_e32 v2, v26, v2
	v_mul_f32_e32 v4, v28, v4
	v_mul_f32_e32 v10, v30, v10
	s_delay_alu instid0(VALU_DEP_4) | instskip(NEXT) | instid1(VALU_DEP_4)
	v_dual_fmac_f32 v23, v26, v1 :: v_dual_fmac_f32 v24, v28, v3
	v_fma_f32 v25, v25, v1, -v2
	s_delay_alu instid0(VALU_DEP_4) | instskip(SKIP_4) | instid1(VALU_DEP_3)
	v_fma_f32 v26, v27, v3, -v4
	scratch_load_b128 v[1:4], off, off offset:96
	v_mul_f32_e32 v12, v32, v12
	v_fmac_f32_e32 v160, v32, v11
	v_fma_f32 v27, v29, v9, -v10
	v_fma_f32 v28, v31, v11, -v12
	ds_load_b128 v[9:12], v153 offset:560
	s_wait_loadcnt_dscnt 0x301
	v_dual_mul_f32 v29, v5, v14 :: v_dual_mul_f32 v30, v7, v16
	v_mul_f32_e32 v14, v6, v14
	s_delay_alu instid0(VALU_DEP_2) | instskip(NEXT) | instid1(VALU_DEP_3)
	v_dual_mul_f32 v16, v8, v16 :: v_dual_fmac_f32 v29, v6, v13
	v_fmac_f32_e32 v30, v8, v15
	s_delay_alu instid0(VALU_DEP_3) | instskip(NEXT) | instid1(VALU_DEP_3)
	v_fma_f32 v13, v5, v13, -v14
	v_fma_f32 v14, v7, v15, -v16
	ds_load_b128 v[5:8], v153 offset:576
	s_wait_loadcnt_dscnt 0x201
	v_dual_mul_f32 v15, v9, v18 :: v_dual_mul_f32 v16, v11, v20
	v_mul_f32_e32 v18, v10, v18
	s_delay_alu instid0(VALU_DEP_2) | instskip(NEXT) | instid1(VALU_DEP_3)
	v_dual_mul_f32 v20, v12, v20 :: v_dual_fmac_f32 v15, v10, v17
	v_fmac_f32_e32 v16, v12, v19
	s_delay_alu instid0(VALU_DEP_3) | instskip(NEXT) | instid1(VALU_DEP_3)
	v_fma_f32 v17, v9, v17, -v18
	v_fma_f32 v18, v11, v19, -v20
	scratch_load_b128 v[9:12], off, off offset:112
	s_wait_loadcnt_dscnt 0x100
	v_mul_f32_e32 v19, v5, v2
	v_mul_f32_e32 v2, v6, v2
	;; [unrolled: 1-line block ×3, first 2 shown]
	s_delay_alu instid0(VALU_DEP_3) | instskip(NEXT) | instid1(VALU_DEP_3)
	v_dual_mul_f32 v4, v8, v4 :: v_dual_fmac_f32 v19, v6, v1
	v_fma_f32 v31, v5, v1, -v2
	s_delay_alu instid0(VALU_DEP_3) | instskip(NEXT) | instid1(VALU_DEP_3)
	v_fmac_f32_e32 v20, v8, v3
	v_fma_f32 v32, v7, v3, -v4
	ds_load_b128 v[1:4], v153 offset:592
	ds_load_b128 v[5:8], v153 offset:608
	s_wait_loadcnt_dscnt 0x1
	v_mul_f32_e32 v161, v1, v10
	v_mul_f32_e32 v10, v2, v10
	s_delay_alu instid0(VALU_DEP_2) | instskip(NEXT) | instid1(VALU_DEP_2)
	v_dual_mul_f32 v162, v3, v12 :: v_dual_fmac_f32 v161, v2, v9
	v_fma_f32 v163, v1, v9, -v10
	v_mul_f32_e32 v1, v4, v12
	s_delay_alu instid0(VALU_DEP_3) | instskip(NEXT) | instid1(VALU_DEP_2)
	v_fmac_f32_e32 v162, v4, v11
	v_fma_f32 v164, v3, v11, -v1
	s_clause 0x1
	scratch_load_b128 v[1:4], off, off offset:128
	scratch_load_b128 v[9:12], off, off offset:144
	s_wait_loadcnt_dscnt 0x100
	v_mul_f32_e32 v165, v5, v2
	v_dual_mul_f32 v2, v6, v2 :: v_dual_mul_f32 v167, v7, v4
	s_delay_alu instid0(VALU_DEP_2) | instskip(NEXT) | instid1(VALU_DEP_2)
	v_fmac_f32_e32 v165, v6, v1
	v_fma_f32 v166, v5, v1, -v2
	v_mul_f32_e32 v1, v8, v4
	s_delay_alu instid0(VALU_DEP_4) | instskip(NEXT) | instid1(VALU_DEP_2)
	v_fmac_f32_e32 v167, v8, v3
	v_fma_f32 v168, v7, v3, -v1
	ds_load_b128 v[1:4], v153 offset:624
	ds_load_b128 v[5:8], v153 offset:640
	s_wait_loadcnt_dscnt 0x1
	v_mul_f32_e32 v169, v1, v10
	v_mul_f32_e32 v171, v3, v12
	s_delay_alu instid0(VALU_DEP_2) | instskip(NEXT) | instid1(VALU_DEP_2)
	v_fmac_f32_e32 v169, v2, v9
	v_dual_mul_f32 v2, v2, v10 :: v_dual_fmac_f32 v171, v4, v11
	s_delay_alu instid0(VALU_DEP_1) | instskip(SKIP_1) | instid1(VALU_DEP_1)
	v_fma_f32 v170, v1, v9, -v2
	v_mul_f32_e32 v1, v4, v12
	v_fma_f32 v172, v3, v11, -v1
	s_clause 0x1
	scratch_load_b128 v[1:4], off, off offset:160
	scratch_load_b128 v[9:12], off, off offset:176
	s_wait_loadcnt_dscnt 0x100
	v_mul_f32_e32 v173, v5, v2
	v_dual_mul_f32 v2, v6, v2 :: v_dual_mul_f32 v175, v7, v4
	s_delay_alu instid0(VALU_DEP_2) | instskip(NEXT) | instid1(VALU_DEP_2)
	v_fmac_f32_e32 v173, v6, v1
	v_fma_f32 v174, v5, v1, -v2
	v_mul_f32_e32 v1, v8, v4
	s_delay_alu instid0(VALU_DEP_4) | instskip(NEXT) | instid1(VALU_DEP_2)
	v_fmac_f32_e32 v175, v8, v3
	v_fma_f32 v176, v7, v3, -v1
	ds_load_b128 v[1:4], v153 offset:656
	ds_load_b128 v[5:8], v153 offset:672
	s_wait_loadcnt_dscnt 0x1
	v_mul_f32_e32 v177, v1, v10
	v_mul_f32_e32 v179, v3, v12
	s_delay_alu instid0(VALU_DEP_2) | instskip(NEXT) | instid1(VALU_DEP_2)
	v_fmac_f32_e32 v177, v2, v9
	v_dual_mul_f32 v2, v2, v10 :: v_dual_fmac_f32 v179, v4, v11
	s_delay_alu instid0(VALU_DEP_1) | instskip(SKIP_1) | instid1(VALU_DEP_1)
	v_fma_f32 v178, v1, v9, -v2
	v_mul_f32_e32 v1, v4, v12
	;; [unrolled: 25-line block ×8, first 2 shown]
	v_fma_f32 v228, v3, v11, -v1
	s_clause 0x1
	scratch_load_b128 v[1:4], off, off offset:384
	scratch_load_b128 v[9:12], off, off offset:400
	s_wait_loadcnt_dscnt 0x100
	v_mul_f32_e32 v229, v5, v2
	v_mul_f32_e32 v2, v6, v2
	s_delay_alu instid0(VALU_DEP_2) | instskip(NEXT) | instid1(VALU_DEP_2)
	v_fmac_f32_e32 v229, v6, v1
	v_fma_f32 v230, v5, v1, -v2
	v_dual_mul_f32 v1, v8, v4 :: v_dual_add_f32 v2, 0, v154
	s_delay_alu instid0(VALU_DEP_1) | instskip(NEXT) | instid1(VALU_DEP_2)
	v_fma_f32 v232, v7, v3, -v1
	v_dual_add_f32 v1, 0, v21 :: v_dual_add_f32 v2, v2, v158
	s_delay_alu instid0(VALU_DEP_1) | instskip(NEXT) | instid1(VALU_DEP_1)
	v_dual_add_f32 v1, v1, v22 :: v_dual_add_f32 v2, v2, v23
	v_dual_add_f32 v1, v1, v25 :: v_dual_add_f32 v2, v2, v24
	s_delay_alu instid0(VALU_DEP_1) | instskip(NEXT) | instid1(VALU_DEP_1)
	v_dual_add_f32 v1, v1, v26 :: v_dual_add_f32 v2, v2, v159
	;; [unrolled: 3-line block ×10, first 2 shown]
	v_dual_add_f32 v1, v1, v178 :: v_dual_add_f32 v2, v2, v179
	s_delay_alu instid0(VALU_DEP_1) | instskip(SKIP_1) | instid1(VALU_DEP_2)
	v_dual_add_f32 v1, v1, v180 :: v_dual_add_f32 v2, v2, v181
	v_mul_f32_e32 v231, v7, v4
	v_dual_add_f32 v1, v1, v182 :: v_dual_add_f32 v2, v2, v183
	s_delay_alu instid0(VALU_DEP_1) | instskip(NEXT) | instid1(VALU_DEP_1)
	v_add_f32_e32 v1, v1, v184
	v_add_f32_e32 v1, v1, v186
	s_delay_alu instid0(VALU_DEP_1) | instskip(NEXT) | instid1(VALU_DEP_1)
	v_add_f32_e32 v1, v1, v188
	v_add_f32_e32 v1, v1, v190
	;; [unrolled: 3-line block ×6, first 2 shown]
	v_add_f32_e32 v2, v2, v185
	s_delay_alu instid0(VALU_DEP_2) | instskip(NEXT) | instid1(VALU_DEP_2)
	v_add_f32_e32 v14, v6, v208
	v_add_f32_e32 v2, v2, v187
	s_delay_alu instid0(VALU_DEP_2) | instskip(NEXT) | instid1(VALU_DEP_2)
	v_add_f32_e32 v14, v14, v210
	v_add_f32_e32 v2, v2, v189
	s_delay_alu instid0(VALU_DEP_2) | instskip(NEXT) | instid1(VALU_DEP_1)
	v_add_f32_e32 v17, v14, v212
	v_dual_add_f32 v2, v2, v191 :: v_dual_add_f32 v17, v17, v214
	s_delay_alu instid0(VALU_DEP_1) | instskip(NEXT) | instid1(VALU_DEP_1)
	v_dual_add_f32 v2, v2, v193 :: v_dual_add_f32 v17, v17, v216
	v_dual_add_f32 v2, v2, v195 :: v_dual_add_f32 v17, v17, v218
	s_delay_alu instid0(VALU_DEP_1) | instskip(NEXT) | instid1(VALU_DEP_2)
	v_add_f32_e32 v2, v2, v197
	v_add_f32_e32 v22, v17, v220
	s_delay_alu instid0(VALU_DEP_2) | instskip(NEXT) | instid1(VALU_DEP_2)
	v_add_f32_e32 v2, v2, v199
	v_dual_fmac_f32 v231, v8, v3 :: v_dual_add_f32 v22, v22, v222
	s_delay_alu instid0(VALU_DEP_2) | instskip(NEXT) | instid1(VALU_DEP_2)
	v_add_f32_e32 v2, v2, v201
	v_add_f32_e32 v22, v22, v224
	s_delay_alu instid0(VALU_DEP_2) | instskip(SKIP_4) | instid1(VALU_DEP_1)
	v_add_f32_e32 v5, v2, v203
	ds_load_b128 v[1:4], v153 offset:880
	v_add_f32_e32 v13, v5, v205
	scratch_load_b128 v[5:8], off, off offset:416
	v_add_f32_e32 v13, v13, v207
	v_add_f32_e32 v13, v13, v209
	s_delay_alu instid0(VALU_DEP_1)
	v_add_f32_e32 v18, v13, v211
	ds_load_b128 v[13:16], v153 offset:896
	s_wait_loadcnt_dscnt 0x101
	v_mul_f32_e32 v25, v1, v10
	v_mul_f32_e32 v10, v2, v10
	v_mul_f32_e32 v26, v3, v12
	s_delay_alu instid0(VALU_DEP_3) | instskip(NEXT) | instid1(VALU_DEP_3)
	v_dual_mul_f32 v12, v4, v12 :: v_dual_fmac_f32 v25, v2, v9
	v_fma_f32 v27, v1, v9, -v10
	s_delay_alu instid0(VALU_DEP_3) | instskip(NEXT) | instid1(VALU_DEP_3)
	v_fmac_f32_e32 v26, v4, v11
	v_fma_f32 v28, v3, v11, -v12
	s_clause 0x1
	scratch_load_b128 v[1:4], off, off offset:432
	scratch_load_b128 v[9:12], off, off offset:448
	s_wait_loadcnt_dscnt 0x200
	v_mul_f32_e32 v30, v15, v8
	v_mul_f32_e32 v8, v16, v8
	v_dual_add_f32 v18, v18, v213 :: v_dual_mul_f32 v29, v13, v6
	v_mul_f32_e32 v6, v14, v6
	s_delay_alu instid0(VALU_DEP_4) | instskip(NEXT) | instid1(VALU_DEP_4)
	v_fmac_f32_e32 v30, v16, v7
	v_fma_f32 v32, v15, v7, -v8
	s_delay_alu instid0(VALU_DEP_4)
	v_add_f32_e32 v18, v18, v215
	v_fmac_f32_e32 v29, v14, v5
	v_fma_f32 v31, v13, v5, -v6
	ds_load_b128 v[5:8], v153 offset:912
	v_add_f32_e32 v21, v18, v217
	scratch_load_b128 v[17:20], off, off offset:464
	v_add_f32_e32 v21, v21, v219
	s_delay_alu instid0(VALU_DEP_1) | instskip(NEXT) | instid1(VALU_DEP_1)
	v_add_f32_e32 v21, v21, v221
	v_add_f32_e32 v13, v21, v223
	s_delay_alu instid0(VALU_DEP_1) | instskip(NEXT) | instid1(VALU_DEP_1)
	v_dual_add_f32 v21, v22, v226 :: v_dual_add_f32 v22, v13, v225
	v_add_f32_e32 v154, v21, v228
	ds_load_b128 v[13:16], v153 offset:928
	v_add_f32_e32 v158, v22, v227
	ds_load_b128 v[21:24], v153 offset:944
	v_add_f32_e32 v153, v154, v230
	v_add_f32_e32 v154, v158, v229
	s_wait_loadcnt_dscnt 0x202
	v_mul_f32_e32 v158, v5, v2
	s_delay_alu instid0(VALU_DEP_3) | instskip(NEXT) | instid1(VALU_DEP_3)
	v_dual_add_f32 v153, v153, v232 :: v_dual_mul_f32 v2, v6, v2
	v_add_f32_e32 v154, v154, v231
	s_delay_alu instid0(VALU_DEP_2) | instskip(SKIP_1) | instid1(VALU_DEP_3)
	v_dual_fmac_f32 v158, v6, v1 :: v_dual_add_f32 v27, v153, v27
	v_mul_f32_e32 v153, v7, v4
	v_dual_mul_f32 v4, v8, v4 :: v_dual_add_f32 v25, v154, v25
	v_fma_f32 v2, v5, v1, -v2
	s_wait_loadcnt_dscnt 0x101
	v_dual_add_f32 v27, v27, v28 :: v_dual_mul_f32 v154, v13, v10
	v_mul_f32_e32 v6, v14, v10
	v_add_f32_e32 v25, v25, v26
	v_fmac_f32_e32 v153, v8, v3
	s_delay_alu instid0(VALU_DEP_4) | instskip(SKIP_3) | instid1(VALU_DEP_4)
	v_add_f32_e32 v27, v27, v31
	v_fma_f32 v3, v7, v3, -v4
	v_mul_f32_e32 v159, v15, v12
	v_dual_add_f32 v25, v25, v29 :: v_dual_mul_f32 v4, v16, v12
	v_dual_add_f32 v1, v27, v32 :: v_dual_fmac_f32 v154, v14, v9
	s_delay_alu instid0(VALU_DEP_3) | instskip(NEXT) | instid1(VALU_DEP_3)
	v_fmac_f32_e32 v159, v16, v11
	v_add_f32_e32 v5, v25, v30
	s_delay_alu instid0(VALU_DEP_4) | instskip(NEXT) | instid1(VALU_DEP_4)
	v_fma_f32 v4, v15, v11, -v4
	v_add_f32_e32 v1, v1, v2
	s_delay_alu instid0(VALU_DEP_3) | instskip(SKIP_1) | instid1(VALU_DEP_2)
	v_add_f32_e32 v2, v5, v158
	v_fma_f32 v5, v13, v9, -v6
	v_dual_add_f32 v1, v1, v3 :: v_dual_add_f32 v2, v2, v153
	s_delay_alu instid0(VALU_DEP_1) | instskip(NEXT) | instid1(VALU_DEP_1)
	v_dual_add_f32 v1, v1, v5 :: v_dual_add_f32 v2, v2, v154
	v_dual_add_f32 v1, v1, v4 :: v_dual_add_f32 v2, v2, v159
	s_wait_loadcnt_dscnt 0x0
	v_mul_f32_e32 v26, v21, v18
	v_dual_mul_f32 v3, v22, v18 :: v_dual_mul_f32 v28, v23, v20
	s_delay_alu instid0(VALU_DEP_2) | instskip(NEXT) | instid1(VALU_DEP_2)
	v_dual_mul_f32 v5, v24, v20 :: v_dual_fmac_f32 v26, v22, v17
	v_fma_f32 v3, v21, v17, -v3
	s_delay_alu instid0(VALU_DEP_3) | instskip(NEXT) | instid1(VALU_DEP_3)
	v_fmac_f32_e32 v28, v24, v19
	v_fma_f32 v4, v23, v19, -v5
	s_delay_alu instid0(VALU_DEP_3) | instskip(NEXT) | instid1(VALU_DEP_1)
	v_dual_add_f32 v2, v2, v26 :: v_dual_add_f32 v1, v1, v3
	v_add_f32_e32 v2, v2, v28
	s_delay_alu instid0(VALU_DEP_2) | instskip(NEXT) | instid1(VALU_DEP_1)
	v_add_f32_e32 v1, v1, v4
	v_dual_sub_f32 v2, v157, v2 :: v_dual_sub_f32 v1, v156, v1
	scratch_store_b64 off, v[1:2], off offset:8
	v_cmpx_ne_u32_e32 0, v0
	s_cbranch_execz .LBB123_373
; %bb.372:
	scratch_load_b64 v[0:1], off, off
	v_mov_b32_e32 v2, 0
	s_delay_alu instid0(VALU_DEP_1)
	v_mov_b32_e32 v3, v2
	scratch_store_b64 off, v[2:3], off
	s_wait_loadcnt 0x0
	ds_store_b64 v155, v[0:1]
.LBB123_373:
	s_wait_alu 0xfffe
	s_or_b32 exec_lo, exec_lo, s0
	s_wait_storecnt_dscnt 0x0
	s_barrier_signal -1
	s_barrier_wait -1
	global_inv scope:SCOPE_SE
	s_clause 0x6
	scratch_load_b128 v[0:3], off, off offset:8
	scratch_load_b128 v[4:7], off, off offset:24
	;; [unrolled: 1-line block ×7, first 2 shown]
	v_mov_b32_e32 v32, 0
	scratch_load_b64 v[157:158], off, off
	s_and_b32 vcc_lo, exec_lo, s12
	ds_load_2addr_b64 v[28:31], v32 offset0:61 offset1:62
	ds_load_2addr_b64 v[153:156], v32 offset0:63 offset1:64
	s_wait_loadcnt_dscnt 0x701
	v_dual_mul_f32 v159, v28, v1 :: v_dual_mul_f32 v160, v30, v3
	v_mul_f32_e32 v1, v29, v1
	v_mul_f32_e32 v3, v31, v3
	s_delay_alu instid0(VALU_DEP_3) | instskip(NEXT) | instid1(VALU_DEP_3)
	v_dual_fmac_f32 v159, v29, v0 :: v_dual_fmac_f32 v160, v31, v2
	v_fma_f32 v28, v28, v0, -v1
	s_delay_alu instid0(VALU_DEP_3) | instskip(SKIP_4) | instid1(VALU_DEP_2)
	v_fma_f32 v29, v30, v2, -v3
	ds_load_2addr_b64 v[0:3], v32 offset0:65 offset1:66
	s_wait_loadcnt_dscnt 0x601
	v_dual_mul_f32 v30, v153, v5 :: v_dual_mul_f32 v31, v155, v7
	v_mul_f32_e32 v5, v154, v5
	v_dual_mul_f32 v7, v156, v7 :: v_dual_fmac_f32 v30, v154, v4
	s_delay_alu instid0(VALU_DEP_3) | instskip(NEXT) | instid1(VALU_DEP_3)
	v_fmac_f32_e32 v31, v156, v6
	v_fma_f32 v153, v153, v4, -v5
	s_delay_alu instid0(VALU_DEP_3) | instskip(SKIP_4) | instid1(VALU_DEP_2)
	v_fma_f32 v154, v155, v6, -v7
	ds_load_2addr_b64 v[4:7], v32 offset0:67 offset1:68
	s_wait_loadcnt_dscnt 0x501
	v_dual_mul_f32 v155, v0, v9 :: v_dual_mul_f32 v156, v2, v11
	v_mul_f32_e32 v11, v3, v11
	v_fmac_f32_e32 v156, v3, v10
	s_delay_alu instid0(VALU_DEP_2) | instskip(SKIP_2) | instid1(VALU_DEP_1)
	v_fma_f32 v162, v2, v10, -v11
	s_wait_loadcnt_dscnt 0x400
	v_dual_mul_f32 v164, v6, v15 :: v_dual_mul_f32 v9, v1, v9
	v_dual_fmac_f32 v155, v1, v8 :: v_dual_fmac_f32 v164, v7, v14
	s_delay_alu instid0(VALU_DEP_2) | instskip(SKIP_3) | instid1(VALU_DEP_2)
	v_fma_f32 v161, v0, v8, -v9
	ds_load_2addr_b64 v[0:3], v32 offset0:69 offset1:70
	v_mul_f32_e32 v163, v4, v13
	v_dual_mul_f32 v8, v5, v13 :: v_dual_mul_f32 v9, v7, v15
	v_fmac_f32_e32 v163, v5, v12
	s_delay_alu instid0(VALU_DEP_2) | instskip(NEXT) | instid1(VALU_DEP_3)
	v_fma_f32 v12, v4, v12, -v8
	v_fma_f32 v13, v6, v14, -v9
	ds_load_2addr_b64 v[4:7], v32 offset0:71 offset1:72
	s_wait_loadcnt_dscnt 0x301
	v_dual_mul_f32 v14, v0, v17 :: v_dual_mul_f32 v15, v2, v19
	v_dual_mul_f32 v8, v1, v17 :: v_dual_mul_f32 v9, v3, v19
	s_delay_alu instid0(VALU_DEP_2) | instskip(NEXT) | instid1(VALU_DEP_2)
	v_fmac_f32_e32 v14, v1, v16
	v_fma_f32 v16, v0, v16, -v8
	s_delay_alu instid0(VALU_DEP_3)
	v_fma_f32 v17, v2, v18, -v9
	s_wait_loadcnt_dscnt 0x200
	v_dual_mul_f32 v8, v5, v21 :: v_dual_fmac_f32 v15, v3, v18
	ds_load_2addr_b64 v[0:3], v32 offset0:73 offset1:74
	v_dual_mul_f32 v18, v4, v21 :: v_dual_mul_f32 v19, v6, v23
	v_mul_f32_e32 v9, v7, v23
	v_fma_f32 v21, v4, v20, -v8
	s_delay_alu instid0(VALU_DEP_3) | instskip(NEXT) | instid1(VALU_DEP_3)
	v_dual_fmac_f32 v18, v5, v20 :: v_dual_fmac_f32 v19, v7, v22
	v_fma_f32 v20, v6, v22, -v9
	ds_load_2addr_b64 v[4:7], v32 offset0:75 offset1:76
	s_wait_loadcnt_dscnt 0x101
	v_mul_f32_e32 v22, v0, v25
	v_dual_mul_f32 v8, v1, v25 :: v_dual_mul_f32 v23, v2, v27
	s_delay_alu instid0(VALU_DEP_2) | instskip(NEXT) | instid1(VALU_DEP_2)
	v_dual_mul_f32 v9, v3, v27 :: v_dual_fmac_f32 v22, v1, v24
	v_fma_f32 v24, v0, v24, -v8
	s_delay_alu instid0(VALU_DEP_3) | instskip(NEXT) | instid1(VALU_DEP_3)
	v_fmac_f32_e32 v23, v3, v26
	v_fma_f32 v25, v2, v26, -v9
	s_clause 0x1
	scratch_load_b128 v[0:3], off, off offset:120
	scratch_load_b128 v[8:11], off, off offset:136
	s_wait_loadcnt_dscnt 0x100
	v_mul_f32_e32 v26, v4, v1
	v_mul_f32_e32 v1, v5, v1
	s_delay_alu instid0(VALU_DEP_2) | instskip(NEXT) | instid1(VALU_DEP_2)
	v_dual_mul_f32 v165, v6, v3 :: v_dual_fmac_f32 v26, v5, v0
	v_fma_f32 v27, v4, v0, -v1
	v_mul_f32_e32 v0, v7, v3
	s_delay_alu instid0(VALU_DEP_3) | instskip(NEXT) | instid1(VALU_DEP_2)
	v_fmac_f32_e32 v165, v7, v2
	v_fma_f32 v166, v6, v2, -v0
	ds_load_2addr_b64 v[0:3], v32 offset0:77 offset1:78
	ds_load_2addr_b64 v[4:7], v32 offset0:79 offset1:80
	s_wait_loadcnt_dscnt 0x1
	v_mul_f32_e32 v167, v0, v9
	v_mul_f32_e32 v169, v2, v11
	s_delay_alu instid0(VALU_DEP_2) | instskip(SKIP_1) | instid1(VALU_DEP_3)
	v_fmac_f32_e32 v167, v1, v8
	v_mul_f32_e32 v1, v1, v9
	v_fmac_f32_e32 v169, v3, v10
	s_delay_alu instid0(VALU_DEP_2) | instskip(SKIP_1) | instid1(VALU_DEP_1)
	v_fma_f32 v168, v0, v8, -v1
	v_mul_f32_e32 v0, v3, v11
	v_fma_f32 v170, v2, v10, -v0
	s_clause 0x1
	scratch_load_b128 v[0:3], off, off offset:152
	scratch_load_b128 v[8:11], off, off offset:168
	s_wait_loadcnt_dscnt 0x100
	v_mul_f32_e32 v171, v4, v1
	v_mul_f32_e32 v1, v5, v1
	v_mul_f32_e32 v173, v6, v3
	s_delay_alu instid0(VALU_DEP_3) | instskip(NEXT) | instid1(VALU_DEP_3)
	v_fmac_f32_e32 v171, v5, v0
	v_fma_f32 v172, v4, v0, -v1
	v_mul_f32_e32 v0, v7, v3
	s_delay_alu instid0(VALU_DEP_4) | instskip(NEXT) | instid1(VALU_DEP_2)
	v_fmac_f32_e32 v173, v7, v2
	v_fma_f32 v174, v6, v2, -v0
	ds_load_2addr_b64 v[0:3], v32 offset0:81 offset1:82
	ds_load_2addr_b64 v[4:7], v32 offset0:83 offset1:84
	s_wait_loadcnt_dscnt 0x1
	v_mul_f32_e32 v175, v0, v9
	v_mul_f32_e32 v177, v2, v11
	s_delay_alu instid0(VALU_DEP_2) | instskip(SKIP_1) | instid1(VALU_DEP_3)
	v_fmac_f32_e32 v175, v1, v8
	v_mul_f32_e32 v1, v1, v9
	v_fmac_f32_e32 v177, v3, v10
	s_delay_alu instid0(VALU_DEP_2) | instskip(SKIP_1) | instid1(VALU_DEP_1)
	v_fma_f32 v176, v0, v8, -v1
	v_mul_f32_e32 v0, v3, v11
	v_fma_f32 v178, v2, v10, -v0
	s_clause 0x1
	scratch_load_b128 v[0:3], off, off offset:184
	scratch_load_b128 v[8:11], off, off offset:200
	s_wait_loadcnt_dscnt 0x100
	v_mul_f32_e32 v179, v4, v1
	v_mul_f32_e32 v1, v5, v1
	v_mul_f32_e32 v181, v6, v3
	s_delay_alu instid0(VALU_DEP_3) | instskip(NEXT) | instid1(VALU_DEP_3)
	v_fmac_f32_e32 v179, v5, v0
	v_fma_f32 v180, v4, v0, -v1
	v_mul_f32_e32 v0, v7, v3
	s_delay_alu instid0(VALU_DEP_4) | instskip(NEXT) | instid1(VALU_DEP_2)
	;; [unrolled: 27-line block ×7, first 2 shown]
	v_fmac_f32_e32 v221, v7, v2
	v_fma_f32 v222, v6, v2, -v0
	ds_load_2addr_b64 v[0:3], v32 offset0:105 offset1:106
	ds_load_2addr_b64 v[4:7], v32 offset0:107 offset1:108
	s_wait_loadcnt_dscnt 0x1
	v_mul_f32_e32 v223, v0, v9
	v_mul_f32_e32 v225, v2, v11
	s_delay_alu instid0(VALU_DEP_2) | instskip(SKIP_1) | instid1(VALU_DEP_3)
	v_fmac_f32_e32 v223, v1, v8
	v_mul_f32_e32 v1, v1, v9
	v_fmac_f32_e32 v225, v3, v10
	s_delay_alu instid0(VALU_DEP_2) | instskip(SKIP_1) | instid1(VALU_DEP_1)
	v_fma_f32 v224, v0, v8, -v1
	v_mul_f32_e32 v0, v3, v11
	v_fma_f32 v226, v2, v10, -v0
	s_clause 0x1
	scratch_load_b128 v[0:3], off, off offset:376
	scratch_load_b128 v[8:11], off, off offset:392
	s_wait_loadcnt_dscnt 0x100
	v_mul_f32_e32 v227, v4, v1
	v_mul_f32_e32 v1, v5, v1
	;; [unrolled: 1-line block ×3, first 2 shown]
	s_delay_alu instid0(VALU_DEP_3) | instskip(NEXT) | instid1(VALU_DEP_3)
	v_fmac_f32_e32 v227, v5, v0
	v_fma_f32 v228, v4, v0, -v1
	v_mul_f32_e32 v0, v7, v3
	v_add_f32_e32 v1, 0, v159
	v_fmac_f32_e32 v229, v7, v2
	s_delay_alu instid0(VALU_DEP_3) | instskip(SKIP_1) | instid1(VALU_DEP_1)
	v_fma_f32 v230, v6, v2, -v0
	v_add_f32_e32 v0, 0, v28
	v_dual_add_f32 v1, v1, v160 :: v_dual_add_f32 v0, v0, v29
	s_delay_alu instid0(VALU_DEP_1) | instskip(NEXT) | instid1(VALU_DEP_1)
	v_dual_add_f32 v1, v1, v30 :: v_dual_add_f32 v0, v0, v153
	v_dual_add_f32 v1, v1, v31 :: v_dual_add_f32 v0, v0, v154
	s_delay_alu instid0(VALU_DEP_1) | instskip(NEXT) | instid1(VALU_DEP_1)
	v_dual_add_f32 v1, v1, v155 :: v_dual_add_f32 v0, v0, v161
	;; [unrolled: 3-line block ×6, first 2 shown]
	v_dual_add_f32 v1, v1, v23 :: v_dual_add_f32 v0, v0, v25
	s_delay_alu instid0(VALU_DEP_1) | instskip(SKIP_2) | instid1(VALU_DEP_1)
	v_add_f32_e32 v1, v1, v26
	scratch_load_b64 v[24:25], off, off offset:472
	v_dual_add_f32 v0, v0, v27 :: v_dual_add_f32 v1, v1, v165
	v_dual_add_f32 v0, v0, v166 :: v_dual_add_f32 v1, v1, v167
	s_delay_alu instid0(VALU_DEP_1) | instskip(NEXT) | instid1(VALU_DEP_1)
	v_dual_add_f32 v0, v0, v168 :: v_dual_add_f32 v1, v1, v169
	v_dual_add_f32 v0, v0, v170 :: v_dual_add_f32 v1, v1, v171
	s_delay_alu instid0(VALU_DEP_1) | instskip(NEXT) | instid1(VALU_DEP_1)
	;; [unrolled: 3-line block ×8, first 2 shown]
	v_dual_add_f32 v0, v0, v196 :: v_dual_add_f32 v1, v1, v197
	v_add_f32_e32 v0, v0, v198
	s_delay_alu instid0(VALU_DEP_2) | instskip(NEXT) | instid1(VALU_DEP_2)
	v_add_f32_e32 v4, v1, v199
	v_add_f32_e32 v0, v0, v200
	s_delay_alu instid0(VALU_DEP_2) | instskip(NEXT) | instid1(VALU_DEP_2)
	v_add_f32_e32 v12, v4, v201
	v_add_f32_e32 v5, v0, v202
	scratch_load_b128 v[0:3], off, off offset:408
	v_dual_add_f32 v12, v12, v203 :: v_dual_add_f32 v13, v5, v204
	ds_load_2addr_b64 v[4:7], v32 offset0:109 offset1:110
	v_dual_add_f32 v12, v12, v205 :: v_dual_add_f32 v13, v13, v206
	s_delay_alu instid0(VALU_DEP_1) | instskip(SKIP_2) | instid1(VALU_DEP_1)
	v_dual_add_f32 v17, v12, v207 :: v_dual_add_f32 v16, v13, v208
	ds_load_2addr_b64 v[12:15], v32 offset0:111 offset1:112
	v_add_f32_e32 v16, v16, v210
	v_add_f32_e32 v16, v16, v212
	s_wait_loadcnt_dscnt 0x201
	v_mul_f32_e32 v28, v4, v9
	v_mul_f32_e32 v9, v5, v9
	v_mul_f32_e32 v29, v6, v11
	v_mul_f32_e32 v11, v7, v11
	v_add_f32_e32 v17, v17, v209
	v_fmac_f32_e32 v28, v5, v8
	v_fma_f32 v30, v4, v8, -v9
	v_fmac_f32_e32 v29, v7, v10
	v_fma_f32 v31, v6, v10, -v11
	s_clause 0x1
	scratch_load_b128 v[4:7], off, off offset:424
	scratch_load_b128 v[8:11], off, off offset:440
	v_dual_add_f32 v16, v16, v214 :: v_dual_add_f32 v17, v17, v211
	s_delay_alu instid0(VALU_DEP_1) | instskip(SKIP_2) | instid1(VALU_DEP_1)
	v_dual_add_f32 v21, v16, v216 :: v_dual_add_f32 v20, v17, v213
	scratch_load_b128 v[16:19], off, off offset:456
	v_dual_add_f32 v21, v21, v218 :: v_dual_add_f32 v20, v20, v215
	v_dual_add_f32 v21, v21, v220 :: v_dual_add_f32 v20, v20, v217
	s_delay_alu instid0(VALU_DEP_1) | instskip(SKIP_4) | instid1(VALU_DEP_3)
	v_add_f32_e32 v21, v21, v222
	s_wait_loadcnt_dscnt 0x300
	v_mul_f32_e32 v153, v12, v1
	v_dual_mul_f32 v1, v13, v1 :: v_dual_mul_f32 v154, v14, v3
	v_mul_f32_e32 v3, v15, v3
	v_fmac_f32_e32 v153, v13, v0
	v_add_f32_e32 v13, v21, v224
	s_delay_alu instid0(VALU_DEP_4) | instskip(SKIP_4) | instid1(VALU_DEP_1)
	v_fma_f32 v155, v12, v0, -v1
	v_fmac_f32_e32 v154, v15, v2
	v_fma_f32 v156, v14, v2, -v3
	ds_load_2addr_b64 v[0:3], v32 offset0:113 offset1:114
	v_add_f32_e32 v26, v13, v226
	v_add_f32_e32 v159, v26, v228
	s_delay_alu instid0(VALU_DEP_1) | instskip(NEXT) | instid1(VALU_DEP_1)
	v_add_f32_e32 v159, v159, v230
	v_add_f32_e32 v30, v159, v30
	s_delay_alu instid0(VALU_DEP_1) | instskip(SKIP_1) | instid1(VALU_DEP_2)
	v_add_f32_e32 v30, v30, v31
	v_add_f32_e32 v20, v20, v219
	;; [unrolled: 1-line block ×3, first 2 shown]
	s_delay_alu instid0(VALU_DEP_2) | instskip(NEXT) | instid1(VALU_DEP_1)
	v_add_f32_e32 v12, v20, v221
	v_add_f32_e32 v20, v12, v223
	ds_load_2addr_b64 v[12:15], v32 offset0:115 offset1:116
	s_wait_loadcnt_dscnt 0x201
	v_mul_f32_e32 v161, v0, v5
	v_mul_f32_e32 v5, v1, v5
	;; [unrolled: 1-line block ×4, first 2 shown]
	v_add_f32_e32 v27, v20, v225
	v_fmac_f32_e32 v161, v1, v4
	v_fma_f32 v0, v0, v4, -v5
	v_add_f32_e32 v1, v30, v156
	v_fma_f32 v2, v2, v6, -v7
	ds_load_2addr_b64 v[20:23], v32 offset0:117 offset1:118
	v_dual_fmac_f32 v159, v3, v6 :: v_dual_add_f32 v0, v1, v0
	s_delay_alu instid0(VALU_DEP_1)
	v_add_f32_e32 v0, v0, v2
	v_add_f32_e32 v160, v27, v227
	ds_load_b64 v[26:27], v32 offset:952
	s_wait_loadcnt_dscnt 0x102
	v_mul_f32_e32 v31, v12, v9
	v_mul_f32_e32 v5, v13, v9
	v_dual_mul_f32 v3, v15, v11 :: v_dual_add_f32 v160, v160, v229
	s_delay_alu instid0(VALU_DEP_3) | instskip(NEXT) | instid1(VALU_DEP_2)
	v_fmac_f32_e32 v31, v13, v8
	v_fma_f32 v3, v14, v10, -v3
	s_delay_alu instid0(VALU_DEP_3) | instskip(SKIP_3) | instid1(VALU_DEP_3)
	v_add_f32_e32 v28, v160, v28
	s_wait_loadcnt_dscnt 0x1
	v_mul_f32_e32 v160, v20, v17
	v_dual_mul_f32 v2, v21, v17 :: v_dual_mul_f32 v155, v22, v19
	v_dual_add_f32 v28, v28, v29 :: v_dual_mul_f32 v29, v14, v11
	s_delay_alu instid0(VALU_DEP_3) | instskip(NEXT) | instid1(VALU_DEP_3)
	v_fmac_f32_e32 v160, v21, v16
	v_fma_f32 v2, v20, v16, -v2
	s_delay_alu instid0(VALU_DEP_3) | instskip(NEXT) | instid1(VALU_DEP_4)
	v_dual_fmac_f32 v155, v23, v18 :: v_dual_add_f32 v28, v28, v153
	v_fmac_f32_e32 v29, v15, v10
	s_wait_dscnt 0x0
	s_delay_alu instid0(VALU_DEP_2) | instskip(NEXT) | instid1(VALU_DEP_1)
	v_dual_mul_f32 v153, v26, v25 :: v_dual_add_f32 v4, v28, v154
	v_fmac_f32_e32 v153, v27, v24
	s_delay_alu instid0(VALU_DEP_2) | instskip(SKIP_1) | instid1(VALU_DEP_1)
	v_add_f32_e32 v1, v4, v161
	v_fma_f32 v4, v12, v8, -v5
	v_dual_add_f32 v1, v1, v159 :: v_dual_add_f32 v0, v0, v4
	v_mul_f32_e32 v4, v23, v19
	s_delay_alu instid0(VALU_DEP_2) | instskip(NEXT) | instid1(VALU_DEP_3)
	v_add_f32_e32 v1, v1, v31
	v_dual_add_f32 v0, v0, v3 :: v_dual_mul_f32 v3, v27, v25
	s_delay_alu instid0(VALU_DEP_3) | instskip(NEXT) | instid1(VALU_DEP_2)
	v_fma_f32 v4, v22, v18, -v4
	v_dual_add_f32 v1, v1, v29 :: v_dual_add_f32 v0, v0, v2
	s_delay_alu instid0(VALU_DEP_3) | instskip(NEXT) | instid1(VALU_DEP_2)
	v_fma_f32 v2, v26, v24, -v3
	v_add_f32_e32 v1, v1, v160
	s_delay_alu instid0(VALU_DEP_1) | instskip(NEXT) | instid1(VALU_DEP_1)
	v_dual_add_f32 v0, v0, v4 :: v_dual_add_f32 v1, v1, v155
	v_dual_add_f32 v0, v0, v2 :: v_dual_add_f32 v1, v1, v153
	s_delay_alu instid0(VALU_DEP_1)
	v_dual_sub_f32 v0, v157, v0 :: v_dual_sub_f32 v1, v158, v1
	scratch_store_b64 off, v[0:1], off
	s_wait_alu 0xfffe
	s_cbranch_vccz .LBB123_492
; %bb.374:
	global_load_b32 v0, v32, s[2:3] offset:232
	s_wait_loadcnt 0x0
	v_cmp_ne_u32_e32 vcc_lo, 59, v0
	s_cbranch_vccz .LBB123_376
; %bb.375:
	v_lshlrev_b32_e32 v0, 3, v0
	s_delay_alu instid0(VALU_DEP_1)
	v_mov_b32_e32 v4, v0
	scratch_load_b64 v[0:1], v4, off offset:-8
	scratch_load_b64 v[2:3], off, off offset:464
	s_wait_loadcnt 0x1
	scratch_store_b64 off, v[0:1], off offset:464
	s_wait_loadcnt 0x0
	scratch_store_b64 v4, v[2:3], off offset:-8
.LBB123_376:
	v_mov_b32_e32 v0, 0
	global_load_b32 v1, v0, s[2:3] offset:228
	s_wait_loadcnt 0x0
	v_cmp_eq_u32_e32 vcc_lo, 58, v1
	s_cbranch_vccnz .LBB123_378
; %bb.377:
	v_lshlrev_b32_e32 v1, 3, v1
	s_delay_alu instid0(VALU_DEP_1)
	v_mov_b32_e32 v5, v1
	scratch_load_b64 v[1:2], v5, off offset:-8
	scratch_load_b64 v[3:4], off, off offset:456
	s_wait_loadcnt 0x1
	scratch_store_b64 off, v[1:2], off offset:456
	s_wait_loadcnt 0x0
	scratch_store_b64 v5, v[3:4], off offset:-8
.LBB123_378:
	global_load_b32 v0, v0, s[2:3] offset:224
	s_wait_loadcnt 0x0
	v_cmp_eq_u32_e32 vcc_lo, 57, v0
	s_cbranch_vccnz .LBB123_380
; %bb.379:
	v_lshlrev_b32_e32 v0, 3, v0
	s_delay_alu instid0(VALU_DEP_1)
	v_mov_b32_e32 v4, v0
	scratch_load_b64 v[0:1], v4, off offset:-8
	scratch_load_b64 v[2:3], off, off offset:448
	s_wait_loadcnt 0x1
	scratch_store_b64 off, v[0:1], off offset:448
	s_wait_loadcnt 0x0
	scratch_store_b64 v4, v[2:3], off offset:-8
.LBB123_380:
	v_mov_b32_e32 v0, 0
	global_load_b32 v1, v0, s[2:3] offset:220
	s_wait_loadcnt 0x0
	v_cmp_eq_u32_e32 vcc_lo, 56, v1
	s_cbranch_vccnz .LBB123_382
; %bb.381:
	v_lshlrev_b32_e32 v1, 3, v1
	s_delay_alu instid0(VALU_DEP_1)
	v_mov_b32_e32 v5, v1
	scratch_load_b64 v[1:2], v5, off offset:-8
	scratch_load_b64 v[3:4], off, off offset:440
	s_wait_loadcnt 0x1
	scratch_store_b64 off, v[1:2], off offset:440
	s_wait_loadcnt 0x0
	scratch_store_b64 v5, v[3:4], off offset:-8
.LBB123_382:
	global_load_b32 v0, v0, s[2:3] offset:216
	s_wait_loadcnt 0x0
	v_cmp_eq_u32_e32 vcc_lo, 55, v0
	s_cbranch_vccnz .LBB123_384
; %bb.383:
	v_lshlrev_b32_e32 v0, 3, v0
	s_delay_alu instid0(VALU_DEP_1)
	v_mov_b32_e32 v4, v0
	scratch_load_b64 v[0:1], v4, off offset:-8
	scratch_load_b64 v[2:3], off, off offset:432
	s_wait_loadcnt 0x1
	scratch_store_b64 off, v[0:1], off offset:432
	s_wait_loadcnt 0x0
	scratch_store_b64 v4, v[2:3], off offset:-8
.LBB123_384:
	;; [unrolled: 31-line block ×28, first 2 shown]
	v_mov_b32_e32 v0, 0
	global_load_b32 v1, v0, s[2:3] offset:4
	s_wait_loadcnt 0x0
	v_cmp_eq_u32_e32 vcc_lo, 2, v1
	s_cbranch_vccnz .LBB123_490
; %bb.489:
	v_lshlrev_b32_e32 v1, 3, v1
	s_delay_alu instid0(VALU_DEP_1)
	v_mov_b32_e32 v5, v1
	scratch_load_b64 v[1:2], v5, off offset:-8
	scratch_load_b64 v[3:4], off, off offset:8
	s_wait_loadcnt 0x1
	scratch_store_b64 off, v[1:2], off offset:8
	s_wait_loadcnt 0x0
	scratch_store_b64 v5, v[3:4], off offset:-8
.LBB123_490:
	global_load_b32 v0, v0, s[2:3]
	s_wait_loadcnt 0x0
	v_cmp_eq_u32_e32 vcc_lo, 1, v0
	s_cbranch_vccnz .LBB123_492
; %bb.491:
	v_lshlrev_b32_e32 v0, 3, v0
	s_delay_alu instid0(VALU_DEP_1)
	v_mov_b32_e32 v4, v0
	scratch_load_b64 v[0:1], v4, off offset:-8
	scratch_load_b64 v[2:3], off, off
	s_wait_loadcnt 0x1
	scratch_store_b64 off, v[0:1], off
	s_wait_loadcnt 0x0
	scratch_store_b64 v4, v[2:3], off offset:-8
.LBB123_492:
	scratch_load_b64 v[0:1], off, off
	s_wait_loadcnt 0x0
	flat_store_b64 v[33:34], v[0:1]
	scratch_load_b64 v[0:1], off, off offset:8
	s_wait_loadcnt 0x0
	flat_store_b64 v[35:36], v[0:1]
	scratch_load_b64 v[0:1], off, off offset:16
	s_wait_loadcnt 0x0
	flat_store_b64 v[37:38], v[0:1]
	scratch_load_b64 v[0:1], off, off offset:24
	s_wait_loadcnt 0x0
	flat_store_b64 v[39:40], v[0:1]
	scratch_load_b64 v[0:1], off, off offset:32
	s_wait_loadcnt 0x0
	flat_store_b64 v[41:42], v[0:1]
	scratch_load_b64 v[0:1], off, off offset:40
	s_wait_loadcnt 0x0
	flat_store_b64 v[43:44], v[0:1]
	scratch_load_b64 v[0:1], off, off offset:48
	s_wait_loadcnt 0x0
	flat_store_b64 v[45:46], v[0:1]
	scratch_load_b64 v[0:1], off, off offset:56
	s_wait_loadcnt 0x0
	flat_store_b64 v[47:48], v[0:1]
	scratch_load_b64 v[0:1], off, off offset:64
	s_wait_loadcnt 0x0
	flat_store_b64 v[49:50], v[0:1]
	scratch_load_b64 v[0:1], off, off offset:72
	s_wait_loadcnt 0x0
	flat_store_b64 v[51:52], v[0:1]
	scratch_load_b64 v[0:1], off, off offset:80
	s_wait_loadcnt 0x0
	flat_store_b64 v[53:54], v[0:1]
	scratch_load_b64 v[0:1], off, off offset:88
	s_wait_loadcnt 0x0
	flat_store_b64 v[55:56], v[0:1]
	scratch_load_b64 v[0:1], off, off offset:96
	s_wait_loadcnt 0x0
	flat_store_b64 v[57:58], v[0:1]
	scratch_load_b64 v[0:1], off, off offset:104
	s_wait_loadcnt 0x0
	flat_store_b64 v[59:60], v[0:1]
	scratch_load_b64 v[0:1], off, off offset:112
	s_wait_loadcnt 0x0
	flat_store_b64 v[61:62], v[0:1]
	scratch_load_b64 v[0:1], off, off offset:120
	s_wait_loadcnt 0x0
	flat_store_b64 v[63:64], v[0:1]
	scratch_load_b64 v[0:1], off, off offset:128
	s_wait_loadcnt 0x0
	flat_store_b64 v[65:66], v[0:1]
	scratch_load_b64 v[0:1], off, off offset:136
	s_wait_loadcnt 0x0
	flat_store_b64 v[67:68], v[0:1]
	scratch_load_b64 v[0:1], off, off offset:144
	s_wait_loadcnt 0x0
	flat_store_b64 v[69:70], v[0:1]
	scratch_load_b64 v[0:1], off, off offset:152
	s_wait_loadcnt 0x0
	flat_store_b64 v[71:72], v[0:1]
	scratch_load_b64 v[0:1], off, off offset:160
	s_wait_loadcnt 0x0
	flat_store_b64 v[73:74], v[0:1]
	scratch_load_b64 v[0:1], off, off offset:168
	s_wait_loadcnt 0x0
	flat_store_b64 v[75:76], v[0:1]
	scratch_load_b64 v[0:1], off, off offset:176
	s_wait_loadcnt 0x0
	flat_store_b64 v[77:78], v[0:1]
	scratch_load_b64 v[0:1], off, off offset:184
	s_wait_loadcnt 0x0
	flat_store_b64 v[79:80], v[0:1]
	scratch_load_b64 v[0:1], off, off offset:192
	s_wait_loadcnt 0x0
	flat_store_b64 v[81:82], v[0:1]
	scratch_load_b64 v[0:1], off, off offset:200
	s_wait_loadcnt 0x0
	flat_store_b64 v[83:84], v[0:1]
	scratch_load_b64 v[0:1], off, off offset:208
	s_wait_loadcnt 0x0
	flat_store_b64 v[85:86], v[0:1]
	scratch_load_b64 v[0:1], off, off offset:216
	s_wait_loadcnt 0x0
	flat_store_b64 v[87:88], v[0:1]
	scratch_load_b64 v[0:1], off, off offset:224
	s_wait_loadcnt 0x0
	flat_store_b64 v[89:90], v[0:1]
	scratch_load_b64 v[0:1], off, off offset:232
	s_wait_loadcnt 0x0
	flat_store_b64 v[91:92], v[0:1]
	scratch_load_b64 v[0:1], off, off offset:240
	s_wait_loadcnt 0x0
	flat_store_b64 v[93:94], v[0:1]
	scratch_load_b64 v[0:1], off, off offset:248
	s_wait_loadcnt 0x0
	flat_store_b64 v[95:96], v[0:1]
	scratch_load_b64 v[0:1], off, off offset:256
	s_wait_loadcnt 0x0
	flat_store_b64 v[97:98], v[0:1]
	scratch_load_b64 v[0:1], off, off offset:264
	s_wait_loadcnt 0x0
	flat_store_b64 v[99:100], v[0:1]
	scratch_load_b64 v[0:1], off, off offset:272
	s_wait_loadcnt 0x0
	flat_store_b64 v[101:102], v[0:1]
	scratch_load_b64 v[0:1], off, off offset:280
	s_wait_loadcnt 0x0
	flat_store_b64 v[103:104], v[0:1]
	scratch_load_b64 v[0:1], off, off offset:288
	s_wait_loadcnt 0x0
	flat_store_b64 v[105:106], v[0:1]
	scratch_load_b64 v[0:1], off, off offset:296
	s_wait_loadcnt 0x0
	flat_store_b64 v[107:108], v[0:1]
	scratch_load_b64 v[0:1], off, off offset:304
	s_wait_loadcnt 0x0
	flat_store_b64 v[109:110], v[0:1]
	scratch_load_b64 v[0:1], off, off offset:312
	s_wait_loadcnt 0x0
	flat_store_b64 v[111:112], v[0:1]
	scratch_load_b64 v[0:1], off, off offset:320
	s_wait_loadcnt 0x0
	flat_store_b64 v[113:114], v[0:1]
	scratch_load_b64 v[0:1], off, off offset:328
	s_wait_loadcnt 0x0
	flat_store_b64 v[115:116], v[0:1]
	scratch_load_b64 v[0:1], off, off offset:336
	s_wait_loadcnt 0x0
	flat_store_b64 v[117:118], v[0:1]
	scratch_load_b64 v[0:1], off, off offset:344
	s_wait_loadcnt 0x0
	flat_store_b64 v[119:120], v[0:1]
	scratch_load_b64 v[0:1], off, off offset:352
	s_wait_loadcnt 0x0
	flat_store_b64 v[121:122], v[0:1]
	scratch_load_b64 v[0:1], off, off offset:360
	s_wait_loadcnt 0x0
	flat_store_b64 v[123:124], v[0:1]
	scratch_load_b64 v[0:1], off, off offset:368
	s_wait_loadcnt 0x0
	flat_store_b64 v[125:126], v[0:1]
	scratch_load_b64 v[0:1], off, off offset:376
	s_wait_loadcnt 0x0
	flat_store_b64 v[127:128], v[0:1]
	scratch_load_b64 v[0:1], off, off offset:384
	s_wait_loadcnt 0x0
	flat_store_b64 v[129:130], v[0:1]
	scratch_load_b64 v[0:1], off, off offset:392
	s_wait_loadcnt 0x0
	flat_store_b64 v[131:132], v[0:1]
	scratch_load_b64 v[0:1], off, off offset:400
	s_wait_loadcnt 0x0
	flat_store_b64 v[133:134], v[0:1]
	scratch_load_b64 v[0:1], off, off offset:408
	s_wait_loadcnt 0x0
	flat_store_b64 v[135:136], v[0:1]
	scratch_load_b64 v[0:1], off, off offset:416
	s_wait_loadcnt 0x0
	flat_store_b64 v[137:138], v[0:1]
	scratch_load_b64 v[0:1], off, off offset:424
	s_wait_loadcnt 0x0
	flat_store_b64 v[139:140], v[0:1]
	scratch_load_b64 v[0:1], off, off offset:432
	s_wait_loadcnt 0x0
	flat_store_b64 v[141:142], v[0:1]
	scratch_load_b64 v[0:1], off, off offset:440
	s_wait_loadcnt 0x0
	flat_store_b64 v[143:144], v[0:1]
	scratch_load_b64 v[0:1], off, off offset:448
	s_wait_loadcnt 0x0
	flat_store_b64 v[145:146], v[0:1]
	scratch_load_b64 v[0:1], off, off offset:456
	s_wait_loadcnt 0x0
	flat_store_b64 v[147:148], v[0:1]
	scratch_load_b64 v[0:1], off, off offset:464
	s_wait_loadcnt 0x0
	flat_store_b64 v[149:150], v[0:1]
	scratch_load_b64 v[0:1], off, off offset:472
	s_wait_loadcnt 0x0
	flat_store_b64 v[151:152], v[0:1]
	s_nop 0
	s_sendmsg sendmsg(MSG_DEALLOC_VGPRS)
	s_endpgm
	.section	.rodata,"a",@progbits
	.p2align	6, 0x0
	.amdhsa_kernel _ZN9rocsolver6v33100L18getri_kernel_smallILi60E19rocblas_complex_numIfEPKPS3_EEvT1_iilPiilS8_bb
		.amdhsa_group_segment_fixed_size 964
		.amdhsa_private_segment_fixed_size 496
		.amdhsa_kernarg_size 60
		.amdhsa_user_sgpr_count 2
		.amdhsa_user_sgpr_dispatch_ptr 0
		.amdhsa_user_sgpr_queue_ptr 0
		.amdhsa_user_sgpr_kernarg_segment_ptr 1
		.amdhsa_user_sgpr_dispatch_id 0
		.amdhsa_user_sgpr_private_segment_size 0
		.amdhsa_wavefront_size32 1
		.amdhsa_uses_dynamic_stack 0
		.amdhsa_enable_private_segment 1
		.amdhsa_system_sgpr_workgroup_id_x 1
		.amdhsa_system_sgpr_workgroup_id_y 0
		.amdhsa_system_sgpr_workgroup_id_z 0
		.amdhsa_system_sgpr_workgroup_info 0
		.amdhsa_system_vgpr_workitem_id 0
		.amdhsa_next_free_vgpr 254
		.amdhsa_next_free_sgpr 19
		.amdhsa_reserve_vcc 1
		.amdhsa_float_round_mode_32 0
		.amdhsa_float_round_mode_16_64 0
		.amdhsa_float_denorm_mode_32 3
		.amdhsa_float_denorm_mode_16_64 3
		.amdhsa_fp16_overflow 0
		.amdhsa_workgroup_processor_mode 1
		.amdhsa_memory_ordered 1
		.amdhsa_forward_progress 1
		.amdhsa_inst_pref_size 255
		.amdhsa_round_robin_scheduling 0
		.amdhsa_exception_fp_ieee_invalid_op 0
		.amdhsa_exception_fp_denorm_src 0
		.amdhsa_exception_fp_ieee_div_zero 0
		.amdhsa_exception_fp_ieee_overflow 0
		.amdhsa_exception_fp_ieee_underflow 0
		.amdhsa_exception_fp_ieee_inexact 0
		.amdhsa_exception_int_div_zero 0
	.end_amdhsa_kernel
	.section	.text._ZN9rocsolver6v33100L18getri_kernel_smallILi60E19rocblas_complex_numIfEPKPS3_EEvT1_iilPiilS8_bb,"axG",@progbits,_ZN9rocsolver6v33100L18getri_kernel_smallILi60E19rocblas_complex_numIfEPKPS3_EEvT1_iilPiilS8_bb,comdat
.Lfunc_end123:
	.size	_ZN9rocsolver6v33100L18getri_kernel_smallILi60E19rocblas_complex_numIfEPKPS3_EEvT1_iilPiilS8_bb, .Lfunc_end123-_ZN9rocsolver6v33100L18getri_kernel_smallILi60E19rocblas_complex_numIfEPKPS3_EEvT1_iilPiilS8_bb
                                        ; -- End function
	.set _ZN9rocsolver6v33100L18getri_kernel_smallILi60E19rocblas_complex_numIfEPKPS3_EEvT1_iilPiilS8_bb.num_vgpr, 254
	.set _ZN9rocsolver6v33100L18getri_kernel_smallILi60E19rocblas_complex_numIfEPKPS3_EEvT1_iilPiilS8_bb.num_agpr, 0
	.set _ZN9rocsolver6v33100L18getri_kernel_smallILi60E19rocblas_complex_numIfEPKPS3_EEvT1_iilPiilS8_bb.numbered_sgpr, 19
	.set _ZN9rocsolver6v33100L18getri_kernel_smallILi60E19rocblas_complex_numIfEPKPS3_EEvT1_iilPiilS8_bb.num_named_barrier, 0
	.set _ZN9rocsolver6v33100L18getri_kernel_smallILi60E19rocblas_complex_numIfEPKPS3_EEvT1_iilPiilS8_bb.private_seg_size, 496
	.set _ZN9rocsolver6v33100L18getri_kernel_smallILi60E19rocblas_complex_numIfEPKPS3_EEvT1_iilPiilS8_bb.uses_vcc, 1
	.set _ZN9rocsolver6v33100L18getri_kernel_smallILi60E19rocblas_complex_numIfEPKPS3_EEvT1_iilPiilS8_bb.uses_flat_scratch, 1
	.set _ZN9rocsolver6v33100L18getri_kernel_smallILi60E19rocblas_complex_numIfEPKPS3_EEvT1_iilPiilS8_bb.has_dyn_sized_stack, 0
	.set _ZN9rocsolver6v33100L18getri_kernel_smallILi60E19rocblas_complex_numIfEPKPS3_EEvT1_iilPiilS8_bb.has_recursion, 0
	.set _ZN9rocsolver6v33100L18getri_kernel_smallILi60E19rocblas_complex_numIfEPKPS3_EEvT1_iilPiilS8_bb.has_indirect_call, 0
	.section	.AMDGPU.csdata,"",@progbits
; Kernel info:
; codeLenInByte = 117688
; TotalNumSgprs: 21
; NumVgprs: 254
; ScratchSize: 496
; MemoryBound: 0
; FloatMode: 240
; IeeeMode: 1
; LDSByteSize: 964 bytes/workgroup (compile time only)
; SGPRBlocks: 0
; VGPRBlocks: 31
; NumSGPRsForWavesPerEU: 21
; NumVGPRsForWavesPerEU: 254
; Occupancy: 5
; WaveLimiterHint : 1
; COMPUTE_PGM_RSRC2:SCRATCH_EN: 1
; COMPUTE_PGM_RSRC2:USER_SGPR: 2
; COMPUTE_PGM_RSRC2:TRAP_HANDLER: 0
; COMPUTE_PGM_RSRC2:TGID_X_EN: 1
; COMPUTE_PGM_RSRC2:TGID_Y_EN: 0
; COMPUTE_PGM_RSRC2:TGID_Z_EN: 0
; COMPUTE_PGM_RSRC2:TIDIG_COMP_CNT: 0
	.section	.text._ZN9rocsolver6v33100L18getri_kernel_smallILi61E19rocblas_complex_numIfEPKPS3_EEvT1_iilPiilS8_bb,"axG",@progbits,_ZN9rocsolver6v33100L18getri_kernel_smallILi61E19rocblas_complex_numIfEPKPS3_EEvT1_iilPiilS8_bb,comdat
	.globl	_ZN9rocsolver6v33100L18getri_kernel_smallILi61E19rocblas_complex_numIfEPKPS3_EEvT1_iilPiilS8_bb ; -- Begin function _ZN9rocsolver6v33100L18getri_kernel_smallILi61E19rocblas_complex_numIfEPKPS3_EEvT1_iilPiilS8_bb
	.p2align	8
	.type	_ZN9rocsolver6v33100L18getri_kernel_smallILi61E19rocblas_complex_numIfEPKPS3_EEvT1_iilPiilS8_bb,@function
_ZN9rocsolver6v33100L18getri_kernel_smallILi61E19rocblas_complex_numIfEPKPS3_EEvT1_iilPiilS8_bb: ; @_ZN9rocsolver6v33100L18getri_kernel_smallILi61E19rocblas_complex_numIfEPKPS3_EEvT1_iilPiilS8_bb
; %bb.0:
	s_mov_b32 s2, exec_lo
	v_cmpx_gt_u32_e32 61, v0
	s_cbranch_execz .LBB124_258
; %bb.1:
	s_clause 0x1
	s_load_b32 s13, s[0:1], 0x38
	s_load_b64 s[2:3], s[0:1], 0x0
	s_mov_b32 s8, ttmp9
	s_load_b128 s[4:7], s[0:1], 0x28
	s_wait_kmcnt 0x0
	s_bitcmp1_b32 s13, 8
	s_cselect_b32 s12, -1, 0
	s_ashr_i32 s9, ttmp9, 31
	s_delay_alu instid0(SALU_CYCLE_1) | instskip(NEXT) | instid1(SALU_CYCLE_1)
	s_lshl_b64 s[10:11], s[8:9], 3
	s_add_nc_u64 s[2:3], s[2:3], s[10:11]
	s_load_b64 s[10:11], s[2:3], 0x0
	s_bfe_u32 s2, s13, 0x10008
	s_delay_alu instid0(SALU_CYCLE_1)
	s_cmp_eq_u32 s2, 0
                                        ; implicit-def: $sgpr2_sgpr3
	s_cbranch_scc1 .LBB124_3
; %bb.2:
	s_load_b96 s[16:18], s[0:1], 0x18
	s_mul_u64 s[2:3], s[4:5], s[8:9]
	s_delay_alu instid0(SALU_CYCLE_1)
	s_lshl_b64 s[2:3], s[2:3], 2
	s_wait_kmcnt 0x0
	s_ashr_i32 s5, s18, 31
	s_mov_b32 s4, s18
	s_add_nc_u64 s[2:3], s[16:17], s[2:3]
	s_lshl_b64 s[4:5], s[4:5], 2
	s_delay_alu instid0(SALU_CYCLE_1)
	s_add_nc_u64 s[2:3], s[2:3], s[4:5]
.LBB124_3:
	s_clause 0x1
	s_load_b64 s[4:5], s[0:1], 0x8
	s_load_b32 s13, s[0:1], 0x38
	v_lshlrev_b32_e32 v7, 3, v0
	s_wait_kmcnt 0x0
	s_ashr_i32 s1, s4, 31
	s_mov_b32 s0, s4
	v_add3_u32 v3, s5, s5, v0
	s_lshl_b64 s[0:1], s[0:1], 3
	s_delay_alu instid0(SALU_CYCLE_1)
	s_add_nc_u64 s[0:1], s[10:11], s[0:1]
	s_ashr_i32 s11, s5, 31
	v_add_co_u32 v33, s4, s0, v7
	s_wait_alu 0xf1ff
	v_add_co_ci_u32_e64 v34, null, s1, 0, s4
	s_mov_b32 s10, s5
	v_ashrrev_i32_e32 v4, 31, v3
	s_lshl_b64 s[10:11], s[10:11], 3
	flat_load_b64 v[1:2], v[33:34]
	v_add_co_u32 v35, vcc_lo, v33, s10
	s_delay_alu instid0(VALU_DEP_1) | instskip(SKIP_3) | instid1(VALU_DEP_2)
	v_add_co_ci_u32_e64 v36, null, s11, v34, vcc_lo
	v_lshlrev_b64_e32 v[4:5], 3, v[3:4]
	v_add_nc_u32_e32 v3, s5, v3
	s_bitcmp0_b32 s13, 0
	v_add_co_u32 v37, vcc_lo, s0, v4
	s_wait_alu 0xfffd
	s_delay_alu instid0(VALU_DEP_3) | instskip(SKIP_1) | instid1(VALU_DEP_1)
	v_add_co_ci_u32_e64 v38, null, s1, v5, vcc_lo
	v_ashrrev_i32_e32 v4, 31, v3
	v_lshlrev_b64_e32 v[4:5], 3, v[3:4]
	v_add_nc_u32_e32 v3, s5, v3
	s_delay_alu instid0(VALU_DEP_2) | instskip(SKIP_1) | instid1(VALU_DEP_3)
	v_add_co_u32 v39, vcc_lo, s0, v4
	s_wait_alu 0xfffd
	v_add_co_ci_u32_e64 v40, null, s1, v5, vcc_lo
	s_delay_alu instid0(VALU_DEP_3) | instskip(NEXT) | instid1(VALU_DEP_1)
	v_ashrrev_i32_e32 v4, 31, v3
	v_lshlrev_b64_e32 v[4:5], 3, v[3:4]
	v_add_nc_u32_e32 v3, s5, v3
	s_delay_alu instid0(VALU_DEP_2) | instskip(SKIP_1) | instid1(VALU_DEP_3)
	v_add_co_u32 v41, vcc_lo, s0, v4
	s_wait_alu 0xfffd
	v_add_co_ci_u32_e64 v42, null, s1, v5, vcc_lo
	s_delay_alu instid0(VALU_DEP_3) | instskip(NEXT) | instid1(VALU_DEP_1)
	;; [unrolled: 8-line block ×20, first 2 shown]
	v_ashrrev_i32_e32 v4, 31, v3
	v_lshlrev_b64_e32 v[4:5], 3, v[3:4]
	s_wait_loadcnt_dscnt 0x0
	scratch_store_b64 off, v[1:2], off
	flat_load_b64 v[1:2], v[35:36]
	v_add_nc_u32_e32 v3, s5, v3
	v_add_co_u32 v79, vcc_lo, s0, v4
	s_wait_alu 0xfffd
	v_add_co_ci_u32_e64 v80, null, s1, v5, vcc_lo
	s_delay_alu instid0(VALU_DEP_3) | instskip(NEXT) | instid1(VALU_DEP_1)
	v_ashrrev_i32_e32 v4, 31, v3
	v_lshlrev_b64_e32 v[4:5], 3, v[3:4]
	v_add_nc_u32_e32 v3, s5, v3
	s_delay_alu instid0(VALU_DEP_2) | instskip(SKIP_1) | instid1(VALU_DEP_3)
	v_add_co_u32 v81, vcc_lo, s0, v4
	s_wait_alu 0xfffd
	v_add_co_ci_u32_e64 v82, null, s1, v5, vcc_lo
	s_delay_alu instid0(VALU_DEP_3) | instskip(NEXT) | instid1(VALU_DEP_1)
	v_ashrrev_i32_e32 v4, 31, v3
	v_lshlrev_b64_e32 v[4:5], 3, v[3:4]
	v_add_nc_u32_e32 v3, s5, v3
	s_delay_alu instid0(VALU_DEP_2) | instskip(SKIP_1) | instid1(VALU_DEP_3)
	v_add_co_u32 v83, vcc_lo, s0, v4
	s_wait_alu 0xfffd
	v_add_co_ci_u32_e64 v84, null, s1, v5, vcc_lo
	s_delay_alu instid0(VALU_DEP_3) | instskip(NEXT) | instid1(VALU_DEP_1)
	v_ashrrev_i32_e32 v4, 31, v3
	v_lshlrev_b64_e32 v[4:5], 3, v[3:4]
	v_add_nc_u32_e32 v3, s5, v3
	s_delay_alu instid0(VALU_DEP_2) | instskip(SKIP_1) | instid1(VALU_DEP_3)
	v_add_co_u32 v85, vcc_lo, s0, v4
	s_wait_alu 0xfffd
	v_add_co_ci_u32_e64 v86, null, s1, v5, vcc_lo
	s_delay_alu instid0(VALU_DEP_3) | instskip(NEXT) | instid1(VALU_DEP_1)
	v_ashrrev_i32_e32 v4, 31, v3
	v_lshlrev_b64_e32 v[4:5], 3, v[3:4]
	v_add_nc_u32_e32 v3, s5, v3
	s_delay_alu instid0(VALU_DEP_2) | instskip(SKIP_1) | instid1(VALU_DEP_3)
	v_add_co_u32 v87, vcc_lo, s0, v4
	s_wait_alu 0xfffd
	v_add_co_ci_u32_e64 v88, null, s1, v5, vcc_lo
	s_delay_alu instid0(VALU_DEP_3) | instskip(NEXT) | instid1(VALU_DEP_1)
	v_ashrrev_i32_e32 v4, 31, v3
	v_lshlrev_b64_e32 v[4:5], 3, v[3:4]
	v_add_nc_u32_e32 v3, s5, v3
	s_delay_alu instid0(VALU_DEP_2) | instskip(SKIP_1) | instid1(VALU_DEP_3)
	v_add_co_u32 v89, vcc_lo, s0, v4
	s_wait_alu 0xfffd
	v_add_co_ci_u32_e64 v90, null, s1, v5, vcc_lo
	s_delay_alu instid0(VALU_DEP_3) | instskip(NEXT) | instid1(VALU_DEP_1)
	v_ashrrev_i32_e32 v4, 31, v3
	v_lshlrev_b64_e32 v[4:5], 3, v[3:4]
	v_add_nc_u32_e32 v3, s5, v3
	s_delay_alu instid0(VALU_DEP_2) | instskip(SKIP_1) | instid1(VALU_DEP_3)
	v_add_co_u32 v91, vcc_lo, s0, v4
	s_wait_alu 0xfffd
	v_add_co_ci_u32_e64 v92, null, s1, v5, vcc_lo
	s_delay_alu instid0(VALU_DEP_3) | instskip(NEXT) | instid1(VALU_DEP_1)
	v_ashrrev_i32_e32 v4, 31, v3
	v_lshlrev_b64_e32 v[4:5], 3, v[3:4]
	v_add_nc_u32_e32 v3, s5, v3
	s_delay_alu instid0(VALU_DEP_2) | instskip(SKIP_1) | instid1(VALU_DEP_3)
	v_add_co_u32 v93, vcc_lo, s0, v4
	s_wait_alu 0xfffd
	v_add_co_ci_u32_e64 v94, null, s1, v5, vcc_lo
	s_delay_alu instid0(VALU_DEP_3) | instskip(NEXT) | instid1(VALU_DEP_1)
	v_ashrrev_i32_e32 v4, 31, v3
	v_lshlrev_b64_e32 v[4:5], 3, v[3:4]
	v_add_nc_u32_e32 v3, s5, v3
	s_delay_alu instid0(VALU_DEP_2) | instskip(SKIP_1) | instid1(VALU_DEP_3)
	v_add_co_u32 v95, vcc_lo, s0, v4
	s_wait_alu 0xfffd
	v_add_co_ci_u32_e64 v96, null, s1, v5, vcc_lo
	s_delay_alu instid0(VALU_DEP_3) | instskip(NEXT) | instid1(VALU_DEP_1)
	v_ashrrev_i32_e32 v4, 31, v3
	v_lshlrev_b64_e32 v[4:5], 3, v[3:4]
	v_add_nc_u32_e32 v3, s5, v3
	s_delay_alu instid0(VALU_DEP_2) | instskip(SKIP_1) | instid1(VALU_DEP_3)
	v_add_co_u32 v97, vcc_lo, s0, v4
	s_wait_alu 0xfffd
	v_add_co_ci_u32_e64 v98, null, s1, v5, vcc_lo
	s_delay_alu instid0(VALU_DEP_3) | instskip(NEXT) | instid1(VALU_DEP_1)
	v_ashrrev_i32_e32 v4, 31, v3
	v_lshlrev_b64_e32 v[4:5], 3, v[3:4]
	v_add_nc_u32_e32 v3, s5, v3
	s_delay_alu instid0(VALU_DEP_2) | instskip(SKIP_1) | instid1(VALU_DEP_3)
	v_add_co_u32 v99, vcc_lo, s0, v4
	s_wait_alu 0xfffd
	v_add_co_ci_u32_e64 v100, null, s1, v5, vcc_lo
	s_delay_alu instid0(VALU_DEP_3) | instskip(NEXT) | instid1(VALU_DEP_1)
	v_ashrrev_i32_e32 v4, 31, v3
	v_lshlrev_b64_e32 v[4:5], 3, v[3:4]
	v_add_nc_u32_e32 v3, s5, v3
	s_delay_alu instid0(VALU_DEP_2) | instskip(SKIP_1) | instid1(VALU_DEP_3)
	v_add_co_u32 v101, vcc_lo, s0, v4
	s_wait_alu 0xfffd
	v_add_co_ci_u32_e64 v102, null, s1, v5, vcc_lo
	s_delay_alu instid0(VALU_DEP_3) | instskip(NEXT) | instid1(VALU_DEP_1)
	v_ashrrev_i32_e32 v4, 31, v3
	v_lshlrev_b64_e32 v[4:5], 3, v[3:4]
	v_add_nc_u32_e32 v3, s5, v3
	s_delay_alu instid0(VALU_DEP_2) | instskip(SKIP_1) | instid1(VALU_DEP_3)
	v_add_co_u32 v103, vcc_lo, s0, v4
	s_wait_alu 0xfffd
	v_add_co_ci_u32_e64 v104, null, s1, v5, vcc_lo
	s_delay_alu instid0(VALU_DEP_3) | instskip(NEXT) | instid1(VALU_DEP_1)
	v_ashrrev_i32_e32 v4, 31, v3
	v_lshlrev_b64_e32 v[4:5], 3, v[3:4]
	v_add_nc_u32_e32 v3, s5, v3
	s_delay_alu instid0(VALU_DEP_2) | instskip(SKIP_1) | instid1(VALU_DEP_3)
	v_add_co_u32 v105, vcc_lo, s0, v4
	s_wait_alu 0xfffd
	v_add_co_ci_u32_e64 v106, null, s1, v5, vcc_lo
	s_delay_alu instid0(VALU_DEP_3) | instskip(NEXT) | instid1(VALU_DEP_1)
	v_ashrrev_i32_e32 v4, 31, v3
	v_lshlrev_b64_e32 v[4:5], 3, v[3:4]
	v_add_nc_u32_e32 v3, s5, v3
	s_delay_alu instid0(VALU_DEP_2) | instskip(SKIP_1) | instid1(VALU_DEP_3)
	v_add_co_u32 v107, vcc_lo, s0, v4
	s_wait_alu 0xfffd
	v_add_co_ci_u32_e64 v108, null, s1, v5, vcc_lo
	s_delay_alu instid0(VALU_DEP_3) | instskip(NEXT) | instid1(VALU_DEP_1)
	v_ashrrev_i32_e32 v4, 31, v3
	v_lshlrev_b64_e32 v[4:5], 3, v[3:4]
	v_add_nc_u32_e32 v3, s5, v3
	s_delay_alu instid0(VALU_DEP_2) | instskip(SKIP_1) | instid1(VALU_DEP_3)
	v_add_co_u32 v109, vcc_lo, s0, v4
	s_wait_alu 0xfffd
	v_add_co_ci_u32_e64 v110, null, s1, v5, vcc_lo
	s_delay_alu instid0(VALU_DEP_3) | instskip(NEXT) | instid1(VALU_DEP_1)
	v_ashrrev_i32_e32 v4, 31, v3
	v_lshlrev_b64_e32 v[4:5], 3, v[3:4]
	v_add_nc_u32_e32 v3, s5, v3
	s_delay_alu instid0(VALU_DEP_2) | instskip(SKIP_1) | instid1(VALU_DEP_3)
	v_add_co_u32 v111, vcc_lo, s0, v4
	s_wait_alu 0xfffd
	v_add_co_ci_u32_e64 v112, null, s1, v5, vcc_lo
	s_delay_alu instid0(VALU_DEP_3) | instskip(NEXT) | instid1(VALU_DEP_1)
	v_ashrrev_i32_e32 v4, 31, v3
	v_lshlrev_b64_e32 v[4:5], 3, v[3:4]
	v_add_nc_u32_e32 v3, s5, v3
	s_delay_alu instid0(VALU_DEP_2) | instskip(SKIP_1) | instid1(VALU_DEP_3)
	v_add_co_u32 v113, vcc_lo, s0, v4
	s_wait_alu 0xfffd
	v_add_co_ci_u32_e64 v114, null, s1, v5, vcc_lo
	s_delay_alu instid0(VALU_DEP_3) | instskip(NEXT) | instid1(VALU_DEP_1)
	v_ashrrev_i32_e32 v4, 31, v3
	v_lshlrev_b64_e32 v[4:5], 3, v[3:4]
	v_add_nc_u32_e32 v3, s5, v3
	s_delay_alu instid0(VALU_DEP_2) | instskip(SKIP_1) | instid1(VALU_DEP_3)
	v_add_co_u32 v115, vcc_lo, s0, v4
	s_wait_alu 0xfffd
	v_add_co_ci_u32_e64 v116, null, s1, v5, vcc_lo
	s_delay_alu instid0(VALU_DEP_3) | instskip(NEXT) | instid1(VALU_DEP_1)
	v_ashrrev_i32_e32 v4, 31, v3
	v_lshlrev_b64_e32 v[4:5], 3, v[3:4]
	v_add_nc_u32_e32 v3, s5, v3
	s_delay_alu instid0(VALU_DEP_2) | instskip(SKIP_1) | instid1(VALU_DEP_3)
	v_add_co_u32 v117, vcc_lo, s0, v4
	s_wait_alu 0xfffd
	v_add_co_ci_u32_e64 v118, null, s1, v5, vcc_lo
	s_delay_alu instid0(VALU_DEP_3) | instskip(NEXT) | instid1(VALU_DEP_1)
	v_ashrrev_i32_e32 v4, 31, v3
	v_lshlrev_b64_e32 v[4:5], 3, v[3:4]
	v_add_nc_u32_e32 v3, s5, v3
	s_delay_alu instid0(VALU_DEP_2) | instskip(SKIP_1) | instid1(VALU_DEP_3)
	v_add_co_u32 v119, vcc_lo, s0, v4
	s_wait_alu 0xfffd
	v_add_co_ci_u32_e64 v120, null, s1, v5, vcc_lo
	s_delay_alu instid0(VALU_DEP_3) | instskip(NEXT) | instid1(VALU_DEP_1)
	v_ashrrev_i32_e32 v4, 31, v3
	v_lshlrev_b64_e32 v[4:5], 3, v[3:4]
	v_add_nc_u32_e32 v3, s5, v3
	s_delay_alu instid0(VALU_DEP_2)
	v_add_co_u32 v121, vcc_lo, s0, v4
	s_wait_loadcnt_dscnt 0x0
	scratch_store_b64 off, v[1:2], off offset:8
	flat_load_b64 v[1:2], v[37:38]
	s_wait_alu 0xfffd
	v_add_co_ci_u32_e64 v122, null, s1, v5, vcc_lo
	v_ashrrev_i32_e32 v4, 31, v3
	s_delay_alu instid0(VALU_DEP_1) | instskip(SKIP_1) | instid1(VALU_DEP_2)
	v_lshlrev_b64_e32 v[4:5], 3, v[3:4]
	v_add_nc_u32_e32 v3, s5, v3
	v_add_co_u32 v123, vcc_lo, s0, v4
	s_wait_alu 0xfffd
	s_delay_alu instid0(VALU_DEP_3) | instskip(NEXT) | instid1(VALU_DEP_3)
	v_add_co_ci_u32_e64 v124, null, s1, v5, vcc_lo
	v_ashrrev_i32_e32 v4, 31, v3
	s_delay_alu instid0(VALU_DEP_1) | instskip(SKIP_1) | instid1(VALU_DEP_2)
	v_lshlrev_b64_e32 v[4:5], 3, v[3:4]
	v_add_nc_u32_e32 v3, s5, v3
	v_add_co_u32 v125, vcc_lo, s0, v4
	s_wait_alu 0xfffd
	s_delay_alu instid0(VALU_DEP_3) | instskip(NEXT) | instid1(VALU_DEP_3)
	;; [unrolled: 8-line block ×15, first 2 shown]
	v_add_co_ci_u32_e64 v152, null, s1, v5, vcc_lo
	v_ashrrev_i32_e32 v4, 31, v3
	s_delay_alu instid0(VALU_DEP_1) | instskip(NEXT) | instid1(VALU_DEP_1)
	v_lshlrev_b64_e32 v[3:4], 3, v[3:4]
	v_add_co_u32 v153, vcc_lo, s0, v3
	s_wait_alu 0xfffd
	s_delay_alu instid0(VALU_DEP_2)
	v_add_co_ci_u32_e64 v154, null, s1, v4, vcc_lo
	s_mov_b32 s1, -1
	s_wait_loadcnt_dscnt 0x0
	scratch_store_b64 off, v[1:2], off offset:16
	flat_load_b64 v[1:2], v[39:40]
	s_wait_loadcnt_dscnt 0x0
	scratch_store_b64 off, v[1:2], off offset:24
	flat_load_b64 v[1:2], v[41:42]
	;; [unrolled: 3-line block ×58, first 2 shown]
	s_wait_loadcnt_dscnt 0x0
	scratch_store_b64 off, v[1:2], off offset:480
	s_cbranch_scc1 .LBB124_256
; %bb.4:
	v_cmp_eq_u32_e64 s0, 0, v0
	s_and_saveexec_b32 s1, s0
; %bb.5:
	v_mov_b32_e32 v1, 0
	ds_store_b32 v1, v1 offset:488
; %bb.6:
	s_wait_alu 0xfffe
	s_or_b32 exec_lo, exec_lo, s1
	s_wait_storecnt_dscnt 0x0
	s_barrier_signal -1
	s_barrier_wait -1
	global_inv scope:SCOPE_SE
	scratch_load_b64 v[1:2], v7, off
	s_wait_loadcnt 0x0
	v_cmp_eq_f32_e32 vcc_lo, 0, v1
	v_cmp_eq_f32_e64 s1, 0, v2
	s_and_b32 s1, vcc_lo, s1
	s_wait_alu 0xfffe
	s_and_saveexec_b32 s4, s1
	s_cbranch_execz .LBB124_10
; %bb.7:
	v_mov_b32_e32 v1, 0
	s_mov_b32 s5, 0
	ds_load_b32 v2, v1 offset:488
	s_wait_dscnt 0x0
	v_readfirstlane_b32 s1, v2
	v_add_nc_u32_e32 v2, 1, v0
	s_cmp_eq_u32 s1, 0
	s_delay_alu instid0(VALU_DEP_1)
	v_cmp_gt_i32_e32 vcc_lo, s1, v2
	s_cselect_b32 s10, -1, 0
	s_wait_alu 0xfffe
	s_or_b32 s10, s10, vcc_lo
	s_wait_alu 0xfffe
	s_and_b32 exec_lo, exec_lo, s10
	s_cbranch_execz .LBB124_10
; %bb.8:
	v_mov_b32_e32 v3, s1
.LBB124_9:                              ; =>This Inner Loop Header: Depth=1
	ds_cmpstore_rtn_b32 v3, v1, v2, v3 offset:488
	s_wait_dscnt 0x0
	v_cmp_ne_u32_e32 vcc_lo, 0, v3
	v_cmp_le_i32_e64 s1, v3, v2
	s_and_b32 s1, vcc_lo, s1
	s_wait_alu 0xfffe
	s_and_b32 s1, exec_lo, s1
	s_wait_alu 0xfffe
	s_or_b32 s5, s1, s5
	s_wait_alu 0xfffe
	s_and_not1_b32 exec_lo, exec_lo, s5
	s_cbranch_execnz .LBB124_9
.LBB124_10:
	s_wait_alu 0xfffe
	s_or_b32 exec_lo, exec_lo, s4
	v_mov_b32_e32 v1, 0
	s_barrier_signal -1
	s_barrier_wait -1
	global_inv scope:SCOPE_SE
	ds_load_b32 v2, v1 offset:488
	s_and_saveexec_b32 s1, s0
	s_cbranch_execz .LBB124_12
; %bb.11:
	s_lshl_b64 s[4:5], s[8:9], 2
	s_wait_alu 0xfffe
	s_add_nc_u64 s[4:5], s[6:7], s[4:5]
	s_wait_dscnt 0x0
	global_store_b32 v1, v2, s[4:5]
.LBB124_12:
	s_wait_alu 0xfffe
	s_or_b32 exec_lo, exec_lo, s1
	s_wait_dscnt 0x0
	v_cmp_ne_u32_e32 vcc_lo, 0, v2
	s_mov_b32 s1, 0
	s_cbranch_vccnz .LBB124_256
; %bb.13:
	v_mov_b32_e32 v8, v7
                                        ; implicit-def: $vgpr3
                                        ; implicit-def: $vgpr5
	scratch_load_b64 v[1:2], v8, off
	s_wait_loadcnt 0x0
	v_cmp_ngt_f32_e64 s1, |v1|, |v2|
	s_wait_alu 0xfffe
	s_and_saveexec_b32 s4, s1
	s_wait_alu 0xfffe
	s_xor_b32 s1, exec_lo, s4
	s_cbranch_execz .LBB124_15
; %bb.14:
	v_div_scale_f32 v3, null, v2, v2, v1
	v_div_scale_f32 v6, vcc_lo, v1, v2, v1
	s_delay_alu instid0(VALU_DEP_2) | instskip(NEXT) | instid1(TRANS32_DEP_1)
	v_rcp_f32_e32 v4, v3
	v_fma_f32 v5, -v3, v4, 1.0
	s_delay_alu instid0(VALU_DEP_1) | instskip(NEXT) | instid1(VALU_DEP_1)
	v_fmac_f32_e32 v4, v5, v4
	v_mul_f32_e32 v5, v6, v4
	s_delay_alu instid0(VALU_DEP_1) | instskip(NEXT) | instid1(VALU_DEP_1)
	v_fma_f32 v9, -v3, v5, v6
	v_fmac_f32_e32 v5, v9, v4
	s_delay_alu instid0(VALU_DEP_1) | instskip(SKIP_1) | instid1(VALU_DEP_1)
	v_fma_f32 v3, -v3, v5, v6
	s_wait_alu 0xfffd
	v_div_fmas_f32 v3, v3, v4, v5
	s_delay_alu instid0(VALU_DEP_1) | instskip(NEXT) | instid1(VALU_DEP_1)
	v_div_fixup_f32 v3, v3, v2, v1
	v_fmac_f32_e32 v2, v1, v3
	s_delay_alu instid0(VALU_DEP_1) | instskip(NEXT) | instid1(VALU_DEP_1)
	v_div_scale_f32 v1, null, v2, v2, 1.0
	v_rcp_f32_e32 v4, v1
	s_delay_alu instid0(TRANS32_DEP_1) | instskip(NEXT) | instid1(VALU_DEP_1)
	v_fma_f32 v5, -v1, v4, 1.0
	v_fmac_f32_e32 v4, v5, v4
	v_div_scale_f32 v5, vcc_lo, 1.0, v2, 1.0
	s_delay_alu instid0(VALU_DEP_1) | instskip(NEXT) | instid1(VALU_DEP_1)
	v_mul_f32_e32 v6, v5, v4
	v_fma_f32 v9, -v1, v6, v5
	s_delay_alu instid0(VALU_DEP_1) | instskip(NEXT) | instid1(VALU_DEP_1)
	v_fmac_f32_e32 v6, v9, v4
	v_fma_f32 v1, -v1, v6, v5
	s_wait_alu 0xfffd
	s_delay_alu instid0(VALU_DEP_1) | instskip(NEXT) | instid1(VALU_DEP_1)
	v_div_fmas_f32 v1, v1, v4, v6
	v_div_fixup_f32 v1, v1, v2, 1.0
	s_delay_alu instid0(VALU_DEP_1) | instskip(SKIP_1) | instid1(VALU_DEP_2)
	v_mul_f32_e32 v3, v3, v1
	v_xor_b32_e32 v4, 0x80000000, v1
                                        ; implicit-def: $vgpr1_vgpr2
	v_xor_b32_e32 v5, 0x80000000, v3
.LBB124_15:
	s_wait_alu 0xfffe
	s_and_not1_saveexec_b32 s1, s1
	s_cbranch_execz .LBB124_17
; %bb.16:
	v_div_scale_f32 v3, null, v1, v1, v2
	v_div_scale_f32 v6, vcc_lo, v2, v1, v2
	s_delay_alu instid0(VALU_DEP_2) | instskip(NEXT) | instid1(TRANS32_DEP_1)
	v_rcp_f32_e32 v4, v3
	v_fma_f32 v5, -v3, v4, 1.0
	s_delay_alu instid0(VALU_DEP_1) | instskip(NEXT) | instid1(VALU_DEP_1)
	v_fmac_f32_e32 v4, v5, v4
	v_mul_f32_e32 v5, v6, v4
	s_delay_alu instid0(VALU_DEP_1) | instskip(NEXT) | instid1(VALU_DEP_1)
	v_fma_f32 v9, -v3, v5, v6
	v_fmac_f32_e32 v5, v9, v4
	s_delay_alu instid0(VALU_DEP_1) | instskip(SKIP_1) | instid1(VALU_DEP_1)
	v_fma_f32 v3, -v3, v5, v6
	s_wait_alu 0xfffd
	v_div_fmas_f32 v3, v3, v4, v5
	s_delay_alu instid0(VALU_DEP_1) | instskip(NEXT) | instid1(VALU_DEP_1)
	v_div_fixup_f32 v4, v3, v1, v2
	v_fmac_f32_e32 v1, v2, v4
	s_delay_alu instid0(VALU_DEP_1) | instskip(SKIP_1) | instid1(VALU_DEP_2)
	v_div_scale_f32 v2, null, v1, v1, 1.0
	v_div_scale_f32 v6, vcc_lo, 1.0, v1, 1.0
	v_rcp_f32_e32 v3, v2
	s_delay_alu instid0(TRANS32_DEP_1) | instskip(NEXT) | instid1(VALU_DEP_1)
	v_fma_f32 v5, -v2, v3, 1.0
	v_fmac_f32_e32 v3, v5, v3
	s_delay_alu instid0(VALU_DEP_1) | instskip(NEXT) | instid1(VALU_DEP_1)
	v_mul_f32_e32 v5, v6, v3
	v_fma_f32 v9, -v2, v5, v6
	s_delay_alu instid0(VALU_DEP_1) | instskip(NEXT) | instid1(VALU_DEP_1)
	v_fmac_f32_e32 v5, v9, v3
	v_fma_f32 v2, -v2, v5, v6
	s_wait_alu 0xfffd
	s_delay_alu instid0(VALU_DEP_1) | instskip(NEXT) | instid1(VALU_DEP_1)
	v_div_fmas_f32 v2, v2, v3, v5
	v_div_fixup_f32 v3, v2, v1, 1.0
	s_delay_alu instid0(VALU_DEP_1)
	v_xor_b32_e32 v5, 0x80000000, v3
	v_mul_f32_e64 v4, v4, -v3
.LBB124_17:
	s_wait_alu 0xfffe
	s_or_b32 exec_lo, exec_lo, s1
	scratch_store_b64 v8, v[3:4], off
	scratch_load_b64 v[2:3], off, off offset:8
	v_xor_b32_e32 v6, 0x80000000, v4
	v_add_nc_u32_e32 v1, 0x1f0, v7
	s_wait_loadcnt 0x0
	ds_store_2addr_b64 v7, v[5:6], v[2:3] offset1:62
	s_wait_storecnt_dscnt 0x0
	s_barrier_signal -1
	s_barrier_wait -1
	global_inv scope:SCOPE_SE
	s_and_saveexec_b32 s1, s0
	s_cbranch_execz .LBB124_19
; %bb.18:
	scratch_load_b64 v[2:3], v8, off
	ds_load_b64 v[4:5], v1
	v_mov_b32_e32 v6, 0
	ds_load_b64 v[9:10], v6 offset:8
	s_wait_loadcnt_dscnt 0x1
	v_mul_f32_e32 v6, v4, v3
	v_mul_f32_e32 v3, v5, v3
	s_delay_alu instid0(VALU_DEP_2) | instskip(NEXT) | instid1(VALU_DEP_2)
	v_fmac_f32_e32 v6, v5, v2
	v_fma_f32 v2, v4, v2, -v3
	s_delay_alu instid0(VALU_DEP_2) | instskip(NEXT) | instid1(VALU_DEP_2)
	v_add_f32_e32 v4, 0, v6
	v_add_f32_e32 v2, 0, v2
	s_wait_dscnt 0x0
	s_delay_alu instid0(VALU_DEP_2) | instskip(NEXT) | instid1(VALU_DEP_2)
	v_mul_f32_e32 v5, v4, v10
	v_mul_f32_e32 v3, v2, v10
	s_delay_alu instid0(VALU_DEP_2) | instskip(NEXT) | instid1(VALU_DEP_2)
	v_fma_f32 v2, v2, v9, -v5
	v_fmac_f32_e32 v3, v4, v9
	scratch_store_b64 off, v[2:3], off offset:8
.LBB124_19:
	s_wait_alu 0xfffe
	s_or_b32 exec_lo, exec_lo, s1
	s_wait_loadcnt 0x0
	s_wait_storecnt 0x0
	s_barrier_signal -1
	s_barrier_wait -1
	global_inv scope:SCOPE_SE
	scratch_load_b64 v[2:3], off, off offset:16
	s_mov_b32 s1, exec_lo
	s_wait_loadcnt 0x0
	ds_store_b64 v1, v[2:3]
	s_wait_dscnt 0x0
	s_barrier_signal -1
	s_barrier_wait -1
	global_inv scope:SCOPE_SE
	v_cmpx_gt_u32_e32 2, v0
	s_cbranch_execz .LBB124_23
; %bb.20:
	scratch_load_b64 v[2:3], v8, off
	ds_load_b64 v[4:5], v1
	s_wait_loadcnt_dscnt 0x0
	v_mul_f32_e32 v6, v5, v3
	v_mul_f32_e32 v9, v4, v3
	s_delay_alu instid0(VALU_DEP_2) | instskip(NEXT) | instid1(VALU_DEP_2)
	v_fma_f32 v3, v4, v2, -v6
	v_fmac_f32_e32 v9, v5, v2
	s_delay_alu instid0(VALU_DEP_1)
	v_dual_add_f32 v3, 0, v3 :: v_dual_add_f32 v2, 0, v9
	s_and_saveexec_b32 s4, s0
	s_cbranch_execz .LBB124_22
; %bb.21:
	scratch_load_b64 v[4:5], off, off offset:8
	v_mov_b32_e32 v6, 0
	ds_load_b64 v[9:10], v6 offset:504
	s_wait_loadcnt_dscnt 0x0
	v_mul_f32_e32 v6, v9, v5
	v_mul_f32_e32 v5, v10, v5
	s_delay_alu instid0(VALU_DEP_2) | instskip(NEXT) | instid1(VALU_DEP_2)
	v_fmac_f32_e32 v6, v10, v4
	v_fma_f32 v4, v9, v4, -v5
	s_delay_alu instid0(VALU_DEP_1)
	v_dual_add_f32 v2, v2, v6 :: v_dual_add_f32 v3, v3, v4
.LBB124_22:
	s_wait_alu 0xfffe
	s_or_b32 exec_lo, exec_lo, s4
	v_mov_b32_e32 v4, 0
	ds_load_b64 v[4:5], v4 offset:16
	s_wait_dscnt 0x0
	v_mul_f32_e32 v9, v2, v5
	v_mul_f32_e32 v6, v3, v5
	s_delay_alu instid0(VALU_DEP_2) | instskip(NEXT) | instid1(VALU_DEP_2)
	v_fma_f32 v5, v3, v4, -v9
	v_fmac_f32_e32 v6, v2, v4
	scratch_store_b64 off, v[5:6], off offset:16
.LBB124_23:
	s_wait_alu 0xfffe
	s_or_b32 exec_lo, exec_lo, s1
	s_wait_loadcnt 0x0
	s_wait_storecnt 0x0
	s_barrier_signal -1
	s_barrier_wait -1
	global_inv scope:SCOPE_SE
	scratch_load_b64 v[3:4], off, off offset:24
	v_add_nc_u32_e32 v2, -1, v0
	s_mov_b32 s0, exec_lo
	s_wait_loadcnt 0x0
	ds_store_b64 v1, v[3:4]
	s_wait_dscnt 0x0
	s_barrier_signal -1
	s_barrier_wait -1
	global_inv scope:SCOPE_SE
	v_cmpx_gt_u32_e32 3, v0
	s_cbranch_execz .LBB124_27
; %bb.24:
	v_dual_mov_b32 v3, 0 :: v_dual_add_nc_u32 v4, -1, v0
	v_dual_mov_b32 v6, v7 :: v_dual_add_nc_u32 v5, 0x1f0, v7
	v_mov_b32_e32 v9, 0
	s_mov_b32 s1, 0
.LBB124_25:                             ; =>This Inner Loop Header: Depth=1
	scratch_load_b64 v[10:11], v6, off
	ds_load_b64 v[12:13], v5
	v_add_nc_u32_e32 v4, 1, v4
	v_add_nc_u32_e32 v5, 8, v5
	s_delay_alu instid0(VALU_DEP_2)
	v_cmp_lt_u32_e32 vcc_lo, 1, v4
	s_wait_alu 0xfffe
	s_or_b32 s1, vcc_lo, s1
	s_wait_loadcnt_dscnt 0x0
	v_mul_f32_e32 v14, v13, v11
	v_mul_f32_e32 v11, v12, v11
	s_delay_alu instid0(VALU_DEP_2) | instskip(NEXT) | instid1(VALU_DEP_2)
	v_fma_f32 v12, v12, v10, -v14
	v_fmac_f32_e32 v11, v13, v10
	s_delay_alu instid0(VALU_DEP_2) | instskip(NEXT) | instid1(VALU_DEP_2)
	v_dual_add_f32 v9, v9, v12 :: v_dual_add_nc_u32 v6, 8, v6
	v_add_f32_e32 v3, v3, v11
	s_wait_alu 0xfffe
	s_and_not1_b32 exec_lo, exec_lo, s1
	s_cbranch_execnz .LBB124_25
; %bb.26:
	s_or_b32 exec_lo, exec_lo, s1
	v_mov_b32_e32 v4, 0
	ds_load_b64 v[4:5], v4 offset:24
	s_wait_dscnt 0x0
	v_mul_f32_e32 v10, v3, v5
	v_mul_f32_e32 v6, v9, v5
	s_delay_alu instid0(VALU_DEP_2) | instskip(NEXT) | instid1(VALU_DEP_2)
	v_fma_f32 v5, v9, v4, -v10
	v_fmac_f32_e32 v6, v3, v4
	scratch_store_b64 off, v[5:6], off offset:24
.LBB124_27:
	s_wait_alu 0xfffe
	s_or_b32 exec_lo, exec_lo, s0
	s_wait_loadcnt 0x0
	s_wait_storecnt 0x0
	s_barrier_signal -1
	s_barrier_wait -1
	global_inv scope:SCOPE_SE
	scratch_load_b64 v[3:4], off, off offset:32
	s_mov_b32 s0, exec_lo
	s_wait_loadcnt 0x0
	ds_store_b64 v1, v[3:4]
	s_wait_dscnt 0x0
	s_barrier_signal -1
	s_barrier_wait -1
	global_inv scope:SCOPE_SE
	v_cmpx_gt_u32_e32 4, v0
	s_cbranch_execz .LBB124_31
; %bb.28:
	v_dual_mov_b32 v3, 0 :: v_dual_add_nc_u32 v4, -1, v0
	v_dual_mov_b32 v6, v7 :: v_dual_add_nc_u32 v5, 0x1f0, v7
	v_mov_b32_e32 v9, 0
	s_mov_b32 s1, 0
.LBB124_29:                             ; =>This Inner Loop Header: Depth=1
	scratch_load_b64 v[10:11], v6, off
	ds_load_b64 v[12:13], v5
	v_add_nc_u32_e32 v4, 1, v4
	v_add_nc_u32_e32 v5, 8, v5
	s_delay_alu instid0(VALU_DEP_2)
	v_cmp_lt_u32_e32 vcc_lo, 2, v4
	s_wait_alu 0xfffe
	s_or_b32 s1, vcc_lo, s1
	s_wait_loadcnt_dscnt 0x0
	v_mul_f32_e32 v14, v13, v11
	v_mul_f32_e32 v11, v12, v11
	s_delay_alu instid0(VALU_DEP_2) | instskip(NEXT) | instid1(VALU_DEP_2)
	v_fma_f32 v12, v12, v10, -v14
	v_fmac_f32_e32 v11, v13, v10
	s_delay_alu instid0(VALU_DEP_2) | instskip(NEXT) | instid1(VALU_DEP_2)
	v_dual_add_f32 v9, v9, v12 :: v_dual_add_nc_u32 v6, 8, v6
	v_add_f32_e32 v3, v3, v11
	s_wait_alu 0xfffe
	s_and_not1_b32 exec_lo, exec_lo, s1
	s_cbranch_execnz .LBB124_29
; %bb.30:
	s_or_b32 exec_lo, exec_lo, s1
	v_mov_b32_e32 v4, 0
	ds_load_b64 v[4:5], v4 offset:32
	s_wait_dscnt 0x0
	v_mul_f32_e32 v10, v3, v5
	v_mul_f32_e32 v6, v9, v5
	s_delay_alu instid0(VALU_DEP_2) | instskip(NEXT) | instid1(VALU_DEP_2)
	v_fma_f32 v5, v9, v4, -v10
	v_fmac_f32_e32 v6, v3, v4
	scratch_store_b64 off, v[5:6], off offset:32
.LBB124_31:
	s_wait_alu 0xfffe
	s_or_b32 exec_lo, exec_lo, s0
	s_wait_loadcnt 0x0
	s_wait_storecnt 0x0
	s_barrier_signal -1
	s_barrier_wait -1
	global_inv scope:SCOPE_SE
	scratch_load_b64 v[3:4], off, off offset:40
	s_mov_b32 s0, exec_lo
	s_wait_loadcnt 0x0
	ds_store_b64 v1, v[3:4]
	s_wait_dscnt 0x0
	s_barrier_signal -1
	s_barrier_wait -1
	global_inv scope:SCOPE_SE
	v_cmpx_gt_u32_e32 5, v0
	s_cbranch_execz .LBB124_35
; %bb.32:
	v_dual_mov_b32 v3, 0 :: v_dual_add_nc_u32 v4, -1, v0
	v_dual_mov_b32 v6, v7 :: v_dual_add_nc_u32 v5, 0x1f0, v7
	v_mov_b32_e32 v9, 0
	s_mov_b32 s1, 0
.LBB124_33:                             ; =>This Inner Loop Header: Depth=1
	scratch_load_b64 v[10:11], v6, off
	ds_load_b64 v[12:13], v5
	v_add_nc_u32_e32 v4, 1, v4
	v_add_nc_u32_e32 v5, 8, v5
	s_delay_alu instid0(VALU_DEP_2)
	v_cmp_lt_u32_e32 vcc_lo, 3, v4
	s_wait_alu 0xfffe
	s_or_b32 s1, vcc_lo, s1
	s_wait_loadcnt_dscnt 0x0
	v_mul_f32_e32 v14, v13, v11
	v_mul_f32_e32 v11, v12, v11
	s_delay_alu instid0(VALU_DEP_2) | instskip(NEXT) | instid1(VALU_DEP_2)
	v_fma_f32 v12, v12, v10, -v14
	v_fmac_f32_e32 v11, v13, v10
	s_delay_alu instid0(VALU_DEP_2) | instskip(NEXT) | instid1(VALU_DEP_2)
	v_dual_add_f32 v9, v9, v12 :: v_dual_add_nc_u32 v6, 8, v6
	v_add_f32_e32 v3, v3, v11
	s_wait_alu 0xfffe
	s_and_not1_b32 exec_lo, exec_lo, s1
	s_cbranch_execnz .LBB124_33
; %bb.34:
	s_or_b32 exec_lo, exec_lo, s1
	v_mov_b32_e32 v4, 0
	ds_load_b64 v[4:5], v4 offset:40
	s_wait_dscnt 0x0
	v_mul_f32_e32 v10, v3, v5
	v_mul_f32_e32 v6, v9, v5
	s_delay_alu instid0(VALU_DEP_2) | instskip(NEXT) | instid1(VALU_DEP_2)
	v_fma_f32 v5, v9, v4, -v10
	v_fmac_f32_e32 v6, v3, v4
	scratch_store_b64 off, v[5:6], off offset:40
.LBB124_35:
	s_wait_alu 0xfffe
	s_or_b32 exec_lo, exec_lo, s0
	s_wait_loadcnt 0x0
	s_wait_storecnt 0x0
	s_barrier_signal -1
	s_barrier_wait -1
	global_inv scope:SCOPE_SE
	scratch_load_b64 v[3:4], off, off offset:48
	s_mov_b32 s0, exec_lo
	s_wait_loadcnt 0x0
	ds_store_b64 v1, v[3:4]
	s_wait_dscnt 0x0
	s_barrier_signal -1
	s_barrier_wait -1
	global_inv scope:SCOPE_SE
	v_cmpx_gt_u32_e32 6, v0
	s_cbranch_execz .LBB124_39
; %bb.36:
	v_dual_mov_b32 v3, 0 :: v_dual_add_nc_u32 v4, -1, v0
	v_dual_mov_b32 v6, v7 :: v_dual_add_nc_u32 v5, 0x1f0, v7
	v_mov_b32_e32 v9, 0
	s_mov_b32 s1, 0
.LBB124_37:                             ; =>This Inner Loop Header: Depth=1
	scratch_load_b64 v[10:11], v6, off
	ds_load_b64 v[12:13], v5
	v_add_nc_u32_e32 v4, 1, v4
	v_add_nc_u32_e32 v5, 8, v5
	s_delay_alu instid0(VALU_DEP_2)
	v_cmp_lt_u32_e32 vcc_lo, 4, v4
	s_wait_alu 0xfffe
	s_or_b32 s1, vcc_lo, s1
	s_wait_loadcnt_dscnt 0x0
	v_mul_f32_e32 v14, v13, v11
	v_mul_f32_e32 v11, v12, v11
	s_delay_alu instid0(VALU_DEP_2) | instskip(NEXT) | instid1(VALU_DEP_2)
	v_fma_f32 v12, v12, v10, -v14
	v_fmac_f32_e32 v11, v13, v10
	s_delay_alu instid0(VALU_DEP_2) | instskip(NEXT) | instid1(VALU_DEP_2)
	v_dual_add_f32 v9, v9, v12 :: v_dual_add_nc_u32 v6, 8, v6
	v_add_f32_e32 v3, v3, v11
	s_wait_alu 0xfffe
	s_and_not1_b32 exec_lo, exec_lo, s1
	s_cbranch_execnz .LBB124_37
; %bb.38:
	s_or_b32 exec_lo, exec_lo, s1
	v_mov_b32_e32 v4, 0
	ds_load_b64 v[4:5], v4 offset:48
	s_wait_dscnt 0x0
	v_mul_f32_e32 v10, v3, v5
	v_mul_f32_e32 v6, v9, v5
	s_delay_alu instid0(VALU_DEP_2) | instskip(NEXT) | instid1(VALU_DEP_2)
	v_fma_f32 v5, v9, v4, -v10
	v_fmac_f32_e32 v6, v3, v4
	scratch_store_b64 off, v[5:6], off offset:48
.LBB124_39:
	s_wait_alu 0xfffe
	s_or_b32 exec_lo, exec_lo, s0
	s_wait_loadcnt 0x0
	s_wait_storecnt 0x0
	s_barrier_signal -1
	s_barrier_wait -1
	global_inv scope:SCOPE_SE
	scratch_load_b64 v[3:4], off, off offset:56
	s_mov_b32 s0, exec_lo
	s_wait_loadcnt 0x0
	ds_store_b64 v1, v[3:4]
	s_wait_dscnt 0x0
	s_barrier_signal -1
	s_barrier_wait -1
	global_inv scope:SCOPE_SE
	v_cmpx_gt_u32_e32 7, v0
	s_cbranch_execz .LBB124_43
; %bb.40:
	v_dual_mov_b32 v3, 0 :: v_dual_add_nc_u32 v4, -1, v0
	v_dual_mov_b32 v6, v7 :: v_dual_add_nc_u32 v5, 0x1f0, v7
	v_mov_b32_e32 v9, 0
	s_mov_b32 s1, 0
.LBB124_41:                             ; =>This Inner Loop Header: Depth=1
	scratch_load_b64 v[10:11], v6, off
	ds_load_b64 v[12:13], v5
	v_add_nc_u32_e32 v4, 1, v4
	v_add_nc_u32_e32 v5, 8, v5
	s_delay_alu instid0(VALU_DEP_2)
	v_cmp_lt_u32_e32 vcc_lo, 5, v4
	s_wait_alu 0xfffe
	s_or_b32 s1, vcc_lo, s1
	s_wait_loadcnt_dscnt 0x0
	v_mul_f32_e32 v14, v13, v11
	v_mul_f32_e32 v11, v12, v11
	s_delay_alu instid0(VALU_DEP_2) | instskip(NEXT) | instid1(VALU_DEP_2)
	v_fma_f32 v12, v12, v10, -v14
	v_fmac_f32_e32 v11, v13, v10
	s_delay_alu instid0(VALU_DEP_2) | instskip(NEXT) | instid1(VALU_DEP_2)
	v_dual_add_f32 v9, v9, v12 :: v_dual_add_nc_u32 v6, 8, v6
	v_add_f32_e32 v3, v3, v11
	s_wait_alu 0xfffe
	s_and_not1_b32 exec_lo, exec_lo, s1
	s_cbranch_execnz .LBB124_41
; %bb.42:
	s_or_b32 exec_lo, exec_lo, s1
	v_mov_b32_e32 v4, 0
	ds_load_b64 v[4:5], v4 offset:56
	s_wait_dscnt 0x0
	v_mul_f32_e32 v10, v3, v5
	v_mul_f32_e32 v6, v9, v5
	s_delay_alu instid0(VALU_DEP_2) | instskip(NEXT) | instid1(VALU_DEP_2)
	v_fma_f32 v5, v9, v4, -v10
	v_fmac_f32_e32 v6, v3, v4
	scratch_store_b64 off, v[5:6], off offset:56
.LBB124_43:
	s_wait_alu 0xfffe
	s_or_b32 exec_lo, exec_lo, s0
	s_wait_loadcnt 0x0
	s_wait_storecnt 0x0
	s_barrier_signal -1
	s_barrier_wait -1
	global_inv scope:SCOPE_SE
	scratch_load_b64 v[3:4], off, off offset:64
	s_mov_b32 s0, exec_lo
	s_wait_loadcnt 0x0
	ds_store_b64 v1, v[3:4]
	s_wait_dscnt 0x0
	s_barrier_signal -1
	s_barrier_wait -1
	global_inv scope:SCOPE_SE
	v_cmpx_gt_u32_e32 8, v0
	s_cbranch_execz .LBB124_47
; %bb.44:
	v_dual_mov_b32 v3, 0 :: v_dual_add_nc_u32 v4, -1, v0
	v_dual_mov_b32 v6, v7 :: v_dual_add_nc_u32 v5, 0x1f0, v7
	v_mov_b32_e32 v9, 0
	s_mov_b32 s1, 0
.LBB124_45:                             ; =>This Inner Loop Header: Depth=1
	scratch_load_b64 v[10:11], v6, off
	ds_load_b64 v[12:13], v5
	v_add_nc_u32_e32 v4, 1, v4
	v_add_nc_u32_e32 v5, 8, v5
	s_delay_alu instid0(VALU_DEP_2)
	v_cmp_lt_u32_e32 vcc_lo, 6, v4
	s_wait_alu 0xfffe
	s_or_b32 s1, vcc_lo, s1
	s_wait_loadcnt_dscnt 0x0
	v_mul_f32_e32 v14, v13, v11
	v_mul_f32_e32 v11, v12, v11
	s_delay_alu instid0(VALU_DEP_2) | instskip(NEXT) | instid1(VALU_DEP_2)
	v_fma_f32 v12, v12, v10, -v14
	v_fmac_f32_e32 v11, v13, v10
	s_delay_alu instid0(VALU_DEP_2) | instskip(NEXT) | instid1(VALU_DEP_2)
	v_dual_add_f32 v9, v9, v12 :: v_dual_add_nc_u32 v6, 8, v6
	v_add_f32_e32 v3, v3, v11
	s_wait_alu 0xfffe
	s_and_not1_b32 exec_lo, exec_lo, s1
	s_cbranch_execnz .LBB124_45
; %bb.46:
	s_or_b32 exec_lo, exec_lo, s1
	v_mov_b32_e32 v4, 0
	ds_load_b64 v[4:5], v4 offset:64
	s_wait_dscnt 0x0
	v_mul_f32_e32 v10, v3, v5
	v_mul_f32_e32 v6, v9, v5
	s_delay_alu instid0(VALU_DEP_2) | instskip(NEXT) | instid1(VALU_DEP_2)
	v_fma_f32 v5, v9, v4, -v10
	v_fmac_f32_e32 v6, v3, v4
	scratch_store_b64 off, v[5:6], off offset:64
.LBB124_47:
	s_wait_alu 0xfffe
	s_or_b32 exec_lo, exec_lo, s0
	s_wait_loadcnt 0x0
	s_wait_storecnt 0x0
	s_barrier_signal -1
	s_barrier_wait -1
	global_inv scope:SCOPE_SE
	scratch_load_b64 v[3:4], off, off offset:72
	s_mov_b32 s0, exec_lo
	s_wait_loadcnt 0x0
	ds_store_b64 v1, v[3:4]
	s_wait_dscnt 0x0
	s_barrier_signal -1
	s_barrier_wait -1
	global_inv scope:SCOPE_SE
	v_cmpx_gt_u32_e32 9, v0
	s_cbranch_execz .LBB124_51
; %bb.48:
	v_dual_mov_b32 v3, 0 :: v_dual_add_nc_u32 v4, -1, v0
	v_dual_mov_b32 v6, v7 :: v_dual_add_nc_u32 v5, 0x1f0, v7
	v_mov_b32_e32 v9, 0
	s_mov_b32 s1, 0
.LBB124_49:                             ; =>This Inner Loop Header: Depth=1
	scratch_load_b64 v[10:11], v6, off
	ds_load_b64 v[12:13], v5
	v_add_nc_u32_e32 v4, 1, v4
	v_add_nc_u32_e32 v5, 8, v5
	s_delay_alu instid0(VALU_DEP_2)
	v_cmp_lt_u32_e32 vcc_lo, 7, v4
	s_wait_alu 0xfffe
	s_or_b32 s1, vcc_lo, s1
	s_wait_loadcnt_dscnt 0x0
	v_mul_f32_e32 v14, v13, v11
	v_mul_f32_e32 v11, v12, v11
	s_delay_alu instid0(VALU_DEP_2) | instskip(NEXT) | instid1(VALU_DEP_2)
	v_fma_f32 v12, v12, v10, -v14
	v_fmac_f32_e32 v11, v13, v10
	s_delay_alu instid0(VALU_DEP_2) | instskip(NEXT) | instid1(VALU_DEP_2)
	v_dual_add_f32 v9, v9, v12 :: v_dual_add_nc_u32 v6, 8, v6
	v_add_f32_e32 v3, v3, v11
	s_wait_alu 0xfffe
	s_and_not1_b32 exec_lo, exec_lo, s1
	s_cbranch_execnz .LBB124_49
; %bb.50:
	s_or_b32 exec_lo, exec_lo, s1
	v_mov_b32_e32 v4, 0
	ds_load_b64 v[4:5], v4 offset:72
	s_wait_dscnt 0x0
	v_mul_f32_e32 v10, v3, v5
	v_mul_f32_e32 v6, v9, v5
	s_delay_alu instid0(VALU_DEP_2) | instskip(NEXT) | instid1(VALU_DEP_2)
	v_fma_f32 v5, v9, v4, -v10
	v_fmac_f32_e32 v6, v3, v4
	scratch_store_b64 off, v[5:6], off offset:72
.LBB124_51:
	s_wait_alu 0xfffe
	s_or_b32 exec_lo, exec_lo, s0
	s_wait_loadcnt 0x0
	s_wait_storecnt 0x0
	s_barrier_signal -1
	s_barrier_wait -1
	global_inv scope:SCOPE_SE
	scratch_load_b64 v[3:4], off, off offset:80
	s_mov_b32 s0, exec_lo
	s_wait_loadcnt 0x0
	ds_store_b64 v1, v[3:4]
	s_wait_dscnt 0x0
	s_barrier_signal -1
	s_barrier_wait -1
	global_inv scope:SCOPE_SE
	v_cmpx_gt_u32_e32 10, v0
	s_cbranch_execz .LBB124_55
; %bb.52:
	v_dual_mov_b32 v3, 0 :: v_dual_add_nc_u32 v4, -1, v0
	v_dual_mov_b32 v6, v7 :: v_dual_add_nc_u32 v5, 0x1f0, v7
	v_mov_b32_e32 v9, 0
	s_mov_b32 s1, 0
.LBB124_53:                             ; =>This Inner Loop Header: Depth=1
	scratch_load_b64 v[10:11], v6, off
	ds_load_b64 v[12:13], v5
	v_add_nc_u32_e32 v4, 1, v4
	v_add_nc_u32_e32 v5, 8, v5
	s_delay_alu instid0(VALU_DEP_2)
	v_cmp_lt_u32_e32 vcc_lo, 8, v4
	s_wait_alu 0xfffe
	s_or_b32 s1, vcc_lo, s1
	s_wait_loadcnt_dscnt 0x0
	v_mul_f32_e32 v14, v13, v11
	v_mul_f32_e32 v11, v12, v11
	s_delay_alu instid0(VALU_DEP_2) | instskip(NEXT) | instid1(VALU_DEP_2)
	v_fma_f32 v12, v12, v10, -v14
	v_fmac_f32_e32 v11, v13, v10
	s_delay_alu instid0(VALU_DEP_2) | instskip(NEXT) | instid1(VALU_DEP_2)
	v_dual_add_f32 v9, v9, v12 :: v_dual_add_nc_u32 v6, 8, v6
	v_add_f32_e32 v3, v3, v11
	s_wait_alu 0xfffe
	s_and_not1_b32 exec_lo, exec_lo, s1
	s_cbranch_execnz .LBB124_53
; %bb.54:
	s_or_b32 exec_lo, exec_lo, s1
	v_mov_b32_e32 v4, 0
	ds_load_b64 v[4:5], v4 offset:80
	s_wait_dscnt 0x0
	v_mul_f32_e32 v10, v3, v5
	v_mul_f32_e32 v6, v9, v5
	s_delay_alu instid0(VALU_DEP_2) | instskip(NEXT) | instid1(VALU_DEP_2)
	v_fma_f32 v5, v9, v4, -v10
	v_fmac_f32_e32 v6, v3, v4
	scratch_store_b64 off, v[5:6], off offset:80
.LBB124_55:
	s_wait_alu 0xfffe
	s_or_b32 exec_lo, exec_lo, s0
	s_wait_loadcnt 0x0
	s_wait_storecnt 0x0
	s_barrier_signal -1
	s_barrier_wait -1
	global_inv scope:SCOPE_SE
	scratch_load_b64 v[3:4], off, off offset:88
	s_mov_b32 s0, exec_lo
	s_wait_loadcnt 0x0
	ds_store_b64 v1, v[3:4]
	s_wait_dscnt 0x0
	s_barrier_signal -1
	s_barrier_wait -1
	global_inv scope:SCOPE_SE
	v_cmpx_gt_u32_e32 11, v0
	s_cbranch_execz .LBB124_59
; %bb.56:
	v_dual_mov_b32 v3, 0 :: v_dual_add_nc_u32 v4, -1, v0
	v_dual_mov_b32 v6, v7 :: v_dual_add_nc_u32 v5, 0x1f0, v7
	v_mov_b32_e32 v9, 0
	s_mov_b32 s1, 0
.LBB124_57:                             ; =>This Inner Loop Header: Depth=1
	scratch_load_b64 v[10:11], v6, off
	ds_load_b64 v[12:13], v5
	v_add_nc_u32_e32 v4, 1, v4
	v_add_nc_u32_e32 v5, 8, v5
	s_delay_alu instid0(VALU_DEP_2)
	v_cmp_lt_u32_e32 vcc_lo, 9, v4
	s_wait_alu 0xfffe
	s_or_b32 s1, vcc_lo, s1
	s_wait_loadcnt_dscnt 0x0
	v_mul_f32_e32 v14, v13, v11
	v_mul_f32_e32 v11, v12, v11
	s_delay_alu instid0(VALU_DEP_2) | instskip(NEXT) | instid1(VALU_DEP_2)
	v_fma_f32 v12, v12, v10, -v14
	v_fmac_f32_e32 v11, v13, v10
	s_delay_alu instid0(VALU_DEP_2) | instskip(NEXT) | instid1(VALU_DEP_2)
	v_dual_add_f32 v9, v9, v12 :: v_dual_add_nc_u32 v6, 8, v6
	v_add_f32_e32 v3, v3, v11
	s_wait_alu 0xfffe
	s_and_not1_b32 exec_lo, exec_lo, s1
	s_cbranch_execnz .LBB124_57
; %bb.58:
	s_or_b32 exec_lo, exec_lo, s1
	v_mov_b32_e32 v4, 0
	ds_load_b64 v[4:5], v4 offset:88
	s_wait_dscnt 0x0
	v_mul_f32_e32 v10, v3, v5
	v_mul_f32_e32 v6, v9, v5
	s_delay_alu instid0(VALU_DEP_2) | instskip(NEXT) | instid1(VALU_DEP_2)
	v_fma_f32 v5, v9, v4, -v10
	v_fmac_f32_e32 v6, v3, v4
	scratch_store_b64 off, v[5:6], off offset:88
.LBB124_59:
	s_wait_alu 0xfffe
	s_or_b32 exec_lo, exec_lo, s0
	s_wait_loadcnt 0x0
	s_wait_storecnt 0x0
	s_barrier_signal -1
	s_barrier_wait -1
	global_inv scope:SCOPE_SE
	scratch_load_b64 v[3:4], off, off offset:96
	s_mov_b32 s0, exec_lo
	s_wait_loadcnt 0x0
	ds_store_b64 v1, v[3:4]
	s_wait_dscnt 0x0
	s_barrier_signal -1
	s_barrier_wait -1
	global_inv scope:SCOPE_SE
	v_cmpx_gt_u32_e32 12, v0
	s_cbranch_execz .LBB124_63
; %bb.60:
	v_dual_mov_b32 v3, 0 :: v_dual_add_nc_u32 v4, -1, v0
	v_dual_mov_b32 v6, v7 :: v_dual_add_nc_u32 v5, 0x1f0, v7
	v_mov_b32_e32 v9, 0
	s_mov_b32 s1, 0
.LBB124_61:                             ; =>This Inner Loop Header: Depth=1
	scratch_load_b64 v[10:11], v6, off
	ds_load_b64 v[12:13], v5
	v_add_nc_u32_e32 v4, 1, v4
	v_add_nc_u32_e32 v5, 8, v5
	s_delay_alu instid0(VALU_DEP_2)
	v_cmp_lt_u32_e32 vcc_lo, 10, v4
	s_wait_alu 0xfffe
	s_or_b32 s1, vcc_lo, s1
	s_wait_loadcnt_dscnt 0x0
	v_mul_f32_e32 v14, v13, v11
	v_mul_f32_e32 v11, v12, v11
	s_delay_alu instid0(VALU_DEP_2) | instskip(NEXT) | instid1(VALU_DEP_2)
	v_fma_f32 v12, v12, v10, -v14
	v_fmac_f32_e32 v11, v13, v10
	s_delay_alu instid0(VALU_DEP_2) | instskip(NEXT) | instid1(VALU_DEP_2)
	v_dual_add_f32 v9, v9, v12 :: v_dual_add_nc_u32 v6, 8, v6
	v_add_f32_e32 v3, v3, v11
	s_wait_alu 0xfffe
	s_and_not1_b32 exec_lo, exec_lo, s1
	s_cbranch_execnz .LBB124_61
; %bb.62:
	s_or_b32 exec_lo, exec_lo, s1
	v_mov_b32_e32 v4, 0
	ds_load_b64 v[4:5], v4 offset:96
	s_wait_dscnt 0x0
	v_mul_f32_e32 v10, v3, v5
	v_mul_f32_e32 v6, v9, v5
	s_delay_alu instid0(VALU_DEP_2) | instskip(NEXT) | instid1(VALU_DEP_2)
	v_fma_f32 v5, v9, v4, -v10
	v_fmac_f32_e32 v6, v3, v4
	scratch_store_b64 off, v[5:6], off offset:96
.LBB124_63:
	s_wait_alu 0xfffe
	s_or_b32 exec_lo, exec_lo, s0
	s_wait_loadcnt 0x0
	s_wait_storecnt 0x0
	s_barrier_signal -1
	s_barrier_wait -1
	global_inv scope:SCOPE_SE
	scratch_load_b64 v[3:4], off, off offset:104
	s_mov_b32 s0, exec_lo
	s_wait_loadcnt 0x0
	ds_store_b64 v1, v[3:4]
	s_wait_dscnt 0x0
	s_barrier_signal -1
	s_barrier_wait -1
	global_inv scope:SCOPE_SE
	v_cmpx_gt_u32_e32 13, v0
	s_cbranch_execz .LBB124_67
; %bb.64:
	v_dual_mov_b32 v3, 0 :: v_dual_add_nc_u32 v4, -1, v0
	v_dual_mov_b32 v6, v7 :: v_dual_add_nc_u32 v5, 0x1f0, v7
	v_mov_b32_e32 v9, 0
	s_mov_b32 s1, 0
.LBB124_65:                             ; =>This Inner Loop Header: Depth=1
	scratch_load_b64 v[10:11], v6, off
	ds_load_b64 v[12:13], v5
	v_add_nc_u32_e32 v4, 1, v4
	v_add_nc_u32_e32 v5, 8, v5
	s_delay_alu instid0(VALU_DEP_2)
	v_cmp_lt_u32_e32 vcc_lo, 11, v4
	s_wait_alu 0xfffe
	s_or_b32 s1, vcc_lo, s1
	s_wait_loadcnt_dscnt 0x0
	v_mul_f32_e32 v14, v13, v11
	v_mul_f32_e32 v11, v12, v11
	s_delay_alu instid0(VALU_DEP_2) | instskip(NEXT) | instid1(VALU_DEP_2)
	v_fma_f32 v12, v12, v10, -v14
	v_fmac_f32_e32 v11, v13, v10
	s_delay_alu instid0(VALU_DEP_2) | instskip(NEXT) | instid1(VALU_DEP_2)
	v_dual_add_f32 v9, v9, v12 :: v_dual_add_nc_u32 v6, 8, v6
	v_add_f32_e32 v3, v3, v11
	s_wait_alu 0xfffe
	s_and_not1_b32 exec_lo, exec_lo, s1
	s_cbranch_execnz .LBB124_65
; %bb.66:
	s_or_b32 exec_lo, exec_lo, s1
	v_mov_b32_e32 v4, 0
	ds_load_b64 v[4:5], v4 offset:104
	s_wait_dscnt 0x0
	v_mul_f32_e32 v10, v3, v5
	v_mul_f32_e32 v6, v9, v5
	s_delay_alu instid0(VALU_DEP_2) | instskip(NEXT) | instid1(VALU_DEP_2)
	v_fma_f32 v5, v9, v4, -v10
	v_fmac_f32_e32 v6, v3, v4
	scratch_store_b64 off, v[5:6], off offset:104
.LBB124_67:
	s_wait_alu 0xfffe
	s_or_b32 exec_lo, exec_lo, s0
	s_wait_loadcnt 0x0
	s_wait_storecnt 0x0
	s_barrier_signal -1
	s_barrier_wait -1
	global_inv scope:SCOPE_SE
	scratch_load_b64 v[3:4], off, off offset:112
	s_mov_b32 s0, exec_lo
	s_wait_loadcnt 0x0
	ds_store_b64 v1, v[3:4]
	s_wait_dscnt 0x0
	s_barrier_signal -1
	s_barrier_wait -1
	global_inv scope:SCOPE_SE
	v_cmpx_gt_u32_e32 14, v0
	s_cbranch_execz .LBB124_71
; %bb.68:
	v_dual_mov_b32 v3, 0 :: v_dual_add_nc_u32 v4, -1, v0
	v_dual_mov_b32 v6, v7 :: v_dual_add_nc_u32 v5, 0x1f0, v7
	v_mov_b32_e32 v9, 0
	s_mov_b32 s1, 0
.LBB124_69:                             ; =>This Inner Loop Header: Depth=1
	scratch_load_b64 v[10:11], v6, off
	ds_load_b64 v[12:13], v5
	v_add_nc_u32_e32 v4, 1, v4
	v_add_nc_u32_e32 v5, 8, v5
	s_delay_alu instid0(VALU_DEP_2)
	v_cmp_lt_u32_e32 vcc_lo, 12, v4
	s_wait_alu 0xfffe
	s_or_b32 s1, vcc_lo, s1
	s_wait_loadcnt_dscnt 0x0
	v_mul_f32_e32 v14, v13, v11
	v_mul_f32_e32 v11, v12, v11
	s_delay_alu instid0(VALU_DEP_2) | instskip(NEXT) | instid1(VALU_DEP_2)
	v_fma_f32 v12, v12, v10, -v14
	v_fmac_f32_e32 v11, v13, v10
	s_delay_alu instid0(VALU_DEP_2) | instskip(NEXT) | instid1(VALU_DEP_2)
	v_dual_add_f32 v9, v9, v12 :: v_dual_add_nc_u32 v6, 8, v6
	v_add_f32_e32 v3, v3, v11
	s_wait_alu 0xfffe
	s_and_not1_b32 exec_lo, exec_lo, s1
	s_cbranch_execnz .LBB124_69
; %bb.70:
	s_or_b32 exec_lo, exec_lo, s1
	v_mov_b32_e32 v4, 0
	ds_load_b64 v[4:5], v4 offset:112
	s_wait_dscnt 0x0
	v_mul_f32_e32 v10, v3, v5
	v_mul_f32_e32 v6, v9, v5
	s_delay_alu instid0(VALU_DEP_2) | instskip(NEXT) | instid1(VALU_DEP_2)
	v_fma_f32 v5, v9, v4, -v10
	v_fmac_f32_e32 v6, v3, v4
	scratch_store_b64 off, v[5:6], off offset:112
.LBB124_71:
	s_wait_alu 0xfffe
	s_or_b32 exec_lo, exec_lo, s0
	s_wait_loadcnt 0x0
	s_wait_storecnt 0x0
	s_barrier_signal -1
	s_barrier_wait -1
	global_inv scope:SCOPE_SE
	scratch_load_b64 v[3:4], off, off offset:120
	s_mov_b32 s0, exec_lo
	s_wait_loadcnt 0x0
	ds_store_b64 v1, v[3:4]
	s_wait_dscnt 0x0
	s_barrier_signal -1
	s_barrier_wait -1
	global_inv scope:SCOPE_SE
	v_cmpx_gt_u32_e32 15, v0
	s_cbranch_execz .LBB124_75
; %bb.72:
	v_dual_mov_b32 v3, 0 :: v_dual_add_nc_u32 v4, -1, v0
	v_dual_mov_b32 v6, v7 :: v_dual_add_nc_u32 v5, 0x1f0, v7
	v_mov_b32_e32 v9, 0
	s_mov_b32 s1, 0
.LBB124_73:                             ; =>This Inner Loop Header: Depth=1
	scratch_load_b64 v[10:11], v6, off
	ds_load_b64 v[12:13], v5
	v_add_nc_u32_e32 v4, 1, v4
	v_add_nc_u32_e32 v5, 8, v5
	s_delay_alu instid0(VALU_DEP_2)
	v_cmp_lt_u32_e32 vcc_lo, 13, v4
	s_wait_alu 0xfffe
	s_or_b32 s1, vcc_lo, s1
	s_wait_loadcnt_dscnt 0x0
	v_mul_f32_e32 v14, v13, v11
	v_mul_f32_e32 v11, v12, v11
	s_delay_alu instid0(VALU_DEP_2) | instskip(NEXT) | instid1(VALU_DEP_2)
	v_fma_f32 v12, v12, v10, -v14
	v_fmac_f32_e32 v11, v13, v10
	s_delay_alu instid0(VALU_DEP_2) | instskip(NEXT) | instid1(VALU_DEP_2)
	v_dual_add_f32 v9, v9, v12 :: v_dual_add_nc_u32 v6, 8, v6
	v_add_f32_e32 v3, v3, v11
	s_wait_alu 0xfffe
	s_and_not1_b32 exec_lo, exec_lo, s1
	s_cbranch_execnz .LBB124_73
; %bb.74:
	s_or_b32 exec_lo, exec_lo, s1
	v_mov_b32_e32 v4, 0
	ds_load_b64 v[4:5], v4 offset:120
	s_wait_dscnt 0x0
	v_mul_f32_e32 v10, v3, v5
	v_mul_f32_e32 v6, v9, v5
	s_delay_alu instid0(VALU_DEP_2) | instskip(NEXT) | instid1(VALU_DEP_2)
	v_fma_f32 v5, v9, v4, -v10
	v_fmac_f32_e32 v6, v3, v4
	scratch_store_b64 off, v[5:6], off offset:120
.LBB124_75:
	s_wait_alu 0xfffe
	s_or_b32 exec_lo, exec_lo, s0
	s_wait_loadcnt 0x0
	s_wait_storecnt 0x0
	s_barrier_signal -1
	s_barrier_wait -1
	global_inv scope:SCOPE_SE
	scratch_load_b64 v[3:4], off, off offset:128
	s_mov_b32 s0, exec_lo
	s_wait_loadcnt 0x0
	ds_store_b64 v1, v[3:4]
	s_wait_dscnt 0x0
	s_barrier_signal -1
	s_barrier_wait -1
	global_inv scope:SCOPE_SE
	v_cmpx_gt_u32_e32 16, v0
	s_cbranch_execz .LBB124_79
; %bb.76:
	v_dual_mov_b32 v3, 0 :: v_dual_add_nc_u32 v4, -1, v0
	v_dual_mov_b32 v6, v7 :: v_dual_add_nc_u32 v5, 0x1f0, v7
	v_mov_b32_e32 v9, 0
	s_mov_b32 s1, 0
.LBB124_77:                             ; =>This Inner Loop Header: Depth=1
	scratch_load_b64 v[10:11], v6, off
	ds_load_b64 v[12:13], v5
	v_add_nc_u32_e32 v4, 1, v4
	v_add_nc_u32_e32 v5, 8, v5
	s_delay_alu instid0(VALU_DEP_2)
	v_cmp_lt_u32_e32 vcc_lo, 14, v4
	s_wait_alu 0xfffe
	s_or_b32 s1, vcc_lo, s1
	s_wait_loadcnt_dscnt 0x0
	v_mul_f32_e32 v14, v13, v11
	v_mul_f32_e32 v11, v12, v11
	s_delay_alu instid0(VALU_DEP_2) | instskip(NEXT) | instid1(VALU_DEP_2)
	v_fma_f32 v12, v12, v10, -v14
	v_fmac_f32_e32 v11, v13, v10
	s_delay_alu instid0(VALU_DEP_2) | instskip(NEXT) | instid1(VALU_DEP_2)
	v_dual_add_f32 v9, v9, v12 :: v_dual_add_nc_u32 v6, 8, v6
	v_add_f32_e32 v3, v3, v11
	s_wait_alu 0xfffe
	s_and_not1_b32 exec_lo, exec_lo, s1
	s_cbranch_execnz .LBB124_77
; %bb.78:
	s_or_b32 exec_lo, exec_lo, s1
	v_mov_b32_e32 v4, 0
	ds_load_b64 v[4:5], v4 offset:128
	s_wait_dscnt 0x0
	v_mul_f32_e32 v10, v3, v5
	v_mul_f32_e32 v6, v9, v5
	s_delay_alu instid0(VALU_DEP_2) | instskip(NEXT) | instid1(VALU_DEP_2)
	v_fma_f32 v5, v9, v4, -v10
	v_fmac_f32_e32 v6, v3, v4
	scratch_store_b64 off, v[5:6], off offset:128
.LBB124_79:
	s_wait_alu 0xfffe
	s_or_b32 exec_lo, exec_lo, s0
	s_wait_loadcnt 0x0
	s_wait_storecnt 0x0
	s_barrier_signal -1
	s_barrier_wait -1
	global_inv scope:SCOPE_SE
	scratch_load_b64 v[3:4], off, off offset:136
	s_mov_b32 s0, exec_lo
	s_wait_loadcnt 0x0
	ds_store_b64 v1, v[3:4]
	s_wait_dscnt 0x0
	s_barrier_signal -1
	s_barrier_wait -1
	global_inv scope:SCOPE_SE
	v_cmpx_gt_u32_e32 17, v0
	s_cbranch_execz .LBB124_83
; %bb.80:
	v_dual_mov_b32 v3, 0 :: v_dual_add_nc_u32 v4, -1, v0
	v_dual_mov_b32 v6, v7 :: v_dual_add_nc_u32 v5, 0x1f0, v7
	v_mov_b32_e32 v9, 0
	s_mov_b32 s1, 0
.LBB124_81:                             ; =>This Inner Loop Header: Depth=1
	scratch_load_b64 v[10:11], v6, off
	ds_load_b64 v[12:13], v5
	v_add_nc_u32_e32 v4, 1, v4
	v_add_nc_u32_e32 v5, 8, v5
	s_delay_alu instid0(VALU_DEP_2)
	v_cmp_lt_u32_e32 vcc_lo, 15, v4
	s_wait_alu 0xfffe
	s_or_b32 s1, vcc_lo, s1
	s_wait_loadcnt_dscnt 0x0
	v_mul_f32_e32 v14, v13, v11
	v_mul_f32_e32 v11, v12, v11
	s_delay_alu instid0(VALU_DEP_2) | instskip(NEXT) | instid1(VALU_DEP_2)
	v_fma_f32 v12, v12, v10, -v14
	v_fmac_f32_e32 v11, v13, v10
	s_delay_alu instid0(VALU_DEP_2) | instskip(NEXT) | instid1(VALU_DEP_2)
	v_dual_add_f32 v9, v9, v12 :: v_dual_add_nc_u32 v6, 8, v6
	v_add_f32_e32 v3, v3, v11
	s_wait_alu 0xfffe
	s_and_not1_b32 exec_lo, exec_lo, s1
	s_cbranch_execnz .LBB124_81
; %bb.82:
	s_or_b32 exec_lo, exec_lo, s1
	v_mov_b32_e32 v4, 0
	ds_load_b64 v[4:5], v4 offset:136
	s_wait_dscnt 0x0
	v_mul_f32_e32 v10, v3, v5
	v_mul_f32_e32 v6, v9, v5
	s_delay_alu instid0(VALU_DEP_2) | instskip(NEXT) | instid1(VALU_DEP_2)
	v_fma_f32 v5, v9, v4, -v10
	v_fmac_f32_e32 v6, v3, v4
	scratch_store_b64 off, v[5:6], off offset:136
.LBB124_83:
	s_wait_alu 0xfffe
	s_or_b32 exec_lo, exec_lo, s0
	s_wait_loadcnt 0x0
	s_wait_storecnt 0x0
	s_barrier_signal -1
	s_barrier_wait -1
	global_inv scope:SCOPE_SE
	scratch_load_b64 v[3:4], off, off offset:144
	s_mov_b32 s0, exec_lo
	s_wait_loadcnt 0x0
	ds_store_b64 v1, v[3:4]
	s_wait_dscnt 0x0
	s_barrier_signal -1
	s_barrier_wait -1
	global_inv scope:SCOPE_SE
	v_cmpx_gt_u32_e32 18, v0
	s_cbranch_execz .LBB124_87
; %bb.84:
	v_dual_mov_b32 v3, 0 :: v_dual_add_nc_u32 v4, -1, v0
	v_dual_mov_b32 v6, v7 :: v_dual_add_nc_u32 v5, 0x1f0, v7
	v_mov_b32_e32 v9, 0
	s_mov_b32 s1, 0
.LBB124_85:                             ; =>This Inner Loop Header: Depth=1
	scratch_load_b64 v[10:11], v6, off
	ds_load_b64 v[12:13], v5
	v_add_nc_u32_e32 v4, 1, v4
	v_add_nc_u32_e32 v5, 8, v5
	s_delay_alu instid0(VALU_DEP_2)
	v_cmp_lt_u32_e32 vcc_lo, 16, v4
	s_wait_alu 0xfffe
	s_or_b32 s1, vcc_lo, s1
	s_wait_loadcnt_dscnt 0x0
	v_mul_f32_e32 v14, v13, v11
	v_mul_f32_e32 v11, v12, v11
	s_delay_alu instid0(VALU_DEP_2) | instskip(NEXT) | instid1(VALU_DEP_2)
	v_fma_f32 v12, v12, v10, -v14
	v_fmac_f32_e32 v11, v13, v10
	s_delay_alu instid0(VALU_DEP_2) | instskip(NEXT) | instid1(VALU_DEP_2)
	v_dual_add_f32 v9, v9, v12 :: v_dual_add_nc_u32 v6, 8, v6
	v_add_f32_e32 v3, v3, v11
	s_wait_alu 0xfffe
	s_and_not1_b32 exec_lo, exec_lo, s1
	s_cbranch_execnz .LBB124_85
; %bb.86:
	s_or_b32 exec_lo, exec_lo, s1
	v_mov_b32_e32 v4, 0
	ds_load_b64 v[4:5], v4 offset:144
	s_wait_dscnt 0x0
	v_mul_f32_e32 v10, v3, v5
	v_mul_f32_e32 v6, v9, v5
	s_delay_alu instid0(VALU_DEP_2) | instskip(NEXT) | instid1(VALU_DEP_2)
	v_fma_f32 v5, v9, v4, -v10
	v_fmac_f32_e32 v6, v3, v4
	scratch_store_b64 off, v[5:6], off offset:144
.LBB124_87:
	s_wait_alu 0xfffe
	s_or_b32 exec_lo, exec_lo, s0
	s_wait_loadcnt 0x0
	s_wait_storecnt 0x0
	s_barrier_signal -1
	s_barrier_wait -1
	global_inv scope:SCOPE_SE
	scratch_load_b64 v[3:4], off, off offset:152
	s_mov_b32 s0, exec_lo
	s_wait_loadcnt 0x0
	ds_store_b64 v1, v[3:4]
	s_wait_dscnt 0x0
	s_barrier_signal -1
	s_barrier_wait -1
	global_inv scope:SCOPE_SE
	v_cmpx_gt_u32_e32 19, v0
	s_cbranch_execz .LBB124_91
; %bb.88:
	v_dual_mov_b32 v3, 0 :: v_dual_add_nc_u32 v4, -1, v0
	v_dual_mov_b32 v6, v7 :: v_dual_add_nc_u32 v5, 0x1f0, v7
	v_mov_b32_e32 v9, 0
	s_mov_b32 s1, 0
.LBB124_89:                             ; =>This Inner Loop Header: Depth=1
	scratch_load_b64 v[10:11], v6, off
	ds_load_b64 v[12:13], v5
	v_add_nc_u32_e32 v4, 1, v4
	v_add_nc_u32_e32 v5, 8, v5
	s_delay_alu instid0(VALU_DEP_2)
	v_cmp_lt_u32_e32 vcc_lo, 17, v4
	s_wait_alu 0xfffe
	s_or_b32 s1, vcc_lo, s1
	s_wait_loadcnt_dscnt 0x0
	v_mul_f32_e32 v14, v13, v11
	v_mul_f32_e32 v11, v12, v11
	s_delay_alu instid0(VALU_DEP_2) | instskip(NEXT) | instid1(VALU_DEP_2)
	v_fma_f32 v12, v12, v10, -v14
	v_fmac_f32_e32 v11, v13, v10
	s_delay_alu instid0(VALU_DEP_2) | instskip(NEXT) | instid1(VALU_DEP_2)
	v_dual_add_f32 v9, v9, v12 :: v_dual_add_nc_u32 v6, 8, v6
	v_add_f32_e32 v3, v3, v11
	s_wait_alu 0xfffe
	s_and_not1_b32 exec_lo, exec_lo, s1
	s_cbranch_execnz .LBB124_89
; %bb.90:
	s_or_b32 exec_lo, exec_lo, s1
	v_mov_b32_e32 v4, 0
	ds_load_b64 v[4:5], v4 offset:152
	s_wait_dscnt 0x0
	v_mul_f32_e32 v10, v3, v5
	v_mul_f32_e32 v6, v9, v5
	s_delay_alu instid0(VALU_DEP_2) | instskip(NEXT) | instid1(VALU_DEP_2)
	v_fma_f32 v5, v9, v4, -v10
	v_fmac_f32_e32 v6, v3, v4
	scratch_store_b64 off, v[5:6], off offset:152
.LBB124_91:
	s_wait_alu 0xfffe
	s_or_b32 exec_lo, exec_lo, s0
	s_wait_loadcnt 0x0
	s_wait_storecnt 0x0
	s_barrier_signal -1
	s_barrier_wait -1
	global_inv scope:SCOPE_SE
	scratch_load_b64 v[3:4], off, off offset:160
	s_mov_b32 s0, exec_lo
	s_wait_loadcnt 0x0
	ds_store_b64 v1, v[3:4]
	s_wait_dscnt 0x0
	s_barrier_signal -1
	s_barrier_wait -1
	global_inv scope:SCOPE_SE
	v_cmpx_gt_u32_e32 20, v0
	s_cbranch_execz .LBB124_95
; %bb.92:
	v_dual_mov_b32 v3, 0 :: v_dual_add_nc_u32 v4, -1, v0
	v_dual_mov_b32 v6, v7 :: v_dual_add_nc_u32 v5, 0x1f0, v7
	v_mov_b32_e32 v9, 0
	s_mov_b32 s1, 0
.LBB124_93:                             ; =>This Inner Loop Header: Depth=1
	scratch_load_b64 v[10:11], v6, off
	ds_load_b64 v[12:13], v5
	v_add_nc_u32_e32 v4, 1, v4
	v_add_nc_u32_e32 v5, 8, v5
	s_delay_alu instid0(VALU_DEP_2)
	v_cmp_lt_u32_e32 vcc_lo, 18, v4
	s_wait_alu 0xfffe
	s_or_b32 s1, vcc_lo, s1
	s_wait_loadcnt_dscnt 0x0
	v_mul_f32_e32 v14, v13, v11
	v_mul_f32_e32 v11, v12, v11
	s_delay_alu instid0(VALU_DEP_2) | instskip(NEXT) | instid1(VALU_DEP_2)
	v_fma_f32 v12, v12, v10, -v14
	v_fmac_f32_e32 v11, v13, v10
	s_delay_alu instid0(VALU_DEP_2) | instskip(NEXT) | instid1(VALU_DEP_2)
	v_dual_add_f32 v9, v9, v12 :: v_dual_add_nc_u32 v6, 8, v6
	v_add_f32_e32 v3, v3, v11
	s_wait_alu 0xfffe
	s_and_not1_b32 exec_lo, exec_lo, s1
	s_cbranch_execnz .LBB124_93
; %bb.94:
	s_or_b32 exec_lo, exec_lo, s1
	v_mov_b32_e32 v4, 0
	ds_load_b64 v[4:5], v4 offset:160
	s_wait_dscnt 0x0
	v_mul_f32_e32 v10, v3, v5
	v_mul_f32_e32 v6, v9, v5
	s_delay_alu instid0(VALU_DEP_2) | instskip(NEXT) | instid1(VALU_DEP_2)
	v_fma_f32 v5, v9, v4, -v10
	v_fmac_f32_e32 v6, v3, v4
	scratch_store_b64 off, v[5:6], off offset:160
.LBB124_95:
	s_wait_alu 0xfffe
	s_or_b32 exec_lo, exec_lo, s0
	s_wait_loadcnt 0x0
	s_wait_storecnt 0x0
	s_barrier_signal -1
	s_barrier_wait -1
	global_inv scope:SCOPE_SE
	scratch_load_b64 v[3:4], off, off offset:168
	s_mov_b32 s0, exec_lo
	s_wait_loadcnt 0x0
	ds_store_b64 v1, v[3:4]
	s_wait_dscnt 0x0
	s_barrier_signal -1
	s_barrier_wait -1
	global_inv scope:SCOPE_SE
	v_cmpx_gt_u32_e32 21, v0
	s_cbranch_execz .LBB124_99
; %bb.96:
	v_dual_mov_b32 v3, 0 :: v_dual_add_nc_u32 v4, -1, v0
	v_dual_mov_b32 v6, v7 :: v_dual_add_nc_u32 v5, 0x1f0, v7
	v_mov_b32_e32 v9, 0
	s_mov_b32 s1, 0
.LBB124_97:                             ; =>This Inner Loop Header: Depth=1
	scratch_load_b64 v[10:11], v6, off
	ds_load_b64 v[12:13], v5
	v_add_nc_u32_e32 v4, 1, v4
	v_add_nc_u32_e32 v5, 8, v5
	s_delay_alu instid0(VALU_DEP_2)
	v_cmp_lt_u32_e32 vcc_lo, 19, v4
	s_wait_alu 0xfffe
	s_or_b32 s1, vcc_lo, s1
	s_wait_loadcnt_dscnt 0x0
	v_mul_f32_e32 v14, v13, v11
	v_mul_f32_e32 v11, v12, v11
	s_delay_alu instid0(VALU_DEP_2) | instskip(NEXT) | instid1(VALU_DEP_2)
	v_fma_f32 v12, v12, v10, -v14
	v_fmac_f32_e32 v11, v13, v10
	s_delay_alu instid0(VALU_DEP_2) | instskip(NEXT) | instid1(VALU_DEP_2)
	v_dual_add_f32 v9, v9, v12 :: v_dual_add_nc_u32 v6, 8, v6
	v_add_f32_e32 v3, v3, v11
	s_wait_alu 0xfffe
	s_and_not1_b32 exec_lo, exec_lo, s1
	s_cbranch_execnz .LBB124_97
; %bb.98:
	s_or_b32 exec_lo, exec_lo, s1
	v_mov_b32_e32 v4, 0
	ds_load_b64 v[4:5], v4 offset:168
	s_wait_dscnt 0x0
	v_mul_f32_e32 v10, v3, v5
	v_mul_f32_e32 v6, v9, v5
	s_delay_alu instid0(VALU_DEP_2) | instskip(NEXT) | instid1(VALU_DEP_2)
	v_fma_f32 v5, v9, v4, -v10
	v_fmac_f32_e32 v6, v3, v4
	scratch_store_b64 off, v[5:6], off offset:168
.LBB124_99:
	s_wait_alu 0xfffe
	s_or_b32 exec_lo, exec_lo, s0
	s_wait_loadcnt 0x0
	s_wait_storecnt 0x0
	s_barrier_signal -1
	s_barrier_wait -1
	global_inv scope:SCOPE_SE
	scratch_load_b64 v[3:4], off, off offset:176
	s_mov_b32 s0, exec_lo
	s_wait_loadcnt 0x0
	ds_store_b64 v1, v[3:4]
	s_wait_dscnt 0x0
	s_barrier_signal -1
	s_barrier_wait -1
	global_inv scope:SCOPE_SE
	v_cmpx_gt_u32_e32 22, v0
	s_cbranch_execz .LBB124_103
; %bb.100:
	v_dual_mov_b32 v3, 0 :: v_dual_add_nc_u32 v4, -1, v0
	v_dual_mov_b32 v6, v7 :: v_dual_add_nc_u32 v5, 0x1f0, v7
	v_mov_b32_e32 v9, 0
	s_mov_b32 s1, 0
.LBB124_101:                            ; =>This Inner Loop Header: Depth=1
	scratch_load_b64 v[10:11], v6, off
	ds_load_b64 v[12:13], v5
	v_add_nc_u32_e32 v4, 1, v4
	v_add_nc_u32_e32 v5, 8, v5
	s_delay_alu instid0(VALU_DEP_2)
	v_cmp_lt_u32_e32 vcc_lo, 20, v4
	s_wait_alu 0xfffe
	s_or_b32 s1, vcc_lo, s1
	s_wait_loadcnt_dscnt 0x0
	v_mul_f32_e32 v14, v13, v11
	v_mul_f32_e32 v11, v12, v11
	s_delay_alu instid0(VALU_DEP_2) | instskip(NEXT) | instid1(VALU_DEP_2)
	v_fma_f32 v12, v12, v10, -v14
	v_fmac_f32_e32 v11, v13, v10
	s_delay_alu instid0(VALU_DEP_2) | instskip(NEXT) | instid1(VALU_DEP_2)
	v_dual_add_f32 v9, v9, v12 :: v_dual_add_nc_u32 v6, 8, v6
	v_add_f32_e32 v3, v3, v11
	s_wait_alu 0xfffe
	s_and_not1_b32 exec_lo, exec_lo, s1
	s_cbranch_execnz .LBB124_101
; %bb.102:
	s_or_b32 exec_lo, exec_lo, s1
	v_mov_b32_e32 v4, 0
	ds_load_b64 v[4:5], v4 offset:176
	s_wait_dscnt 0x0
	v_mul_f32_e32 v10, v3, v5
	v_mul_f32_e32 v6, v9, v5
	s_delay_alu instid0(VALU_DEP_2) | instskip(NEXT) | instid1(VALU_DEP_2)
	v_fma_f32 v5, v9, v4, -v10
	v_fmac_f32_e32 v6, v3, v4
	scratch_store_b64 off, v[5:6], off offset:176
.LBB124_103:
	s_wait_alu 0xfffe
	s_or_b32 exec_lo, exec_lo, s0
	s_wait_loadcnt 0x0
	s_wait_storecnt 0x0
	s_barrier_signal -1
	s_barrier_wait -1
	global_inv scope:SCOPE_SE
	scratch_load_b64 v[3:4], off, off offset:184
	s_mov_b32 s0, exec_lo
	s_wait_loadcnt 0x0
	ds_store_b64 v1, v[3:4]
	s_wait_dscnt 0x0
	s_barrier_signal -1
	s_barrier_wait -1
	global_inv scope:SCOPE_SE
	v_cmpx_gt_u32_e32 23, v0
	s_cbranch_execz .LBB124_107
; %bb.104:
	v_dual_mov_b32 v3, 0 :: v_dual_add_nc_u32 v4, -1, v0
	v_dual_mov_b32 v6, v7 :: v_dual_add_nc_u32 v5, 0x1f0, v7
	v_mov_b32_e32 v9, 0
	s_mov_b32 s1, 0
.LBB124_105:                            ; =>This Inner Loop Header: Depth=1
	scratch_load_b64 v[10:11], v6, off
	ds_load_b64 v[12:13], v5
	v_add_nc_u32_e32 v4, 1, v4
	v_add_nc_u32_e32 v5, 8, v5
	s_delay_alu instid0(VALU_DEP_2)
	v_cmp_lt_u32_e32 vcc_lo, 21, v4
	s_wait_alu 0xfffe
	s_or_b32 s1, vcc_lo, s1
	s_wait_loadcnt_dscnt 0x0
	v_mul_f32_e32 v14, v13, v11
	v_mul_f32_e32 v11, v12, v11
	s_delay_alu instid0(VALU_DEP_2) | instskip(NEXT) | instid1(VALU_DEP_2)
	v_fma_f32 v12, v12, v10, -v14
	v_fmac_f32_e32 v11, v13, v10
	s_delay_alu instid0(VALU_DEP_2) | instskip(NEXT) | instid1(VALU_DEP_2)
	v_dual_add_f32 v9, v9, v12 :: v_dual_add_nc_u32 v6, 8, v6
	v_add_f32_e32 v3, v3, v11
	s_wait_alu 0xfffe
	s_and_not1_b32 exec_lo, exec_lo, s1
	s_cbranch_execnz .LBB124_105
; %bb.106:
	s_or_b32 exec_lo, exec_lo, s1
	v_mov_b32_e32 v4, 0
	ds_load_b64 v[4:5], v4 offset:184
	s_wait_dscnt 0x0
	v_mul_f32_e32 v10, v3, v5
	v_mul_f32_e32 v6, v9, v5
	s_delay_alu instid0(VALU_DEP_2) | instskip(NEXT) | instid1(VALU_DEP_2)
	v_fma_f32 v5, v9, v4, -v10
	v_fmac_f32_e32 v6, v3, v4
	scratch_store_b64 off, v[5:6], off offset:184
.LBB124_107:
	s_wait_alu 0xfffe
	s_or_b32 exec_lo, exec_lo, s0
	s_wait_loadcnt 0x0
	s_wait_storecnt 0x0
	s_barrier_signal -1
	s_barrier_wait -1
	global_inv scope:SCOPE_SE
	scratch_load_b64 v[3:4], off, off offset:192
	;; [unrolled: 55-line block ×37, first 2 shown]
	s_mov_b32 s0, exec_lo
	s_wait_loadcnt 0x0
	ds_store_b64 v1, v[3:4]
	s_wait_dscnt 0x0
	s_barrier_signal -1
	s_barrier_wait -1
	global_inv scope:SCOPE_SE
	v_cmpx_gt_u32_e32 59, v0
	s_cbranch_execz .LBB124_251
; %bb.248:
	v_dual_mov_b32 v3, 0 :: v_dual_add_nc_u32 v4, -1, v0
	v_dual_mov_b32 v6, v7 :: v_dual_add_nc_u32 v5, 0x1f0, v7
	v_mov_b32_e32 v7, 0
	s_mov_b32 s1, 0
.LBB124_249:                            ; =>This Inner Loop Header: Depth=1
	scratch_load_b64 v[9:10], v6, off
	ds_load_b64 v[11:12], v5
	v_add_nc_u32_e32 v6, 8, v6
	v_add_nc_u32_e32 v4, 1, v4
	;; [unrolled: 1-line block ×3, first 2 shown]
	s_delay_alu instid0(VALU_DEP_2)
	v_cmp_lt_u32_e32 vcc_lo, 57, v4
	s_wait_alu 0xfffe
	s_or_b32 s1, vcc_lo, s1
	s_wait_loadcnt_dscnt 0x0
	v_mul_f32_e32 v13, v12, v10
	v_mul_f32_e32 v10, v11, v10
	s_delay_alu instid0(VALU_DEP_2) | instskip(NEXT) | instid1(VALU_DEP_1)
	v_fma_f32 v11, v11, v9, -v13
	v_dual_fmac_f32 v10, v12, v9 :: v_dual_add_f32 v7, v7, v11
	s_delay_alu instid0(VALU_DEP_1)
	v_add_f32_e32 v3, v3, v10
	s_wait_alu 0xfffe
	s_and_not1_b32 exec_lo, exec_lo, s1
	s_cbranch_execnz .LBB124_249
; %bb.250:
	s_or_b32 exec_lo, exec_lo, s1
	v_mov_b32_e32 v4, 0
	ds_load_b64 v[4:5], v4 offset:472
	s_wait_dscnt 0x0
	v_mul_f32_e32 v9, v3, v5
	v_mul_f32_e32 v6, v7, v5
	s_delay_alu instid0(VALU_DEP_2) | instskip(NEXT) | instid1(VALU_DEP_2)
	v_fma_f32 v5, v7, v4, -v9
	v_fmac_f32_e32 v6, v3, v4
	scratch_store_b64 off, v[5:6], off offset:472
.LBB124_251:
	s_wait_alu 0xfffe
	s_or_b32 exec_lo, exec_lo, s0
	s_wait_loadcnt 0x0
	s_wait_storecnt 0x0
	s_barrier_signal -1
	s_barrier_wait -1
	global_inv scope:SCOPE_SE
	scratch_load_b64 v[3:4], off, off offset:480
	s_mov_b32 s0, exec_lo
	s_wait_loadcnt 0x0
	ds_store_b64 v1, v[3:4]
	s_wait_dscnt 0x0
	s_barrier_signal -1
	s_barrier_wait -1
	global_inv scope:SCOPE_SE
	v_cmpx_ne_u32_e32 60, v0
	s_cbranch_execz .LBB124_255
; %bb.252:
	v_dual_mov_b32 v3, 0 :: v_dual_mov_b32 v4, 0
	s_mov_b32 s1, 0
.LBB124_253:                            ; =>This Inner Loop Header: Depth=1
	scratch_load_b64 v[5:6], v8, off
	ds_load_b64 v[9:10], v1
	v_add_nc_u32_e32 v2, 1, v2
	v_add_nc_u32_e32 v1, 8, v1
	;; [unrolled: 1-line block ×3, first 2 shown]
	s_delay_alu instid0(VALU_DEP_3)
	v_cmp_lt_u32_e32 vcc_lo, 58, v2
	s_wait_alu 0xfffe
	s_or_b32 s1, vcc_lo, s1
	s_wait_loadcnt_dscnt 0x0
	v_mul_f32_e32 v7, v10, v6
	v_mul_f32_e32 v6, v9, v6
	s_delay_alu instid0(VALU_DEP_2) | instskip(NEXT) | instid1(VALU_DEP_2)
	v_fma_f32 v7, v9, v5, -v7
	v_fmac_f32_e32 v6, v10, v5
	s_delay_alu instid0(VALU_DEP_1)
	v_dual_add_f32 v4, v4, v7 :: v_dual_add_f32 v3, v3, v6
	s_wait_alu 0xfffe
	s_and_not1_b32 exec_lo, exec_lo, s1
	s_cbranch_execnz .LBB124_253
; %bb.254:
	s_or_b32 exec_lo, exec_lo, s1
	v_mov_b32_e32 v1, 0
	ds_load_b64 v[1:2], v1 offset:480
	s_wait_dscnt 0x0
	v_mul_f32_e32 v6, v3, v2
	v_mul_f32_e32 v5, v4, v2
	s_delay_alu instid0(VALU_DEP_2) | instskip(NEXT) | instid1(VALU_DEP_2)
	v_fma_f32 v4, v4, v1, -v6
	v_fmac_f32_e32 v5, v3, v1
	scratch_store_b64 off, v[4:5], off offset:480
.LBB124_255:
	s_wait_alu 0xfffe
	s_or_b32 exec_lo, exec_lo, s0
	s_mov_b32 s1, -1
	s_wait_loadcnt 0x0
	s_wait_storecnt 0x0
	s_barrier_signal -1
	s_barrier_wait -1
	global_inv scope:SCOPE_SE
.LBB124_256:
	s_wait_alu 0xfffe
	s_and_b32 vcc_lo, exec_lo, s1
	s_wait_alu 0xfffe
	s_cbranch_vccz .LBB124_258
; %bb.257:
	v_mov_b32_e32 v1, 0
	s_lshl_b64 s[0:1], s[8:9], 2
	s_wait_alu 0xfffe
	s_add_nc_u64 s[0:1], s[6:7], s[0:1]
	global_load_b32 v1, v1, s[0:1]
	s_wait_loadcnt 0x0
	v_cmp_ne_u32_e32 vcc_lo, 0, v1
	s_cbranch_vccz .LBB124_259
.LBB124_258:
	s_nop 0
	s_sendmsg sendmsg(MSG_DEALLOC_VGPRS)
	s_endpgm
.LBB124_259:
	v_lshl_add_u32 v157, v0, 3, 0x1f0
	s_mov_b32 s0, exec_lo
	v_cmpx_eq_u32_e32 60, v0
	s_cbranch_execz .LBB124_261
; %bb.260:
	scratch_load_b64 v[1:2], off, off offset:472
	v_mov_b32_e32 v3, 0
	s_delay_alu instid0(VALU_DEP_1)
	v_mov_b32_e32 v4, v3
	scratch_store_b64 off, v[3:4], off offset:472
	s_wait_loadcnt 0x0
	ds_store_b64 v157, v[1:2]
.LBB124_261:
	s_wait_alu 0xfffe
	s_or_b32 exec_lo, exec_lo, s0
	s_wait_storecnt_dscnt 0x0
	s_barrier_signal -1
	s_barrier_wait -1
	global_inv scope:SCOPE_SE
	s_clause 0x1
	scratch_load_b64 v[2:3], off, off offset:480
	scratch_load_b64 v[4:5], off, off offset:472
	v_mov_b32_e32 v1, 0
	s_mov_b32 s0, exec_lo
	ds_load_b64 v[6:7], v1 offset:976
	s_wait_loadcnt_dscnt 0x100
	v_mul_f32_e32 v8, v7, v3
	v_mul_f32_e32 v3, v6, v3
	s_delay_alu instid0(VALU_DEP_2) | instskip(NEXT) | instid1(VALU_DEP_2)
	v_fma_f32 v6, v6, v2, -v8
	v_fmac_f32_e32 v3, v7, v2
	s_delay_alu instid0(VALU_DEP_1) | instskip(SKIP_1) | instid1(VALU_DEP_1)
	v_dual_add_f32 v2, 0, v6 :: v_dual_add_f32 v3, 0, v3
	s_wait_loadcnt 0x0
	v_dual_sub_f32 v2, v4, v2 :: v_dual_sub_f32 v3, v5, v3
	scratch_store_b64 off, v[2:3], off offset:472
	v_cmpx_lt_u32_e32 58, v0
	s_cbranch_execz .LBB124_263
; %bb.262:
	scratch_load_b64 v[3:4], off, off offset:464
	v_mov_b32_e32 v2, v1
	scratch_store_b64 off, v[1:2], off offset:464
	s_wait_loadcnt 0x0
	ds_store_b64 v157, v[3:4]
.LBB124_263:
	s_wait_alu 0xfffe
	s_or_b32 exec_lo, exec_lo, s0
	s_wait_storecnt_dscnt 0x0
	s_barrier_signal -1
	s_barrier_wait -1
	global_inv scope:SCOPE_SE
	s_clause 0x1
	scratch_load_b128 v[2:5], off, off offset:472
	scratch_load_b64 v[10:11], off, off offset:464
	ds_load_2addr_b64 v[6:9], v1 offset0:121 offset1:122
	s_mov_b32 s0, exec_lo
	s_wait_loadcnt_dscnt 0x100
	v_dual_mul_f32 v1, v7, v3 :: v_dual_mul_f32 v12, v8, v5
	v_mul_f32_e32 v3, v6, v3
	s_delay_alu instid0(VALU_DEP_2) | instskip(NEXT) | instid1(VALU_DEP_2)
	v_fma_f32 v1, v6, v2, -v1
	v_dual_fmac_f32 v12, v9, v4 :: v_dual_fmac_f32 v3, v7, v2
	s_delay_alu instid0(VALU_DEP_2) | instskip(NEXT) | instid1(VALU_DEP_2)
	v_add_f32_e32 v1, 0, v1
	v_add_f32_e32 v3, 0, v3
	v_mul_f32_e32 v5, v9, v5
	s_delay_alu instid0(VALU_DEP_1) | instskip(NEXT) | instid1(VALU_DEP_1)
	v_fma_f32 v2, v8, v4, -v5
	v_dual_add_f32 v1, v1, v2 :: v_dual_add_f32 v2, v3, v12
	s_wait_loadcnt 0x0
	s_delay_alu instid0(VALU_DEP_1)
	v_dual_sub_f32 v1, v10, v1 :: v_dual_sub_f32 v2, v11, v2
	scratch_store_b64 off, v[1:2], off offset:464
	v_cmpx_lt_u32_e32 57, v0
	s_cbranch_execz .LBB124_265
; %bb.264:
	scratch_load_b64 v[1:2], off, off offset:456
	v_mov_b32_e32 v3, 0
	s_delay_alu instid0(VALU_DEP_1)
	v_mov_b32_e32 v4, v3
	scratch_store_b64 off, v[3:4], off offset:456
	s_wait_loadcnt 0x0
	ds_store_b64 v157, v[1:2]
.LBB124_265:
	s_wait_alu 0xfffe
	s_or_b32 exec_lo, exec_lo, s0
	s_wait_storecnt_dscnt 0x0
	s_barrier_signal -1
	s_barrier_wait -1
	global_inv scope:SCOPE_SE
	s_clause 0x2
	scratch_load_b128 v[2:5], off, off offset:464
	scratch_load_b64 v[10:11], off, off offset:480
	scratch_load_b64 v[12:13], off, off offset:456
	v_mov_b32_e32 v1, 0
	ds_load_b128 v[6:9], v1 offset:960
	ds_load_b64 v[14:15], v1 offset:976
	s_mov_b32 s0, exec_lo
	s_wait_loadcnt_dscnt 0x201
	v_dual_mul_f32 v16, v7, v3 :: v_dual_mul_f32 v17, v8, v5
	s_wait_loadcnt_dscnt 0x100
	v_mul_f32_e32 v18, v14, v11
	v_mul_f32_e32 v3, v6, v3
	;; [unrolled: 1-line block ×3, first 2 shown]
	v_fma_f32 v6, v6, v2, -v16
	s_delay_alu instid0(VALU_DEP_4) | instskip(NEXT) | instid1(VALU_DEP_4)
	v_fmac_f32_e32 v18, v15, v10
	v_fmac_f32_e32 v3, v7, v2
	v_mul_f32_e32 v2, v15, v11
	s_delay_alu instid0(VALU_DEP_1) | instskip(SKIP_3) | instid1(VALU_DEP_1)
	v_fma_f32 v2, v14, v10, -v2
	v_fmac_f32_e32 v17, v9, v4
	v_fma_f32 v4, v8, v4, -v5
	v_add_f32_e32 v5, 0, v6
	v_add_f32_e32 v4, v5, v4
	s_delay_alu instid0(VALU_DEP_1) | instskip(SKIP_1) | instid1(VALU_DEP_1)
	v_dual_add_f32 v2, v4, v2 :: v_dual_add_f32 v3, 0, v3
	s_wait_loadcnt 0x0
	v_dual_sub_f32 v2, v12, v2 :: v_dual_add_f32 v3, v3, v17
	s_delay_alu instid0(VALU_DEP_1) | instskip(NEXT) | instid1(VALU_DEP_1)
	v_add_f32_e32 v3, v3, v18
	v_sub_f32_e32 v3, v13, v3
	scratch_store_b64 off, v[2:3], off offset:456
	v_cmpx_lt_u32_e32 56, v0
	s_cbranch_execz .LBB124_267
; %bb.266:
	scratch_load_b64 v[3:4], off, off offset:448
	v_mov_b32_e32 v2, v1
	scratch_store_b64 off, v[1:2], off offset:448
	s_wait_loadcnt 0x0
	ds_store_b64 v157, v[3:4]
.LBB124_267:
	s_wait_alu 0xfffe
	s_or_b32 exec_lo, exec_lo, s0
	s_wait_storecnt_dscnt 0x0
	s_barrier_signal -1
	s_barrier_wait -1
	global_inv scope:SCOPE_SE
	s_clause 0x2
	scratch_load_b128 v[2:5], off, off offset:456
	scratch_load_b128 v[6:9], off, off offset:472
	scratch_load_b64 v[18:19], off, off offset:448
	ds_load_2addr_b64 v[10:13], v1 offset0:119 offset1:120
	ds_load_2addr_b64 v[14:17], v1 offset0:121 offset1:122
	s_mov_b32 s0, exec_lo
	s_wait_loadcnt_dscnt 0x201
	v_dual_mul_f32 v1, v10, v3 :: v_dual_mul_f32 v20, v12, v5
	s_wait_loadcnt_dscnt 0x100
	v_dual_mul_f32 v3, v11, v3 :: v_dual_mul_f32 v22, v16, v9
	v_mul_f32_e32 v5, v13, v5
	s_delay_alu instid0(VALU_DEP_3) | instskip(NEXT) | instid1(VALU_DEP_3)
	v_dual_mul_f32 v21, v14, v7 :: v_dual_fmac_f32 v20, v13, v4
	v_fma_f32 v3, v10, v2, -v3
	s_delay_alu instid0(VALU_DEP_4) | instskip(SKIP_2) | instid1(VALU_DEP_4)
	v_dual_fmac_f32 v1, v11, v2 :: v_dual_fmac_f32 v22, v17, v8
	v_mul_f32_e32 v2, v15, v7
	v_fma_f32 v4, v12, v4, -v5
	v_add_f32_e32 v3, 0, v3
	v_fmac_f32_e32 v21, v15, v6
	s_delay_alu instid0(VALU_DEP_4) | instskip(NEXT) | instid1(VALU_DEP_3)
	v_fma_f32 v2, v14, v6, -v2
	v_add_f32_e32 v3, v3, v4
	s_delay_alu instid0(VALU_DEP_1) | instskip(NEXT) | instid1(VALU_DEP_1)
	v_dual_add_f32 v1, 0, v1 :: v_dual_add_f32 v2, v3, v2
	v_add_f32_e32 v1, v1, v20
	s_delay_alu instid0(VALU_DEP_1) | instskip(NEXT) | instid1(VALU_DEP_1)
	v_add_f32_e32 v1, v1, v21
	v_add_f32_e32 v3, v1, v22
	v_mul_f32_e32 v5, v17, v9
	s_delay_alu instid0(VALU_DEP_1) | instskip(NEXT) | instid1(VALU_DEP_1)
	v_fma_f32 v4, v16, v8, -v5
	v_add_f32_e32 v2, v2, v4
	s_wait_loadcnt 0x0
	s_delay_alu instid0(VALU_DEP_1)
	v_dual_sub_f32 v1, v18, v2 :: v_dual_sub_f32 v2, v19, v3
	scratch_store_b64 off, v[1:2], off offset:448
	v_cmpx_lt_u32_e32 55, v0
	s_cbranch_execz .LBB124_269
; %bb.268:
	scratch_load_b64 v[1:2], off, off offset:440
	v_mov_b32_e32 v3, 0
	s_delay_alu instid0(VALU_DEP_1)
	v_mov_b32_e32 v4, v3
	scratch_store_b64 off, v[3:4], off offset:440
	s_wait_loadcnt 0x0
	ds_store_b64 v157, v[1:2]
.LBB124_269:
	s_wait_alu 0xfffe
	s_or_b32 exec_lo, exec_lo, s0
	s_wait_storecnt_dscnt 0x0
	s_barrier_signal -1
	s_barrier_wait -1
	global_inv scope:SCOPE_SE
	s_clause 0x3
	scratch_load_b128 v[2:5], off, off offset:448
	scratch_load_b128 v[6:9], off, off offset:464
	scratch_load_b64 v[18:19], off, off offset:480
	scratch_load_b64 v[20:21], off, off offset:440
	v_mov_b32_e32 v1, 0
	ds_load_b128 v[10:13], v1 offset:944
	ds_load_b128 v[14:17], v1 offset:960
	ds_load_b64 v[22:23], v1 offset:976
	s_mov_b32 s0, exec_lo
	s_wait_loadcnt_dscnt 0x302
	v_dual_mul_f32 v24, v10, v3 :: v_dual_mul_f32 v25, v12, v5
	s_wait_loadcnt_dscnt 0x201
	v_dual_mul_f32 v26, v14, v7 :: v_dual_mul_f32 v5, v13, v5
	;; [unrolled: 2-line block ×3, first 2 shown]
	v_dual_fmac_f32 v24, v11, v2 :: v_dual_fmac_f32 v25, v13, v4
	s_delay_alu instid0(VALU_DEP_3) | instskip(SKIP_1) | instid1(VALU_DEP_3)
	v_fmac_f32_e32 v26, v15, v6
	v_fma_f32 v4, v12, v4, -v5
	v_dual_fmac_f32 v28, v23, v18 :: v_dual_add_f32 v5, 0, v24
	v_mul_f32_e32 v3, v11, v3
	s_delay_alu instid0(VALU_DEP_1) | instskip(SKIP_1) | instid1(VALU_DEP_2)
	v_fma_f32 v3, v10, v2, -v3
	v_dual_mul_f32 v2, v15, v7 :: v_dual_mul_f32 v7, v17, v9
	v_add_f32_e32 v3, 0, v3
	s_delay_alu instid0(VALU_DEP_2) | instskip(NEXT) | instid1(VALU_DEP_3)
	v_fma_f32 v2, v14, v6, -v2
	v_fma_f32 v6, v16, v8, -v7
	s_delay_alu instid0(VALU_DEP_3) | instskip(NEXT) | instid1(VALU_DEP_1)
	v_add_f32_e32 v3, v3, v4
	v_add_f32_e32 v2, v3, v2
	;; [unrolled: 1-line block ×3, first 2 shown]
	s_delay_alu instid0(VALU_DEP_2) | instskip(NEXT) | instid1(VALU_DEP_2)
	v_dual_add_f32 v2, v2, v6 :: v_dual_mul_f32 v5, v23, v19
	v_add_f32_e32 v3, v4, v26
	s_delay_alu instid0(VALU_DEP_2) | instskip(NEXT) | instid1(VALU_DEP_1)
	v_fma_f32 v4, v22, v18, -v5
	v_add_f32_e32 v2, v2, v4
	s_wait_loadcnt 0x0
	s_delay_alu instid0(VALU_DEP_1) | instskip(NEXT) | instid1(VALU_DEP_1)
	v_dual_fmac_f32 v27, v17, v8 :: v_dual_sub_f32 v2, v20, v2
	v_add_f32_e32 v3, v3, v27
	s_delay_alu instid0(VALU_DEP_1) | instskip(NEXT) | instid1(VALU_DEP_1)
	v_add_f32_e32 v3, v3, v28
	v_sub_f32_e32 v3, v21, v3
	scratch_store_b64 off, v[2:3], off offset:440
	v_cmpx_lt_u32_e32 54, v0
	s_cbranch_execz .LBB124_271
; %bb.270:
	scratch_load_b64 v[3:4], off, off offset:432
	v_mov_b32_e32 v2, v1
	scratch_store_b64 off, v[1:2], off offset:432
	s_wait_loadcnt 0x0
	ds_store_b64 v157, v[3:4]
.LBB124_271:
	s_wait_alu 0xfffe
	s_or_b32 exec_lo, exec_lo, s0
	s_wait_storecnt_dscnt 0x0
	s_barrier_signal -1
	s_barrier_wait -1
	global_inv scope:SCOPE_SE
	s_clause 0x3
	scratch_load_b128 v[2:5], off, off offset:440
	scratch_load_b128 v[6:9], off, off offset:456
	;; [unrolled: 1-line block ×3, first 2 shown]
	scratch_load_b64 v[26:27], off, off offset:432
	ds_load_2addr_b64 v[14:17], v1 offset0:117 offset1:118
	ds_load_2addr_b64 v[18:21], v1 offset0:119 offset1:120
	;; [unrolled: 1-line block ×3, first 2 shown]
	s_mov_b32 s0, exec_lo
	s_wait_loadcnt_dscnt 0x302
	v_dual_mul_f32 v1, v14, v3 :: v_dual_mul_f32 v28, v16, v5
	s_wait_loadcnt_dscnt 0x100
	v_dual_mul_f32 v3, v15, v3 :: v_dual_mul_f32 v32, v24, v13
	v_dual_mul_f32 v29, v18, v7 :: v_dual_mul_f32 v30, v20, v9
	v_mul_f32_e32 v5, v17, v5
	s_delay_alu instid0(VALU_DEP_3)
	v_fma_f32 v3, v14, v2, -v3
	v_fmac_f32_e32 v1, v15, v2
	v_mul_f32_e32 v2, v19, v7
	v_dual_mul_f32 v31, v22, v11 :: v_dual_fmac_f32 v28, v17, v4
	v_fma_f32 v4, v16, v4, -v5
	v_fmac_f32_e32 v30, v21, v8
	s_delay_alu instid0(VALU_DEP_4) | instskip(SKIP_4) | instid1(VALU_DEP_4)
	v_fma_f32 v2, v18, v6, -v2
	v_mul_f32_e32 v5, v21, v9
	v_add_f32_e32 v1, 0, v1
	v_dual_fmac_f32 v29, v19, v6 :: v_dual_fmac_f32 v32, v25, v12
	v_fmac_f32_e32 v31, v23, v10
	v_fma_f32 v5, v20, v8, -v5
	v_add_f32_e32 v3, 0, v3
	s_delay_alu instid0(VALU_DEP_1) | instskip(SKIP_1) | instid1(VALU_DEP_2)
	v_add_f32_e32 v3, v3, v4
	v_mul_f32_e32 v4, v23, v11
	v_add_f32_e32 v2, v3, v2
	s_delay_alu instid0(VALU_DEP_2) | instskip(NEXT) | instid1(VALU_DEP_2)
	v_fma_f32 v4, v22, v10, -v4
	v_add_f32_e32 v2, v2, v5
	s_delay_alu instid0(VALU_DEP_1) | instskip(NEXT) | instid1(VALU_DEP_1)
	v_dual_mul_f32 v3, v25, v13 :: v_dual_add_f32 v2, v2, v4
	v_fma_f32 v3, v24, v12, -v3
	s_delay_alu instid0(VALU_DEP_1) | instskip(NEXT) | instid1(VALU_DEP_1)
	v_dual_add_f32 v1, v1, v28 :: v_dual_add_f32 v2, v2, v3
	v_add_f32_e32 v1, v1, v29
	s_delay_alu instid0(VALU_DEP_1) | instskip(NEXT) | instid1(VALU_DEP_1)
	v_add_f32_e32 v1, v1, v30
	v_add_f32_e32 v1, v1, v31
	s_delay_alu instid0(VALU_DEP_1) | instskip(SKIP_1) | instid1(VALU_DEP_1)
	v_add_f32_e32 v3, v1, v32
	s_wait_loadcnt 0x0
	v_dual_sub_f32 v1, v26, v2 :: v_dual_sub_f32 v2, v27, v3
	scratch_store_b64 off, v[1:2], off offset:432
	v_cmpx_lt_u32_e32 53, v0
	s_cbranch_execz .LBB124_273
; %bb.272:
	scratch_load_b64 v[1:2], off, off offset:424
	v_mov_b32_e32 v3, 0
	s_delay_alu instid0(VALU_DEP_1)
	v_mov_b32_e32 v4, v3
	scratch_store_b64 off, v[3:4], off offset:424
	s_wait_loadcnt 0x0
	ds_store_b64 v157, v[1:2]
.LBB124_273:
	s_wait_alu 0xfffe
	s_or_b32 exec_lo, exec_lo, s0
	s_wait_storecnt_dscnt 0x0
	s_barrier_signal -1
	s_barrier_wait -1
	global_inv scope:SCOPE_SE
	s_clause 0x4
	scratch_load_b128 v[2:5], off, off offset:432
	scratch_load_b128 v[6:9], off, off offset:448
	;; [unrolled: 1-line block ×3, first 2 shown]
	scratch_load_b64 v[26:27], off, off offset:480
	scratch_load_b64 v[28:29], off, off offset:424
	v_mov_b32_e32 v1, 0
	ds_load_b128 v[14:17], v1 offset:928
	ds_load_b128 v[18:21], v1 offset:944
	;; [unrolled: 1-line block ×3, first 2 shown]
	ds_load_b64 v[30:31], v1 offset:976
	s_mov_b32 s0, exec_lo
	s_wait_loadcnt_dscnt 0x403
	v_mul_f32_e32 v32, v14, v3
	s_wait_loadcnt_dscnt 0x302
	v_dual_mul_f32 v158, v20, v9 :: v_dual_mul_f32 v3, v15, v3
	v_dual_mul_f32 v155, v16, v5 :: v_dual_mul_f32 v156, v18, v7
	v_mul_f32_e32 v5, v17, v5
	s_wait_loadcnt_dscnt 0x100
	v_dual_mul_f32 v161, v30, v27 :: v_dual_fmac_f32 v32, v15, v2
	v_fma_f32 v3, v14, v2, -v3
	v_dual_mul_f32 v2, v19, v7 :: v_dual_fmac_f32 v155, v17, v4
	v_fmac_f32_e32 v156, v19, v6
	v_fma_f32 v4, v16, v4, -v5
	s_delay_alu instid0(VALU_DEP_4) | instskip(NEXT) | instid1(VALU_DEP_4)
	v_dual_add_f32 v3, 0, v3 :: v_dual_fmac_f32 v158, v21, v8
	v_fma_f32 v2, v18, v6, -v2
	v_dual_mul_f32 v159, v22, v11 :: v_dual_mul_f32 v160, v24, v13
	s_delay_alu instid0(VALU_DEP_3) | instskip(SKIP_1) | instid1(VALU_DEP_3)
	v_add_f32_e32 v3, v3, v4
	v_add_f32_e32 v5, 0, v32
	v_dual_fmac_f32 v159, v23, v10 :: v_dual_fmac_f32 v160, v25, v12
	s_delay_alu instid0(VALU_DEP_3) | instskip(NEXT) | instid1(VALU_DEP_3)
	v_dual_add_f32 v2, v3, v2 :: v_dual_mul_f32 v7, v21, v9
	v_add_f32_e32 v4, v5, v155
	v_mul_f32_e32 v5, v23, v11
	s_delay_alu instid0(VALU_DEP_3) | instskip(NEXT) | instid1(VALU_DEP_3)
	v_fma_f32 v6, v20, v8, -v7
	v_dual_add_f32 v3, v4, v156 :: v_dual_mul_f32 v4, v25, v13
	s_delay_alu instid0(VALU_DEP_3) | instskip(NEXT) | instid1(VALU_DEP_3)
	v_fma_f32 v5, v22, v10, -v5
	v_add_f32_e32 v2, v2, v6
	v_mul_f32_e32 v6, v31, v27
	s_delay_alu instid0(VALU_DEP_4) | instskip(SKIP_1) | instid1(VALU_DEP_4)
	v_add_f32_e32 v3, v3, v158
	v_fma_f32 v4, v24, v12, -v4
	v_add_f32_e32 v2, v2, v5
	s_delay_alu instid0(VALU_DEP_4) | instskip(NEXT) | instid1(VALU_DEP_2)
	v_fma_f32 v5, v30, v26, -v6
	v_dual_add_f32 v3, v3, v159 :: v_dual_add_f32 v2, v2, v4
	s_delay_alu instid0(VALU_DEP_1) | instskip(SKIP_1) | instid1(VALU_DEP_1)
	v_dual_fmac_f32 v161, v31, v26 :: v_dual_add_f32 v2, v2, v5
	s_wait_loadcnt 0x0
	v_dual_add_f32 v3, v3, v160 :: v_dual_sub_f32 v2, v28, v2
	s_delay_alu instid0(VALU_DEP_1) | instskip(NEXT) | instid1(VALU_DEP_1)
	v_add_f32_e32 v3, v3, v161
	v_sub_f32_e32 v3, v29, v3
	scratch_store_b64 off, v[2:3], off offset:424
	v_cmpx_lt_u32_e32 52, v0
	s_cbranch_execz .LBB124_275
; %bb.274:
	scratch_load_b64 v[3:4], off, off offset:416
	v_mov_b32_e32 v2, v1
	scratch_store_b64 off, v[1:2], off offset:416
	s_wait_loadcnt 0x0
	ds_store_b64 v157, v[3:4]
.LBB124_275:
	s_wait_alu 0xfffe
	s_or_b32 exec_lo, exec_lo, s0
	s_wait_storecnt_dscnt 0x0
	s_barrier_signal -1
	s_barrier_wait -1
	global_inv scope:SCOPE_SE
	s_clause 0x4
	scratch_load_b128 v[2:5], off, off offset:424
	scratch_load_b128 v[6:9], off, off offset:440
	;; [unrolled: 1-line block ×4, first 2 shown]
	scratch_load_b64 v[30:31], off, off offset:416
	ds_load_2addr_b64 v[18:21], v1 offset0:115 offset1:116
	ds_load_2addr_b64 v[22:25], v1 offset0:117 offset1:118
	;; [unrolled: 1-line block ×4, first 2 shown]
	s_mov_b32 s0, exec_lo
	s_wait_loadcnt_dscnt 0x403
	v_dual_mul_f32 v1, v18, v3 :: v_dual_mul_f32 v32, v20, v5
	v_mul_f32_e32 v3, v19, v3
	v_mul_f32_e32 v5, v21, v5
	s_wait_loadcnt_dscnt 0x302
	v_dual_mul_f32 v155, v22, v7 :: v_dual_mul_f32 v156, v24, v9
	v_fmac_f32_e32 v32, v21, v4
	v_fma_f32 v3, v18, v2, -v3
	s_wait_loadcnt_dscnt 0x201
	v_dual_mul_f32 v162, v26, v11 :: v_dual_mul_f32 v163, v28, v13
	v_dual_fmac_f32 v1, v19, v2 :: v_dual_fmac_f32 v156, v25, v8
	v_mul_f32_e32 v2, v23, v7
	v_fma_f32 v4, v20, v4, -v5
	s_delay_alu instid0(VALU_DEP_4) | instskip(NEXT) | instid1(VALU_DEP_4)
	v_dual_add_f32 v3, 0, v3 :: v_dual_fmac_f32 v162, v27, v10
	v_add_f32_e32 v1, 0, v1
	s_delay_alu instid0(VALU_DEP_4) | instskip(SKIP_4) | instid1(VALU_DEP_3)
	v_fma_f32 v2, v22, v6, -v2
	s_wait_loadcnt_dscnt 0x100
	v_dual_mul_f32 v164, v158, v15 :: v_dual_mul_f32 v165, v160, v17
	v_add_f32_e32 v3, v3, v4
	v_dual_mul_f32 v5, v25, v9 :: v_dual_mul_f32 v4, v27, v11
	v_dual_add_f32 v1, v1, v32 :: v_dual_fmac_f32 v164, v159, v14
	s_delay_alu instid0(VALU_DEP_3) | instskip(NEXT) | instid1(VALU_DEP_3)
	v_add_f32_e32 v2, v3, v2
	v_fma_f32 v5, v24, v8, -v5
	v_fmac_f32_e32 v155, v23, v6
	v_mul_f32_e32 v3, v29, v13
	v_fma_f32 v4, v26, v10, -v4
	s_delay_alu instid0(VALU_DEP_4) | instskip(NEXT) | instid1(VALU_DEP_4)
	v_dual_fmac_f32 v165, v161, v16 :: v_dual_add_f32 v2, v2, v5
	v_add_f32_e32 v1, v1, v155
	v_mul_f32_e32 v5, v159, v15
	v_fma_f32 v3, v28, v12, -v3
	s_delay_alu instid0(VALU_DEP_4) | instskip(NEXT) | instid1(VALU_DEP_4)
	v_add_f32_e32 v2, v2, v4
	v_add_f32_e32 v1, v1, v156
	v_mul_f32_e32 v4, v161, v17
	v_fma_f32 v5, v158, v14, -v5
	s_delay_alu instid0(VALU_DEP_4) | instskip(NEXT) | instid1(VALU_DEP_3)
	v_dual_add_f32 v2, v2, v3 :: v_dual_fmac_f32 v163, v29, v12
	v_fma_f32 v3, v160, v16, -v4
	s_delay_alu instid0(VALU_DEP_2) | instskip(NEXT) | instid1(VALU_DEP_1)
	v_dual_add_f32 v2, v2, v5 :: v_dual_add_f32 v1, v1, v162
	v_add_f32_e32 v2, v2, v3
	s_delay_alu instid0(VALU_DEP_2) | instskip(NEXT) | instid1(VALU_DEP_1)
	v_add_f32_e32 v1, v1, v163
	v_add_f32_e32 v1, v1, v164
	s_delay_alu instid0(VALU_DEP_1) | instskip(SKIP_1) | instid1(VALU_DEP_1)
	v_add_f32_e32 v3, v1, v165
	s_wait_loadcnt 0x0
	v_dual_sub_f32 v1, v30, v2 :: v_dual_sub_f32 v2, v31, v3
	scratch_store_b64 off, v[1:2], off offset:416
	v_cmpx_lt_u32_e32 51, v0
	s_cbranch_execz .LBB124_277
; %bb.276:
	scratch_load_b64 v[1:2], off, off offset:408
	v_mov_b32_e32 v3, 0
	s_delay_alu instid0(VALU_DEP_1)
	v_mov_b32_e32 v4, v3
	scratch_store_b64 off, v[3:4], off offset:408
	s_wait_loadcnt 0x0
	ds_store_b64 v157, v[1:2]
.LBB124_277:
	s_wait_alu 0xfffe
	s_or_b32 exec_lo, exec_lo, s0
	s_wait_storecnt_dscnt 0x0
	s_barrier_signal -1
	s_barrier_wait -1
	global_inv scope:SCOPE_SE
	s_clause 0x5
	scratch_load_b128 v[2:5], off, off offset:416
	scratch_load_b128 v[6:9], off, off offset:432
	;; [unrolled: 1-line block ×4, first 2 shown]
	scratch_load_b64 v[30:31], off, off offset:480
	scratch_load_b64 v[155:156], off, off offset:408
	v_mov_b32_e32 v1, 0
	ds_load_b128 v[18:21], v1 offset:912
	ds_load_b128 v[22:25], v1 offset:928
	;; [unrolled: 1-line block ×4, first 2 shown]
	ds_load_b64 v[162:163], v1 offset:976
	s_mov_b32 s0, exec_lo
	s_wait_loadcnt_dscnt 0x504
	v_mul_f32_e32 v32, v18, v3
	s_wait_loadcnt_dscnt 0x302
	v_dual_mul_f32 v3, v19, v3 :: v_dual_mul_f32 v168, v28, v13
	v_dual_mul_f32 v164, v20, v5 :: v_dual_mul_f32 v165, v22, v7
	v_mul_f32_e32 v5, v21, v5
	s_delay_alu instid0(VALU_DEP_3) | instskip(SKIP_3) | instid1(VALU_DEP_3)
	v_fma_f32 v3, v18, v2, -v3
	s_wait_loadcnt_dscnt 0x100
	v_dual_mul_f32 v171, v162, v31 :: v_dual_fmac_f32 v32, v19, v2
	v_mul_f32_e32 v2, v23, v7
	v_dual_fmac_f32 v164, v21, v4 :: v_dual_add_f32 v3, 0, v3
	v_fma_f32 v4, v20, v4, -v5
	v_dual_mul_f32 v166, v24, v9 :: v_dual_mul_f32 v167, v26, v11
	s_delay_alu instid0(VALU_DEP_4) | instskip(SKIP_1) | instid1(VALU_DEP_4)
	v_fma_f32 v2, v22, v6, -v2
	v_dual_mul_f32 v169, v158, v15 :: v_dual_mul_f32 v170, v160, v17
	v_add_f32_e32 v3, v3, v4
	v_add_f32_e32 v5, 0, v32
	v_dual_fmac_f32 v166, v25, v8 :: v_dual_fmac_f32 v167, v27, v10
	v_fmac_f32_e32 v168, v29, v12
	s_delay_alu instid0(VALU_DEP_4) | instskip(NEXT) | instid1(VALU_DEP_4)
	v_dual_add_f32 v2, v3, v2 :: v_dual_mul_f32 v7, v25, v9
	v_dual_fmac_f32 v165, v23, v6 :: v_dual_add_f32 v4, v5, v164
	v_mul_f32_e32 v5, v27, v11
	v_dual_fmac_f32 v169, v159, v14 :: v_dual_fmac_f32 v170, v161, v16
	s_delay_alu instid0(VALU_DEP_4) | instskip(NEXT) | instid1(VALU_DEP_4)
	v_fma_f32 v6, v24, v8, -v7
	v_add_f32_e32 v3, v4, v165
	v_mul_f32_e32 v4, v29, v13
	v_fma_f32 v5, v26, v10, -v5
	s_delay_alu instid0(VALU_DEP_4) | instskip(SKIP_3) | instid1(VALU_DEP_4)
	v_add_f32_e32 v2, v2, v6
	v_mul_f32_e32 v6, v159, v15
	v_add_f32_e32 v3, v3, v166
	v_fma_f32 v4, v28, v12, -v4
	v_add_f32_e32 v2, v2, v5
	v_mul_f32_e32 v5, v161, v17
	s_delay_alu instid0(VALU_DEP_4) | instskip(SKIP_1) | instid1(VALU_DEP_4)
	v_add_f32_e32 v3, v3, v167
	v_fma_f32 v6, v158, v14, -v6
	v_add_f32_e32 v2, v2, v4
	v_mul_f32_e32 v4, v163, v31
	s_delay_alu instid0(VALU_DEP_4) | instskip(SKIP_1) | instid1(VALU_DEP_4)
	v_add_f32_e32 v3, v3, v168
	v_fma_f32 v5, v160, v16, -v5
	v_add_f32_e32 v2, v2, v6
	v_fmac_f32_e32 v171, v163, v30
	v_fma_f32 v4, v162, v30, -v4
	s_delay_alu instid0(VALU_DEP_3) | instskip(NEXT) | instid1(VALU_DEP_1)
	v_add_f32_e32 v2, v2, v5
	v_dual_add_f32 v3, v3, v169 :: v_dual_add_f32 v2, v2, v4
	s_delay_alu instid0(VALU_DEP_1) | instskip(NEXT) | instid1(VALU_DEP_1)
	v_add_f32_e32 v3, v3, v170
	v_add_f32_e32 v3, v3, v171
	s_wait_loadcnt 0x0
	s_delay_alu instid0(VALU_DEP_1)
	v_dual_sub_f32 v2, v155, v2 :: v_dual_sub_f32 v3, v156, v3
	scratch_store_b64 off, v[2:3], off offset:408
	v_cmpx_lt_u32_e32 50, v0
	s_cbranch_execz .LBB124_279
; %bb.278:
	scratch_load_b64 v[3:4], off, off offset:400
	v_mov_b32_e32 v2, v1
	scratch_store_b64 off, v[1:2], off offset:400
	s_wait_loadcnt 0x0
	ds_store_b64 v157, v[3:4]
.LBB124_279:
	s_wait_alu 0xfffe
	s_or_b32 exec_lo, exec_lo, s0
	s_wait_storecnt_dscnt 0x0
	s_barrier_signal -1
	s_barrier_wait -1
	global_inv scope:SCOPE_SE
	s_clause 0x5
	scratch_load_b128 v[2:5], off, off offset:408
	scratch_load_b128 v[6:9], off, off offset:424
	scratch_load_b128 v[10:13], off, off offset:440
	scratch_load_b128 v[14:17], off, off offset:456
	scratch_load_b128 v[18:21], off, off offset:472
	scratch_load_b64 v[30:31], off, off offset:400
	ds_load_2addr_b64 v[22:25], v1 offset0:113 offset1:114
	ds_load_2addr_b64 v[26:29], v1 offset0:115 offset1:116
	;; [unrolled: 1-line block ×5, first 2 shown]
	s_mov_b32 s0, exec_lo
	s_wait_loadcnt_dscnt 0x504
	v_dual_mul_f32 v1, v22, v3 :: v_dual_mul_f32 v32, v24, v5
	v_mul_f32_e32 v3, v23, v3
	v_mul_f32_e32 v5, v25, v5
	s_wait_loadcnt_dscnt 0x403
	v_dual_mul_f32 v155, v26, v7 :: v_dual_mul_f32 v156, v28, v9
	v_fmac_f32_e32 v32, v25, v4
	v_fma_f32 v3, v22, v2, -v3
	s_wait_loadcnt_dscnt 0x302
	v_dual_mul_f32 v170, v158, v11 :: v_dual_mul_f32 v171, v160, v13
	v_dual_fmac_f32 v1, v23, v2 :: v_dual_fmac_f32 v156, v29, v8
	v_mul_f32_e32 v2, v27, v7
	v_fma_f32 v4, v24, v4, -v5
	s_delay_alu instid0(VALU_DEP_4) | instskip(NEXT) | instid1(VALU_DEP_4)
	v_dual_add_f32 v3, 0, v3 :: v_dual_fmac_f32 v170, v159, v10
	v_add_f32_e32 v1, 0, v1
	s_delay_alu instid0(VALU_DEP_4) | instskip(SKIP_4) | instid1(VALU_DEP_3)
	v_fma_f32 v2, v26, v6, -v2
	s_wait_loadcnt_dscnt 0x201
	v_dual_mul_f32 v172, v162, v15 :: v_dual_mul_f32 v173, v164, v17
	v_add_f32_e32 v3, v3, v4
	v_dual_mul_f32 v5, v29, v9 :: v_dual_mul_f32 v4, v159, v11
	v_dual_add_f32 v1, v1, v32 :: v_dual_fmac_f32 v172, v163, v14
	s_delay_alu instid0(VALU_DEP_3) | instskip(NEXT) | instid1(VALU_DEP_3)
	v_add_f32_e32 v2, v3, v2
	v_fma_f32 v5, v28, v8, -v5
	v_fmac_f32_e32 v155, v27, v6
	v_fma_f32 v4, v158, v10, -v4
	s_wait_loadcnt_dscnt 0x100
	v_dual_mul_f32 v174, v166, v19 :: v_dual_mul_f32 v175, v168, v21
	s_delay_alu instid0(VALU_DEP_3) | instskip(NEXT) | instid1(VALU_DEP_2)
	v_dual_add_f32 v2, v2, v5 :: v_dual_add_f32 v1, v1, v155
	v_dual_mul_f32 v3, v161, v13 :: v_dual_fmac_f32 v174, v167, v18
	v_fmac_f32_e32 v173, v165, v16
	s_delay_alu instid0(VALU_DEP_3) | instskip(SKIP_1) | instid1(VALU_DEP_4)
	v_add_f32_e32 v2, v2, v4
	v_mul_f32_e32 v4, v165, v17
	v_fma_f32 v3, v160, v12, -v3
	v_add_f32_e32 v1, v1, v156
	v_fmac_f32_e32 v175, v169, v20
	s_delay_alu instid0(VALU_DEP_4) | instskip(SKIP_3) | instid1(VALU_DEP_3)
	v_fma_f32 v4, v164, v16, -v4
	v_mul_f32_e32 v5, v163, v15
	v_add_f32_e32 v2, v2, v3
	v_mul_f32_e32 v3, v167, v19
	v_fma_f32 v5, v162, v14, -v5
	v_fmac_f32_e32 v171, v161, v12
	s_delay_alu instid0(VALU_DEP_3) | instskip(NEXT) | instid1(VALU_DEP_3)
	v_fma_f32 v3, v166, v18, -v3
	v_add_f32_e32 v2, v2, v5
	s_delay_alu instid0(VALU_DEP_1) | instskip(SKIP_1) | instid1(VALU_DEP_2)
	v_dual_mul_f32 v5, v169, v21 :: v_dual_add_f32 v2, v2, v4
	v_add_f32_e32 v1, v1, v170
	v_fma_f32 v4, v168, v20, -v5
	s_delay_alu instid0(VALU_DEP_3) | instskip(NEXT) | instid1(VALU_DEP_1)
	v_add_f32_e32 v2, v2, v3
	v_dual_add_f32 v1, v1, v171 :: v_dual_add_f32 v2, v2, v4
	s_delay_alu instid0(VALU_DEP_1) | instskip(NEXT) | instid1(VALU_DEP_1)
	v_add_f32_e32 v1, v1, v172
	v_add_f32_e32 v1, v1, v173
	s_delay_alu instid0(VALU_DEP_1) | instskip(NEXT) | instid1(VALU_DEP_1)
	v_add_f32_e32 v1, v1, v174
	v_add_f32_e32 v3, v1, v175
	s_wait_loadcnt 0x0
	s_delay_alu instid0(VALU_DEP_1)
	v_dual_sub_f32 v1, v30, v2 :: v_dual_sub_f32 v2, v31, v3
	scratch_store_b64 off, v[1:2], off offset:400
	v_cmpx_lt_u32_e32 49, v0
	s_cbranch_execz .LBB124_281
; %bb.280:
	scratch_load_b64 v[1:2], off, off offset:392
	v_mov_b32_e32 v3, 0
	s_delay_alu instid0(VALU_DEP_1)
	v_mov_b32_e32 v4, v3
	scratch_store_b64 off, v[3:4], off offset:392
	s_wait_loadcnt 0x0
	ds_store_b64 v157, v[1:2]
.LBB124_281:
	s_wait_alu 0xfffe
	s_or_b32 exec_lo, exec_lo, s0
	s_wait_storecnt_dscnt 0x0
	s_barrier_signal -1
	s_barrier_wait -1
	global_inv scope:SCOPE_SE
	s_clause 0x6
	scratch_load_b128 v[2:5], off, off offset:400
	scratch_load_b128 v[6:9], off, off offset:416
	;; [unrolled: 1-line block ×5, first 2 shown]
	scratch_load_b64 v[30:31], off, off offset:480
	scratch_load_b64 v[155:156], off, off offset:392
	v_mov_b32_e32 v1, 0
	ds_load_b128 v[22:25], v1 offset:896
	ds_load_b128 v[26:29], v1 offset:912
	;; [unrolled: 1-line block ×5, first 2 shown]
	ds_load_b64 v[170:171], v1 offset:976
	s_mov_b32 s0, exec_lo
	s_wait_loadcnt_dscnt 0x605
	v_mul_f32_e32 v32, v22, v3
	v_dual_mul_f32 v3, v23, v3 :: v_dual_mul_f32 v172, v24, v5
	s_wait_loadcnt_dscnt 0x302
	v_dual_mul_f32 v173, v26, v7 :: v_dual_mul_f32 v178, v164, v17
	v_mul_f32_e32 v5, v25, v5
	s_delay_alu instid0(VALU_DEP_3) | instskip(SKIP_3) | instid1(VALU_DEP_3)
	v_fma_f32 v3, v22, v2, -v3
	s_wait_loadcnt_dscnt 0x100
	v_dual_mul_f32 v181, v170, v31 :: v_dual_fmac_f32 v32, v23, v2
	v_mul_f32_e32 v2, v27, v7
	v_dual_fmac_f32 v172, v25, v4 :: v_dual_add_f32 v3, 0, v3
	v_fma_f32 v4, v24, v4, -v5
	v_dual_mul_f32 v174, v28, v9 :: v_dual_mul_f32 v175, v158, v11
	s_delay_alu instid0(VALU_DEP_4) | instskip(SKIP_1) | instid1(VALU_DEP_4)
	v_fma_f32 v2, v26, v6, -v2
	v_dual_mul_f32 v176, v160, v13 :: v_dual_mul_f32 v177, v162, v15
	v_add_f32_e32 v3, v3, v4
	v_add_f32_e32 v5, 0, v32
	v_dual_fmac_f32 v174, v29, v8 :: v_dual_fmac_f32 v175, v159, v10
	s_delay_alu instid0(VALU_DEP_4) | instskip(NEXT) | instid1(VALU_DEP_4)
	v_fmac_f32_e32 v176, v161, v12
	v_dual_add_f32 v2, v3, v2 :: v_dual_mul_f32 v7, v29, v9
	s_delay_alu instid0(VALU_DEP_4) | instskip(SKIP_2) | instid1(VALU_DEP_4)
	v_dual_fmac_f32 v173, v27, v6 :: v_dual_add_f32 v4, v5, v172
	v_mul_f32_e32 v5, v159, v11
	v_dual_fmac_f32 v177, v163, v14 :: v_dual_fmac_f32 v178, v165, v16
	v_fma_f32 v6, v28, v8, -v7
	s_delay_alu instid0(VALU_DEP_4)
	v_add_f32_e32 v3, v4, v173
	v_mul_f32_e32 v4, v161, v13
	v_fma_f32 v5, v158, v10, -v5
	v_dual_mul_f32 v179, v166, v19 :: v_dual_mul_f32 v180, v168, v21
	v_add_f32_e32 v2, v2, v6
	v_mul_f32_e32 v6, v163, v15
	v_add_f32_e32 v3, v3, v174
	v_fma_f32 v4, v160, v12, -v4
	s_delay_alu instid0(VALU_DEP_4) | instskip(SKIP_1) | instid1(VALU_DEP_4)
	v_dual_fmac_f32 v179, v167, v18 :: v_dual_add_f32 v2, v2, v5
	v_mul_f32_e32 v5, v165, v17
	v_add_f32_e32 v3, v3, v175
	v_fma_f32 v6, v162, v14, -v6
	v_fmac_f32_e32 v180, v169, v20
	v_add_f32_e32 v2, v2, v4
	v_mul_f32_e32 v4, v167, v19
	v_add_f32_e32 v3, v3, v176
	v_fma_f32 v5, v164, v16, -v5
	s_delay_alu instid0(VALU_DEP_4) | instskip(SKIP_1) | instid1(VALU_DEP_4)
	v_add_f32_e32 v2, v2, v6
	v_mul_f32_e32 v6, v169, v21
	v_add_f32_e32 v3, v3, v177
	v_fma_f32 v4, v166, v18, -v4
	s_delay_alu instid0(VALU_DEP_4) | instskip(NEXT) | instid1(VALU_DEP_4)
	v_add_f32_e32 v2, v2, v5
	v_fma_f32 v6, v168, v20, -v6
	s_delay_alu instid0(VALU_DEP_4) | instskip(NEXT) | instid1(VALU_DEP_3)
	v_add_f32_e32 v3, v3, v178
	v_dual_mul_f32 v5, v171, v31 :: v_dual_add_f32 v2, v2, v4
	s_delay_alu instid0(VALU_DEP_2) | instskip(NEXT) | instid1(VALU_DEP_2)
	v_add_f32_e32 v3, v3, v179
	v_fma_f32 v4, v170, v30, -v5
	s_delay_alu instid0(VALU_DEP_3) | instskip(SKIP_1) | instid1(VALU_DEP_4)
	v_add_f32_e32 v2, v2, v6
	v_fmac_f32_e32 v181, v171, v30
	v_add_f32_e32 v3, v3, v180
	s_delay_alu instid0(VALU_DEP_1) | instskip(SKIP_1) | instid1(VALU_DEP_1)
	v_dual_add_f32 v2, v2, v4 :: v_dual_add_f32 v3, v3, v181
	s_wait_loadcnt 0x0
	v_dual_sub_f32 v2, v155, v2 :: v_dual_sub_f32 v3, v156, v3
	scratch_store_b64 off, v[2:3], off offset:392
	v_cmpx_lt_u32_e32 48, v0
	s_cbranch_execz .LBB124_283
; %bb.282:
	scratch_load_b64 v[3:4], off, off offset:384
	v_mov_b32_e32 v2, v1
	scratch_store_b64 off, v[1:2], off offset:384
	s_wait_loadcnt 0x0
	ds_store_b64 v157, v[3:4]
.LBB124_283:
	s_wait_alu 0xfffe
	s_or_b32 exec_lo, exec_lo, s0
	s_wait_storecnt_dscnt 0x0
	s_barrier_signal -1
	s_barrier_wait -1
	global_inv scope:SCOPE_SE
	s_clause 0x6
	scratch_load_b128 v[2:5], off, off offset:392
	scratch_load_b128 v[6:9], off, off offset:408
	;; [unrolled: 1-line block ×6, first 2 shown]
	scratch_load_b64 v[30:31], off, off offset:384
	ds_load_2addr_b64 v[26:29], v1 offset0:111 offset1:112
	ds_load_2addr_b64 v[158:161], v1 offset0:113 offset1:114
	;; [unrolled: 1-line block ×6, first 2 shown]
	s_mov_b32 s0, exec_lo
	s_wait_loadcnt_dscnt 0x605
	v_dual_mul_f32 v1, v26, v3 :: v_dual_mul_f32 v32, v28, v5
	v_mul_f32_e32 v3, v27, v3
	v_mul_f32_e32 v5, v29, v5
	s_wait_loadcnt_dscnt 0x504
	v_dual_mul_f32 v155, v158, v7 :: v_dual_mul_f32 v156, v160, v9
	v_fmac_f32_e32 v32, v29, v4
	v_fma_f32 v3, v26, v2, -v3
	s_wait_loadcnt_dscnt 0x403
	v_dual_mul_f32 v178, v162, v11 :: v_dual_mul_f32 v179, v164, v13
	v_dual_fmac_f32 v1, v27, v2 :: v_dual_fmac_f32 v156, v161, v8
	v_mul_f32_e32 v2, v159, v7
	v_fma_f32 v4, v28, v4, -v5
	s_delay_alu instid0(VALU_DEP_4) | instskip(NEXT) | instid1(VALU_DEP_4)
	v_dual_add_f32 v3, 0, v3 :: v_dual_fmac_f32 v178, v163, v10
	v_add_f32_e32 v1, 0, v1
	s_delay_alu instid0(VALU_DEP_4) | instskip(SKIP_4) | instid1(VALU_DEP_3)
	v_fma_f32 v2, v158, v6, -v2
	s_wait_loadcnt_dscnt 0x302
	v_dual_mul_f32 v180, v166, v15 :: v_dual_mul_f32 v181, v168, v17
	v_add_f32_e32 v3, v3, v4
	v_dual_mul_f32 v5, v161, v9 :: v_dual_mul_f32 v4, v163, v11
	v_dual_add_f32 v1, v1, v32 :: v_dual_fmac_f32 v180, v167, v14
	s_delay_alu instid0(VALU_DEP_3) | instskip(NEXT) | instid1(VALU_DEP_3)
	v_add_f32_e32 v2, v3, v2
	v_fma_f32 v5, v160, v8, -v5
	v_fmac_f32_e32 v155, v159, v6
	v_fma_f32 v4, v162, v10, -v4
	s_wait_loadcnt_dscnt 0x201
	v_dual_mul_f32 v182, v170, v19 :: v_dual_mul_f32 v183, v172, v21
	s_delay_alu instid0(VALU_DEP_3) | instskip(NEXT) | instid1(VALU_DEP_2)
	v_dual_add_f32 v2, v2, v5 :: v_dual_add_f32 v1, v1, v155
	v_dual_mul_f32 v3, v165, v13 :: v_dual_fmac_f32 v182, v171, v18
	s_wait_loadcnt_dscnt 0x100
	v_dual_mul_f32 v184, v174, v23 :: v_dual_mul_f32 v185, v176, v25
	s_delay_alu instid0(VALU_DEP_3)
	v_add_f32_e32 v2, v2, v4
	v_mul_f32_e32 v4, v169, v17
	v_fma_f32 v3, v164, v12, -v3
	v_add_f32_e32 v1, v1, v156
	v_fmac_f32_e32 v183, v173, v20
	v_fmac_f32_e32 v185, v177, v24
	v_fma_f32 v4, v168, v16, -v4
	v_mul_f32_e32 v5, v167, v15
	v_dual_add_f32 v2, v2, v3 :: v_dual_add_f32 v1, v1, v178
	v_fmac_f32_e32 v184, v175, v22
	s_delay_alu instid0(VALU_DEP_3) | instskip(NEXT) | instid1(VALU_DEP_1)
	v_fma_f32 v5, v166, v14, -v5
	v_dual_fmac_f32 v179, v165, v12 :: v_dual_add_f32 v2, v2, v5
	s_delay_alu instid0(VALU_DEP_1) | instskip(SKIP_1) | instid1(VALU_DEP_3)
	v_add_f32_e32 v2, v2, v4
	v_mul_f32_e32 v4, v175, v23
	v_add_f32_e32 v1, v1, v179
	s_delay_alu instid0(VALU_DEP_2) | instskip(SKIP_1) | instid1(VALU_DEP_1)
	v_fma_f32 v4, v174, v22, -v4
	v_mul_f32_e32 v5, v173, v21
	v_fma_f32 v5, v172, v20, -v5
	v_mul_f32_e32 v3, v171, v19
	s_delay_alu instid0(VALU_DEP_1) | instskip(NEXT) | instid1(VALU_DEP_1)
	v_fma_f32 v3, v170, v18, -v3
	v_dual_fmac_f32 v181, v169, v16 :: v_dual_add_f32 v2, v2, v3
	v_mul_f32_e32 v3, v177, v25
	s_delay_alu instid0(VALU_DEP_2) | instskip(NEXT) | instid1(VALU_DEP_2)
	v_add_f32_e32 v2, v2, v5
	v_fma_f32 v3, v176, v24, -v3
	s_delay_alu instid0(VALU_DEP_2) | instskip(NEXT) | instid1(VALU_DEP_1)
	v_add_f32_e32 v2, v2, v4
	v_dual_add_f32 v1, v1, v180 :: v_dual_add_f32 v2, v2, v3
	s_delay_alu instid0(VALU_DEP_1) | instskip(NEXT) | instid1(VALU_DEP_1)
	v_add_f32_e32 v1, v1, v181
	v_add_f32_e32 v1, v1, v182
	s_delay_alu instid0(VALU_DEP_1) | instskip(NEXT) | instid1(VALU_DEP_1)
	v_add_f32_e32 v1, v1, v183
	v_add_f32_e32 v1, v1, v184
	s_delay_alu instid0(VALU_DEP_1) | instskip(SKIP_1) | instid1(VALU_DEP_1)
	v_add_f32_e32 v3, v1, v185
	s_wait_loadcnt 0x0
	v_dual_sub_f32 v1, v30, v2 :: v_dual_sub_f32 v2, v31, v3
	scratch_store_b64 off, v[1:2], off offset:384
	v_cmpx_lt_u32_e32 47, v0
	s_cbranch_execz .LBB124_285
; %bb.284:
	scratch_load_b64 v[1:2], off, off offset:376
	v_mov_b32_e32 v3, 0
	s_delay_alu instid0(VALU_DEP_1)
	v_mov_b32_e32 v4, v3
	scratch_store_b64 off, v[3:4], off offset:376
	s_wait_loadcnt 0x0
	ds_store_b64 v157, v[1:2]
.LBB124_285:
	s_wait_alu 0xfffe
	s_or_b32 exec_lo, exec_lo, s0
	s_wait_storecnt_dscnt 0x0
	s_barrier_signal -1
	s_barrier_wait -1
	global_inv scope:SCOPE_SE
	s_clause 0x7
	scratch_load_b128 v[2:5], off, off offset:384
	scratch_load_b128 v[6:9], off, off offset:400
	;; [unrolled: 1-line block ×6, first 2 shown]
	scratch_load_b64 v[30:31], off, off offset:480
	scratch_load_b64 v[155:156], off, off offset:376
	v_mov_b32_e32 v1, 0
	ds_load_b128 v[26:29], v1 offset:880
	ds_load_b128 v[158:161], v1 offset:896
	;; [unrolled: 1-line block ×6, first 2 shown]
	ds_load_b64 v[178:179], v1 offset:976
	s_mov_b32 s0, exec_lo
	s_wait_loadcnt_dscnt 0x706
	v_mul_f32_e32 v32, v26, v3
	v_dual_mul_f32 v3, v27, v3 :: v_dual_mul_f32 v180, v28, v5
	s_wait_loadcnt_dscnt 0x302
	v_dual_mul_f32 v181, v158, v7 :: v_dual_mul_f32 v188, v172, v21
	v_mul_f32_e32 v5, v29, v5
	s_delay_alu instid0(VALU_DEP_3) | instskip(SKIP_3) | instid1(VALU_DEP_3)
	v_fma_f32 v3, v26, v2, -v3
	s_wait_loadcnt_dscnt 0x100
	v_dual_mul_f32 v191, v178, v31 :: v_dual_fmac_f32 v32, v27, v2
	v_mul_f32_e32 v2, v159, v7
	v_dual_fmac_f32 v180, v29, v4 :: v_dual_add_f32 v3, 0, v3
	v_fma_f32 v4, v28, v4, -v5
	v_dual_mul_f32 v182, v160, v9 :: v_dual_mul_f32 v183, v162, v11
	s_delay_alu instid0(VALU_DEP_4) | instskip(SKIP_1) | instid1(VALU_DEP_4)
	v_fma_f32 v2, v158, v6, -v2
	v_dual_mul_f32 v184, v164, v13 :: v_dual_mul_f32 v185, v166, v15
	v_add_f32_e32 v3, v3, v4
	v_add_f32_e32 v5, 0, v32
	v_dual_fmac_f32 v182, v161, v8 :: v_dual_fmac_f32 v183, v163, v10
	s_delay_alu instid0(VALU_DEP_4) | instskip(NEXT) | instid1(VALU_DEP_4)
	v_fmac_f32_e32 v184, v165, v12
	v_dual_add_f32 v2, v3, v2 :: v_dual_mul_f32 v7, v161, v9
	s_delay_alu instid0(VALU_DEP_4) | instskip(SKIP_2) | instid1(VALU_DEP_4)
	v_dual_fmac_f32 v181, v159, v6 :: v_dual_add_f32 v4, v5, v180
	v_dual_mul_f32 v5, v163, v11 :: v_dual_mul_f32 v186, v168, v17
	v_mul_f32_e32 v187, v170, v19
	v_fma_f32 v6, v160, v8, -v7
	s_delay_alu instid0(VALU_DEP_4)
	v_add_f32_e32 v3, v4, v181
	v_mul_f32_e32 v4, v165, v13
	v_fma_f32 v5, v162, v10, -v5
	v_dual_fmac_f32 v185, v167, v14 :: v_dual_fmac_f32 v186, v169, v16
	v_add_f32_e32 v2, v2, v6
	v_mul_f32_e32 v6, v167, v15
	v_add_f32_e32 v3, v3, v182
	v_fma_f32 v4, v164, v12, -v4
	v_dual_mul_f32 v189, v174, v23 :: v_dual_mul_f32 v190, v176, v25
	s_delay_alu instid0(VALU_DEP_3) | instskip(SKIP_2) | instid1(VALU_DEP_3)
	v_dual_add_f32 v2, v2, v5 :: v_dual_add_f32 v3, v3, v183
	v_mul_f32_e32 v5, v169, v17
	v_fma_f32 v6, v166, v14, -v6
	v_dual_fmac_f32 v187, v171, v18 :: v_dual_add_f32 v2, v2, v4
	s_delay_alu instid0(VALU_DEP_4) | instskip(SKIP_3) | instid1(VALU_DEP_4)
	v_add_f32_e32 v3, v3, v184
	v_mul_f32_e32 v4, v171, v19
	v_fma_f32 v5, v168, v16, -v5
	v_fmac_f32_e32 v188, v173, v20
	v_dual_add_f32 v2, v2, v6 :: v_dual_add_f32 v3, v3, v185
	v_mul_f32_e32 v6, v173, v21
	v_fma_f32 v4, v170, v18, -v4
	v_dual_fmac_f32 v189, v175, v22 :: v_dual_fmac_f32 v190, v177, v24
	s_delay_alu instid0(VALU_DEP_4) | instskip(SKIP_2) | instid1(VALU_DEP_3)
	v_dual_add_f32 v2, v2, v5 :: v_dual_add_f32 v3, v3, v186
	v_mul_f32_e32 v5, v175, v23
	v_fma_f32 v6, v172, v20, -v6
	v_dual_fmac_f32 v191, v179, v30 :: v_dual_add_f32 v2, v2, v4
	s_delay_alu instid0(VALU_DEP_4) | instskip(NEXT) | instid1(VALU_DEP_4)
	v_dual_add_f32 v3, v3, v187 :: v_dual_mul_f32 v4, v177, v25
	v_fma_f32 v5, v174, v22, -v5
	s_delay_alu instid0(VALU_DEP_2) | instskip(SKIP_1) | instid1(VALU_DEP_4)
	v_dual_add_f32 v2, v2, v6 :: v_dual_add_f32 v3, v3, v188
	v_mul_f32_e32 v6, v179, v31
	v_fma_f32 v4, v176, v24, -v4
	s_delay_alu instid0(VALU_DEP_3) | instskip(NEXT) | instid1(VALU_DEP_4)
	v_add_f32_e32 v2, v2, v5
	v_add_f32_e32 v3, v3, v189
	s_delay_alu instid0(VALU_DEP_4) | instskip(NEXT) | instid1(VALU_DEP_2)
	v_fma_f32 v5, v178, v30, -v6
	v_dual_add_f32 v2, v2, v4 :: v_dual_add_f32 v3, v3, v190
	s_delay_alu instid0(VALU_DEP_1) | instskip(SKIP_1) | instid1(VALU_DEP_1)
	v_dual_add_f32 v2, v2, v5 :: v_dual_add_f32 v3, v3, v191
	s_wait_loadcnt 0x0
	v_dual_sub_f32 v2, v155, v2 :: v_dual_sub_f32 v3, v156, v3
	scratch_store_b64 off, v[2:3], off offset:376
	v_cmpx_lt_u32_e32 46, v0
	s_cbranch_execz .LBB124_287
; %bb.286:
	scratch_load_b64 v[3:4], off, off offset:368
	v_mov_b32_e32 v2, v1
	scratch_store_b64 off, v[1:2], off offset:368
	s_wait_loadcnt 0x0
	ds_store_b64 v157, v[3:4]
.LBB124_287:
	s_wait_alu 0xfffe
	s_or_b32 exec_lo, exec_lo, s0
	s_wait_storecnt_dscnt 0x0
	s_barrier_signal -1
	s_barrier_wait -1
	global_inv scope:SCOPE_SE
	s_clause 0x7
	scratch_load_b128 v[2:5], off, off offset:376
	scratch_load_b128 v[6:9], off, off offset:392
	;; [unrolled: 1-line block ×7, first 2 shown]
	scratch_load_b64 v[30:31], off, off offset:368
	ds_load_2addr_b64 v[158:161], v1 offset0:109 offset1:110
	ds_load_2addr_b64 v[162:165], v1 offset0:111 offset1:112
	;; [unrolled: 1-line block ×7, first 2 shown]
	s_mov_b32 s0, exec_lo
	s_wait_loadcnt_dscnt 0x706
	v_dual_mul_f32 v1, v158, v3 :: v_dual_mul_f32 v32, v160, v5
	v_mul_f32_e32 v3, v159, v3
	v_mul_f32_e32 v5, v161, v5
	s_wait_loadcnt_dscnt 0x605
	v_dual_mul_f32 v155, v162, v7 :: v_dual_mul_f32 v156, v164, v9
	v_fmac_f32_e32 v32, v161, v4
	v_fma_f32 v3, v158, v2, -v3
	s_wait_loadcnt_dscnt 0x504
	v_dual_mul_f32 v186, v166, v11 :: v_dual_mul_f32 v187, v168, v13
	v_dual_fmac_f32 v1, v159, v2 :: v_dual_fmac_f32 v156, v165, v8
	v_mul_f32_e32 v2, v163, v7
	v_fma_f32 v4, v160, v4, -v5
	s_delay_alu instid0(VALU_DEP_4) | instskip(NEXT) | instid1(VALU_DEP_4)
	v_dual_add_f32 v3, 0, v3 :: v_dual_fmac_f32 v186, v167, v10
	v_add_f32_e32 v1, 0, v1
	s_delay_alu instid0(VALU_DEP_4) | instskip(SKIP_4) | instid1(VALU_DEP_3)
	v_fma_f32 v2, v162, v6, -v2
	s_wait_loadcnt_dscnt 0x403
	v_dual_mul_f32 v188, v170, v15 :: v_dual_mul_f32 v189, v172, v17
	v_add_f32_e32 v3, v3, v4
	v_dual_mul_f32 v5, v165, v9 :: v_dual_mul_f32 v4, v167, v11
	v_dual_add_f32 v1, v1, v32 :: v_dual_fmac_f32 v188, v171, v14
	s_delay_alu instid0(VALU_DEP_3) | instskip(NEXT) | instid1(VALU_DEP_3)
	v_add_f32_e32 v2, v3, v2
	v_fma_f32 v5, v164, v8, -v5
	v_fmac_f32_e32 v155, v163, v6
	v_fma_f32 v4, v166, v10, -v4
	s_wait_loadcnt_dscnt 0x302
	v_dual_mul_f32 v190, v174, v19 :: v_dual_mul_f32 v191, v176, v21
	s_delay_alu instid0(VALU_DEP_3) | instskip(NEXT) | instid1(VALU_DEP_2)
	v_dual_add_f32 v2, v2, v5 :: v_dual_add_f32 v1, v1, v155
	v_dual_mul_f32 v3, v169, v13 :: v_dual_fmac_f32 v190, v175, v18
	s_wait_loadcnt_dscnt 0x201
	v_dual_mul_f32 v192, v178, v23 :: v_dual_mul_f32 v193, v180, v25
	s_delay_alu instid0(VALU_DEP_3)
	v_add_f32_e32 v2, v2, v4
	v_mul_f32_e32 v4, v173, v17
	v_fma_f32 v3, v168, v12, -v3
	s_wait_loadcnt_dscnt 0x100
	v_dual_add_f32 v1, v1, v156 :: v_dual_mul_f32 v194, v182, v27
	v_mul_f32_e32 v195, v184, v29
	v_fma_f32 v4, v172, v16, -v4
	v_mul_f32_e32 v5, v171, v15
	s_delay_alu instid0(VALU_DEP_4) | instskip(SKIP_1) | instid1(VALU_DEP_3)
	v_dual_add_f32 v2, v2, v3 :: v_dual_add_f32 v1, v1, v186
	v_dual_fmac_f32 v192, v179, v22 :: v_dual_fmac_f32 v193, v181, v24
	v_fma_f32 v5, v170, v14, -v5
	v_dual_fmac_f32 v187, v169, v12 :: v_dual_fmac_f32 v194, v183, v26
	s_delay_alu instid0(VALU_DEP_2) | instskip(NEXT) | instid1(VALU_DEP_1)
	v_dual_fmac_f32 v195, v185, v28 :: v_dual_add_f32 v2, v2, v5
	v_add_f32_e32 v2, v2, v4
	v_mul_f32_e32 v4, v179, v23
	s_delay_alu instid0(VALU_DEP_4) | instskip(NEXT) | instid1(VALU_DEP_2)
	v_add_f32_e32 v1, v1, v187
	v_fma_f32 v4, v178, v22, -v4
	v_mul_f32_e32 v5, v177, v21
	s_delay_alu instid0(VALU_DEP_3) | instskip(NEXT) | instid1(VALU_DEP_2)
	v_add_f32_e32 v1, v1, v188
	v_fma_f32 v5, v176, v20, -v5
	v_mul_f32_e32 v3, v175, v19
	s_delay_alu instid0(VALU_DEP_1) | instskip(NEXT) | instid1(VALU_DEP_1)
	v_fma_f32 v3, v174, v18, -v3
	v_dual_fmac_f32 v189, v173, v16 :: v_dual_add_f32 v2, v2, v3
	v_mul_f32_e32 v3, v181, v25
	s_delay_alu instid0(VALU_DEP_2) | instskip(NEXT) | instid1(VALU_DEP_2)
	v_dual_add_f32 v2, v2, v5 :: v_dual_mul_f32 v5, v183, v27
	v_fma_f32 v3, v180, v24, -v3
	s_delay_alu instid0(VALU_DEP_2) | instskip(SKIP_1) | instid1(VALU_DEP_4)
	v_dual_add_f32 v2, v2, v4 :: v_dual_add_f32 v1, v1, v189
	v_mul_f32_e32 v4, v185, v29
	v_fma_f32 v5, v182, v26, -v5
	s_delay_alu instid0(VALU_DEP_3) | instskip(NEXT) | instid1(VALU_DEP_3)
	v_dual_add_f32 v2, v2, v3 :: v_dual_fmac_f32 v191, v177, v20
	v_fma_f32 v3, v184, v28, -v4
	s_delay_alu instid0(VALU_DEP_2) | instskip(NEXT) | instid1(VALU_DEP_1)
	v_dual_add_f32 v2, v2, v5 :: v_dual_add_f32 v1, v1, v190
	v_add_f32_e32 v2, v2, v3
	s_delay_alu instid0(VALU_DEP_2) | instskip(NEXT) | instid1(VALU_DEP_1)
	v_add_f32_e32 v1, v1, v191
	v_add_f32_e32 v1, v1, v192
	s_delay_alu instid0(VALU_DEP_1) | instskip(NEXT) | instid1(VALU_DEP_1)
	v_add_f32_e32 v1, v1, v193
	v_add_f32_e32 v1, v1, v194
	s_delay_alu instid0(VALU_DEP_1) | instskip(SKIP_1) | instid1(VALU_DEP_1)
	v_add_f32_e32 v3, v1, v195
	s_wait_loadcnt 0x0
	v_dual_sub_f32 v1, v30, v2 :: v_dual_sub_f32 v2, v31, v3
	scratch_store_b64 off, v[1:2], off offset:368
	v_cmpx_lt_u32_e32 45, v0
	s_cbranch_execz .LBB124_289
; %bb.288:
	scratch_load_b64 v[1:2], off, off offset:360
	v_mov_b32_e32 v3, 0
	s_delay_alu instid0(VALU_DEP_1)
	v_mov_b32_e32 v4, v3
	scratch_store_b64 off, v[3:4], off offset:360
	s_wait_loadcnt 0x0
	ds_store_b64 v157, v[1:2]
.LBB124_289:
	s_wait_alu 0xfffe
	s_or_b32 exec_lo, exec_lo, s0
	s_wait_storecnt_dscnt 0x0
	s_barrier_signal -1
	s_barrier_wait -1
	global_inv scope:SCOPE_SE
	s_clause 0x8
	scratch_load_b128 v[2:5], off, off offset:368
	scratch_load_b128 v[6:9], off, off offset:384
	;; [unrolled: 1-line block ×7, first 2 shown]
	scratch_load_b64 v[30:31], off, off offset:480
	scratch_load_b64 v[155:156], off, off offset:360
	v_mov_b32_e32 v1, 0
	ds_load_b128 v[158:161], v1 offset:864
	ds_load_b128 v[162:165], v1 offset:880
	;; [unrolled: 1-line block ×7, first 2 shown]
	ds_load_b64 v[186:187], v1 offset:976
	s_mov_b32 s0, exec_lo
	s_wait_loadcnt_dscnt 0x807
	v_mul_f32_e32 v32, v158, v3
	v_dual_mul_f32 v3, v159, v3 :: v_dual_mul_f32 v188, v160, v5
	s_wait_loadcnt_dscnt 0x706
	v_mul_f32_e32 v189, v162, v7
	v_mul_f32_e32 v5, v161, v5
	s_wait_loadcnt_dscnt 0x302
	v_mul_f32_e32 v198, v180, v25
	v_fma_f32 v3, v158, v2, -v3
	s_wait_loadcnt_dscnt 0x100
	v_dual_mul_f32 v201, v186, v31 :: v_dual_fmac_f32 v32, v159, v2
	v_mul_f32_e32 v2, v163, v7
	s_delay_alu instid0(VALU_DEP_3) | instskip(SKIP_2) | instid1(VALU_DEP_4)
	v_dual_fmac_f32 v188, v161, v4 :: v_dual_add_f32 v3, 0, v3
	v_fma_f32 v4, v160, v4, -v5
	v_dual_mul_f32 v190, v164, v9 :: v_dual_mul_f32 v191, v166, v11
	v_fma_f32 v2, v162, v6, -v2
	v_dual_mul_f32 v192, v168, v13 :: v_dual_mul_f32 v193, v170, v15
	s_delay_alu instid0(VALU_DEP_4) | instskip(SKIP_1) | instid1(VALU_DEP_3)
	v_add_f32_e32 v3, v3, v4
	v_add_f32_e32 v5, 0, v32
	v_dual_fmac_f32 v191, v167, v10 :: v_dual_fmac_f32 v192, v169, v12
	v_fmac_f32_e32 v190, v165, v8
	s_delay_alu instid0(VALU_DEP_4) | instskip(NEXT) | instid1(VALU_DEP_4)
	v_dual_add_f32 v2, v3, v2 :: v_dual_mul_f32 v7, v165, v9
	v_dual_fmac_f32 v189, v163, v6 :: v_dual_add_f32 v4, v5, v188
	v_dual_mul_f32 v5, v167, v11 :: v_dual_mul_f32 v194, v172, v17
	v_mul_f32_e32 v195, v174, v19
	s_delay_alu instid0(VALU_DEP_4) | instskip(NEXT) | instid1(VALU_DEP_4)
	v_fma_f32 v6, v164, v8, -v7
	v_add_f32_e32 v3, v4, v189
	v_mul_f32_e32 v4, v169, v13
	v_fma_f32 v5, v166, v10, -v5
	v_dual_fmac_f32 v193, v171, v14 :: v_dual_fmac_f32 v194, v173, v16
	v_add_f32_e32 v2, v2, v6
	v_mul_f32_e32 v6, v171, v15
	v_add_f32_e32 v3, v3, v190
	v_fma_f32 v4, v168, v12, -v4
	v_dual_mul_f32 v196, v176, v21 :: v_dual_mul_f32 v197, v178, v23
	s_delay_alu instid0(VALU_DEP_3) | instskip(SKIP_2) | instid1(VALU_DEP_3)
	v_dual_add_f32 v2, v2, v5 :: v_dual_add_f32 v3, v3, v191
	v_mul_f32_e32 v5, v173, v17
	v_fma_f32 v6, v170, v14, -v6
	v_dual_fmac_f32 v195, v175, v18 :: v_dual_add_f32 v2, v2, v4
	s_delay_alu instid0(VALU_DEP_4) | instskip(SKIP_3) | instid1(VALU_DEP_4)
	v_add_f32_e32 v3, v3, v192
	v_mul_f32_e32 v4, v175, v19
	v_fma_f32 v5, v172, v16, -v5
	v_fmac_f32_e32 v196, v177, v20
	v_dual_add_f32 v2, v2, v6 :: v_dual_add_f32 v3, v3, v193
	v_mul_f32_e32 v6, v177, v21
	v_fma_f32 v4, v174, v18, -v4
	v_dual_mul_f32 v199, v182, v27 :: v_dual_mul_f32 v200, v184, v29
	s_delay_alu instid0(VALU_DEP_4) | instskip(SKIP_3) | instid1(VALU_DEP_4)
	v_dual_add_f32 v2, v2, v5 :: v_dual_add_f32 v3, v3, v194
	v_mul_f32_e32 v5, v179, v23
	v_fma_f32 v6, v176, v20, -v6
	v_dual_fmac_f32 v197, v179, v22 :: v_dual_fmac_f32 v198, v181, v24
	v_dual_add_f32 v2, v2, v4 :: v_dual_add_f32 v3, v3, v195
	v_mul_f32_e32 v4, v181, v25
	v_fma_f32 v5, v178, v22, -v5
	v_fmac_f32_e32 v199, v183, v26
	s_delay_alu instid0(VALU_DEP_4) | instskip(SKIP_3) | instid1(VALU_DEP_4)
	v_dual_add_f32 v2, v2, v6 :: v_dual_add_f32 v3, v3, v196
	v_mul_f32_e32 v6, v183, v27
	v_fma_f32 v4, v180, v24, -v4
	v_fmac_f32_e32 v200, v185, v28
	v_add_f32_e32 v2, v2, v5
	v_add_f32_e32 v3, v3, v197
	v_mul_f32_e32 v5, v185, v29
	v_fma_f32 v6, v182, v26, -v6
	s_delay_alu instid0(VALU_DEP_3) | instskip(SKIP_1) | instid1(VALU_DEP_4)
	v_dual_add_f32 v2, v2, v4 :: v_dual_add_f32 v3, v3, v198
	v_mul_f32_e32 v4, v187, v31
	v_fma_f32 v5, v184, v28, -v5
	s_delay_alu instid0(VALU_DEP_3) | instskip(SKIP_1) | instid1(VALU_DEP_4)
	v_dual_add_f32 v2, v2, v6 :: v_dual_add_f32 v3, v3, v199
	v_fmac_f32_e32 v201, v187, v30
	v_fma_f32 v4, v186, v30, -v4
	s_delay_alu instid0(VALU_DEP_3) | instskip(NEXT) | instid1(VALU_DEP_1)
	v_dual_add_f32 v2, v2, v5 :: v_dual_add_f32 v3, v3, v200
	v_dual_add_f32 v2, v2, v4 :: v_dual_add_f32 v3, v3, v201
	s_wait_loadcnt 0x0
	s_delay_alu instid0(VALU_DEP_1)
	v_dual_sub_f32 v2, v155, v2 :: v_dual_sub_f32 v3, v156, v3
	scratch_store_b64 off, v[2:3], off offset:360
	v_cmpx_lt_u32_e32 44, v0
	s_cbranch_execz .LBB124_291
; %bb.290:
	scratch_load_b64 v[3:4], off, off offset:352
	v_mov_b32_e32 v2, v1
	scratch_store_b64 off, v[1:2], off offset:352
	s_wait_loadcnt 0x0
	ds_store_b64 v157, v[3:4]
.LBB124_291:
	s_wait_alu 0xfffe
	s_or_b32 exec_lo, exec_lo, s0
	s_wait_storecnt_dscnt 0x0
	s_barrier_signal -1
	s_barrier_wait -1
	global_inv scope:SCOPE_SE
	s_clause 0x8
	scratch_load_b128 v[2:5], off, off offset:360
	scratch_load_b128 v[6:9], off, off offset:376
	;; [unrolled: 1-line block ×8, first 2 shown]
	scratch_load_b64 v[30:31], off, off offset:352
	ds_load_2addr_b64 v[162:165], v1 offset0:107 offset1:108
	ds_load_2addr_b64 v[166:169], v1 offset0:109 offset1:110
	;; [unrolled: 1-line block ×8, first 2 shown]
	s_mov_b32 s0, exec_lo
	s_wait_loadcnt_dscnt 0x807
	v_dual_mul_f32 v1, v162, v3 :: v_dual_mul_f32 v32, v164, v5
	v_mul_f32_e32 v3, v163, v3
	v_mul_f32_e32 v5, v165, v5
	s_wait_loadcnt_dscnt 0x706
	v_dual_mul_f32 v155, v166, v7 :: v_dual_mul_f32 v156, v168, v9
	v_fmac_f32_e32 v32, v165, v4
	v_fma_f32 v3, v162, v2, -v3
	s_wait_loadcnt_dscnt 0x605
	v_dual_mul_f32 v194, v170, v11 :: v_dual_mul_f32 v195, v172, v13
	v_dual_fmac_f32 v1, v163, v2 :: v_dual_fmac_f32 v156, v169, v8
	v_mul_f32_e32 v2, v167, v7
	v_fma_f32 v4, v164, v4, -v5
	s_delay_alu instid0(VALU_DEP_4) | instskip(NEXT) | instid1(VALU_DEP_4)
	v_dual_add_f32 v3, 0, v3 :: v_dual_fmac_f32 v194, v171, v10
	v_add_f32_e32 v1, 0, v1
	s_delay_alu instid0(VALU_DEP_4) | instskip(SKIP_4) | instid1(VALU_DEP_3)
	v_fma_f32 v2, v166, v6, -v2
	s_wait_loadcnt_dscnt 0x504
	v_dual_mul_f32 v196, v174, v15 :: v_dual_mul_f32 v197, v176, v17
	v_add_f32_e32 v3, v3, v4
	v_dual_mul_f32 v5, v169, v9 :: v_dual_mul_f32 v4, v171, v11
	v_dual_add_f32 v1, v1, v32 :: v_dual_fmac_f32 v196, v175, v14
	s_delay_alu instid0(VALU_DEP_3) | instskip(NEXT) | instid1(VALU_DEP_3)
	v_add_f32_e32 v2, v3, v2
	v_fma_f32 v5, v168, v8, -v5
	v_fmac_f32_e32 v155, v167, v6
	v_fma_f32 v4, v170, v10, -v4
	s_wait_loadcnt_dscnt 0x403
	v_dual_mul_f32 v198, v178, v19 :: v_dual_mul_f32 v199, v180, v21
	s_delay_alu instid0(VALU_DEP_3) | instskip(NEXT) | instid1(VALU_DEP_2)
	v_dual_add_f32 v2, v2, v5 :: v_dual_add_f32 v1, v1, v155
	v_dual_mul_f32 v3, v173, v13 :: v_dual_fmac_f32 v198, v179, v18
	s_wait_loadcnt_dscnt 0x302
	v_dual_mul_f32 v200, v182, v23 :: v_dual_mul_f32 v201, v184, v25
	s_delay_alu instid0(VALU_DEP_3)
	v_add_f32_e32 v2, v2, v4
	v_mul_f32_e32 v4, v177, v17
	v_fma_f32 v3, v172, v12, -v3
	s_wait_loadcnt_dscnt 0x100
	v_dual_add_f32 v1, v1, v156 :: v_dual_mul_f32 v204, v190, v159
	v_mul_f32_e32 v205, v192, v161
	v_fma_f32 v4, v176, v16, -v4
	v_mul_f32_e32 v5, v175, v15
	s_delay_alu instid0(VALU_DEP_4) | instskip(SKIP_1) | instid1(VALU_DEP_3)
	v_dual_add_f32 v2, v2, v3 :: v_dual_add_f32 v1, v1, v194
	v_dual_mul_f32 v202, v186, v27 :: v_dual_mul_f32 v203, v188, v29
	v_fma_f32 v5, v174, v14, -v5
	v_dual_fmac_f32 v195, v173, v12 :: v_dual_fmac_f32 v200, v183, v22
	s_delay_alu instid0(VALU_DEP_3) | instskip(NEXT) | instid1(VALU_DEP_3)
	v_dual_fmac_f32 v202, v187, v26 :: v_dual_fmac_f32 v203, v189, v28
	v_dual_add_f32 v2, v2, v5 :: v_dual_fmac_f32 v205, v193, v160
	v_fmac_f32_e32 v204, v191, v158
	s_delay_alu instid0(VALU_DEP_2) | instskip(SKIP_2) | instid1(VALU_DEP_2)
	v_add_f32_e32 v2, v2, v4
	v_mul_f32_e32 v4, v183, v23
	v_add_f32_e32 v1, v1, v195
	v_fma_f32 v4, v182, v22, -v4
	v_mul_f32_e32 v5, v181, v21
	s_delay_alu instid0(VALU_DEP_3) | instskip(NEXT) | instid1(VALU_DEP_2)
	v_add_f32_e32 v1, v1, v196
	v_fma_f32 v5, v180, v20, -v5
	v_mul_f32_e32 v3, v179, v19
	s_delay_alu instid0(VALU_DEP_1) | instskip(NEXT) | instid1(VALU_DEP_1)
	v_fma_f32 v3, v178, v18, -v3
	v_dual_fmac_f32 v197, v177, v16 :: v_dual_add_f32 v2, v2, v3
	v_mul_f32_e32 v3, v185, v25
	s_delay_alu instid0(VALU_DEP_2) | instskip(NEXT) | instid1(VALU_DEP_2)
	v_dual_add_f32 v2, v2, v5 :: v_dual_mul_f32 v5, v187, v27
	v_fma_f32 v3, v184, v24, -v3
	s_delay_alu instid0(VALU_DEP_2) | instskip(SKIP_1) | instid1(VALU_DEP_4)
	v_dual_add_f32 v2, v2, v4 :: v_dual_add_f32 v1, v1, v197
	v_mul_f32_e32 v4, v189, v29
	v_fma_f32 v5, v186, v26, -v5
	s_delay_alu instid0(VALU_DEP_3) | instskip(SKIP_1) | instid1(VALU_DEP_4)
	v_dual_add_f32 v2, v2, v3 :: v_dual_fmac_f32 v199, v181, v20
	v_mul_f32_e32 v3, v191, v159
	v_fma_f32 v4, v188, v28, -v4
	s_delay_alu instid0(VALU_DEP_3) | instskip(SKIP_1) | instid1(VALU_DEP_4)
	v_dual_add_f32 v2, v2, v5 :: v_dual_add_f32 v1, v1, v198
	v_mul_f32_e32 v5, v193, v161
	v_fma_f32 v3, v190, v158, -v3
	s_delay_alu instid0(VALU_DEP_3) | instskip(SKIP_1) | instid1(VALU_DEP_4)
	v_add_f32_e32 v2, v2, v4
	v_fmac_f32_e32 v201, v185, v24
	v_fma_f32 v4, v192, v160, -v5
	s_delay_alu instid0(VALU_DEP_3) | instskip(NEXT) | instid1(VALU_DEP_1)
	v_add_f32_e32 v2, v2, v3
	v_dual_add_f32 v1, v1, v199 :: v_dual_add_f32 v2, v2, v4
	s_delay_alu instid0(VALU_DEP_1) | instskip(NEXT) | instid1(VALU_DEP_1)
	v_add_f32_e32 v1, v1, v200
	v_add_f32_e32 v1, v1, v201
	s_delay_alu instid0(VALU_DEP_1) | instskip(NEXT) | instid1(VALU_DEP_1)
	v_add_f32_e32 v1, v1, v202
	v_add_f32_e32 v1, v1, v203
	;; [unrolled: 3-line block ×3, first 2 shown]
	s_wait_loadcnt 0x0
	s_delay_alu instid0(VALU_DEP_1)
	v_dual_sub_f32 v1, v30, v2 :: v_dual_sub_f32 v2, v31, v3
	scratch_store_b64 off, v[1:2], off offset:352
	v_cmpx_lt_u32_e32 43, v0
	s_cbranch_execz .LBB124_293
; %bb.292:
	scratch_load_b64 v[1:2], off, off offset:344
	v_mov_b32_e32 v3, 0
	s_delay_alu instid0(VALU_DEP_1)
	v_mov_b32_e32 v4, v3
	scratch_store_b64 off, v[3:4], off offset:344
	s_wait_loadcnt 0x0
	ds_store_b64 v157, v[1:2]
.LBB124_293:
	s_wait_alu 0xfffe
	s_or_b32 exec_lo, exec_lo, s0
	s_wait_storecnt_dscnt 0x0
	s_barrier_signal -1
	s_barrier_wait -1
	global_inv scope:SCOPE_SE
	s_clause 0x9
	scratch_load_b128 v[2:5], off, off offset:352
	scratch_load_b128 v[6:9], off, off offset:368
	;; [unrolled: 1-line block ×8, first 2 shown]
	scratch_load_b64 v[30:31], off, off offset:480
	scratch_load_b64 v[155:156], off, off offset:344
	v_mov_b32_e32 v1, 0
	ds_load_b128 v[162:165], v1 offset:848
	ds_load_b128 v[166:169], v1 offset:864
	;; [unrolled: 1-line block ×8, first 2 shown]
	ds_load_b64 v[194:195], v1 offset:976
	s_mov_b32 s0, exec_lo
	s_wait_loadcnt_dscnt 0x908
	v_mul_f32_e32 v32, v162, v3
	s_wait_loadcnt_dscnt 0x807
	v_dual_mul_f32 v196, v164, v5 :: v_dual_mul_f32 v197, v166, v7
	v_mul_f32_e32 v3, v163, v3
	s_delay_alu instid0(VALU_DEP_3)
	v_dual_mul_f32 v5, v165, v5 :: v_dual_fmac_f32 v32, v163, v2
	s_wait_loadcnt_dscnt 0x302
	v_mul_f32_e32 v208, v188, v29
	v_dual_mul_f32 v198, v168, v9 :: v_dual_mul_f32 v199, v170, v11
	v_fma_f32 v3, v162, v2, -v3
	s_wait_loadcnt_dscnt 0x100
	v_mul_f32_e32 v211, v194, v31
	v_mul_f32_e32 v2, v167, v7
	v_fmac_f32_e32 v196, v165, v4
	v_fma_f32 v4, v164, v4, -v5
	v_dual_add_f32 v3, 0, v3 :: v_dual_mul_f32 v200, v172, v13
	v_mul_f32_e32 v201, v174, v15
	v_fma_f32 v2, v166, v6, -v2
	v_fmac_f32_e32 v199, v171, v10
	s_delay_alu instid0(VALU_DEP_4)
	v_add_f32_e32 v3, v3, v4
	v_add_f32_e32 v5, 0, v32
	v_fmac_f32_e32 v200, v173, v12
	v_fmac_f32_e32 v198, v169, v8
	v_dual_mul_f32 v202, v176, v17 :: v_dual_mul_f32 v203, v178, v19
	v_dual_add_f32 v2, v3, v2 :: v_dual_mul_f32 v7, v169, v9
	v_dual_fmac_f32 v197, v167, v6 :: v_dual_add_f32 v4, v5, v196
	v_mul_f32_e32 v5, v171, v11
	s_delay_alu instid0(VALU_DEP_4) | instskip(NEXT) | instid1(VALU_DEP_4)
	v_dual_fmac_f32 v201, v175, v14 :: v_dual_fmac_f32 v202, v177, v16
	v_fma_f32 v6, v168, v8, -v7
	s_delay_alu instid0(VALU_DEP_4)
	v_add_f32_e32 v3, v4, v197
	v_mul_f32_e32 v4, v173, v13
	v_fma_f32 v5, v170, v10, -v5
	v_dual_mul_f32 v204, v180, v21 :: v_dual_mul_f32 v205, v182, v23
	v_add_f32_e32 v2, v2, v6
	v_mul_f32_e32 v6, v175, v15
	v_add_f32_e32 v3, v3, v198
	v_fma_f32 v4, v172, v12, -v4
	v_dual_mul_f32 v206, v184, v25 :: v_dual_mul_f32 v207, v186, v27
	s_delay_alu instid0(VALU_DEP_3) | instskip(SKIP_2) | instid1(VALU_DEP_3)
	v_dual_add_f32 v2, v2, v5 :: v_dual_add_f32 v3, v3, v199
	v_mul_f32_e32 v5, v177, v17
	v_fma_f32 v6, v174, v14, -v6
	v_dual_fmac_f32 v203, v179, v18 :: v_dual_add_f32 v2, v2, v4
	s_delay_alu instid0(VALU_DEP_4) | instskip(SKIP_3) | instid1(VALU_DEP_4)
	v_add_f32_e32 v3, v3, v200
	v_mul_f32_e32 v4, v179, v19
	v_fma_f32 v5, v176, v16, -v5
	v_fmac_f32_e32 v204, v181, v20
	v_dual_add_f32 v2, v2, v6 :: v_dual_add_f32 v3, v3, v201
	v_mul_f32_e32 v6, v181, v21
	v_fma_f32 v4, v178, v18, -v4
	v_dual_fmac_f32 v205, v183, v22 :: v_dual_fmac_f32 v206, v185, v24
	s_delay_alu instid0(VALU_DEP_4) | instskip(SKIP_3) | instid1(VALU_DEP_4)
	v_dual_add_f32 v2, v2, v5 :: v_dual_add_f32 v3, v3, v202
	v_mul_f32_e32 v5, v183, v23
	v_fma_f32 v6, v180, v20, -v6
	v_dual_mul_f32 v209, v190, v159 :: v_dual_mul_f32 v210, v192, v161
	v_dual_add_f32 v2, v2, v4 :: v_dual_add_f32 v3, v3, v203
	v_mul_f32_e32 v4, v185, v25
	v_fma_f32 v5, v182, v22, -v5
	v_fmac_f32_e32 v207, v187, v26
	s_delay_alu instid0(VALU_DEP_4) | instskip(SKIP_3) | instid1(VALU_DEP_4)
	v_dual_add_f32 v2, v2, v6 :: v_dual_add_f32 v3, v3, v204
	v_mul_f32_e32 v6, v187, v27
	v_fma_f32 v4, v184, v24, -v4
	v_fmac_f32_e32 v208, v189, v28
	v_add_f32_e32 v2, v2, v5
	v_add_f32_e32 v3, v3, v205
	v_mul_f32_e32 v5, v189, v29
	v_fma_f32 v6, v186, v26, -v6
	s_delay_alu instid0(VALU_DEP_4) | instskip(NEXT) | instid1(VALU_DEP_4)
	v_dual_fmac_f32 v209, v191, v158 :: v_dual_add_f32 v2, v2, v4
	v_add_f32_e32 v3, v3, v206
	v_mul_f32_e32 v4, v191, v159
	v_fma_f32 v5, v188, v28, -v5
	v_fmac_f32_e32 v210, v193, v160
	s_delay_alu instid0(VALU_DEP_4) | instskip(SKIP_2) | instid1(VALU_DEP_3)
	v_dual_add_f32 v2, v2, v6 :: v_dual_add_f32 v3, v3, v207
	v_mul_f32_e32 v6, v193, v161
	v_fma_f32 v4, v190, v158, -v4
	v_dual_add_f32 v2, v2, v5 :: v_dual_add_f32 v3, v3, v208
	v_mul_f32_e32 v5, v195, v31
	s_delay_alu instid0(VALU_DEP_4) | instskip(NEXT) | instid1(VALU_DEP_3)
	v_fma_f32 v6, v192, v160, -v6
	v_dual_add_f32 v2, v2, v4 :: v_dual_add_f32 v3, v3, v209
	s_delay_alu instid0(VALU_DEP_3) | instskip(NEXT) | instid1(VALU_DEP_2)
	v_fma_f32 v4, v194, v30, -v5
	v_add_f32_e32 v3, v3, v210
	s_delay_alu instid0(VALU_DEP_3) | instskip(NEXT) | instid1(VALU_DEP_1)
	v_add_f32_e32 v2, v2, v6
	v_dual_fmac_f32 v211, v195, v30 :: v_dual_add_f32 v2, v2, v4
	s_delay_alu instid0(VALU_DEP_1) | instskip(SKIP_1) | instid1(VALU_DEP_1)
	v_add_f32_e32 v3, v3, v211
	s_wait_loadcnt 0x0
	v_dual_sub_f32 v2, v155, v2 :: v_dual_sub_f32 v3, v156, v3
	scratch_store_b64 off, v[2:3], off offset:344
	v_cmpx_lt_u32_e32 42, v0
	s_cbranch_execz .LBB124_295
; %bb.294:
	scratch_load_b64 v[3:4], off, off offset:336
	v_mov_b32_e32 v2, v1
	scratch_store_b64 off, v[1:2], off offset:336
	s_wait_loadcnt 0x0
	ds_store_b64 v157, v[3:4]
.LBB124_295:
	s_wait_alu 0xfffe
	s_or_b32 exec_lo, exec_lo, s0
	s_wait_storecnt_dscnt 0x0
	s_barrier_signal -1
	s_barrier_wait -1
	global_inv scope:SCOPE_SE
	s_clause 0x9
	scratch_load_b128 v[2:5], off, off offset:344
	scratch_load_b128 v[6:9], off, off offset:360
	;; [unrolled: 1-line block ×9, first 2 shown]
	scratch_load_b64 v[30:31], off, off offset:336
	ds_load_2addr_b64 v[166:169], v1 offset0:105 offset1:106
	ds_load_2addr_b64 v[170:173], v1 offset0:107 offset1:108
	;; [unrolled: 1-line block ×9, first 2 shown]
	s_mov_b32 s0, exec_lo
	s_wait_loadcnt_dscnt 0x908
	v_dual_mul_f32 v1, v166, v3 :: v_dual_mul_f32 v32, v168, v5
	v_mul_f32_e32 v3, v167, v3
	v_mul_f32_e32 v5, v169, v5
	s_wait_loadcnt_dscnt 0x807
	v_dual_mul_f32 v155, v170, v7 :: v_dual_mul_f32 v156, v172, v9
	v_fmac_f32_e32 v32, v169, v4
	v_fma_f32 v3, v166, v2, -v3
	s_wait_loadcnt_dscnt 0x706
	v_dual_mul_f32 v202, v174, v11 :: v_dual_mul_f32 v203, v176, v13
	v_dual_fmac_f32 v1, v167, v2 :: v_dual_fmac_f32 v156, v173, v8
	v_mul_f32_e32 v2, v171, v7
	v_fma_f32 v4, v168, v4, -v5
	s_delay_alu instid0(VALU_DEP_4) | instskip(NEXT) | instid1(VALU_DEP_4)
	v_dual_add_f32 v3, 0, v3 :: v_dual_fmac_f32 v202, v175, v10
	v_add_f32_e32 v1, 0, v1
	s_delay_alu instid0(VALU_DEP_4) | instskip(SKIP_4) | instid1(VALU_DEP_3)
	v_fma_f32 v2, v170, v6, -v2
	s_wait_loadcnt_dscnt 0x605
	v_dual_mul_f32 v204, v178, v15 :: v_dual_mul_f32 v205, v180, v17
	v_add_f32_e32 v3, v3, v4
	v_dual_mul_f32 v5, v173, v9 :: v_dual_mul_f32 v4, v175, v11
	v_dual_add_f32 v1, v1, v32 :: v_dual_fmac_f32 v204, v179, v14
	s_delay_alu instid0(VALU_DEP_3) | instskip(NEXT) | instid1(VALU_DEP_3)
	v_add_f32_e32 v2, v3, v2
	v_fma_f32 v5, v172, v8, -v5
	v_fmac_f32_e32 v155, v171, v6
	v_fma_f32 v4, v174, v10, -v4
	s_wait_loadcnt_dscnt 0x504
	v_dual_mul_f32 v206, v182, v19 :: v_dual_mul_f32 v207, v184, v21
	s_delay_alu instid0(VALU_DEP_3) | instskip(NEXT) | instid1(VALU_DEP_2)
	v_dual_add_f32 v2, v2, v5 :: v_dual_add_f32 v1, v1, v155
	v_dual_mul_f32 v3, v177, v13 :: v_dual_fmac_f32 v206, v183, v18
	s_wait_loadcnt_dscnt 0x403
	v_dual_mul_f32 v208, v186, v23 :: v_dual_mul_f32 v209, v188, v25
	s_delay_alu instid0(VALU_DEP_3)
	v_add_f32_e32 v2, v2, v4
	v_mul_f32_e32 v4, v181, v17
	v_fma_f32 v3, v176, v12, -v3
	s_wait_loadcnt_dscnt 0x201
	v_dual_add_f32 v1, v1, v156 :: v_dual_mul_f32 v212, v194, v159
	v_mul_f32_e32 v213, v196, v161
	v_fma_f32 v4, v180, v16, -v4
	v_mul_f32_e32 v5, v179, v15
	s_delay_alu instid0(VALU_DEP_4) | instskip(SKIP_1) | instid1(VALU_DEP_3)
	v_dual_add_f32 v2, v2, v3 :: v_dual_add_f32 v1, v1, v202
	v_dual_mul_f32 v210, v190, v27 :: v_dual_mul_f32 v211, v192, v29
	v_fma_f32 v5, v178, v14, -v5
	v_dual_fmac_f32 v203, v177, v12 :: v_dual_fmac_f32 v208, v187, v22
	s_delay_alu instid0(VALU_DEP_3) | instskip(SKIP_4) | instid1(VALU_DEP_3)
	v_fmac_f32_e32 v210, v191, v26
	s_wait_loadcnt_dscnt 0x100
	v_dual_mul_f32 v214, v198, v163 :: v_dual_mul_f32 v215, v200, v165
	v_dual_add_f32 v2, v2, v5 :: v_dual_fmac_f32 v209, v189, v24
	v_dual_fmac_f32 v213, v197, v160 :: v_dual_fmac_f32 v212, v195, v158
	v_fmac_f32_e32 v215, v201, v164
	s_delay_alu instid0(VALU_DEP_3) | instskip(SKIP_2) | instid1(VALU_DEP_2)
	v_add_f32_e32 v2, v2, v4
	v_mul_f32_e32 v4, v187, v23
	v_dual_add_f32 v1, v1, v203 :: v_dual_fmac_f32 v214, v199, v162
	v_fma_f32 v4, v186, v22, -v4
	v_mul_f32_e32 v5, v185, v21
	s_delay_alu instid0(VALU_DEP_3) | instskip(NEXT) | instid1(VALU_DEP_2)
	v_add_f32_e32 v1, v1, v204
	v_fma_f32 v5, v184, v20, -v5
	v_mul_f32_e32 v3, v183, v19
	s_delay_alu instid0(VALU_DEP_1) | instskip(NEXT) | instid1(VALU_DEP_1)
	v_fma_f32 v3, v182, v18, -v3
	v_dual_fmac_f32 v205, v181, v16 :: v_dual_add_f32 v2, v2, v3
	v_mul_f32_e32 v3, v189, v25
	s_delay_alu instid0(VALU_DEP_2) | instskip(NEXT) | instid1(VALU_DEP_2)
	v_dual_add_f32 v2, v2, v5 :: v_dual_mul_f32 v5, v191, v27
	v_fma_f32 v3, v188, v24, -v3
	s_delay_alu instid0(VALU_DEP_2) | instskip(SKIP_1) | instid1(VALU_DEP_4)
	v_dual_add_f32 v2, v2, v4 :: v_dual_add_f32 v1, v1, v205
	v_mul_f32_e32 v4, v193, v29
	v_fma_f32 v5, v190, v26, -v5
	s_delay_alu instid0(VALU_DEP_3) | instskip(NEXT) | instid1(VALU_DEP_3)
	v_dual_add_f32 v2, v2, v3 :: v_dual_fmac_f32 v207, v185, v20
	v_fma_f32 v4, v192, v28, -v4
	s_delay_alu instid0(VALU_DEP_2) | instskip(SKIP_1) | instid1(VALU_DEP_2)
	v_add_f32_e32 v2, v2, v5
	v_mul_f32_e32 v5, v197, v161
	v_dual_add_f32 v1, v1, v206 :: v_dual_add_f32 v2, v2, v4
	s_delay_alu instid0(VALU_DEP_2) | instskip(SKIP_1) | instid1(VALU_DEP_3)
	v_fma_f32 v5, v196, v160, -v5
	v_mul_f32_e32 v3, v195, v159
	v_add_f32_e32 v1, v1, v207
	v_mul_f32_e32 v4, v199, v163
	s_delay_alu instid0(VALU_DEP_3) | instskip(NEXT) | instid1(VALU_DEP_3)
	v_fma_f32 v3, v194, v158, -v3
	v_add_f32_e32 v1, v1, v208
	s_delay_alu instid0(VALU_DEP_3) | instskip(NEXT) | instid1(VALU_DEP_3)
	v_fma_f32 v4, v198, v162, -v4
	v_dual_add_f32 v2, v2, v3 :: v_dual_mul_f32 v3, v201, v165
	s_delay_alu instid0(VALU_DEP_1) | instskip(NEXT) | instid1(VALU_DEP_4)
	v_add_f32_e32 v2, v2, v5
	v_add_f32_e32 v1, v1, v209
	s_delay_alu instid0(VALU_DEP_3) | instskip(NEXT) | instid1(VALU_DEP_3)
	v_fma_f32 v3, v200, v164, -v3
	v_add_f32_e32 v2, v2, v4
	v_fmac_f32_e32 v211, v193, v28
	s_delay_alu instid0(VALU_DEP_2) | instskip(NEXT) | instid1(VALU_DEP_1)
	v_dual_add_f32 v1, v1, v210 :: v_dual_add_f32 v2, v2, v3
	v_add_f32_e32 v1, v1, v211
	s_delay_alu instid0(VALU_DEP_1) | instskip(NEXT) | instid1(VALU_DEP_1)
	v_add_f32_e32 v1, v1, v212
	v_add_f32_e32 v1, v1, v213
	s_delay_alu instid0(VALU_DEP_1) | instskip(NEXT) | instid1(VALU_DEP_1)
	v_add_f32_e32 v1, v1, v214
	v_add_f32_e32 v3, v1, v215
	s_wait_loadcnt 0x0
	s_delay_alu instid0(VALU_DEP_1)
	v_dual_sub_f32 v1, v30, v2 :: v_dual_sub_f32 v2, v31, v3
	scratch_store_b64 off, v[1:2], off offset:336
	v_cmpx_lt_u32_e32 41, v0
	s_cbranch_execz .LBB124_297
; %bb.296:
	scratch_load_b64 v[1:2], off, off offset:328
	v_mov_b32_e32 v3, 0
	s_delay_alu instid0(VALU_DEP_1)
	v_mov_b32_e32 v4, v3
	scratch_store_b64 off, v[3:4], off offset:328
	s_wait_loadcnt 0x0
	ds_store_b64 v157, v[1:2]
.LBB124_297:
	s_wait_alu 0xfffe
	s_or_b32 exec_lo, exec_lo, s0
	s_wait_storecnt_dscnt 0x0
	s_barrier_signal -1
	s_barrier_wait -1
	global_inv scope:SCOPE_SE
	s_clause 0xa
	scratch_load_b128 v[2:5], off, off offset:336
	scratch_load_b128 v[6:9], off, off offset:352
	;; [unrolled: 1-line block ×9, first 2 shown]
	scratch_load_b64 v[30:31], off, off offset:480
	scratch_load_b64 v[155:156], off, off offset:328
	v_mov_b32_e32 v1, 0
	ds_load_b128 v[166:169], v1 offset:832
	ds_load_b128 v[170:173], v1 offset:848
	;; [unrolled: 1-line block ×9, first 2 shown]
	ds_load_b64 v[202:203], v1 offset:976
	s_mov_b32 s0, exec_lo
	s_wait_loadcnt_dscnt 0xa09
	v_mul_f32_e32 v32, v166, v3
	s_wait_loadcnt_dscnt 0x908
	v_dual_mul_f32 v204, v168, v5 :: v_dual_mul_f32 v205, v170, v7
	v_mul_f32_e32 v3, v167, v3
	s_delay_alu instid0(VALU_DEP_3)
	v_dual_mul_f32 v5, v169, v5 :: v_dual_fmac_f32 v32, v167, v2
	s_wait_loadcnt_dscnt 0x807
	v_dual_mul_f32 v206, v172, v9 :: v_dual_mul_f32 v207, v174, v11
	s_wait_loadcnt_dscnt 0x302
	v_mul_f32_e32 v218, v196, v161
	v_fma_f32 v3, v166, v2, -v3
	s_wait_loadcnt_dscnt 0x100
	v_mul_f32_e32 v221, v202, v31
	v_mul_f32_e32 v2, v171, v7
	v_fmac_f32_e32 v204, v169, v4
	v_fma_f32 v4, v168, v4, -v5
	v_dual_add_f32 v3, 0, v3 :: v_dual_mul_f32 v208, v176, v13
	v_mul_f32_e32 v209, v178, v15
	v_fma_f32 v2, v170, v6, -v2
	v_fmac_f32_e32 v207, v175, v10
	s_delay_alu instid0(VALU_DEP_4) | instskip(SKIP_3) | instid1(VALU_DEP_4)
	v_add_f32_e32 v3, v3, v4
	v_add_f32_e32 v5, 0, v32
	v_fmac_f32_e32 v208, v177, v12
	v_dual_mul_f32 v210, v180, v17 :: v_dual_mul_f32 v211, v182, v19
	v_dual_add_f32 v2, v3, v2 :: v_dual_mul_f32 v7, v173, v9
	s_delay_alu instid0(VALU_DEP_4) | instskip(SKIP_1) | instid1(VALU_DEP_3)
	v_dual_fmac_f32 v205, v171, v6 :: v_dual_add_f32 v4, v5, v204
	v_dual_mul_f32 v5, v175, v11 :: v_dual_fmac_f32 v206, v173, v8
	v_fma_f32 v6, v172, v8, -v7
	v_dual_fmac_f32 v209, v179, v14 :: v_dual_fmac_f32 v210, v181, v16
	s_delay_alu instid0(VALU_DEP_4)
	v_add_f32_e32 v3, v4, v205
	v_mul_f32_e32 v4, v177, v13
	v_fma_f32 v5, v174, v10, -v5
	v_add_f32_e32 v2, v2, v6
	v_mul_f32_e32 v6, v179, v15
	v_add_f32_e32 v3, v3, v206
	v_fma_f32 v4, v176, v12, -v4
	v_dual_mul_f32 v212, v184, v21 :: v_dual_mul_f32 v213, v186, v23
	s_delay_alu instid0(VALU_DEP_3) | instskip(SKIP_3) | instid1(VALU_DEP_4)
	v_dual_add_f32 v2, v2, v5 :: v_dual_add_f32 v3, v3, v207
	v_mul_f32_e32 v5, v181, v17
	v_fma_f32 v6, v178, v14, -v6
	v_dual_mul_f32 v214, v188, v25 :: v_dual_mul_f32 v215, v190, v27
	v_add_f32_e32 v2, v2, v4
	v_add_f32_e32 v3, v3, v208
	v_mul_f32_e32 v4, v183, v19
	v_fma_f32 v5, v180, v16, -v5
	v_fmac_f32_e32 v211, v183, v18
	s_delay_alu instid0(VALU_DEP_4) | instskip(SKIP_3) | instid1(VALU_DEP_4)
	v_dual_add_f32 v2, v2, v6 :: v_dual_add_f32 v3, v3, v209
	v_fmac_f32_e32 v212, v185, v20
	v_mul_f32_e32 v6, v185, v21
	v_fma_f32 v4, v182, v18, -v4
	v_dual_add_f32 v2, v2, v5 :: v_dual_add_f32 v3, v3, v210
	v_mul_f32_e32 v5, v187, v23
	s_delay_alu instid0(VALU_DEP_4) | instskip(SKIP_1) | instid1(VALU_DEP_4)
	v_fma_f32 v6, v184, v20, -v6
	v_dual_fmac_f32 v213, v187, v22 :: v_dual_fmac_f32 v214, v189, v24
	v_dual_add_f32 v2, v2, v4 :: v_dual_add_f32 v3, v3, v211
	v_mul_f32_e32 v4, v189, v25
	v_fma_f32 v5, v186, v22, -v5
	v_fmac_f32_e32 v215, v191, v26
	s_delay_alu instid0(VALU_DEP_4) | instskip(SKIP_3) | instid1(VALU_DEP_4)
	v_dual_add_f32 v2, v2, v6 :: v_dual_add_f32 v3, v3, v212
	v_mul_f32_e32 v6, v191, v27
	v_fma_f32 v4, v188, v24, -v4
	v_dual_mul_f32 v216, v192, v29 :: v_dual_mul_f32 v217, v194, v159
	v_add_f32_e32 v2, v2, v5
	v_add_f32_e32 v3, v3, v213
	v_mul_f32_e32 v5, v193, v29
	v_fma_f32 v6, v190, v26, -v6
	v_fmac_f32_e32 v216, v193, v28
	s_delay_alu instid0(VALU_DEP_4) | instskip(SKIP_3) | instid1(VALU_DEP_4)
	v_dual_add_f32 v2, v2, v4 :: v_dual_add_f32 v3, v3, v214
	v_mul_f32_e32 v4, v195, v159
	v_fma_f32 v5, v192, v28, -v5
	v_fmac_f32_e32 v217, v195, v158
	v_dual_add_f32 v2, v2, v6 :: v_dual_add_f32 v3, v3, v215
	v_mul_f32_e32 v6, v197, v161
	v_fma_f32 v4, v194, v158, -v4
	v_dual_mul_f32 v219, v198, v163 :: v_dual_mul_f32 v220, v200, v165
	s_delay_alu instid0(VALU_DEP_4) | instskip(SKIP_2) | instid1(VALU_DEP_3)
	v_dual_add_f32 v2, v2, v5 :: v_dual_add_f32 v3, v3, v216
	v_dual_mul_f32 v5, v199, v163 :: v_dual_fmac_f32 v218, v197, v160
	v_fma_f32 v6, v196, v160, -v6
	v_dual_add_f32 v2, v2, v4 :: v_dual_add_f32 v3, v3, v217
	v_dual_mul_f32 v4, v201, v165 :: v_dual_fmac_f32 v219, v199, v162
	s_delay_alu instid0(VALU_DEP_4) | instskip(NEXT) | instid1(VALU_DEP_3)
	v_fma_f32 v5, v198, v162, -v5
	v_dual_fmac_f32 v220, v201, v164 :: v_dual_add_f32 v3, v3, v218
	s_delay_alu instid0(VALU_DEP_4) | instskip(SKIP_3) | instid1(VALU_DEP_4)
	v_add_f32_e32 v2, v2, v6
	v_mul_f32_e32 v6, v203, v31
	v_fma_f32 v4, v200, v164, -v4
	v_fmac_f32_e32 v221, v203, v30
	v_dual_add_f32 v3, v3, v219 :: v_dual_add_f32 v2, v2, v5
	s_delay_alu instid0(VALU_DEP_4) | instskip(NEXT) | instid1(VALU_DEP_2)
	v_fma_f32 v5, v202, v30, -v6
	v_add_f32_e32 v3, v3, v220
	s_delay_alu instid0(VALU_DEP_1) | instskip(SKIP_1) | instid1(VALU_DEP_1)
	v_dual_add_f32 v2, v2, v4 :: v_dual_add_f32 v3, v3, v221
	s_wait_loadcnt 0x0
	v_dual_add_f32 v2, v2, v5 :: v_dual_sub_f32 v3, v156, v3
	s_delay_alu instid0(VALU_DEP_1)
	v_sub_f32_e32 v2, v155, v2
	scratch_store_b64 off, v[2:3], off offset:328
	v_cmpx_lt_u32_e32 40, v0
	s_cbranch_execz .LBB124_299
; %bb.298:
	scratch_load_b64 v[3:4], off, off offset:320
	v_mov_b32_e32 v2, v1
	scratch_store_b64 off, v[1:2], off offset:320
	s_wait_loadcnt 0x0
	ds_store_b64 v157, v[3:4]
.LBB124_299:
	s_wait_alu 0xfffe
	s_or_b32 exec_lo, exec_lo, s0
	s_wait_storecnt_dscnt 0x0
	s_barrier_signal -1
	s_barrier_wait -1
	global_inv scope:SCOPE_SE
	s_clause 0xa
	scratch_load_b128 v[2:5], off, off offset:328
	scratch_load_b128 v[6:9], off, off offset:344
	;; [unrolled: 1-line block ×10, first 2 shown]
	scratch_load_b64 v[30:31], off, off offset:320
	ds_load_2addr_b64 v[170:173], v1 offset0:103 offset1:104
	ds_load_2addr_b64 v[174:177], v1 offset0:105 offset1:106
	;; [unrolled: 1-line block ×10, first 2 shown]
	s_mov_b32 s0, exec_lo
	s_wait_loadcnt_dscnt 0xa09
	v_dual_mul_f32 v1, v170, v3 :: v_dual_mul_f32 v32, v172, v5
	v_mul_f32_e32 v3, v171, v3
	v_mul_f32_e32 v5, v173, v5
	s_wait_loadcnt_dscnt 0x908
	v_dual_mul_f32 v155, v174, v7 :: v_dual_mul_f32 v156, v176, v9
	v_fmac_f32_e32 v32, v173, v4
	v_fma_f32 v3, v170, v2, -v3
	s_wait_loadcnt_dscnt 0x807
	v_dual_mul_f32 v210, v178, v11 :: v_dual_mul_f32 v211, v180, v13
	v_dual_fmac_f32 v1, v171, v2 :: v_dual_fmac_f32 v156, v177, v8
	v_mul_f32_e32 v2, v175, v7
	v_fma_f32 v4, v172, v4, -v5
	s_delay_alu instid0(VALU_DEP_4) | instskip(NEXT) | instid1(VALU_DEP_4)
	v_dual_add_f32 v3, 0, v3 :: v_dual_fmac_f32 v210, v179, v10
	v_add_f32_e32 v1, 0, v1
	s_delay_alu instid0(VALU_DEP_4) | instskip(SKIP_4) | instid1(VALU_DEP_3)
	v_fma_f32 v2, v174, v6, -v2
	s_wait_loadcnt_dscnt 0x706
	v_dual_mul_f32 v212, v182, v15 :: v_dual_mul_f32 v213, v184, v17
	v_add_f32_e32 v3, v3, v4
	v_dual_mul_f32 v5, v177, v9 :: v_dual_mul_f32 v4, v179, v11
	v_dual_add_f32 v1, v1, v32 :: v_dual_fmac_f32 v212, v183, v14
	s_delay_alu instid0(VALU_DEP_3) | instskip(NEXT) | instid1(VALU_DEP_3)
	v_add_f32_e32 v2, v3, v2
	v_fma_f32 v5, v176, v8, -v5
	v_fmac_f32_e32 v155, v175, v6
	v_fma_f32 v4, v178, v10, -v4
	s_wait_loadcnt_dscnt 0x605
	v_dual_mul_f32 v214, v186, v19 :: v_dual_mul_f32 v215, v188, v21
	s_delay_alu instid0(VALU_DEP_3) | instskip(NEXT) | instid1(VALU_DEP_2)
	v_dual_add_f32 v2, v2, v5 :: v_dual_add_f32 v1, v1, v155
	v_dual_mul_f32 v3, v181, v13 :: v_dual_fmac_f32 v214, v187, v18
	s_wait_loadcnt_dscnt 0x504
	v_dual_mul_f32 v216, v190, v23 :: v_dual_mul_f32 v217, v192, v25
	s_delay_alu instid0(VALU_DEP_3)
	v_add_f32_e32 v2, v2, v4
	v_mul_f32_e32 v4, v185, v17
	v_fma_f32 v3, v180, v12, -v3
	s_wait_loadcnt_dscnt 0x302
	v_dual_add_f32 v1, v1, v156 :: v_dual_mul_f32 v220, v198, v159
	v_mul_f32_e32 v221, v200, v161
	v_fma_f32 v4, v184, v16, -v4
	v_mul_f32_e32 v5, v183, v15
	s_delay_alu instid0(VALU_DEP_4) | instskip(SKIP_1) | instid1(VALU_DEP_3)
	v_dual_add_f32 v2, v2, v3 :: v_dual_add_f32 v1, v1, v210
	v_dual_mul_f32 v218, v194, v27 :: v_dual_mul_f32 v219, v196, v29
	v_fma_f32 v5, v182, v14, -v5
	v_dual_fmac_f32 v211, v181, v12 :: v_dual_fmac_f32 v216, v191, v22
	s_delay_alu instid0(VALU_DEP_3)
	v_fmac_f32_e32 v218, v195, v26
	s_wait_loadcnt_dscnt 0x201
	v_dual_mul_f32 v222, v202, v163 :: v_dual_mul_f32 v223, v204, v165
	v_dual_add_f32 v2, v2, v5 :: v_dual_fmac_f32 v217, v193, v24
	s_wait_loadcnt_dscnt 0x100
	v_dual_mul_f32 v224, v206, v167 :: v_dual_mul_f32 v225, v208, v169
	v_fmac_f32_e32 v219, v197, v28
	s_delay_alu instid0(VALU_DEP_3) | instskip(SKIP_1) | instid1(VALU_DEP_4)
	v_add_f32_e32 v2, v2, v4
	v_mul_f32_e32 v4, v191, v23
	v_dual_add_f32 v1, v1, v211 :: v_dual_fmac_f32 v224, v207, v166
	v_fmac_f32_e32 v221, v201, v160
	v_fmac_f32_e32 v223, v205, v164
	s_delay_alu instid0(VALU_DEP_4) | instskip(SKIP_3) | instid1(VALU_DEP_3)
	v_fma_f32 v4, v190, v22, -v4
	v_mul_f32_e32 v5, v189, v21
	v_dual_add_f32 v1, v1, v212 :: v_dual_fmac_f32 v220, v199, v158
	v_dual_fmac_f32 v225, v209, v168 :: v_dual_fmac_f32 v222, v203, v162
	v_fma_f32 v5, v188, v20, -v5
	v_mul_f32_e32 v3, v187, v19
	s_delay_alu instid0(VALU_DEP_1) | instskip(NEXT) | instid1(VALU_DEP_1)
	v_fma_f32 v3, v186, v18, -v3
	v_dual_fmac_f32 v213, v185, v16 :: v_dual_add_f32 v2, v2, v3
	v_mul_f32_e32 v3, v193, v25
	s_delay_alu instid0(VALU_DEP_2) | instskip(NEXT) | instid1(VALU_DEP_2)
	v_dual_add_f32 v2, v2, v5 :: v_dual_mul_f32 v5, v195, v27
	v_fma_f32 v3, v192, v24, -v3
	s_delay_alu instid0(VALU_DEP_2) | instskip(SKIP_1) | instid1(VALU_DEP_4)
	v_dual_add_f32 v2, v2, v4 :: v_dual_add_f32 v1, v1, v213
	v_mul_f32_e32 v4, v197, v29
	v_fma_f32 v5, v194, v26, -v5
	s_delay_alu instid0(VALU_DEP_3) | instskip(NEXT) | instid1(VALU_DEP_3)
	v_dual_add_f32 v2, v2, v3 :: v_dual_fmac_f32 v215, v189, v20
	v_fma_f32 v4, v196, v28, -v4
	s_delay_alu instid0(VALU_DEP_2) | instskip(SKIP_1) | instid1(VALU_DEP_2)
	v_add_f32_e32 v2, v2, v5
	v_mul_f32_e32 v5, v201, v161
	v_dual_add_f32 v1, v1, v214 :: v_dual_add_f32 v2, v2, v4
	s_delay_alu instid0(VALU_DEP_2) | instskip(SKIP_1) | instid1(VALU_DEP_3)
	v_fma_f32 v5, v200, v160, -v5
	v_mul_f32_e32 v3, v199, v159
	v_add_f32_e32 v1, v1, v215
	v_mul_f32_e32 v4, v203, v163
	s_delay_alu instid0(VALU_DEP_3) | instskip(NEXT) | instid1(VALU_DEP_3)
	v_fma_f32 v3, v198, v158, -v3
	v_add_f32_e32 v1, v1, v216
	s_delay_alu instid0(VALU_DEP_3) | instskip(NEXT) | instid1(VALU_DEP_3)
	v_fma_f32 v4, v202, v162, -v4
	v_dual_add_f32 v2, v2, v3 :: v_dual_mul_f32 v3, v205, v165
	s_delay_alu instid0(VALU_DEP_1) | instskip(NEXT) | instid1(VALU_DEP_4)
	v_add_f32_e32 v2, v2, v5
	v_add_f32_e32 v1, v1, v217
	v_mul_f32_e32 v5, v207, v167
	s_delay_alu instid0(VALU_DEP_4) | instskip(NEXT) | instid1(VALU_DEP_3)
	v_fma_f32 v3, v204, v164, -v3
	v_dual_add_f32 v2, v2, v4 :: v_dual_add_f32 v1, v1, v218
	v_mul_f32_e32 v4, v209, v169
	s_delay_alu instid0(VALU_DEP_4) | instskip(NEXT) | instid1(VALU_DEP_3)
	v_fma_f32 v5, v206, v166, -v5
	v_add_f32_e32 v2, v2, v3
	s_delay_alu instid0(VALU_DEP_4) | instskip(NEXT) | instid1(VALU_DEP_4)
	v_add_f32_e32 v1, v1, v219
	v_fma_f32 v3, v208, v168, -v4
	s_delay_alu instid0(VALU_DEP_2) | instskip(NEXT) | instid1(VALU_DEP_1)
	v_dual_add_f32 v2, v2, v5 :: v_dual_add_f32 v1, v1, v220
	v_dual_add_f32 v2, v2, v3 :: v_dual_add_f32 v1, v1, v221
	s_delay_alu instid0(VALU_DEP_1) | instskip(NEXT) | instid1(VALU_DEP_1)
	v_add_f32_e32 v1, v1, v222
	v_add_f32_e32 v1, v1, v223
	s_delay_alu instid0(VALU_DEP_1) | instskip(NEXT) | instid1(VALU_DEP_1)
	v_add_f32_e32 v1, v1, v224
	v_add_f32_e32 v3, v1, v225
	s_wait_loadcnt 0x0
	s_delay_alu instid0(VALU_DEP_1)
	v_dual_sub_f32 v1, v30, v2 :: v_dual_sub_f32 v2, v31, v3
	scratch_store_b64 off, v[1:2], off offset:320
	v_cmpx_lt_u32_e32 39, v0
	s_cbranch_execz .LBB124_301
; %bb.300:
	scratch_load_b64 v[1:2], off, off offset:312
	v_mov_b32_e32 v3, 0
	s_delay_alu instid0(VALU_DEP_1)
	v_mov_b32_e32 v4, v3
	scratch_store_b64 off, v[3:4], off offset:312
	s_wait_loadcnt 0x0
	ds_store_b64 v157, v[1:2]
.LBB124_301:
	s_wait_alu 0xfffe
	s_or_b32 exec_lo, exec_lo, s0
	s_wait_storecnt_dscnt 0x0
	s_barrier_signal -1
	s_barrier_wait -1
	global_inv scope:SCOPE_SE
	s_clause 0xb
	scratch_load_b128 v[2:5], off, off offset:320
	scratch_load_b128 v[6:9], off, off offset:336
	;; [unrolled: 1-line block ×10, first 2 shown]
	scratch_load_b64 v[30:31], off, off offset:480
	scratch_load_b64 v[155:156], off, off offset:312
	v_mov_b32_e32 v1, 0
	ds_load_b128 v[170:173], v1 offset:816
	ds_load_b128 v[174:177], v1 offset:832
	;; [unrolled: 1-line block ×10, first 2 shown]
	ds_load_b64 v[210:211], v1 offset:976
	s_mov_b32 s0, exec_lo
	s_wait_loadcnt_dscnt 0xb0a
	v_mul_f32_e32 v32, v170, v3
	s_wait_loadcnt_dscnt 0xa09
	v_dual_mul_f32 v212, v172, v5 :: v_dual_mul_f32 v213, v174, v7
	v_mul_f32_e32 v5, v173, v5
	v_dual_mul_f32 v3, v171, v3 :: v_dual_mul_f32 v214, v176, v9
	s_wait_loadcnt_dscnt 0x908
	v_dual_mul_f32 v215, v178, v11 :: v_dual_fmac_f32 v32, v171, v2
	s_wait_loadcnt_dscnt 0x302
	v_mul_f32_e32 v228, v204, v165
	v_fma_f32 v3, v170, v2, -v3
	s_wait_loadcnt_dscnt 0x100
	v_mul_f32_e32 v231, v210, v31
	v_mul_f32_e32 v2, v175, v7
	v_fmac_f32_e32 v212, v173, v4
	v_fma_f32 v4, v172, v4, -v5
	v_dual_add_f32 v3, 0, v3 :: v_dual_mul_f32 v216, v180, v13
	v_mul_f32_e32 v217, v182, v15
	v_fma_f32 v2, v174, v6, -v2
	v_fmac_f32_e32 v215, v179, v10
	s_delay_alu instid0(VALU_DEP_4) | instskip(SKIP_3) | instid1(VALU_DEP_4)
	v_add_f32_e32 v3, v3, v4
	v_add_f32_e32 v5, 0, v32
	v_fmac_f32_e32 v216, v181, v12
	v_dual_mul_f32 v218, v184, v17 :: v_dual_mul_f32 v219, v186, v19
	v_dual_add_f32 v2, v3, v2 :: v_dual_mul_f32 v7, v177, v9
	s_delay_alu instid0(VALU_DEP_4) | instskip(SKIP_1) | instid1(VALU_DEP_3)
	v_dual_fmac_f32 v213, v175, v6 :: v_dual_add_f32 v4, v5, v212
	v_dual_mul_f32 v5, v179, v11 :: v_dual_fmac_f32 v214, v177, v8
	v_fma_f32 v6, v176, v8, -v7
	v_dual_fmac_f32 v217, v183, v14 :: v_dual_fmac_f32 v218, v185, v16
	s_delay_alu instid0(VALU_DEP_4)
	v_add_f32_e32 v3, v4, v213
	v_mul_f32_e32 v4, v181, v13
	v_fma_f32 v5, v178, v10, -v5
	v_add_f32_e32 v2, v2, v6
	v_mul_f32_e32 v6, v183, v15
	v_add_f32_e32 v3, v3, v214
	v_fma_f32 v4, v180, v12, -v4
	v_dual_mul_f32 v220, v188, v21 :: v_dual_mul_f32 v221, v190, v23
	s_delay_alu instid0(VALU_DEP_3) | instskip(SKIP_3) | instid1(VALU_DEP_4)
	v_dual_add_f32 v2, v2, v5 :: v_dual_add_f32 v3, v3, v215
	v_mul_f32_e32 v5, v185, v17
	v_fma_f32 v6, v182, v14, -v6
	v_dual_mul_f32 v222, v192, v25 :: v_dual_mul_f32 v223, v194, v27
	v_add_f32_e32 v2, v2, v4
	v_add_f32_e32 v3, v3, v216
	v_mul_f32_e32 v4, v187, v19
	v_fma_f32 v5, v184, v16, -v5
	v_fmac_f32_e32 v219, v187, v18
	s_delay_alu instid0(VALU_DEP_4) | instskip(SKIP_3) | instid1(VALU_DEP_4)
	v_dual_add_f32 v2, v2, v6 :: v_dual_add_f32 v3, v3, v217
	v_fmac_f32_e32 v220, v189, v20
	v_mul_f32_e32 v6, v189, v21
	v_fma_f32 v4, v186, v18, -v4
	v_dual_add_f32 v2, v2, v5 :: v_dual_add_f32 v3, v3, v218
	v_mul_f32_e32 v5, v191, v23
	s_delay_alu instid0(VALU_DEP_4) | instskip(SKIP_1) | instid1(VALU_DEP_4)
	v_fma_f32 v6, v188, v20, -v6
	v_dual_fmac_f32 v221, v191, v22 :: v_dual_fmac_f32 v222, v193, v24
	v_dual_add_f32 v2, v2, v4 :: v_dual_add_f32 v3, v3, v219
	v_mul_f32_e32 v4, v193, v25
	v_fma_f32 v5, v190, v22, -v5
	v_dual_mul_f32 v224, v196, v29 :: v_dual_mul_f32 v225, v198, v159
	s_delay_alu instid0(VALU_DEP_4) | instskip(SKIP_2) | instid1(VALU_DEP_3)
	v_dual_add_f32 v2, v2, v6 :: v_dual_add_f32 v3, v3, v220
	v_mul_f32_e32 v6, v195, v27
	v_fma_f32 v4, v192, v24, -v4
	v_dual_fmac_f32 v223, v195, v26 :: v_dual_add_f32 v2, v2, v5
	s_delay_alu instid0(VALU_DEP_4) | instskip(SKIP_3) | instid1(VALU_DEP_4)
	v_add_f32_e32 v3, v3, v221
	v_mul_f32_e32 v5, v197, v29
	v_fma_f32 v6, v194, v26, -v6
	v_fmac_f32_e32 v224, v197, v28
	v_dual_add_f32 v2, v2, v4 :: v_dual_add_f32 v3, v3, v222
	v_mul_f32_e32 v4, v199, v159
	v_fma_f32 v5, v196, v28, -v5
	v_dual_mul_f32 v226, v200, v161 :: v_dual_mul_f32 v227, v202, v163
	s_delay_alu instid0(VALU_DEP_4) | instskip(SKIP_2) | instid1(VALU_DEP_3)
	v_dual_add_f32 v2, v2, v6 :: v_dual_add_f32 v3, v3, v223
	v_dual_mul_f32 v6, v201, v161 :: v_dual_fmac_f32 v225, v199, v158
	v_fma_f32 v4, v198, v158, -v4
	v_dual_add_f32 v2, v2, v5 :: v_dual_add_f32 v3, v3, v224
	v_dual_mul_f32 v5, v203, v163 :: v_dual_fmac_f32 v226, v201, v160
	s_delay_alu instid0(VALU_DEP_4) | instskip(NEXT) | instid1(VALU_DEP_3)
	v_fma_f32 v6, v200, v160, -v6
	v_dual_add_f32 v2, v2, v4 :: v_dual_add_f32 v3, v3, v225
	v_dual_mul_f32 v4, v205, v165 :: v_dual_fmac_f32 v227, v203, v162
	s_delay_alu instid0(VALU_DEP_4) | instskip(NEXT) | instid1(VALU_DEP_3)
	v_fma_f32 v5, v202, v162, -v5
	v_dual_fmac_f32 v228, v205, v164 :: v_dual_add_f32 v3, v3, v226
	s_delay_alu instid0(VALU_DEP_4) | instskip(SKIP_3) | instid1(VALU_DEP_4)
	v_add_f32_e32 v2, v2, v6
	v_dual_mul_f32 v229, v206, v167 :: v_dual_mul_f32 v230, v208, v169
	v_mul_f32_e32 v6, v207, v167
	v_fma_f32 v4, v204, v164, -v4
	v_dual_add_f32 v3, v3, v227 :: v_dual_add_f32 v2, v2, v5
	s_delay_alu instid0(VALU_DEP_4) | instskip(SKIP_2) | instid1(VALU_DEP_4)
	v_fmac_f32_e32 v229, v207, v166
	v_mul_f32_e32 v5, v209, v169
	v_fma_f32 v6, v206, v166, -v6
	v_add_f32_e32 v3, v3, v228
	v_add_f32_e32 v2, v2, v4
	v_mul_f32_e32 v4, v211, v31
	v_dual_fmac_f32 v230, v209, v168 :: v_dual_fmac_f32 v231, v211, v30
	v_fma_f32 v5, v208, v168, -v5
	s_delay_alu instid0(VALU_DEP_4) | instskip(NEXT) | instid1(VALU_DEP_4)
	v_dual_add_f32 v3, v3, v229 :: v_dual_add_f32 v2, v2, v6
	v_fma_f32 v4, v210, v30, -v4
	s_delay_alu instid0(VALU_DEP_2) | instskip(NEXT) | instid1(VALU_DEP_1)
	v_dual_add_f32 v3, v3, v230 :: v_dual_add_f32 v2, v2, v5
	v_dual_add_f32 v3, v3, v231 :: v_dual_add_f32 v2, v2, v4
	s_wait_loadcnt 0x0
	s_delay_alu instid0(VALU_DEP_1)
	v_dual_sub_f32 v3, v156, v3 :: v_dual_sub_f32 v2, v155, v2
	scratch_store_b64 off, v[2:3], off offset:312
	v_cmpx_lt_u32_e32 38, v0
	s_cbranch_execz .LBB124_303
; %bb.302:
	scratch_load_b64 v[3:4], off, off offset:304
	v_mov_b32_e32 v2, v1
	scratch_store_b64 off, v[1:2], off offset:304
	s_wait_loadcnt 0x0
	ds_store_b64 v157, v[3:4]
.LBB124_303:
	s_wait_alu 0xfffe
	s_or_b32 exec_lo, exec_lo, s0
	s_wait_storecnt_dscnt 0x0
	s_barrier_signal -1
	s_barrier_wait -1
	global_inv scope:SCOPE_SE
	s_clause 0xb
	scratch_load_b128 v[2:5], off, off offset:312
	scratch_load_b128 v[6:9], off, off offset:328
	;; [unrolled: 1-line block ×11, first 2 shown]
	scratch_load_b64 v[30:31], off, off offset:304
	ds_load_2addr_b64 v[174:177], v1 offset0:101 offset1:102
	ds_load_2addr_b64 v[178:181], v1 offset0:103 offset1:104
	;; [unrolled: 1-line block ×11, first 2 shown]
	s_mov_b32 s0, exec_lo
	s_wait_loadcnt_dscnt 0xb0a
	v_dual_mul_f32 v1, v174, v3 :: v_dual_mul_f32 v32, v176, v5
	v_mul_f32_e32 v3, v175, v3
	v_mul_f32_e32 v5, v177, v5
	s_wait_loadcnt_dscnt 0xa09
	v_dual_mul_f32 v155, v178, v7 :: v_dual_mul_f32 v156, v180, v9
	v_fmac_f32_e32 v32, v177, v4
	v_fma_f32 v3, v174, v2, -v3
	s_wait_loadcnt_dscnt 0x908
	v_dual_mul_f32 v218, v182, v11 :: v_dual_mul_f32 v219, v184, v13
	v_dual_fmac_f32 v1, v175, v2 :: v_dual_fmac_f32 v156, v181, v8
	v_mul_f32_e32 v2, v179, v7
	v_fma_f32 v4, v176, v4, -v5
	s_delay_alu instid0(VALU_DEP_4) | instskip(NEXT) | instid1(VALU_DEP_4)
	v_dual_add_f32 v3, 0, v3 :: v_dual_fmac_f32 v218, v183, v10
	v_add_f32_e32 v1, 0, v1
	s_delay_alu instid0(VALU_DEP_4) | instskip(SKIP_4) | instid1(VALU_DEP_3)
	v_fma_f32 v2, v178, v6, -v2
	s_wait_loadcnt_dscnt 0x807
	v_dual_mul_f32 v220, v186, v15 :: v_dual_mul_f32 v221, v188, v17
	v_add_f32_e32 v3, v3, v4
	v_dual_mul_f32 v5, v181, v9 :: v_dual_mul_f32 v4, v183, v11
	v_dual_add_f32 v1, v1, v32 :: v_dual_fmac_f32 v220, v187, v14
	s_delay_alu instid0(VALU_DEP_3) | instskip(NEXT) | instid1(VALU_DEP_3)
	v_add_f32_e32 v2, v3, v2
	v_fma_f32 v5, v180, v8, -v5
	v_fmac_f32_e32 v155, v179, v6
	v_fma_f32 v4, v182, v10, -v4
	s_wait_loadcnt_dscnt 0x706
	v_dual_mul_f32 v222, v190, v19 :: v_dual_mul_f32 v223, v192, v21
	s_delay_alu instid0(VALU_DEP_3) | instskip(NEXT) | instid1(VALU_DEP_2)
	v_dual_add_f32 v2, v2, v5 :: v_dual_add_f32 v1, v1, v155
	v_dual_mul_f32 v3, v185, v13 :: v_dual_fmac_f32 v222, v191, v18
	s_wait_loadcnt_dscnt 0x605
	v_dual_mul_f32 v224, v194, v23 :: v_dual_mul_f32 v225, v196, v25
	s_delay_alu instid0(VALU_DEP_3)
	v_add_f32_e32 v2, v2, v4
	v_mul_f32_e32 v4, v189, v17
	v_fma_f32 v3, v184, v12, -v3
	s_wait_loadcnt_dscnt 0x403
	v_dual_add_f32 v1, v1, v156 :: v_dual_mul_f32 v228, v202, v159
	v_mul_f32_e32 v229, v204, v161
	v_fma_f32 v4, v188, v16, -v4
	v_mul_f32_e32 v5, v187, v15
	s_delay_alu instid0(VALU_DEP_4) | instskip(SKIP_1) | instid1(VALU_DEP_3)
	v_dual_add_f32 v2, v2, v3 :: v_dual_add_f32 v1, v1, v218
	v_dual_mul_f32 v226, v198, v27 :: v_dual_mul_f32 v227, v200, v29
	v_fma_f32 v5, v186, v14, -v5
	v_dual_fmac_f32 v219, v185, v12 :: v_dual_fmac_f32 v224, v195, v22
	s_delay_alu instid0(VALU_DEP_3)
	v_fmac_f32_e32 v226, v199, v26
	s_wait_loadcnt_dscnt 0x100
	v_dual_mul_f32 v234, v214, v171 :: v_dual_mul_f32 v235, v216, v173
	v_add_f32_e32 v2, v2, v5
	v_dual_mul_f32 v230, v206, v163 :: v_dual_mul_f32 v231, v208, v165
	v_dual_fmac_f32 v225, v197, v24 :: v_dual_mul_f32 v232, v210, v167
	s_delay_alu instid0(VALU_DEP_3) | instskip(SKIP_2) | instid1(VALU_DEP_4)
	v_dual_mul_f32 v233, v212, v169 :: v_dual_add_f32 v2, v2, v4
	v_mul_f32_e32 v4, v195, v23
	v_add_f32_e32 v1, v1, v219
	v_dual_fmac_f32 v227, v201, v28 :: v_dual_fmac_f32 v232, v211, v166
	v_fmac_f32_e32 v228, v203, v158
	s_delay_alu instid0(VALU_DEP_4)
	v_fma_f32 v4, v194, v22, -v4
	v_mul_f32_e32 v5, v193, v21
	v_add_f32_e32 v1, v1, v220
	v_fmac_f32_e32 v231, v209, v164
	v_fmac_f32_e32 v233, v213, v168
	;; [unrolled: 1-line block ×3, first 2 shown]
	v_fma_f32 v5, v192, v20, -v5
	v_mul_f32_e32 v3, v191, v19
	v_fmac_f32_e32 v234, v215, v170
	v_fmac_f32_e32 v230, v207, v162
	s_delay_alu instid0(VALU_DEP_3) | instskip(NEXT) | instid1(VALU_DEP_1)
	v_fma_f32 v3, v190, v18, -v3
	v_dual_fmac_f32 v221, v189, v16 :: v_dual_add_f32 v2, v2, v3
	v_mul_f32_e32 v3, v197, v25
	s_delay_alu instid0(VALU_DEP_2) | instskip(NEXT) | instid1(VALU_DEP_2)
	v_dual_add_f32 v2, v2, v5 :: v_dual_mul_f32 v5, v199, v27
	v_fma_f32 v3, v196, v24, -v3
	s_delay_alu instid0(VALU_DEP_2) | instskip(SKIP_1) | instid1(VALU_DEP_4)
	v_dual_add_f32 v2, v2, v4 :: v_dual_add_f32 v1, v1, v221
	v_mul_f32_e32 v4, v201, v29
	v_fma_f32 v5, v198, v26, -v5
	s_delay_alu instid0(VALU_DEP_3) | instskip(NEXT) | instid1(VALU_DEP_3)
	v_dual_add_f32 v2, v2, v3 :: v_dual_fmac_f32 v223, v193, v20
	v_fma_f32 v4, v200, v28, -v4
	s_delay_alu instid0(VALU_DEP_2) | instskip(SKIP_1) | instid1(VALU_DEP_2)
	v_add_f32_e32 v2, v2, v5
	v_mul_f32_e32 v5, v205, v161
	v_dual_add_f32 v1, v1, v222 :: v_dual_add_f32 v2, v2, v4
	s_delay_alu instid0(VALU_DEP_2) | instskip(SKIP_1) | instid1(VALU_DEP_3)
	v_fma_f32 v5, v204, v160, -v5
	v_mul_f32_e32 v3, v203, v159
	v_add_f32_e32 v1, v1, v223
	v_mul_f32_e32 v4, v207, v163
	s_delay_alu instid0(VALU_DEP_3) | instskip(NEXT) | instid1(VALU_DEP_3)
	v_fma_f32 v3, v202, v158, -v3
	v_add_f32_e32 v1, v1, v224
	s_delay_alu instid0(VALU_DEP_3) | instskip(NEXT) | instid1(VALU_DEP_3)
	v_fma_f32 v4, v206, v162, -v4
	v_add_f32_e32 v2, v2, v3
	s_delay_alu instid0(VALU_DEP_1) | instskip(NEXT) | instid1(VALU_DEP_4)
	v_add_f32_e32 v2, v2, v5
	v_add_f32_e32 v1, v1, v225
	s_delay_alu instid0(VALU_DEP_2) | instskip(SKIP_1) | instid1(VALU_DEP_2)
	v_dual_mul_f32 v5, v211, v167 :: v_dual_add_f32 v2, v2, v4
	v_mul_f32_e32 v4, v213, v169
	v_fma_f32 v5, v210, v166, -v5
	s_delay_alu instid0(VALU_DEP_2) | instskip(SKIP_1) | instid1(VALU_DEP_1)
	v_fma_f32 v4, v212, v168, -v4
	v_mul_f32_e32 v3, v209, v165
	v_fma_f32 v3, v208, v164, -v3
	s_delay_alu instid0(VALU_DEP_1) | instskip(NEXT) | instid1(VALU_DEP_1)
	v_dual_add_f32 v1, v1, v226 :: v_dual_add_f32 v2, v2, v3
	v_add_f32_e32 v1, v1, v227
	s_delay_alu instid0(VALU_DEP_2) | instskip(NEXT) | instid1(VALU_DEP_2)
	v_dual_mul_f32 v3, v215, v171 :: v_dual_add_f32 v2, v2, v5
	v_add_f32_e32 v1, v1, v228
	v_mul_f32_e32 v5, v217, v173
	s_delay_alu instid0(VALU_DEP_3) | instskip(NEXT) | instid1(VALU_DEP_4)
	v_fma_f32 v3, v214, v170, -v3
	v_add_f32_e32 v2, v2, v4
	v_fmac_f32_e32 v229, v205, v160
	s_delay_alu instid0(VALU_DEP_4) | instskip(NEXT) | instid1(VALU_DEP_2)
	v_fma_f32 v4, v216, v172, -v5
	v_dual_add_f32 v2, v2, v3 :: v_dual_add_f32 v1, v1, v229
	s_delay_alu instid0(VALU_DEP_1) | instskip(NEXT) | instid1(VALU_DEP_1)
	v_dual_add_f32 v2, v2, v4 :: v_dual_add_f32 v1, v1, v230
	v_add_f32_e32 v1, v1, v231
	s_delay_alu instid0(VALU_DEP_1) | instskip(NEXT) | instid1(VALU_DEP_1)
	v_add_f32_e32 v1, v1, v232
	v_add_f32_e32 v1, v1, v233
	s_delay_alu instid0(VALU_DEP_1) | instskip(NEXT) | instid1(VALU_DEP_1)
	v_add_f32_e32 v1, v1, v234
	v_add_f32_e32 v3, v1, v235
	s_wait_loadcnt 0x0
	s_delay_alu instid0(VALU_DEP_1)
	v_dual_sub_f32 v1, v30, v2 :: v_dual_sub_f32 v2, v31, v3
	scratch_store_b64 off, v[1:2], off offset:304
	v_cmpx_lt_u32_e32 37, v0
	s_cbranch_execz .LBB124_305
; %bb.304:
	scratch_load_b64 v[1:2], off, off offset:296
	v_mov_b32_e32 v3, 0
	s_delay_alu instid0(VALU_DEP_1)
	v_mov_b32_e32 v4, v3
	scratch_store_b64 off, v[3:4], off offset:296
	s_wait_loadcnt 0x0
	ds_store_b64 v157, v[1:2]
.LBB124_305:
	s_wait_alu 0xfffe
	s_or_b32 exec_lo, exec_lo, s0
	s_wait_storecnt_dscnt 0x0
	s_barrier_signal -1
	s_barrier_wait -1
	global_inv scope:SCOPE_SE
	s_clause 0xc
	scratch_load_b128 v[2:5], off, off offset:304
	scratch_load_b128 v[6:9], off, off offset:320
	;; [unrolled: 1-line block ×11, first 2 shown]
	scratch_load_b64 v[30:31], off, off offset:480
	scratch_load_b64 v[155:156], off, off offset:296
	v_mov_b32_e32 v1, 0
	ds_load_b128 v[174:177], v1 offset:800
	ds_load_b128 v[178:181], v1 offset:816
	;; [unrolled: 1-line block ×11, first 2 shown]
	ds_load_b64 v[218:219], v1 offset:976
	s_mov_b32 s0, exec_lo
	s_wait_loadcnt_dscnt 0xc0b
	v_mul_f32_e32 v32, v174, v3
	s_wait_loadcnt_dscnt 0xb0a
	v_dual_mul_f32 v220, v176, v5 :: v_dual_mul_f32 v221, v178, v7
	v_mul_f32_e32 v5, v177, v5
	s_wait_loadcnt_dscnt 0xa09
	v_dual_mul_f32 v222, v180, v9 :: v_dual_mul_f32 v223, v182, v11
	v_mul_f32_e32 v3, v175, v3
	v_fmac_f32_e32 v32, v175, v2
	s_wait_loadcnt_dscnt 0x908
	v_dual_mul_f32 v224, v184, v13 :: v_dual_mul_f32 v225, v186, v15
	s_wait_loadcnt_dscnt 0x302
	v_mul_f32_e32 v238, v212, v169
	v_fma_f32 v3, v174, v2, -v3
	s_wait_loadcnt_dscnt 0x100
	v_mul_f32_e32 v241, v218, v31
	v_mul_f32_e32 v2, v179, v7
	v_fmac_f32_e32 v220, v177, v4
	v_fma_f32 v4, v176, v4, -v5
	v_add_f32_e32 v3, 0, v3
	v_dual_fmac_f32 v223, v183, v10 :: v_dual_fmac_f32 v224, v185, v12
	v_fma_f32 v2, v178, v6, -v2
	v_dual_mul_f32 v226, v188, v17 :: v_dual_mul_f32 v227, v190, v19
	s_delay_alu instid0(VALU_DEP_4) | instskip(SKIP_1) | instid1(VALU_DEP_3)
	v_add_f32_e32 v3, v3, v4
	v_add_f32_e32 v5, 0, v32
	v_dual_fmac_f32 v225, v187, v14 :: v_dual_fmac_f32 v226, v189, v16
	v_fmac_f32_e32 v222, v181, v8
	s_delay_alu instid0(VALU_DEP_4) | instskip(NEXT) | instid1(VALU_DEP_4)
	v_dual_add_f32 v2, v3, v2 :: v_dual_mul_f32 v7, v181, v9
	v_dual_fmac_f32 v221, v179, v6 :: v_dual_add_f32 v4, v5, v220
	v_dual_mul_f32 v5, v183, v11 :: v_dual_mul_f32 v228, v192, v21
	v_mul_f32_e32 v229, v194, v23
	s_delay_alu instid0(VALU_DEP_4) | instskip(NEXT) | instid1(VALU_DEP_4)
	v_fma_f32 v6, v180, v8, -v7
	v_add_f32_e32 v3, v4, v221
	v_mul_f32_e32 v4, v185, v13
	v_fma_f32 v5, v182, v10, -v5
	v_dual_mul_f32 v230, v196, v25 :: v_dual_mul_f32 v231, v198, v27
	v_add_f32_e32 v2, v2, v6
	v_mul_f32_e32 v6, v187, v15
	v_add_f32_e32 v3, v3, v222
	v_fma_f32 v4, v184, v12, -v4
	v_dual_fmac_f32 v229, v195, v22 :: v_dual_fmac_f32 v230, v197, v24
	s_delay_alu instid0(VALU_DEP_3) | instskip(SKIP_2) | instid1(VALU_DEP_3)
	v_dual_add_f32 v2, v2, v5 :: v_dual_add_f32 v3, v3, v223
	v_mul_f32_e32 v5, v189, v17
	v_fma_f32 v6, v186, v14, -v6
	v_dual_fmac_f32 v227, v191, v18 :: v_dual_add_f32 v2, v2, v4
	s_delay_alu instid0(VALU_DEP_4) | instskip(SKIP_3) | instid1(VALU_DEP_4)
	v_add_f32_e32 v3, v3, v224
	v_mul_f32_e32 v4, v191, v19
	v_fma_f32 v5, v188, v16, -v5
	v_fmac_f32_e32 v228, v193, v20
	v_dual_add_f32 v2, v2, v6 :: v_dual_add_f32 v3, v3, v225
	v_mul_f32_e32 v6, v193, v21
	v_fma_f32 v4, v190, v18, -v4
	v_dual_mul_f32 v232, v200, v29 :: v_dual_mul_f32 v233, v202, v159
	s_delay_alu instid0(VALU_DEP_4) | instskip(SKIP_3) | instid1(VALU_DEP_4)
	v_dual_add_f32 v2, v2, v5 :: v_dual_add_f32 v3, v3, v226
	v_mul_f32_e32 v5, v195, v23
	v_fma_f32 v6, v192, v20, -v6
	v_dual_mul_f32 v234, v204, v161 :: v_dual_mul_f32 v235, v206, v163
	v_dual_add_f32 v2, v2, v4 :: v_dual_add_f32 v3, v3, v227
	v_mul_f32_e32 v4, v197, v25
	v_fma_f32 v5, v194, v22, -v5
	v_fmac_f32_e32 v231, v199, v26
	s_delay_alu instid0(VALU_DEP_4) | instskip(SKIP_3) | instid1(VALU_DEP_4)
	v_dual_add_f32 v2, v2, v6 :: v_dual_add_f32 v3, v3, v228
	v_mul_f32_e32 v6, v199, v27
	v_fma_f32 v4, v196, v24, -v4
	v_fmac_f32_e32 v232, v201, v28
	v_add_f32_e32 v2, v2, v5
	v_add_f32_e32 v3, v3, v229
	v_mul_f32_e32 v5, v201, v29
	v_fma_f32 v6, v198, v26, -v6
	s_delay_alu instid0(VALU_DEP_4) | instskip(NEXT) | instid1(VALU_DEP_4)
	v_dual_fmac_f32 v233, v203, v158 :: v_dual_add_f32 v2, v2, v4
	v_add_f32_e32 v3, v3, v230
	v_mul_f32_e32 v4, v203, v159
	v_fma_f32 v5, v200, v28, -v5
	v_dual_mul_f32 v236, v208, v165 :: v_dual_mul_f32 v237, v210, v167
	s_delay_alu instid0(VALU_DEP_4) | instskip(SKIP_3) | instid1(VALU_DEP_4)
	v_dual_add_f32 v2, v2, v6 :: v_dual_add_f32 v3, v3, v231
	v_mul_f32_e32 v6, v205, v161
	v_fma_f32 v4, v202, v158, -v4
	v_fmac_f32_e32 v234, v205, v160
	v_dual_add_f32 v2, v2, v5 :: v_dual_add_f32 v3, v3, v232
	v_mul_f32_e32 v5, v207, v163
	v_fma_f32 v6, v204, v160, -v6
	s_delay_alu instid0(VALU_DEP_3) | instskip(NEXT) | instid1(VALU_DEP_4)
	v_dual_fmac_f32 v235, v207, v162 :: v_dual_add_f32 v2, v2, v4
	v_add_f32_e32 v3, v3, v233
	v_mul_f32_e32 v4, v209, v165
	v_fma_f32 v5, v206, v162, -v5
	v_dual_fmac_f32 v236, v209, v164 :: v_dual_fmac_f32 v237, v211, v166
	s_delay_alu instid0(VALU_DEP_4) | instskip(SKIP_4) | instid1(VALU_DEP_4)
	v_add_f32_e32 v3, v3, v234
	v_add_f32_e32 v2, v2, v6
	v_mul_f32_e32 v6, v211, v167
	v_fma_f32 v4, v208, v164, -v4
	v_dual_mul_f32 v239, v214, v171 :: v_dual_mul_f32 v240, v216, v173
	v_dual_add_f32 v3, v3, v235 :: v_dual_add_f32 v2, v2, v5
	v_mul_f32_e32 v5, v213, v169
	v_fma_f32 v6, v210, v166, -v6
	s_delay_alu instid0(VALU_DEP_4) | instskip(NEXT) | instid1(VALU_DEP_4)
	v_dual_fmac_f32 v238, v213, v168 :: v_dual_fmac_f32 v239, v215, v170
	v_add_f32_e32 v3, v3, v236
	v_add_f32_e32 v2, v2, v4
	v_mul_f32_e32 v4, v215, v171
	v_fma_f32 v5, v212, v168, -v5
	v_fmac_f32_e32 v241, v219, v30
	s_delay_alu instid0(VALU_DEP_4) | instskip(SKIP_2) | instid1(VALU_DEP_3)
	v_dual_add_f32 v3, v3, v237 :: v_dual_add_f32 v2, v2, v6
	v_mul_f32_e32 v6, v217, v173
	v_fma_f32 v4, v214, v170, -v4
	v_dual_add_f32 v3, v3, v238 :: v_dual_add_f32 v2, v2, v5
	v_dual_mul_f32 v5, v219, v31 :: v_dual_fmac_f32 v240, v217, v172
	s_delay_alu instid0(VALU_DEP_4) | instskip(NEXT) | instid1(VALU_DEP_3)
	v_fma_f32 v6, v216, v172, -v6
	v_dual_add_f32 v3, v3, v239 :: v_dual_add_f32 v2, v2, v4
	s_delay_alu instid0(VALU_DEP_3) | instskip(NEXT) | instid1(VALU_DEP_2)
	v_fma_f32 v4, v218, v30, -v5
	v_dual_add_f32 v3, v3, v240 :: v_dual_add_f32 v2, v2, v6
	s_delay_alu instid0(VALU_DEP_1) | instskip(SKIP_1) | instid1(VALU_DEP_1)
	v_dual_add_f32 v3, v3, v241 :: v_dual_add_f32 v2, v2, v4
	s_wait_loadcnt 0x0
	v_dual_sub_f32 v3, v156, v3 :: v_dual_sub_f32 v2, v155, v2
	scratch_store_b64 off, v[2:3], off offset:296
	v_cmpx_lt_u32_e32 36, v0
	s_cbranch_execz .LBB124_307
; %bb.306:
	scratch_load_b64 v[3:4], off, off offset:288
	v_mov_b32_e32 v2, v1
	scratch_store_b64 off, v[1:2], off offset:288
	s_wait_loadcnt 0x0
	ds_store_b64 v157, v[3:4]
.LBB124_307:
	s_wait_alu 0xfffe
	s_or_b32 exec_lo, exec_lo, s0
	s_wait_storecnt_dscnt 0x0
	s_barrier_signal -1
	s_barrier_wait -1
	global_inv scope:SCOPE_SE
	s_clause 0xc
	scratch_load_b128 v[2:5], off, off offset:296
	scratch_load_b128 v[6:9], off, off offset:312
	;; [unrolled: 1-line block ×12, first 2 shown]
	scratch_load_b64 v[30:31], off, off offset:288
	ds_load_2addr_b64 v[178:181], v1 offset0:99 offset1:100
	ds_load_2addr_b64 v[182:185], v1 offset0:101 offset1:102
	ds_load_2addr_b64 v[186:189], v1 offset0:103 offset1:104
	ds_load_2addr_b64 v[190:193], v1 offset0:105 offset1:106
	ds_load_2addr_b64 v[194:197], v1 offset0:107 offset1:108
	ds_load_2addr_b64 v[198:201], v1 offset0:109 offset1:110
	ds_load_2addr_b64 v[202:205], v1 offset0:111 offset1:112
	ds_load_2addr_b64 v[206:209], v1 offset0:113 offset1:114
	ds_load_2addr_b64 v[210:213], v1 offset0:115 offset1:116
	ds_load_2addr_b64 v[214:217], v1 offset0:117 offset1:118
	ds_load_2addr_b64 v[218:221], v1 offset0:119 offset1:120
	ds_load_2addr_b64 v[222:225], v1 offset0:121 offset1:122
	s_mov_b32 s0, exec_lo
	s_wait_loadcnt_dscnt 0xc0b
	v_dual_mul_f32 v1, v178, v3 :: v_dual_mul_f32 v32, v180, v5
	v_mul_f32_e32 v3, v179, v3
	v_mul_f32_e32 v5, v181, v5
	s_wait_loadcnt_dscnt 0xb0a
	v_dual_mul_f32 v155, v182, v7 :: v_dual_mul_f32 v156, v184, v9
	v_fmac_f32_e32 v32, v181, v4
	v_fma_f32 v3, v178, v2, -v3
	s_wait_loadcnt_dscnt 0xa09
	v_dual_mul_f32 v226, v186, v11 :: v_dual_mul_f32 v227, v188, v13
	v_dual_fmac_f32 v1, v179, v2 :: v_dual_fmac_f32 v156, v185, v8
	v_mul_f32_e32 v2, v183, v7
	v_fma_f32 v4, v180, v4, -v5
	s_delay_alu instid0(VALU_DEP_4) | instskip(NEXT) | instid1(VALU_DEP_4)
	v_dual_add_f32 v3, 0, v3 :: v_dual_fmac_f32 v226, v187, v10
	v_add_f32_e32 v1, 0, v1
	s_delay_alu instid0(VALU_DEP_4) | instskip(SKIP_4) | instid1(VALU_DEP_3)
	v_fma_f32 v2, v182, v6, -v2
	s_wait_loadcnt_dscnt 0x908
	v_dual_mul_f32 v228, v190, v15 :: v_dual_mul_f32 v229, v192, v17
	v_add_f32_e32 v3, v3, v4
	v_dual_mul_f32 v5, v185, v9 :: v_dual_mul_f32 v4, v187, v11
	v_dual_add_f32 v1, v1, v32 :: v_dual_fmac_f32 v228, v191, v14
	s_delay_alu instid0(VALU_DEP_3) | instskip(NEXT) | instid1(VALU_DEP_3)
	v_add_f32_e32 v2, v3, v2
	v_fma_f32 v5, v184, v8, -v5
	v_fmac_f32_e32 v155, v183, v6
	v_fma_f32 v4, v186, v10, -v4
	s_wait_loadcnt_dscnt 0x807
	v_dual_mul_f32 v230, v194, v19 :: v_dual_mul_f32 v231, v196, v21
	s_delay_alu instid0(VALU_DEP_3) | instskip(NEXT) | instid1(VALU_DEP_2)
	v_dual_add_f32 v2, v2, v5 :: v_dual_add_f32 v1, v1, v155
	v_dual_mul_f32 v3, v189, v13 :: v_dual_fmac_f32 v230, v195, v18
	s_wait_loadcnt_dscnt 0x706
	v_dual_mul_f32 v232, v198, v23 :: v_dual_mul_f32 v233, v200, v25
	s_delay_alu instid0(VALU_DEP_3)
	v_add_f32_e32 v2, v2, v4
	v_mul_f32_e32 v4, v193, v17
	v_fma_f32 v3, v188, v12, -v3
	s_wait_loadcnt_dscnt 0x504
	v_dual_add_f32 v1, v1, v156 :: v_dual_mul_f32 v236, v206, v159
	v_mul_f32_e32 v237, v208, v161
	v_fma_f32 v4, v192, v16, -v4
	v_mul_f32_e32 v5, v191, v15
	s_delay_alu instid0(VALU_DEP_4) | instskip(SKIP_1) | instid1(VALU_DEP_3)
	v_dual_add_f32 v2, v2, v3 :: v_dual_add_f32 v1, v1, v226
	v_dual_mul_f32 v234, v202, v27 :: v_dual_mul_f32 v235, v204, v29
	v_fma_f32 v5, v190, v14, -v5
	v_dual_fmac_f32 v227, v189, v12 :: v_dual_fmac_f32 v232, v199, v22
	s_delay_alu instid0(VALU_DEP_3)
	v_fmac_f32_e32 v234, v203, v26
	s_wait_loadcnt_dscnt 0x201
	v_dual_mul_f32 v242, v218, v171 :: v_dual_mul_f32 v243, v220, v173
	v_add_f32_e32 v2, v2, v5
	v_dual_mul_f32 v238, v210, v163 :: v_dual_mul_f32 v239, v212, v165
	v_dual_fmac_f32 v233, v201, v24 :: v_dual_mul_f32 v240, v214, v167
	s_delay_alu instid0(VALU_DEP_3) | instskip(SKIP_2) | instid1(VALU_DEP_4)
	v_dual_mul_f32 v241, v216, v169 :: v_dual_add_f32 v2, v2, v4
	v_mul_f32_e32 v4, v199, v23
	v_add_f32_e32 v1, v1, v227
	v_dual_fmac_f32 v235, v205, v28 :: v_dual_fmac_f32 v240, v215, v166
	v_fmac_f32_e32 v236, v207, v158
	s_delay_alu instid0(VALU_DEP_4)
	v_fma_f32 v4, v198, v22, -v4
	v_mul_f32_e32 v5, v197, v21
	v_add_f32_e32 v1, v1, v228
	s_wait_loadcnt_dscnt 0x100
	v_dual_fmac_f32 v237, v209, v160 :: v_dual_mul_f32 v244, v222, v175
	v_mul_f32_e32 v245, v224, v177
	v_fma_f32 v5, v196, v20, -v5
	v_mul_f32_e32 v3, v195, v19
	v_dual_fmac_f32 v243, v221, v172 :: v_dual_fmac_f32 v242, v219, v170
	s_delay_alu instid0(VALU_DEP_4) | instskip(NEXT) | instid1(VALU_DEP_3)
	v_dual_fmac_f32 v245, v225, v176 :: v_dual_fmac_f32 v238, v211, v162
	v_fma_f32 v3, v194, v18, -v3
	v_dual_fmac_f32 v229, v193, v16 :: v_dual_fmac_f32 v244, v223, v174
	s_delay_alu instid0(VALU_DEP_2) | instskip(NEXT) | instid1(VALU_DEP_1)
	v_dual_add_f32 v2, v2, v3 :: v_dual_mul_f32 v3, v201, v25
	v_dual_add_f32 v2, v2, v5 :: v_dual_mul_f32 v5, v203, v27
	s_delay_alu instid0(VALU_DEP_2) | instskip(NEXT) | instid1(VALU_DEP_2)
	v_fma_f32 v3, v200, v24, -v3
	v_dual_add_f32 v2, v2, v4 :: v_dual_add_f32 v1, v1, v229
	v_mul_f32_e32 v4, v205, v29
	s_delay_alu instid0(VALU_DEP_4) | instskip(NEXT) | instid1(VALU_DEP_3)
	v_fma_f32 v5, v202, v26, -v5
	v_dual_add_f32 v2, v2, v3 :: v_dual_fmac_f32 v231, v197, v20
	s_delay_alu instid0(VALU_DEP_3) | instskip(NEXT) | instid1(VALU_DEP_2)
	v_fma_f32 v4, v204, v28, -v4
	v_add_f32_e32 v2, v2, v5
	v_mul_f32_e32 v5, v209, v161
	s_delay_alu instid0(VALU_DEP_2) | instskip(NEXT) | instid1(VALU_DEP_2)
	v_dual_add_f32 v1, v1, v230 :: v_dual_add_f32 v2, v2, v4
	v_fma_f32 v5, v208, v160, -v5
	v_mul_f32_e32 v3, v207, v159
	s_delay_alu instid0(VALU_DEP_3) | instskip(SKIP_1) | instid1(VALU_DEP_3)
	v_add_f32_e32 v1, v1, v231
	v_mul_f32_e32 v4, v211, v163
	v_fma_f32 v3, v206, v158, -v3
	s_delay_alu instid0(VALU_DEP_3) | instskip(NEXT) | instid1(VALU_DEP_3)
	v_add_f32_e32 v1, v1, v232
	v_fma_f32 v4, v210, v162, -v4
	s_delay_alu instid0(VALU_DEP_3) | instskip(NEXT) | instid1(VALU_DEP_1)
	v_add_f32_e32 v2, v2, v3
	v_add_f32_e32 v2, v2, v5
	s_delay_alu instid0(VALU_DEP_4) | instskip(NEXT) | instid1(VALU_DEP_2)
	v_add_f32_e32 v1, v1, v233
	v_dual_mul_f32 v5, v215, v167 :: v_dual_add_f32 v2, v2, v4
	v_mul_f32_e32 v4, v217, v169
	s_delay_alu instid0(VALU_DEP_2) | instskip(NEXT) | instid1(VALU_DEP_2)
	v_fma_f32 v5, v214, v166, -v5
	v_fma_f32 v4, v216, v168, -v4
	v_mul_f32_e32 v3, v213, v165
	s_delay_alu instid0(VALU_DEP_1) | instskip(NEXT) | instid1(VALU_DEP_1)
	v_fma_f32 v3, v212, v164, -v3
	v_dual_add_f32 v1, v1, v234 :: v_dual_add_f32 v2, v2, v3
	s_delay_alu instid0(VALU_DEP_1) | instskip(NEXT) | instid1(VALU_DEP_2)
	v_add_f32_e32 v1, v1, v235
	v_dual_mul_f32 v3, v219, v171 :: v_dual_add_f32 v2, v2, v5
	v_mul_f32_e32 v5, v221, v173
	s_delay_alu instid0(VALU_DEP_2) | instskip(NEXT) | instid1(VALU_DEP_3)
	v_fma_f32 v3, v218, v170, -v3
	v_add_f32_e32 v2, v2, v4
	v_dual_add_f32 v1, v1, v236 :: v_dual_mul_f32 v4, v223, v175
	s_delay_alu instid0(VALU_DEP_4) | instskip(NEXT) | instid1(VALU_DEP_2)
	v_fma_f32 v5, v220, v172, -v5
	v_dual_add_f32 v2, v2, v3 :: v_dual_add_f32 v1, v1, v237
	v_fmac_f32_e32 v239, v213, v164
	s_delay_alu instid0(VALU_DEP_4) | instskip(SKIP_1) | instid1(VALU_DEP_4)
	v_fma_f32 v4, v222, v174, -v4
	v_mul_f32_e32 v3, v225, v177
	v_dual_add_f32 v2, v2, v5 :: v_dual_add_f32 v1, v1, v238
	s_delay_alu instid0(VALU_DEP_2) | instskip(NEXT) | instid1(VALU_DEP_2)
	v_fma_f32 v3, v224, v176, -v3
	v_dual_add_f32 v2, v2, v4 :: v_dual_add_f32 v1, v1, v239
	s_delay_alu instid0(VALU_DEP_1) | instskip(NEXT) | instid1(VALU_DEP_2)
	v_dual_fmac_f32 v241, v217, v168 :: v_dual_add_f32 v2, v2, v3
	v_add_f32_e32 v1, v1, v240
	s_delay_alu instid0(VALU_DEP_1) | instskip(NEXT) | instid1(VALU_DEP_1)
	v_add_f32_e32 v1, v1, v241
	v_add_f32_e32 v1, v1, v242
	s_delay_alu instid0(VALU_DEP_1) | instskip(NEXT) | instid1(VALU_DEP_1)
	v_add_f32_e32 v1, v1, v243
	v_add_f32_e32 v1, v1, v244
	s_delay_alu instid0(VALU_DEP_1) | instskip(SKIP_1) | instid1(VALU_DEP_1)
	v_add_f32_e32 v3, v1, v245
	s_wait_loadcnt 0x0
	v_dual_sub_f32 v1, v30, v2 :: v_dual_sub_f32 v2, v31, v3
	scratch_store_b64 off, v[1:2], off offset:288
	v_cmpx_lt_u32_e32 35, v0
	s_cbranch_execz .LBB124_309
; %bb.308:
	scratch_load_b64 v[1:2], off, off offset:280
	v_mov_b32_e32 v3, 0
	s_delay_alu instid0(VALU_DEP_1)
	v_mov_b32_e32 v4, v3
	scratch_store_b64 off, v[3:4], off offset:280
	s_wait_loadcnt 0x0
	ds_store_b64 v157, v[1:2]
.LBB124_309:
	s_wait_alu 0xfffe
	s_or_b32 exec_lo, exec_lo, s0
	s_wait_storecnt_dscnt 0x0
	s_barrier_signal -1
	s_barrier_wait -1
	global_inv scope:SCOPE_SE
	s_clause 0xd
	scratch_load_b128 v[2:5], off, off offset:288
	scratch_load_b128 v[6:9], off, off offset:304
	scratch_load_b128 v[10:13], off, off offset:320
	scratch_load_b128 v[14:17], off, off offset:336
	scratch_load_b128 v[18:21], off, off offset:352
	scratch_load_b128 v[22:25], off, off offset:368
	scratch_load_b128 v[26:29], off, off offset:384
	scratch_load_b128 v[158:161], off, off offset:400
	scratch_load_b128 v[162:165], off, off offset:416
	scratch_load_b128 v[166:169], off, off offset:432
	scratch_load_b128 v[170:173], off, off offset:448
	scratch_load_b128 v[174:177], off, off offset:464
	scratch_load_b64 v[30:31], off, off offset:480
	scratch_load_b64 v[155:156], off, off offset:280
	v_mov_b32_e32 v1, 0
	ds_load_b128 v[178:181], v1 offset:784
	ds_load_b128 v[182:185], v1 offset:800
	;; [unrolled: 1-line block ×12, first 2 shown]
	ds_load_b64 v[226:227], v1 offset:976
	s_mov_b32 s0, exec_lo
	s_wait_loadcnt_dscnt 0xd0c
	v_mul_f32_e32 v32, v178, v3
	s_wait_loadcnt_dscnt 0xc0b
	v_dual_mul_f32 v228, v180, v5 :: v_dual_mul_f32 v229, v182, v7
	v_mul_f32_e32 v5, v181, v5
	s_wait_loadcnt_dscnt 0xb0a
	v_dual_mul_f32 v230, v184, v9 :: v_dual_mul_f32 v231, v186, v11
	v_dual_mul_f32 v3, v179, v3 :: v_dual_mul_f32 v232, v188, v13
	s_wait_loadcnt_dscnt 0xa09
	v_dual_mul_f32 v233, v190, v15 :: v_dual_fmac_f32 v32, v179, v2
	s_wait_loadcnt_dscnt 0x302
	v_mul_f32_e32 v248, v220, v173
	v_fma_f32 v3, v178, v2, -v3
	s_wait_loadcnt_dscnt 0x100
	v_mul_f32_e32 v251, v226, v31
	v_mul_f32_e32 v2, v183, v7
	v_fmac_f32_e32 v228, v181, v4
	v_fma_f32 v4, v180, v4, -v5
	v_add_f32_e32 v3, 0, v3
	v_dual_fmac_f32 v231, v187, v10 :: v_dual_fmac_f32 v232, v189, v12
	v_fma_f32 v2, v182, v6, -v2
	v_dual_mul_f32 v234, v192, v17 :: v_dual_mul_f32 v235, v194, v19
	s_delay_alu instid0(VALU_DEP_4) | instskip(SKIP_1) | instid1(VALU_DEP_3)
	v_add_f32_e32 v3, v3, v4
	v_add_f32_e32 v5, 0, v32
	v_dual_fmac_f32 v233, v191, v14 :: v_dual_fmac_f32 v234, v193, v16
	v_fmac_f32_e32 v230, v185, v8
	s_delay_alu instid0(VALU_DEP_4) | instskip(NEXT) | instid1(VALU_DEP_4)
	v_dual_add_f32 v2, v3, v2 :: v_dual_mul_f32 v7, v185, v9
	v_dual_fmac_f32 v229, v183, v6 :: v_dual_add_f32 v4, v5, v228
	v_dual_mul_f32 v5, v187, v11 :: v_dual_mul_f32 v236, v196, v21
	v_mul_f32_e32 v237, v198, v23
	s_delay_alu instid0(VALU_DEP_4) | instskip(NEXT) | instid1(VALU_DEP_4)
	v_fma_f32 v6, v184, v8, -v7
	v_add_f32_e32 v3, v4, v229
	v_mul_f32_e32 v4, v189, v13
	v_fma_f32 v5, v186, v10, -v5
	v_dual_mul_f32 v238, v200, v25 :: v_dual_mul_f32 v239, v202, v27
	v_add_f32_e32 v2, v2, v6
	v_mul_f32_e32 v6, v191, v15
	v_add_f32_e32 v3, v3, v230
	v_fma_f32 v4, v188, v12, -v4
	v_dual_fmac_f32 v237, v199, v22 :: v_dual_fmac_f32 v238, v201, v24
	s_delay_alu instid0(VALU_DEP_3) | instskip(SKIP_3) | instid1(VALU_DEP_4)
	v_dual_add_f32 v2, v2, v5 :: v_dual_add_f32 v3, v3, v231
	v_mul_f32_e32 v5, v193, v17
	v_fma_f32 v6, v190, v14, -v6
	v_dual_mul_f32 v240, v204, v29 :: v_dual_mul_f32 v241, v206, v159
	v_add_f32_e32 v2, v2, v4
	v_add_f32_e32 v3, v3, v232
	v_mul_f32_e32 v4, v195, v19
	v_fma_f32 v5, v192, v16, -v5
	v_fmac_f32_e32 v235, v195, v18
	s_delay_alu instid0(VALU_DEP_4) | instskip(SKIP_3) | instid1(VALU_DEP_4)
	v_dual_add_f32 v2, v2, v6 :: v_dual_add_f32 v3, v3, v233
	v_fmac_f32_e32 v236, v197, v20
	v_mul_f32_e32 v6, v197, v21
	v_fma_f32 v4, v194, v18, -v4
	v_dual_add_f32 v2, v2, v5 :: v_dual_add_f32 v3, v3, v234
	v_mul_f32_e32 v5, v199, v23
	s_delay_alu instid0(VALU_DEP_4) | instskip(SKIP_1) | instid1(VALU_DEP_4)
	v_fma_f32 v6, v196, v20, -v6
	v_dual_mul_f32 v242, v208, v161 :: v_dual_mul_f32 v243, v210, v163
	v_dual_add_f32 v2, v2, v4 :: v_dual_add_f32 v3, v3, v235
	v_mul_f32_e32 v4, v201, v25
	v_fma_f32 v5, v198, v22, -v5
	v_fmac_f32_e32 v239, v203, v26
	s_delay_alu instid0(VALU_DEP_4) | instskip(SKIP_3) | instid1(VALU_DEP_4)
	v_dual_add_f32 v2, v2, v6 :: v_dual_add_f32 v3, v3, v236
	v_mul_f32_e32 v6, v203, v27
	v_fma_f32 v4, v200, v24, -v4
	v_fmac_f32_e32 v240, v205, v28
	v_add_f32_e32 v2, v2, v5
	v_add_f32_e32 v3, v3, v237
	v_mul_f32_e32 v5, v205, v29
	v_fma_f32 v6, v202, v26, -v6
	s_delay_alu instid0(VALU_DEP_4) | instskip(NEXT) | instid1(VALU_DEP_4)
	v_dual_fmac_f32 v241, v207, v158 :: v_dual_add_f32 v2, v2, v4
	v_add_f32_e32 v3, v3, v238
	v_mul_f32_e32 v4, v207, v159
	v_fma_f32 v5, v204, v28, -v5
	v_dual_mul_f32 v244, v212, v165 :: v_dual_mul_f32 v245, v214, v167
	s_delay_alu instid0(VALU_DEP_4) | instskip(SKIP_3) | instid1(VALU_DEP_4)
	v_dual_add_f32 v2, v2, v6 :: v_dual_add_f32 v3, v3, v239
	v_mul_f32_e32 v6, v209, v161
	v_fma_f32 v4, v206, v158, -v4
	v_fmac_f32_e32 v242, v209, v160
	v_dual_add_f32 v2, v2, v5 :: v_dual_add_f32 v3, v3, v240
	v_mul_f32_e32 v5, v211, v163
	v_fma_f32 v6, v208, v160, -v6
	s_delay_alu instid0(VALU_DEP_3) | instskip(NEXT) | instid1(VALU_DEP_4)
	v_dual_fmac_f32 v243, v211, v162 :: v_dual_add_f32 v2, v2, v4
	v_add_f32_e32 v3, v3, v241
	v_mul_f32_e32 v4, v213, v165
	v_fma_f32 v5, v210, v162, -v5
	v_fmac_f32_e32 v244, v213, v164
	v_dual_mul_f32 v246, v216, v169 :: v_dual_mul_f32 v247, v218, v171
	v_add_f32_e32 v3, v3, v242
	v_add_f32_e32 v2, v2, v6
	v_mul_f32_e32 v6, v215, v167
	v_fma_f32 v4, v212, v164, -v4
	v_fmac_f32_e32 v245, v215, v166
	s_delay_alu instid0(VALU_DEP_4) | instskip(SKIP_3) | instid1(VALU_DEP_4)
	v_dual_add_f32 v3, v3, v243 :: v_dual_add_f32 v2, v2, v5
	v_mul_f32_e32 v5, v217, v169
	v_fma_f32 v6, v214, v166, -v6
	v_dual_fmac_f32 v246, v217, v168 :: v_dual_fmac_f32 v247, v219, v170
	v_add_f32_e32 v3, v3, v244
	v_add_f32_e32 v2, v2, v4
	v_mul_f32_e32 v4, v219, v171
	v_fma_f32 v5, v216, v168, -v5
	v_dual_mul_f32 v249, v222, v175 :: v_dual_mul_f32 v250, v224, v177
	s_delay_alu instid0(VALU_DEP_4) | instskip(SKIP_2) | instid1(VALU_DEP_4)
	v_dual_add_f32 v3, v3, v245 :: v_dual_add_f32 v2, v2, v6
	v_mul_f32_e32 v6, v221, v173
	v_fma_f32 v4, v218, v170, -v4
	v_fmac_f32_e32 v249, v223, v174
	s_delay_alu instid0(VALU_DEP_4) | instskip(SKIP_2) | instid1(VALU_DEP_3)
	v_dual_add_f32 v3, v3, v246 :: v_dual_add_f32 v2, v2, v5
	v_dual_mul_f32 v5, v223, v175 :: v_dual_fmac_f32 v248, v221, v172
	v_fma_f32 v6, v220, v172, -v6
	v_dual_add_f32 v3, v3, v247 :: v_dual_add_f32 v2, v2, v4
	v_mul_f32_e32 v4, v225, v177
	s_delay_alu instid0(VALU_DEP_4) | instskip(SKIP_1) | instid1(VALU_DEP_4)
	v_fma_f32 v5, v222, v174, -v5
	v_dual_fmac_f32 v250, v225, v176 :: v_dual_fmac_f32 v251, v227, v30
	v_dual_add_f32 v3, v3, v248 :: v_dual_add_f32 v2, v2, v6
	v_mul_f32_e32 v6, v227, v31
	v_fma_f32 v4, v224, v176, -v4
	s_delay_alu instid0(VALU_DEP_3) | instskip(NEXT) | instid1(VALU_DEP_4)
	v_add_f32_e32 v3, v3, v249
	v_add_f32_e32 v2, v2, v5
	s_delay_alu instid0(VALU_DEP_4) | instskip(NEXT) | instid1(VALU_DEP_2)
	v_fma_f32 v5, v226, v30, -v6
	v_dual_add_f32 v3, v3, v250 :: v_dual_add_f32 v2, v2, v4
	s_delay_alu instid0(VALU_DEP_1) | instskip(SKIP_1) | instid1(VALU_DEP_1)
	v_dual_add_f32 v3, v3, v251 :: v_dual_add_f32 v2, v2, v5
	s_wait_loadcnt 0x0
	v_dual_sub_f32 v3, v156, v3 :: v_dual_sub_f32 v2, v155, v2
	scratch_store_b64 off, v[2:3], off offset:280
	v_cmpx_lt_u32_e32 34, v0
	s_cbranch_execz .LBB124_311
; %bb.310:
	scratch_load_b64 v[3:4], off, off offset:272
	v_mov_b32_e32 v2, v1
	scratch_store_b64 off, v[1:2], off offset:272
	s_wait_loadcnt 0x0
	ds_store_b64 v157, v[3:4]
.LBB124_311:
	s_wait_alu 0xfffe
	s_or_b32 exec_lo, exec_lo, s0
	s_wait_storecnt_dscnt 0x0
	s_barrier_signal -1
	s_barrier_wait -1
	global_inv scope:SCOPE_SE
	s_clause 0x4
	scratch_load_b128 v[2:5], off, off offset:280
	scratch_load_b128 v[6:9], off, off offset:296
	;; [unrolled: 1-line block ×5, first 2 shown]
	ds_load_2addr_b64 v[22:25], v1 offset0:97 offset1:98
	ds_load_2addr_b64 v[26:29], v1 offset0:99 offset1:100
	;; [unrolled: 1-line block ×3, first 2 shown]
	scratch_load_b64 v[30:31], off, off offset:272
	s_mov_b32 s0, exec_lo
	s_wait_loadcnt_dscnt 0x502
	v_mul_f32_e32 v32, v23, v3
	v_dual_mul_f32 v155, v22, v3 :: v_dual_mul_f32 v156, v24, v5
	v_mul_f32_e32 v3, v25, v5
	s_wait_loadcnt_dscnt 0x300
	v_mul_f32_e32 v162, v160, v13
	v_fma_f32 v22, v22, v2, -v32
	v_dual_fmac_f32 v155, v23, v2 :: v_dual_fmac_f32 v156, v25, v4
	v_fma_f32 v23, v24, v4, -v3
	ds_load_2addr_b64 v[2:5], v1 offset0:103 offset1:104
	v_dual_mul_f32 v24, v26, v7 :: v_dual_mul_f32 v25, v28, v9
	v_mul_f32_e32 v7, v27, v7
	v_dual_mul_f32 v9, v29, v9 :: v_dual_mul_f32 v32, v158, v11
	v_dual_mul_f32 v11, v159, v11 :: v_dual_fmac_f32 v162, v161, v12
	s_delay_alu instid0(VALU_DEP_4) | instskip(SKIP_1) | instid1(VALU_DEP_4)
	v_dual_mul_f32 v13, v161, v13 :: v_dual_fmac_f32 v24, v27, v6
	v_fmac_f32_e32 v25, v29, v8
	v_fma_f32 v27, v28, v8, -v9
	v_fmac_f32_e32 v32, v159, v10
	v_fma_f32 v28, v158, v10, -v11
	v_fma_f32 v29, v160, v12, -v13
	ds_load_2addr_b64 v[10:13], v1 offset0:105 offset1:106
	v_fma_f32 v26, v26, v6, -v7
	scratch_load_b128 v[6:9], off, off offset:360
	s_wait_loadcnt_dscnt 0x301
	v_dual_mul_f32 v158, v2, v15 :: v_dual_mul_f32 v159, v4, v17
	v_mul_f32_e32 v15, v3, v15
	s_delay_alu instid0(VALU_DEP_2) | instskip(NEXT) | instid1(VALU_DEP_3)
	v_dual_mul_f32 v17, v5, v17 :: v_dual_fmac_f32 v158, v3, v14
	v_fmac_f32_e32 v159, v5, v16
	s_delay_alu instid0(VALU_DEP_2)
	v_fma_f32 v161, v4, v16, -v17
	s_wait_loadcnt_dscnt 0x200
	v_mul_f32_e32 v164, v12, v21
	v_fma_f32 v160, v2, v14, -v15
	v_mul_f32_e32 v163, v10, v19
	v_dual_mul_f32 v14, v11, v19 :: v_dual_mul_f32 v15, v13, v21
	ds_load_2addr_b64 v[2:5], v1 offset0:107 offset1:108
	v_dual_fmac_f32 v164, v13, v20 :: v_dual_fmac_f32 v163, v11, v18
	v_fma_f32 v18, v10, v18, -v14
	v_fma_f32 v19, v12, v20, -v15
	scratch_load_b128 v[10:13], off, off offset:376
	s_wait_loadcnt_dscnt 0x100
	v_dual_mul_f32 v166, v4, v9 :: v_dual_mul_f32 v165, v2, v7
	v_mul_f32_e32 v7, v3, v7
	v_mul_f32_e32 v9, v5, v9
	s_delay_alu instid0(VALU_DEP_3) | instskip(NEXT) | instid1(VALU_DEP_3)
	v_dual_fmac_f32 v166, v5, v8 :: v_dual_fmac_f32 v165, v3, v6
	v_fma_f32 v167, v2, v6, -v7
	s_delay_alu instid0(VALU_DEP_3)
	v_fma_f32 v168, v4, v8, -v9
	ds_load_2addr_b64 v[2:5], v1 offset0:109 offset1:110
	ds_load_2addr_b64 v[6:9], v1 offset0:111 offset1:112
	s_wait_loadcnt_dscnt 0x1
	v_mul_f32_e32 v169, v2, v11
	v_dual_mul_f32 v11, v3, v11 :: v_dual_mul_f32 v170, v4, v13
	s_delay_alu instid0(VALU_DEP_1) | instskip(NEXT) | instid1(VALU_DEP_3)
	v_fma_f32 v171, v2, v10, -v11
	v_dual_mul_f32 v2, v5, v13 :: v_dual_fmac_f32 v169, v3, v10
	s_delay_alu instid0(VALU_DEP_3) | instskip(NEXT) | instid1(VALU_DEP_2)
	v_fmac_f32_e32 v170, v5, v12
	v_fma_f32 v172, v4, v12, -v2
	s_clause 0x1
	scratch_load_b128 v[2:5], off, off offset:392
	scratch_load_b128 v[10:13], off, off offset:408
	s_wait_loadcnt_dscnt 0x100
	v_mul_f32_e32 v173, v6, v3
	v_mul_f32_e32 v3, v7, v3
	;; [unrolled: 1-line block ×3, first 2 shown]
	s_delay_alu instid0(VALU_DEP_2) | instskip(SKIP_1) | instid1(VALU_DEP_1)
	v_fma_f32 v174, v6, v2, -v3
	v_add_f32_e32 v3, 0, v155
	v_add_f32_e32 v6, v3, v156
	s_delay_alu instid0(VALU_DEP_1) | instskip(SKIP_1) | instid1(VALU_DEP_2)
	v_dual_add_f32 v14, v6, v24 :: v_dual_fmac_f32 v173, v7, v2
	v_mul_f32_e32 v2, v9, v5
	v_add_f32_e32 v14, v14, v25
	s_delay_alu instid0(VALU_DEP_2) | instskip(SKIP_1) | instid1(VALU_DEP_3)
	v_fma_f32 v176, v8, v4, -v2
	v_add_f32_e32 v2, 0, v22
	v_add_f32_e32 v14, v14, v32
	s_delay_alu instid0(VALU_DEP_2) | instskip(NEXT) | instid1(VALU_DEP_2)
	v_add_f32_e32 v2, v2, v23
	v_add_f32_e32 v21, v14, v162
	s_delay_alu instid0(VALU_DEP_2) | instskip(NEXT) | instid1(VALU_DEP_2)
	;; [unrolled: 3-line block ×3, first 2 shown]
	v_add_f32_e32 v15, v7, v27
	v_add_f32_e32 v21, v21, v159
	s_delay_alu instid0(VALU_DEP_1)
	v_dual_add_f32 v15, v15, v28 :: v_dual_add_f32 v22, v21, v163
	v_fmac_f32_e32 v175, v9, v4
	scratch_load_b128 v[6:9], off, off offset:424
	ds_load_2addr_b64 v[2:5], v1 offset0:113 offset1:114
	v_add_f32_e32 v20, v15, v29
	ds_load_2addr_b64 v[14:17], v1 offset0:115 offset1:116
	v_add_f32_e32 v22, v22, v164
	v_add_f32_e32 v20, v20, v160
	s_delay_alu instid0(VALU_DEP_2) | instskip(NEXT) | instid1(VALU_DEP_2)
	v_add_f32_e32 v22, v22, v165
	v_add_f32_e32 v20, v20, v161
	s_delay_alu instid0(VALU_DEP_1) | instskip(SKIP_4) | instid1(VALU_DEP_3)
	v_add_f32_e32 v18, v20, v18
	s_wait_loadcnt_dscnt 0x101
	v_mul_f32_e32 v26, v2, v11
	v_mul_f32_e32 v11, v3, v11
	;; [unrolled: 1-line block ×3, first 2 shown]
	v_dual_mul_f32 v13, v5, v13 :: v_dual_fmac_f32 v26, v3, v10
	s_delay_alu instid0(VALU_DEP_3) | instskip(NEXT) | instid1(VALU_DEP_3)
	v_fma_f32 v28, v2, v10, -v11
	v_fmac_f32_e32 v27, v5, v12
	s_delay_alu instid0(VALU_DEP_3)
	v_fma_f32 v29, v4, v12, -v13
	s_clause 0x1
	scratch_load_b128 v[2:5], off, off offset:440
	scratch_load_b128 v[10:13], off, off offset:456
	v_add_f32_e32 v23, v18, v19
	scratch_load_b128 v[18:21], off, off offset:472
	s_wait_loadcnt_dscnt 0x300
	v_dual_mul_f32 v32, v14, v7 :: v_dual_mul_f32 v155, v16, v9
	s_delay_alu instid0(VALU_DEP_1) | instskip(SKIP_1) | instid1(VALU_DEP_3)
	v_dual_mul_f32 v9, v17, v9 :: v_dual_fmac_f32 v32, v15, v6
	v_mul_f32_e32 v7, v15, v7
	v_fmac_f32_e32 v155, v17, v8
	s_delay_alu instid0(VALU_DEP_3) | instskip(NEXT) | instid1(VALU_DEP_3)
	v_fma_f32 v158, v16, v8, -v9
	v_fma_f32 v156, v14, v6, -v7
	ds_load_2addr_b64 v[6:9], v1 offset0:117 offset1:118
	v_dual_add_f32 v23, v23, v167 :: v_dual_add_f32 v14, v22, v166
	s_delay_alu instid0(VALU_DEP_1) | instskip(NEXT) | instid1(VALU_DEP_1)
	v_add_f32_e32 v23, v23, v168
	v_dual_add_f32 v22, v23, v171 :: v_dual_add_f32 v23, v14, v169
	ds_load_2addr_b64 v[14:17], v1 offset0:119 offset1:120
	v_dual_add_f32 v159, v22, v172 :: v_dual_add_f32 v160, v23, v170
	ds_load_2addr_b64 v[22:25], v1 offset0:121 offset1:122
	v_add_f32_e32 v1, v159, v174
	s_wait_loadcnt_dscnt 0x202
	v_dual_add_f32 v159, v160, v173 :: v_dual_mul_f32 v160, v6, v3
	v_mul_f32_e32 v3, v7, v3
	s_delay_alu instid0(VALU_DEP_2) | instskip(NEXT) | instid1(VALU_DEP_3)
	v_fmac_f32_e32 v160, v7, v2
	v_add_f32_e32 v159, v159, v175
	s_delay_alu instid0(VALU_DEP_3) | instskip(SKIP_2) | instid1(VALU_DEP_3)
	v_fma_f32 v3, v6, v2, -v3
	s_wait_loadcnt_dscnt 0x101
	v_mul_f32_e32 v6, v15, v11
	v_dual_add_f32 v26, v159, v26 :: v_dual_mul_f32 v159, v14, v11
	s_delay_alu instid0(VALU_DEP_1) | instskip(SKIP_2) | instid1(VALU_DEP_1)
	v_dual_add_f32 v26, v26, v27 :: v_dual_fmac_f32 v159, v15, v10
	s_wait_loadcnt_dscnt 0x0
	v_mul_f32_e32 v27, v22, v19
	v_dual_add_f32 v26, v26, v32 :: v_dual_fmac_f32 v27, v23, v18
	s_delay_alu instid0(VALU_DEP_1) | instskip(NEXT) | instid1(VALU_DEP_1)
	v_dual_add_f32 v2, v26, v155 :: v_dual_add_f32 v1, v1, v176
	v_dual_add_f32 v2, v2, v160 :: v_dual_mul_f32 v161, v16, v13
	s_delay_alu instid0(VALU_DEP_1) | instskip(NEXT) | instid1(VALU_DEP_3)
	v_fmac_f32_e32 v161, v17, v12
	v_dual_add_f32 v1, v1, v28 :: v_dual_mul_f32 v28, v8, v5
	v_mul_f32_e32 v5, v9, v5
	s_delay_alu instid0(VALU_DEP_2) | instskip(NEXT) | instid1(VALU_DEP_2)
	v_fmac_f32_e32 v28, v9, v4
	v_fma_f32 v4, v8, v4, -v5
	v_fma_f32 v5, v14, v10, -v6
	s_delay_alu instid0(VALU_DEP_3) | instskip(NEXT) | instid1(VALU_DEP_1)
	v_add_f32_e32 v2, v2, v28
	v_add_f32_e32 v2, v2, v159
	s_delay_alu instid0(VALU_DEP_1) | instskip(SKIP_1) | instid1(VALU_DEP_2)
	v_add_f32_e32 v2, v2, v161
	v_add_f32_e32 v1, v1, v29
	v_dual_mul_f32 v29, v24, v21 :: v_dual_add_f32 v2, v2, v27
	s_delay_alu instid0(VALU_DEP_2) | instskip(NEXT) | instid1(VALU_DEP_2)
	v_add_f32_e32 v1, v1, v156
	v_fmac_f32_e32 v29, v25, v20
	s_delay_alu instid0(VALU_DEP_1) | instskip(NEXT) | instid1(VALU_DEP_1)
	v_dual_add_f32 v1, v1, v158 :: v_dual_add_f32 v2, v2, v29
	v_add_f32_e32 v1, v1, v3
	s_delay_alu instid0(VALU_DEP_2) | instskip(NEXT) | instid1(VALU_DEP_2)
	v_dual_mul_f32 v3, v17, v13 :: v_dual_sub_f32 v2, v31, v2
	v_dual_add_f32 v1, v1, v4 :: v_dual_mul_f32 v4, v23, v19
	s_delay_alu instid0(VALU_DEP_2) | instskip(NEXT) | instid1(VALU_DEP_2)
	v_fma_f32 v3, v16, v12, -v3
	v_add_f32_e32 v1, v1, v5
	v_mul_f32_e32 v5, v25, v21
	s_delay_alu instid0(VALU_DEP_4) | instskip(NEXT) | instid1(VALU_DEP_3)
	v_fma_f32 v4, v22, v18, -v4
	v_add_f32_e32 v1, v1, v3
	s_delay_alu instid0(VALU_DEP_3) | instskip(NEXT) | instid1(VALU_DEP_2)
	v_fma_f32 v3, v24, v20, -v5
	v_add_f32_e32 v1, v1, v4
	s_delay_alu instid0(VALU_DEP_1) | instskip(NEXT) | instid1(VALU_DEP_1)
	v_add_f32_e32 v1, v1, v3
	v_sub_f32_e32 v1, v30, v1
	scratch_store_b64 off, v[1:2], off offset:272
	v_cmpx_lt_u32_e32 33, v0
	s_cbranch_execz .LBB124_313
; %bb.312:
	scratch_load_b64 v[1:2], off, off offset:264
	v_mov_b32_e32 v3, 0
	s_delay_alu instid0(VALU_DEP_1)
	v_mov_b32_e32 v4, v3
	scratch_store_b64 off, v[3:4], off offset:264
	s_wait_loadcnt 0x0
	ds_store_b64 v157, v[1:2]
.LBB124_313:
	s_wait_alu 0xfffe
	s_or_b32 exec_lo, exec_lo, s0
	s_wait_storecnt_dscnt 0x0
	s_barrier_signal -1
	s_barrier_wait -1
	global_inv scope:SCOPE_SE
	s_clause 0x4
	scratch_load_b128 v[2:5], off, off offset:272
	scratch_load_b128 v[6:9], off, off offset:288
	;; [unrolled: 1-line block ×5, first 2 shown]
	v_mov_b32_e32 v1, 0
	ds_load_b128 v[22:25], v1 offset:768
	ds_load_b128 v[26:29], v1 offset:784
	;; [unrolled: 1-line block ×3, first 2 shown]
	scratch_load_b64 v[30:31], off, off offset:264
	s_mov_b32 s0, exec_lo
	s_wait_loadcnt_dscnt 0x502
	v_mul_f32_e32 v32, v23, v3
	v_dual_mul_f32 v155, v22, v3 :: v_dual_mul_f32 v156, v24, v5
	v_mul_f32_e32 v3, v25, v5
	s_wait_loadcnt_dscnt 0x300
	v_mul_f32_e32 v162, v160, v13
	v_fma_f32 v22, v22, v2, -v32
	v_dual_fmac_f32 v155, v23, v2 :: v_dual_fmac_f32 v156, v25, v4
	v_fma_f32 v23, v24, v4, -v3
	v_mul_f32_e32 v24, v26, v7
	v_mul_f32_e32 v7, v27, v7
	v_dual_mul_f32 v25, v28, v9 :: v_dual_mul_f32 v32, v158, v11
	s_delay_alu instid0(VALU_DEP_3) | instskip(NEXT) | instid1(VALU_DEP_3)
	v_dual_mul_f32 v9, v29, v9 :: v_dual_fmac_f32 v24, v27, v6
	v_fma_f32 v26, v26, v6, -v7
	s_delay_alu instid0(VALU_DEP_3) | instskip(NEXT) | instid1(VALU_DEP_3)
	v_dual_fmac_f32 v25, v29, v8 :: v_dual_fmac_f32 v32, v159, v10
	v_fma_f32 v27, v28, v8, -v9
	scratch_load_b128 v[6:9], off, off offset:352
	ds_load_b128 v[2:5], v1 offset:816
	v_dual_mul_f32 v11, v159, v11 :: v_dual_fmac_f32 v162, v161, v12
	v_mul_f32_e32 v13, v161, v13
	s_delay_alu instid0(VALU_DEP_2) | instskip(NEXT) | instid1(VALU_DEP_2)
	v_fma_f32 v28, v158, v10, -v11
	v_fma_f32 v29, v160, v12, -v13
	ds_load_b128 v[10:13], v1 offset:832
	s_wait_loadcnt_dscnt 0x301
	v_mul_f32_e32 v158, v2, v15
	v_mul_f32_e32 v15, v3, v15
	;; [unrolled: 1-line block ×3, first 2 shown]
	s_delay_alu instid0(VALU_DEP_3) | instskip(SKIP_1) | instid1(VALU_DEP_2)
	v_dual_mul_f32 v17, v5, v17 :: v_dual_fmac_f32 v158, v3, v14
	s_wait_loadcnt_dscnt 0x200
	v_dual_fmac_f32 v159, v5, v16 :: v_dual_mul_f32 v164, v12, v21
	v_fma_f32 v160, v2, v14, -v15
	v_mul_f32_e32 v14, v11, v19
	v_fma_f32 v161, v4, v16, -v17
	ds_load_b128 v[2:5], v1 offset:848
	v_dual_mul_f32 v163, v10, v19 :: v_dual_fmac_f32 v164, v13, v20
	v_mul_f32_e32 v15, v13, v21
	s_delay_alu instid0(VALU_DEP_1) | instskip(SKIP_1) | instid1(VALU_DEP_3)
	v_fma_f32 v19, v12, v20, -v15
	s_wait_loadcnt_dscnt 0x0
	v_dual_mul_f32 v166, v4, v9 :: v_dual_fmac_f32 v163, v11, v18
	v_fma_f32 v18, v10, v18, -v14
	scratch_load_b128 v[10:13], off, off offset:368
	v_mul_f32_e32 v165, v2, v7
	v_mul_f32_e32 v7, v3, v7
	;; [unrolled: 1-line block ×3, first 2 shown]
	s_delay_alu instid0(VALU_DEP_3) | instskip(NEXT) | instid1(VALU_DEP_3)
	v_dual_fmac_f32 v166, v5, v8 :: v_dual_fmac_f32 v165, v3, v6
	v_fma_f32 v167, v2, v6, -v7
	s_delay_alu instid0(VALU_DEP_3)
	v_fma_f32 v168, v4, v8, -v9
	ds_load_b128 v[2:5], v1 offset:864
	ds_load_b128 v[6:9], v1 offset:880
	s_wait_loadcnt_dscnt 0x1
	v_mul_f32_e32 v169, v2, v11
	v_dual_mul_f32 v11, v3, v11 :: v_dual_mul_f32 v170, v4, v13
	s_delay_alu instid0(VALU_DEP_2) | instskip(NEXT) | instid1(VALU_DEP_2)
	v_fmac_f32_e32 v169, v3, v10
	v_fma_f32 v171, v2, v10, -v11
	v_mul_f32_e32 v2, v5, v13
	s_delay_alu instid0(VALU_DEP_4) | instskip(NEXT) | instid1(VALU_DEP_2)
	v_fmac_f32_e32 v170, v5, v12
	v_fma_f32 v172, v4, v12, -v2
	s_clause 0x1
	scratch_load_b128 v[2:5], off, off offset:384
	scratch_load_b128 v[10:13], off, off offset:400
	s_wait_loadcnt_dscnt 0x100
	v_mul_f32_e32 v173, v6, v3
	v_mul_f32_e32 v3, v7, v3
	;; [unrolled: 1-line block ×3, first 2 shown]
	s_delay_alu instid0(VALU_DEP_2) | instskip(SKIP_1) | instid1(VALU_DEP_1)
	v_fma_f32 v174, v6, v2, -v3
	v_add_f32_e32 v3, 0, v155
	v_add_f32_e32 v6, v3, v156
	s_delay_alu instid0(VALU_DEP_1) | instskip(NEXT) | instid1(VALU_DEP_1)
	v_add_f32_e32 v14, v6, v24
	v_dual_add_f32 v14, v14, v25 :: v_dual_fmac_f32 v173, v7, v2
	v_mul_f32_e32 v2, v9, v5
	s_delay_alu instid0(VALU_DEP_2) | instskip(NEXT) | instid1(VALU_DEP_2)
	v_add_f32_e32 v14, v14, v32
	v_fma_f32 v176, v8, v4, -v2
	v_add_f32_e32 v2, 0, v22
	s_delay_alu instid0(VALU_DEP_3) | instskip(NEXT) | instid1(VALU_DEP_1)
	v_add_f32_e32 v21, v14, v162
	v_dual_add_f32 v2, v2, v23 :: v_dual_add_f32 v21, v21, v158
	s_delay_alu instid0(VALU_DEP_1) | instskip(NEXT) | instid1(VALU_DEP_1)
	v_add_f32_e32 v21, v21, v159
	v_dual_add_f32 v7, v2, v26 :: v_dual_add_f32 v22, v21, v163
	s_delay_alu instid0(VALU_DEP_1) | instskip(SKIP_2) | instid1(VALU_DEP_1)
	v_add_f32_e32 v15, v7, v27
	scratch_load_b64 v[26:27], off, off offset:480
	v_add_f32_e32 v22, v22, v164
	v_dual_add_f32 v15, v15, v28 :: v_dual_add_f32 v22, v22, v165
	s_delay_alu instid0(VALU_DEP_1)
	v_dual_fmac_f32 v175, v9, v4 :: v_dual_add_f32 v20, v15, v29
	scratch_load_b128 v[2:5], off, off offset:416
	ds_load_b128 v[6:9], v1 offset:896
	ds_load_b128 v[14:17], v1 offset:912
	v_add_f32_e32 v22, v22, v166
	v_add_f32_e32 v20, v20, v160
	s_delay_alu instid0(VALU_DEP_1) | instskip(NEXT) | instid1(VALU_DEP_1)
	v_add_f32_e32 v20, v20, v161
	v_add_f32_e32 v18, v20, v18
	s_wait_loadcnt_dscnt 0x201
	v_mul_f32_e32 v32, v6, v11
	v_mul_f32_e32 v11, v7, v11
	;; [unrolled: 1-line block ×3, first 2 shown]
	s_delay_alu instid0(VALU_DEP_3) | instskip(NEXT) | instid1(VALU_DEP_3)
	v_dual_mul_f32 v13, v9, v13 :: v_dual_fmac_f32 v32, v7, v10
	v_fma_f32 v156, v6, v10, -v11
	s_delay_alu instid0(VALU_DEP_3) | instskip(NEXT) | instid1(VALU_DEP_3)
	v_fmac_f32_e32 v155, v9, v12
	v_fma_f32 v158, v8, v12, -v13
	s_clause 0x1
	scratch_load_b128 v[6:9], off, off offset:432
	scratch_load_b128 v[10:13], off, off offset:448
	s_wait_loadcnt_dscnt 0x200
	v_dual_mul_f32 v160, v16, v5 :: v_dual_add_f32 v23, v18, v19
	scratch_load_b128 v[18:21], off, off offset:464
	v_mul_f32_e32 v159, v14, v3
	v_dual_mul_f32 v3, v15, v3 :: v_dual_fmac_f32 v160, v17, v4
	s_delay_alu instid0(VALU_DEP_1) | instskip(SKIP_1) | instid1(VALU_DEP_1)
	v_fma_f32 v161, v14, v2, -v3
	v_add_f32_e32 v14, v22, v169
	v_add_f32_e32 v22, v14, v170
	s_delay_alu instid0(VALU_DEP_1) | instskip(NEXT) | instid1(VALU_DEP_1)
	v_add_f32_e32 v29, v22, v173
	v_dual_fmac_f32 v159, v15, v2 :: v_dual_add_f32 v164, v29, v175
	s_delay_alu instid0(VALU_DEP_1) | instskip(NEXT) | instid1(VALU_DEP_1)
	v_dual_add_f32 v23, v23, v167 :: v_dual_add_f32 v32, v164, v32
	v_add_f32_e32 v23, v23, v168
	s_delay_alu instid0(VALU_DEP_2) | instskip(NEXT) | instid1(VALU_DEP_1)
	v_dual_mul_f32 v5, v17, v5 :: v_dual_add_f32 v32, v32, v155
	v_fma_f32 v162, v16, v4, -v5
	s_delay_alu instid0(VALU_DEP_3)
	v_add_f32_e32 v23, v23, v171
	ds_load_b128 v[2:5], v1 offset:928
	v_dual_add_f32 v32, v32, v159 :: v_dual_add_f32 v15, v23, v172
	ds_load_b128 v[22:25], v1 offset:960
	v_add_f32_e32 v32, v32, v160
	v_add_f32_e32 v28, v15, v174
	ds_load_b128 v[14:17], v1 offset:944
	v_add_f32_e32 v163, v28, v176
	ds_load_b64 v[28:29], v1 offset:976
	s_wait_loadcnt_dscnt 0x203
	v_dual_add_f32 v156, v163, v156 :: v_dual_mul_f32 v163, v2, v7
	s_delay_alu instid0(VALU_DEP_1) | instskip(NEXT) | instid1(VALU_DEP_1)
	v_dual_mul_f32 v7, v3, v7 :: v_dual_add_f32 v156, v156, v158
	v_fma_f32 v2, v2, v6, -v7
	s_delay_alu instid0(VALU_DEP_2) | instskip(SKIP_2) | instid1(VALU_DEP_2)
	v_add_f32_e32 v156, v156, v161
	s_wait_loadcnt_dscnt 0x101
	v_dual_mul_f32 v158, v14, v11 :: v_dual_mul_f32 v155, v4, v9
	v_dual_mul_f32 v9, v5, v9 :: v_dual_add_f32 v156, v156, v162
	s_wait_dscnt 0x0
	v_mul_f32_e32 v160, v28, v27
	s_delay_alu instid0(VALU_DEP_3) | instskip(NEXT) | instid1(VALU_DEP_3)
	v_fmac_f32_e32 v158, v15, v10
	v_add_f32_e32 v2, v156, v2
	s_wait_loadcnt 0x0
	s_delay_alu instid0(VALU_DEP_3) | instskip(SKIP_4) | instid1(VALU_DEP_4)
	v_dual_fmac_f32 v160, v29, v26 :: v_dual_mul_f32 v161, v22, v19
	v_dual_mul_f32 v162, v24, v21 :: v_dual_fmac_f32 v163, v3, v6
	v_mul_f32_e32 v6, v17, v13
	v_fma_f32 v3, v4, v8, -v9
	v_dual_mul_f32 v4, v15, v11 :: v_dual_mul_f32 v159, v16, v13
	v_fmac_f32_e32 v162, v25, v20
	s_delay_alu instid0(VALU_DEP_4) | instskip(NEXT) | instid1(VALU_DEP_4)
	v_fma_f32 v6, v16, v12, -v6
	v_add_f32_e32 v2, v2, v3
	s_delay_alu instid0(VALU_DEP_4) | instskip(NEXT) | instid1(VALU_DEP_1)
	v_fma_f32 v4, v14, v10, -v4
	v_dual_fmac_f32 v161, v23, v18 :: v_dual_add_f32 v2, v2, v4
	v_fmac_f32_e32 v155, v5, v8
	v_dual_add_f32 v5, v32, v163 :: v_dual_mul_f32 v4, v25, v21
	s_delay_alu instid0(VALU_DEP_3) | instskip(SKIP_1) | instid1(VALU_DEP_3)
	v_add_f32_e32 v2, v2, v6
	v_mul_f32_e32 v6, v29, v27
	v_add_f32_e32 v3, v5, v155
	v_mul_f32_e32 v5, v23, v19
	v_fma_f32 v4, v24, v20, -v4
	s_delay_alu instid0(VALU_DEP_2) | instskip(NEXT) | instid1(VALU_DEP_1)
	v_fma_f32 v5, v22, v18, -v5
	v_dual_add_f32 v2, v2, v5 :: v_dual_add_f32 v3, v3, v158
	v_fma_f32 v5, v28, v26, -v6
	s_delay_alu instid0(VALU_DEP_2) | instskip(NEXT) | instid1(VALU_DEP_1)
	v_add_f32_e32 v2, v2, v4
	v_dual_fmac_f32 v159, v17, v12 :: v_dual_add_f32 v2, v2, v5
	s_delay_alu instid0(VALU_DEP_1) | instskip(NEXT) | instid1(VALU_DEP_1)
	v_dual_add_f32 v3, v3, v159 :: v_dual_sub_f32 v2, v30, v2
	v_add_f32_e32 v3, v3, v161
	s_delay_alu instid0(VALU_DEP_1) | instskip(NEXT) | instid1(VALU_DEP_1)
	v_add_f32_e32 v3, v3, v162
	v_add_f32_e32 v3, v3, v160
	s_delay_alu instid0(VALU_DEP_1)
	v_sub_f32_e32 v3, v31, v3
	scratch_store_b64 off, v[2:3], off offset:264
	v_cmpx_lt_u32_e32 32, v0
	s_cbranch_execz .LBB124_315
; %bb.314:
	scratch_load_b64 v[3:4], off, off offset:256
	v_mov_b32_e32 v2, v1
	scratch_store_b64 off, v[1:2], off offset:256
	s_wait_loadcnt 0x0
	ds_store_b64 v157, v[3:4]
.LBB124_315:
	s_wait_alu 0xfffe
	s_or_b32 exec_lo, exec_lo, s0
	s_wait_storecnt_dscnt 0x0
	s_barrier_signal -1
	s_barrier_wait -1
	global_inv scope:SCOPE_SE
	s_clause 0x4
	scratch_load_b128 v[2:5], off, off offset:264
	scratch_load_b128 v[6:9], off, off offset:280
	;; [unrolled: 1-line block ×5, first 2 shown]
	ds_load_2addr_b64 v[22:25], v1 offset0:95 offset1:96
	ds_load_2addr_b64 v[26:29], v1 offset0:97 offset1:98
	;; [unrolled: 1-line block ×3, first 2 shown]
	scratch_load_b64 v[30:31], off, off offset:256
	s_mov_b32 s0, exec_lo
	s_wait_loadcnt_dscnt 0x502
	v_mul_f32_e32 v32, v23, v3
	v_dual_mul_f32 v155, v22, v3 :: v_dual_mul_f32 v156, v24, v5
	v_mul_f32_e32 v3, v25, v5
	s_wait_loadcnt_dscnt 0x300
	v_mul_f32_e32 v162, v160, v13
	v_fma_f32 v22, v22, v2, -v32
	v_dual_fmac_f32 v155, v23, v2 :: v_dual_fmac_f32 v156, v25, v4
	v_fma_f32 v23, v24, v4, -v3
	ds_load_2addr_b64 v[2:5], v1 offset0:101 offset1:102
	v_dual_mul_f32 v24, v26, v7 :: v_dual_mul_f32 v25, v28, v9
	v_mul_f32_e32 v7, v27, v7
	v_dual_mul_f32 v9, v29, v9 :: v_dual_mul_f32 v32, v158, v11
	v_dual_mul_f32 v11, v159, v11 :: v_dual_fmac_f32 v162, v161, v12
	s_delay_alu instid0(VALU_DEP_4) | instskip(SKIP_1) | instid1(VALU_DEP_4)
	v_dual_mul_f32 v13, v161, v13 :: v_dual_fmac_f32 v24, v27, v6
	v_fmac_f32_e32 v25, v29, v8
	v_fma_f32 v27, v28, v8, -v9
	v_fmac_f32_e32 v32, v159, v10
	v_fma_f32 v28, v158, v10, -v11
	v_fma_f32 v29, v160, v12, -v13
	ds_load_2addr_b64 v[10:13], v1 offset0:103 offset1:104
	v_fma_f32 v26, v26, v6, -v7
	scratch_load_b128 v[6:9], off, off offset:344
	s_wait_loadcnt_dscnt 0x301
	v_dual_mul_f32 v158, v2, v15 :: v_dual_mul_f32 v159, v4, v17
	v_mul_f32_e32 v15, v3, v15
	s_delay_alu instid0(VALU_DEP_2) | instskip(NEXT) | instid1(VALU_DEP_3)
	v_dual_mul_f32 v17, v5, v17 :: v_dual_fmac_f32 v158, v3, v14
	v_fmac_f32_e32 v159, v5, v16
	s_delay_alu instid0(VALU_DEP_3) | instskip(NEXT) | instid1(VALU_DEP_3)
	v_fma_f32 v14, v2, v14, -v15
	v_fma_f32 v15, v4, v16, -v17
	ds_load_2addr_b64 v[2:5], v1 offset0:105 offset1:106
	s_wait_loadcnt_dscnt 0x201
	v_mul_f32_e32 v16, v10, v19
	v_mul_f32_e32 v17, v11, v19
	;; [unrolled: 1-line block ×3, first 2 shown]
	s_delay_alu instid0(VALU_DEP_3) | instskip(NEXT) | instid1(VALU_DEP_3)
	v_dual_mul_f32 v21, v13, v21 :: v_dual_fmac_f32 v16, v11, v18
	v_fma_f32 v17, v10, v18, -v17
	s_delay_alu instid0(VALU_DEP_3) | instskip(NEXT) | instid1(VALU_DEP_3)
	v_fmac_f32_e32 v19, v13, v20
	v_fma_f32 v18, v12, v20, -v21
	scratch_load_b128 v[10:13], off, off offset:360
	s_wait_loadcnt_dscnt 0x100
	v_mul_f32_e32 v20, v2, v7
	v_mul_f32_e32 v7, v3, v7
	;; [unrolled: 1-line block ×3, first 2 shown]
	s_delay_alu instid0(VALU_DEP_3) | instskip(NEXT) | instid1(VALU_DEP_3)
	v_dual_mul_f32 v9, v5, v9 :: v_dual_fmac_f32 v20, v3, v6
	v_fma_f32 v160, v2, v6, -v7
	s_delay_alu instid0(VALU_DEP_3) | instskip(NEXT) | instid1(VALU_DEP_3)
	v_fmac_f32_e32 v21, v5, v8
	v_fma_f32 v161, v4, v8, -v9
	ds_load_2addr_b64 v[2:5], v1 offset0:107 offset1:108
	ds_load_2addr_b64 v[6:9], v1 offset0:109 offset1:110
	s_wait_loadcnt_dscnt 0x1
	v_mul_f32_e32 v163, v2, v11
	v_dual_mul_f32 v11, v3, v11 :: v_dual_mul_f32 v164, v4, v13
	s_delay_alu instid0(VALU_DEP_2) | instskip(NEXT) | instid1(VALU_DEP_2)
	v_fmac_f32_e32 v163, v3, v10
	v_fma_f32 v165, v2, v10, -v11
	v_mul_f32_e32 v2, v5, v13
	s_delay_alu instid0(VALU_DEP_4) | instskip(NEXT) | instid1(VALU_DEP_2)
	v_fmac_f32_e32 v164, v5, v12
	v_fma_f32 v166, v4, v12, -v2
	s_clause 0x1
	scratch_load_b128 v[2:5], off, off offset:376
	scratch_load_b128 v[10:13], off, off offset:392
	s_wait_loadcnt_dscnt 0x100
	v_mul_f32_e32 v167, v6, v3
	v_mul_f32_e32 v3, v7, v3
	;; [unrolled: 1-line block ×3, first 2 shown]
	s_delay_alu instid0(VALU_DEP_3) | instskip(NEXT) | instid1(VALU_DEP_3)
	v_fmac_f32_e32 v167, v7, v2
	v_fma_f32 v168, v6, v2, -v3
	v_mul_f32_e32 v2, v9, v5
	s_delay_alu instid0(VALU_DEP_4) | instskip(NEXT) | instid1(VALU_DEP_2)
	v_fmac_f32_e32 v169, v9, v4
	v_fma_f32 v170, v8, v4, -v2
	ds_load_2addr_b64 v[2:5], v1 offset0:111 offset1:112
	ds_load_2addr_b64 v[6:9], v1 offset0:113 offset1:114
	s_wait_loadcnt_dscnt 0x1
	v_mul_f32_e32 v171, v2, v11
	v_mul_f32_e32 v173, v4, v13
	s_delay_alu instid0(VALU_DEP_2) | instskip(SKIP_1) | instid1(VALU_DEP_3)
	v_fmac_f32_e32 v171, v3, v10
	v_mul_f32_e32 v3, v3, v11
	v_fmac_f32_e32 v173, v5, v12
	s_delay_alu instid0(VALU_DEP_2) | instskip(SKIP_1) | instid1(VALU_DEP_1)
	v_fma_f32 v172, v2, v10, -v3
	v_mul_f32_e32 v2, v5, v13
	v_fma_f32 v174, v4, v12, -v2
	s_clause 0x1
	scratch_load_b128 v[2:5], off, off offset:408
	scratch_load_b128 v[10:13], off, off offset:424
	s_wait_loadcnt_dscnt 0x100
	v_mul_f32_e32 v175, v6, v3
	v_mul_f32_e32 v3, v7, v3
	s_delay_alu instid0(VALU_DEP_2) | instskip(NEXT) | instid1(VALU_DEP_2)
	v_fmac_f32_e32 v175, v7, v2
	v_fma_f32 v176, v6, v2, -v3
	v_dual_mul_f32 v2, v9, v5 :: v_dual_add_f32 v3, 0, v155
	s_delay_alu instid0(VALU_DEP_1) | instskip(NEXT) | instid1(VALU_DEP_2)
	v_fma_f32 v178, v8, v4, -v2
	v_dual_add_f32 v2, 0, v22 :: v_dual_add_f32 v3, v3, v156
	s_delay_alu instid0(VALU_DEP_1) | instskip(NEXT) | instid1(VALU_DEP_1)
	v_add_f32_e32 v2, v2, v23
	v_add_f32_e32 v2, v2, v26
	s_delay_alu instid0(VALU_DEP_1) | instskip(NEXT) | instid1(VALU_DEP_1)
	v_add_f32_e32 v2, v2, v27
	v_add_f32_e32 v2, v2, v28
	s_delay_alu instid0(VALU_DEP_1) | instskip(NEXT) | instid1(VALU_DEP_1)
	v_add_f32_e32 v7, v2, v29
	v_add_f32_e32 v7, v7, v14
	s_delay_alu instid0(VALU_DEP_1) | instskip(NEXT) | instid1(VALU_DEP_1)
	v_add_f32_e32 v14, v7, v15
	v_add_f32_e32 v14, v14, v17
	s_delay_alu instid0(VALU_DEP_1) | instskip(NEXT) | instid1(VALU_DEP_1)
	v_add_f32_e32 v14, v14, v18
	v_add_f32_e32 v14, v14, v160
	v_add_f32_e32 v3, v3, v24
	s_delay_alu instid0(VALU_DEP_1) | instskip(NEXT) | instid1(VALU_DEP_1)
	v_add_f32_e32 v3, v3, v25
	v_add_f32_e32 v6, v3, v32
	s_delay_alu instid0(VALU_DEP_1) | instskip(NEXT) | instid1(VALU_DEP_1)
	v_add_f32_e32 v6, v6, v162
	v_add_f32_e32 v6, v6, v158
	s_delay_alu instid0(VALU_DEP_1) | instskip(NEXT) | instid1(VALU_DEP_1)
	v_add_f32_e32 v15, v6, v159
	v_add_f32_e32 v15, v15, v16
	s_delay_alu instid0(VALU_DEP_1) | instskip(NEXT) | instid1(VALU_DEP_1)
	v_add_f32_e32 v15, v15, v19
	v_dual_add_f32 v19, v14, v161 :: v_dual_add_f32 v18, v15, v20
	scratch_load_b128 v[14:17], off, off offset:472
	v_add_f32_e32 v19, v19, v165
	v_add_f32_e32 v18, v18, v21
	v_mul_f32_e32 v177, v8, v5
	s_delay_alu instid0(VALU_DEP_2) | instskip(NEXT) | instid1(VALU_DEP_1)
	v_dual_add_f32 v19, v19, v166 :: v_dual_add_f32 v18, v18, v163
	v_add_f32_e32 v22, v19, v168
	s_delay_alu instid0(VALU_DEP_3) | instskip(SKIP_4) | instid1(VALU_DEP_2)
	v_fmac_f32_e32 v177, v9, v4
	ds_load_2addr_b64 v[2:5], v1 offset0:115 offset1:116
	ds_load_2addr_b64 v[6:9], v1 offset0:117 offset1:118
	v_add_f32_e32 v18, v18, v164
	v_add_f32_e32 v32, v22, v170
	;; [unrolled: 1-line block ×3, first 2 shown]
	ds_load_2addr_b64 v[18:21], v1 offset0:119 offset1:120
	v_add_f32_e32 v155, v23, v169
	ds_load_2addr_b64 v[22:25], v1 offset0:121 offset1:122
	v_dual_add_f32 v1, v32, v172 :: v_dual_add_f32 v32, v155, v171
	s_wait_loadcnt_dscnt 0x103
	v_dual_mul_f32 v27, v4, v13 :: v_dual_mul_f32 v26, v2, v11
	v_mul_f32_e32 v11, v3, v11
	v_mul_f32_e32 v13, v5, v13
	s_delay_alu instid0(VALU_DEP_3) | instskip(NEXT) | instid1(VALU_DEP_4)
	v_dual_add_f32 v32, v32, v173 :: v_dual_fmac_f32 v27, v5, v12
	v_fmac_f32_e32 v26, v3, v10
	s_delay_alu instid0(VALU_DEP_4) | instskip(NEXT) | instid1(VALU_DEP_3)
	v_fma_f32 v28, v2, v10, -v11
	v_add_f32_e32 v32, v32, v175
	s_delay_alu instid0(VALU_DEP_1) | instskip(NEXT) | instid1(VALU_DEP_1)
	v_add_f32_e32 v32, v32, v177
	v_add_f32_e32 v26, v32, v26
	s_wait_loadcnt_dscnt 0x0
	v_mul_f32_e32 v160, v22, v15
	v_fma_f32 v29, v4, v12, -v13
	s_clause 0x1
	scratch_load_b128 v[2:5], off, off offset:440
	scratch_load_b128 v[10:13], off, off offset:456
	s_wait_loadcnt 0x1
	v_dual_fmac_f32 v160, v23, v14 :: v_dual_mul_f32 v155, v6, v3
	v_dual_mul_f32 v3, v7, v3 :: v_dual_mul_f32 v156, v8, v5
	s_wait_loadcnt 0x0
	v_dual_mul_f32 v158, v18, v11 :: v_dual_mul_f32 v159, v20, v13
	s_delay_alu instid0(VALU_DEP_3) | instskip(NEXT) | instid1(VALU_DEP_3)
	v_fmac_f32_e32 v155, v7, v2
	v_fma_f32 v3, v6, v2, -v3
	v_mul_f32_e32 v6, v19, v11
	v_add_f32_e32 v2, v26, v27
	v_fmac_f32_e32 v156, v9, v4
	v_dual_fmac_f32 v158, v19, v10 :: v_dual_fmac_f32 v159, v21, v12
	s_delay_alu instid0(VALU_DEP_3) | instskip(NEXT) | instid1(VALU_DEP_1)
	v_dual_mul_f32 v5, v9, v5 :: v_dual_add_f32 v2, v2, v155
	v_fma_f32 v4, v8, v4, -v5
	s_delay_alu instid0(VALU_DEP_2) | instskip(SKIP_1) | instid1(VALU_DEP_2)
	v_add_f32_e32 v2, v2, v156
	v_fma_f32 v5, v18, v10, -v6
	v_add_f32_e32 v2, v2, v158
	s_delay_alu instid0(VALU_DEP_1) | instskip(NEXT) | instid1(VALU_DEP_1)
	v_dual_add_f32 v1, v1, v174 :: v_dual_add_f32 v2, v2, v159
	v_add_f32_e32 v1, v1, v176
	s_delay_alu instid0(VALU_DEP_1) | instskip(NEXT) | instid1(VALU_DEP_1)
	v_dual_add_f32 v2, v2, v160 :: v_dual_add_f32 v1, v1, v178
	v_dual_add_f32 v1, v1, v28 :: v_dual_mul_f32 v28, v24, v17
	s_delay_alu instid0(VALU_DEP_1) | instskip(NEXT) | instid1(VALU_DEP_2)
	v_add_f32_e32 v1, v1, v29
	v_fmac_f32_e32 v28, v25, v16
	s_delay_alu instid0(VALU_DEP_2) | instskip(NEXT) | instid1(VALU_DEP_2)
	v_add_f32_e32 v1, v1, v3
	v_dual_mul_f32 v3, v21, v13 :: v_dual_add_f32 v2, v2, v28
	s_delay_alu instid0(VALU_DEP_2) | instskip(NEXT) | instid1(VALU_DEP_2)
	v_dual_add_f32 v1, v1, v4 :: v_dual_mul_f32 v4, v23, v15
	v_fma_f32 v3, v20, v12, -v3
	s_delay_alu instid0(VALU_DEP_2) | instskip(SKIP_1) | instid1(VALU_DEP_4)
	v_dual_sub_f32 v2, v31, v2 :: v_dual_add_f32 v1, v1, v5
	v_mul_f32_e32 v5, v25, v17
	v_fma_f32 v4, v22, v14, -v4
	s_delay_alu instid0(VALU_DEP_3) | instskip(NEXT) | instid1(VALU_DEP_3)
	v_add_f32_e32 v1, v1, v3
	v_fma_f32 v3, v24, v16, -v5
	s_delay_alu instid0(VALU_DEP_2) | instskip(NEXT) | instid1(VALU_DEP_1)
	v_add_f32_e32 v1, v1, v4
	v_add_f32_e32 v1, v1, v3
	s_delay_alu instid0(VALU_DEP_1)
	v_sub_f32_e32 v1, v30, v1
	scratch_store_b64 off, v[1:2], off offset:256
	v_cmpx_lt_u32_e32 31, v0
	s_cbranch_execz .LBB124_317
; %bb.316:
	scratch_load_b64 v[1:2], off, off offset:248
	v_mov_b32_e32 v3, 0
	s_delay_alu instid0(VALU_DEP_1)
	v_mov_b32_e32 v4, v3
	scratch_store_b64 off, v[3:4], off offset:248
	s_wait_loadcnt 0x0
	ds_store_b64 v157, v[1:2]
.LBB124_317:
	s_wait_alu 0xfffe
	s_or_b32 exec_lo, exec_lo, s0
	s_wait_storecnt_dscnt 0x0
	s_barrier_signal -1
	s_barrier_wait -1
	global_inv scope:SCOPE_SE
	s_clause 0x4
	scratch_load_b128 v[2:5], off, off offset:256
	scratch_load_b128 v[6:9], off, off offset:272
	;; [unrolled: 1-line block ×5, first 2 shown]
	v_mov_b32_e32 v1, 0
	ds_load_b128 v[22:25], v1 offset:752
	ds_load_b128 v[26:29], v1 offset:768
	ds_load_b128 v[158:161], v1 offset:784
	scratch_load_b64 v[30:31], off, off offset:248
	s_mov_b32 s0, exec_lo
	s_wait_loadcnt_dscnt 0x502
	v_mul_f32_e32 v32, v23, v3
	v_dual_mul_f32 v155, v22, v3 :: v_dual_mul_f32 v156, v24, v5
	v_mul_f32_e32 v3, v25, v5
	s_wait_loadcnt_dscnt 0x300
	v_mul_f32_e32 v162, v160, v13
	v_fma_f32 v22, v22, v2, -v32
	v_dual_fmac_f32 v155, v23, v2 :: v_dual_fmac_f32 v156, v25, v4
	v_fma_f32 v23, v24, v4, -v3
	ds_load_b128 v[2:5], v1 offset:800
	v_mul_f32_e32 v24, v26, v7
	v_mul_f32_e32 v7, v27, v7
	v_dual_mul_f32 v25, v28, v9 :: v_dual_mul_f32 v32, v158, v11
	s_delay_alu instid0(VALU_DEP_3) | instskip(SKIP_2) | instid1(VALU_DEP_4)
	v_dual_mul_f32 v9, v29, v9 :: v_dual_fmac_f32 v24, v27, v6
	v_dual_mul_f32 v11, v159, v11 :: v_dual_fmac_f32 v162, v161, v12
	v_mul_f32_e32 v13, v161, v13
	v_dual_fmac_f32 v25, v29, v8 :: v_dual_fmac_f32 v32, v159, v10
	s_delay_alu instid0(VALU_DEP_4) | instskip(NEXT) | instid1(VALU_DEP_4)
	v_fma_f32 v27, v28, v8, -v9
	v_fma_f32 v28, v158, v10, -v11
	s_delay_alu instid0(VALU_DEP_4)
	v_fma_f32 v29, v160, v12, -v13
	ds_load_b128 v[10:13], v1 offset:816
	v_fma_f32 v26, v26, v6, -v7
	scratch_load_b128 v[6:9], off, off offset:336
	s_wait_loadcnt_dscnt 0x301
	v_mul_f32_e32 v158, v2, v15
	v_mul_f32_e32 v15, v3, v15
	;; [unrolled: 1-line block ×3, first 2 shown]
	s_delay_alu instid0(VALU_DEP_3) | instskip(NEXT) | instid1(VALU_DEP_3)
	v_dual_mul_f32 v17, v5, v17 :: v_dual_fmac_f32 v158, v3, v14
	v_fma_f32 v14, v2, v14, -v15
	s_delay_alu instid0(VALU_DEP_3) | instskip(NEXT) | instid1(VALU_DEP_3)
	v_fmac_f32_e32 v159, v5, v16
	v_fma_f32 v15, v4, v16, -v17
	ds_load_b128 v[2:5], v1 offset:832
	s_wait_loadcnt_dscnt 0x201
	v_mul_f32_e32 v16, v10, v19
	v_mul_f32_e32 v17, v11, v19
	;; [unrolled: 1-line block ×3, first 2 shown]
	s_delay_alu instid0(VALU_DEP_3) | instskip(NEXT) | instid1(VALU_DEP_3)
	v_dual_mul_f32 v21, v13, v21 :: v_dual_fmac_f32 v16, v11, v18
	v_fma_f32 v17, v10, v18, -v17
	s_delay_alu instid0(VALU_DEP_3) | instskip(NEXT) | instid1(VALU_DEP_3)
	v_fmac_f32_e32 v19, v13, v20
	v_fma_f32 v18, v12, v20, -v21
	scratch_load_b128 v[10:13], off, off offset:352
	s_wait_loadcnt_dscnt 0x100
	v_mul_f32_e32 v20, v2, v7
	v_mul_f32_e32 v7, v3, v7
	;; [unrolled: 1-line block ×3, first 2 shown]
	s_delay_alu instid0(VALU_DEP_3) | instskip(NEXT) | instid1(VALU_DEP_3)
	v_dual_mul_f32 v9, v5, v9 :: v_dual_fmac_f32 v20, v3, v6
	v_fma_f32 v160, v2, v6, -v7
	s_delay_alu instid0(VALU_DEP_3) | instskip(NEXT) | instid1(VALU_DEP_3)
	v_fmac_f32_e32 v21, v5, v8
	v_fma_f32 v161, v4, v8, -v9
	ds_load_b128 v[2:5], v1 offset:848
	ds_load_b128 v[6:9], v1 offset:864
	s_wait_loadcnt_dscnt 0x1
	v_mul_f32_e32 v163, v2, v11
	v_dual_mul_f32 v11, v3, v11 :: v_dual_mul_f32 v164, v4, v13
	s_delay_alu instid0(VALU_DEP_2) | instskip(NEXT) | instid1(VALU_DEP_2)
	v_fmac_f32_e32 v163, v3, v10
	v_fma_f32 v165, v2, v10, -v11
	v_mul_f32_e32 v2, v5, v13
	s_delay_alu instid0(VALU_DEP_4) | instskip(NEXT) | instid1(VALU_DEP_2)
	v_fmac_f32_e32 v164, v5, v12
	v_fma_f32 v166, v4, v12, -v2
	s_clause 0x1
	scratch_load_b128 v[2:5], off, off offset:368
	scratch_load_b128 v[10:13], off, off offset:384
	s_wait_loadcnt_dscnt 0x100
	v_mul_f32_e32 v167, v6, v3
	v_mul_f32_e32 v3, v7, v3
	;; [unrolled: 1-line block ×3, first 2 shown]
	s_delay_alu instid0(VALU_DEP_3) | instskip(NEXT) | instid1(VALU_DEP_3)
	v_fmac_f32_e32 v167, v7, v2
	v_fma_f32 v168, v6, v2, -v3
	v_mul_f32_e32 v2, v9, v5
	s_delay_alu instid0(VALU_DEP_4) | instskip(NEXT) | instid1(VALU_DEP_2)
	v_fmac_f32_e32 v169, v9, v4
	v_fma_f32 v170, v8, v4, -v2
	ds_load_b128 v[2:5], v1 offset:880
	ds_load_b128 v[6:9], v1 offset:896
	s_wait_loadcnt_dscnt 0x1
	v_mul_f32_e32 v171, v2, v11
	v_mul_f32_e32 v173, v4, v13
	s_delay_alu instid0(VALU_DEP_2) | instskip(SKIP_1) | instid1(VALU_DEP_3)
	v_fmac_f32_e32 v171, v3, v10
	v_mul_f32_e32 v3, v3, v11
	v_fmac_f32_e32 v173, v5, v12
	s_delay_alu instid0(VALU_DEP_2) | instskip(SKIP_1) | instid1(VALU_DEP_1)
	v_fma_f32 v172, v2, v10, -v3
	v_mul_f32_e32 v2, v5, v13
	v_fma_f32 v174, v4, v12, -v2
	s_clause 0x1
	scratch_load_b128 v[2:5], off, off offset:400
	scratch_load_b128 v[10:13], off, off offset:416
	s_wait_loadcnt_dscnt 0x100
	v_mul_f32_e32 v175, v6, v3
	v_mul_f32_e32 v3, v7, v3
	s_delay_alu instid0(VALU_DEP_2) | instskip(NEXT) | instid1(VALU_DEP_2)
	v_fmac_f32_e32 v175, v7, v2
	v_fma_f32 v176, v6, v2, -v3
	v_mul_f32_e32 v2, v9, v5
	s_delay_alu instid0(VALU_DEP_1) | instskip(SKIP_1) | instid1(VALU_DEP_1)
	v_fma_f32 v178, v8, v4, -v2
	v_add_f32_e32 v2, 0, v22
	v_add_f32_e32 v2, v2, v23
	s_delay_alu instid0(VALU_DEP_1) | instskip(NEXT) | instid1(VALU_DEP_1)
	v_add_f32_e32 v2, v2, v26
	v_add_f32_e32 v2, v2, v27
	scratch_load_b64 v[26:27], off, off offset:480
	v_add_f32_e32 v2, v2, v28
	s_delay_alu instid0(VALU_DEP_1) | instskip(NEXT) | instid1(VALU_DEP_1)
	v_add_f32_e32 v7, v2, v29
	v_add_f32_e32 v7, v7, v14
	s_delay_alu instid0(VALU_DEP_1) | instskip(NEXT) | instid1(VALU_DEP_1)
	v_add_f32_e32 v14, v7, v15
	v_dual_add_f32 v3, 0, v155 :: v_dual_add_f32 v14, v14, v17
	s_delay_alu instid0(VALU_DEP_1) | instskip(NEXT) | instid1(VALU_DEP_1)
	v_dual_add_f32 v3, v3, v156 :: v_dual_add_f32 v14, v14, v18
	v_add_f32_e32 v14, v14, v160
	s_delay_alu instid0(VALU_DEP_2) | instskip(NEXT) | instid1(VALU_DEP_1)
	v_add_f32_e32 v3, v3, v24
	v_add_f32_e32 v3, v3, v25
	s_delay_alu instid0(VALU_DEP_1) | instskip(NEXT) | instid1(VALU_DEP_1)
	v_add_f32_e32 v6, v3, v32
	v_add_f32_e32 v6, v6, v162
	s_delay_alu instid0(VALU_DEP_1) | instskip(NEXT) | instid1(VALU_DEP_1)
	;; [unrolled: 3-line block ×4, first 2 shown]
	v_dual_add_f32 v19, v14, v161 :: v_dual_add_f32 v18, v15, v20
	v_add_f32_e32 v19, v19, v165
	scratch_load_b128 v[14:17], off, off offset:464
	v_add_f32_e32 v18, v18, v21
	v_mul_f32_e32 v177, v8, v5
	s_delay_alu instid0(VALU_DEP_2) | instskip(NEXT) | instid1(VALU_DEP_1)
	v_dual_add_f32 v19, v19, v166 :: v_dual_add_f32 v18, v18, v163
	v_add_f32_e32 v19, v19, v168
	s_delay_alu instid0(VALU_DEP_2) | instskip(NEXT) | instid1(VALU_DEP_4)
	v_add_f32_e32 v18, v18, v164
	v_fmac_f32_e32 v177, v9, v4
	ds_load_b128 v[2:5], v1 offset:912
	ds_load_b128 v[6:9], v1 offset:928
	v_dual_add_f32 v19, v19, v170 :: v_dual_add_f32 v18, v18, v167
	s_delay_alu instid0(VALU_DEP_1) | instskip(NEXT) | instid1(VALU_DEP_2)
	v_add_f32_e32 v28, v19, v172
	v_add_f32_e32 v22, v18, v169
	ds_load_b128 v[18:21], v1 offset:944
	v_add_f32_e32 v29, v22, v171
	ds_load_b128 v[22:25], v1 offset:960
	v_dual_add_f32 v159, v28, v174 :: v_dual_add_f32 v160, v29, v173
	ds_load_b64 v[28:29], v1 offset:976
	s_wait_loadcnt_dscnt 0x204
	v_mul_f32_e32 v32, v2, v11
	v_mul_f32_e32 v11, v3, v11
	v_dual_add_f32 v159, v159, v176 :: v_dual_add_f32 v160, v160, v175
	s_delay_alu instid0(VALU_DEP_3) | instskip(NEXT) | instid1(VALU_DEP_3)
	v_fmac_f32_e32 v32, v3, v10
	v_fma_f32 v156, v2, v10, -v11
	s_delay_alu instid0(VALU_DEP_3) | instskip(SKIP_2) | instid1(VALU_DEP_3)
	v_add_f32_e32 v159, v159, v178
	v_mul_f32_e32 v155, v4, v13
	v_add_f32_e32 v160, v160, v177
	v_add_f32_e32 v156, v159, v156
	s_delay_alu instid0(VALU_DEP_3) | instskip(NEXT) | instid1(VALU_DEP_3)
	v_fmac_f32_e32 v155, v5, v12
	v_dual_add_f32 v32, v160, v32 :: v_dual_mul_f32 v13, v5, v13
	s_delay_alu instid0(VALU_DEP_1) | instskip(NEXT) | instid1(VALU_DEP_2)
	v_add_f32_e32 v32, v32, v155
	v_fma_f32 v158, v4, v12, -v13
	s_clause 0x1
	scratch_load_b128 v[2:5], off, off offset:432
	scratch_load_b128 v[10:13], off, off offset:448
	s_wait_loadcnt_dscnt 0x201
	v_dual_add_f32 v156, v156, v158 :: v_dual_mul_f32 v163, v22, v15
	s_delay_alu instid0(VALU_DEP_1) | instskip(SKIP_1) | instid1(VALU_DEP_1)
	v_dual_mul_f32 v158, v24, v17 :: v_dual_fmac_f32 v163, v23, v14
	s_wait_loadcnt 0x1
	v_dual_fmac_f32 v158, v25, v16 :: v_dual_mul_f32 v161, v6, v3
	v_dual_mul_f32 v3, v7, v3 :: v_dual_mul_f32 v162, v8, v5
	v_mul_f32_e32 v5, v9, v5
	s_wait_loadcnt 0x0
	v_mul_f32_e32 v159, v18, v11
	v_fmac_f32_e32 v161, v7, v2
	v_fma_f32 v3, v6, v2, -v3
	v_fmac_f32_e32 v162, v9, v4
	v_fma_f32 v2, v8, v4, -v5
	s_delay_alu instid0(VALU_DEP_4) | instskip(NEXT) | instid1(VALU_DEP_4)
	v_dual_mul_f32 v4, v19, v11 :: v_dual_add_f32 v5, v32, v161
	v_dual_add_f32 v3, v156, v3 :: v_dual_mul_f32 v6, v21, v13
	v_mul_f32_e32 v160, v20, v13
	s_delay_alu instid0(VALU_DEP_3) | instskip(SKIP_1) | instid1(VALU_DEP_4)
	v_fma_f32 v4, v18, v10, -v4
	v_fmac_f32_e32 v159, v19, v10
	v_add_f32_e32 v2, v3, v2
	v_add_f32_e32 v3, v5, v162
	v_mul_f32_e32 v5, v23, v15
	v_fma_f32 v6, v20, v12, -v6
	v_fmac_f32_e32 v160, v21, v12
	s_delay_alu instid0(VALU_DEP_4) | instskip(SKIP_2) | instid1(VALU_DEP_3)
	v_dual_add_f32 v2, v2, v4 :: v_dual_add_f32 v3, v3, v159
	v_mul_f32_e32 v4, v25, v17
	v_fma_f32 v5, v22, v14, -v5
	v_dual_add_f32 v2, v2, v6 :: v_dual_add_f32 v3, v3, v160
	s_wait_dscnt 0x0
	v_mul_f32_e32 v6, v29, v27
	v_fma_f32 v4, v24, v16, -v4
	s_delay_alu instid0(VALU_DEP_3) | instskip(NEXT) | instid1(VALU_DEP_3)
	v_dual_add_f32 v2, v2, v5 :: v_dual_add_f32 v3, v3, v163
	v_fma_f32 v5, v28, v26, -v6
	s_delay_alu instid0(VALU_DEP_2) | instskip(NEXT) | instid1(VALU_DEP_1)
	v_dual_add_f32 v2, v2, v4 :: v_dual_mul_f32 v155, v28, v27
	v_dual_add_f32 v3, v3, v158 :: v_dual_add_f32 v2, v2, v5
	s_delay_alu instid0(VALU_DEP_2) | instskip(NEXT) | instid1(VALU_DEP_1)
	v_fmac_f32_e32 v155, v29, v26
	v_dual_sub_f32 v2, v30, v2 :: v_dual_add_f32 v3, v3, v155
	s_delay_alu instid0(VALU_DEP_1)
	v_sub_f32_e32 v3, v31, v3
	scratch_store_b64 off, v[2:3], off offset:248
	v_cmpx_lt_u32_e32 30, v0
	s_cbranch_execz .LBB124_319
; %bb.318:
	scratch_load_b64 v[3:4], off, off offset:240
	v_mov_b32_e32 v2, v1
	scratch_store_b64 off, v[1:2], off offset:240
	s_wait_loadcnt 0x0
	ds_store_b64 v157, v[3:4]
.LBB124_319:
	s_wait_alu 0xfffe
	s_or_b32 exec_lo, exec_lo, s0
	s_wait_storecnt_dscnt 0x0
	s_barrier_signal -1
	s_barrier_wait -1
	global_inv scope:SCOPE_SE
	s_clause 0x4
	scratch_load_b128 v[2:5], off, off offset:248
	scratch_load_b128 v[6:9], off, off offset:264
	;; [unrolled: 1-line block ×5, first 2 shown]
	ds_load_2addr_b64 v[22:25], v1 offset0:93 offset1:94
	ds_load_2addr_b64 v[26:29], v1 offset0:95 offset1:96
	ds_load_2addr_b64 v[158:161], v1 offset0:97 offset1:98
	scratch_load_b64 v[30:31], off, off offset:240
	s_mov_b32 s0, exec_lo
	s_wait_loadcnt_dscnt 0x502
	v_mul_f32_e32 v32, v23, v3
	v_dual_mul_f32 v155, v22, v3 :: v_dual_mul_f32 v156, v24, v5
	v_mul_f32_e32 v3, v25, v5
	s_wait_loadcnt_dscnt 0x300
	v_mul_f32_e32 v162, v160, v13
	v_fma_f32 v22, v22, v2, -v32
	v_dual_fmac_f32 v155, v23, v2 :: v_dual_fmac_f32 v156, v25, v4
	v_fma_f32 v23, v24, v4, -v3
	ds_load_2addr_b64 v[2:5], v1 offset0:99 offset1:100
	v_dual_mul_f32 v24, v26, v7 :: v_dual_mul_f32 v25, v28, v9
	v_mul_f32_e32 v7, v27, v7
	v_dual_mul_f32 v9, v29, v9 :: v_dual_mul_f32 v32, v158, v11
	v_dual_mul_f32 v11, v159, v11 :: v_dual_fmac_f32 v162, v161, v12
	s_delay_alu instid0(VALU_DEP_4) | instskip(SKIP_1) | instid1(VALU_DEP_4)
	v_dual_mul_f32 v13, v161, v13 :: v_dual_fmac_f32 v24, v27, v6
	v_fmac_f32_e32 v25, v29, v8
	v_fma_f32 v27, v28, v8, -v9
	v_fmac_f32_e32 v32, v159, v10
	v_fma_f32 v28, v158, v10, -v11
	v_fma_f32 v29, v160, v12, -v13
	ds_load_2addr_b64 v[10:13], v1 offset0:101 offset1:102
	v_fma_f32 v26, v26, v6, -v7
	scratch_load_b128 v[6:9], off, off offset:328
	s_wait_loadcnt_dscnt 0x301
	v_dual_mul_f32 v158, v2, v15 :: v_dual_mul_f32 v159, v4, v17
	v_mul_f32_e32 v15, v3, v15
	s_delay_alu instid0(VALU_DEP_2) | instskip(NEXT) | instid1(VALU_DEP_3)
	v_dual_mul_f32 v17, v5, v17 :: v_dual_fmac_f32 v158, v3, v14
	v_fmac_f32_e32 v159, v5, v16
	s_delay_alu instid0(VALU_DEP_3) | instskip(NEXT) | instid1(VALU_DEP_3)
	v_fma_f32 v14, v2, v14, -v15
	v_fma_f32 v15, v4, v16, -v17
	ds_load_2addr_b64 v[2:5], v1 offset0:103 offset1:104
	s_wait_loadcnt_dscnt 0x201
	v_mul_f32_e32 v16, v10, v19
	v_mul_f32_e32 v17, v11, v19
	;; [unrolled: 1-line block ×3, first 2 shown]
	s_delay_alu instid0(VALU_DEP_3) | instskip(NEXT) | instid1(VALU_DEP_3)
	v_dual_mul_f32 v21, v13, v21 :: v_dual_fmac_f32 v16, v11, v18
	v_fma_f32 v17, v10, v18, -v17
	s_delay_alu instid0(VALU_DEP_3) | instskip(NEXT) | instid1(VALU_DEP_3)
	v_fmac_f32_e32 v19, v13, v20
	v_fma_f32 v18, v12, v20, -v21
	scratch_load_b128 v[10:13], off, off offset:344
	s_wait_loadcnt_dscnt 0x100
	v_mul_f32_e32 v20, v2, v7
	v_mul_f32_e32 v7, v3, v7
	;; [unrolled: 1-line block ×3, first 2 shown]
	s_delay_alu instid0(VALU_DEP_3) | instskip(NEXT) | instid1(VALU_DEP_3)
	v_dual_mul_f32 v9, v5, v9 :: v_dual_fmac_f32 v20, v3, v6
	v_fma_f32 v160, v2, v6, -v7
	s_delay_alu instid0(VALU_DEP_3) | instskip(NEXT) | instid1(VALU_DEP_3)
	v_fmac_f32_e32 v21, v5, v8
	v_fma_f32 v161, v4, v8, -v9
	ds_load_2addr_b64 v[2:5], v1 offset0:105 offset1:106
	ds_load_2addr_b64 v[6:9], v1 offset0:107 offset1:108
	s_wait_loadcnt_dscnt 0x1
	v_mul_f32_e32 v163, v2, v11
	v_dual_mul_f32 v11, v3, v11 :: v_dual_mul_f32 v164, v4, v13
	s_delay_alu instid0(VALU_DEP_2) | instskip(NEXT) | instid1(VALU_DEP_2)
	v_fmac_f32_e32 v163, v3, v10
	v_fma_f32 v165, v2, v10, -v11
	v_mul_f32_e32 v2, v5, v13
	s_delay_alu instid0(VALU_DEP_4) | instskip(NEXT) | instid1(VALU_DEP_2)
	v_fmac_f32_e32 v164, v5, v12
	v_fma_f32 v166, v4, v12, -v2
	s_clause 0x1
	scratch_load_b128 v[2:5], off, off offset:360
	scratch_load_b128 v[10:13], off, off offset:376
	s_wait_loadcnt_dscnt 0x100
	v_mul_f32_e32 v167, v6, v3
	v_mul_f32_e32 v3, v7, v3
	;; [unrolled: 1-line block ×3, first 2 shown]
	s_delay_alu instid0(VALU_DEP_3) | instskip(NEXT) | instid1(VALU_DEP_3)
	v_fmac_f32_e32 v167, v7, v2
	v_fma_f32 v168, v6, v2, -v3
	v_mul_f32_e32 v2, v9, v5
	s_delay_alu instid0(VALU_DEP_4) | instskip(NEXT) | instid1(VALU_DEP_2)
	v_fmac_f32_e32 v169, v9, v4
	v_fma_f32 v170, v8, v4, -v2
	ds_load_2addr_b64 v[2:5], v1 offset0:109 offset1:110
	ds_load_2addr_b64 v[6:9], v1 offset0:111 offset1:112
	s_wait_loadcnt_dscnt 0x1
	v_mul_f32_e32 v171, v2, v11
	v_mul_f32_e32 v173, v4, v13
	s_delay_alu instid0(VALU_DEP_2) | instskip(SKIP_1) | instid1(VALU_DEP_3)
	v_fmac_f32_e32 v171, v3, v10
	v_mul_f32_e32 v3, v3, v11
	v_fmac_f32_e32 v173, v5, v12
	s_delay_alu instid0(VALU_DEP_2) | instskip(SKIP_1) | instid1(VALU_DEP_1)
	v_fma_f32 v172, v2, v10, -v3
	v_mul_f32_e32 v2, v5, v13
	v_fma_f32 v174, v4, v12, -v2
	s_clause 0x1
	scratch_load_b128 v[2:5], off, off offset:392
	scratch_load_b128 v[10:13], off, off offset:408
	s_wait_loadcnt_dscnt 0x100
	v_mul_f32_e32 v175, v6, v3
	v_mul_f32_e32 v3, v7, v3
	s_delay_alu instid0(VALU_DEP_2) | instskip(NEXT) | instid1(VALU_DEP_2)
	v_fmac_f32_e32 v175, v7, v2
	v_fma_f32 v176, v6, v2, -v3
	v_dual_mul_f32 v2, v9, v5 :: v_dual_add_f32 v3, 0, v155
	s_delay_alu instid0(VALU_DEP_1) | instskip(SKIP_1) | instid1(VALU_DEP_1)
	v_fma_f32 v178, v8, v4, -v2
	v_add_f32_e32 v2, 0, v22
	v_add_f32_e32 v2, v2, v23
	s_delay_alu instid0(VALU_DEP_1) | instskip(NEXT) | instid1(VALU_DEP_1)
	v_add_f32_e32 v2, v2, v26
	v_dual_add_f32 v2, v2, v27 :: v_dual_add_f32 v3, v3, v156
	s_delay_alu instid0(VALU_DEP_1) | instskip(NEXT) | instid1(VALU_DEP_1)
	v_add_f32_e32 v2, v2, v28
	v_dual_add_f32 v2, v2, v29 :: v_dual_add_f32 v3, v3, v24
	s_delay_alu instid0(VALU_DEP_1) | instskip(NEXT) | instid1(VALU_DEP_2)
	v_add_f32_e32 v7, v2, v14
	v_add_f32_e32 v3, v3, v25
	s_delay_alu instid0(VALU_DEP_2) | instskip(NEXT) | instid1(VALU_DEP_2)
	v_add_f32_e32 v15, v7, v15
	v_add_f32_e32 v3, v3, v32
	s_delay_alu instid0(VALU_DEP_2) | instskip(NEXT) | instid1(VALU_DEP_2)
	;; [unrolled: 3-line block ×6, first 2 shown]
	v_add_f32_e32 v18, v18, v165
	v_add_f32_e32 v19, v14, v19
	ds_load_2addr_b64 v[14:17], v1 offset0:115 offset1:116
	v_add_f32_e32 v19, v19, v20
	s_delay_alu instid0(VALU_DEP_1) | instskip(NEXT) | instid1(VALU_DEP_1)
	v_add_f32_e32 v19, v19, v21
	v_dual_mul_f32 v177, v8, v5 :: v_dual_add_f32 v22, v19, v163
	s_delay_alu instid0(VALU_DEP_1) | instskip(SKIP_3) | instid1(VALU_DEP_1)
	v_fmac_f32_e32 v177, v9, v4
	scratch_load_b128 v[6:9], off, off offset:424
	ds_load_2addr_b64 v[2:5], v1 offset0:113 offset1:114
	v_add_f32_e32 v22, v22, v164
	v_add_f32_e32 v22, v22, v167
	s_wait_loadcnt_dscnt 0x100
	v_mul_f32_e32 v26, v2, v11
	v_mul_f32_e32 v11, v3, v11
	s_delay_alu instid0(VALU_DEP_2) | instskip(SKIP_1) | instid1(VALU_DEP_3)
	v_dual_fmac_f32 v26, v3, v10 :: v_dual_mul_f32 v27, v4, v13
	v_mul_f32_e32 v13, v5, v13
	v_fma_f32 v28, v2, v10, -v11
	s_delay_alu instid0(VALU_DEP_3) | instskip(NEXT) | instid1(VALU_DEP_3)
	v_fmac_f32_e32 v27, v5, v12
	v_fma_f32 v29, v4, v12, -v13
	s_clause 0x1
	scratch_load_b128 v[2:5], off, off offset:440
	scratch_load_b128 v[10:13], off, off offset:456
	v_add_f32_e32 v23, v18, v166
	scratch_load_b128 v[18:21], off, off offset:472
	v_add_f32_e32 v23, v23, v168
	s_wait_loadcnt 0x3
	s_delay_alu instid0(VALU_DEP_1) | instskip(SKIP_1) | instid1(VALU_DEP_2)
	v_dual_add_f32 v23, v23, v170 :: v_dual_mul_f32 v32, v14, v7
	v_mul_f32_e32 v7, v15, v7
	v_fmac_f32_e32 v32, v15, v6
	s_delay_alu instid0(VALU_DEP_2) | instskip(SKIP_1) | instid1(VALU_DEP_1)
	v_fma_f32 v156, v14, v6, -v7
	v_add_f32_e32 v14, v22, v169
	v_dual_add_f32 v22, v23, v172 :: v_dual_add_f32 v23, v14, v171
	s_delay_alu instid0(VALU_DEP_1) | instskip(SKIP_3) | instid1(VALU_DEP_2)
	v_dual_add_f32 v159, v22, v174 :: v_dual_add_f32 v160, v23, v173
	ds_load_2addr_b64 v[22:25], v1 offset0:121 offset1:122
	v_mul_f32_e32 v155, v16, v9
	v_mul_f32_e32 v9, v17, v9
	v_fmac_f32_e32 v155, v17, v8
	s_delay_alu instid0(VALU_DEP_2) | instskip(SKIP_4) | instid1(VALU_DEP_2)
	v_fma_f32 v158, v16, v8, -v9
	ds_load_2addr_b64 v[6:9], v1 offset0:117 offset1:118
	ds_load_2addr_b64 v[14:17], v1 offset0:119 offset1:120
	v_add_f32_e32 v1, v159, v176
	v_add_f32_e32 v159, v160, v175
	;; [unrolled: 1-line block ×3, first 2 shown]
	s_delay_alu instid0(VALU_DEP_2) | instskip(NEXT) | instid1(VALU_DEP_1)
	v_add_f32_e32 v159, v159, v177
	v_dual_add_f32 v1, v1, v28 :: v_dual_add_f32 v26, v159, v26
	s_delay_alu instid0(VALU_DEP_1)
	v_dual_add_f32 v1, v1, v29 :: v_dual_add_f32 v26, v26, v27
	s_wait_loadcnt_dscnt 0x2
	v_mul_f32_e32 v27, v22, v19
	s_wait_dscnt 0x1
	v_mul_f32_e32 v160, v6, v3
	v_mul_f32_e32 v3, v7, v3
	v_add_f32_e32 v1, v1, v156
	v_add_f32_e32 v26, v26, v32
	v_mul_f32_e32 v28, v8, v5
	v_mul_f32_e32 v5, v9, v5
	v_fma_f32 v3, v6, v2, -v3
	v_fmac_f32_e32 v160, v7, v2
	v_dual_add_f32 v1, v1, v158 :: v_dual_add_f32 v2, v26, v155
	s_wait_dscnt 0x0
	v_mul_f32_e32 v159, v14, v11
	v_mul_f32_e32 v6, v15, v11
	v_fmac_f32_e32 v28, v9, v4
	v_fma_f32 v4, v8, v4, -v5
	v_dual_add_f32 v1, v1, v3 :: v_dual_add_f32 v2, v2, v160
	v_mul_f32_e32 v161, v16, v13
	v_mul_f32_e32 v3, v17, v13
	v_fmac_f32_e32 v159, v15, v10
	v_fma_f32 v5, v14, v10, -v6
	v_add_f32_e32 v1, v1, v4
	v_add_f32_e32 v2, v2, v28
	v_dual_mul_f32 v4, v23, v19 :: v_dual_fmac_f32 v161, v17, v12
	v_fma_f32 v3, v16, v12, -v3
	s_delay_alu instid0(VALU_DEP_3)
	v_dual_add_f32 v1, v1, v5 :: v_dual_add_f32 v2, v2, v159
	v_mul_f32_e32 v29, v24, v21
	v_mul_f32_e32 v5, v25, v21
	v_fmac_f32_e32 v27, v23, v18
	v_fma_f32 v4, v22, v18, -v4
	v_dual_add_f32 v1, v1, v3 :: v_dual_add_f32 v2, v2, v161
	v_fmac_f32_e32 v29, v25, v20
	v_fma_f32 v3, v24, v20, -v5
	s_delay_alu instid0(VALU_DEP_3) | instskip(NEXT) | instid1(VALU_DEP_1)
	v_dual_add_f32 v1, v1, v4 :: v_dual_add_f32 v2, v2, v27
	v_dual_add_f32 v1, v1, v3 :: v_dual_add_f32 v2, v2, v29
	s_delay_alu instid0(VALU_DEP_1)
	v_dual_sub_f32 v1, v30, v1 :: v_dual_sub_f32 v2, v31, v2
	scratch_store_b64 off, v[1:2], off offset:240
	v_cmpx_lt_u32_e32 29, v0
	s_cbranch_execz .LBB124_321
; %bb.320:
	scratch_load_b64 v[1:2], off, off offset:232
	v_mov_b32_e32 v3, 0
	s_delay_alu instid0(VALU_DEP_1)
	v_mov_b32_e32 v4, v3
	scratch_store_b64 off, v[3:4], off offset:232
	s_wait_loadcnt 0x0
	ds_store_b64 v157, v[1:2]
.LBB124_321:
	s_wait_alu 0xfffe
	s_or_b32 exec_lo, exec_lo, s0
	s_wait_storecnt_dscnt 0x0
	s_barrier_signal -1
	s_barrier_wait -1
	global_inv scope:SCOPE_SE
	s_clause 0x4
	scratch_load_b128 v[5:8], off, off offset:240
	scratch_load_b128 v[1:4], off, off offset:256
	;; [unrolled: 1-line block ×5, first 2 shown]
	v_mov_b32_e32 v21, 0
	ds_load_b128 v[22:25], v21 offset:736
	ds_load_b128 v[26:29], v21 offset:752
	;; [unrolled: 1-line block ×3, first 2 shown]
	scratch_load_b64 v[30:31], off, off offset:232
	s_mov_b32 s0, exec_lo
	s_wait_loadcnt_dscnt 0x502
	v_mul_f32_e32 v32, v23, v6
	v_dual_mul_f32 v155, v22, v6 :: v_dual_mul_f32 v156, v24, v8
	v_mul_f32_e32 v6, v25, v8
	s_wait_loadcnt_dscnt 0x300
	v_mul_f32_e32 v162, v160, v12
	v_fma_f32 v22, v22, v5, -v32
	v_dual_fmac_f32 v155, v23, v5 :: v_dual_fmac_f32 v156, v25, v7
	v_mul_f32_e32 v25, v28, v4
	v_fma_f32 v23, v24, v7, -v6
	ds_load_b128 v[5:8], v21 offset:784
	v_mul_f32_e32 v24, v26, v2
	v_mul_f32_e32 v4, v29, v4
	;; [unrolled: 1-line block ×5, first 2 shown]
	v_dual_mul_f32 v2, v27, v2 :: v_dual_fmac_f32 v25, v29, v3
	v_fmac_f32_e32 v24, v27, v1
	v_fma_f32 v27, v28, v3, -v4
	v_fmac_f32_e32 v32, v159, v9
	v_fma_f32 v28, v158, v9, -v10
	;; [unrolled: 2-line block ×3, first 2 shown]
	ds_load_b128 v[9:12], v21 offset:800
	s_wait_loadcnt_dscnt 0x201
	v_dual_mul_f32 v159, v7, v16 :: v_dual_mul_f32 v158, v5, v14
	v_mul_f32_e32 v14, v6, v14
	v_mul_f32_e32 v16, v8, v16
	s_delay_alu instid0(VALU_DEP_3)
	v_fmac_f32_e32 v159, v8, v15
	v_fma_f32 v26, v26, v1, -v2
	scratch_load_b128 v[1:4], off, off offset:320
	v_fmac_f32_e32 v158, v6, v13
	v_fma_f32 v13, v5, v13, -v14
	v_fma_f32 v14, v7, v15, -v16
	ds_load_b128 v[5:8], v21 offset:816
	s_wait_loadcnt_dscnt 0x201
	v_mul_f32_e32 v15, v9, v18
	v_mul_f32_e32 v16, v10, v18
	;; [unrolled: 1-line block ×3, first 2 shown]
	s_delay_alu instid0(VALU_DEP_3) | instskip(NEXT) | instid1(VALU_DEP_3)
	v_dual_mul_f32 v20, v12, v20 :: v_dual_fmac_f32 v15, v10, v17
	v_fma_f32 v16, v9, v17, -v16
	s_delay_alu instid0(VALU_DEP_3) | instskip(NEXT) | instid1(VALU_DEP_3)
	v_fmac_f32_e32 v18, v12, v19
	v_fma_f32 v17, v11, v19, -v20
	scratch_load_b128 v[9:12], off, off offset:336
	s_wait_loadcnt_dscnt 0x100
	v_mul_f32_e32 v19, v5, v2
	v_mul_f32_e32 v2, v6, v2
	;; [unrolled: 1-line block ×3, first 2 shown]
	s_delay_alu instid0(VALU_DEP_3) | instskip(NEXT) | instid1(VALU_DEP_3)
	v_dual_mul_f32 v4, v8, v4 :: v_dual_fmac_f32 v19, v6, v1
	v_fma_f32 v160, v5, v1, -v2
	s_delay_alu instid0(VALU_DEP_3) | instskip(NEXT) | instid1(VALU_DEP_3)
	v_fmac_f32_e32 v20, v8, v3
	v_fma_f32 v161, v7, v3, -v4
	ds_load_b128 v[1:4], v21 offset:832
	ds_load_b128 v[5:8], v21 offset:848
	s_wait_loadcnt_dscnt 0x1
	v_mul_f32_e32 v163, v1, v10
	v_mul_f32_e32 v10, v2, v10
	s_delay_alu instid0(VALU_DEP_2) | instskip(NEXT) | instid1(VALU_DEP_2)
	v_dual_mul_f32 v164, v3, v12 :: v_dual_fmac_f32 v163, v2, v9
	v_fma_f32 v165, v1, v9, -v10
	v_mul_f32_e32 v1, v4, v12
	s_delay_alu instid0(VALU_DEP_3) | instskip(NEXT) | instid1(VALU_DEP_2)
	v_fmac_f32_e32 v164, v4, v11
	v_fma_f32 v166, v3, v11, -v1
	s_clause 0x1
	scratch_load_b128 v[1:4], off, off offset:352
	scratch_load_b128 v[9:12], off, off offset:368
	s_wait_loadcnt_dscnt 0x100
	v_mul_f32_e32 v167, v5, v2
	v_dual_mul_f32 v2, v6, v2 :: v_dual_mul_f32 v169, v7, v4
	s_delay_alu instid0(VALU_DEP_2) | instskip(NEXT) | instid1(VALU_DEP_2)
	v_fmac_f32_e32 v167, v6, v1
	v_fma_f32 v168, v5, v1, -v2
	v_mul_f32_e32 v1, v8, v4
	s_delay_alu instid0(VALU_DEP_4) | instskip(NEXT) | instid1(VALU_DEP_2)
	v_fmac_f32_e32 v169, v8, v3
	v_fma_f32 v170, v7, v3, -v1
	ds_load_b128 v[1:4], v21 offset:864
	ds_load_b128 v[5:8], v21 offset:880
	s_wait_loadcnt_dscnt 0x1
	v_mul_f32_e32 v171, v1, v10
	v_mul_f32_e32 v173, v3, v12
	s_delay_alu instid0(VALU_DEP_2) | instskip(NEXT) | instid1(VALU_DEP_2)
	v_fmac_f32_e32 v171, v2, v9
	v_dual_mul_f32 v2, v2, v10 :: v_dual_fmac_f32 v173, v4, v11
	s_delay_alu instid0(VALU_DEP_1) | instskip(SKIP_1) | instid1(VALU_DEP_1)
	v_fma_f32 v172, v1, v9, -v2
	v_mul_f32_e32 v1, v4, v12
	v_fma_f32 v174, v3, v11, -v1
	s_clause 0x1
	scratch_load_b128 v[1:4], off, off offset:384
	scratch_load_b128 v[9:12], off, off offset:400
	s_wait_loadcnt_dscnt 0x100
	v_mul_f32_e32 v175, v5, v2
	v_dual_mul_f32 v2, v6, v2 :: v_dual_mul_f32 v177, v7, v4
	s_delay_alu instid0(VALU_DEP_2) | instskip(NEXT) | instid1(VALU_DEP_2)
	v_fmac_f32_e32 v175, v6, v1
	v_fma_f32 v176, v5, v1, -v2
	v_mul_f32_e32 v1, v8, v4
	s_delay_alu instid0(VALU_DEP_4) | instskip(NEXT) | instid1(VALU_DEP_2)
	v_fmac_f32_e32 v177, v8, v3
	v_fma_f32 v178, v7, v3, -v1
	v_add_f32_e32 v1, 0, v22
	s_delay_alu instid0(VALU_DEP_1) | instskip(NEXT) | instid1(VALU_DEP_1)
	v_add_f32_e32 v1, v1, v23
	v_dual_add_f32 v2, 0, v155 :: v_dual_add_f32 v1, v1, v26
	s_delay_alu instid0(VALU_DEP_1) | instskip(SKIP_2) | instid1(VALU_DEP_1)
	v_add_f32_e32 v1, v1, v27
	scratch_load_b64 v[26:27], off, off offset:480
	v_add_f32_e32 v1, v1, v28
	v_dual_add_f32 v2, v2, v156 :: v_dual_add_f32 v1, v1, v29
	s_delay_alu instid0(VALU_DEP_1) | instskip(NEXT) | instid1(VALU_DEP_2)
	v_add_f32_e32 v2, v2, v24
	v_add_f32_e32 v6, v1, v13
	s_delay_alu instid0(VALU_DEP_2) | instskip(NEXT) | instid1(VALU_DEP_2)
	v_add_f32_e32 v2, v2, v25
	v_add_f32_e32 v14, v6, v14
	s_delay_alu instid0(VALU_DEP_2) | instskip(NEXT) | instid1(VALU_DEP_2)
	v_add_f32_e32 v2, v2, v32
	v_add_f32_e32 v14, v14, v16
	s_delay_alu instid0(VALU_DEP_2) | instskip(SKIP_4) | instid1(VALU_DEP_1)
	v_add_f32_e32 v5, v2, v162
	scratch_load_b128 v[1:4], off, off offset:416
	v_add_f32_e32 v13, v5, v158
	ds_load_b128 v[5:8], v21 offset:896
	v_add_f32_e32 v13, v13, v159
	v_add_f32_e32 v13, v13, v15
	s_delay_alu instid0(VALU_DEP_1) | instskip(SKIP_4) | instid1(VALU_DEP_2)
	v_dual_add_f32 v17, v14, v17 :: v_dual_add_f32 v18, v13, v18
	ds_load_b128 v[13:16], v21 offset:912
	v_add_f32_e32 v17, v17, v160
	s_wait_loadcnt_dscnt 0x201
	v_dual_mul_f32 v32, v5, v10 :: v_dual_mul_f32 v155, v7, v12
	v_dual_mul_f32 v10, v6, v10 :: v_dual_add_f32 v17, v17, v161
	v_add_f32_e32 v18, v18, v19
	s_delay_alu instid0(VALU_DEP_3) | instskip(NEXT) | instid1(VALU_DEP_3)
	v_dual_fmac_f32 v32, v6, v9 :: v_dual_fmac_f32 v155, v8, v11
	v_fma_f32 v156, v5, v9, -v10
	s_delay_alu instid0(VALU_DEP_4) | instskip(NEXT) | instid1(VALU_DEP_1)
	v_dual_add_f32 v17, v17, v165 :: v_dual_mul_f32 v12, v8, v12
	v_add_f32_e32 v23, v17, v166
	s_delay_alu instid0(VALU_DEP_2) | instskip(SKIP_4) | instid1(VALU_DEP_1)
	v_fma_f32 v158, v7, v11, -v12
	s_clause 0x1
	scratch_load_b128 v[5:8], off, off offset:432
	scratch_load_b128 v[9:12], off, off offset:448
	v_add_f32_e32 v23, v23, v168
	v_dual_add_f32 v18, v18, v20 :: v_dual_add_f32 v23, v23, v170
	s_delay_alu instid0(VALU_DEP_1)
	v_add_f32_e32 v22, v18, v163
	scratch_load_b128 v[17:20], off, off offset:464
	v_add_f32_e32 v23, v23, v172
	s_wait_loadcnt_dscnt 0x300
	v_mul_f32_e32 v159, v13, v2
	v_mul_f32_e32 v2, v14, v2
	;; [unrolled: 1-line block ×3, first 2 shown]
	s_delay_alu instid0(VALU_DEP_3) | instskip(SKIP_1) | instid1(VALU_DEP_4)
	v_dual_mul_f32 v4, v16, v4 :: v_dual_fmac_f32 v159, v14, v1
	v_add_f32_e32 v14, v23, v174
	v_fma_f32 v161, v13, v1, -v2
	s_delay_alu instid0(VALU_DEP_4) | instskip(NEXT) | instid1(VALU_DEP_4)
	v_fmac_f32_e32 v160, v16, v3
	v_fma_f32 v162, v15, v3, -v4
	ds_load_b128 v[1:4], v21 offset:928
	v_add_f32_e32 v28, v14, v176
	s_delay_alu instid0(VALU_DEP_1) | instskip(NEXT) | instid1(VALU_DEP_1)
	v_dual_add_f32 v22, v22, v164 :: v_dual_add_f32 v163, v28, v178
	v_add_f32_e32 v22, v22, v167
	s_delay_alu instid0(VALU_DEP_1) | instskip(NEXT) | instid1(VALU_DEP_1)
	v_add_f32_e32 v22, v22, v169
	v_add_f32_e32 v13, v22, v171
	s_delay_alu instid0(VALU_DEP_1)
	v_add_f32_e32 v22, v13, v173
	ds_load_b128 v[13:16], v21 offset:944
	v_dual_add_f32 v156, v163, v156 :: v_dual_add_f32 v29, v22, v175
	ds_load_b128 v[22:25], v21 offset:960
	s_wait_loadcnt_dscnt 0x202
	v_mul_f32_e32 v163, v1, v6
	v_add_f32_e32 v164, v29, v177
	ds_load_b64 v[28:29], v21 offset:976
	v_dual_fmac_f32 v163, v2, v5 :: v_dual_add_f32 v156, v156, v158
	s_delay_alu instid0(VALU_DEP_1) | instskip(SKIP_2) | instid1(VALU_DEP_2)
	v_add_f32_e32 v156, v156, v161
	s_wait_loadcnt_dscnt 0x102
	v_mul_f32_e32 v158, v13, v10
	v_add_f32_e32 v156, v156, v162
	v_mul_f32_e32 v6, v2, v6
	s_wait_loadcnt_dscnt 0x1
	v_dual_mul_f32 v161, v22, v18 :: v_dual_add_f32 v32, v164, v32
	s_delay_alu instid0(VALU_DEP_2) | instskip(NEXT) | instid1(VALU_DEP_2)
	v_fma_f32 v1, v1, v5, -v6
	v_fmac_f32_e32 v161, v23, v17
	v_mul_f32_e32 v5, v16, v12
	s_delay_alu instid0(VALU_DEP_3) | instskip(SKIP_2) | instid1(VALU_DEP_4)
	v_add_f32_e32 v1, v156, v1
	v_dual_add_f32 v32, v32, v155 :: v_dual_mul_f32 v155, v3, v8
	v_mul_f32_e32 v8, v4, v8
	v_fma_f32 v5, v15, v11, -v5
	s_delay_alu instid0(VALU_DEP_3) | instskip(NEXT) | instid1(VALU_DEP_3)
	v_fmac_f32_e32 v155, v4, v7
	v_fma_f32 v2, v3, v7, -v8
	v_mul_f32_e32 v3, v14, v10
	s_delay_alu instid0(VALU_DEP_2) | instskip(NEXT) | instid1(VALU_DEP_2)
	v_add_f32_e32 v1, v1, v2
	v_fma_f32 v3, v13, v9, -v3
	s_delay_alu instid0(VALU_DEP_1) | instskip(SKIP_2) | instid1(VALU_DEP_2)
	v_add_f32_e32 v1, v1, v3
	v_dual_add_f32 v32, v32, v159 :: v_dual_mul_f32 v3, v25, v20
	v_dual_mul_f32 v159, v15, v12 :: v_dual_fmac_f32 v158, v14, v9
	v_dual_add_f32 v1, v1, v5 :: v_dual_add_f32 v32, v32, v160
	s_wait_dscnt 0x0
	v_mul_f32_e32 v5, v29, v27
	v_fma_f32 v3, v24, v19, -v3
	v_fmac_f32_e32 v159, v16, v11
	v_add_f32_e32 v4, v32, v163
	s_delay_alu instid0(VALU_DEP_1) | instskip(SKIP_1) | instid1(VALU_DEP_1)
	v_add_f32_e32 v2, v4, v155
	v_mul_f32_e32 v4, v23, v18
	v_fma_f32 v4, v22, v17, -v4
	s_delay_alu instid0(VALU_DEP_1) | instskip(SKIP_2) | instid1(VALU_DEP_3)
	v_dual_mul_f32 v160, v28, v27 :: v_dual_add_f32 v1, v1, v4
	v_mul_f32_e32 v162, v24, v20
	v_fma_f32 v4, v28, v26, -v5
	v_fmac_f32_e32 v160, v29, v26
	s_delay_alu instid0(VALU_DEP_4) | instskip(NEXT) | instid1(VALU_DEP_4)
	v_add_f32_e32 v1, v1, v3
	v_fmac_f32_e32 v162, v25, v19
	s_delay_alu instid0(VALU_DEP_2) | instskip(NEXT) | instid1(VALU_DEP_1)
	v_dual_add_f32 v1, v1, v4 :: v_dual_add_f32 v2, v2, v158
	v_sub_f32_e32 v1, v30, v1
	s_delay_alu instid0(VALU_DEP_2) | instskip(NEXT) | instid1(VALU_DEP_1)
	v_add_f32_e32 v2, v2, v159
	v_add_f32_e32 v2, v2, v161
	s_delay_alu instid0(VALU_DEP_1) | instskip(NEXT) | instid1(VALU_DEP_1)
	v_add_f32_e32 v2, v2, v162
	v_add_f32_e32 v2, v2, v160
	s_delay_alu instid0(VALU_DEP_1)
	v_sub_f32_e32 v2, v31, v2
	scratch_store_b64 off, v[1:2], off offset:232
	v_cmpx_lt_u32_e32 28, v0
	s_cbranch_execz .LBB124_323
; %bb.322:
	scratch_load_b64 v[1:2], off, off offset:224
	v_mov_b32_e32 v22, v21
	scratch_store_b64 off, v[21:22], off offset:224
	s_wait_loadcnt 0x0
	ds_store_b64 v157, v[1:2]
.LBB124_323:
	s_wait_alu 0xfffe
	s_or_b32 exec_lo, exec_lo, s0
	s_wait_storecnt_dscnt 0x0
	s_barrier_signal -1
	s_barrier_wait -1
	global_inv scope:SCOPE_SE
	s_clause 0x4
	scratch_load_b128 v[5:8], off, off offset:232
	scratch_load_b128 v[1:4], off, off offset:248
	;; [unrolled: 1-line block ×5, first 2 shown]
	ds_load_2addr_b64 v[22:25], v21 offset0:91 offset1:92
	ds_load_2addr_b64 v[26:29], v21 offset0:93 offset1:94
	;; [unrolled: 1-line block ×3, first 2 shown]
	scratch_load_b64 v[30:31], off, off offset:224
	s_mov_b32 s0, exec_lo
	s_wait_loadcnt_dscnt 0x502
	v_mul_f32_e32 v32, v23, v6
	v_dual_mul_f32 v155, v22, v6 :: v_dual_mul_f32 v156, v24, v8
	v_mul_f32_e32 v6, v25, v8
	s_wait_loadcnt_dscnt 0x300
	v_mul_f32_e32 v162, v160, v12
	s_delay_alu instid0(VALU_DEP_3)
	v_dual_mul_f32 v12, v161, v12 :: v_dual_fmac_f32 v155, v23, v5
	v_fmac_f32_e32 v156, v25, v7
	v_fma_f32 v23, v24, v7, -v6
	v_mul_f32_e32 v25, v28, v4
	v_fma_f32 v22, v22, v5, -v32
	ds_load_2addr_b64 v[5:8], v21 offset0:97 offset1:98
	v_mul_f32_e32 v24, v26, v2
	v_mul_f32_e32 v4, v29, v4
	;; [unrolled: 1-line block ×4, first 2 shown]
	v_dual_mul_f32 v2, v27, v2 :: v_dual_fmac_f32 v25, v29, v3
	v_fmac_f32_e32 v24, v27, v1
	v_fma_f32 v27, v28, v3, -v4
	v_fmac_f32_e32 v32, v159, v9
	v_fma_f32 v28, v158, v9, -v10
	v_fmac_f32_e32 v162, v161, v11
	v_fma_f32 v29, v160, v11, -v12
	ds_load_2addr_b64 v[9:12], v21 offset0:99 offset1:100
	s_wait_loadcnt_dscnt 0x201
	v_dual_mul_f32 v159, v7, v16 :: v_dual_mul_f32 v158, v5, v14
	v_mul_f32_e32 v14, v6, v14
	v_mul_f32_e32 v16, v8, v16
	s_delay_alu instid0(VALU_DEP_3)
	v_fmac_f32_e32 v159, v8, v15
	v_fma_f32 v26, v26, v1, -v2
	scratch_load_b128 v[1:4], off, off offset:312
	v_fmac_f32_e32 v158, v6, v13
	v_fma_f32 v13, v5, v13, -v14
	v_fma_f32 v14, v7, v15, -v16
	ds_load_2addr_b64 v[5:8], v21 offset0:101 offset1:102
	s_wait_loadcnt_dscnt 0x201
	v_mul_f32_e32 v15, v9, v18
	v_mul_f32_e32 v16, v10, v18
	;; [unrolled: 1-line block ×3, first 2 shown]
	s_delay_alu instid0(VALU_DEP_3) | instskip(NEXT) | instid1(VALU_DEP_3)
	v_dual_mul_f32 v20, v12, v20 :: v_dual_fmac_f32 v15, v10, v17
	v_fma_f32 v16, v9, v17, -v16
	s_delay_alu instid0(VALU_DEP_3) | instskip(NEXT) | instid1(VALU_DEP_3)
	v_fmac_f32_e32 v18, v12, v19
	v_fma_f32 v17, v11, v19, -v20
	scratch_load_b128 v[9:12], off, off offset:328
	s_wait_loadcnt_dscnt 0x100
	v_mul_f32_e32 v19, v5, v2
	v_mul_f32_e32 v2, v6, v2
	;; [unrolled: 1-line block ×3, first 2 shown]
	s_delay_alu instid0(VALU_DEP_3) | instskip(NEXT) | instid1(VALU_DEP_3)
	v_dual_mul_f32 v4, v8, v4 :: v_dual_fmac_f32 v19, v6, v1
	v_fma_f32 v160, v5, v1, -v2
	s_delay_alu instid0(VALU_DEP_3) | instskip(NEXT) | instid1(VALU_DEP_3)
	v_fmac_f32_e32 v20, v8, v3
	v_fma_f32 v161, v7, v3, -v4
	ds_load_2addr_b64 v[1:4], v21 offset0:103 offset1:104
	ds_load_2addr_b64 v[5:8], v21 offset0:105 offset1:106
	s_wait_loadcnt_dscnt 0x1
	v_mul_f32_e32 v163, v1, v10
	v_mul_f32_e32 v10, v2, v10
	s_delay_alu instid0(VALU_DEP_2) | instskip(NEXT) | instid1(VALU_DEP_2)
	v_dual_mul_f32 v164, v3, v12 :: v_dual_fmac_f32 v163, v2, v9
	v_fma_f32 v165, v1, v9, -v10
	v_mul_f32_e32 v1, v4, v12
	s_delay_alu instid0(VALU_DEP_3) | instskip(NEXT) | instid1(VALU_DEP_2)
	v_fmac_f32_e32 v164, v4, v11
	v_fma_f32 v166, v3, v11, -v1
	s_clause 0x1
	scratch_load_b128 v[1:4], off, off offset:344
	scratch_load_b128 v[9:12], off, off offset:360
	s_wait_loadcnt_dscnt 0x100
	v_mul_f32_e32 v167, v5, v2
	v_dual_mul_f32 v2, v6, v2 :: v_dual_mul_f32 v169, v7, v4
	s_delay_alu instid0(VALU_DEP_2) | instskip(NEXT) | instid1(VALU_DEP_2)
	v_fmac_f32_e32 v167, v6, v1
	v_fma_f32 v168, v5, v1, -v2
	v_mul_f32_e32 v1, v8, v4
	s_delay_alu instid0(VALU_DEP_4) | instskip(NEXT) | instid1(VALU_DEP_2)
	v_fmac_f32_e32 v169, v8, v3
	v_fma_f32 v170, v7, v3, -v1
	ds_load_2addr_b64 v[1:4], v21 offset0:107 offset1:108
	ds_load_2addr_b64 v[5:8], v21 offset0:109 offset1:110
	s_wait_loadcnt_dscnt 0x1
	v_mul_f32_e32 v171, v1, v10
	v_mul_f32_e32 v173, v3, v12
	s_delay_alu instid0(VALU_DEP_2) | instskip(NEXT) | instid1(VALU_DEP_2)
	v_fmac_f32_e32 v171, v2, v9
	v_dual_mul_f32 v2, v2, v10 :: v_dual_fmac_f32 v173, v4, v11
	s_delay_alu instid0(VALU_DEP_1) | instskip(SKIP_1) | instid1(VALU_DEP_1)
	v_fma_f32 v172, v1, v9, -v2
	v_mul_f32_e32 v1, v4, v12
	v_fma_f32 v174, v3, v11, -v1
	s_clause 0x1
	scratch_load_b128 v[1:4], off, off offset:376
	scratch_load_b128 v[9:12], off, off offset:392
	s_wait_loadcnt_dscnt 0x100
	v_mul_f32_e32 v175, v5, v2
	v_dual_mul_f32 v2, v6, v2 :: v_dual_mul_f32 v177, v7, v4
	s_delay_alu instid0(VALU_DEP_2) | instskip(NEXT) | instid1(VALU_DEP_2)
	v_fmac_f32_e32 v175, v6, v1
	v_fma_f32 v176, v5, v1, -v2
	v_mul_f32_e32 v1, v8, v4
	s_delay_alu instid0(VALU_DEP_4) | instskip(NEXT) | instid1(VALU_DEP_2)
	v_fmac_f32_e32 v177, v8, v3
	v_fma_f32 v178, v7, v3, -v1
	ds_load_2addr_b64 v[1:4], v21 offset0:111 offset1:112
	ds_load_2addr_b64 v[5:8], v21 offset0:113 offset1:114
	s_wait_loadcnt_dscnt 0x1
	v_mul_f32_e32 v179, v1, v10
	v_mul_f32_e32 v181, v3, v12
	s_delay_alu instid0(VALU_DEP_2) | instskip(NEXT) | instid1(VALU_DEP_2)
	v_fmac_f32_e32 v179, v2, v9
	v_dual_mul_f32 v2, v2, v10 :: v_dual_fmac_f32 v181, v4, v11
	s_delay_alu instid0(VALU_DEP_1) | instskip(SKIP_1) | instid1(VALU_DEP_1)
	v_fma_f32 v180, v1, v9, -v2
	v_mul_f32_e32 v1, v4, v12
	v_fma_f32 v182, v3, v11, -v1
	s_clause 0x1
	scratch_load_b128 v[1:4], off, off offset:408
	scratch_load_b128 v[9:12], off, off offset:424
	s_wait_loadcnt_dscnt 0x100
	v_mul_f32_e32 v183, v5, v2
	v_dual_mul_f32 v2, v6, v2 :: v_dual_mul_f32 v185, v7, v4
	s_delay_alu instid0(VALU_DEP_1) | instskip(SKIP_1) | instid1(VALU_DEP_1)
	v_fma_f32 v184, v5, v1, -v2
	v_add_f32_e32 v2, 0, v155
	v_dual_fmac_f32 v185, v8, v3 :: v_dual_add_f32 v2, v2, v156
	s_delay_alu instid0(VALU_DEP_1) | instskip(NEXT) | instid1(VALU_DEP_1)
	v_add_f32_e32 v2, v2, v24
	v_add_f32_e32 v2, v2, v25
	s_delay_alu instid0(VALU_DEP_1) | instskip(NEXT) | instid1(VALU_DEP_1)
	v_add_f32_e32 v2, v2, v32
	v_add_f32_e32 v2, v2, v162
	;; [unrolled: 3-line block ×4, first 2 shown]
	s_delay_alu instid0(VALU_DEP_1) | instskip(SKIP_2) | instid1(VALU_DEP_1)
	v_add_f32_e32 v5, v5, v19
	v_fmac_f32_e32 v183, v6, v1
	v_mul_f32_e32 v1, v8, v4
	v_fma_f32 v186, v7, v3, -v1
	v_add_f32_e32 v1, 0, v22
	s_delay_alu instid0(VALU_DEP_1) | instskip(NEXT) | instid1(VALU_DEP_1)
	v_add_f32_e32 v1, v1, v23
	v_add_f32_e32 v1, v1, v26
	s_delay_alu instid0(VALU_DEP_1) | instskip(NEXT) | instid1(VALU_DEP_1)
	v_add_f32_e32 v1, v1, v27
	;; [unrolled: 3-line block ×3, first 2 shown]
	v_add_f32_e32 v1, v1, v13
	s_delay_alu instid0(VALU_DEP_1) | instskip(SKIP_1) | instid1(VALU_DEP_1)
	v_add_f32_e32 v1, v1, v14
	v_add_f32_e32 v14, v5, v20
	v_dual_add_f32 v1, v1, v16 :: v_dual_add_f32 v14, v14, v163
	s_delay_alu instid0(VALU_DEP_1) | instskip(NEXT) | instid1(VALU_DEP_2)
	v_add_f32_e32 v6, v1, v17
	v_add_f32_e32 v14, v14, v164
	ds_load_2addr_b64 v[1:4], v21 offset0:115 offset1:116
	v_add_f32_e32 v6, v6, v160
	v_add_f32_e32 v17, v14, v167
	s_delay_alu instid0(VALU_DEP_1) | instskip(NEXT) | instid1(VALU_DEP_1)
	v_add_f32_e32 v17, v17, v169
	v_add_f32_e32 v17, v17, v171
	s_delay_alu instid0(VALU_DEP_1) | instskip(NEXT) | instid1(VALU_DEP_1)
	v_add_f32_e32 v17, v17, v173
	v_add_f32_e32 v23, v17, v175
	s_delay_alu instid0(VALU_DEP_1)
	v_add_f32_e32 v32, v23, v177
	v_add_f32_e32 v13, v6, v161
	ds_load_2addr_b64 v[5:8], v21 offset0:117 offset1:118
	s_wait_loadcnt_dscnt 0x1
	v_mul_f32_e32 v26, v3, v12
	v_mul_f32_e32 v12, v4, v12
	v_dual_add_f32 v32, v32, v179 :: v_dual_add_f32 v13, v13, v165
	s_delay_alu instid0(VALU_DEP_3) | instskip(NEXT) | instid1(VALU_DEP_3)
	v_fmac_f32_e32 v26, v4, v11
	v_fma_f32 v28, v3, v11, -v12
	s_delay_alu instid0(VALU_DEP_3) | instskip(NEXT) | instid1(VALU_DEP_1)
	v_dual_add_f32 v32, v32, v181 :: v_dual_add_f32 v13, v13, v166
	v_dual_add_f32 v32, v32, v183 :: v_dual_add_f32 v13, v13, v168
	s_delay_alu instid0(VALU_DEP_1) | instskip(NEXT) | instid1(VALU_DEP_2)
	v_add_f32_e32 v32, v32, v185
	v_add_f32_e32 v18, v13, v170
	scratch_load_b128 v[13:16], off, off offset:472
	v_add_f32_e32 v18, v18, v172
	s_delay_alu instid0(VALU_DEP_1) | instskip(SKIP_2) | instid1(VALU_DEP_3)
	v_add_f32_e32 v18, v18, v174
	v_mul_f32_e32 v25, v1, v10
	v_mul_f32_e32 v10, v2, v10
	v_add_f32_e32 v22, v18, v176
	s_delay_alu instid0(VALU_DEP_3) | instskip(NEXT) | instid1(VALU_DEP_3)
	v_fmac_f32_e32 v25, v2, v9
	v_fma_f32 v27, v1, v9, -v10
	s_clause 0x1
	scratch_load_b128 v[1:4], off, off offset:440
	scratch_load_b128 v[9:12], off, off offset:456
	ds_load_2addr_b64 v[17:20], v21 offset0:119 offset1:120
	v_add_f32_e32 v29, v22, v178
	ds_load_2addr_b64 v[21:24], v21 offset0:121 offset1:122
	s_wait_loadcnt_dscnt 0x200
	v_dual_add_f32 v25, v32, v25 :: v_dual_mul_f32 v160, v21, v14
	s_delay_alu instid0(VALU_DEP_1)
	v_fmac_f32_e32 v160, v22, v13
	s_wait_loadcnt 0x1
	v_mul_f32_e32 v156, v7, v4
	v_mul_f32_e32 v4, v8, v4
	v_add_f32_e32 v29, v29, v180
	v_mul_f32_e32 v155, v5, v2
	v_mul_f32_e32 v2, v6, v2
	v_fmac_f32_e32 v156, v8, v3
	s_wait_loadcnt 0x0
	v_dual_mul_f32 v158, v17, v10 :: v_dual_mul_f32 v159, v19, v12
	v_add_f32_e32 v29, v29, v182
	v_fma_f32 v3, v7, v3, -v4
	v_dual_mul_f32 v4, v20, v12 :: v_dual_fmac_f32 v155, v6, v1
	s_delay_alu instid0(VALU_DEP_3)
	v_dual_mul_f32 v6, v18, v10 :: v_dual_add_f32 v29, v29, v184
	v_fmac_f32_e32 v158, v18, v9
	v_fma_f32 v2, v5, v1, -v2
	v_add_f32_e32 v5, v25, v26
	v_fmac_f32_e32 v159, v20, v11
	v_add_f32_e32 v29, v29, v186
	v_fma_f32 v4, v19, v11, -v4
	s_delay_alu instid0(VALU_DEP_2) | instskip(SKIP_1) | instid1(VALU_DEP_2)
	v_add_f32_e32 v27, v29, v27
	v_mul_f32_e32 v29, v23, v16
	v_add_f32_e32 v1, v27, v28
	s_delay_alu instid0(VALU_DEP_1) | instskip(SKIP_2) | instid1(VALU_DEP_2)
	v_add_f32_e32 v1, v1, v2
	v_add_f32_e32 v2, v5, v155
	v_fma_f32 v5, v17, v9, -v6
	v_dual_fmac_f32 v29, v24, v15 :: v_dual_add_f32 v2, v2, v156
	s_delay_alu instid0(VALU_DEP_1) | instskip(NEXT) | instid1(VALU_DEP_1)
	v_add_f32_e32 v2, v2, v158
	v_add_f32_e32 v2, v2, v159
	;; [unrolled: 1-line block ×3, first 2 shown]
	v_mul_f32_e32 v3, v22, v14
	s_delay_alu instid0(VALU_DEP_2) | instskip(SKIP_1) | instid1(VALU_DEP_3)
	v_dual_add_f32 v2, v2, v160 :: v_dual_add_f32 v1, v1, v5
	v_mul_f32_e32 v5, v24, v16
	v_fma_f32 v3, v21, v13, -v3
	s_delay_alu instid0(VALU_DEP_3) | instskip(NEXT) | instid1(VALU_DEP_3)
	v_dual_add_f32 v2, v2, v29 :: v_dual_add_f32 v1, v1, v4
	v_fma_f32 v4, v23, v15, -v5
	s_delay_alu instid0(VALU_DEP_2) | instskip(NEXT) | instid1(VALU_DEP_1)
	v_dual_sub_f32 v2, v31, v2 :: v_dual_add_f32 v1, v1, v3
	v_add_f32_e32 v1, v1, v4
	s_delay_alu instid0(VALU_DEP_1)
	v_sub_f32_e32 v1, v30, v1
	scratch_store_b64 off, v[1:2], off offset:224
	v_cmpx_lt_u32_e32 27, v0
	s_cbranch_execz .LBB124_325
; %bb.324:
	scratch_load_b64 v[1:2], off, off offset:216
	v_mov_b32_e32 v3, 0
	s_delay_alu instid0(VALU_DEP_1)
	v_mov_b32_e32 v4, v3
	scratch_store_b64 off, v[3:4], off offset:216
	s_wait_loadcnt 0x0
	ds_store_b64 v157, v[1:2]
.LBB124_325:
	s_wait_alu 0xfffe
	s_or_b32 exec_lo, exec_lo, s0
	s_wait_storecnt_dscnt 0x0
	s_barrier_signal -1
	s_barrier_wait -1
	global_inv scope:SCOPE_SE
	s_clause 0x4
	scratch_load_b128 v[5:8], off, off offset:224
	scratch_load_b128 v[1:4], off, off offset:240
	scratch_load_b128 v[9:12], off, off offset:256
	scratch_load_b128 v[13:16], off, off offset:272
	scratch_load_b128 v[17:20], off, off offset:288
	v_mov_b32_e32 v21, 0
	ds_load_b128 v[22:25], v21 offset:720
	ds_load_b128 v[26:29], v21 offset:736
	;; [unrolled: 1-line block ×3, first 2 shown]
	scratch_load_b64 v[30:31], off, off offset:216
	s_mov_b32 s0, exec_lo
	s_wait_loadcnt_dscnt 0x502
	v_mul_f32_e32 v32, v23, v6
	v_dual_mul_f32 v155, v22, v6 :: v_dual_mul_f32 v156, v24, v8
	v_mul_f32_e32 v6, v25, v8
	s_wait_loadcnt_dscnt 0x300
	v_mul_f32_e32 v162, v160, v12
	v_fma_f32 v22, v22, v5, -v32
	v_dual_fmac_f32 v155, v23, v5 :: v_dual_fmac_f32 v156, v25, v7
	v_mul_f32_e32 v25, v28, v4
	v_fma_f32 v23, v24, v7, -v6
	ds_load_b128 v[5:8], v21 offset:768
	v_mul_f32_e32 v24, v26, v2
	v_mul_f32_e32 v4, v29, v4
	v_mul_f32_e32 v32, v158, v10
	v_mul_f32_e32 v10, v159, v10
	v_mul_f32_e32 v12, v161, v12
	v_dual_mul_f32 v2, v27, v2 :: v_dual_fmac_f32 v25, v29, v3
	v_fmac_f32_e32 v24, v27, v1
	v_fma_f32 v27, v28, v3, -v4
	v_fmac_f32_e32 v32, v159, v9
	v_fma_f32 v28, v158, v9, -v10
	;; [unrolled: 2-line block ×3, first 2 shown]
	ds_load_b128 v[9:12], v21 offset:784
	s_wait_loadcnt_dscnt 0x201
	v_dual_mul_f32 v159, v7, v16 :: v_dual_mul_f32 v158, v5, v14
	v_mul_f32_e32 v14, v6, v14
	v_mul_f32_e32 v16, v8, v16
	s_delay_alu instid0(VALU_DEP_3)
	v_fmac_f32_e32 v159, v8, v15
	v_fma_f32 v26, v26, v1, -v2
	scratch_load_b128 v[1:4], off, off offset:304
	v_fmac_f32_e32 v158, v6, v13
	v_fma_f32 v13, v5, v13, -v14
	v_fma_f32 v14, v7, v15, -v16
	ds_load_b128 v[5:8], v21 offset:800
	s_wait_loadcnt_dscnt 0x201
	v_mul_f32_e32 v15, v9, v18
	v_mul_f32_e32 v16, v10, v18
	;; [unrolled: 1-line block ×3, first 2 shown]
	s_delay_alu instid0(VALU_DEP_3) | instskip(NEXT) | instid1(VALU_DEP_3)
	v_dual_mul_f32 v20, v12, v20 :: v_dual_fmac_f32 v15, v10, v17
	v_fma_f32 v16, v9, v17, -v16
	s_delay_alu instid0(VALU_DEP_3) | instskip(NEXT) | instid1(VALU_DEP_3)
	v_fmac_f32_e32 v18, v12, v19
	v_fma_f32 v17, v11, v19, -v20
	scratch_load_b128 v[9:12], off, off offset:320
	s_wait_loadcnt_dscnt 0x100
	v_mul_f32_e32 v19, v5, v2
	v_mul_f32_e32 v2, v6, v2
	v_mul_f32_e32 v20, v7, v4
	s_delay_alu instid0(VALU_DEP_3) | instskip(NEXT) | instid1(VALU_DEP_3)
	v_dual_mul_f32 v4, v8, v4 :: v_dual_fmac_f32 v19, v6, v1
	v_fma_f32 v160, v5, v1, -v2
	s_delay_alu instid0(VALU_DEP_3) | instskip(NEXT) | instid1(VALU_DEP_3)
	v_fmac_f32_e32 v20, v8, v3
	v_fma_f32 v161, v7, v3, -v4
	ds_load_b128 v[1:4], v21 offset:816
	ds_load_b128 v[5:8], v21 offset:832
	s_wait_loadcnt_dscnt 0x1
	v_mul_f32_e32 v163, v1, v10
	v_mul_f32_e32 v10, v2, v10
	s_delay_alu instid0(VALU_DEP_2) | instskip(NEXT) | instid1(VALU_DEP_2)
	v_dual_mul_f32 v164, v3, v12 :: v_dual_fmac_f32 v163, v2, v9
	v_fma_f32 v165, v1, v9, -v10
	v_mul_f32_e32 v1, v4, v12
	s_delay_alu instid0(VALU_DEP_3) | instskip(NEXT) | instid1(VALU_DEP_2)
	v_fmac_f32_e32 v164, v4, v11
	v_fma_f32 v166, v3, v11, -v1
	s_clause 0x1
	scratch_load_b128 v[1:4], off, off offset:336
	scratch_load_b128 v[9:12], off, off offset:352
	s_wait_loadcnt_dscnt 0x100
	v_mul_f32_e32 v167, v5, v2
	v_dual_mul_f32 v2, v6, v2 :: v_dual_mul_f32 v169, v7, v4
	s_delay_alu instid0(VALU_DEP_2) | instskip(NEXT) | instid1(VALU_DEP_2)
	v_fmac_f32_e32 v167, v6, v1
	v_fma_f32 v168, v5, v1, -v2
	v_mul_f32_e32 v1, v8, v4
	s_delay_alu instid0(VALU_DEP_4) | instskip(NEXT) | instid1(VALU_DEP_2)
	v_fmac_f32_e32 v169, v8, v3
	v_fma_f32 v170, v7, v3, -v1
	ds_load_b128 v[1:4], v21 offset:848
	ds_load_b128 v[5:8], v21 offset:864
	s_wait_loadcnt_dscnt 0x1
	v_mul_f32_e32 v171, v1, v10
	v_mul_f32_e32 v173, v3, v12
	s_delay_alu instid0(VALU_DEP_2) | instskip(NEXT) | instid1(VALU_DEP_2)
	v_fmac_f32_e32 v171, v2, v9
	v_dual_mul_f32 v2, v2, v10 :: v_dual_fmac_f32 v173, v4, v11
	s_delay_alu instid0(VALU_DEP_1) | instskip(SKIP_1) | instid1(VALU_DEP_1)
	v_fma_f32 v172, v1, v9, -v2
	v_mul_f32_e32 v1, v4, v12
	v_fma_f32 v174, v3, v11, -v1
	s_clause 0x1
	scratch_load_b128 v[1:4], off, off offset:368
	scratch_load_b128 v[9:12], off, off offset:384
	s_wait_loadcnt_dscnt 0x100
	v_mul_f32_e32 v175, v5, v2
	v_dual_mul_f32 v2, v6, v2 :: v_dual_mul_f32 v177, v7, v4
	s_delay_alu instid0(VALU_DEP_2) | instskip(NEXT) | instid1(VALU_DEP_2)
	v_fmac_f32_e32 v175, v6, v1
	v_fma_f32 v176, v5, v1, -v2
	v_mul_f32_e32 v1, v8, v4
	s_delay_alu instid0(VALU_DEP_4) | instskip(NEXT) | instid1(VALU_DEP_2)
	v_fmac_f32_e32 v177, v8, v3
	v_fma_f32 v178, v7, v3, -v1
	ds_load_b128 v[1:4], v21 offset:880
	ds_load_b128 v[5:8], v21 offset:896
	s_wait_loadcnt_dscnt 0x1
	v_mul_f32_e32 v179, v1, v10
	v_mul_f32_e32 v181, v3, v12
	s_delay_alu instid0(VALU_DEP_2) | instskip(NEXT) | instid1(VALU_DEP_2)
	v_fmac_f32_e32 v179, v2, v9
	v_dual_mul_f32 v2, v2, v10 :: v_dual_fmac_f32 v181, v4, v11
	s_delay_alu instid0(VALU_DEP_1) | instskip(SKIP_1) | instid1(VALU_DEP_1)
	v_fma_f32 v180, v1, v9, -v2
	v_mul_f32_e32 v1, v4, v12
	v_fma_f32 v182, v3, v11, -v1
	s_clause 0x1
	scratch_load_b128 v[1:4], off, off offset:400
	scratch_load_b128 v[9:12], off, off offset:416
	s_wait_loadcnt_dscnt 0x100
	v_mul_f32_e32 v183, v5, v2
	v_dual_mul_f32 v2, v6, v2 :: v_dual_mul_f32 v185, v7, v4
	s_delay_alu instid0(VALU_DEP_1) | instskip(SKIP_1) | instid1(VALU_DEP_1)
	v_fma_f32 v184, v5, v1, -v2
	v_add_f32_e32 v2, 0, v155
	v_dual_add_f32 v2, v2, v156 :: v_dual_fmac_f32 v185, v8, v3
	s_delay_alu instid0(VALU_DEP_1) | instskip(NEXT) | instid1(VALU_DEP_1)
	v_add_f32_e32 v2, v2, v24
	v_add_f32_e32 v2, v2, v25
	s_delay_alu instid0(VALU_DEP_1) | instskip(NEXT) | instid1(VALU_DEP_1)
	v_add_f32_e32 v2, v2, v32
	v_add_f32_e32 v2, v2, v162
	;; [unrolled: 3-line block ×4, first 2 shown]
	s_delay_alu instid0(VALU_DEP_1) | instskip(SKIP_2) | instid1(VALU_DEP_1)
	v_add_f32_e32 v5, v5, v19
	v_fmac_f32_e32 v183, v6, v1
	v_mul_f32_e32 v1, v8, v4
	v_fma_f32 v186, v7, v3, -v1
	v_add_f32_e32 v1, 0, v22
	s_delay_alu instid0(VALU_DEP_1) | instskip(NEXT) | instid1(VALU_DEP_1)
	v_add_f32_e32 v1, v1, v23
	v_add_f32_e32 v1, v1, v26
	s_delay_alu instid0(VALU_DEP_1) | instskip(SKIP_2) | instid1(VALU_DEP_1)
	v_add_f32_e32 v1, v1, v27
	scratch_load_b64 v[26:27], off, off offset:480
	v_add_f32_e32 v1, v1, v28
	v_add_f32_e32 v1, v1, v29
	s_delay_alu instid0(VALU_DEP_1) | instskip(NEXT) | instid1(VALU_DEP_1)
	v_add_f32_e32 v1, v1, v13
	v_add_f32_e32 v1, v1, v14
	;; [unrolled: 1-line block ×3, first 2 shown]
	s_delay_alu instid0(VALU_DEP_1) | instskip(NEXT) | instid1(VALU_DEP_1)
	v_add_f32_e32 v14, v14, v163
	v_add_f32_e32 v14, v14, v164
	s_delay_alu instid0(VALU_DEP_4) | instskip(NEXT) | instid1(VALU_DEP_1)
	v_add_f32_e32 v1, v1, v16
	v_dual_add_f32 v6, v1, v17 :: v_dual_add_f32 v17, v14, v167
	ds_load_b128 v[1:4], v21 offset:912
	v_dual_add_f32 v6, v6, v160 :: v_dual_add_f32 v17, v17, v169
	s_delay_alu instid0(VALU_DEP_1) | instskip(SKIP_2) | instid1(VALU_DEP_1)
	v_add_f32_e32 v13, v6, v161
	ds_load_b128 v[5:8], v21 offset:928
	v_add_f32_e32 v17, v17, v171
	v_add_f32_e32 v17, v17, v173
	s_delay_alu instid0(VALU_DEP_1) | instskip(SKIP_3) | instid1(VALU_DEP_3)
	v_add_f32_e32 v17, v17, v175
	s_wait_loadcnt_dscnt 0x101
	v_mul_f32_e32 v32, v1, v10
	v_dual_add_f32 v13, v13, v165 :: v_dual_mul_f32 v10, v2, v10
	v_add_f32_e32 v22, v17, v177
	s_delay_alu instid0(VALU_DEP_2) | instskip(NEXT) | instid1(VALU_DEP_3)
	v_dual_fmac_f32 v32, v2, v9 :: v_dual_add_f32 v13, v13, v166
	v_fma_f32 v156, v1, v9, -v10
	s_delay_alu instid0(VALU_DEP_3) | instskip(SKIP_2) | instid1(VALU_DEP_1)
	v_add_f32_e32 v29, v22, v179
	ds_load_b128 v[22:25], v21 offset:960
	v_add_f32_e32 v160, v29, v181
	v_dual_add_f32 v13, v13, v168 :: v_dual_add_f32 v160, v160, v183
	s_delay_alu instid0(VALU_DEP_1)
	v_dual_mul_f32 v155, v3, v12 :: v_dual_add_f32 v18, v13, v170
	v_mul_f32_e32 v12, v4, v12
	scratch_load_b128 v[13:16], off, off offset:464
	v_add_f32_e32 v160, v160, v185
	v_add_f32_e32 v18, v18, v172
	v_fma_f32 v158, v3, v11, -v12
	s_delay_alu instid0(VALU_DEP_3) | instskip(NEXT) | instid1(VALU_DEP_3)
	v_add_f32_e32 v32, v160, v32
	v_add_f32_e32 v18, v18, v174
	s_delay_alu instid0(VALU_DEP_1) | instskip(SKIP_4) | instid1(VALU_DEP_1)
	v_dual_add_f32 v18, v18, v176 :: v_dual_fmac_f32 v155, v4, v11
	s_clause 0x1
	scratch_load_b128 v[1:4], off, off offset:432
	scratch_load_b128 v[9:12], off, off offset:448
	v_add_f32_e32 v18, v18, v178
	v_add_f32_e32 v28, v18, v180
	ds_load_b128 v[17:20], v21 offset:944
	v_add_f32_e32 v159, v28, v182
	ds_load_b64 v[28:29], v21 offset:976
	v_add_f32_e32 v159, v159, v184
	s_delay_alu instid0(VALU_DEP_1) | instskip(NEXT) | instid1(VALU_DEP_1)
	v_add_f32_e32 v159, v159, v186
	v_add_f32_e32 v156, v159, v156
	s_delay_alu instid0(VALU_DEP_1) | instskip(SKIP_2) | instid1(VALU_DEP_1)
	v_add_f32_e32 v156, v156, v158
	s_wait_loadcnt_dscnt 0x202
	v_dual_mul_f32 v163, v22, v14 :: v_dual_mul_f32 v158, v24, v16
	v_fmac_f32_e32 v158, v25, v15
	s_wait_loadcnt 0x1
	v_mul_f32_e32 v161, v5, v2
	v_mul_f32_e32 v2, v6, v2
	;; [unrolled: 1-line block ×3, first 2 shown]
	s_wait_loadcnt_dscnt 0x1
	v_dual_mul_f32 v4, v8, v4 :: v_dual_mul_f32 v159, v17, v10
	v_mul_f32_e32 v160, v19, v12
	v_fma_f32 v2, v5, v1, -v2
	v_dual_add_f32 v32, v32, v155 :: v_dual_fmac_f32 v161, v6, v1
	v_fmac_f32_e32 v162, v8, v3
	v_fma_f32 v1, v7, v3, -v4
	v_mul_f32_e32 v3, v18, v10
	v_dual_add_f32 v2, v156, v2 :: v_dual_fmac_f32 v159, v18, v9
	v_fmac_f32_e32 v160, v20, v11
	s_wait_dscnt 0x0
	v_mul_f32_e32 v155, v28, v27
	v_fma_f32 v3, v17, v9, -v3
	v_add_f32_e32 v1, v2, v1
	s_delay_alu instid0(VALU_DEP_1) | instskip(NEXT) | instid1(VALU_DEP_1)
	v_dual_add_f32 v4, v32, v161 :: v_dual_add_f32 v1, v1, v3
	v_add_f32_e32 v2, v4, v162
	v_dual_mul_f32 v5, v20, v12 :: v_dual_mul_f32 v4, v23, v14
	v_mul_f32_e32 v3, v25, v16
	s_delay_alu instid0(VALU_DEP_3) | instskip(NEXT) | instid1(VALU_DEP_3)
	v_dual_fmac_f32 v155, v29, v26 :: v_dual_add_f32 v2, v2, v159
	v_fma_f32 v5, v19, v11, -v5
	v_fmac_f32_e32 v163, v23, v13
	v_fma_f32 v4, v22, v13, -v4
	v_fma_f32 v3, v24, v15, -v3
	s_delay_alu instid0(VALU_DEP_4) | instskip(NEXT) | instid1(VALU_DEP_1)
	v_dual_add_f32 v2, v2, v160 :: v_dual_add_f32 v1, v1, v5
	v_add_f32_e32 v2, v2, v163
	s_delay_alu instid0(VALU_DEP_1) | instskip(NEXT) | instid1(VALU_DEP_3)
	v_dual_mul_f32 v5, v29, v27 :: v_dual_add_f32 v2, v2, v158
	v_add_f32_e32 v1, v1, v4
	s_delay_alu instid0(VALU_DEP_2) | instskip(NEXT) | instid1(VALU_DEP_3)
	v_fma_f32 v4, v28, v26, -v5
	v_add_f32_e32 v2, v2, v155
	s_delay_alu instid0(VALU_DEP_1) | instskip(NEXT) | instid1(VALU_DEP_1)
	v_dual_add_f32 v1, v1, v3 :: v_dual_sub_f32 v2, v31, v2
	v_add_f32_e32 v1, v1, v4
	s_delay_alu instid0(VALU_DEP_1)
	v_sub_f32_e32 v1, v30, v1
	scratch_store_b64 off, v[1:2], off offset:216
	v_cmpx_lt_u32_e32 26, v0
	s_cbranch_execz .LBB124_327
; %bb.326:
	scratch_load_b64 v[1:2], off, off offset:208
	v_mov_b32_e32 v22, v21
	scratch_store_b64 off, v[21:22], off offset:208
	s_wait_loadcnt 0x0
	ds_store_b64 v157, v[1:2]
.LBB124_327:
	s_wait_alu 0xfffe
	s_or_b32 exec_lo, exec_lo, s0
	s_wait_storecnt_dscnt 0x0
	s_barrier_signal -1
	s_barrier_wait -1
	global_inv scope:SCOPE_SE
	s_clause 0x4
	scratch_load_b128 v[5:8], off, off offset:216
	scratch_load_b128 v[1:4], off, off offset:232
	;; [unrolled: 1-line block ×5, first 2 shown]
	ds_load_2addr_b64 v[22:25], v21 offset0:89 offset1:90
	ds_load_2addr_b64 v[26:29], v21 offset0:91 offset1:92
	;; [unrolled: 1-line block ×3, first 2 shown]
	scratch_load_b64 v[30:31], off, off offset:208
	s_mov_b32 s0, exec_lo
	s_wait_loadcnt_dscnt 0x502
	v_mul_f32_e32 v32, v23, v6
	v_dual_mul_f32 v155, v22, v6 :: v_dual_mul_f32 v156, v24, v8
	v_mul_f32_e32 v6, v25, v8
	s_wait_loadcnt_dscnt 0x300
	v_mul_f32_e32 v162, v160, v12
	s_delay_alu instid0(VALU_DEP_3)
	v_dual_mul_f32 v12, v161, v12 :: v_dual_fmac_f32 v155, v23, v5
	v_fmac_f32_e32 v156, v25, v7
	v_fma_f32 v23, v24, v7, -v6
	v_mul_f32_e32 v25, v28, v4
	v_fma_f32 v22, v22, v5, -v32
	ds_load_2addr_b64 v[5:8], v21 offset0:95 offset1:96
	v_mul_f32_e32 v24, v26, v2
	v_mul_f32_e32 v4, v29, v4
	v_mul_f32_e32 v32, v158, v10
	v_mul_f32_e32 v10, v159, v10
	v_dual_mul_f32 v2, v27, v2 :: v_dual_fmac_f32 v25, v29, v3
	v_fmac_f32_e32 v24, v27, v1
	v_fma_f32 v27, v28, v3, -v4
	v_fmac_f32_e32 v32, v159, v9
	v_fma_f32 v28, v158, v9, -v10
	;; [unrolled: 2-line block ×3, first 2 shown]
	ds_load_2addr_b64 v[9:12], v21 offset0:97 offset1:98
	s_wait_loadcnt_dscnt 0x201
	v_dual_mul_f32 v159, v7, v16 :: v_dual_mul_f32 v158, v5, v14
	v_mul_f32_e32 v14, v6, v14
	v_mul_f32_e32 v16, v8, v16
	s_delay_alu instid0(VALU_DEP_3)
	v_fmac_f32_e32 v159, v8, v15
	v_fma_f32 v26, v26, v1, -v2
	scratch_load_b128 v[1:4], off, off offset:296
	v_fmac_f32_e32 v158, v6, v13
	v_fma_f32 v13, v5, v13, -v14
	v_fma_f32 v14, v7, v15, -v16
	ds_load_2addr_b64 v[5:8], v21 offset0:99 offset1:100
	s_wait_loadcnt_dscnt 0x201
	v_mul_f32_e32 v15, v9, v18
	v_mul_f32_e32 v16, v10, v18
	;; [unrolled: 1-line block ×3, first 2 shown]
	s_delay_alu instid0(VALU_DEP_3) | instskip(NEXT) | instid1(VALU_DEP_3)
	v_dual_mul_f32 v20, v12, v20 :: v_dual_fmac_f32 v15, v10, v17
	v_fma_f32 v16, v9, v17, -v16
	s_delay_alu instid0(VALU_DEP_3) | instskip(NEXT) | instid1(VALU_DEP_3)
	v_fmac_f32_e32 v18, v12, v19
	v_fma_f32 v17, v11, v19, -v20
	scratch_load_b128 v[9:12], off, off offset:312
	s_wait_loadcnt_dscnt 0x100
	v_mul_f32_e32 v19, v5, v2
	v_mul_f32_e32 v2, v6, v2
	;; [unrolled: 1-line block ×3, first 2 shown]
	s_delay_alu instid0(VALU_DEP_3) | instskip(NEXT) | instid1(VALU_DEP_3)
	v_dual_mul_f32 v4, v8, v4 :: v_dual_fmac_f32 v19, v6, v1
	v_fma_f32 v160, v5, v1, -v2
	s_delay_alu instid0(VALU_DEP_3) | instskip(NEXT) | instid1(VALU_DEP_3)
	v_fmac_f32_e32 v20, v8, v3
	v_fma_f32 v161, v7, v3, -v4
	ds_load_2addr_b64 v[1:4], v21 offset0:101 offset1:102
	ds_load_2addr_b64 v[5:8], v21 offset0:103 offset1:104
	s_wait_loadcnt_dscnt 0x1
	v_mul_f32_e32 v163, v1, v10
	v_mul_f32_e32 v10, v2, v10
	s_delay_alu instid0(VALU_DEP_2) | instskip(NEXT) | instid1(VALU_DEP_2)
	v_dual_mul_f32 v164, v3, v12 :: v_dual_fmac_f32 v163, v2, v9
	v_fma_f32 v165, v1, v9, -v10
	v_mul_f32_e32 v1, v4, v12
	s_delay_alu instid0(VALU_DEP_3) | instskip(NEXT) | instid1(VALU_DEP_2)
	v_fmac_f32_e32 v164, v4, v11
	v_fma_f32 v166, v3, v11, -v1
	s_clause 0x1
	scratch_load_b128 v[1:4], off, off offset:328
	scratch_load_b128 v[9:12], off, off offset:344
	s_wait_loadcnt_dscnt 0x100
	v_mul_f32_e32 v167, v5, v2
	v_dual_mul_f32 v2, v6, v2 :: v_dual_mul_f32 v169, v7, v4
	s_delay_alu instid0(VALU_DEP_2) | instskip(NEXT) | instid1(VALU_DEP_2)
	v_fmac_f32_e32 v167, v6, v1
	v_fma_f32 v168, v5, v1, -v2
	v_mul_f32_e32 v1, v8, v4
	s_delay_alu instid0(VALU_DEP_4) | instskip(NEXT) | instid1(VALU_DEP_2)
	v_fmac_f32_e32 v169, v8, v3
	v_fma_f32 v170, v7, v3, -v1
	ds_load_2addr_b64 v[1:4], v21 offset0:105 offset1:106
	ds_load_2addr_b64 v[5:8], v21 offset0:107 offset1:108
	s_wait_loadcnt_dscnt 0x1
	v_mul_f32_e32 v171, v1, v10
	v_mul_f32_e32 v173, v3, v12
	s_delay_alu instid0(VALU_DEP_2) | instskip(NEXT) | instid1(VALU_DEP_2)
	v_fmac_f32_e32 v171, v2, v9
	v_dual_mul_f32 v2, v2, v10 :: v_dual_fmac_f32 v173, v4, v11
	s_delay_alu instid0(VALU_DEP_1) | instskip(SKIP_1) | instid1(VALU_DEP_1)
	v_fma_f32 v172, v1, v9, -v2
	v_mul_f32_e32 v1, v4, v12
	v_fma_f32 v174, v3, v11, -v1
	s_clause 0x1
	scratch_load_b128 v[1:4], off, off offset:360
	scratch_load_b128 v[9:12], off, off offset:376
	s_wait_loadcnt_dscnt 0x100
	v_mul_f32_e32 v175, v5, v2
	v_dual_mul_f32 v2, v6, v2 :: v_dual_mul_f32 v177, v7, v4
	s_delay_alu instid0(VALU_DEP_2) | instskip(NEXT) | instid1(VALU_DEP_2)
	v_fmac_f32_e32 v175, v6, v1
	v_fma_f32 v176, v5, v1, -v2
	v_mul_f32_e32 v1, v8, v4
	s_delay_alu instid0(VALU_DEP_4) | instskip(NEXT) | instid1(VALU_DEP_2)
	v_fmac_f32_e32 v177, v8, v3
	v_fma_f32 v178, v7, v3, -v1
	ds_load_2addr_b64 v[1:4], v21 offset0:109 offset1:110
	ds_load_2addr_b64 v[5:8], v21 offset0:111 offset1:112
	s_wait_loadcnt_dscnt 0x1
	v_mul_f32_e32 v179, v1, v10
	v_mul_f32_e32 v181, v3, v12
	s_delay_alu instid0(VALU_DEP_2) | instskip(NEXT) | instid1(VALU_DEP_2)
	v_fmac_f32_e32 v179, v2, v9
	v_dual_mul_f32 v2, v2, v10 :: v_dual_fmac_f32 v181, v4, v11
	s_delay_alu instid0(VALU_DEP_1) | instskip(SKIP_1) | instid1(VALU_DEP_1)
	v_fma_f32 v180, v1, v9, -v2
	v_mul_f32_e32 v1, v4, v12
	v_fma_f32 v182, v3, v11, -v1
	s_clause 0x1
	scratch_load_b128 v[1:4], off, off offset:392
	scratch_load_b128 v[9:12], off, off offset:408
	s_wait_loadcnt_dscnt 0x100
	v_mul_f32_e32 v183, v5, v2
	v_dual_mul_f32 v2, v6, v2 :: v_dual_mul_f32 v185, v7, v4
	s_delay_alu instid0(VALU_DEP_1) | instskip(SKIP_1) | instid1(VALU_DEP_3)
	v_fma_f32 v184, v5, v1, -v2
	v_add_f32_e32 v2, 0, v155
	v_fmac_f32_e32 v185, v8, v3
	v_fmac_f32_e32 v183, v6, v1
	s_delay_alu instid0(VALU_DEP_3) | instskip(NEXT) | instid1(VALU_DEP_1)
	v_add_f32_e32 v2, v2, v156
	v_add_f32_e32 v2, v2, v24
	s_delay_alu instid0(VALU_DEP_1) | instskip(NEXT) | instid1(VALU_DEP_1)
	v_dual_mul_f32 v1, v8, v4 :: v_dual_add_f32 v2, v2, v25
	v_fma_f32 v186, v7, v3, -v1
	s_delay_alu instid0(VALU_DEP_2) | instskip(NEXT) | instid1(VALU_DEP_1)
	v_dual_add_f32 v1, 0, v22 :: v_dual_add_f32 v2, v2, v32
	v_dual_add_f32 v1, v1, v23 :: v_dual_add_f32 v2, v2, v162
	s_delay_alu instid0(VALU_DEP_1) | instskip(NEXT) | instid1(VALU_DEP_1)
	v_add_f32_e32 v2, v2, v158
	v_dual_add_f32 v1, v1, v26 :: v_dual_add_f32 v2, v2, v159
	s_delay_alu instid0(VALU_DEP_1) | instskip(NEXT) | instid1(VALU_DEP_1)
	v_add_f32_e32 v1, v1, v27
	v_dual_add_f32 v2, v2, v15 :: v_dual_add_f32 v1, v1, v28
	s_delay_alu instid0(VALU_DEP_1) | instskip(NEXT) | instid1(VALU_DEP_2)
	v_add_f32_e32 v5, v2, v18
	v_add_f32_e32 v1, v1, v29
	s_delay_alu instid0(VALU_DEP_1) | instskip(NEXT) | instid1(VALU_DEP_3)
	v_add_f32_e32 v1, v1, v13
	v_add_f32_e32 v13, v5, v19
	s_delay_alu instid0(VALU_DEP_1) | instskip(NEXT) | instid1(VALU_DEP_1)
	v_add_f32_e32 v13, v13, v20
	v_add_f32_e32 v13, v13, v163
	s_delay_alu instid0(VALU_DEP_1) | instskip(NEXT) | instid1(VALU_DEP_1)
	v_add_f32_e32 v18, v13, v164
	v_dual_add_f32 v18, v18, v167 :: v_dual_add_f32 v1, v1, v14
	s_delay_alu instid0(VALU_DEP_1) | instskip(NEXT) | instid1(VALU_DEP_1)
	v_dual_add_f32 v18, v18, v169 :: v_dual_add_f32 v1, v1, v16
	v_dual_add_f32 v22, v18, v171 :: v_dual_add_f32 v1, v1, v17
	s_delay_alu instid0(VALU_DEP_1) | instskip(NEXT) | instid1(VALU_DEP_2)
	v_add_f32_e32 v22, v22, v173
	v_add_f32_e32 v6, v1, v160
	ds_load_2addr_b64 v[1:4], v21 offset0:113 offset1:114
	v_add_f32_e32 v22, v22, v175
	v_add_f32_e32 v14, v6, v161
	scratch_load_b128 v[5:8], off, off offset:424
	v_add_f32_e32 v14, v14, v165
	s_delay_alu instid0(VALU_DEP_1)
	v_add_f32_e32 v17, v14, v166
	ds_load_2addr_b64 v[13:16], v21 offset0:115 offset1:116
	s_wait_loadcnt_dscnt 0x101
	v_mul_f32_e32 v25, v1, v10
	v_mul_f32_e32 v10, v2, v10
	;; [unrolled: 1-line block ×3, first 2 shown]
	s_delay_alu instid0(VALU_DEP_3) | instskip(NEXT) | instid1(VALU_DEP_3)
	v_dual_mul_f32 v12, v4, v12 :: v_dual_fmac_f32 v25, v2, v9
	v_fma_f32 v27, v1, v9, -v10
	s_delay_alu instid0(VALU_DEP_3) | instskip(NEXT) | instid1(VALU_DEP_3)
	v_fmac_f32_e32 v26, v4, v11
	v_fma_f32 v28, v3, v11, -v12
	s_clause 0x1
	scratch_load_b128 v[1:4], off, off offset:440
	scratch_load_b128 v[9:12], off, off offset:456
	s_wait_loadcnt_dscnt 0x200
	v_mul_f32_e32 v32, v15, v8
	v_add_f32_e32 v17, v17, v168
	v_mul_f32_e32 v29, v13, v6
	v_mul_f32_e32 v6, v14, v6
	;; [unrolled: 1-line block ×3, first 2 shown]
	s_delay_alu instid0(VALU_DEP_4) | instskip(NEXT) | instid1(VALU_DEP_3)
	v_dual_fmac_f32 v32, v16, v7 :: v_dual_add_f32 v17, v17, v170
	v_fma_f32 v155, v13, v5, -v6
	v_add_f32_e32 v13, v22, v177
	s_delay_alu instid0(VALU_DEP_4) | instskip(NEXT) | instid1(VALU_DEP_4)
	v_fma_f32 v156, v15, v7, -v8
	v_add_f32_e32 v17, v17, v172
	s_delay_alu instid0(VALU_DEP_1) | instskip(SKIP_2) | instid1(VALU_DEP_1)
	v_add_f32_e32 v23, v17, v174
	scratch_load_b128 v[17:20], off, off offset:472
	v_add_f32_e32 v23, v23, v176
	v_add_f32_e32 v23, v23, v178
	s_delay_alu instid0(VALU_DEP_1) | instskip(SKIP_4) | instid1(VALU_DEP_1)
	v_dual_add_f32 v22, v23, v180 :: v_dual_fmac_f32 v29, v14, v5
	ds_load_2addr_b64 v[5:8], v21 offset0:117 offset1:118
	v_add_f32_e32 v23, v13, v179
	ds_load_2addr_b64 v[13:16], v21 offset0:119 offset1:120
	v_add_f32_e32 v158, v22, v182
	v_dual_add_f32 v158, v158, v184 :: v_dual_add_f32 v159, v23, v181
	ds_load_2addr_b64 v[21:24], v21 offset0:121 offset1:122
	v_dual_add_f32 v158, v158, v186 :: v_dual_add_f32 v159, v159, v183
	s_delay_alu instid0(VALU_DEP_1) | instskip(SKIP_1) | instid1(VALU_DEP_2)
	v_add_f32_e32 v27, v158, v27
	s_wait_loadcnt_dscnt 0x202
	v_dual_add_f32 v159, v159, v185 :: v_dual_mul_f32 v160, v5, v2
	v_mul_f32_e32 v2, v6, v2
	v_mul_f32_e32 v158, v7, v4
	s_wait_loadcnt_dscnt 0x101
	v_mul_f32_e32 v161, v15, v12
	v_dual_add_f32 v25, v159, v25 :: v_dual_mul_f32 v4, v8, v4
	v_fmac_f32_e32 v160, v6, v1
	v_dual_mul_f32 v6, v14, v10 :: v_dual_add_f32 v27, v27, v28
	s_delay_alu instid0(VALU_DEP_3) | instskip(NEXT) | instid1(VALU_DEP_4)
	v_dual_fmac_f32 v158, v8, v3 :: v_dual_add_f32 v25, v25, v26
	v_fma_f32 v3, v7, v3, -v4
	v_dual_mul_f32 v4, v16, v12 :: v_dual_mul_f32 v159, v13, v10
	v_fma_f32 v2, v5, v1, -v2
	s_delay_alu instid0(VALU_DEP_4) | instskip(NEXT) | instid1(VALU_DEP_3)
	v_add_f32_e32 v25, v25, v29
	v_fma_f32 v4, v15, v11, -v4
	s_wait_loadcnt_dscnt 0x0
	v_mul_f32_e32 v26, v21, v18
	v_mul_f32_e32 v28, v23, v20
	v_add_f32_e32 v5, v25, v32
	v_fmac_f32_e32 v159, v14, v9
	s_delay_alu instid0(VALU_DEP_4) | instskip(NEXT) | instid1(VALU_DEP_4)
	v_dual_fmac_f32 v26, v22, v17 :: v_dual_add_f32 v27, v27, v155
	v_fmac_f32_e32 v28, v24, v19
	v_fmac_f32_e32 v161, v16, v11
	s_delay_alu instid0(VALU_DEP_3) | instskip(NEXT) | instid1(VALU_DEP_1)
	v_add_f32_e32 v1, v27, v156
	v_add_f32_e32 v1, v1, v2
	v_add_f32_e32 v2, v5, v160
	v_fma_f32 v5, v13, v9, -v6
	s_delay_alu instid0(VALU_DEP_2) | instskip(NEXT) | instid1(VALU_DEP_1)
	v_add_f32_e32 v2, v2, v158
	v_add_f32_e32 v2, v2, v159
	s_delay_alu instid0(VALU_DEP_1) | instskip(SKIP_1) | instid1(VALU_DEP_2)
	v_dual_add_f32 v2, v2, v161 :: v_dual_add_f32 v1, v1, v3
	v_mul_f32_e32 v3, v22, v18
	v_add_f32_e32 v2, v2, v26
	s_delay_alu instid0(VALU_DEP_2) | instskip(NEXT) | instid1(VALU_DEP_2)
	v_fma_f32 v3, v21, v17, -v3
	v_dual_add_f32 v2, v2, v28 :: v_dual_add_f32 v1, v1, v5
	s_delay_alu instid0(VALU_DEP_1) | instskip(NEXT) | instid1(VALU_DEP_2)
	v_dual_mul_f32 v5, v24, v20 :: v_dual_sub_f32 v2, v31, v2
	v_add_f32_e32 v1, v1, v4
	s_delay_alu instid0(VALU_DEP_2) | instskip(NEXT) | instid1(VALU_DEP_2)
	v_fma_f32 v4, v23, v19, -v5
	v_add_f32_e32 v1, v1, v3
	s_delay_alu instid0(VALU_DEP_1) | instskip(NEXT) | instid1(VALU_DEP_1)
	v_add_f32_e32 v1, v1, v4
	v_sub_f32_e32 v1, v30, v1
	scratch_store_b64 off, v[1:2], off offset:208
	v_cmpx_lt_u32_e32 25, v0
	s_cbranch_execz .LBB124_329
; %bb.328:
	scratch_load_b64 v[1:2], off, off offset:200
	v_mov_b32_e32 v3, 0
	s_delay_alu instid0(VALU_DEP_1)
	v_mov_b32_e32 v4, v3
	scratch_store_b64 off, v[3:4], off offset:200
	s_wait_loadcnt 0x0
	ds_store_b64 v157, v[1:2]
.LBB124_329:
	s_wait_alu 0xfffe
	s_or_b32 exec_lo, exec_lo, s0
	s_wait_storecnt_dscnt 0x0
	s_barrier_signal -1
	s_barrier_wait -1
	global_inv scope:SCOPE_SE
	s_clause 0x4
	scratch_load_b128 v[5:8], off, off offset:208
	scratch_load_b128 v[1:4], off, off offset:224
	;; [unrolled: 1-line block ×5, first 2 shown]
	v_mov_b32_e32 v21, 0
	ds_load_b128 v[22:25], v21 offset:704
	ds_load_b128 v[26:29], v21 offset:720
	;; [unrolled: 1-line block ×3, first 2 shown]
	scratch_load_b64 v[30:31], off, off offset:200
	s_mov_b32 s0, exec_lo
	s_wait_loadcnt_dscnt 0x502
	v_mul_f32_e32 v32, v23, v6
	v_dual_mul_f32 v155, v22, v6 :: v_dual_mul_f32 v156, v24, v8
	v_mul_f32_e32 v6, v25, v8
	s_wait_loadcnt_dscnt 0x300
	v_mul_f32_e32 v162, v160, v12
	v_fma_f32 v22, v22, v5, -v32
	v_dual_fmac_f32 v155, v23, v5 :: v_dual_fmac_f32 v156, v25, v7
	v_mul_f32_e32 v25, v28, v4
	v_fma_f32 v23, v24, v7, -v6
	ds_load_b128 v[5:8], v21 offset:752
	v_mul_f32_e32 v24, v26, v2
	v_mul_f32_e32 v4, v29, v4
	v_mul_f32_e32 v32, v158, v10
	v_mul_f32_e32 v10, v159, v10
	v_mul_f32_e32 v12, v161, v12
	v_dual_mul_f32 v2, v27, v2 :: v_dual_fmac_f32 v25, v29, v3
	v_fmac_f32_e32 v24, v27, v1
	v_fma_f32 v27, v28, v3, -v4
	v_fmac_f32_e32 v32, v159, v9
	v_fma_f32 v28, v158, v9, -v10
	;; [unrolled: 2-line block ×3, first 2 shown]
	ds_load_b128 v[9:12], v21 offset:768
	s_wait_loadcnt_dscnt 0x201
	v_dual_mul_f32 v159, v7, v16 :: v_dual_mul_f32 v158, v5, v14
	v_mul_f32_e32 v14, v6, v14
	v_mul_f32_e32 v16, v8, v16
	s_delay_alu instid0(VALU_DEP_3)
	v_fmac_f32_e32 v159, v8, v15
	v_fma_f32 v26, v26, v1, -v2
	scratch_load_b128 v[1:4], off, off offset:288
	v_fmac_f32_e32 v158, v6, v13
	v_fma_f32 v13, v5, v13, -v14
	v_fma_f32 v14, v7, v15, -v16
	ds_load_b128 v[5:8], v21 offset:784
	s_wait_loadcnt_dscnt 0x201
	v_mul_f32_e32 v15, v9, v18
	v_mul_f32_e32 v16, v10, v18
	;; [unrolled: 1-line block ×3, first 2 shown]
	s_delay_alu instid0(VALU_DEP_3) | instskip(NEXT) | instid1(VALU_DEP_3)
	v_dual_mul_f32 v20, v12, v20 :: v_dual_fmac_f32 v15, v10, v17
	v_fma_f32 v16, v9, v17, -v16
	s_delay_alu instid0(VALU_DEP_3) | instskip(NEXT) | instid1(VALU_DEP_3)
	v_fmac_f32_e32 v18, v12, v19
	v_fma_f32 v17, v11, v19, -v20
	scratch_load_b128 v[9:12], off, off offset:304
	s_wait_loadcnt_dscnt 0x100
	v_mul_f32_e32 v19, v5, v2
	v_mul_f32_e32 v2, v6, v2
	;; [unrolled: 1-line block ×3, first 2 shown]
	s_delay_alu instid0(VALU_DEP_3) | instskip(NEXT) | instid1(VALU_DEP_3)
	v_dual_mul_f32 v4, v8, v4 :: v_dual_fmac_f32 v19, v6, v1
	v_fma_f32 v160, v5, v1, -v2
	s_delay_alu instid0(VALU_DEP_3) | instskip(NEXT) | instid1(VALU_DEP_3)
	v_fmac_f32_e32 v20, v8, v3
	v_fma_f32 v161, v7, v3, -v4
	ds_load_b128 v[1:4], v21 offset:800
	ds_load_b128 v[5:8], v21 offset:816
	s_wait_loadcnt_dscnt 0x1
	v_mul_f32_e32 v163, v1, v10
	v_mul_f32_e32 v10, v2, v10
	s_delay_alu instid0(VALU_DEP_2) | instskip(NEXT) | instid1(VALU_DEP_2)
	v_dual_mul_f32 v164, v3, v12 :: v_dual_fmac_f32 v163, v2, v9
	v_fma_f32 v165, v1, v9, -v10
	v_mul_f32_e32 v1, v4, v12
	s_delay_alu instid0(VALU_DEP_3) | instskip(NEXT) | instid1(VALU_DEP_2)
	v_fmac_f32_e32 v164, v4, v11
	v_fma_f32 v166, v3, v11, -v1
	s_clause 0x1
	scratch_load_b128 v[1:4], off, off offset:320
	scratch_load_b128 v[9:12], off, off offset:336
	s_wait_loadcnt_dscnt 0x100
	v_mul_f32_e32 v167, v5, v2
	v_dual_mul_f32 v2, v6, v2 :: v_dual_mul_f32 v169, v7, v4
	s_delay_alu instid0(VALU_DEP_2) | instskip(NEXT) | instid1(VALU_DEP_2)
	v_fmac_f32_e32 v167, v6, v1
	v_fma_f32 v168, v5, v1, -v2
	v_mul_f32_e32 v1, v8, v4
	s_delay_alu instid0(VALU_DEP_4) | instskip(NEXT) | instid1(VALU_DEP_2)
	v_fmac_f32_e32 v169, v8, v3
	v_fma_f32 v170, v7, v3, -v1
	ds_load_b128 v[1:4], v21 offset:832
	ds_load_b128 v[5:8], v21 offset:848
	s_wait_loadcnt_dscnt 0x1
	v_mul_f32_e32 v171, v1, v10
	v_mul_f32_e32 v173, v3, v12
	s_delay_alu instid0(VALU_DEP_2) | instskip(NEXT) | instid1(VALU_DEP_2)
	v_fmac_f32_e32 v171, v2, v9
	v_dual_mul_f32 v2, v2, v10 :: v_dual_fmac_f32 v173, v4, v11
	s_delay_alu instid0(VALU_DEP_1) | instskip(SKIP_1) | instid1(VALU_DEP_1)
	v_fma_f32 v172, v1, v9, -v2
	v_mul_f32_e32 v1, v4, v12
	v_fma_f32 v174, v3, v11, -v1
	s_clause 0x1
	scratch_load_b128 v[1:4], off, off offset:352
	scratch_load_b128 v[9:12], off, off offset:368
	s_wait_loadcnt_dscnt 0x100
	v_mul_f32_e32 v175, v5, v2
	v_dual_mul_f32 v2, v6, v2 :: v_dual_mul_f32 v177, v7, v4
	s_delay_alu instid0(VALU_DEP_2) | instskip(NEXT) | instid1(VALU_DEP_2)
	v_fmac_f32_e32 v175, v6, v1
	v_fma_f32 v176, v5, v1, -v2
	v_mul_f32_e32 v1, v8, v4
	s_delay_alu instid0(VALU_DEP_4) | instskip(NEXT) | instid1(VALU_DEP_2)
	v_fmac_f32_e32 v177, v8, v3
	v_fma_f32 v178, v7, v3, -v1
	ds_load_b128 v[1:4], v21 offset:864
	ds_load_b128 v[5:8], v21 offset:880
	s_wait_loadcnt_dscnt 0x1
	v_mul_f32_e32 v179, v1, v10
	v_mul_f32_e32 v181, v3, v12
	s_delay_alu instid0(VALU_DEP_2) | instskip(NEXT) | instid1(VALU_DEP_2)
	v_fmac_f32_e32 v179, v2, v9
	v_dual_mul_f32 v2, v2, v10 :: v_dual_fmac_f32 v181, v4, v11
	s_delay_alu instid0(VALU_DEP_1) | instskip(SKIP_1) | instid1(VALU_DEP_1)
	v_fma_f32 v180, v1, v9, -v2
	v_mul_f32_e32 v1, v4, v12
	v_fma_f32 v182, v3, v11, -v1
	s_clause 0x1
	scratch_load_b128 v[1:4], off, off offset:384
	scratch_load_b128 v[9:12], off, off offset:400
	s_wait_loadcnt_dscnt 0x100
	v_mul_f32_e32 v183, v5, v2
	v_dual_mul_f32 v2, v6, v2 :: v_dual_mul_f32 v185, v7, v4
	s_delay_alu instid0(VALU_DEP_1) | instskip(SKIP_1) | instid1(VALU_DEP_1)
	v_fma_f32 v184, v5, v1, -v2
	v_add_f32_e32 v2, 0, v155
	v_dual_add_f32 v2, v2, v156 :: v_dual_fmac_f32 v185, v8, v3
	v_fmac_f32_e32 v183, v6, v1
	s_delay_alu instid0(VALU_DEP_2) | instskip(NEXT) | instid1(VALU_DEP_1)
	v_add_f32_e32 v2, v2, v24
	v_dual_mul_f32 v1, v8, v4 :: v_dual_add_f32 v2, v2, v25
	s_delay_alu instid0(VALU_DEP_1) | instskip(NEXT) | instid1(VALU_DEP_2)
	v_fma_f32 v186, v7, v3, -v1
	v_dual_add_f32 v1, 0, v22 :: v_dual_add_f32 v2, v2, v32
	s_delay_alu instid0(VALU_DEP_1) | instskip(NEXT) | instid1(VALU_DEP_1)
	v_dual_add_f32 v1, v1, v23 :: v_dual_add_f32 v2, v2, v162
	v_add_f32_e32 v2, v2, v158
	s_delay_alu instid0(VALU_DEP_1) | instskip(NEXT) | instid1(VALU_DEP_1)
	v_dual_add_f32 v1, v1, v26 :: v_dual_add_f32 v2, v2, v159
	v_add_f32_e32 v1, v1, v27
	scratch_load_b64 v[26:27], off, off offset:480
	v_dual_add_f32 v2, v2, v15 :: v_dual_add_f32 v1, v1, v28
	s_delay_alu instid0(VALU_DEP_1) | instskip(NEXT) | instid1(VALU_DEP_2)
	v_add_f32_e32 v5, v2, v18
	v_add_f32_e32 v1, v1, v29
	s_delay_alu instid0(VALU_DEP_1) | instskip(NEXT) | instid1(VALU_DEP_3)
	v_add_f32_e32 v1, v1, v13
	v_add_f32_e32 v13, v5, v19
	s_delay_alu instid0(VALU_DEP_1) | instskip(NEXT) | instid1(VALU_DEP_1)
	v_add_f32_e32 v13, v13, v20
	v_add_f32_e32 v13, v13, v163
	s_delay_alu instid0(VALU_DEP_1) | instskip(NEXT) | instid1(VALU_DEP_1)
	v_add_f32_e32 v18, v13, v164
	v_dual_add_f32 v18, v18, v167 :: v_dual_add_f32 v1, v1, v14
	s_delay_alu instid0(VALU_DEP_1) | instskip(NEXT) | instid1(VALU_DEP_1)
	v_dual_add_f32 v18, v18, v169 :: v_dual_add_f32 v1, v1, v16
	v_dual_add_f32 v22, v18, v171 :: v_dual_add_f32 v1, v1, v17
	s_delay_alu instid0(VALU_DEP_1) | instskip(NEXT) | instid1(VALU_DEP_2)
	v_add_f32_e32 v22, v22, v173
	v_add_f32_e32 v6, v1, v160
	scratch_load_b128 v[1:4], off, off offset:416
	v_add_f32_e32 v22, v22, v175
	v_add_f32_e32 v14, v6, v161
	ds_load_b128 v[5:8], v21 offset:896
	v_add_f32_e32 v22, v22, v177
	v_add_f32_e32 v14, v14, v165
	s_delay_alu instid0(VALU_DEP_1)
	v_add_f32_e32 v17, v14, v166
	ds_load_b128 v[13:16], v21 offset:912
	s_wait_loadcnt_dscnt 0x201
	v_dual_mul_f32 v32, v5, v10 :: v_dual_mul_f32 v155, v7, v12
	v_mul_f32_e32 v10, v6, v10
	v_mul_f32_e32 v12, v8, v12
	s_delay_alu instid0(VALU_DEP_3) | instskip(NEXT) | instid1(VALU_DEP_3)
	v_dual_fmac_f32 v32, v6, v9 :: v_dual_fmac_f32 v155, v8, v11
	v_fma_f32 v156, v5, v9, -v10
	s_delay_alu instid0(VALU_DEP_3)
	v_fma_f32 v158, v7, v11, -v12
	s_clause 0x1
	scratch_load_b128 v[5:8], off, off offset:432
	scratch_load_b128 v[9:12], off, off offset:448
	s_wait_loadcnt_dscnt 0x200
	v_mul_f32_e32 v160, v15, v4
	v_add_f32_e32 v17, v17, v168
	v_mul_f32_e32 v159, v13, v2
	v_mul_f32_e32 v2, v14, v2
	;; [unrolled: 1-line block ×3, first 2 shown]
	s_delay_alu instid0(VALU_DEP_4) | instskip(NEXT) | instid1(VALU_DEP_3)
	v_dual_fmac_f32 v160, v16, v3 :: v_dual_add_f32 v17, v17, v170
	v_fma_f32 v161, v13, v1, -v2
	v_add_f32_e32 v13, v22, v179
	s_delay_alu instid0(VALU_DEP_4) | instskip(NEXT) | instid1(VALU_DEP_4)
	v_fma_f32 v162, v15, v3, -v4
	v_add_f32_e32 v17, v17, v172
	s_delay_alu instid0(VALU_DEP_3) | instskip(NEXT) | instid1(VALU_DEP_2)
	v_add_f32_e32 v22, v13, v181
	v_add_f32_e32 v23, v17, v174
	scratch_load_b128 v[17:20], off, off offset:464
	v_add_f32_e32 v29, v22, v183
	s_delay_alu instid0(VALU_DEP_1) | instskip(NEXT) | instid1(VALU_DEP_1)
	v_dual_add_f32 v23, v23, v176 :: v_dual_add_f32 v164, v29, v185
	v_dual_add_f32 v23, v23, v178 :: v_dual_add_f32 v32, v164, v32
	s_delay_alu instid0(VALU_DEP_1)
	v_add_f32_e32 v23, v23, v180
	v_fmac_f32_e32 v159, v14, v1
	ds_load_b128 v[1:4], v21 offset:928
	v_add_f32_e32 v32, v32, v155
	v_add_f32_e32 v14, v23, v182
	ds_load_b128 v[22:25], v21 offset:960
	v_add_f32_e32 v28, v14, v184
	ds_load_b128 v[13:16], v21 offset:944
	v_add_f32_e32 v163, v28, v186
	ds_load_b64 v[28:29], v21 offset:976
	s_wait_loadcnt_dscnt 0x203
	v_dual_add_f32 v156, v163, v156 :: v_dual_mul_f32 v163, v1, v6
	v_mul_f32_e32 v155, v3, v8
	v_mul_f32_e32 v8, v4, v8
	s_delay_alu instid0(VALU_DEP_3) | instskip(SKIP_3) | instid1(VALU_DEP_4)
	v_add_f32_e32 v156, v156, v158
	v_mul_f32_e32 v6, v2, v6
	v_fmac_f32_e32 v163, v2, v5
	v_fmac_f32_e32 v155, v4, v7
	v_add_f32_e32 v156, v156, v161
	s_wait_loadcnt_dscnt 0x101
	v_mul_f32_e32 v158, v13, v10
	s_delay_alu instid0(VALU_DEP_1)
	v_fmac_f32_e32 v158, v14, v9
	s_wait_loadcnt 0x0
	v_mul_f32_e32 v161, v22, v18
	v_fma_f32 v2, v3, v7, -v8
	v_dual_mul_f32 v3, v14, v10 :: v_dual_add_f32 v32, v32, v159
	v_mul_f32_e32 v159, v15, v12
	v_fma_f32 v1, v1, v5, -v6
	v_fmac_f32_e32 v161, v23, v17
	s_delay_alu instid0(VALU_DEP_4) | instskip(SKIP_4) | instid1(VALU_DEP_3)
	v_fma_f32 v3, v13, v9, -v3
	v_add_f32_e32 v156, v156, v162
	v_mul_f32_e32 v162, v24, v20
	v_fmac_f32_e32 v159, v16, v11
	v_mul_f32_e32 v5, v16, v12
	v_dual_add_f32 v1, v156, v1 :: v_dual_fmac_f32 v162, v25, v19
	s_delay_alu instid0(VALU_DEP_2) | instskip(NEXT) | instid1(VALU_DEP_2)
	v_fma_f32 v5, v15, v11, -v5
	v_add_f32_e32 v1, v1, v2
	s_delay_alu instid0(VALU_DEP_1) | instskip(SKIP_2) | instid1(VALU_DEP_2)
	v_dual_add_f32 v1, v1, v3 :: v_dual_add_f32 v32, v32, v160
	s_wait_dscnt 0x0
	v_dual_mul_f32 v160, v28, v27 :: v_dual_mul_f32 v3, v25, v20
	v_dual_add_f32 v1, v1, v5 :: v_dual_add_f32 v4, v32, v163
	s_delay_alu instid0(VALU_DEP_2) | instskip(NEXT) | instid1(VALU_DEP_3)
	v_fmac_f32_e32 v160, v29, v26
	v_fma_f32 v3, v24, v19, -v3
	s_delay_alu instid0(VALU_DEP_3) | instskip(SKIP_1) | instid1(VALU_DEP_1)
	v_add_f32_e32 v2, v4, v155
	v_mul_f32_e32 v4, v23, v18
	v_fma_f32 v4, v22, v17, -v4
	s_delay_alu instid0(VALU_DEP_1) | instskip(NEXT) | instid1(VALU_DEP_1)
	v_dual_add_f32 v1, v1, v4 :: v_dual_add_f32 v2, v2, v158
	v_add_f32_e32 v2, v2, v159
	s_delay_alu instid0(VALU_DEP_1) | instskip(NEXT) | instid1(VALU_DEP_1)
	v_dual_add_f32 v2, v2, v161 :: v_dual_mul_f32 v5, v29, v27
	v_add_f32_e32 v2, v2, v162
	s_delay_alu instid0(VALU_DEP_2) | instskip(NEXT) | instid1(VALU_DEP_2)
	v_fma_f32 v4, v28, v26, -v5
	v_dual_add_f32 v1, v1, v3 :: v_dual_add_f32 v2, v2, v160
	s_delay_alu instid0(VALU_DEP_1) | instskip(NEXT) | instid1(VALU_DEP_1)
	v_dual_add_f32 v1, v1, v4 :: v_dual_sub_f32 v2, v31, v2
	v_sub_f32_e32 v1, v30, v1
	scratch_store_b64 off, v[1:2], off offset:200
	v_cmpx_lt_u32_e32 24, v0
	s_cbranch_execz .LBB124_331
; %bb.330:
	scratch_load_b64 v[1:2], off, off offset:192
	v_mov_b32_e32 v22, v21
	scratch_store_b64 off, v[21:22], off offset:192
	s_wait_loadcnt 0x0
	ds_store_b64 v157, v[1:2]
.LBB124_331:
	s_wait_alu 0xfffe
	s_or_b32 exec_lo, exec_lo, s0
	s_wait_storecnt_dscnt 0x0
	s_barrier_signal -1
	s_barrier_wait -1
	global_inv scope:SCOPE_SE
	s_clause 0x4
	scratch_load_b128 v[5:8], off, off offset:200
	scratch_load_b128 v[1:4], off, off offset:216
	;; [unrolled: 1-line block ×5, first 2 shown]
	ds_load_2addr_b64 v[22:25], v21 offset0:87 offset1:88
	ds_load_2addr_b64 v[26:29], v21 offset0:89 offset1:90
	;; [unrolled: 1-line block ×3, first 2 shown]
	scratch_load_b64 v[30:31], off, off offset:192
	s_mov_b32 s0, exec_lo
	s_wait_loadcnt_dscnt 0x502
	v_mul_f32_e32 v32, v23, v6
	v_dual_mul_f32 v155, v22, v6 :: v_dual_mul_f32 v156, v24, v8
	v_mul_f32_e32 v6, v25, v8
	s_wait_loadcnt_dscnt 0x300
	v_mul_f32_e32 v162, v160, v12
	s_delay_alu instid0(VALU_DEP_3)
	v_dual_mul_f32 v12, v161, v12 :: v_dual_fmac_f32 v155, v23, v5
	v_fmac_f32_e32 v156, v25, v7
	v_fma_f32 v23, v24, v7, -v6
	v_mul_f32_e32 v25, v28, v4
	v_fma_f32 v22, v22, v5, -v32
	ds_load_2addr_b64 v[5:8], v21 offset0:93 offset1:94
	v_mul_f32_e32 v24, v26, v2
	v_mul_f32_e32 v4, v29, v4
	;; [unrolled: 1-line block ×4, first 2 shown]
	v_dual_mul_f32 v2, v27, v2 :: v_dual_fmac_f32 v25, v29, v3
	v_fmac_f32_e32 v24, v27, v1
	v_fma_f32 v27, v28, v3, -v4
	v_fmac_f32_e32 v32, v159, v9
	v_fma_f32 v28, v158, v9, -v10
	;; [unrolled: 2-line block ×3, first 2 shown]
	ds_load_2addr_b64 v[9:12], v21 offset0:95 offset1:96
	s_wait_loadcnt_dscnt 0x201
	v_dual_mul_f32 v159, v7, v16 :: v_dual_mul_f32 v158, v5, v14
	v_mul_f32_e32 v14, v6, v14
	v_mul_f32_e32 v16, v8, v16
	s_delay_alu instid0(VALU_DEP_3)
	v_fmac_f32_e32 v159, v8, v15
	v_fma_f32 v26, v26, v1, -v2
	scratch_load_b128 v[1:4], off, off offset:280
	v_fmac_f32_e32 v158, v6, v13
	v_fma_f32 v13, v5, v13, -v14
	v_fma_f32 v14, v7, v15, -v16
	ds_load_2addr_b64 v[5:8], v21 offset0:97 offset1:98
	s_wait_loadcnt_dscnt 0x201
	v_mul_f32_e32 v15, v9, v18
	v_mul_f32_e32 v16, v10, v18
	;; [unrolled: 1-line block ×3, first 2 shown]
	s_delay_alu instid0(VALU_DEP_3) | instskip(NEXT) | instid1(VALU_DEP_3)
	v_dual_mul_f32 v20, v12, v20 :: v_dual_fmac_f32 v15, v10, v17
	v_fma_f32 v16, v9, v17, -v16
	s_delay_alu instid0(VALU_DEP_3) | instskip(NEXT) | instid1(VALU_DEP_3)
	v_fmac_f32_e32 v18, v12, v19
	v_fma_f32 v17, v11, v19, -v20
	scratch_load_b128 v[9:12], off, off offset:296
	s_wait_loadcnt_dscnt 0x100
	v_mul_f32_e32 v19, v5, v2
	v_mul_f32_e32 v2, v6, v2
	;; [unrolled: 1-line block ×3, first 2 shown]
	s_delay_alu instid0(VALU_DEP_3) | instskip(NEXT) | instid1(VALU_DEP_3)
	v_dual_mul_f32 v4, v8, v4 :: v_dual_fmac_f32 v19, v6, v1
	v_fma_f32 v160, v5, v1, -v2
	s_delay_alu instid0(VALU_DEP_3) | instskip(NEXT) | instid1(VALU_DEP_3)
	v_fmac_f32_e32 v20, v8, v3
	v_fma_f32 v161, v7, v3, -v4
	ds_load_2addr_b64 v[1:4], v21 offset0:99 offset1:100
	ds_load_2addr_b64 v[5:8], v21 offset0:101 offset1:102
	s_wait_loadcnt_dscnt 0x1
	v_mul_f32_e32 v163, v1, v10
	v_mul_f32_e32 v10, v2, v10
	s_delay_alu instid0(VALU_DEP_2) | instskip(NEXT) | instid1(VALU_DEP_2)
	v_dual_mul_f32 v164, v3, v12 :: v_dual_fmac_f32 v163, v2, v9
	v_fma_f32 v165, v1, v9, -v10
	v_mul_f32_e32 v1, v4, v12
	s_delay_alu instid0(VALU_DEP_3) | instskip(NEXT) | instid1(VALU_DEP_2)
	v_fmac_f32_e32 v164, v4, v11
	v_fma_f32 v166, v3, v11, -v1
	s_clause 0x1
	scratch_load_b128 v[1:4], off, off offset:312
	scratch_load_b128 v[9:12], off, off offset:328
	s_wait_loadcnt_dscnt 0x100
	v_mul_f32_e32 v167, v5, v2
	v_dual_mul_f32 v2, v6, v2 :: v_dual_mul_f32 v169, v7, v4
	s_delay_alu instid0(VALU_DEP_2) | instskip(NEXT) | instid1(VALU_DEP_2)
	v_fmac_f32_e32 v167, v6, v1
	v_fma_f32 v168, v5, v1, -v2
	v_mul_f32_e32 v1, v8, v4
	s_delay_alu instid0(VALU_DEP_4) | instskip(NEXT) | instid1(VALU_DEP_2)
	v_fmac_f32_e32 v169, v8, v3
	v_fma_f32 v170, v7, v3, -v1
	ds_load_2addr_b64 v[1:4], v21 offset0:103 offset1:104
	ds_load_2addr_b64 v[5:8], v21 offset0:105 offset1:106
	s_wait_loadcnt_dscnt 0x1
	v_mul_f32_e32 v171, v1, v10
	v_mul_f32_e32 v173, v3, v12
	s_delay_alu instid0(VALU_DEP_2) | instskip(NEXT) | instid1(VALU_DEP_2)
	v_fmac_f32_e32 v171, v2, v9
	v_dual_mul_f32 v2, v2, v10 :: v_dual_fmac_f32 v173, v4, v11
	s_delay_alu instid0(VALU_DEP_1) | instskip(SKIP_1) | instid1(VALU_DEP_1)
	v_fma_f32 v172, v1, v9, -v2
	v_mul_f32_e32 v1, v4, v12
	v_fma_f32 v174, v3, v11, -v1
	s_clause 0x1
	scratch_load_b128 v[1:4], off, off offset:344
	scratch_load_b128 v[9:12], off, off offset:360
	s_wait_loadcnt_dscnt 0x100
	v_mul_f32_e32 v175, v5, v2
	v_dual_mul_f32 v2, v6, v2 :: v_dual_mul_f32 v177, v7, v4
	s_delay_alu instid0(VALU_DEP_2) | instskip(NEXT) | instid1(VALU_DEP_2)
	v_fmac_f32_e32 v175, v6, v1
	v_fma_f32 v176, v5, v1, -v2
	v_mul_f32_e32 v1, v8, v4
	s_delay_alu instid0(VALU_DEP_4) | instskip(NEXT) | instid1(VALU_DEP_2)
	v_fmac_f32_e32 v177, v8, v3
	v_fma_f32 v178, v7, v3, -v1
	ds_load_2addr_b64 v[1:4], v21 offset0:107 offset1:108
	ds_load_2addr_b64 v[5:8], v21 offset0:109 offset1:110
	s_wait_loadcnt_dscnt 0x1
	v_mul_f32_e32 v179, v1, v10
	v_mul_f32_e32 v181, v3, v12
	s_delay_alu instid0(VALU_DEP_2) | instskip(NEXT) | instid1(VALU_DEP_2)
	v_fmac_f32_e32 v179, v2, v9
	v_dual_mul_f32 v2, v2, v10 :: v_dual_fmac_f32 v181, v4, v11
	s_delay_alu instid0(VALU_DEP_1) | instskip(SKIP_1) | instid1(VALU_DEP_1)
	v_fma_f32 v180, v1, v9, -v2
	v_mul_f32_e32 v1, v4, v12
	;; [unrolled: 25-line block ×3, first 2 shown]
	v_fma_f32 v190, v3, v11, -v1
	s_clause 0x1
	scratch_load_b128 v[1:4], off, off offset:408
	scratch_load_b128 v[9:12], off, off offset:424
	s_wait_loadcnt_dscnt 0x100
	v_mul_f32_e32 v191, v5, v2
	v_mul_f32_e32 v2, v6, v2
	s_delay_alu instid0(VALU_DEP_1) | instskip(SKIP_1) | instid1(VALU_DEP_1)
	v_fma_f32 v192, v5, v1, -v2
	v_add_f32_e32 v2, 0, v155
	v_add_f32_e32 v2, v2, v156
	s_delay_alu instid0(VALU_DEP_1) | instskip(NEXT) | instid1(VALU_DEP_1)
	v_add_f32_e32 v2, v2, v24
	v_add_f32_e32 v2, v2, v25
	s_delay_alu instid0(VALU_DEP_1) | instskip(SKIP_1) | instid1(VALU_DEP_2)
	v_add_f32_e32 v2, v2, v32
	v_fmac_f32_e32 v191, v6, v1
	v_dual_add_f32 v2, v2, v162 :: v_dual_mul_f32 v193, v7, v4
	s_delay_alu instid0(VALU_DEP_1) | instskip(NEXT) | instid1(VALU_DEP_1)
	v_dual_add_f32 v2, v2, v158 :: v_dual_mul_f32 v1, v8, v4
	v_add_f32_e32 v2, v2, v159
	s_delay_alu instid0(VALU_DEP_2) | instskip(NEXT) | instid1(VALU_DEP_2)
	v_fma_f32 v194, v7, v3, -v1
	v_dual_add_f32 v1, 0, v22 :: v_dual_add_f32 v2, v2, v15
	s_delay_alu instid0(VALU_DEP_1) | instskip(NEXT) | instid1(VALU_DEP_1)
	v_dual_fmac_f32 v193, v8, v3 :: v_dual_add_f32 v2, v2, v18
	v_add_f32_e32 v2, v2, v19
	s_delay_alu instid0(VALU_DEP_1) | instskip(NEXT) | instid1(VALU_DEP_1)
	v_dual_add_f32 v1, v1, v23 :: v_dual_add_f32 v2, v2, v20
	v_add_f32_e32 v1, v1, v26
	s_delay_alu instid0(VALU_DEP_2) | instskip(NEXT) | instid1(VALU_DEP_2)
	v_add_f32_e32 v5, v2, v163
	v_add_f32_e32 v1, v1, v27
	s_delay_alu instid0(VALU_DEP_2) | instskip(NEXT) | instid1(VALU_DEP_2)
	v_add_f32_e32 v5, v5, v164
	v_add_f32_e32 v1, v1, v28
	s_delay_alu instid0(VALU_DEP_2) | instskip(NEXT) | instid1(VALU_DEP_2)
	v_add_f32_e32 v5, v5, v167
	v_add_f32_e32 v1, v1, v29
	s_delay_alu instid0(VALU_DEP_1) | instskip(NEXT) | instid1(VALU_DEP_1)
	v_add_f32_e32 v1, v1, v13
	v_add_f32_e32 v1, v1, v14
	s_delay_alu instid0(VALU_DEP_4) | instskip(NEXT) | instid1(VALU_DEP_1)
	v_add_f32_e32 v14, v5, v169
	v_add_f32_e32 v14, v14, v171
	s_delay_alu instid0(VALU_DEP_1) | instskip(NEXT) | instid1(VALU_DEP_1)
	v_dual_add_f32 v14, v14, v173 :: v_dual_add_f32 v1, v1, v16
	v_add_f32_e32 v1, v1, v17
	s_delay_alu instid0(VALU_DEP_2) | instskip(NEXT) | instid1(VALU_DEP_2)
	v_add_f32_e32 v17, v14, v175
	v_add_f32_e32 v1, v1, v160
	s_delay_alu instid0(VALU_DEP_1) | instskip(NEXT) | instid1(VALU_DEP_1)
	v_add_f32_e32 v1, v1, v161
	v_add_f32_e32 v1, v1, v165
	s_delay_alu instid0(VALU_DEP_1) | instskip(SKIP_2) | instid1(VALU_DEP_1)
	v_add_f32_e32 v6, v1, v166
	ds_load_2addr_b64 v[1:4], v21 offset0:115 offset1:116
	v_add_f32_e32 v6, v6, v168
	v_add_f32_e32 v13, v6, v170
	ds_load_2addr_b64 v[5:8], v21 offset0:117 offset1:118
	s_wait_loadcnt_dscnt 0x1
	v_dual_mul_f32 v25, v1, v10 :: v_dual_mul_f32 v26, v3, v12
	v_mul_f32_e32 v10, v2, v10
	s_delay_alu instid0(VALU_DEP_2) | instskip(NEXT) | instid1(VALU_DEP_3)
	v_dual_mul_f32 v12, v4, v12 :: v_dual_fmac_f32 v25, v2, v9
	v_fmac_f32_e32 v26, v4, v11
	s_delay_alu instid0(VALU_DEP_3) | instskip(NEXT) | instid1(VALU_DEP_3)
	v_fma_f32 v27, v1, v9, -v10
	v_fma_f32 v28, v3, v11, -v12
	s_clause 0x1
	scratch_load_b128 v[1:4], off, off offset:440
	scratch_load_b128 v[9:12], off, off offset:456
	v_add_f32_e32 v17, v17, v177
	s_delay_alu instid0(VALU_DEP_1) | instskip(NEXT) | instid1(VALU_DEP_1)
	v_add_f32_e32 v17, v17, v179
	v_add_f32_e32 v17, v17, v181
	s_delay_alu instid0(VALU_DEP_1) | instskip(NEXT) | instid1(VALU_DEP_1)
	v_add_f32_e32 v23, v17, v183
	;; [unrolled: 3-line block ×3, first 2 shown]
	v_add_f32_e32 v32, v32, v189
	s_delay_alu instid0(VALU_DEP_1) | instskip(NEXT) | instid1(VALU_DEP_1)
	v_dual_add_f32 v32, v32, v191 :: v_dual_add_f32 v13, v13, v172
	v_add_f32_e32 v32, v32, v193
	s_wait_loadcnt_dscnt 0x100
	s_delay_alu instid0(VALU_DEP_2) | instskip(SKIP_3) | instid1(VALU_DEP_4)
	v_dual_mul_f32 v156, v7, v4 :: v_dual_add_f32 v13, v13, v174
	v_mul_f32_e32 v155, v5, v2
	v_mul_f32_e32 v2, v6, v2
	;; [unrolled: 1-line block ×3, first 2 shown]
	v_dual_fmac_f32 v156, v8, v3 :: v_dual_add_f32 v13, v13, v176
	s_delay_alu instid0(VALU_DEP_4) | instskip(NEXT) | instid1(VALU_DEP_4)
	v_fmac_f32_e32 v155, v6, v1
	v_fma_f32 v2, v5, v1, -v2
	s_delay_alu instid0(VALU_DEP_4) | instskip(NEXT) | instid1(VALU_DEP_4)
	v_fma_f32 v3, v7, v3, -v4
	v_add_f32_e32 v18, v13, v178
	scratch_load_b128 v[13:16], off, off offset:472
	v_add_f32_e32 v18, v18, v180
	s_delay_alu instid0(VALU_DEP_1) | instskip(NEXT) | instid1(VALU_DEP_1)
	v_add_f32_e32 v18, v18, v182
	v_add_f32_e32 v22, v18, v184
	ds_load_2addr_b64 v[17:20], v21 offset0:119 offset1:120
	v_add_f32_e32 v29, v22, v186
	ds_load_2addr_b64 v[21:24], v21 offset0:121 offset1:122
	s_wait_loadcnt_dscnt 0x101
	v_dual_mul_f32 v158, v17, v10 :: v_dual_add_f32 v25, v32, v25
	v_mul_f32_e32 v6, v18, v10
	v_mul_f32_e32 v4, v20, v12
	s_delay_alu instid0(VALU_DEP_3) | instskip(NEXT) | instid1(VALU_DEP_4)
	v_dual_fmac_f32 v158, v18, v9 :: v_dual_add_f32 v29, v29, v188
	v_add_f32_e32 v5, v25, v26
	v_mul_f32_e32 v159, v19, v12
	s_delay_alu instid0(VALU_DEP_4) | instskip(SKIP_2) | instid1(VALU_DEP_1)
	v_fma_f32 v4, v19, v11, -v4
	s_wait_loadcnt_dscnt 0x0
	v_mul_f32_e32 v160, v21, v14
	v_dual_add_f32 v29, v29, v190 :: v_dual_fmac_f32 v160, v22, v13
	s_delay_alu instid0(VALU_DEP_1) | instskip(NEXT) | instid1(VALU_DEP_1)
	v_add_f32_e32 v29, v29, v192
	v_add_f32_e32 v29, v29, v194
	s_delay_alu instid0(VALU_DEP_1) | instskip(SKIP_1) | instid1(VALU_DEP_2)
	v_add_f32_e32 v27, v29, v27
	v_mul_f32_e32 v29, v23, v16
	v_add_f32_e32 v1, v27, v28
	s_delay_alu instid0(VALU_DEP_2) | instskip(NEXT) | instid1(VALU_DEP_2)
	v_fmac_f32_e32 v29, v24, v15
	v_add_f32_e32 v1, v1, v2
	v_add_f32_e32 v2, v5, v155
	v_fma_f32 v5, v17, v9, -v6
	v_fmac_f32_e32 v159, v20, v11
	s_delay_alu instid0(VALU_DEP_3) | instskip(SKIP_1) | instid1(VALU_DEP_2)
	v_dual_add_f32 v1, v1, v3 :: v_dual_add_f32 v2, v2, v156
	v_mul_f32_e32 v3, v22, v14
	v_dual_add_f32 v1, v1, v5 :: v_dual_add_f32 v2, v2, v158
	v_mul_f32_e32 v5, v24, v16
	s_delay_alu instid0(VALU_DEP_3) | instskip(NEXT) | instid1(VALU_DEP_3)
	v_fma_f32 v3, v21, v13, -v3
	v_dual_add_f32 v1, v1, v4 :: v_dual_add_f32 v2, v2, v159
	s_delay_alu instid0(VALU_DEP_3) | instskip(NEXT) | instid1(VALU_DEP_2)
	v_fma_f32 v4, v23, v15, -v5
	v_dual_add_f32 v1, v1, v3 :: v_dual_add_f32 v2, v2, v160
	s_delay_alu instid0(VALU_DEP_1) | instskip(NEXT) | instid1(VALU_DEP_1)
	v_dual_add_f32 v1, v1, v4 :: v_dual_add_f32 v2, v2, v29
	v_dual_sub_f32 v1, v30, v1 :: v_dual_sub_f32 v2, v31, v2
	scratch_store_b64 off, v[1:2], off offset:192
	v_cmpx_lt_u32_e32 23, v0
	s_cbranch_execz .LBB124_333
; %bb.332:
	scratch_load_b64 v[1:2], off, off offset:184
	v_mov_b32_e32 v3, 0
	s_delay_alu instid0(VALU_DEP_1)
	v_mov_b32_e32 v4, v3
	scratch_store_b64 off, v[3:4], off offset:184
	s_wait_loadcnt 0x0
	ds_store_b64 v157, v[1:2]
.LBB124_333:
	s_wait_alu 0xfffe
	s_or_b32 exec_lo, exec_lo, s0
	s_wait_storecnt_dscnt 0x0
	s_barrier_signal -1
	s_barrier_wait -1
	global_inv scope:SCOPE_SE
	s_clause 0x4
	scratch_load_b128 v[5:8], off, off offset:192
	scratch_load_b128 v[1:4], off, off offset:208
	;; [unrolled: 1-line block ×5, first 2 shown]
	v_mov_b32_e32 v21, 0
	ds_load_b128 v[22:25], v21 offset:688
	ds_load_b128 v[26:29], v21 offset:704
	ds_load_b128 v[158:161], v21 offset:720
	scratch_load_b64 v[30:31], off, off offset:184
	s_mov_b32 s0, exec_lo
	s_wait_loadcnt_dscnt 0x502
	v_mul_f32_e32 v32, v23, v6
	v_dual_mul_f32 v155, v22, v6 :: v_dual_mul_f32 v156, v24, v8
	v_mul_f32_e32 v6, v25, v8
	s_wait_loadcnt_dscnt 0x300
	v_mul_f32_e32 v162, v160, v12
	v_fma_f32 v22, v22, v5, -v32
	v_dual_fmac_f32 v155, v23, v5 :: v_dual_fmac_f32 v156, v25, v7
	v_mul_f32_e32 v25, v28, v4
	v_fma_f32 v23, v24, v7, -v6
	ds_load_b128 v[5:8], v21 offset:736
	v_mul_f32_e32 v24, v26, v2
	v_mul_f32_e32 v4, v29, v4
	v_mul_f32_e32 v32, v158, v10
	v_mul_f32_e32 v10, v159, v10
	v_mul_f32_e32 v12, v161, v12
	v_dual_mul_f32 v2, v27, v2 :: v_dual_fmac_f32 v25, v29, v3
	v_fmac_f32_e32 v24, v27, v1
	v_fma_f32 v27, v28, v3, -v4
	v_fmac_f32_e32 v32, v159, v9
	v_fma_f32 v28, v158, v9, -v10
	;; [unrolled: 2-line block ×3, first 2 shown]
	ds_load_b128 v[9:12], v21 offset:752
	s_wait_loadcnt_dscnt 0x201
	v_dual_mul_f32 v159, v7, v16 :: v_dual_mul_f32 v158, v5, v14
	v_mul_f32_e32 v14, v6, v14
	v_mul_f32_e32 v16, v8, v16
	s_delay_alu instid0(VALU_DEP_3)
	v_fmac_f32_e32 v159, v8, v15
	v_fma_f32 v26, v26, v1, -v2
	scratch_load_b128 v[1:4], off, off offset:272
	v_fmac_f32_e32 v158, v6, v13
	v_fma_f32 v13, v5, v13, -v14
	v_fma_f32 v14, v7, v15, -v16
	ds_load_b128 v[5:8], v21 offset:768
	s_wait_loadcnt_dscnt 0x201
	v_mul_f32_e32 v15, v9, v18
	v_mul_f32_e32 v16, v10, v18
	;; [unrolled: 1-line block ×3, first 2 shown]
	s_delay_alu instid0(VALU_DEP_3) | instskip(NEXT) | instid1(VALU_DEP_3)
	v_dual_mul_f32 v20, v12, v20 :: v_dual_fmac_f32 v15, v10, v17
	v_fma_f32 v16, v9, v17, -v16
	s_delay_alu instid0(VALU_DEP_3) | instskip(NEXT) | instid1(VALU_DEP_3)
	v_fmac_f32_e32 v18, v12, v19
	v_fma_f32 v17, v11, v19, -v20
	scratch_load_b128 v[9:12], off, off offset:288
	s_wait_loadcnt_dscnt 0x100
	v_mul_f32_e32 v19, v5, v2
	v_mul_f32_e32 v2, v6, v2
	;; [unrolled: 1-line block ×3, first 2 shown]
	s_delay_alu instid0(VALU_DEP_3) | instskip(NEXT) | instid1(VALU_DEP_3)
	v_dual_mul_f32 v4, v8, v4 :: v_dual_fmac_f32 v19, v6, v1
	v_fma_f32 v160, v5, v1, -v2
	s_delay_alu instid0(VALU_DEP_3) | instskip(NEXT) | instid1(VALU_DEP_3)
	v_fmac_f32_e32 v20, v8, v3
	v_fma_f32 v161, v7, v3, -v4
	ds_load_b128 v[1:4], v21 offset:784
	ds_load_b128 v[5:8], v21 offset:800
	s_wait_loadcnt_dscnt 0x1
	v_mul_f32_e32 v163, v1, v10
	v_mul_f32_e32 v10, v2, v10
	s_delay_alu instid0(VALU_DEP_2) | instskip(NEXT) | instid1(VALU_DEP_2)
	v_dual_mul_f32 v164, v3, v12 :: v_dual_fmac_f32 v163, v2, v9
	v_fma_f32 v165, v1, v9, -v10
	v_mul_f32_e32 v1, v4, v12
	s_delay_alu instid0(VALU_DEP_3) | instskip(NEXT) | instid1(VALU_DEP_2)
	v_fmac_f32_e32 v164, v4, v11
	v_fma_f32 v166, v3, v11, -v1
	s_clause 0x1
	scratch_load_b128 v[1:4], off, off offset:304
	scratch_load_b128 v[9:12], off, off offset:320
	s_wait_loadcnt_dscnt 0x100
	v_mul_f32_e32 v167, v5, v2
	v_dual_mul_f32 v2, v6, v2 :: v_dual_mul_f32 v169, v7, v4
	s_delay_alu instid0(VALU_DEP_2) | instskip(NEXT) | instid1(VALU_DEP_2)
	v_fmac_f32_e32 v167, v6, v1
	v_fma_f32 v168, v5, v1, -v2
	v_mul_f32_e32 v1, v8, v4
	s_delay_alu instid0(VALU_DEP_4) | instskip(NEXT) | instid1(VALU_DEP_2)
	v_fmac_f32_e32 v169, v8, v3
	v_fma_f32 v170, v7, v3, -v1
	ds_load_b128 v[1:4], v21 offset:816
	ds_load_b128 v[5:8], v21 offset:832
	s_wait_loadcnt_dscnt 0x1
	v_mul_f32_e32 v171, v1, v10
	v_mul_f32_e32 v173, v3, v12
	s_delay_alu instid0(VALU_DEP_2) | instskip(NEXT) | instid1(VALU_DEP_2)
	v_fmac_f32_e32 v171, v2, v9
	v_dual_mul_f32 v2, v2, v10 :: v_dual_fmac_f32 v173, v4, v11
	s_delay_alu instid0(VALU_DEP_1) | instskip(SKIP_1) | instid1(VALU_DEP_1)
	v_fma_f32 v172, v1, v9, -v2
	v_mul_f32_e32 v1, v4, v12
	v_fma_f32 v174, v3, v11, -v1
	s_clause 0x1
	scratch_load_b128 v[1:4], off, off offset:336
	scratch_load_b128 v[9:12], off, off offset:352
	s_wait_loadcnt_dscnt 0x100
	v_mul_f32_e32 v175, v5, v2
	v_dual_mul_f32 v2, v6, v2 :: v_dual_mul_f32 v177, v7, v4
	s_delay_alu instid0(VALU_DEP_2) | instskip(NEXT) | instid1(VALU_DEP_2)
	v_fmac_f32_e32 v175, v6, v1
	v_fma_f32 v176, v5, v1, -v2
	v_mul_f32_e32 v1, v8, v4
	s_delay_alu instid0(VALU_DEP_4) | instskip(NEXT) | instid1(VALU_DEP_2)
	v_fmac_f32_e32 v177, v8, v3
	v_fma_f32 v178, v7, v3, -v1
	ds_load_b128 v[1:4], v21 offset:848
	ds_load_b128 v[5:8], v21 offset:864
	s_wait_loadcnt_dscnt 0x1
	v_mul_f32_e32 v179, v1, v10
	v_mul_f32_e32 v181, v3, v12
	s_delay_alu instid0(VALU_DEP_2) | instskip(NEXT) | instid1(VALU_DEP_2)
	v_fmac_f32_e32 v179, v2, v9
	v_dual_mul_f32 v2, v2, v10 :: v_dual_fmac_f32 v181, v4, v11
	s_delay_alu instid0(VALU_DEP_1) | instskip(SKIP_1) | instid1(VALU_DEP_1)
	v_fma_f32 v180, v1, v9, -v2
	v_mul_f32_e32 v1, v4, v12
	;; [unrolled: 25-line block ×3, first 2 shown]
	v_fma_f32 v190, v3, v11, -v1
	s_clause 0x1
	scratch_load_b128 v[1:4], off, off offset:400
	scratch_load_b128 v[9:12], off, off offset:416
	s_wait_loadcnt_dscnt 0x100
	v_mul_f32_e32 v191, v5, v2
	v_mul_f32_e32 v2, v6, v2
	s_delay_alu instid0(VALU_DEP_1) | instskip(SKIP_1) | instid1(VALU_DEP_1)
	v_fma_f32 v192, v5, v1, -v2
	v_add_f32_e32 v2, 0, v155
	v_add_f32_e32 v2, v2, v156
	s_delay_alu instid0(VALU_DEP_1) | instskip(NEXT) | instid1(VALU_DEP_1)
	v_add_f32_e32 v2, v2, v24
	v_add_f32_e32 v2, v2, v25
	s_delay_alu instid0(VALU_DEP_1) | instskip(NEXT) | instid1(VALU_DEP_1)
	v_add_f32_e32 v2, v2, v32
	v_dual_add_f32 v2, v2, v162 :: v_dual_mul_f32 v193, v7, v4
	s_delay_alu instid0(VALU_DEP_1) | instskip(NEXT) | instid1(VALU_DEP_1)
	v_add_f32_e32 v2, v2, v158
	v_add_f32_e32 v2, v2, v159
	v_fmac_f32_e32 v191, v6, v1
	s_delay_alu instid0(VALU_DEP_2) | instskip(SKIP_1) | instid1(VALU_DEP_2)
	v_dual_mul_f32 v1, v8, v4 :: v_dual_add_f32 v2, v2, v15
	v_fmac_f32_e32 v193, v8, v3
	v_fma_f32 v194, v7, v3, -v1
	s_delay_alu instid0(VALU_DEP_3) | instskip(NEXT) | instid1(VALU_DEP_1)
	v_add_f32_e32 v2, v2, v18
	v_dual_add_f32 v1, 0, v22 :: v_dual_add_f32 v2, v2, v19
	s_delay_alu instid0(VALU_DEP_1) | instskip(NEXT) | instid1(VALU_DEP_1)
	v_dual_add_f32 v1, v1, v23 :: v_dual_add_f32 v2, v2, v20
	v_add_f32_e32 v1, v1, v26
	s_delay_alu instid0(VALU_DEP_2) | instskip(NEXT) | instid1(VALU_DEP_2)
	v_add_f32_e32 v5, v2, v163
	v_add_f32_e32 v1, v1, v27
	scratch_load_b64 v[26:27], off, off offset:480
	v_add_f32_e32 v5, v5, v164
	v_add_f32_e32 v1, v1, v28
	s_delay_alu instid0(VALU_DEP_2) | instskip(NEXT) | instid1(VALU_DEP_2)
	v_add_f32_e32 v5, v5, v167
	v_add_f32_e32 v1, v1, v29
	s_delay_alu instid0(VALU_DEP_1) | instskip(NEXT) | instid1(VALU_DEP_1)
	v_add_f32_e32 v1, v1, v13
	v_add_f32_e32 v1, v1, v14
	s_delay_alu instid0(VALU_DEP_4) | instskip(NEXT) | instid1(VALU_DEP_1)
	v_add_f32_e32 v14, v5, v169
	v_dual_add_f32 v14, v14, v171 :: v_dual_add_f32 v1, v1, v16
	s_delay_alu instid0(VALU_DEP_1) | instskip(NEXT) | instid1(VALU_DEP_2)
	v_add_f32_e32 v14, v14, v173
	v_add_f32_e32 v1, v1, v17
	s_delay_alu instid0(VALU_DEP_2) | instskip(NEXT) | instid1(VALU_DEP_2)
	v_add_f32_e32 v17, v14, v175
	v_add_f32_e32 v1, v1, v160
	s_delay_alu instid0(VALU_DEP_2) | instskip(NEXT) | instid1(VALU_DEP_2)
	;; [unrolled: 3-line block ×4, first 2 shown]
	v_add_f32_e32 v17, v17, v181
	v_add_f32_e32 v6, v1, v166
	ds_load_b128 v[1:4], v21 offset:912
	v_dual_add_f32 v17, v17, v183 :: v_dual_add_f32 v6, v6, v168
	s_delay_alu instid0(VALU_DEP_1)
	v_dual_add_f32 v22, v17, v185 :: v_dual_add_f32 v13, v6, v170
	ds_load_b128 v[5:8], v21 offset:928
	s_wait_loadcnt_dscnt 0x101
	v_mul_f32_e32 v32, v1, v10
	v_dual_mul_f32 v10, v2, v10 :: v_dual_mul_f32 v155, v3, v12
	v_dual_mul_f32 v12, v4, v12 :: v_dual_add_f32 v29, v22, v187
	s_delay_alu instid0(VALU_DEP_3) | instskip(NEXT) | instid1(VALU_DEP_3)
	v_fmac_f32_e32 v32, v2, v9
	v_fma_f32 v156, v1, v9, -v10
	s_delay_alu instid0(VALU_DEP_4) | instskip(NEXT) | instid1(VALU_DEP_4)
	v_fmac_f32_e32 v155, v4, v11
	v_fma_f32 v158, v3, v11, -v12
	s_clause 0x1
	scratch_load_b128 v[1:4], off, off offset:432
	scratch_load_b128 v[9:12], off, off offset:448
	v_add_f32_e32 v160, v29, v189
	v_add_f32_e32 v13, v13, v172
	ds_load_b128 v[22:25], v21 offset:960
	v_dual_add_f32 v160, v160, v191 :: v_dual_add_f32 v13, v13, v174
	s_delay_alu instid0(VALU_DEP_1) | instskip(NEXT) | instid1(VALU_DEP_1)
	v_add_f32_e32 v160, v160, v193
	v_add_f32_e32 v32, v160, v32
	s_delay_alu instid0(VALU_DEP_1) | instskip(SKIP_4) | instid1(VALU_DEP_3)
	v_add_f32_e32 v32, v32, v155
	s_wait_loadcnt_dscnt 0x101
	v_mul_f32_e32 v162, v7, v4
	v_add_f32_e32 v13, v13, v176
	v_mul_f32_e32 v4, v8, v4
	v_fmac_f32_e32 v162, v8, v3
	s_delay_alu instid0(VALU_DEP_3) | instskip(SKIP_2) | instid1(VALU_DEP_1)
	v_add_f32_e32 v18, v13, v178
	scratch_load_b128 v[13:16], off, off offset:464
	v_add_f32_e32 v18, v18, v180
	v_add_f32_e32 v18, v18, v182
	s_delay_alu instid0(VALU_DEP_1) | instskip(NEXT) | instid1(VALU_DEP_1)
	v_add_f32_e32 v18, v18, v184
	v_add_f32_e32 v18, v18, v186
	s_delay_alu instid0(VALU_DEP_1) | instskip(SKIP_4) | instid1(VALU_DEP_2)
	v_add_f32_e32 v28, v18, v188
	ds_load_b128 v[17:20], v21 offset:944
	s_wait_loadcnt_dscnt 0x100
	v_dual_mul_f32 v160, v19, v12 :: v_dual_mul_f32 v161, v5, v2
	v_mul_f32_e32 v2, v6, v2
	v_fmac_f32_e32 v160, v20, v11
	v_add_f32_e32 v159, v28, v190
	s_delay_alu instid0(VALU_DEP_4) | instskip(NEXT) | instid1(VALU_DEP_4)
	v_fmac_f32_e32 v161, v6, v1
	v_fma_f32 v2, v5, v1, -v2
	v_fma_f32 v1, v7, v3, -v4
	ds_load_b64 v[28:29], v21 offset:976
	v_dual_add_f32 v159, v159, v192 :: v_dual_add_f32 v4, v32, v161
	v_mul_f32_e32 v3, v18, v10
	s_delay_alu instid0(VALU_DEP_2) | instskip(NEXT) | instid1(VALU_DEP_2)
	v_add_f32_e32 v159, v159, v194
	v_fma_f32 v3, v17, v9, -v3
	s_delay_alu instid0(VALU_DEP_2) | instskip(NEXT) | instid1(VALU_DEP_1)
	v_add_f32_e32 v156, v159, v156
	v_add_f32_e32 v156, v156, v158
	s_wait_dscnt 0x0
	v_mul_f32_e32 v155, v28, v27
	s_delay_alu instid0(VALU_DEP_2) | instskip(NEXT) | instid1(VALU_DEP_1)
	v_add_f32_e32 v2, v156, v2
	v_dual_add_f32 v1, v2, v1 :: v_dual_add_f32 v2, v4, v162
	s_wait_loadcnt 0x0
	v_dual_mul_f32 v158, v24, v16 :: v_dual_mul_f32 v163, v22, v14
	v_mul_f32_e32 v4, v23, v14
	v_fmac_f32_e32 v155, v29, v26
	s_delay_alu instid0(VALU_DEP_3) | instskip(SKIP_1) | instid1(VALU_DEP_4)
	v_dual_fmac_f32 v158, v25, v15 :: v_dual_fmac_f32 v163, v23, v13
	v_mul_f32_e32 v159, v17, v10
	v_fma_f32 v4, v22, v13, -v4
	s_delay_alu instid0(VALU_DEP_2) | instskip(NEXT) | instid1(VALU_DEP_1)
	v_fmac_f32_e32 v159, v18, v9
	v_dual_mul_f32 v5, v20, v12 :: v_dual_add_f32 v2, v2, v159
	s_delay_alu instid0(VALU_DEP_1) | instskip(NEXT) | instid1(VALU_DEP_2)
	v_fma_f32 v5, v19, v11, -v5
	v_add_f32_e32 v2, v2, v160
	s_delay_alu instid0(VALU_DEP_1) | instskip(NEXT) | instid1(VALU_DEP_1)
	v_add_f32_e32 v2, v2, v163
	v_dual_add_f32 v1, v1, v3 :: v_dual_add_f32 v2, v2, v158
	v_mul_f32_e32 v3, v25, v16
	s_delay_alu instid0(VALU_DEP_2) | instskip(SKIP_1) | instid1(VALU_DEP_4)
	v_add_f32_e32 v1, v1, v5
	v_mul_f32_e32 v5, v29, v27
	v_add_f32_e32 v2, v2, v155
	s_delay_alu instid0(VALU_DEP_4) | instskip(NEXT) | instid1(VALU_DEP_4)
	v_fma_f32 v3, v24, v15, -v3
	v_add_f32_e32 v1, v1, v4
	s_delay_alu instid0(VALU_DEP_4) | instskip(NEXT) | instid1(VALU_DEP_2)
	v_fma_f32 v4, v28, v26, -v5
	v_dual_sub_f32 v2, v31, v2 :: v_dual_add_f32 v1, v1, v3
	s_delay_alu instid0(VALU_DEP_1) | instskip(NEXT) | instid1(VALU_DEP_1)
	v_add_f32_e32 v1, v1, v4
	v_sub_f32_e32 v1, v30, v1
	scratch_store_b64 off, v[1:2], off offset:184
	v_cmpx_lt_u32_e32 22, v0
	s_cbranch_execz .LBB124_335
; %bb.334:
	scratch_load_b64 v[1:2], off, off offset:176
	v_mov_b32_e32 v22, v21
	scratch_store_b64 off, v[21:22], off offset:176
	s_wait_loadcnt 0x0
	ds_store_b64 v157, v[1:2]
.LBB124_335:
	s_wait_alu 0xfffe
	s_or_b32 exec_lo, exec_lo, s0
	s_wait_storecnt_dscnt 0x0
	s_barrier_signal -1
	s_barrier_wait -1
	global_inv scope:SCOPE_SE
	s_clause 0x4
	scratch_load_b128 v[5:8], off, off offset:184
	scratch_load_b128 v[1:4], off, off offset:200
	;; [unrolled: 1-line block ×5, first 2 shown]
	ds_load_2addr_b64 v[22:25], v21 offset0:85 offset1:86
	ds_load_2addr_b64 v[26:29], v21 offset0:87 offset1:88
	;; [unrolled: 1-line block ×3, first 2 shown]
	scratch_load_b64 v[30:31], off, off offset:176
	s_mov_b32 s0, exec_lo
	s_wait_loadcnt_dscnt 0x502
	v_mul_f32_e32 v32, v23, v6
	v_dual_mul_f32 v155, v22, v6 :: v_dual_mul_f32 v156, v24, v8
	v_mul_f32_e32 v6, v25, v8
	s_wait_loadcnt_dscnt 0x300
	v_mul_f32_e32 v162, v160, v12
	s_delay_alu instid0(VALU_DEP_3)
	v_dual_mul_f32 v12, v161, v12 :: v_dual_fmac_f32 v155, v23, v5
	v_fmac_f32_e32 v156, v25, v7
	v_fma_f32 v23, v24, v7, -v6
	v_mul_f32_e32 v25, v28, v4
	v_fma_f32 v22, v22, v5, -v32
	ds_load_2addr_b64 v[5:8], v21 offset0:91 offset1:92
	v_mul_f32_e32 v24, v26, v2
	v_mul_f32_e32 v4, v29, v4
	v_mul_f32_e32 v32, v158, v10
	v_mul_f32_e32 v10, v159, v10
	v_dual_mul_f32 v2, v27, v2 :: v_dual_fmac_f32 v25, v29, v3
	v_fmac_f32_e32 v24, v27, v1
	v_fma_f32 v27, v28, v3, -v4
	v_fmac_f32_e32 v32, v159, v9
	v_fma_f32 v28, v158, v9, -v10
	;; [unrolled: 2-line block ×3, first 2 shown]
	ds_load_2addr_b64 v[9:12], v21 offset0:93 offset1:94
	s_wait_loadcnt_dscnt 0x201
	v_dual_mul_f32 v159, v7, v16 :: v_dual_mul_f32 v158, v5, v14
	v_mul_f32_e32 v14, v6, v14
	v_mul_f32_e32 v16, v8, v16
	s_delay_alu instid0(VALU_DEP_3)
	v_fmac_f32_e32 v159, v8, v15
	v_fma_f32 v26, v26, v1, -v2
	scratch_load_b128 v[1:4], off, off offset:264
	v_fmac_f32_e32 v158, v6, v13
	v_fma_f32 v13, v5, v13, -v14
	v_fma_f32 v14, v7, v15, -v16
	ds_load_2addr_b64 v[5:8], v21 offset0:95 offset1:96
	s_wait_loadcnt_dscnt 0x201
	v_mul_f32_e32 v15, v9, v18
	v_mul_f32_e32 v16, v10, v18
	;; [unrolled: 1-line block ×3, first 2 shown]
	s_delay_alu instid0(VALU_DEP_3) | instskip(NEXT) | instid1(VALU_DEP_3)
	v_dual_mul_f32 v20, v12, v20 :: v_dual_fmac_f32 v15, v10, v17
	v_fma_f32 v16, v9, v17, -v16
	s_delay_alu instid0(VALU_DEP_3) | instskip(NEXT) | instid1(VALU_DEP_3)
	v_fmac_f32_e32 v18, v12, v19
	v_fma_f32 v17, v11, v19, -v20
	scratch_load_b128 v[9:12], off, off offset:280
	s_wait_loadcnt_dscnt 0x100
	v_mul_f32_e32 v19, v5, v2
	v_mul_f32_e32 v2, v6, v2
	v_mul_f32_e32 v20, v7, v4
	s_delay_alu instid0(VALU_DEP_3) | instskip(NEXT) | instid1(VALU_DEP_3)
	v_dual_mul_f32 v4, v8, v4 :: v_dual_fmac_f32 v19, v6, v1
	v_fma_f32 v160, v5, v1, -v2
	s_delay_alu instid0(VALU_DEP_3) | instskip(NEXT) | instid1(VALU_DEP_3)
	v_fmac_f32_e32 v20, v8, v3
	v_fma_f32 v161, v7, v3, -v4
	ds_load_2addr_b64 v[1:4], v21 offset0:97 offset1:98
	ds_load_2addr_b64 v[5:8], v21 offset0:99 offset1:100
	s_wait_loadcnt_dscnt 0x1
	v_mul_f32_e32 v163, v1, v10
	v_mul_f32_e32 v10, v2, v10
	s_delay_alu instid0(VALU_DEP_2) | instskip(NEXT) | instid1(VALU_DEP_2)
	v_dual_mul_f32 v164, v3, v12 :: v_dual_fmac_f32 v163, v2, v9
	v_fma_f32 v165, v1, v9, -v10
	v_mul_f32_e32 v1, v4, v12
	s_delay_alu instid0(VALU_DEP_3) | instskip(NEXT) | instid1(VALU_DEP_2)
	v_fmac_f32_e32 v164, v4, v11
	v_fma_f32 v166, v3, v11, -v1
	s_clause 0x1
	scratch_load_b128 v[1:4], off, off offset:296
	scratch_load_b128 v[9:12], off, off offset:312
	s_wait_loadcnt_dscnt 0x100
	v_mul_f32_e32 v167, v5, v2
	v_dual_mul_f32 v2, v6, v2 :: v_dual_mul_f32 v169, v7, v4
	s_delay_alu instid0(VALU_DEP_2) | instskip(NEXT) | instid1(VALU_DEP_2)
	v_fmac_f32_e32 v167, v6, v1
	v_fma_f32 v168, v5, v1, -v2
	v_mul_f32_e32 v1, v8, v4
	s_delay_alu instid0(VALU_DEP_4) | instskip(NEXT) | instid1(VALU_DEP_2)
	v_fmac_f32_e32 v169, v8, v3
	v_fma_f32 v170, v7, v3, -v1
	ds_load_2addr_b64 v[1:4], v21 offset0:101 offset1:102
	ds_load_2addr_b64 v[5:8], v21 offset0:103 offset1:104
	s_wait_loadcnt_dscnt 0x1
	v_mul_f32_e32 v171, v1, v10
	v_mul_f32_e32 v173, v3, v12
	s_delay_alu instid0(VALU_DEP_2) | instskip(NEXT) | instid1(VALU_DEP_2)
	v_fmac_f32_e32 v171, v2, v9
	v_dual_mul_f32 v2, v2, v10 :: v_dual_fmac_f32 v173, v4, v11
	s_delay_alu instid0(VALU_DEP_1) | instskip(SKIP_1) | instid1(VALU_DEP_1)
	v_fma_f32 v172, v1, v9, -v2
	v_mul_f32_e32 v1, v4, v12
	v_fma_f32 v174, v3, v11, -v1
	s_clause 0x1
	scratch_load_b128 v[1:4], off, off offset:328
	scratch_load_b128 v[9:12], off, off offset:344
	s_wait_loadcnt_dscnt 0x100
	v_mul_f32_e32 v175, v5, v2
	v_dual_mul_f32 v2, v6, v2 :: v_dual_mul_f32 v177, v7, v4
	s_delay_alu instid0(VALU_DEP_2) | instskip(NEXT) | instid1(VALU_DEP_2)
	v_fmac_f32_e32 v175, v6, v1
	v_fma_f32 v176, v5, v1, -v2
	v_mul_f32_e32 v1, v8, v4
	s_delay_alu instid0(VALU_DEP_4) | instskip(NEXT) | instid1(VALU_DEP_2)
	v_fmac_f32_e32 v177, v8, v3
	v_fma_f32 v178, v7, v3, -v1
	ds_load_2addr_b64 v[1:4], v21 offset0:105 offset1:106
	ds_load_2addr_b64 v[5:8], v21 offset0:107 offset1:108
	s_wait_loadcnt_dscnt 0x1
	v_mul_f32_e32 v179, v1, v10
	v_mul_f32_e32 v181, v3, v12
	s_delay_alu instid0(VALU_DEP_2) | instskip(NEXT) | instid1(VALU_DEP_2)
	v_fmac_f32_e32 v179, v2, v9
	v_dual_mul_f32 v2, v2, v10 :: v_dual_fmac_f32 v181, v4, v11
	s_delay_alu instid0(VALU_DEP_1) | instskip(SKIP_1) | instid1(VALU_DEP_1)
	v_fma_f32 v180, v1, v9, -v2
	v_mul_f32_e32 v1, v4, v12
	;; [unrolled: 25-line block ×3, first 2 shown]
	v_fma_f32 v190, v3, v11, -v1
	s_clause 0x1
	scratch_load_b128 v[1:4], off, off offset:392
	scratch_load_b128 v[9:12], off, off offset:408
	s_wait_loadcnt_dscnt 0x100
	v_mul_f32_e32 v191, v5, v2
	v_mul_f32_e32 v2, v6, v2
	s_delay_alu instid0(VALU_DEP_1) | instskip(SKIP_1) | instid1(VALU_DEP_1)
	v_fma_f32 v192, v5, v1, -v2
	v_add_f32_e32 v2, 0, v155
	v_add_f32_e32 v2, v2, v156
	s_delay_alu instid0(VALU_DEP_1) | instskip(NEXT) | instid1(VALU_DEP_1)
	v_add_f32_e32 v2, v2, v24
	v_add_f32_e32 v2, v2, v25
	s_delay_alu instid0(VALU_DEP_1) | instskip(SKIP_1) | instid1(VALU_DEP_2)
	v_add_f32_e32 v2, v2, v32
	v_fmac_f32_e32 v191, v6, v1
	v_dual_add_f32 v2, v2, v162 :: v_dual_mul_f32 v193, v7, v4
	s_delay_alu instid0(VALU_DEP_1) | instskip(NEXT) | instid1(VALU_DEP_1)
	v_dual_add_f32 v2, v2, v158 :: v_dual_mul_f32 v1, v8, v4
	v_add_f32_e32 v2, v2, v159
	s_delay_alu instid0(VALU_DEP_2) | instskip(NEXT) | instid1(VALU_DEP_2)
	v_fma_f32 v194, v7, v3, -v1
	v_dual_add_f32 v1, 0, v22 :: v_dual_add_f32 v2, v2, v15
	s_delay_alu instid0(VALU_DEP_1) | instskip(NEXT) | instid1(VALU_DEP_1)
	v_dual_fmac_f32 v193, v8, v3 :: v_dual_add_f32 v2, v2, v18
	v_add_f32_e32 v2, v2, v19
	s_delay_alu instid0(VALU_DEP_1) | instskip(NEXT) | instid1(VALU_DEP_1)
	v_dual_add_f32 v1, v1, v23 :: v_dual_add_f32 v2, v2, v20
	v_dual_add_f32 v1, v1, v26 :: v_dual_add_f32 v2, v2, v163
	s_delay_alu instid0(VALU_DEP_1) | instskip(NEXT) | instid1(VALU_DEP_2)
	v_add_f32_e32 v1, v1, v27
	v_add_f32_e32 v5, v2, v164
	s_delay_alu instid0(VALU_DEP_2) | instskip(NEXT) | instid1(VALU_DEP_1)
	v_add_f32_e32 v1, v1, v28
	v_add_f32_e32 v1, v1, v29
	s_delay_alu instid0(VALU_DEP_1) | instskip(NEXT) | instid1(VALU_DEP_4)
	v_add_f32_e32 v1, v1, v13
	v_add_f32_e32 v13, v5, v167
	s_delay_alu instid0(VALU_DEP_1) | instskip(NEXT) | instid1(VALU_DEP_1)
	v_add_f32_e32 v13, v13, v169
	v_add_f32_e32 v13, v13, v171
	s_delay_alu instid0(VALU_DEP_1) | instskip(NEXT) | instid1(VALU_DEP_1)
	v_add_f32_e32 v18, v13, v173
	v_dual_add_f32 v18, v18, v175 :: v_dual_add_f32 v1, v1, v14
	s_delay_alu instid0(VALU_DEP_1) | instskip(NEXT) | instid1(VALU_DEP_1)
	v_dual_add_f32 v18, v18, v177 :: v_dual_add_f32 v1, v1, v16
	v_dual_add_f32 v22, v18, v179 :: v_dual_add_f32 v1, v1, v17
	s_delay_alu instid0(VALU_DEP_1) | instskip(NEXT) | instid1(VALU_DEP_1)
	v_dual_add_f32 v22, v22, v181 :: v_dual_add_f32 v1, v1, v160
	v_add_f32_e32 v1, v1, v161
	s_delay_alu instid0(VALU_DEP_1) | instskip(NEXT) | instid1(VALU_DEP_1)
	v_add_f32_e32 v1, v1, v165
	v_add_f32_e32 v1, v1, v166
	s_delay_alu instid0(VALU_DEP_1)
	v_add_f32_e32 v6, v1, v168
	ds_load_2addr_b64 v[1:4], v21 offset0:113 offset1:114
	v_add_f32_e32 v22, v22, v183
	v_add_f32_e32 v14, v6, v170
	scratch_load_b128 v[5:8], off, off offset:424
	v_add_f32_e32 v14, v14, v172
	s_delay_alu instid0(VALU_DEP_1)
	v_add_f32_e32 v17, v14, v174
	ds_load_2addr_b64 v[13:16], v21 offset0:115 offset1:116
	s_wait_loadcnt_dscnt 0x101
	v_mul_f32_e32 v25, v1, v10
	v_mul_f32_e32 v10, v2, v10
	;; [unrolled: 1-line block ×3, first 2 shown]
	s_delay_alu instid0(VALU_DEP_3) | instskip(NEXT) | instid1(VALU_DEP_3)
	v_dual_mul_f32 v12, v4, v12 :: v_dual_fmac_f32 v25, v2, v9
	v_fma_f32 v27, v1, v9, -v10
	s_delay_alu instid0(VALU_DEP_3) | instskip(NEXT) | instid1(VALU_DEP_3)
	v_fmac_f32_e32 v26, v4, v11
	v_fma_f32 v28, v3, v11, -v12
	s_clause 0x1
	scratch_load_b128 v[1:4], off, off offset:440
	scratch_load_b128 v[9:12], off, off offset:456
	s_wait_loadcnt_dscnt 0x200
	v_dual_mul_f32 v32, v15, v8 :: v_dual_mul_f32 v29, v13, v6
	v_mul_f32_e32 v6, v14, v6
	v_mul_f32_e32 v8, v16, v8
	s_delay_alu instid0(VALU_DEP_3) | instskip(NEXT) | instid1(VALU_DEP_4)
	v_dual_fmac_f32 v32, v16, v7 :: v_dual_add_f32 v17, v17, v176
	v_fmac_f32_e32 v29, v14, v5
	s_delay_alu instid0(VALU_DEP_4) | instskip(NEXT) | instid1(VALU_DEP_4)
	v_fma_f32 v155, v13, v5, -v6
	v_fma_f32 v156, v15, v7, -v8
	ds_load_2addr_b64 v[5:8], v21 offset0:117 offset1:118
	v_add_f32_e32 v17, v17, v178
	v_add_f32_e32 v13, v22, v185
	s_delay_alu instid0(VALU_DEP_2) | instskip(NEXT) | instid1(VALU_DEP_1)
	v_add_f32_e32 v17, v17, v180
	v_add_f32_e32 v23, v17, v182
	scratch_load_b128 v[17:20], off, off offset:472
	v_add_f32_e32 v23, v23, v184
	s_delay_alu instid0(VALU_DEP_1) | instskip(NEXT) | instid1(VALU_DEP_1)
	v_add_f32_e32 v23, v23, v186
	v_dual_add_f32 v22, v23, v188 :: v_dual_add_f32 v23, v13, v187
	ds_load_2addr_b64 v[13:16], v21 offset0:119 offset1:120
	s_wait_loadcnt_dscnt 0x201
	v_mul_f32_e32 v160, v5, v2
	v_mul_f32_e32 v2, v6, v2
	v_dual_add_f32 v158, v22, v190 :: v_dual_add_f32 v159, v23, v189
	ds_load_2addr_b64 v[21:24], v21 offset0:121 offset1:122
	v_fmac_f32_e32 v160, v6, v1
	v_fma_f32 v2, v5, v1, -v2
	v_add_f32_e32 v158, v158, v192
	s_delay_alu instid0(VALU_DEP_1) | instskip(NEXT) | instid1(VALU_DEP_1)
	v_add_f32_e32 v158, v158, v194
	v_dual_add_f32 v27, v158, v27 :: v_dual_mul_f32 v158, v7, v4
	v_mul_f32_e32 v4, v8, v4
	s_wait_loadcnt_dscnt 0x101
	v_dual_mul_f32 v6, v14, v10 :: v_dual_add_f32 v159, v159, v191
	s_delay_alu instid0(VALU_DEP_3) | instskip(NEXT) | instid1(VALU_DEP_3)
	v_dual_add_f32 v27, v27, v28 :: v_dual_fmac_f32 v158, v8, v3
	v_fma_f32 v3, v7, v3, -v4
	s_delay_alu instid0(VALU_DEP_3) | instskip(NEXT) | instid1(VALU_DEP_1)
	v_dual_mul_f32 v4, v16, v12 :: v_dual_add_f32 v159, v159, v193
	v_fma_f32 v4, v15, v11, -v4
	s_delay_alu instid0(VALU_DEP_2) | instskip(SKIP_2) | instid1(VALU_DEP_1)
	v_add_f32_e32 v25, v159, v25
	s_wait_loadcnt_dscnt 0x0
	v_mul_f32_e32 v28, v23, v20
	v_dual_mul_f32 v161, v15, v12 :: v_dual_fmac_f32 v28, v24, v19
	s_delay_alu instid0(VALU_DEP_3) | instskip(SKIP_2) | instid1(VALU_DEP_4)
	v_add_f32_e32 v25, v25, v26
	v_mul_f32_e32 v26, v21, v18
	v_mul_f32_e32 v159, v13, v10
	v_fmac_f32_e32 v161, v16, v11
	s_delay_alu instid0(VALU_DEP_4) | instskip(NEXT) | instid1(VALU_DEP_4)
	v_add_f32_e32 v25, v25, v29
	v_dual_fmac_f32 v26, v22, v17 :: v_dual_add_f32 v27, v27, v155
	s_delay_alu instid0(VALU_DEP_4) | instskip(NEXT) | instid1(VALU_DEP_3)
	v_fmac_f32_e32 v159, v14, v9
	v_add_f32_e32 v5, v25, v32
	s_delay_alu instid0(VALU_DEP_3) | instskip(NEXT) | instid1(VALU_DEP_1)
	v_add_f32_e32 v1, v27, v156
	v_add_f32_e32 v1, v1, v2
	s_delay_alu instid0(VALU_DEP_3) | instskip(SKIP_1) | instid1(VALU_DEP_2)
	v_add_f32_e32 v2, v5, v160
	v_fma_f32 v5, v13, v9, -v6
	v_dual_add_f32 v1, v1, v3 :: v_dual_add_f32 v2, v2, v158
	v_mul_f32_e32 v3, v22, v18
	s_delay_alu instid0(VALU_DEP_2) | instskip(SKIP_1) | instid1(VALU_DEP_3)
	v_dual_add_f32 v1, v1, v5 :: v_dual_add_f32 v2, v2, v159
	v_mul_f32_e32 v5, v24, v20
	v_fma_f32 v3, v21, v17, -v3
	s_delay_alu instid0(VALU_DEP_3) | instskip(NEXT) | instid1(VALU_DEP_3)
	v_dual_add_f32 v1, v1, v4 :: v_dual_add_f32 v2, v2, v161
	v_fma_f32 v4, v23, v19, -v5
	s_delay_alu instid0(VALU_DEP_2) | instskip(NEXT) | instid1(VALU_DEP_1)
	v_dual_add_f32 v1, v1, v3 :: v_dual_add_f32 v2, v2, v26
	v_add_f32_e32 v1, v1, v4
	s_delay_alu instid0(VALU_DEP_2) | instskip(NEXT) | instid1(VALU_DEP_1)
	v_add_f32_e32 v2, v2, v28
	v_dual_sub_f32 v1, v30, v1 :: v_dual_sub_f32 v2, v31, v2
	scratch_store_b64 off, v[1:2], off offset:176
	v_cmpx_lt_u32_e32 21, v0
	s_cbranch_execz .LBB124_337
; %bb.336:
	scratch_load_b64 v[1:2], off, off offset:168
	v_mov_b32_e32 v3, 0
	s_delay_alu instid0(VALU_DEP_1)
	v_mov_b32_e32 v4, v3
	scratch_store_b64 off, v[3:4], off offset:168
	s_wait_loadcnt 0x0
	ds_store_b64 v157, v[1:2]
.LBB124_337:
	s_wait_alu 0xfffe
	s_or_b32 exec_lo, exec_lo, s0
	s_wait_storecnt_dscnt 0x0
	s_barrier_signal -1
	s_barrier_wait -1
	global_inv scope:SCOPE_SE
	s_clause 0x4
	scratch_load_b128 v[5:8], off, off offset:176
	scratch_load_b128 v[1:4], off, off offset:192
	;; [unrolled: 1-line block ×5, first 2 shown]
	v_mov_b32_e32 v21, 0
	ds_load_b128 v[22:25], v21 offset:672
	ds_load_b128 v[26:29], v21 offset:688
	ds_load_b128 v[158:161], v21 offset:704
	scratch_load_b64 v[30:31], off, off offset:168
	s_mov_b32 s0, exec_lo
	s_wait_loadcnt_dscnt 0x502
	v_mul_f32_e32 v32, v23, v6
	v_dual_mul_f32 v155, v22, v6 :: v_dual_mul_f32 v156, v24, v8
	v_mul_f32_e32 v6, v25, v8
	s_wait_loadcnt_dscnt 0x300
	v_mul_f32_e32 v162, v160, v12
	v_fma_f32 v22, v22, v5, -v32
	v_dual_fmac_f32 v155, v23, v5 :: v_dual_fmac_f32 v156, v25, v7
	v_mul_f32_e32 v25, v28, v4
	v_fma_f32 v23, v24, v7, -v6
	ds_load_b128 v[5:8], v21 offset:720
	v_mul_f32_e32 v24, v26, v2
	v_mul_f32_e32 v4, v29, v4
	;; [unrolled: 1-line block ×5, first 2 shown]
	v_dual_mul_f32 v2, v27, v2 :: v_dual_fmac_f32 v25, v29, v3
	v_fmac_f32_e32 v24, v27, v1
	v_fma_f32 v27, v28, v3, -v4
	v_fmac_f32_e32 v32, v159, v9
	v_fma_f32 v28, v158, v9, -v10
	;; [unrolled: 2-line block ×3, first 2 shown]
	ds_load_b128 v[9:12], v21 offset:736
	s_wait_loadcnt_dscnt 0x201
	v_dual_mul_f32 v159, v7, v16 :: v_dual_mul_f32 v158, v5, v14
	v_mul_f32_e32 v14, v6, v14
	v_mul_f32_e32 v16, v8, v16
	s_delay_alu instid0(VALU_DEP_3)
	v_fmac_f32_e32 v159, v8, v15
	v_fma_f32 v26, v26, v1, -v2
	scratch_load_b128 v[1:4], off, off offset:256
	v_fmac_f32_e32 v158, v6, v13
	v_fma_f32 v13, v5, v13, -v14
	v_fma_f32 v14, v7, v15, -v16
	ds_load_b128 v[5:8], v21 offset:752
	s_wait_loadcnt_dscnt 0x201
	v_mul_f32_e32 v15, v9, v18
	v_mul_f32_e32 v16, v10, v18
	;; [unrolled: 1-line block ×3, first 2 shown]
	s_delay_alu instid0(VALU_DEP_3) | instskip(NEXT) | instid1(VALU_DEP_3)
	v_dual_mul_f32 v20, v12, v20 :: v_dual_fmac_f32 v15, v10, v17
	v_fma_f32 v16, v9, v17, -v16
	s_delay_alu instid0(VALU_DEP_3) | instskip(NEXT) | instid1(VALU_DEP_3)
	v_fmac_f32_e32 v18, v12, v19
	v_fma_f32 v17, v11, v19, -v20
	scratch_load_b128 v[9:12], off, off offset:272
	s_wait_loadcnt_dscnt 0x100
	v_mul_f32_e32 v19, v5, v2
	v_mul_f32_e32 v2, v6, v2
	;; [unrolled: 1-line block ×3, first 2 shown]
	s_delay_alu instid0(VALU_DEP_3) | instskip(NEXT) | instid1(VALU_DEP_3)
	v_dual_mul_f32 v4, v8, v4 :: v_dual_fmac_f32 v19, v6, v1
	v_fma_f32 v160, v5, v1, -v2
	s_delay_alu instid0(VALU_DEP_3) | instskip(NEXT) | instid1(VALU_DEP_3)
	v_fmac_f32_e32 v20, v8, v3
	v_fma_f32 v161, v7, v3, -v4
	ds_load_b128 v[1:4], v21 offset:768
	ds_load_b128 v[5:8], v21 offset:784
	s_wait_loadcnt_dscnt 0x1
	v_mul_f32_e32 v163, v1, v10
	v_mul_f32_e32 v10, v2, v10
	s_delay_alu instid0(VALU_DEP_2) | instskip(NEXT) | instid1(VALU_DEP_2)
	v_dual_mul_f32 v164, v3, v12 :: v_dual_fmac_f32 v163, v2, v9
	v_fma_f32 v165, v1, v9, -v10
	v_mul_f32_e32 v1, v4, v12
	s_delay_alu instid0(VALU_DEP_3) | instskip(NEXT) | instid1(VALU_DEP_2)
	v_fmac_f32_e32 v164, v4, v11
	v_fma_f32 v166, v3, v11, -v1
	s_clause 0x1
	scratch_load_b128 v[1:4], off, off offset:288
	scratch_load_b128 v[9:12], off, off offset:304
	s_wait_loadcnt_dscnt 0x100
	v_mul_f32_e32 v167, v5, v2
	v_dual_mul_f32 v2, v6, v2 :: v_dual_mul_f32 v169, v7, v4
	s_delay_alu instid0(VALU_DEP_2) | instskip(NEXT) | instid1(VALU_DEP_2)
	v_fmac_f32_e32 v167, v6, v1
	v_fma_f32 v168, v5, v1, -v2
	v_mul_f32_e32 v1, v8, v4
	s_delay_alu instid0(VALU_DEP_4) | instskip(NEXT) | instid1(VALU_DEP_2)
	v_fmac_f32_e32 v169, v8, v3
	v_fma_f32 v170, v7, v3, -v1
	ds_load_b128 v[1:4], v21 offset:800
	ds_load_b128 v[5:8], v21 offset:816
	s_wait_loadcnt_dscnt 0x1
	v_mul_f32_e32 v171, v1, v10
	v_mul_f32_e32 v173, v3, v12
	s_delay_alu instid0(VALU_DEP_2) | instskip(NEXT) | instid1(VALU_DEP_2)
	v_fmac_f32_e32 v171, v2, v9
	v_dual_mul_f32 v2, v2, v10 :: v_dual_fmac_f32 v173, v4, v11
	s_delay_alu instid0(VALU_DEP_1) | instskip(SKIP_1) | instid1(VALU_DEP_1)
	v_fma_f32 v172, v1, v9, -v2
	v_mul_f32_e32 v1, v4, v12
	v_fma_f32 v174, v3, v11, -v1
	s_clause 0x1
	scratch_load_b128 v[1:4], off, off offset:320
	scratch_load_b128 v[9:12], off, off offset:336
	s_wait_loadcnt_dscnt 0x100
	v_mul_f32_e32 v175, v5, v2
	v_dual_mul_f32 v2, v6, v2 :: v_dual_mul_f32 v177, v7, v4
	s_delay_alu instid0(VALU_DEP_2) | instskip(NEXT) | instid1(VALU_DEP_2)
	v_fmac_f32_e32 v175, v6, v1
	v_fma_f32 v176, v5, v1, -v2
	v_mul_f32_e32 v1, v8, v4
	s_delay_alu instid0(VALU_DEP_4) | instskip(NEXT) | instid1(VALU_DEP_2)
	v_fmac_f32_e32 v177, v8, v3
	v_fma_f32 v178, v7, v3, -v1
	ds_load_b128 v[1:4], v21 offset:832
	ds_load_b128 v[5:8], v21 offset:848
	s_wait_loadcnt_dscnt 0x1
	v_mul_f32_e32 v179, v1, v10
	v_mul_f32_e32 v181, v3, v12
	s_delay_alu instid0(VALU_DEP_2) | instskip(NEXT) | instid1(VALU_DEP_2)
	v_fmac_f32_e32 v179, v2, v9
	v_dual_mul_f32 v2, v2, v10 :: v_dual_fmac_f32 v181, v4, v11
	s_delay_alu instid0(VALU_DEP_1) | instskip(SKIP_1) | instid1(VALU_DEP_1)
	v_fma_f32 v180, v1, v9, -v2
	v_mul_f32_e32 v1, v4, v12
	;; [unrolled: 25-line block ×3, first 2 shown]
	v_fma_f32 v190, v3, v11, -v1
	s_clause 0x1
	scratch_load_b128 v[1:4], off, off offset:384
	scratch_load_b128 v[9:12], off, off offset:400
	s_wait_loadcnt_dscnt 0x100
	v_mul_f32_e32 v191, v5, v2
	v_mul_f32_e32 v2, v6, v2
	s_delay_alu instid0(VALU_DEP_1) | instskip(SKIP_1) | instid1(VALU_DEP_1)
	v_fma_f32 v192, v5, v1, -v2
	v_add_f32_e32 v2, 0, v155
	v_add_f32_e32 v2, v2, v156
	s_delay_alu instid0(VALU_DEP_1) | instskip(NEXT) | instid1(VALU_DEP_1)
	v_add_f32_e32 v2, v2, v24
	v_add_f32_e32 v2, v2, v25
	s_delay_alu instid0(VALU_DEP_1) | instskip(NEXT) | instid1(VALU_DEP_1)
	v_add_f32_e32 v2, v2, v32
	v_dual_add_f32 v2, v2, v162 :: v_dual_mul_f32 v193, v7, v4
	s_delay_alu instid0(VALU_DEP_1) | instskip(NEXT) | instid1(VALU_DEP_1)
	v_add_f32_e32 v2, v2, v158
	v_add_f32_e32 v2, v2, v159
	v_fmac_f32_e32 v191, v6, v1
	s_delay_alu instid0(VALU_DEP_2) | instskip(SKIP_1) | instid1(VALU_DEP_2)
	v_dual_mul_f32 v1, v8, v4 :: v_dual_add_f32 v2, v2, v15
	v_fmac_f32_e32 v193, v8, v3
	v_fma_f32 v194, v7, v3, -v1
	s_delay_alu instid0(VALU_DEP_3) | instskip(NEXT) | instid1(VALU_DEP_1)
	v_add_f32_e32 v2, v2, v18
	v_dual_add_f32 v1, 0, v22 :: v_dual_add_f32 v2, v2, v19
	s_delay_alu instid0(VALU_DEP_1) | instskip(NEXT) | instid1(VALU_DEP_1)
	v_dual_add_f32 v1, v1, v23 :: v_dual_add_f32 v2, v2, v20
	v_dual_add_f32 v1, v1, v26 :: v_dual_add_f32 v2, v2, v163
	s_delay_alu instid0(VALU_DEP_1) | instskip(SKIP_3) | instid1(VALU_DEP_1)
	v_add_f32_e32 v1, v1, v27
	scratch_load_b64 v[26:27], off, off offset:480
	v_add_f32_e32 v5, v2, v164
	v_add_f32_e32 v1, v1, v28
	;; [unrolled: 1-line block ×3, first 2 shown]
	s_delay_alu instid0(VALU_DEP_1) | instskip(NEXT) | instid1(VALU_DEP_4)
	v_add_f32_e32 v1, v1, v13
	v_add_f32_e32 v13, v5, v167
	s_delay_alu instid0(VALU_DEP_1) | instskip(NEXT) | instid1(VALU_DEP_1)
	v_add_f32_e32 v13, v13, v169
	v_add_f32_e32 v13, v13, v171
	s_delay_alu instid0(VALU_DEP_1) | instskip(NEXT) | instid1(VALU_DEP_1)
	v_add_f32_e32 v18, v13, v173
	v_dual_add_f32 v18, v18, v175 :: v_dual_add_f32 v1, v1, v14
	s_delay_alu instid0(VALU_DEP_1) | instskip(NEXT) | instid1(VALU_DEP_1)
	v_dual_add_f32 v18, v18, v177 :: v_dual_add_f32 v1, v1, v16
	v_dual_add_f32 v22, v18, v179 :: v_dual_add_f32 v1, v1, v17
	s_delay_alu instid0(VALU_DEP_1) | instskip(NEXT) | instid1(VALU_DEP_1)
	v_dual_add_f32 v22, v22, v181 :: v_dual_add_f32 v1, v1, v160
	v_add_f32_e32 v1, v1, v161
	s_delay_alu instid0(VALU_DEP_1) | instskip(NEXT) | instid1(VALU_DEP_1)
	v_add_f32_e32 v1, v1, v165
	v_add_f32_e32 v1, v1, v166
	s_delay_alu instid0(VALU_DEP_1)
	v_add_f32_e32 v6, v1, v168
	scratch_load_b128 v[1:4], off, off offset:416
	v_add_f32_e32 v22, v22, v183
	v_add_f32_e32 v14, v6, v170
	ds_load_b128 v[5:8], v21 offset:896
	v_add_f32_e32 v22, v22, v185
	v_add_f32_e32 v14, v14, v172
	s_delay_alu instid0(VALU_DEP_1)
	v_add_f32_e32 v17, v14, v174
	ds_load_b128 v[13:16], v21 offset:912
	s_wait_loadcnt_dscnt 0x201
	v_mul_f32_e32 v32, v5, v10
	v_dual_mul_f32 v10, v6, v10 :: v_dual_mul_f32 v155, v7, v12
	v_mul_f32_e32 v12, v8, v12
	s_delay_alu instid0(VALU_DEP_3) | instskip(NEXT) | instid1(VALU_DEP_3)
	v_fmac_f32_e32 v32, v6, v9
	v_fma_f32 v156, v5, v9, -v10
	s_delay_alu instid0(VALU_DEP_4) | instskip(NEXT) | instid1(VALU_DEP_4)
	v_fmac_f32_e32 v155, v8, v11
	v_fma_f32 v158, v7, v11, -v12
	s_clause 0x1
	scratch_load_b128 v[5:8], off, off offset:432
	scratch_load_b128 v[9:12], off, off offset:448
	s_wait_loadcnt_dscnt 0x200
	v_mul_f32_e32 v159, v13, v2
	v_mul_f32_e32 v2, v14, v2
	v_mul_f32_e32 v160, v15, v4
	v_mul_f32_e32 v4, v16, v4
	s_delay_alu instid0(VALU_DEP_3) | instskip(NEXT) | instid1(VALU_DEP_3)
	v_fma_f32 v161, v13, v1, -v2
	v_fmac_f32_e32 v160, v16, v3
	s_delay_alu instid0(VALU_DEP_3) | instskip(SKIP_2) | instid1(VALU_DEP_2)
	v_fma_f32 v162, v15, v3, -v4
	v_add_f32_e32 v13, v22, v187
	v_add_f32_e32 v17, v17, v176
	;; [unrolled: 1-line block ×3, first 2 shown]
	s_delay_alu instid0(VALU_DEP_2) | instskip(NEXT) | instid1(VALU_DEP_2)
	v_add_f32_e32 v17, v17, v178
	v_add_f32_e32 v29, v22, v191
	s_delay_alu instid0(VALU_DEP_1) | instskip(NEXT) | instid1(VALU_DEP_1)
	v_add_f32_e32 v164, v29, v193
	v_dual_add_f32 v32, v164, v32 :: v_dual_fmac_f32 v159, v14, v1
	ds_load_b128 v[1:4], v21 offset:928
	v_dual_add_f32 v17, v17, v180 :: v_dual_add_f32 v32, v32, v155
	s_delay_alu instid0(VALU_DEP_1) | instskip(SKIP_2) | instid1(VALU_DEP_1)
	v_add_f32_e32 v23, v17, v182
	scratch_load_b128 v[17:20], off, off offset:464
	v_add_f32_e32 v23, v23, v184
	v_add_f32_e32 v23, v23, v186
	s_delay_alu instid0(VALU_DEP_1) | instskip(NEXT) | instid1(VALU_DEP_1)
	v_add_f32_e32 v23, v23, v188
	v_add_f32_e32 v14, v23, v190
	ds_load_b128 v[22:25], v21 offset:960
	v_add_f32_e32 v28, v14, v192
	ds_load_b128 v[13:16], v21 offset:944
	v_add_f32_e32 v163, v28, v194
	ds_load_b64 v[28:29], v21 offset:976
	s_wait_loadcnt_dscnt 0x203
	v_mul_f32_e32 v155, v3, v8
	v_mul_f32_e32 v8, v4, v8
	v_add_f32_e32 v156, v163, v156
	s_delay_alu instid0(VALU_DEP_1) | instskip(NEXT) | instid1(VALU_DEP_1)
	v_add_f32_e32 v156, v156, v158
	v_add_f32_e32 v156, v156, v161
	s_wait_loadcnt_dscnt 0x101
	v_mul_f32_e32 v158, v13, v10
	v_dual_mul_f32 v163, v1, v6 :: v_dual_add_f32 v32, v32, v159
	v_mul_f32_e32 v6, v2, v6
	v_add_f32_e32 v156, v156, v162
	s_delay_alu instid0(VALU_DEP_4) | instskip(NEXT) | instid1(VALU_DEP_4)
	v_fmac_f32_e32 v158, v14, v9
	v_add_f32_e32 v32, v32, v160
	s_wait_dscnt 0x0
	v_mul_f32_e32 v160, v28, v27
	v_fma_f32 v1, v1, v5, -v6
	v_fmac_f32_e32 v155, v4, v7
	v_fmac_f32_e32 v163, v2, v5
	v_mul_f32_e32 v159, v15, v12
	v_fma_f32 v2, v3, v7, -v8
	v_dual_add_f32 v1, v156, v1 :: v_dual_fmac_f32 v160, v29, v26
	s_delay_alu instid0(VALU_DEP_4) | instskip(NEXT) | instid1(VALU_DEP_4)
	v_add_f32_e32 v4, v32, v163
	v_fmac_f32_e32 v159, v16, v11
	s_wait_loadcnt 0x0
	v_dual_mul_f32 v161, v22, v18 :: v_dual_mul_f32 v162, v24, v20
	v_mul_f32_e32 v3, v14, v10
	s_delay_alu instid0(VALU_DEP_2) | instskip(SKIP_1) | instid1(VALU_DEP_4)
	v_fmac_f32_e32 v161, v23, v17
	v_dual_add_f32 v1, v1, v2 :: v_dual_add_f32 v2, v4, v155
	v_fmac_f32_e32 v162, v25, v19
	s_delay_alu instid0(VALU_DEP_4) | instskip(SKIP_1) | instid1(VALU_DEP_4)
	v_fma_f32 v3, v13, v9, -v3
	v_mul_f32_e32 v4, v23, v18
	v_dual_add_f32 v2, v2, v158 :: v_dual_mul_f32 v5, v16, v12
	s_delay_alu instid0(VALU_DEP_2) | instskip(NEXT) | instid1(VALU_DEP_2)
	v_fma_f32 v4, v22, v17, -v4
	v_add_f32_e32 v2, v2, v159
	s_delay_alu instid0(VALU_DEP_3) | instskip(NEXT) | instid1(VALU_DEP_2)
	v_fma_f32 v5, v15, v11, -v5
	v_dual_add_f32 v2, v2, v161 :: v_dual_add_f32 v1, v1, v3
	s_delay_alu instid0(VALU_DEP_1) | instskip(NEXT) | instid1(VALU_DEP_1)
	v_dual_add_f32 v2, v2, v162 :: v_dual_add_f32 v1, v1, v5
	v_dual_mul_f32 v5, v29, v27 :: v_dual_add_f32 v2, v2, v160
	v_mul_f32_e32 v3, v25, v20
	s_delay_alu instid0(VALU_DEP_3) | instskip(NEXT) | instid1(VALU_DEP_3)
	v_add_f32_e32 v1, v1, v4
	v_fma_f32 v4, v28, v26, -v5
	s_delay_alu instid0(VALU_DEP_4) | instskip(NEXT) | instid1(VALU_DEP_4)
	v_sub_f32_e32 v2, v31, v2
	v_fma_f32 v3, v24, v19, -v3
	s_delay_alu instid0(VALU_DEP_1) | instskip(NEXT) | instid1(VALU_DEP_1)
	v_add_f32_e32 v1, v1, v3
	v_add_f32_e32 v1, v1, v4
	s_delay_alu instid0(VALU_DEP_1)
	v_sub_f32_e32 v1, v30, v1
	scratch_store_b64 off, v[1:2], off offset:168
	v_cmpx_lt_u32_e32 20, v0
	s_cbranch_execz .LBB124_339
; %bb.338:
	scratch_load_b64 v[1:2], off, off offset:160
	v_mov_b32_e32 v22, v21
	scratch_store_b64 off, v[21:22], off offset:160
	s_wait_loadcnt 0x0
	ds_store_b64 v157, v[1:2]
.LBB124_339:
	s_wait_alu 0xfffe
	s_or_b32 exec_lo, exec_lo, s0
	s_wait_storecnt_dscnt 0x0
	s_barrier_signal -1
	s_barrier_wait -1
	global_inv scope:SCOPE_SE
	s_clause 0x4
	scratch_load_b128 v[5:8], off, off offset:168
	scratch_load_b128 v[1:4], off, off offset:184
	scratch_load_b128 v[9:12], off, off offset:200
	scratch_load_b128 v[13:16], off, off offset:216
	scratch_load_b128 v[17:20], off, off offset:232
	ds_load_2addr_b64 v[22:25], v21 offset0:83 offset1:84
	ds_load_2addr_b64 v[26:29], v21 offset0:85 offset1:86
	;; [unrolled: 1-line block ×3, first 2 shown]
	scratch_load_b64 v[30:31], off, off offset:160
	s_mov_b32 s0, exec_lo
	s_wait_loadcnt_dscnt 0x502
	v_mul_f32_e32 v32, v23, v6
	v_dual_mul_f32 v155, v22, v6 :: v_dual_mul_f32 v156, v24, v8
	v_mul_f32_e32 v6, v25, v8
	s_wait_loadcnt_dscnt 0x300
	v_mul_f32_e32 v162, v160, v12
	s_delay_alu instid0(VALU_DEP_3)
	v_dual_mul_f32 v12, v161, v12 :: v_dual_fmac_f32 v155, v23, v5
	v_fmac_f32_e32 v156, v25, v7
	v_fma_f32 v23, v24, v7, -v6
	v_mul_f32_e32 v25, v28, v4
	v_fma_f32 v22, v22, v5, -v32
	ds_load_2addr_b64 v[5:8], v21 offset0:89 offset1:90
	v_mul_f32_e32 v24, v26, v2
	v_mul_f32_e32 v4, v29, v4
	;; [unrolled: 1-line block ×4, first 2 shown]
	v_dual_mul_f32 v2, v27, v2 :: v_dual_fmac_f32 v25, v29, v3
	v_fmac_f32_e32 v24, v27, v1
	v_fma_f32 v27, v28, v3, -v4
	v_fmac_f32_e32 v32, v159, v9
	v_fma_f32 v28, v158, v9, -v10
	;; [unrolled: 2-line block ×3, first 2 shown]
	ds_load_2addr_b64 v[9:12], v21 offset0:91 offset1:92
	s_wait_loadcnt_dscnt 0x201
	v_dual_mul_f32 v159, v7, v16 :: v_dual_mul_f32 v158, v5, v14
	v_mul_f32_e32 v14, v6, v14
	v_mul_f32_e32 v16, v8, v16
	s_delay_alu instid0(VALU_DEP_3)
	v_fmac_f32_e32 v159, v8, v15
	v_fma_f32 v26, v26, v1, -v2
	scratch_load_b128 v[1:4], off, off offset:248
	v_fmac_f32_e32 v158, v6, v13
	v_fma_f32 v13, v5, v13, -v14
	v_fma_f32 v14, v7, v15, -v16
	ds_load_2addr_b64 v[5:8], v21 offset0:93 offset1:94
	s_wait_loadcnt_dscnt 0x201
	v_mul_f32_e32 v15, v9, v18
	v_mul_f32_e32 v16, v10, v18
	;; [unrolled: 1-line block ×3, first 2 shown]
	s_delay_alu instid0(VALU_DEP_3) | instskip(NEXT) | instid1(VALU_DEP_3)
	v_dual_mul_f32 v20, v12, v20 :: v_dual_fmac_f32 v15, v10, v17
	v_fma_f32 v16, v9, v17, -v16
	s_delay_alu instid0(VALU_DEP_3) | instskip(NEXT) | instid1(VALU_DEP_3)
	v_fmac_f32_e32 v18, v12, v19
	v_fma_f32 v17, v11, v19, -v20
	scratch_load_b128 v[9:12], off, off offset:264
	s_wait_loadcnt_dscnt 0x100
	v_mul_f32_e32 v19, v5, v2
	v_mul_f32_e32 v2, v6, v2
	;; [unrolled: 1-line block ×3, first 2 shown]
	s_delay_alu instid0(VALU_DEP_3) | instskip(NEXT) | instid1(VALU_DEP_3)
	v_dual_mul_f32 v4, v8, v4 :: v_dual_fmac_f32 v19, v6, v1
	v_fma_f32 v160, v5, v1, -v2
	s_delay_alu instid0(VALU_DEP_3) | instskip(NEXT) | instid1(VALU_DEP_3)
	v_fmac_f32_e32 v20, v8, v3
	v_fma_f32 v161, v7, v3, -v4
	ds_load_2addr_b64 v[1:4], v21 offset0:95 offset1:96
	ds_load_2addr_b64 v[5:8], v21 offset0:97 offset1:98
	s_wait_loadcnt_dscnt 0x1
	v_mul_f32_e32 v163, v1, v10
	v_mul_f32_e32 v10, v2, v10
	s_delay_alu instid0(VALU_DEP_2) | instskip(NEXT) | instid1(VALU_DEP_2)
	v_dual_mul_f32 v164, v3, v12 :: v_dual_fmac_f32 v163, v2, v9
	v_fma_f32 v165, v1, v9, -v10
	v_mul_f32_e32 v1, v4, v12
	s_delay_alu instid0(VALU_DEP_3) | instskip(NEXT) | instid1(VALU_DEP_2)
	v_fmac_f32_e32 v164, v4, v11
	v_fma_f32 v166, v3, v11, -v1
	s_clause 0x1
	scratch_load_b128 v[1:4], off, off offset:280
	scratch_load_b128 v[9:12], off, off offset:296
	s_wait_loadcnt_dscnt 0x100
	v_mul_f32_e32 v167, v5, v2
	v_dual_mul_f32 v2, v6, v2 :: v_dual_mul_f32 v169, v7, v4
	s_delay_alu instid0(VALU_DEP_2) | instskip(NEXT) | instid1(VALU_DEP_2)
	v_fmac_f32_e32 v167, v6, v1
	v_fma_f32 v168, v5, v1, -v2
	v_mul_f32_e32 v1, v8, v4
	s_delay_alu instid0(VALU_DEP_4) | instskip(NEXT) | instid1(VALU_DEP_2)
	v_fmac_f32_e32 v169, v8, v3
	v_fma_f32 v170, v7, v3, -v1
	ds_load_2addr_b64 v[1:4], v21 offset0:99 offset1:100
	ds_load_2addr_b64 v[5:8], v21 offset0:101 offset1:102
	s_wait_loadcnt_dscnt 0x1
	v_mul_f32_e32 v171, v1, v10
	v_mul_f32_e32 v173, v3, v12
	s_delay_alu instid0(VALU_DEP_2) | instskip(NEXT) | instid1(VALU_DEP_2)
	v_fmac_f32_e32 v171, v2, v9
	v_dual_mul_f32 v2, v2, v10 :: v_dual_fmac_f32 v173, v4, v11
	s_delay_alu instid0(VALU_DEP_1) | instskip(SKIP_1) | instid1(VALU_DEP_1)
	v_fma_f32 v172, v1, v9, -v2
	v_mul_f32_e32 v1, v4, v12
	v_fma_f32 v174, v3, v11, -v1
	s_clause 0x1
	scratch_load_b128 v[1:4], off, off offset:312
	scratch_load_b128 v[9:12], off, off offset:328
	s_wait_loadcnt_dscnt 0x100
	v_mul_f32_e32 v175, v5, v2
	v_dual_mul_f32 v2, v6, v2 :: v_dual_mul_f32 v177, v7, v4
	s_delay_alu instid0(VALU_DEP_2) | instskip(NEXT) | instid1(VALU_DEP_2)
	v_fmac_f32_e32 v175, v6, v1
	v_fma_f32 v176, v5, v1, -v2
	v_mul_f32_e32 v1, v8, v4
	s_delay_alu instid0(VALU_DEP_4) | instskip(NEXT) | instid1(VALU_DEP_2)
	v_fmac_f32_e32 v177, v8, v3
	v_fma_f32 v178, v7, v3, -v1
	ds_load_2addr_b64 v[1:4], v21 offset0:103 offset1:104
	ds_load_2addr_b64 v[5:8], v21 offset0:105 offset1:106
	s_wait_loadcnt_dscnt 0x1
	v_mul_f32_e32 v179, v1, v10
	v_mul_f32_e32 v181, v3, v12
	s_delay_alu instid0(VALU_DEP_2) | instskip(NEXT) | instid1(VALU_DEP_2)
	v_fmac_f32_e32 v179, v2, v9
	v_dual_mul_f32 v2, v2, v10 :: v_dual_fmac_f32 v181, v4, v11
	s_delay_alu instid0(VALU_DEP_1) | instskip(SKIP_1) | instid1(VALU_DEP_1)
	v_fma_f32 v180, v1, v9, -v2
	v_mul_f32_e32 v1, v4, v12
	;; [unrolled: 25-line block ×4, first 2 shown]
	v_fma_f32 v198, v3, v11, -v1
	s_clause 0x1
	scratch_load_b128 v[1:4], off, off offset:408
	scratch_load_b128 v[9:12], off, off offset:424
	s_wait_loadcnt_dscnt 0x100
	v_mul_f32_e32 v199, v5, v2
	v_mul_f32_e32 v2, v6, v2
	s_delay_alu instid0(VALU_DEP_1) | instskip(SKIP_1) | instid1(VALU_DEP_1)
	v_fma_f32 v200, v5, v1, -v2
	v_add_f32_e32 v2, 0, v155
	v_add_f32_e32 v2, v2, v156
	s_delay_alu instid0(VALU_DEP_1) | instskip(NEXT) | instid1(VALU_DEP_1)
	v_add_f32_e32 v2, v2, v24
	v_add_f32_e32 v2, v2, v25
	s_delay_alu instid0(VALU_DEP_1) | instskip(NEXT) | instid1(VALU_DEP_1)
	;; [unrolled: 3-line block ×5, first 2 shown]
	v_add_f32_e32 v2, v2, v19
	v_add_f32_e32 v2, v2, v20
	v_mul_f32_e32 v201, v7, v4
	v_fmac_f32_e32 v199, v6, v1
	s_delay_alu instid0(VALU_DEP_3) | instskip(NEXT) | instid1(VALU_DEP_1)
	v_add_f32_e32 v2, v2, v163
	v_dual_fmac_f32 v201, v8, v3 :: v_dual_add_f32 v2, v2, v164
	s_delay_alu instid0(VALU_DEP_1) | instskip(NEXT) | instid1(VALU_DEP_1)
	v_dual_mul_f32 v1, v8, v4 :: v_dual_add_f32 v2, v2, v167
	v_fma_f32 v202, v7, v3, -v1
	s_delay_alu instid0(VALU_DEP_2) | instskip(NEXT) | instid1(VALU_DEP_1)
	v_dual_add_f32 v1, 0, v22 :: v_dual_add_f32 v2, v2, v169
	v_add_f32_e32 v1, v1, v23
	s_delay_alu instid0(VALU_DEP_2) | instskip(NEXT) | instid1(VALU_DEP_2)
	v_add_f32_e32 v5, v2, v171
	v_add_f32_e32 v1, v1, v26
	s_delay_alu instid0(VALU_DEP_2) | instskip(NEXT) | instid1(VALU_DEP_2)
	v_add_f32_e32 v5, v5, v173
	;; [unrolled: 3-line block ×3, first 2 shown]
	v_add_f32_e32 v1, v1, v28
	s_delay_alu instid0(VALU_DEP_1) | instskip(NEXT) | instid1(VALU_DEP_1)
	v_add_f32_e32 v1, v1, v29
	v_add_f32_e32 v1, v1, v13
	s_delay_alu instid0(VALU_DEP_1) | instskip(SKIP_1) | instid1(VALU_DEP_1)
	v_add_f32_e32 v1, v1, v14
	v_add_f32_e32 v14, v5, v177
	v_dual_add_f32 v1, v1, v16 :: v_dual_add_f32 v14, v14, v179
	s_delay_alu instid0(VALU_DEP_1) | instskip(NEXT) | instid1(VALU_DEP_1)
	v_add_f32_e32 v1, v1, v17
	v_dual_add_f32 v14, v14, v181 :: v_dual_add_f32 v1, v1, v160
	s_delay_alu instid0(VALU_DEP_1) | instskip(NEXT) | instid1(VALU_DEP_1)
	v_add_f32_e32 v1, v1, v161
	v_add_f32_e32 v1, v1, v165
	s_delay_alu instid0(VALU_DEP_1) | instskip(NEXT) | instid1(VALU_DEP_1)
	v_add_f32_e32 v1, v1, v166
	v_add_f32_e32 v1, v1, v168
	;; [unrolled: 3-line block ×3, first 2 shown]
	s_delay_alu instid0(VALU_DEP_1) | instskip(SKIP_2) | instid1(VALU_DEP_1)
	v_add_f32_e32 v6, v1, v174
	ds_load_2addr_b64 v[1:4], v21 offset0:115 offset1:116
	v_add_f32_e32 v17, v14, v183
	v_dual_add_f32 v6, v6, v176 :: v_dual_add_f32 v17, v17, v185
	s_delay_alu instid0(VALU_DEP_1) | instskip(SKIP_4) | instid1(VALU_DEP_2)
	v_add_f32_e32 v13, v6, v178
	ds_load_2addr_b64 v[5:8], v21 offset0:117 offset1:118
	s_wait_loadcnt_dscnt 0x1
	v_dual_mul_f32 v25, v1, v10 :: v_dual_mul_f32 v26, v3, v12
	v_mul_f32_e32 v10, v2, v10
	v_dual_mul_f32 v12, v4, v12 :: v_dual_fmac_f32 v25, v2, v9
	s_delay_alu instid0(VALU_DEP_3) | instskip(NEXT) | instid1(VALU_DEP_3)
	v_fmac_f32_e32 v26, v4, v11
	v_fma_f32 v27, v1, v9, -v10
	s_delay_alu instid0(VALU_DEP_3) | instskip(SKIP_4) | instid1(VALU_DEP_1)
	v_fma_f32 v28, v3, v11, -v12
	s_clause 0x1
	scratch_load_b128 v[1:4], off, off offset:440
	scratch_load_b128 v[9:12], off, off offset:456
	v_add_f32_e32 v13, v13, v180
	v_add_f32_e32 v13, v13, v182
	s_delay_alu instid0(VALU_DEP_1) | instskip(NEXT) | instid1(VALU_DEP_1)
	v_add_f32_e32 v13, v13, v184
	v_add_f32_e32 v18, v13, v186
	scratch_load_b128 v[13:16], off, off offset:472
	v_dual_add_f32 v17, v17, v187 :: v_dual_add_f32 v18, v18, v188
	s_delay_alu instid0(VALU_DEP_1) | instskip(NEXT) | instid1(VALU_DEP_1)
	v_dual_add_f32 v17, v17, v189 :: v_dual_add_f32 v18, v18, v190
	v_dual_add_f32 v23, v17, v191 :: v_dual_add_f32 v22, v18, v192
	ds_load_2addr_b64 v[17:20], v21 offset0:119 offset1:120
	v_add_f32_e32 v32, v23, v193
	s_delay_alu instid0(VALU_DEP_1) | instskip(NEXT) | instid1(VALU_DEP_1)
	v_add_f32_e32 v32, v32, v195
	v_add_f32_e32 v32, v32, v197
	s_delay_alu instid0(VALU_DEP_1) | instskip(SKIP_1) | instid1(VALU_DEP_1)
	v_add_f32_e32 v32, v32, v199
	s_wait_loadcnt_dscnt 0x201
	v_dual_add_f32 v32, v32, v201 :: v_dual_mul_f32 v155, v5, v2
	v_mul_f32_e32 v2, v6, v2
	v_mul_f32_e32 v156, v7, v4
	;; [unrolled: 1-line block ×3, first 2 shown]
	s_wait_loadcnt_dscnt 0x100
	v_dual_mul_f32 v158, v17, v10 :: v_dual_fmac_f32 v155, v6, v1
	v_add_f32_e32 v29, v22, v194
	ds_load_2addr_b64 v[21:24], v21 offset0:121 offset1:122
	v_fma_f32 v2, v5, v1, -v2
	v_mul_f32_e32 v6, v18, v10
	v_dual_fmac_f32 v156, v8, v3 :: v_dual_add_f32 v29, v29, v196
	v_fma_f32 v3, v7, v3, -v4
	v_mul_f32_e32 v159, v19, v12
	v_mul_f32_e32 v4, v20, v12
	s_delay_alu instid0(VALU_DEP_4) | instskip(NEXT) | instid1(VALU_DEP_3)
	v_dual_fmac_f32 v158, v18, v9 :: v_dual_add_f32 v29, v29, v198
	v_fmac_f32_e32 v159, v20, v11
	s_delay_alu instid0(VALU_DEP_3) | instskip(NEXT) | instid1(VALU_DEP_3)
	v_fma_f32 v4, v19, v11, -v4
	v_add_f32_e32 v29, v29, v200
	s_delay_alu instid0(VALU_DEP_1) | instskip(SKIP_2) | instid1(VALU_DEP_2)
	v_add_f32_e32 v29, v29, v202
	s_wait_loadcnt_dscnt 0x0
	v_dual_mul_f32 v160, v21, v14 :: v_dual_add_f32 v25, v32, v25
	v_add_f32_e32 v27, v29, v27
	v_mul_f32_e32 v29, v23, v16
	s_delay_alu instid0(VALU_DEP_3) | instskip(NEXT) | instid1(VALU_DEP_3)
	v_dual_add_f32 v5, v25, v26 :: v_dual_fmac_f32 v160, v22, v13
	v_add_f32_e32 v1, v27, v28
	s_delay_alu instid0(VALU_DEP_3) | instskip(NEXT) | instid1(VALU_DEP_2)
	v_fmac_f32_e32 v29, v24, v15
	v_add_f32_e32 v1, v1, v2
	s_delay_alu instid0(VALU_DEP_4) | instskip(SKIP_1) | instid1(VALU_DEP_2)
	v_add_f32_e32 v2, v5, v155
	v_fma_f32 v5, v17, v9, -v6
	v_dual_add_f32 v1, v1, v3 :: v_dual_add_f32 v2, v2, v156
	v_mul_f32_e32 v3, v22, v14
	s_delay_alu instid0(VALU_DEP_2) | instskip(SKIP_1) | instid1(VALU_DEP_3)
	v_dual_add_f32 v1, v1, v5 :: v_dual_add_f32 v2, v2, v158
	v_mul_f32_e32 v5, v24, v16
	v_fma_f32 v3, v21, v13, -v3
	s_delay_alu instid0(VALU_DEP_3) | instskip(NEXT) | instid1(VALU_DEP_3)
	v_dual_add_f32 v1, v1, v4 :: v_dual_add_f32 v2, v2, v159
	v_fma_f32 v4, v23, v15, -v5
	s_delay_alu instid0(VALU_DEP_2) | instskip(NEXT) | instid1(VALU_DEP_1)
	v_dual_add_f32 v1, v1, v3 :: v_dual_add_f32 v2, v2, v160
	v_dual_add_f32 v1, v1, v4 :: v_dual_add_f32 v2, v2, v29
	s_delay_alu instid0(VALU_DEP_1)
	v_dual_sub_f32 v1, v30, v1 :: v_dual_sub_f32 v2, v31, v2
	scratch_store_b64 off, v[1:2], off offset:160
	v_cmpx_lt_u32_e32 19, v0
	s_cbranch_execz .LBB124_341
; %bb.340:
	scratch_load_b64 v[1:2], off, off offset:152
	v_mov_b32_e32 v3, 0
	s_delay_alu instid0(VALU_DEP_1)
	v_mov_b32_e32 v4, v3
	scratch_store_b64 off, v[3:4], off offset:152
	s_wait_loadcnt 0x0
	ds_store_b64 v157, v[1:2]
.LBB124_341:
	s_wait_alu 0xfffe
	s_or_b32 exec_lo, exec_lo, s0
	s_wait_storecnt_dscnt 0x0
	s_barrier_signal -1
	s_barrier_wait -1
	global_inv scope:SCOPE_SE
	s_clause 0x4
	scratch_load_b128 v[5:8], off, off offset:160
	scratch_load_b128 v[1:4], off, off offset:176
	;; [unrolled: 1-line block ×5, first 2 shown]
	v_mov_b32_e32 v21, 0
	ds_load_b128 v[22:25], v21 offset:656
	ds_load_b128 v[26:29], v21 offset:672
	;; [unrolled: 1-line block ×3, first 2 shown]
	scratch_load_b64 v[30:31], off, off offset:152
	s_mov_b32 s0, exec_lo
	s_wait_loadcnt_dscnt 0x502
	v_mul_f32_e32 v32, v23, v6
	v_dual_mul_f32 v155, v22, v6 :: v_dual_mul_f32 v156, v24, v8
	v_mul_f32_e32 v6, v25, v8
	s_wait_loadcnt_dscnt 0x300
	v_mul_f32_e32 v162, v160, v12
	v_fma_f32 v22, v22, v5, -v32
	v_dual_fmac_f32 v155, v23, v5 :: v_dual_fmac_f32 v156, v25, v7
	v_mul_f32_e32 v25, v28, v4
	v_fma_f32 v23, v24, v7, -v6
	ds_load_b128 v[5:8], v21 offset:704
	v_mul_f32_e32 v24, v26, v2
	v_mul_f32_e32 v4, v29, v4
	;; [unrolled: 1-line block ×5, first 2 shown]
	v_dual_mul_f32 v2, v27, v2 :: v_dual_fmac_f32 v25, v29, v3
	v_fmac_f32_e32 v24, v27, v1
	v_fma_f32 v27, v28, v3, -v4
	v_fmac_f32_e32 v32, v159, v9
	v_fma_f32 v28, v158, v9, -v10
	;; [unrolled: 2-line block ×3, first 2 shown]
	ds_load_b128 v[9:12], v21 offset:720
	s_wait_loadcnt_dscnt 0x201
	v_dual_mul_f32 v159, v7, v16 :: v_dual_mul_f32 v158, v5, v14
	v_mul_f32_e32 v14, v6, v14
	v_mul_f32_e32 v16, v8, v16
	s_delay_alu instid0(VALU_DEP_3)
	v_fmac_f32_e32 v159, v8, v15
	v_fma_f32 v26, v26, v1, -v2
	scratch_load_b128 v[1:4], off, off offset:240
	v_fmac_f32_e32 v158, v6, v13
	v_fma_f32 v13, v5, v13, -v14
	v_fma_f32 v14, v7, v15, -v16
	ds_load_b128 v[5:8], v21 offset:736
	s_wait_loadcnt_dscnt 0x201
	v_mul_f32_e32 v15, v9, v18
	v_mul_f32_e32 v16, v10, v18
	v_mul_f32_e32 v18, v11, v20
	s_delay_alu instid0(VALU_DEP_3) | instskip(NEXT) | instid1(VALU_DEP_3)
	v_dual_mul_f32 v20, v12, v20 :: v_dual_fmac_f32 v15, v10, v17
	v_fma_f32 v16, v9, v17, -v16
	s_delay_alu instid0(VALU_DEP_3) | instskip(NEXT) | instid1(VALU_DEP_3)
	v_fmac_f32_e32 v18, v12, v19
	v_fma_f32 v17, v11, v19, -v20
	scratch_load_b128 v[9:12], off, off offset:256
	s_wait_loadcnt_dscnt 0x100
	v_mul_f32_e32 v19, v5, v2
	v_mul_f32_e32 v2, v6, v2
	;; [unrolled: 1-line block ×3, first 2 shown]
	s_delay_alu instid0(VALU_DEP_3) | instskip(NEXT) | instid1(VALU_DEP_3)
	v_dual_mul_f32 v4, v8, v4 :: v_dual_fmac_f32 v19, v6, v1
	v_fma_f32 v160, v5, v1, -v2
	s_delay_alu instid0(VALU_DEP_3) | instskip(NEXT) | instid1(VALU_DEP_3)
	v_fmac_f32_e32 v20, v8, v3
	v_fma_f32 v161, v7, v3, -v4
	ds_load_b128 v[1:4], v21 offset:752
	ds_load_b128 v[5:8], v21 offset:768
	s_wait_loadcnt_dscnt 0x1
	v_mul_f32_e32 v163, v1, v10
	v_mul_f32_e32 v10, v2, v10
	s_delay_alu instid0(VALU_DEP_2) | instskip(NEXT) | instid1(VALU_DEP_2)
	v_dual_mul_f32 v164, v3, v12 :: v_dual_fmac_f32 v163, v2, v9
	v_fma_f32 v165, v1, v9, -v10
	v_mul_f32_e32 v1, v4, v12
	s_delay_alu instid0(VALU_DEP_3) | instskip(NEXT) | instid1(VALU_DEP_2)
	v_fmac_f32_e32 v164, v4, v11
	v_fma_f32 v166, v3, v11, -v1
	s_clause 0x1
	scratch_load_b128 v[1:4], off, off offset:272
	scratch_load_b128 v[9:12], off, off offset:288
	s_wait_loadcnt_dscnt 0x100
	v_mul_f32_e32 v167, v5, v2
	v_dual_mul_f32 v2, v6, v2 :: v_dual_mul_f32 v169, v7, v4
	s_delay_alu instid0(VALU_DEP_2) | instskip(NEXT) | instid1(VALU_DEP_2)
	v_fmac_f32_e32 v167, v6, v1
	v_fma_f32 v168, v5, v1, -v2
	v_mul_f32_e32 v1, v8, v4
	s_delay_alu instid0(VALU_DEP_4) | instskip(NEXT) | instid1(VALU_DEP_2)
	v_fmac_f32_e32 v169, v8, v3
	v_fma_f32 v170, v7, v3, -v1
	ds_load_b128 v[1:4], v21 offset:784
	ds_load_b128 v[5:8], v21 offset:800
	s_wait_loadcnt_dscnt 0x1
	v_mul_f32_e32 v171, v1, v10
	v_mul_f32_e32 v173, v3, v12
	s_delay_alu instid0(VALU_DEP_2) | instskip(NEXT) | instid1(VALU_DEP_2)
	v_fmac_f32_e32 v171, v2, v9
	v_dual_mul_f32 v2, v2, v10 :: v_dual_fmac_f32 v173, v4, v11
	s_delay_alu instid0(VALU_DEP_1) | instskip(SKIP_1) | instid1(VALU_DEP_1)
	v_fma_f32 v172, v1, v9, -v2
	v_mul_f32_e32 v1, v4, v12
	v_fma_f32 v174, v3, v11, -v1
	s_clause 0x1
	scratch_load_b128 v[1:4], off, off offset:304
	scratch_load_b128 v[9:12], off, off offset:320
	s_wait_loadcnt_dscnt 0x100
	v_mul_f32_e32 v175, v5, v2
	v_dual_mul_f32 v2, v6, v2 :: v_dual_mul_f32 v177, v7, v4
	s_delay_alu instid0(VALU_DEP_2) | instskip(NEXT) | instid1(VALU_DEP_2)
	v_fmac_f32_e32 v175, v6, v1
	v_fma_f32 v176, v5, v1, -v2
	v_mul_f32_e32 v1, v8, v4
	s_delay_alu instid0(VALU_DEP_4) | instskip(NEXT) | instid1(VALU_DEP_2)
	v_fmac_f32_e32 v177, v8, v3
	v_fma_f32 v178, v7, v3, -v1
	ds_load_b128 v[1:4], v21 offset:816
	ds_load_b128 v[5:8], v21 offset:832
	s_wait_loadcnt_dscnt 0x1
	v_mul_f32_e32 v179, v1, v10
	v_mul_f32_e32 v181, v3, v12
	s_delay_alu instid0(VALU_DEP_2) | instskip(NEXT) | instid1(VALU_DEP_2)
	v_fmac_f32_e32 v179, v2, v9
	v_dual_mul_f32 v2, v2, v10 :: v_dual_fmac_f32 v181, v4, v11
	s_delay_alu instid0(VALU_DEP_1) | instskip(SKIP_1) | instid1(VALU_DEP_1)
	v_fma_f32 v180, v1, v9, -v2
	v_mul_f32_e32 v1, v4, v12
	;; [unrolled: 25-line block ×4, first 2 shown]
	v_fma_f32 v198, v3, v11, -v1
	s_clause 0x1
	scratch_load_b128 v[1:4], off, off offset:400
	scratch_load_b128 v[9:12], off, off offset:416
	s_wait_loadcnt_dscnt 0x100
	v_mul_f32_e32 v199, v5, v2
	v_mul_f32_e32 v2, v6, v2
	s_delay_alu instid0(VALU_DEP_1) | instskip(SKIP_1) | instid1(VALU_DEP_1)
	v_fma_f32 v200, v5, v1, -v2
	v_add_f32_e32 v2, 0, v155
	v_add_f32_e32 v2, v2, v156
	s_delay_alu instid0(VALU_DEP_1) | instskip(NEXT) | instid1(VALU_DEP_1)
	v_add_f32_e32 v2, v2, v24
	v_add_f32_e32 v2, v2, v25
	s_delay_alu instid0(VALU_DEP_1) | instskip(NEXT) | instid1(VALU_DEP_1)
	;; [unrolled: 3-line block ×5, first 2 shown]
	v_add_f32_e32 v2, v2, v19
	v_add_f32_e32 v2, v2, v20
	s_delay_alu instid0(VALU_DEP_1) | instskip(SKIP_1) | instid1(VALU_DEP_2)
	v_add_f32_e32 v2, v2, v163
	v_fmac_f32_e32 v199, v6, v1
	v_add_f32_e32 v2, v2, v164
	s_delay_alu instid0(VALU_DEP_1) | instskip(NEXT) | instid1(VALU_DEP_1)
	v_dual_mul_f32 v201, v7, v4 :: v_dual_add_f32 v2, v2, v167
	v_dual_fmac_f32 v201, v8, v3 :: v_dual_add_f32 v2, v2, v169
	s_delay_alu instid0(VALU_DEP_1) | instskip(NEXT) | instid1(VALU_DEP_1)
	v_add_f32_e32 v5, v2, v171
	v_add_f32_e32 v5, v5, v173
	s_delay_alu instid0(VALU_DEP_1) | instskip(SKIP_1) | instid1(VALU_DEP_1)
	v_add_f32_e32 v5, v5, v175
	v_mul_f32_e32 v1, v8, v4
	v_fma_f32 v202, v7, v3, -v1
	v_add_f32_e32 v1, 0, v22
	s_delay_alu instid0(VALU_DEP_1) | instskip(NEXT) | instid1(VALU_DEP_1)
	v_add_f32_e32 v1, v1, v23
	v_add_f32_e32 v1, v1, v26
	s_delay_alu instid0(VALU_DEP_1) | instskip(SKIP_2) | instid1(VALU_DEP_1)
	v_add_f32_e32 v1, v1, v27
	scratch_load_b64 v[26:27], off, off offset:480
	v_add_f32_e32 v1, v1, v28
	v_add_f32_e32 v1, v1, v29
	s_delay_alu instid0(VALU_DEP_1) | instskip(NEXT) | instid1(VALU_DEP_1)
	v_add_f32_e32 v1, v1, v13
	v_add_f32_e32 v1, v1, v14
	;; [unrolled: 1-line block ×3, first 2 shown]
	s_delay_alu instid0(VALU_DEP_1) | instskip(NEXT) | instid1(VALU_DEP_1)
	v_dual_add_f32 v1, v1, v16 :: v_dual_add_f32 v14, v14, v179
	v_add_f32_e32 v1, v1, v17
	s_delay_alu instid0(VALU_DEP_1) | instskip(NEXT) | instid1(VALU_DEP_1)
	v_dual_add_f32 v14, v14, v181 :: v_dual_add_f32 v1, v1, v160
	v_add_f32_e32 v1, v1, v161
	s_delay_alu instid0(VALU_DEP_1) | instskip(NEXT) | instid1(VALU_DEP_1)
	v_add_f32_e32 v1, v1, v165
	v_add_f32_e32 v1, v1, v166
	s_delay_alu instid0(VALU_DEP_1) | instskip(NEXT) | instid1(VALU_DEP_1)
	v_add_f32_e32 v1, v1, v168
	;; [unrolled: 3-line block ×3, first 2 shown]
	v_add_f32_e32 v6, v1, v174
	ds_load_b128 v[1:4], v21 offset:912
	v_add_f32_e32 v17, v14, v183
	v_add_f32_e32 v6, v6, v176
	s_delay_alu instid0(VALU_DEP_1)
	v_add_f32_e32 v13, v6, v178
	ds_load_b128 v[5:8], v21 offset:928
	s_wait_loadcnt_dscnt 0x101
	v_mul_f32_e32 v32, v1, v10
	v_dual_mul_f32 v10, v2, v10 :: v_dual_mul_f32 v155, v3, v12
	v_mul_f32_e32 v12, v4, v12
	s_delay_alu instid0(VALU_DEP_3) | instskip(NEXT) | instid1(VALU_DEP_3)
	v_fmac_f32_e32 v32, v2, v9
	v_fma_f32 v156, v1, v9, -v10
	s_delay_alu instid0(VALU_DEP_4) | instskip(NEXT) | instid1(VALU_DEP_4)
	v_fmac_f32_e32 v155, v4, v11
	v_fma_f32 v158, v3, v11, -v12
	s_clause 0x1
	scratch_load_b128 v[1:4], off, off offset:432
	scratch_load_b128 v[9:12], off, off offset:448
	s_wait_loadcnt_dscnt 0x100
	v_mul_f32_e32 v162, v7, v4
	v_add_f32_e32 v13, v13, v180
	v_mul_f32_e32 v161, v5, v2
	v_mul_f32_e32 v2, v6, v2
	;; [unrolled: 1-line block ×3, first 2 shown]
	s_delay_alu instid0(VALU_DEP_4) | instskip(NEXT) | instid1(VALU_DEP_4)
	v_dual_fmac_f32 v162, v8, v3 :: v_dual_add_f32 v13, v13, v182
	v_fmac_f32_e32 v161, v6, v1
	v_add_f32_e32 v17, v17, v185
	v_fma_f32 v2, v5, v1, -v2
	v_fma_f32 v1, v7, v3, -v4
	v_add_f32_e32 v13, v13, v184
	s_delay_alu instid0(VALU_DEP_4) | instskip(NEXT) | instid1(VALU_DEP_2)
	v_add_f32_e32 v17, v17, v187
	v_add_f32_e32 v18, v13, v186
	scratch_load_b128 v[13:16], off, off offset:464
	v_dual_add_f32 v17, v17, v189 :: v_dual_add_f32 v18, v18, v188
	s_delay_alu instid0(VALU_DEP_1) | instskip(NEXT) | instid1(VALU_DEP_1)
	v_dual_add_f32 v17, v17, v191 :: v_dual_add_f32 v18, v18, v190
	v_add_f32_e32 v22, v17, v193
	s_delay_alu instid0(VALU_DEP_2) | instskip(NEXT) | instid1(VALU_DEP_2)
	v_add_f32_e32 v18, v18, v192
	v_add_f32_e32 v29, v22, v195
	ds_load_b128 v[22:25], v21 offset:960
	v_add_f32_e32 v18, v18, v194
	v_add_f32_e32 v160, v29, v197
	s_delay_alu instid0(VALU_DEP_2)
	v_add_f32_e32 v28, v18, v196
	ds_load_b128 v[17:20], v21 offset:944
	v_add_f32_e32 v160, v160, v199
	v_add_f32_e32 v159, v28, v198
	ds_load_b64 v[28:29], v21 offset:976
	v_add_f32_e32 v160, v160, v201
	s_delay_alu instid0(VALU_DEP_1) | instskip(SKIP_1) | instid1(VALU_DEP_1)
	v_add_f32_e32 v32, v160, v32
	s_wait_loadcnt_dscnt 0x101
	v_dual_add_f32 v32, v32, v155 :: v_dual_mul_f32 v3, v18, v10
	s_delay_alu instid0(VALU_DEP_1) | instskip(SKIP_2) | instid1(VALU_DEP_4)
	v_add_f32_e32 v4, v32, v161
	v_mul_f32_e32 v160, v19, v12
	v_mul_f32_e32 v5, v20, v12
	v_fma_f32 v3, v17, v9, -v3
	s_wait_dscnt 0x0
	v_mul_f32_e32 v155, v28, v27
	v_fmac_f32_e32 v160, v20, v11
	v_fma_f32 v5, v19, v11, -v5
	s_delay_alu instid0(VALU_DEP_3) | instskip(SKIP_2) | instid1(VALU_DEP_1)
	v_fmac_f32_e32 v155, v29, v26
	s_wait_loadcnt 0x0
	v_mul_f32_e32 v163, v22, v14
	v_fmac_f32_e32 v163, v23, v13
	v_add_f32_e32 v159, v159, v200
	s_delay_alu instid0(VALU_DEP_1) | instskip(NEXT) | instid1(VALU_DEP_1)
	v_add_f32_e32 v159, v159, v202
	v_dual_add_f32 v156, v159, v156 :: v_dual_mul_f32 v159, v17, v10
	s_delay_alu instid0(VALU_DEP_1) | instskip(SKIP_1) | instid1(VALU_DEP_2)
	v_dual_add_f32 v156, v156, v158 :: v_dual_fmac_f32 v159, v18, v9
	v_mul_f32_e32 v158, v24, v16
	v_add_f32_e32 v2, v156, v2
	s_delay_alu instid0(VALU_DEP_1) | instskip(SKIP_1) | instid1(VALU_DEP_2)
	v_dual_fmac_f32 v158, v25, v15 :: v_dual_add_f32 v1, v2, v1
	v_add_f32_e32 v2, v4, v162
	v_dual_mul_f32 v4, v23, v14 :: v_dual_add_f32 v1, v1, v3
	s_delay_alu instid0(VALU_DEP_2) | instskip(NEXT) | instid1(VALU_DEP_2)
	v_dual_add_f32 v2, v2, v159 :: v_dual_mul_f32 v3, v25, v16
	v_fma_f32 v4, v22, v13, -v4
	s_delay_alu instid0(VALU_DEP_2) | instskip(SKIP_1) | instid1(VALU_DEP_4)
	v_dual_add_f32 v1, v1, v5 :: v_dual_add_f32 v2, v2, v160
	v_mul_f32_e32 v5, v29, v27
	v_fma_f32 v3, v24, v15, -v3
	s_delay_alu instid0(VALU_DEP_3) | instskip(NEXT) | instid1(VALU_DEP_3)
	v_dual_add_f32 v1, v1, v4 :: v_dual_add_f32 v2, v2, v163
	v_fma_f32 v4, v28, v26, -v5
	s_delay_alu instid0(VALU_DEP_2) | instskip(NEXT) | instid1(VALU_DEP_1)
	v_dual_add_f32 v1, v1, v3 :: v_dual_add_f32 v2, v2, v158
	v_dual_add_f32 v1, v1, v4 :: v_dual_add_f32 v2, v2, v155
	s_delay_alu instid0(VALU_DEP_1)
	v_dual_sub_f32 v1, v30, v1 :: v_dual_sub_f32 v2, v31, v2
	scratch_store_b64 off, v[1:2], off offset:152
	v_cmpx_lt_u32_e32 18, v0
	s_cbranch_execz .LBB124_343
; %bb.342:
	scratch_load_b64 v[1:2], off, off offset:144
	v_mov_b32_e32 v22, v21
	scratch_store_b64 off, v[21:22], off offset:144
	s_wait_loadcnt 0x0
	ds_store_b64 v157, v[1:2]
.LBB124_343:
	s_wait_alu 0xfffe
	s_or_b32 exec_lo, exec_lo, s0
	s_wait_storecnt_dscnt 0x0
	s_barrier_signal -1
	s_barrier_wait -1
	global_inv scope:SCOPE_SE
	s_clause 0x4
	scratch_load_b128 v[5:8], off, off offset:152
	scratch_load_b128 v[1:4], off, off offset:168
	;; [unrolled: 1-line block ×5, first 2 shown]
	ds_load_2addr_b64 v[22:25], v21 offset0:81 offset1:82
	ds_load_2addr_b64 v[26:29], v21 offset0:83 offset1:84
	ds_load_2addr_b64 v[158:161], v21 offset0:85 offset1:86
	scratch_load_b64 v[30:31], off, off offset:144
	s_mov_b32 s0, exec_lo
	s_wait_loadcnt_dscnt 0x502
	v_mul_f32_e32 v32, v23, v6
	v_dual_mul_f32 v155, v22, v6 :: v_dual_mul_f32 v156, v24, v8
	v_mul_f32_e32 v6, v25, v8
	s_wait_loadcnt_dscnt 0x300
	v_mul_f32_e32 v162, v160, v12
	s_delay_alu instid0(VALU_DEP_3)
	v_dual_mul_f32 v12, v161, v12 :: v_dual_fmac_f32 v155, v23, v5
	v_fmac_f32_e32 v156, v25, v7
	v_fma_f32 v23, v24, v7, -v6
	v_mul_f32_e32 v25, v28, v4
	v_fma_f32 v22, v22, v5, -v32
	ds_load_2addr_b64 v[5:8], v21 offset0:87 offset1:88
	v_mul_f32_e32 v24, v26, v2
	v_mul_f32_e32 v4, v29, v4
	;; [unrolled: 1-line block ×4, first 2 shown]
	v_dual_mul_f32 v2, v27, v2 :: v_dual_fmac_f32 v25, v29, v3
	v_fmac_f32_e32 v24, v27, v1
	v_fma_f32 v27, v28, v3, -v4
	v_fmac_f32_e32 v32, v159, v9
	v_fma_f32 v28, v158, v9, -v10
	;; [unrolled: 2-line block ×3, first 2 shown]
	ds_load_2addr_b64 v[9:12], v21 offset0:89 offset1:90
	s_wait_loadcnt_dscnt 0x201
	v_dual_mul_f32 v159, v7, v16 :: v_dual_mul_f32 v158, v5, v14
	v_mul_f32_e32 v14, v6, v14
	v_mul_f32_e32 v16, v8, v16
	s_delay_alu instid0(VALU_DEP_3)
	v_fmac_f32_e32 v159, v8, v15
	v_fma_f32 v26, v26, v1, -v2
	scratch_load_b128 v[1:4], off, off offset:232
	v_fmac_f32_e32 v158, v6, v13
	v_fma_f32 v13, v5, v13, -v14
	v_fma_f32 v14, v7, v15, -v16
	ds_load_2addr_b64 v[5:8], v21 offset0:91 offset1:92
	s_wait_loadcnt_dscnt 0x201
	v_mul_f32_e32 v15, v9, v18
	v_mul_f32_e32 v16, v10, v18
	;; [unrolled: 1-line block ×3, first 2 shown]
	s_delay_alu instid0(VALU_DEP_3) | instskip(NEXT) | instid1(VALU_DEP_3)
	v_dual_mul_f32 v20, v12, v20 :: v_dual_fmac_f32 v15, v10, v17
	v_fma_f32 v16, v9, v17, -v16
	s_delay_alu instid0(VALU_DEP_3) | instskip(NEXT) | instid1(VALU_DEP_3)
	v_fmac_f32_e32 v18, v12, v19
	v_fma_f32 v17, v11, v19, -v20
	scratch_load_b128 v[9:12], off, off offset:248
	s_wait_loadcnt_dscnt 0x100
	v_mul_f32_e32 v19, v5, v2
	v_mul_f32_e32 v2, v6, v2
	;; [unrolled: 1-line block ×3, first 2 shown]
	s_delay_alu instid0(VALU_DEP_3) | instskip(NEXT) | instid1(VALU_DEP_3)
	v_dual_mul_f32 v4, v8, v4 :: v_dual_fmac_f32 v19, v6, v1
	v_fma_f32 v160, v5, v1, -v2
	s_delay_alu instid0(VALU_DEP_3) | instskip(NEXT) | instid1(VALU_DEP_3)
	v_fmac_f32_e32 v20, v8, v3
	v_fma_f32 v161, v7, v3, -v4
	ds_load_2addr_b64 v[1:4], v21 offset0:93 offset1:94
	ds_load_2addr_b64 v[5:8], v21 offset0:95 offset1:96
	s_wait_loadcnt_dscnt 0x1
	v_mul_f32_e32 v163, v1, v10
	v_mul_f32_e32 v10, v2, v10
	s_delay_alu instid0(VALU_DEP_2) | instskip(NEXT) | instid1(VALU_DEP_2)
	v_dual_mul_f32 v164, v3, v12 :: v_dual_fmac_f32 v163, v2, v9
	v_fma_f32 v165, v1, v9, -v10
	v_mul_f32_e32 v1, v4, v12
	s_delay_alu instid0(VALU_DEP_3) | instskip(NEXT) | instid1(VALU_DEP_2)
	v_fmac_f32_e32 v164, v4, v11
	v_fma_f32 v166, v3, v11, -v1
	s_clause 0x1
	scratch_load_b128 v[1:4], off, off offset:264
	scratch_load_b128 v[9:12], off, off offset:280
	s_wait_loadcnt_dscnt 0x100
	v_mul_f32_e32 v167, v5, v2
	v_dual_mul_f32 v2, v6, v2 :: v_dual_mul_f32 v169, v7, v4
	s_delay_alu instid0(VALU_DEP_2) | instskip(NEXT) | instid1(VALU_DEP_2)
	v_fmac_f32_e32 v167, v6, v1
	v_fma_f32 v168, v5, v1, -v2
	v_mul_f32_e32 v1, v8, v4
	s_delay_alu instid0(VALU_DEP_4) | instskip(NEXT) | instid1(VALU_DEP_2)
	v_fmac_f32_e32 v169, v8, v3
	v_fma_f32 v170, v7, v3, -v1
	ds_load_2addr_b64 v[1:4], v21 offset0:97 offset1:98
	ds_load_2addr_b64 v[5:8], v21 offset0:99 offset1:100
	s_wait_loadcnt_dscnt 0x1
	v_mul_f32_e32 v171, v1, v10
	v_mul_f32_e32 v173, v3, v12
	s_delay_alu instid0(VALU_DEP_2) | instskip(NEXT) | instid1(VALU_DEP_2)
	v_fmac_f32_e32 v171, v2, v9
	v_dual_mul_f32 v2, v2, v10 :: v_dual_fmac_f32 v173, v4, v11
	s_delay_alu instid0(VALU_DEP_1) | instskip(SKIP_1) | instid1(VALU_DEP_1)
	v_fma_f32 v172, v1, v9, -v2
	v_mul_f32_e32 v1, v4, v12
	v_fma_f32 v174, v3, v11, -v1
	s_clause 0x1
	scratch_load_b128 v[1:4], off, off offset:296
	scratch_load_b128 v[9:12], off, off offset:312
	s_wait_loadcnt_dscnt 0x100
	v_mul_f32_e32 v175, v5, v2
	v_dual_mul_f32 v2, v6, v2 :: v_dual_mul_f32 v177, v7, v4
	s_delay_alu instid0(VALU_DEP_2) | instskip(NEXT) | instid1(VALU_DEP_2)
	v_fmac_f32_e32 v175, v6, v1
	v_fma_f32 v176, v5, v1, -v2
	v_mul_f32_e32 v1, v8, v4
	s_delay_alu instid0(VALU_DEP_4) | instskip(NEXT) | instid1(VALU_DEP_2)
	v_fmac_f32_e32 v177, v8, v3
	v_fma_f32 v178, v7, v3, -v1
	ds_load_2addr_b64 v[1:4], v21 offset0:101 offset1:102
	ds_load_2addr_b64 v[5:8], v21 offset0:103 offset1:104
	s_wait_loadcnt_dscnt 0x1
	v_mul_f32_e32 v179, v1, v10
	v_mul_f32_e32 v181, v3, v12
	s_delay_alu instid0(VALU_DEP_2) | instskip(NEXT) | instid1(VALU_DEP_2)
	v_fmac_f32_e32 v179, v2, v9
	v_dual_mul_f32 v2, v2, v10 :: v_dual_fmac_f32 v181, v4, v11
	s_delay_alu instid0(VALU_DEP_1) | instskip(SKIP_1) | instid1(VALU_DEP_1)
	v_fma_f32 v180, v1, v9, -v2
	v_mul_f32_e32 v1, v4, v12
	;; [unrolled: 25-line block ×4, first 2 shown]
	v_fma_f32 v198, v3, v11, -v1
	s_clause 0x1
	scratch_load_b128 v[1:4], off, off offset:392
	scratch_load_b128 v[9:12], off, off offset:408
	s_wait_loadcnt_dscnt 0x100
	v_mul_f32_e32 v199, v5, v2
	v_mul_f32_e32 v2, v6, v2
	s_delay_alu instid0(VALU_DEP_1) | instskip(SKIP_1) | instid1(VALU_DEP_1)
	v_fma_f32 v200, v5, v1, -v2
	v_add_f32_e32 v2, 0, v155
	v_add_f32_e32 v2, v2, v156
	s_delay_alu instid0(VALU_DEP_1) | instskip(NEXT) | instid1(VALU_DEP_1)
	v_add_f32_e32 v2, v2, v24
	v_add_f32_e32 v2, v2, v25
	s_delay_alu instid0(VALU_DEP_1) | instskip(NEXT) | instid1(VALU_DEP_1)
	;; [unrolled: 3-line block ×5, first 2 shown]
	v_add_f32_e32 v2, v2, v19
	v_add_f32_e32 v2, v2, v20
	v_mul_f32_e32 v201, v7, v4
	v_fmac_f32_e32 v199, v6, v1
	s_delay_alu instid0(VALU_DEP_3) | instskip(NEXT) | instid1(VALU_DEP_1)
	v_add_f32_e32 v2, v2, v163
	v_dual_fmac_f32 v201, v8, v3 :: v_dual_add_f32 v2, v2, v164
	s_delay_alu instid0(VALU_DEP_1) | instskip(NEXT) | instid1(VALU_DEP_1)
	v_dual_mul_f32 v1, v8, v4 :: v_dual_add_f32 v2, v2, v167
	v_fma_f32 v202, v7, v3, -v1
	s_delay_alu instid0(VALU_DEP_2) | instskip(NEXT) | instid1(VALU_DEP_1)
	v_dual_add_f32 v1, 0, v22 :: v_dual_add_f32 v2, v2, v169
	v_add_f32_e32 v1, v1, v23
	s_delay_alu instid0(VALU_DEP_1) | instskip(NEXT) | instid1(VALU_DEP_1)
	v_dual_add_f32 v2, v2, v171 :: v_dual_add_f32 v1, v1, v26
	v_add_f32_e32 v5, v2, v173
	s_delay_alu instid0(VALU_DEP_2) | instskip(NEXT) | instid1(VALU_DEP_1)
	v_add_f32_e32 v1, v1, v27
	v_add_f32_e32 v1, v1, v28
	s_delay_alu instid0(VALU_DEP_1) | instskip(NEXT) | instid1(VALU_DEP_1)
	v_add_f32_e32 v1, v1, v29
	v_add_f32_e32 v1, v1, v13
	v_add_f32_e32 v13, v5, v175
	s_delay_alu instid0(VALU_DEP_2) | instskip(NEXT) | instid1(VALU_DEP_2)
	v_add_f32_e32 v1, v1, v14
	v_add_f32_e32 v13, v13, v177
	s_delay_alu instid0(VALU_DEP_2) | instskip(NEXT) | instid1(VALU_DEP_2)
	v_add_f32_e32 v1, v1, v16
	v_add_f32_e32 v13, v13, v179
	;; [unrolled: 3-line block ×3, first 2 shown]
	s_delay_alu instid0(VALU_DEP_2) | instskip(NEXT) | instid1(VALU_DEP_1)
	v_add_f32_e32 v1, v1, v160
	v_add_f32_e32 v1, v1, v161
	s_delay_alu instid0(VALU_DEP_1) | instskip(NEXT) | instid1(VALU_DEP_1)
	v_add_f32_e32 v1, v1, v165
	v_add_f32_e32 v1, v1, v166
	s_delay_alu instid0(VALU_DEP_1) | instskip(NEXT) | instid1(VALU_DEP_1)
	;; [unrolled: 3-line block ×3, first 2 shown]
	v_add_f32_e32 v1, v1, v172
	v_add_f32_e32 v1, v1, v174
	s_delay_alu instid0(VALU_DEP_1)
	v_add_f32_e32 v6, v1, v176
	ds_load_2addr_b64 v[1:4], v21 offset0:113 offset1:114
	v_add_f32_e32 v18, v18, v183
	v_add_f32_e32 v14, v6, v178
	scratch_load_b128 v[5:8], off, off offset:424
	v_add_f32_e32 v18, v18, v185
	v_add_f32_e32 v14, v14, v180
	s_delay_alu instid0(VALU_DEP_1)
	v_add_f32_e32 v17, v14, v182
	ds_load_2addr_b64 v[13:16], v21 offset0:115 offset1:116
	s_wait_loadcnt_dscnt 0x101
	v_mul_f32_e32 v25, v1, v10
	v_mul_f32_e32 v10, v2, v10
	;; [unrolled: 1-line block ×4, first 2 shown]
	v_add_f32_e32 v22, v18, v187
	v_fmac_f32_e32 v25, v2, v9
	v_fma_f32 v27, v1, v9, -v10
	v_fmac_f32_e32 v26, v4, v11
	v_fma_f32 v28, v3, v11, -v12
	s_clause 0x1
	scratch_load_b128 v[1:4], off, off offset:440
	scratch_load_b128 v[9:12], off, off offset:456
	v_add_f32_e32 v22, v22, v189
	s_wait_loadcnt_dscnt 0x200
	s_delay_alu instid0(VALU_DEP_1) | instskip(SKIP_2) | instid1(VALU_DEP_3)
	v_dual_add_f32 v22, v22, v191 :: v_dual_mul_f32 v29, v13, v6
	v_mul_f32_e32 v6, v14, v6
	v_mul_f32_e32 v32, v15, v8
	v_dual_mul_f32 v8, v16, v8 :: v_dual_fmac_f32 v29, v14, v5
	s_delay_alu instid0(VALU_DEP_3) | instskip(NEXT) | instid1(VALU_DEP_3)
	v_fma_f32 v155, v13, v5, -v6
	v_fmac_f32_e32 v32, v16, v7
	s_delay_alu instid0(VALU_DEP_3) | instskip(SKIP_3) | instid1(VALU_DEP_2)
	v_fma_f32 v156, v15, v7, -v8
	ds_load_2addr_b64 v[5:8], v21 offset0:117 offset1:118
	v_add_f32_e32 v17, v17, v184
	v_add_f32_e32 v13, v22, v193
	;; [unrolled: 1-line block ×3, first 2 shown]
	s_delay_alu instid0(VALU_DEP_1) | instskip(NEXT) | instid1(VALU_DEP_1)
	v_add_f32_e32 v17, v17, v188
	v_add_f32_e32 v23, v17, v190
	scratch_load_b128 v[17:20], off, off offset:472
	v_add_f32_e32 v23, v23, v192
	s_delay_alu instid0(VALU_DEP_1) | instskip(NEXT) | instid1(VALU_DEP_1)
	v_add_f32_e32 v23, v23, v194
	v_dual_add_f32 v22, v23, v196 :: v_dual_add_f32 v23, v13, v195
	ds_load_2addr_b64 v[13:16], v21 offset0:119 offset1:120
	s_wait_loadcnt_dscnt 0x201
	v_mul_f32_e32 v160, v5, v2
	v_mul_f32_e32 v2, v6, v2
	v_dual_add_f32 v158, v22, v198 :: v_dual_add_f32 v159, v23, v197
	ds_load_2addr_b64 v[21:24], v21 offset0:121 offset1:122
	v_fmac_f32_e32 v160, v6, v1
	v_fma_f32 v2, v5, v1, -v2
	v_add_f32_e32 v158, v158, v200
	s_delay_alu instid0(VALU_DEP_1) | instskip(NEXT) | instid1(VALU_DEP_1)
	v_add_f32_e32 v158, v158, v202
	v_dual_add_f32 v27, v158, v27 :: v_dual_mul_f32 v158, v7, v4
	v_mul_f32_e32 v4, v8, v4
	s_wait_loadcnt_dscnt 0x101
	v_dual_mul_f32 v6, v14, v10 :: v_dual_mul_f32 v161, v15, v12
	s_delay_alu instid0(VALU_DEP_3) | instskip(NEXT) | instid1(VALU_DEP_3)
	v_dual_add_f32 v27, v27, v28 :: v_dual_fmac_f32 v158, v8, v3
	v_fma_f32 v3, v7, v3, -v4
	v_mul_f32_e32 v4, v16, v12
	s_delay_alu instid0(VALU_DEP_4) | instskip(NEXT) | instid1(VALU_DEP_4)
	v_fmac_f32_e32 v161, v16, v11
	v_add_f32_e32 v27, v27, v155
	s_delay_alu instid0(VALU_DEP_3) | instskip(NEXT) | instid1(VALU_DEP_2)
	v_fma_f32 v4, v15, v11, -v4
	v_add_f32_e32 v1, v27, v156
	s_delay_alu instid0(VALU_DEP_1) | instskip(SKIP_1) | instid1(VALU_DEP_1)
	v_add_f32_e32 v1, v1, v2
	s_wait_loadcnt_dscnt 0x0
	v_dual_add_f32 v1, v1, v3 :: v_dual_mul_f32 v28, v23, v20
	s_delay_alu instid0(VALU_DEP_1) | instskip(SKIP_1) | instid1(VALU_DEP_2)
	v_dual_mul_f32 v3, v22, v18 :: v_dual_fmac_f32 v28, v24, v19
	v_add_f32_e32 v159, v159, v199
	v_fma_f32 v3, v21, v17, -v3
	s_delay_alu instid0(VALU_DEP_2) | instskip(NEXT) | instid1(VALU_DEP_1)
	v_add_f32_e32 v159, v159, v201
	v_add_f32_e32 v25, v159, v25
	v_mul_f32_e32 v159, v13, v10
	s_delay_alu instid0(VALU_DEP_2) | instskip(NEXT) | instid1(VALU_DEP_2)
	v_add_f32_e32 v25, v25, v26
	v_dual_fmac_f32 v159, v14, v9 :: v_dual_mul_f32 v26, v21, v18
	s_delay_alu instid0(VALU_DEP_2) | instskip(NEXT) | instid1(VALU_DEP_1)
	v_add_f32_e32 v25, v25, v29
	v_dual_fmac_f32 v26, v22, v17 :: v_dual_add_f32 v5, v25, v32
	s_delay_alu instid0(VALU_DEP_1) | instskip(SKIP_1) | instid1(VALU_DEP_1)
	v_add_f32_e32 v2, v5, v160
	v_fma_f32 v5, v13, v9, -v6
	v_dual_add_f32 v2, v2, v158 :: v_dual_add_f32 v1, v1, v5
	s_delay_alu instid0(VALU_DEP_1) | instskip(NEXT) | instid1(VALU_DEP_2)
	v_dual_mul_f32 v5, v24, v20 :: v_dual_add_f32 v2, v2, v159
	v_add_f32_e32 v1, v1, v4
	s_delay_alu instid0(VALU_DEP_2) | instskip(NEXT) | instid1(VALU_DEP_2)
	v_fma_f32 v4, v23, v19, -v5
	v_dual_add_f32 v2, v2, v161 :: v_dual_add_f32 v1, v1, v3
	s_delay_alu instid0(VALU_DEP_1) | instskip(NEXT) | instid1(VALU_DEP_1)
	v_dual_add_f32 v2, v2, v26 :: v_dual_add_f32 v1, v1, v4
	v_add_f32_e32 v2, v2, v28
	s_delay_alu instid0(VALU_DEP_1)
	v_dual_sub_f32 v1, v30, v1 :: v_dual_sub_f32 v2, v31, v2
	scratch_store_b64 off, v[1:2], off offset:144
	v_cmpx_lt_u32_e32 17, v0
	s_cbranch_execz .LBB124_345
; %bb.344:
	scratch_load_b64 v[1:2], off, off offset:136
	v_mov_b32_e32 v3, 0
	s_delay_alu instid0(VALU_DEP_1)
	v_mov_b32_e32 v4, v3
	scratch_store_b64 off, v[3:4], off offset:136
	s_wait_loadcnt 0x0
	ds_store_b64 v157, v[1:2]
.LBB124_345:
	s_wait_alu 0xfffe
	s_or_b32 exec_lo, exec_lo, s0
	s_wait_storecnt_dscnt 0x0
	s_barrier_signal -1
	s_barrier_wait -1
	global_inv scope:SCOPE_SE
	s_clause 0x4
	scratch_load_b128 v[5:8], off, off offset:144
	scratch_load_b128 v[1:4], off, off offset:160
	;; [unrolled: 1-line block ×5, first 2 shown]
	v_mov_b32_e32 v21, 0
	ds_load_b128 v[22:25], v21 offset:640
	ds_load_b128 v[26:29], v21 offset:656
	;; [unrolled: 1-line block ×3, first 2 shown]
	scratch_load_b64 v[30:31], off, off offset:136
	s_mov_b32 s0, exec_lo
	s_wait_loadcnt_dscnt 0x502
	v_mul_f32_e32 v32, v23, v6
	v_dual_mul_f32 v155, v22, v6 :: v_dual_mul_f32 v156, v24, v8
	v_mul_f32_e32 v6, v25, v8
	s_wait_loadcnt_dscnt 0x300
	v_mul_f32_e32 v162, v160, v12
	v_fma_f32 v22, v22, v5, -v32
	v_dual_fmac_f32 v155, v23, v5 :: v_dual_fmac_f32 v156, v25, v7
	v_mul_f32_e32 v25, v28, v4
	v_fma_f32 v23, v24, v7, -v6
	ds_load_b128 v[5:8], v21 offset:688
	v_mul_f32_e32 v24, v26, v2
	v_mul_f32_e32 v4, v29, v4
	v_mul_f32_e32 v32, v158, v10
	v_mul_f32_e32 v10, v159, v10
	v_mul_f32_e32 v12, v161, v12
	v_dual_mul_f32 v2, v27, v2 :: v_dual_fmac_f32 v25, v29, v3
	v_fmac_f32_e32 v24, v27, v1
	v_fma_f32 v27, v28, v3, -v4
	v_fmac_f32_e32 v32, v159, v9
	v_fma_f32 v28, v158, v9, -v10
	v_fmac_f32_e32 v162, v161, v11
	v_fma_f32 v29, v160, v11, -v12
	ds_load_b128 v[9:12], v21 offset:704
	s_wait_loadcnt_dscnt 0x201
	v_dual_mul_f32 v159, v7, v16 :: v_dual_mul_f32 v158, v5, v14
	v_mul_f32_e32 v14, v6, v14
	v_mul_f32_e32 v16, v8, v16
	s_delay_alu instid0(VALU_DEP_3)
	v_fmac_f32_e32 v159, v8, v15
	v_fma_f32 v26, v26, v1, -v2
	scratch_load_b128 v[1:4], off, off offset:224
	v_fmac_f32_e32 v158, v6, v13
	v_fma_f32 v13, v5, v13, -v14
	v_fma_f32 v14, v7, v15, -v16
	ds_load_b128 v[5:8], v21 offset:720
	s_wait_loadcnt_dscnt 0x201
	v_mul_f32_e32 v15, v9, v18
	v_mul_f32_e32 v16, v10, v18
	;; [unrolled: 1-line block ×3, first 2 shown]
	s_delay_alu instid0(VALU_DEP_3) | instskip(NEXT) | instid1(VALU_DEP_3)
	v_dual_mul_f32 v20, v12, v20 :: v_dual_fmac_f32 v15, v10, v17
	v_fma_f32 v16, v9, v17, -v16
	s_delay_alu instid0(VALU_DEP_3) | instskip(NEXT) | instid1(VALU_DEP_3)
	v_fmac_f32_e32 v18, v12, v19
	v_fma_f32 v17, v11, v19, -v20
	scratch_load_b128 v[9:12], off, off offset:240
	s_wait_loadcnt_dscnt 0x100
	v_mul_f32_e32 v19, v5, v2
	v_mul_f32_e32 v2, v6, v2
	;; [unrolled: 1-line block ×3, first 2 shown]
	s_delay_alu instid0(VALU_DEP_3) | instskip(NEXT) | instid1(VALU_DEP_3)
	v_dual_mul_f32 v4, v8, v4 :: v_dual_fmac_f32 v19, v6, v1
	v_fma_f32 v160, v5, v1, -v2
	s_delay_alu instid0(VALU_DEP_3) | instskip(NEXT) | instid1(VALU_DEP_3)
	v_fmac_f32_e32 v20, v8, v3
	v_fma_f32 v161, v7, v3, -v4
	ds_load_b128 v[1:4], v21 offset:736
	ds_load_b128 v[5:8], v21 offset:752
	s_wait_loadcnt_dscnt 0x1
	v_mul_f32_e32 v163, v1, v10
	v_mul_f32_e32 v10, v2, v10
	s_delay_alu instid0(VALU_DEP_2) | instskip(NEXT) | instid1(VALU_DEP_2)
	v_dual_mul_f32 v164, v3, v12 :: v_dual_fmac_f32 v163, v2, v9
	v_fma_f32 v165, v1, v9, -v10
	v_mul_f32_e32 v1, v4, v12
	s_delay_alu instid0(VALU_DEP_3) | instskip(NEXT) | instid1(VALU_DEP_2)
	v_fmac_f32_e32 v164, v4, v11
	v_fma_f32 v166, v3, v11, -v1
	s_clause 0x1
	scratch_load_b128 v[1:4], off, off offset:256
	scratch_load_b128 v[9:12], off, off offset:272
	s_wait_loadcnt_dscnt 0x100
	v_mul_f32_e32 v167, v5, v2
	v_dual_mul_f32 v2, v6, v2 :: v_dual_mul_f32 v169, v7, v4
	s_delay_alu instid0(VALU_DEP_2) | instskip(NEXT) | instid1(VALU_DEP_2)
	v_fmac_f32_e32 v167, v6, v1
	v_fma_f32 v168, v5, v1, -v2
	v_mul_f32_e32 v1, v8, v4
	s_delay_alu instid0(VALU_DEP_4) | instskip(NEXT) | instid1(VALU_DEP_2)
	v_fmac_f32_e32 v169, v8, v3
	v_fma_f32 v170, v7, v3, -v1
	ds_load_b128 v[1:4], v21 offset:768
	ds_load_b128 v[5:8], v21 offset:784
	s_wait_loadcnt_dscnt 0x1
	v_mul_f32_e32 v171, v1, v10
	v_mul_f32_e32 v173, v3, v12
	s_delay_alu instid0(VALU_DEP_2) | instskip(NEXT) | instid1(VALU_DEP_2)
	v_fmac_f32_e32 v171, v2, v9
	v_dual_mul_f32 v2, v2, v10 :: v_dual_fmac_f32 v173, v4, v11
	s_delay_alu instid0(VALU_DEP_1) | instskip(SKIP_1) | instid1(VALU_DEP_1)
	v_fma_f32 v172, v1, v9, -v2
	v_mul_f32_e32 v1, v4, v12
	v_fma_f32 v174, v3, v11, -v1
	s_clause 0x1
	scratch_load_b128 v[1:4], off, off offset:288
	scratch_load_b128 v[9:12], off, off offset:304
	s_wait_loadcnt_dscnt 0x100
	v_mul_f32_e32 v175, v5, v2
	v_dual_mul_f32 v2, v6, v2 :: v_dual_mul_f32 v177, v7, v4
	s_delay_alu instid0(VALU_DEP_2) | instskip(NEXT) | instid1(VALU_DEP_2)
	v_fmac_f32_e32 v175, v6, v1
	v_fma_f32 v176, v5, v1, -v2
	v_mul_f32_e32 v1, v8, v4
	s_delay_alu instid0(VALU_DEP_4) | instskip(NEXT) | instid1(VALU_DEP_2)
	v_fmac_f32_e32 v177, v8, v3
	v_fma_f32 v178, v7, v3, -v1
	ds_load_b128 v[1:4], v21 offset:800
	ds_load_b128 v[5:8], v21 offset:816
	s_wait_loadcnt_dscnt 0x1
	v_mul_f32_e32 v179, v1, v10
	v_mul_f32_e32 v181, v3, v12
	s_delay_alu instid0(VALU_DEP_2) | instskip(NEXT) | instid1(VALU_DEP_2)
	v_fmac_f32_e32 v179, v2, v9
	v_dual_mul_f32 v2, v2, v10 :: v_dual_fmac_f32 v181, v4, v11
	s_delay_alu instid0(VALU_DEP_1) | instskip(SKIP_1) | instid1(VALU_DEP_1)
	v_fma_f32 v180, v1, v9, -v2
	v_mul_f32_e32 v1, v4, v12
	;; [unrolled: 25-line block ×4, first 2 shown]
	v_fma_f32 v198, v3, v11, -v1
	s_clause 0x1
	scratch_load_b128 v[1:4], off, off offset:384
	scratch_load_b128 v[9:12], off, off offset:400
	s_wait_loadcnt_dscnt 0x100
	v_mul_f32_e32 v199, v5, v2
	v_mul_f32_e32 v2, v6, v2
	s_delay_alu instid0(VALU_DEP_1) | instskip(SKIP_1) | instid1(VALU_DEP_1)
	v_fma_f32 v200, v5, v1, -v2
	v_add_f32_e32 v2, 0, v155
	v_add_f32_e32 v2, v2, v156
	s_delay_alu instid0(VALU_DEP_1) | instskip(NEXT) | instid1(VALU_DEP_1)
	v_add_f32_e32 v2, v2, v24
	v_add_f32_e32 v2, v2, v25
	s_delay_alu instid0(VALU_DEP_1) | instskip(NEXT) | instid1(VALU_DEP_1)
	;; [unrolled: 3-line block ×5, first 2 shown]
	v_add_f32_e32 v2, v2, v19
	v_add_f32_e32 v2, v2, v20
	s_delay_alu instid0(VALU_DEP_1) | instskip(SKIP_1) | instid1(VALU_DEP_2)
	v_add_f32_e32 v2, v2, v163
	v_fmac_f32_e32 v199, v6, v1
	v_add_f32_e32 v2, v2, v164
	s_delay_alu instid0(VALU_DEP_1) | instskip(NEXT) | instid1(VALU_DEP_1)
	v_dual_mul_f32 v201, v7, v4 :: v_dual_add_f32 v2, v2, v167
	v_dual_fmac_f32 v201, v8, v3 :: v_dual_add_f32 v2, v2, v169
	s_delay_alu instid0(VALU_DEP_1) | instskip(NEXT) | instid1(VALU_DEP_1)
	v_dual_mul_f32 v1, v8, v4 :: v_dual_add_f32 v2, v2, v171
	v_fma_f32 v202, v7, v3, -v1
	v_add_f32_e32 v1, 0, v22
	s_delay_alu instid0(VALU_DEP_3) | instskip(NEXT) | instid1(VALU_DEP_2)
	v_add_f32_e32 v5, v2, v173
	v_add_f32_e32 v1, v1, v23
	s_delay_alu instid0(VALU_DEP_1) | instskip(NEXT) | instid1(VALU_DEP_1)
	v_add_f32_e32 v1, v1, v26
	v_add_f32_e32 v1, v1, v27
	scratch_load_b64 v[26:27], off, off offset:480
	v_add_f32_e32 v1, v1, v28
	s_delay_alu instid0(VALU_DEP_1) | instskip(NEXT) | instid1(VALU_DEP_1)
	v_add_f32_e32 v1, v1, v29
	v_add_f32_e32 v1, v1, v13
	;; [unrolled: 1-line block ×3, first 2 shown]
	s_delay_alu instid0(VALU_DEP_2) | instskip(NEXT) | instid1(VALU_DEP_2)
	v_add_f32_e32 v1, v1, v14
	v_add_f32_e32 v13, v13, v177
	s_delay_alu instid0(VALU_DEP_2) | instskip(NEXT) | instid1(VALU_DEP_2)
	v_add_f32_e32 v1, v1, v16
	v_add_f32_e32 v13, v13, v179
	;; [unrolled: 3-line block ×3, first 2 shown]
	s_delay_alu instid0(VALU_DEP_2) | instskip(NEXT) | instid1(VALU_DEP_1)
	v_add_f32_e32 v1, v1, v160
	v_add_f32_e32 v1, v1, v161
	s_delay_alu instid0(VALU_DEP_1) | instskip(NEXT) | instid1(VALU_DEP_1)
	v_add_f32_e32 v1, v1, v165
	v_add_f32_e32 v1, v1, v166
	s_delay_alu instid0(VALU_DEP_1) | instskip(NEXT) | instid1(VALU_DEP_1)
	;; [unrolled: 3-line block ×3, first 2 shown]
	v_add_f32_e32 v1, v1, v172
	v_add_f32_e32 v1, v1, v174
	s_delay_alu instid0(VALU_DEP_1)
	v_add_f32_e32 v6, v1, v176
	scratch_load_b128 v[1:4], off, off offset:416
	v_add_f32_e32 v18, v18, v183
	v_add_f32_e32 v14, v6, v178
	ds_load_b128 v[5:8], v21 offset:896
	v_add_f32_e32 v18, v18, v185
	v_add_f32_e32 v14, v14, v180
	s_delay_alu instid0(VALU_DEP_1)
	v_add_f32_e32 v17, v14, v182
	ds_load_b128 v[13:16], v21 offset:912
	s_wait_loadcnt_dscnt 0x201
	v_mul_f32_e32 v32, v5, v10
	v_add_f32_e32 v22, v18, v187
	v_dual_mul_f32 v10, v6, v10 :: v_dual_mul_f32 v155, v7, v12
	v_mul_f32_e32 v12, v8, v12
	s_delay_alu instid0(VALU_DEP_4) | instskip(NEXT) | instid1(VALU_DEP_4)
	v_fmac_f32_e32 v32, v6, v9
	v_add_f32_e32 v22, v22, v189
	s_delay_alu instid0(VALU_DEP_4)
	v_fma_f32 v156, v5, v9, -v10
	v_fmac_f32_e32 v155, v8, v11
	v_fma_f32 v158, v7, v11, -v12
	scratch_load_b128 v[5:8], off, off offset:432
	v_add_f32_e32 v22, v22, v191
	scratch_load_b128 v[9:12], off, off offset:448
	s_wait_loadcnt_dscnt 0x200
	v_dual_add_f32 v22, v22, v193 :: v_dual_mul_f32 v159, v13, v2
	v_mul_f32_e32 v2, v14, v2
	v_mul_f32_e32 v160, v15, v4
	s_delay_alu instid0(VALU_DEP_3) | instskip(NEXT) | instid1(VALU_DEP_3)
	v_dual_mul_f32 v4, v16, v4 :: v_dual_fmac_f32 v159, v14, v1
	v_fma_f32 v161, v13, v1, -v2
	v_add_f32_e32 v13, v22, v195
	s_delay_alu instid0(VALU_DEP_3) | instskip(SKIP_3) | instid1(VALU_DEP_1)
	v_fma_f32 v162, v15, v3, -v4
	v_fmac_f32_e32 v160, v16, v3
	ds_load_b128 v[1:4], v21 offset:928
	v_add_f32_e32 v22, v13, v197
	v_add_f32_e32 v29, v22, v199
	s_delay_alu instid0(VALU_DEP_1) | instskip(NEXT) | instid1(VALU_DEP_1)
	v_add_f32_e32 v164, v29, v201
	v_add_f32_e32 v32, v164, v32
	s_delay_alu instid0(VALU_DEP_1) | instskip(NEXT) | instid1(VALU_DEP_1)
	v_dual_add_f32 v32, v32, v155 :: v_dual_add_f32 v17, v17, v184
	v_dual_add_f32 v32, v32, v159 :: v_dual_add_f32 v17, v17, v186
	s_delay_alu instid0(VALU_DEP_1) | instskip(NEXT) | instid1(VALU_DEP_2)
	v_add_f32_e32 v32, v32, v160
	v_add_f32_e32 v17, v17, v188
	s_delay_alu instid0(VALU_DEP_1) | instskip(SKIP_2) | instid1(VALU_DEP_1)
	v_add_f32_e32 v23, v17, v190
	scratch_load_b128 v[17:20], off, off offset:464
	v_add_f32_e32 v23, v23, v192
	v_add_f32_e32 v23, v23, v194
	s_delay_alu instid0(VALU_DEP_1) | instskip(NEXT) | instid1(VALU_DEP_1)
	v_add_f32_e32 v23, v23, v196
	v_add_f32_e32 v14, v23, v198
	ds_load_b128 v[22:25], v21 offset:960
	v_add_f32_e32 v28, v14, v200
	ds_load_b128 v[13:16], v21 offset:944
	s_wait_loadcnt_dscnt 0x100
	v_mul_f32_e32 v159, v15, v12
	s_delay_alu instid0(VALU_DEP_1) | instskip(SKIP_3) | instid1(VALU_DEP_1)
	v_fmac_f32_e32 v159, v16, v11
	v_add_f32_e32 v163, v28, v202
	ds_load_b64 v[28:29], v21 offset:976
	v_add_f32_e32 v156, v163, v156
	v_add_f32_e32 v156, v156, v158
	v_mul_f32_e32 v158, v13, v10
	s_delay_alu instid0(VALU_DEP_2) | instskip(NEXT) | instid1(VALU_DEP_2)
	v_add_f32_e32 v156, v156, v161
	v_dual_fmac_f32 v158, v14, v9 :: v_dual_mul_f32 v155, v3, v8
	v_mul_f32_e32 v8, v4, v8
	s_delay_alu instid0(VALU_DEP_3) | instskip(SKIP_2) | instid1(VALU_DEP_1)
	v_add_f32_e32 v156, v156, v162
	s_wait_dscnt 0x0
	v_mul_f32_e32 v160, v28, v27
	v_fmac_f32_e32 v160, v29, v26
	s_wait_loadcnt 0x0
	v_dual_mul_f32 v161, v22, v18 :: v_dual_mul_f32 v162, v24, v20
	s_delay_alu instid0(VALU_DEP_1) | instskip(SKIP_2) | instid1(VALU_DEP_4)
	v_fmac_f32_e32 v161, v23, v17
	v_mul_f32_e32 v163, v1, v6
	v_mul_f32_e32 v6, v2, v6
	v_fmac_f32_e32 v162, v25, v19
	v_fmac_f32_e32 v155, v4, v7
	s_delay_alu instid0(VALU_DEP_4) | instskip(NEXT) | instid1(VALU_DEP_4)
	v_fmac_f32_e32 v163, v2, v5
	v_fma_f32 v1, v1, v5, -v6
	v_fma_f32 v2, v3, v7, -v8
	v_mul_f32_e32 v3, v14, v10
	v_mul_f32_e32 v5, v16, v12
	v_add_f32_e32 v4, v32, v163
	v_add_f32_e32 v1, v156, v1
	s_delay_alu instid0(VALU_DEP_4) | instskip(NEXT) | instid1(VALU_DEP_4)
	v_fma_f32 v3, v13, v9, -v3
	v_fma_f32 v5, v15, v11, -v5
	s_delay_alu instid0(VALU_DEP_3) | instskip(NEXT) | instid1(VALU_DEP_1)
	v_dual_add_f32 v1, v1, v2 :: v_dual_add_f32 v2, v4, v155
	v_dual_mul_f32 v4, v23, v18 :: v_dual_add_f32 v1, v1, v3
	s_delay_alu instid0(VALU_DEP_2) | instskip(NEXT) | instid1(VALU_DEP_2)
	v_dual_add_f32 v2, v2, v158 :: v_dual_mul_f32 v3, v25, v20
	v_fma_f32 v4, v22, v17, -v4
	s_delay_alu instid0(VALU_DEP_2) | instskip(SKIP_1) | instid1(VALU_DEP_4)
	v_dual_add_f32 v1, v1, v5 :: v_dual_add_f32 v2, v2, v159
	v_mul_f32_e32 v5, v29, v27
	v_fma_f32 v3, v24, v19, -v3
	s_delay_alu instid0(VALU_DEP_3) | instskip(NEXT) | instid1(VALU_DEP_3)
	v_dual_add_f32 v1, v1, v4 :: v_dual_add_f32 v2, v2, v161
	v_fma_f32 v4, v28, v26, -v5
	s_delay_alu instid0(VALU_DEP_2) | instskip(NEXT) | instid1(VALU_DEP_1)
	v_dual_add_f32 v1, v1, v3 :: v_dual_add_f32 v2, v2, v162
	v_add_f32_e32 v1, v1, v4
	s_delay_alu instid0(VALU_DEP_2) | instskip(NEXT) | instid1(VALU_DEP_1)
	v_add_f32_e32 v2, v2, v160
	v_dual_sub_f32 v1, v30, v1 :: v_dual_sub_f32 v2, v31, v2
	scratch_store_b64 off, v[1:2], off offset:136
	v_cmpx_lt_u32_e32 16, v0
	s_cbranch_execz .LBB124_347
; %bb.346:
	scratch_load_b64 v[1:2], off, off offset:128
	v_mov_b32_e32 v22, v21
	scratch_store_b64 off, v[21:22], off offset:128
	s_wait_loadcnt 0x0
	ds_store_b64 v157, v[1:2]
.LBB124_347:
	s_wait_alu 0xfffe
	s_or_b32 exec_lo, exec_lo, s0
	s_wait_storecnt_dscnt 0x0
	s_barrier_signal -1
	s_barrier_wait -1
	global_inv scope:SCOPE_SE
	s_clause 0x4
	scratch_load_b128 v[5:8], off, off offset:136
	scratch_load_b128 v[1:4], off, off offset:152
	;; [unrolled: 1-line block ×5, first 2 shown]
	ds_load_2addr_b64 v[22:25], v21 offset0:79 offset1:80
	ds_load_2addr_b64 v[26:29], v21 offset0:81 offset1:82
	;; [unrolled: 1-line block ×3, first 2 shown]
	scratch_load_b64 v[30:31], off, off offset:128
	s_mov_b32 s0, exec_lo
	s_wait_loadcnt_dscnt 0x502
	v_mul_f32_e32 v32, v23, v6
	v_dual_mul_f32 v155, v22, v6 :: v_dual_mul_f32 v156, v24, v8
	v_mul_f32_e32 v6, v25, v8
	s_wait_loadcnt_dscnt 0x300
	v_mul_f32_e32 v162, v160, v12
	s_delay_alu instid0(VALU_DEP_3)
	v_dual_mul_f32 v12, v161, v12 :: v_dual_fmac_f32 v155, v23, v5
	v_fmac_f32_e32 v156, v25, v7
	v_fma_f32 v23, v24, v7, -v6
	v_mul_f32_e32 v25, v28, v4
	v_fma_f32 v22, v22, v5, -v32
	ds_load_2addr_b64 v[5:8], v21 offset0:85 offset1:86
	v_mul_f32_e32 v24, v26, v2
	v_mul_f32_e32 v4, v29, v4
	;; [unrolled: 1-line block ×4, first 2 shown]
	v_dual_mul_f32 v2, v27, v2 :: v_dual_fmac_f32 v25, v29, v3
	v_fmac_f32_e32 v24, v27, v1
	v_fma_f32 v27, v28, v3, -v4
	v_fmac_f32_e32 v32, v159, v9
	v_fma_f32 v28, v158, v9, -v10
	;; [unrolled: 2-line block ×3, first 2 shown]
	ds_load_2addr_b64 v[9:12], v21 offset0:87 offset1:88
	s_wait_loadcnt_dscnt 0x201
	v_dual_mul_f32 v159, v7, v16 :: v_dual_mul_f32 v158, v5, v14
	v_mul_f32_e32 v14, v6, v14
	v_mul_f32_e32 v16, v8, v16
	s_delay_alu instid0(VALU_DEP_3)
	v_fmac_f32_e32 v159, v8, v15
	v_fma_f32 v26, v26, v1, -v2
	scratch_load_b128 v[1:4], off, off offset:216
	v_fmac_f32_e32 v158, v6, v13
	v_fma_f32 v13, v5, v13, -v14
	v_fma_f32 v14, v7, v15, -v16
	ds_load_2addr_b64 v[5:8], v21 offset0:89 offset1:90
	s_wait_loadcnt_dscnt 0x201
	v_mul_f32_e32 v15, v9, v18
	v_mul_f32_e32 v16, v10, v18
	;; [unrolled: 1-line block ×3, first 2 shown]
	s_delay_alu instid0(VALU_DEP_3) | instskip(NEXT) | instid1(VALU_DEP_3)
	v_dual_mul_f32 v20, v12, v20 :: v_dual_fmac_f32 v15, v10, v17
	v_fma_f32 v16, v9, v17, -v16
	s_delay_alu instid0(VALU_DEP_3) | instskip(NEXT) | instid1(VALU_DEP_3)
	v_fmac_f32_e32 v18, v12, v19
	v_fma_f32 v17, v11, v19, -v20
	scratch_load_b128 v[9:12], off, off offset:232
	s_wait_loadcnt_dscnt 0x100
	v_mul_f32_e32 v19, v5, v2
	v_mul_f32_e32 v2, v6, v2
	;; [unrolled: 1-line block ×3, first 2 shown]
	s_delay_alu instid0(VALU_DEP_3) | instskip(NEXT) | instid1(VALU_DEP_3)
	v_dual_mul_f32 v4, v8, v4 :: v_dual_fmac_f32 v19, v6, v1
	v_fma_f32 v160, v5, v1, -v2
	s_delay_alu instid0(VALU_DEP_3) | instskip(NEXT) | instid1(VALU_DEP_3)
	v_fmac_f32_e32 v20, v8, v3
	v_fma_f32 v161, v7, v3, -v4
	ds_load_2addr_b64 v[1:4], v21 offset0:91 offset1:92
	ds_load_2addr_b64 v[5:8], v21 offset0:93 offset1:94
	s_wait_loadcnt_dscnt 0x1
	v_mul_f32_e32 v163, v1, v10
	v_mul_f32_e32 v10, v2, v10
	s_delay_alu instid0(VALU_DEP_2) | instskip(NEXT) | instid1(VALU_DEP_2)
	v_dual_mul_f32 v164, v3, v12 :: v_dual_fmac_f32 v163, v2, v9
	v_fma_f32 v165, v1, v9, -v10
	v_mul_f32_e32 v1, v4, v12
	s_delay_alu instid0(VALU_DEP_3) | instskip(NEXT) | instid1(VALU_DEP_2)
	v_fmac_f32_e32 v164, v4, v11
	v_fma_f32 v166, v3, v11, -v1
	s_clause 0x1
	scratch_load_b128 v[1:4], off, off offset:248
	scratch_load_b128 v[9:12], off, off offset:264
	s_wait_loadcnt_dscnt 0x100
	v_mul_f32_e32 v167, v5, v2
	v_dual_mul_f32 v2, v6, v2 :: v_dual_mul_f32 v169, v7, v4
	s_delay_alu instid0(VALU_DEP_2) | instskip(NEXT) | instid1(VALU_DEP_2)
	v_fmac_f32_e32 v167, v6, v1
	v_fma_f32 v168, v5, v1, -v2
	v_mul_f32_e32 v1, v8, v4
	s_delay_alu instid0(VALU_DEP_4) | instskip(NEXT) | instid1(VALU_DEP_2)
	v_fmac_f32_e32 v169, v8, v3
	v_fma_f32 v170, v7, v3, -v1
	ds_load_2addr_b64 v[1:4], v21 offset0:95 offset1:96
	ds_load_2addr_b64 v[5:8], v21 offset0:97 offset1:98
	s_wait_loadcnt_dscnt 0x1
	v_mul_f32_e32 v171, v1, v10
	v_mul_f32_e32 v173, v3, v12
	s_delay_alu instid0(VALU_DEP_2) | instskip(NEXT) | instid1(VALU_DEP_2)
	v_fmac_f32_e32 v171, v2, v9
	v_dual_mul_f32 v2, v2, v10 :: v_dual_fmac_f32 v173, v4, v11
	s_delay_alu instid0(VALU_DEP_1) | instskip(SKIP_1) | instid1(VALU_DEP_1)
	v_fma_f32 v172, v1, v9, -v2
	v_mul_f32_e32 v1, v4, v12
	v_fma_f32 v174, v3, v11, -v1
	s_clause 0x1
	scratch_load_b128 v[1:4], off, off offset:280
	scratch_load_b128 v[9:12], off, off offset:296
	s_wait_loadcnt_dscnt 0x100
	v_mul_f32_e32 v175, v5, v2
	v_dual_mul_f32 v2, v6, v2 :: v_dual_mul_f32 v177, v7, v4
	s_delay_alu instid0(VALU_DEP_2) | instskip(NEXT) | instid1(VALU_DEP_2)
	v_fmac_f32_e32 v175, v6, v1
	v_fma_f32 v176, v5, v1, -v2
	v_mul_f32_e32 v1, v8, v4
	s_delay_alu instid0(VALU_DEP_4) | instskip(NEXT) | instid1(VALU_DEP_2)
	v_fmac_f32_e32 v177, v8, v3
	v_fma_f32 v178, v7, v3, -v1
	ds_load_2addr_b64 v[1:4], v21 offset0:99 offset1:100
	ds_load_2addr_b64 v[5:8], v21 offset0:101 offset1:102
	s_wait_loadcnt_dscnt 0x1
	v_mul_f32_e32 v179, v1, v10
	v_mul_f32_e32 v181, v3, v12
	s_delay_alu instid0(VALU_DEP_2) | instskip(NEXT) | instid1(VALU_DEP_2)
	v_fmac_f32_e32 v179, v2, v9
	v_dual_mul_f32 v2, v2, v10 :: v_dual_fmac_f32 v181, v4, v11
	s_delay_alu instid0(VALU_DEP_1) | instskip(SKIP_1) | instid1(VALU_DEP_1)
	v_fma_f32 v180, v1, v9, -v2
	v_mul_f32_e32 v1, v4, v12
	;; [unrolled: 25-line block ×5, first 2 shown]
	v_fma_f32 v206, v3, v11, -v1
	s_clause 0x1
	scratch_load_b128 v[1:4], off, off offset:408
	scratch_load_b128 v[9:12], off, off offset:424
	s_wait_loadcnt_dscnt 0x100
	v_mul_f32_e32 v207, v5, v2
	v_mul_f32_e32 v2, v6, v2
	s_delay_alu instid0(VALU_DEP_1) | instskip(SKIP_1) | instid1(VALU_DEP_1)
	v_fma_f32 v208, v5, v1, -v2
	v_add_f32_e32 v2, 0, v155
	v_add_f32_e32 v2, v2, v156
	s_delay_alu instid0(VALU_DEP_1) | instskip(NEXT) | instid1(VALU_DEP_1)
	v_add_f32_e32 v2, v2, v24
	v_add_f32_e32 v2, v2, v25
	s_delay_alu instid0(VALU_DEP_1) | instskip(NEXT) | instid1(VALU_DEP_1)
	;; [unrolled: 3-line block ×8, first 2 shown]
	v_add_f32_e32 v2, v2, v171
	v_add_f32_e32 v2, v2, v173
	v_fmac_f32_e32 v207, v6, v1
	v_mul_f32_e32 v1, v8, v4
	s_delay_alu instid0(VALU_DEP_3) | instskip(NEXT) | instid1(VALU_DEP_2)
	v_dual_mul_f32 v209, v7, v4 :: v_dual_add_f32 v2, v2, v175
	v_fma_f32 v210, v7, v3, -v1
	v_add_f32_e32 v1, 0, v22
	s_delay_alu instid0(VALU_DEP_3) | instskip(NEXT) | instid1(VALU_DEP_2)
	v_dual_fmac_f32 v209, v8, v3 :: v_dual_add_f32 v2, v2, v177
	v_add_f32_e32 v1, v1, v23
	s_delay_alu instid0(VALU_DEP_2) | instskip(NEXT) | instid1(VALU_DEP_2)
	v_add_f32_e32 v5, v2, v179
	v_add_f32_e32 v1, v1, v26
	s_delay_alu instid0(VALU_DEP_2) | instskip(NEXT) | instid1(VALU_DEP_2)
	v_add_f32_e32 v5, v5, v181
	v_add_f32_e32 v1, v1, v27
	s_delay_alu instid0(VALU_DEP_1) | instskip(NEXT) | instid1(VALU_DEP_1)
	v_add_f32_e32 v1, v1, v28
	v_add_f32_e32 v1, v1, v29
	s_delay_alu instid0(VALU_DEP_1) | instskip(NEXT) | instid1(VALU_DEP_1)
	;; [unrolled: 3-line block ×9, first 2 shown]
	v_add_f32_e32 v1, v1, v180
	v_add_f32_e32 v6, v1, v182
	ds_load_2addr_b64 v[1:4], v21 offset0:115 offset1:116
	v_dual_add_f32 v5, v5, v183 :: v_dual_add_f32 v6, v6, v184
	s_delay_alu instid0(VALU_DEP_1) | instskip(SKIP_3) | instid1(VALU_DEP_1)
	v_dual_add_f32 v14, v5, v185 :: v_dual_add_f32 v13, v6, v186
	ds_load_2addr_b64 v[5:8], v21 offset0:117 offset1:118
	v_add_f32_e32 v13, v13, v188
	s_wait_loadcnt_dscnt 0x1
	v_dual_add_f32 v13, v13, v190 :: v_dual_mul_f32 v26, v3, v12
	v_add_f32_e32 v14, v14, v187
	v_dual_mul_f32 v12, v4, v12 :: v_dual_mul_f32 v25, v1, v10
	s_delay_alu instid0(VALU_DEP_3) | instskip(NEXT) | instid1(VALU_DEP_3)
	v_dual_add_f32 v13, v13, v192 :: v_dual_fmac_f32 v26, v4, v11
	v_add_f32_e32 v14, v14, v189
	v_mul_f32_e32 v10, v2, v10
	s_delay_alu instid0(VALU_DEP_4) | instskip(NEXT) | instid1(VALU_DEP_3)
	v_fma_f32 v28, v3, v11, -v12
	v_dual_add_f32 v18, v13, v194 :: v_dual_add_f32 v17, v14, v191
	s_delay_alu instid0(VALU_DEP_3) | instskip(SKIP_2) | instid1(VALU_DEP_1)
	v_fma_f32 v27, v1, v9, -v10
	scratch_load_b128 v[13:16], off, off offset:472
	v_dual_add_f32 v18, v18, v196 :: v_dual_add_f32 v17, v17, v193
	v_dual_add_f32 v18, v18, v198 :: v_dual_add_f32 v17, v17, v195
	s_delay_alu instid0(VALU_DEP_1) | instskip(NEXT) | instid1(VALU_DEP_1)
	v_dual_add_f32 v22, v18, v200 :: v_dual_add_f32 v17, v17, v197
	v_add_f32_e32 v29, v22, v202
	s_delay_alu instid0(VALU_DEP_2)
	v_add_f32_e32 v23, v17, v199
	ds_load_2addr_b64 v[17:20], v21 offset0:119 offset1:120
	v_dual_add_f32 v29, v29, v204 :: v_dual_add_f32 v32, v23, v201
	ds_load_2addr_b64 v[21:24], v21 offset0:121 offset1:122
	v_fmac_f32_e32 v25, v2, v9
	s_clause 0x1
	scratch_load_b128 v[1:4], off, off offset:440
	scratch_load_b128 v[9:12], off, off offset:456
	v_dual_add_f32 v32, v32, v203 :: v_dual_add_f32 v29, v29, v206
	s_delay_alu instid0(VALU_DEP_1) | instskip(NEXT) | instid1(VALU_DEP_1)
	v_dual_add_f32 v32, v32, v205 :: v_dual_add_f32 v29, v29, v208
	v_dual_add_f32 v32, v32, v207 :: v_dual_add_f32 v29, v29, v210
	s_delay_alu instid0(VALU_DEP_1) | instskip(SKIP_1) | instid1(VALU_DEP_1)
	v_dual_add_f32 v32, v32, v209 :: v_dual_add_f32 v27, v29, v27
	s_wait_loadcnt_dscnt 0x200
	v_dual_mul_f32 v160, v21, v14 :: v_dual_add_f32 v25, v32, v25
	s_delay_alu instid0(VALU_DEP_1) | instskip(NEXT) | instid1(VALU_DEP_1)
	v_dual_mul_f32 v29, v23, v16 :: v_dual_fmac_f32 v160, v22, v13
	v_fmac_f32_e32 v29, v24, v15
	s_wait_loadcnt 0x1
	v_mul_f32_e32 v155, v5, v2
	v_mul_f32_e32 v2, v6, v2
	;; [unrolled: 1-line block ×4, first 2 shown]
	s_wait_loadcnt 0x0
	v_dual_mul_f32 v158, v17, v10 :: v_dual_fmac_f32 v155, v6, v1
	v_fma_f32 v2, v5, v1, -v2
	v_add_f32_e32 v1, v27, v28
	v_add_f32_e32 v5, v25, v26
	v_mul_f32_e32 v6, v18, v10
	v_fmac_f32_e32 v156, v8, v3
	v_fma_f32 v3, v7, v3, -v4
	v_add_f32_e32 v1, v1, v2
	v_dual_add_f32 v2, v5, v155 :: v_dual_mul_f32 v159, v19, v12
	v_mul_f32_e32 v4, v20, v12
	v_fmac_f32_e32 v158, v18, v9
	v_fma_f32 v5, v17, v9, -v6
	s_delay_alu instid0(VALU_DEP_4) | instskip(SKIP_3) | instid1(VALU_DEP_4)
	v_dual_add_f32 v1, v1, v3 :: v_dual_add_f32 v2, v2, v156
	v_mul_f32_e32 v3, v22, v14
	v_fmac_f32_e32 v159, v20, v11
	v_fma_f32 v4, v19, v11, -v4
	v_dual_add_f32 v1, v1, v5 :: v_dual_add_f32 v2, v2, v158
	v_mul_f32_e32 v5, v24, v16
	v_fma_f32 v3, v21, v13, -v3
	s_delay_alu instid0(VALU_DEP_3) | instskip(NEXT) | instid1(VALU_DEP_3)
	v_dual_add_f32 v1, v1, v4 :: v_dual_add_f32 v2, v2, v159
	v_fma_f32 v4, v23, v15, -v5
	s_delay_alu instid0(VALU_DEP_2) | instskip(NEXT) | instid1(VALU_DEP_1)
	v_dual_add_f32 v1, v1, v3 :: v_dual_add_f32 v2, v2, v160
	v_dual_add_f32 v1, v1, v4 :: v_dual_add_f32 v2, v2, v29
	s_delay_alu instid0(VALU_DEP_1)
	v_dual_sub_f32 v1, v30, v1 :: v_dual_sub_f32 v2, v31, v2
	scratch_store_b64 off, v[1:2], off offset:128
	v_cmpx_lt_u32_e32 15, v0
	s_cbranch_execz .LBB124_349
; %bb.348:
	scratch_load_b64 v[1:2], off, off offset:120
	v_mov_b32_e32 v3, 0
	s_delay_alu instid0(VALU_DEP_1)
	v_mov_b32_e32 v4, v3
	scratch_store_b64 off, v[3:4], off offset:120
	s_wait_loadcnt 0x0
	ds_store_b64 v157, v[1:2]
.LBB124_349:
	s_wait_alu 0xfffe
	s_or_b32 exec_lo, exec_lo, s0
	s_wait_storecnt_dscnt 0x0
	s_barrier_signal -1
	s_barrier_wait -1
	global_inv scope:SCOPE_SE
	s_clause 0x4
	scratch_load_b128 v[5:8], off, off offset:128
	scratch_load_b128 v[1:4], off, off offset:144
	;; [unrolled: 1-line block ×5, first 2 shown]
	v_mov_b32_e32 v21, 0
	ds_load_b128 v[22:25], v21 offset:624
	ds_load_b128 v[26:29], v21 offset:640
	ds_load_b128 v[158:161], v21 offset:656
	scratch_load_b64 v[30:31], off, off offset:120
	s_mov_b32 s0, exec_lo
	s_wait_loadcnt_dscnt 0x502
	v_mul_f32_e32 v32, v23, v6
	v_dual_mul_f32 v155, v22, v6 :: v_dual_mul_f32 v156, v24, v8
	v_mul_f32_e32 v6, v25, v8
	s_wait_loadcnt_dscnt 0x300
	v_mul_f32_e32 v162, v160, v12
	v_fma_f32 v22, v22, v5, -v32
	v_dual_fmac_f32 v155, v23, v5 :: v_dual_fmac_f32 v156, v25, v7
	v_mul_f32_e32 v25, v28, v4
	v_fma_f32 v23, v24, v7, -v6
	ds_load_b128 v[5:8], v21 offset:672
	v_mul_f32_e32 v24, v26, v2
	v_mul_f32_e32 v4, v29, v4
	;; [unrolled: 1-line block ×5, first 2 shown]
	v_dual_mul_f32 v2, v27, v2 :: v_dual_fmac_f32 v25, v29, v3
	v_fmac_f32_e32 v24, v27, v1
	v_fma_f32 v27, v28, v3, -v4
	v_fmac_f32_e32 v32, v159, v9
	v_fma_f32 v28, v158, v9, -v10
	v_fmac_f32_e32 v162, v161, v11
	v_fma_f32 v29, v160, v11, -v12
	ds_load_b128 v[9:12], v21 offset:688
	s_wait_loadcnt_dscnt 0x201
	v_dual_mul_f32 v159, v7, v16 :: v_dual_mul_f32 v158, v5, v14
	v_mul_f32_e32 v14, v6, v14
	v_mul_f32_e32 v16, v8, v16
	s_delay_alu instid0(VALU_DEP_3)
	v_fmac_f32_e32 v159, v8, v15
	v_fma_f32 v26, v26, v1, -v2
	scratch_load_b128 v[1:4], off, off offset:208
	v_fmac_f32_e32 v158, v6, v13
	v_fma_f32 v13, v5, v13, -v14
	v_fma_f32 v14, v7, v15, -v16
	ds_load_b128 v[5:8], v21 offset:704
	s_wait_loadcnt_dscnt 0x201
	v_mul_f32_e32 v15, v9, v18
	v_mul_f32_e32 v16, v10, v18
	;; [unrolled: 1-line block ×3, first 2 shown]
	s_delay_alu instid0(VALU_DEP_3) | instskip(NEXT) | instid1(VALU_DEP_3)
	v_dual_mul_f32 v20, v12, v20 :: v_dual_fmac_f32 v15, v10, v17
	v_fma_f32 v16, v9, v17, -v16
	s_delay_alu instid0(VALU_DEP_3) | instskip(NEXT) | instid1(VALU_DEP_3)
	v_fmac_f32_e32 v18, v12, v19
	v_fma_f32 v17, v11, v19, -v20
	scratch_load_b128 v[9:12], off, off offset:224
	s_wait_loadcnt_dscnt 0x100
	v_mul_f32_e32 v19, v5, v2
	v_mul_f32_e32 v2, v6, v2
	;; [unrolled: 1-line block ×3, first 2 shown]
	s_delay_alu instid0(VALU_DEP_3) | instskip(NEXT) | instid1(VALU_DEP_3)
	v_dual_mul_f32 v4, v8, v4 :: v_dual_fmac_f32 v19, v6, v1
	v_fma_f32 v160, v5, v1, -v2
	s_delay_alu instid0(VALU_DEP_3) | instskip(NEXT) | instid1(VALU_DEP_3)
	v_fmac_f32_e32 v20, v8, v3
	v_fma_f32 v161, v7, v3, -v4
	ds_load_b128 v[1:4], v21 offset:720
	ds_load_b128 v[5:8], v21 offset:736
	s_wait_loadcnt_dscnt 0x1
	v_mul_f32_e32 v163, v1, v10
	v_mul_f32_e32 v10, v2, v10
	s_delay_alu instid0(VALU_DEP_2) | instskip(NEXT) | instid1(VALU_DEP_2)
	v_dual_mul_f32 v164, v3, v12 :: v_dual_fmac_f32 v163, v2, v9
	v_fma_f32 v165, v1, v9, -v10
	v_mul_f32_e32 v1, v4, v12
	s_delay_alu instid0(VALU_DEP_3) | instskip(NEXT) | instid1(VALU_DEP_2)
	v_fmac_f32_e32 v164, v4, v11
	v_fma_f32 v166, v3, v11, -v1
	s_clause 0x1
	scratch_load_b128 v[1:4], off, off offset:240
	scratch_load_b128 v[9:12], off, off offset:256
	s_wait_loadcnt_dscnt 0x100
	v_mul_f32_e32 v167, v5, v2
	v_dual_mul_f32 v2, v6, v2 :: v_dual_mul_f32 v169, v7, v4
	s_delay_alu instid0(VALU_DEP_2) | instskip(NEXT) | instid1(VALU_DEP_2)
	v_fmac_f32_e32 v167, v6, v1
	v_fma_f32 v168, v5, v1, -v2
	v_mul_f32_e32 v1, v8, v4
	s_delay_alu instid0(VALU_DEP_4) | instskip(NEXT) | instid1(VALU_DEP_2)
	v_fmac_f32_e32 v169, v8, v3
	v_fma_f32 v170, v7, v3, -v1
	ds_load_b128 v[1:4], v21 offset:752
	ds_load_b128 v[5:8], v21 offset:768
	s_wait_loadcnt_dscnt 0x1
	v_mul_f32_e32 v171, v1, v10
	v_mul_f32_e32 v173, v3, v12
	s_delay_alu instid0(VALU_DEP_2) | instskip(NEXT) | instid1(VALU_DEP_2)
	v_fmac_f32_e32 v171, v2, v9
	v_dual_mul_f32 v2, v2, v10 :: v_dual_fmac_f32 v173, v4, v11
	s_delay_alu instid0(VALU_DEP_1) | instskip(SKIP_1) | instid1(VALU_DEP_1)
	v_fma_f32 v172, v1, v9, -v2
	v_mul_f32_e32 v1, v4, v12
	v_fma_f32 v174, v3, v11, -v1
	s_clause 0x1
	scratch_load_b128 v[1:4], off, off offset:272
	scratch_load_b128 v[9:12], off, off offset:288
	s_wait_loadcnt_dscnt 0x100
	v_mul_f32_e32 v175, v5, v2
	v_dual_mul_f32 v2, v6, v2 :: v_dual_mul_f32 v177, v7, v4
	s_delay_alu instid0(VALU_DEP_2) | instskip(NEXT) | instid1(VALU_DEP_2)
	v_fmac_f32_e32 v175, v6, v1
	v_fma_f32 v176, v5, v1, -v2
	v_mul_f32_e32 v1, v8, v4
	s_delay_alu instid0(VALU_DEP_4) | instskip(NEXT) | instid1(VALU_DEP_2)
	v_fmac_f32_e32 v177, v8, v3
	v_fma_f32 v178, v7, v3, -v1
	ds_load_b128 v[1:4], v21 offset:784
	ds_load_b128 v[5:8], v21 offset:800
	s_wait_loadcnt_dscnt 0x1
	v_mul_f32_e32 v179, v1, v10
	v_mul_f32_e32 v181, v3, v12
	s_delay_alu instid0(VALU_DEP_2) | instskip(NEXT) | instid1(VALU_DEP_2)
	v_fmac_f32_e32 v179, v2, v9
	v_dual_mul_f32 v2, v2, v10 :: v_dual_fmac_f32 v181, v4, v11
	s_delay_alu instid0(VALU_DEP_1) | instskip(SKIP_1) | instid1(VALU_DEP_1)
	v_fma_f32 v180, v1, v9, -v2
	v_mul_f32_e32 v1, v4, v12
	;; [unrolled: 25-line block ×5, first 2 shown]
	v_fma_f32 v206, v3, v11, -v1
	s_clause 0x1
	scratch_load_b128 v[1:4], off, off offset:400
	scratch_load_b128 v[9:12], off, off offset:416
	s_wait_loadcnt_dscnt 0x100
	v_mul_f32_e32 v207, v5, v2
	v_mul_f32_e32 v2, v6, v2
	s_delay_alu instid0(VALU_DEP_1) | instskip(SKIP_1) | instid1(VALU_DEP_1)
	v_fma_f32 v208, v5, v1, -v2
	v_add_f32_e32 v2, 0, v155
	v_add_f32_e32 v2, v2, v156
	s_delay_alu instid0(VALU_DEP_1) | instskip(NEXT) | instid1(VALU_DEP_1)
	v_add_f32_e32 v2, v2, v24
	v_add_f32_e32 v2, v2, v25
	s_delay_alu instid0(VALU_DEP_1) | instskip(NEXT) | instid1(VALU_DEP_1)
	;; [unrolled: 3-line block ×8, first 2 shown]
	v_add_f32_e32 v2, v2, v171
	v_add_f32_e32 v2, v2, v173
	s_delay_alu instid0(VALU_DEP_1) | instskip(SKIP_2) | instid1(VALU_DEP_3)
	v_add_f32_e32 v2, v2, v175
	v_fmac_f32_e32 v207, v6, v1
	v_mul_f32_e32 v1, v8, v4
	v_dual_mul_f32 v209, v7, v4 :: v_dual_add_f32 v2, v2, v177
	s_delay_alu instid0(VALU_DEP_2) | instskip(SKIP_1) | instid1(VALU_DEP_3)
	v_fma_f32 v210, v7, v3, -v1
	v_add_f32_e32 v1, 0, v22
	v_add_f32_e32 v5, v2, v179
	s_delay_alu instid0(VALU_DEP_2) | instskip(NEXT) | instid1(VALU_DEP_2)
	v_add_f32_e32 v1, v1, v23
	v_add_f32_e32 v5, v5, v181
	s_delay_alu instid0(VALU_DEP_2) | instskip(NEXT) | instid1(VALU_DEP_1)
	v_add_f32_e32 v1, v1, v26
	v_add_f32_e32 v1, v1, v27
	scratch_load_b64 v[26:27], off, off offset:480
	v_add_f32_e32 v1, v1, v28
	s_delay_alu instid0(VALU_DEP_1) | instskip(NEXT) | instid1(VALU_DEP_1)
	v_add_f32_e32 v1, v1, v29
	v_add_f32_e32 v1, v1, v13
	s_delay_alu instid0(VALU_DEP_1) | instskip(NEXT) | instid1(VALU_DEP_1)
	v_add_f32_e32 v1, v1, v14
	;; [unrolled: 3-line block ×8, first 2 shown]
	v_add_f32_e32 v1, v1, v180
	s_delay_alu instid0(VALU_DEP_1) | instskip(SKIP_2) | instid1(VALU_DEP_1)
	v_dual_add_f32 v6, v1, v182 :: v_dual_fmac_f32 v209, v8, v3
	ds_load_b128 v[1:4], v21 offset:912
	v_dual_add_f32 v5, v5, v183 :: v_dual_add_f32 v6, v6, v184
	v_dual_add_f32 v14, v5, v185 :: v_dual_add_f32 v13, v6, v186
	ds_load_b128 v[5:8], v21 offset:928
	s_wait_loadcnt_dscnt 0x101
	v_mul_f32_e32 v32, v1, v10
	v_dual_mul_f32 v10, v2, v10 :: v_dual_mul_f32 v155, v3, v12
	v_mul_f32_e32 v12, v4, v12
	v_add_f32_e32 v14, v14, v187
	s_delay_alu instid0(VALU_DEP_4) | instskip(NEXT) | instid1(VALU_DEP_4)
	v_fmac_f32_e32 v32, v2, v9
	v_fma_f32 v156, v1, v9, -v10
	v_fmac_f32_e32 v155, v4, v11
	v_fma_f32 v158, v3, v11, -v12
	s_clause 0x1
	scratch_load_b128 v[1:4], off, off offset:432
	scratch_load_b128 v[9:12], off, off offset:448
	v_dual_add_f32 v13, v13, v188 :: v_dual_add_f32 v14, v14, v189
	s_delay_alu instid0(VALU_DEP_1) | instskip(NEXT) | instid1(VALU_DEP_2)
	v_add_f32_e32 v13, v13, v190
	v_add_f32_e32 v17, v14, v191
	s_delay_alu instid0(VALU_DEP_2) | instskip(NEXT) | instid1(VALU_DEP_2)
	v_add_f32_e32 v13, v13, v192
	v_add_f32_e32 v17, v17, v193
	s_delay_alu instid0(VALU_DEP_2) | instskip(SKIP_2) | instid1(VALU_DEP_1)
	v_add_f32_e32 v18, v13, v194
	scratch_load_b128 v[13:16], off, off offset:464
	v_dual_add_f32 v17, v17, v195 :: v_dual_add_f32 v18, v18, v196
	v_dual_add_f32 v17, v17, v197 :: v_dual_add_f32 v18, v18, v198
	s_delay_alu instid0(VALU_DEP_1) | instskip(NEXT) | instid1(VALU_DEP_1)
	v_dual_add_f32 v17, v17, v199 :: v_dual_add_f32 v18, v18, v200
	v_add_f32_e32 v22, v17, v201
	s_delay_alu instid0(VALU_DEP_2) | instskip(NEXT) | instid1(VALU_DEP_1)
	v_add_f32_e32 v18, v18, v202
	v_add_f32_e32 v28, v18, v204
	ds_load_b128 v[17:20], v21 offset:944
	s_wait_loadcnt_dscnt 0x201
	v_dual_mul_f32 v162, v7, v4 :: v_dual_add_f32 v29, v22, v203
	ds_load_b128 v[22:25], v21 offset:960
	v_add_f32_e32 v159, v28, v206
	v_dual_mul_f32 v4, v8, v4 :: v_dual_mul_f32 v161, v5, v2
	v_add_f32_e32 v160, v29, v205
	s_delay_alu instid0(VALU_DEP_3)
	v_dual_mul_f32 v2, v6, v2 :: v_dual_add_f32 v159, v159, v208
	ds_load_b64 v[28:29], v21 offset:976
	v_dual_fmac_f32 v161, v6, v1 :: v_dual_add_f32 v160, v160, v207
	v_fma_f32 v2, v5, v1, -v2
	v_dual_add_f32 v159, v159, v210 :: v_dual_fmac_f32 v162, v8, v3
	v_fma_f32 v1, v7, v3, -v4
	s_wait_loadcnt_dscnt 0x102
	v_dual_add_f32 v160, v160, v209 :: v_dual_mul_f32 v3, v18, v10
	s_delay_alu instid0(VALU_DEP_3) | instskip(SKIP_1) | instid1(VALU_DEP_3)
	v_dual_add_f32 v156, v159, v156 :: v_dual_mul_f32 v159, v17, v10
	v_mul_f32_e32 v5, v20, v12
	v_add_f32_e32 v32, v160, v32
	v_mul_f32_e32 v160, v19, v12
	s_delay_alu instid0(VALU_DEP_4) | instskip(SKIP_3) | instid1(VALU_DEP_3)
	v_dual_add_f32 v156, v156, v158 :: v_dual_fmac_f32 v159, v18, v9
	v_fma_f32 v3, v17, v9, -v3
	s_wait_loadcnt_dscnt 0x1
	v_dual_add_f32 v32, v32, v155 :: v_dual_mul_f32 v163, v22, v14
	v_add_f32_e32 v2, v156, v2
	v_fmac_f32_e32 v160, v20, v11
	v_fma_f32 v5, v19, v11, -v5
	s_delay_alu instid0(VALU_DEP_4) | instskip(NEXT) | instid1(VALU_DEP_4)
	v_add_f32_e32 v4, v32, v161
	v_dual_mul_f32 v158, v24, v16 :: v_dual_add_f32 v1, v2, v1
	v_fmac_f32_e32 v163, v23, v13
	s_wait_dscnt 0x0
	v_mul_f32_e32 v155, v28, v27
	v_add_f32_e32 v2, v4, v162
	v_dual_mul_f32 v4, v23, v14 :: v_dual_add_f32 v1, v1, v3
	v_mul_f32_e32 v3, v25, v16
	v_fmac_f32_e32 v158, v25, v15
	s_delay_alu instid0(VALU_DEP_4) | instskip(NEXT) | instid1(VALU_DEP_4)
	v_add_f32_e32 v2, v2, v159
	v_fma_f32 v4, v22, v13, -v4
	v_add_f32_e32 v1, v1, v5
	v_mul_f32_e32 v5, v29, v27
	v_fma_f32 v3, v24, v15, -v3
	v_dual_add_f32 v2, v2, v160 :: v_dual_fmac_f32 v155, v29, v26
	s_delay_alu instid0(VALU_DEP_4) | instskip(NEXT) | instid1(VALU_DEP_4)
	v_add_f32_e32 v1, v1, v4
	v_fma_f32 v4, v28, v26, -v5
	s_delay_alu instid0(VALU_DEP_3) | instskip(NEXT) | instid1(VALU_DEP_1)
	v_add_f32_e32 v2, v2, v163
	v_dual_add_f32 v1, v1, v3 :: v_dual_add_f32 v2, v2, v158
	s_delay_alu instid0(VALU_DEP_1) | instskip(NEXT) | instid1(VALU_DEP_1)
	v_dual_add_f32 v1, v1, v4 :: v_dual_add_f32 v2, v2, v155
	v_dual_sub_f32 v1, v30, v1 :: v_dual_sub_f32 v2, v31, v2
	scratch_store_b64 off, v[1:2], off offset:120
	v_cmpx_lt_u32_e32 14, v0
	s_cbranch_execz .LBB124_351
; %bb.350:
	scratch_load_b64 v[1:2], off, off offset:112
	v_mov_b32_e32 v22, v21
	scratch_store_b64 off, v[21:22], off offset:112
	s_wait_loadcnt 0x0
	ds_store_b64 v157, v[1:2]
.LBB124_351:
	s_wait_alu 0xfffe
	s_or_b32 exec_lo, exec_lo, s0
	s_wait_storecnt_dscnt 0x0
	s_barrier_signal -1
	s_barrier_wait -1
	global_inv scope:SCOPE_SE
	s_clause 0x4
	scratch_load_b128 v[5:8], off, off offset:120
	scratch_load_b128 v[1:4], off, off offset:136
	;; [unrolled: 1-line block ×5, first 2 shown]
	ds_load_2addr_b64 v[22:25], v21 offset0:77 offset1:78
	ds_load_2addr_b64 v[26:29], v21 offset0:79 offset1:80
	;; [unrolled: 1-line block ×3, first 2 shown]
	scratch_load_b64 v[30:31], off, off offset:112
	s_mov_b32 s0, exec_lo
	s_wait_loadcnt_dscnt 0x502
	v_mul_f32_e32 v32, v23, v6
	v_dual_mul_f32 v155, v22, v6 :: v_dual_mul_f32 v156, v24, v8
	v_mul_f32_e32 v6, v25, v8
	s_wait_loadcnt_dscnt 0x300
	v_mul_f32_e32 v162, v160, v12
	s_delay_alu instid0(VALU_DEP_3)
	v_dual_mul_f32 v12, v161, v12 :: v_dual_fmac_f32 v155, v23, v5
	v_fmac_f32_e32 v156, v25, v7
	v_fma_f32 v23, v24, v7, -v6
	v_mul_f32_e32 v25, v28, v4
	v_fma_f32 v22, v22, v5, -v32
	ds_load_2addr_b64 v[5:8], v21 offset0:83 offset1:84
	v_mul_f32_e32 v24, v26, v2
	v_mul_f32_e32 v4, v29, v4
	;; [unrolled: 1-line block ×4, first 2 shown]
	v_dual_mul_f32 v2, v27, v2 :: v_dual_fmac_f32 v25, v29, v3
	v_fmac_f32_e32 v24, v27, v1
	v_fma_f32 v27, v28, v3, -v4
	v_fmac_f32_e32 v32, v159, v9
	v_fma_f32 v28, v158, v9, -v10
	;; [unrolled: 2-line block ×3, first 2 shown]
	ds_load_2addr_b64 v[9:12], v21 offset0:85 offset1:86
	s_wait_loadcnt_dscnt 0x201
	v_dual_mul_f32 v159, v7, v16 :: v_dual_mul_f32 v158, v5, v14
	v_mul_f32_e32 v14, v6, v14
	v_mul_f32_e32 v16, v8, v16
	s_delay_alu instid0(VALU_DEP_3)
	v_fmac_f32_e32 v159, v8, v15
	v_fma_f32 v26, v26, v1, -v2
	scratch_load_b128 v[1:4], off, off offset:200
	v_fmac_f32_e32 v158, v6, v13
	v_fma_f32 v13, v5, v13, -v14
	v_fma_f32 v14, v7, v15, -v16
	ds_load_2addr_b64 v[5:8], v21 offset0:87 offset1:88
	s_wait_loadcnt_dscnt 0x201
	v_mul_f32_e32 v15, v9, v18
	v_mul_f32_e32 v16, v10, v18
	v_mul_f32_e32 v18, v11, v20
	s_delay_alu instid0(VALU_DEP_3) | instskip(NEXT) | instid1(VALU_DEP_3)
	v_dual_mul_f32 v20, v12, v20 :: v_dual_fmac_f32 v15, v10, v17
	v_fma_f32 v16, v9, v17, -v16
	s_delay_alu instid0(VALU_DEP_3) | instskip(NEXT) | instid1(VALU_DEP_3)
	v_fmac_f32_e32 v18, v12, v19
	v_fma_f32 v17, v11, v19, -v20
	scratch_load_b128 v[9:12], off, off offset:216
	s_wait_loadcnt_dscnt 0x100
	v_mul_f32_e32 v19, v5, v2
	v_mul_f32_e32 v2, v6, v2
	;; [unrolled: 1-line block ×3, first 2 shown]
	s_delay_alu instid0(VALU_DEP_3) | instskip(NEXT) | instid1(VALU_DEP_3)
	v_dual_mul_f32 v4, v8, v4 :: v_dual_fmac_f32 v19, v6, v1
	v_fma_f32 v160, v5, v1, -v2
	s_delay_alu instid0(VALU_DEP_3) | instskip(NEXT) | instid1(VALU_DEP_3)
	v_fmac_f32_e32 v20, v8, v3
	v_fma_f32 v161, v7, v3, -v4
	ds_load_2addr_b64 v[1:4], v21 offset0:89 offset1:90
	ds_load_2addr_b64 v[5:8], v21 offset0:91 offset1:92
	s_wait_loadcnt_dscnt 0x1
	v_mul_f32_e32 v163, v1, v10
	v_mul_f32_e32 v10, v2, v10
	s_delay_alu instid0(VALU_DEP_2) | instskip(NEXT) | instid1(VALU_DEP_2)
	v_dual_mul_f32 v164, v3, v12 :: v_dual_fmac_f32 v163, v2, v9
	v_fma_f32 v165, v1, v9, -v10
	v_mul_f32_e32 v1, v4, v12
	s_delay_alu instid0(VALU_DEP_3) | instskip(NEXT) | instid1(VALU_DEP_2)
	v_fmac_f32_e32 v164, v4, v11
	v_fma_f32 v166, v3, v11, -v1
	s_clause 0x1
	scratch_load_b128 v[1:4], off, off offset:232
	scratch_load_b128 v[9:12], off, off offset:248
	s_wait_loadcnt_dscnt 0x100
	v_mul_f32_e32 v167, v5, v2
	v_dual_mul_f32 v2, v6, v2 :: v_dual_mul_f32 v169, v7, v4
	s_delay_alu instid0(VALU_DEP_2) | instskip(NEXT) | instid1(VALU_DEP_2)
	v_fmac_f32_e32 v167, v6, v1
	v_fma_f32 v168, v5, v1, -v2
	v_mul_f32_e32 v1, v8, v4
	s_delay_alu instid0(VALU_DEP_4) | instskip(NEXT) | instid1(VALU_DEP_2)
	v_fmac_f32_e32 v169, v8, v3
	v_fma_f32 v170, v7, v3, -v1
	ds_load_2addr_b64 v[1:4], v21 offset0:93 offset1:94
	ds_load_2addr_b64 v[5:8], v21 offset0:95 offset1:96
	s_wait_loadcnt_dscnt 0x1
	v_mul_f32_e32 v171, v1, v10
	v_mul_f32_e32 v173, v3, v12
	s_delay_alu instid0(VALU_DEP_2) | instskip(NEXT) | instid1(VALU_DEP_2)
	v_fmac_f32_e32 v171, v2, v9
	v_dual_mul_f32 v2, v2, v10 :: v_dual_fmac_f32 v173, v4, v11
	s_delay_alu instid0(VALU_DEP_1) | instskip(SKIP_1) | instid1(VALU_DEP_1)
	v_fma_f32 v172, v1, v9, -v2
	v_mul_f32_e32 v1, v4, v12
	v_fma_f32 v174, v3, v11, -v1
	s_clause 0x1
	scratch_load_b128 v[1:4], off, off offset:264
	scratch_load_b128 v[9:12], off, off offset:280
	s_wait_loadcnt_dscnt 0x100
	v_mul_f32_e32 v175, v5, v2
	v_dual_mul_f32 v2, v6, v2 :: v_dual_mul_f32 v177, v7, v4
	s_delay_alu instid0(VALU_DEP_2) | instskip(NEXT) | instid1(VALU_DEP_2)
	v_fmac_f32_e32 v175, v6, v1
	v_fma_f32 v176, v5, v1, -v2
	v_mul_f32_e32 v1, v8, v4
	s_delay_alu instid0(VALU_DEP_4) | instskip(NEXT) | instid1(VALU_DEP_2)
	v_fmac_f32_e32 v177, v8, v3
	v_fma_f32 v178, v7, v3, -v1
	ds_load_2addr_b64 v[1:4], v21 offset0:97 offset1:98
	ds_load_2addr_b64 v[5:8], v21 offset0:99 offset1:100
	s_wait_loadcnt_dscnt 0x1
	v_mul_f32_e32 v179, v1, v10
	v_mul_f32_e32 v181, v3, v12
	s_delay_alu instid0(VALU_DEP_2) | instskip(NEXT) | instid1(VALU_DEP_2)
	v_fmac_f32_e32 v179, v2, v9
	v_dual_mul_f32 v2, v2, v10 :: v_dual_fmac_f32 v181, v4, v11
	s_delay_alu instid0(VALU_DEP_1) | instskip(SKIP_1) | instid1(VALU_DEP_1)
	v_fma_f32 v180, v1, v9, -v2
	v_mul_f32_e32 v1, v4, v12
	v_fma_f32 v182, v3, v11, -v1
	s_clause 0x1
	scratch_load_b128 v[1:4], off, off offset:296
	scratch_load_b128 v[9:12], off, off offset:312
	s_wait_loadcnt_dscnt 0x100
	v_mul_f32_e32 v183, v5, v2
	v_dual_mul_f32 v2, v6, v2 :: v_dual_mul_f32 v185, v7, v4
	s_delay_alu instid0(VALU_DEP_1) | instskip(NEXT) | instid1(VALU_DEP_3)
	v_fma_f32 v184, v5, v1, -v2
	v_fmac_f32_e32 v183, v6, v1
	v_mul_f32_e32 v1, v8, v4
	s_delay_alu instid0(VALU_DEP_4) | instskip(NEXT) | instid1(VALU_DEP_2)
	v_fmac_f32_e32 v185, v8, v3
	v_fma_f32 v186, v7, v3, -v1
	ds_load_2addr_b64 v[1:4], v21 offset0:101 offset1:102
	ds_load_2addr_b64 v[5:8], v21 offset0:103 offset1:104
	s_wait_loadcnt_dscnt 0x1
	v_mul_f32_e32 v187, v1, v10
	v_mul_f32_e32 v189, v3, v12
	s_delay_alu instid0(VALU_DEP_2) | instskip(NEXT) | instid1(VALU_DEP_2)
	v_fmac_f32_e32 v187, v2, v9
	v_dual_mul_f32 v2, v2, v10 :: v_dual_fmac_f32 v189, v4, v11
	s_delay_alu instid0(VALU_DEP_1) | instskip(SKIP_1) | instid1(VALU_DEP_1)
	v_fma_f32 v188, v1, v9, -v2
	v_mul_f32_e32 v1, v4, v12
	v_fma_f32 v190, v3, v11, -v1
	s_clause 0x1
	scratch_load_b128 v[1:4], off, off offset:328
	scratch_load_b128 v[9:12], off, off offset:344
	s_wait_loadcnt_dscnt 0x100
	v_mul_f32_e32 v191, v5, v2
	v_dual_mul_f32 v2, v6, v2 :: v_dual_mul_f32 v193, v7, v4
	s_delay_alu instid0(VALU_DEP_2) | instskip(NEXT) | instid1(VALU_DEP_2)
	v_fmac_f32_e32 v191, v6, v1
	v_fma_f32 v192, v5, v1, -v2
	v_mul_f32_e32 v1, v8, v4
	s_delay_alu instid0(VALU_DEP_4) | instskip(NEXT) | instid1(VALU_DEP_2)
	v_fmac_f32_e32 v193, v8, v3
	v_fma_f32 v194, v7, v3, -v1
	ds_load_2addr_b64 v[1:4], v21 offset0:105 offset1:106
	ds_load_2addr_b64 v[5:8], v21 offset0:107 offset1:108
	s_wait_loadcnt_dscnt 0x1
	v_mul_f32_e32 v195, v1, v10
	v_mul_f32_e32 v197, v3, v12
	s_delay_alu instid0(VALU_DEP_2) | instskip(NEXT) | instid1(VALU_DEP_2)
	v_fmac_f32_e32 v195, v2, v9
	v_dual_mul_f32 v2, v2, v10 :: v_dual_fmac_f32 v197, v4, v11
	s_delay_alu instid0(VALU_DEP_1) | instskip(SKIP_1) | instid1(VALU_DEP_1)
	v_fma_f32 v196, v1, v9, -v2
	v_mul_f32_e32 v1, v4, v12
	v_fma_f32 v198, v3, v11, -v1
	s_clause 0x1
	scratch_load_b128 v[1:4], off, off offset:360
	scratch_load_b128 v[9:12], off, off offset:376
	s_wait_loadcnt_dscnt 0x100
	v_mul_f32_e32 v199, v5, v2
	v_dual_mul_f32 v2, v6, v2 :: v_dual_mul_f32 v201, v7, v4
	s_delay_alu instid0(VALU_DEP_2) | instskip(NEXT) | instid1(VALU_DEP_2)
	v_fmac_f32_e32 v199, v6, v1
	v_fma_f32 v200, v5, v1, -v2
	v_mul_f32_e32 v1, v8, v4
	s_delay_alu instid0(VALU_DEP_4) | instskip(NEXT) | instid1(VALU_DEP_2)
	v_fmac_f32_e32 v201, v8, v3
	v_fma_f32 v202, v7, v3, -v1
	ds_load_2addr_b64 v[1:4], v21 offset0:109 offset1:110
	ds_load_2addr_b64 v[5:8], v21 offset0:111 offset1:112
	s_wait_loadcnt_dscnt 0x1
	v_mul_f32_e32 v203, v1, v10
	v_mul_f32_e32 v205, v3, v12
	s_delay_alu instid0(VALU_DEP_2) | instskip(NEXT) | instid1(VALU_DEP_2)
	v_fmac_f32_e32 v203, v2, v9
	v_dual_mul_f32 v2, v2, v10 :: v_dual_fmac_f32 v205, v4, v11
	s_delay_alu instid0(VALU_DEP_1) | instskip(SKIP_1) | instid1(VALU_DEP_1)
	v_fma_f32 v204, v1, v9, -v2
	v_mul_f32_e32 v1, v4, v12
	v_fma_f32 v206, v3, v11, -v1
	s_clause 0x1
	scratch_load_b128 v[1:4], off, off offset:392
	scratch_load_b128 v[9:12], off, off offset:408
	s_wait_loadcnt_dscnt 0x100
	v_mul_f32_e32 v207, v5, v2
	v_mul_f32_e32 v2, v6, v2
	s_delay_alu instid0(VALU_DEP_1) | instskip(SKIP_1) | instid1(VALU_DEP_1)
	v_fma_f32 v208, v5, v1, -v2
	v_add_f32_e32 v2, 0, v155
	v_add_f32_e32 v2, v2, v156
	s_delay_alu instid0(VALU_DEP_1) | instskip(NEXT) | instid1(VALU_DEP_1)
	v_add_f32_e32 v2, v2, v24
	v_add_f32_e32 v2, v2, v25
	s_delay_alu instid0(VALU_DEP_1) | instskip(NEXT) | instid1(VALU_DEP_1)
	;; [unrolled: 3-line block ×8, first 2 shown]
	v_add_f32_e32 v2, v2, v171
	v_dual_add_f32 v2, v2, v173 :: v_dual_mul_f32 v209, v7, v4
	v_fmac_f32_e32 v207, v6, v1
	s_delay_alu instid0(VALU_DEP_2) | instskip(NEXT) | instid1(VALU_DEP_1)
	v_add_f32_e32 v2, v2, v175
	v_dual_fmac_f32 v209, v8, v3 :: v_dual_add_f32 v2, v2, v177
	s_delay_alu instid0(VALU_DEP_1) | instskip(NEXT) | instid1(VALU_DEP_1)
	v_dual_mul_f32 v1, v8, v4 :: v_dual_add_f32 v2, v2, v179
	v_fma_f32 v210, v7, v3, -v1
	v_add_f32_e32 v1, 0, v22
	s_delay_alu instid0(VALU_DEP_3) | instskip(NEXT) | instid1(VALU_DEP_2)
	v_add_f32_e32 v5, v2, v181
	v_add_f32_e32 v1, v1, v23
	s_delay_alu instid0(VALU_DEP_1) | instskip(NEXT) | instid1(VALU_DEP_1)
	v_add_f32_e32 v1, v1, v26
	v_add_f32_e32 v1, v1, v27
	s_delay_alu instid0(VALU_DEP_1) | instskip(NEXT) | instid1(VALU_DEP_1)
	v_add_f32_e32 v1, v1, v28
	v_add_f32_e32 v1, v1, v29
	s_delay_alu instid0(VALU_DEP_1) | instskip(NEXT) | instid1(VALU_DEP_1)
	v_add_f32_e32 v1, v1, v13
	v_add_f32_e32 v1, v1, v14
	s_delay_alu instid0(VALU_DEP_1) | instskip(NEXT) | instid1(VALU_DEP_1)
	v_add_f32_e32 v1, v1, v16
	v_add_f32_e32 v1, v1, v17
	s_delay_alu instid0(VALU_DEP_1) | instskip(NEXT) | instid1(VALU_DEP_1)
	v_add_f32_e32 v1, v1, v160
	v_add_f32_e32 v1, v1, v161
	s_delay_alu instid0(VALU_DEP_1) | instskip(NEXT) | instid1(VALU_DEP_1)
	v_add_f32_e32 v1, v1, v165
	v_add_f32_e32 v1, v1, v166
	s_delay_alu instid0(VALU_DEP_1) | instskip(NEXT) | instid1(VALU_DEP_1)
	v_add_f32_e32 v1, v1, v168
	v_add_f32_e32 v1, v1, v170
	s_delay_alu instid0(VALU_DEP_1) | instskip(NEXT) | instid1(VALU_DEP_1)
	v_add_f32_e32 v1, v1, v172
	v_add_f32_e32 v1, v1, v174
	s_delay_alu instid0(VALU_DEP_1) | instskip(NEXT) | instid1(VALU_DEP_1)
	v_add_f32_e32 v1, v1, v176
	v_add_f32_e32 v1, v1, v178
	s_delay_alu instid0(VALU_DEP_1) | instskip(NEXT) | instid1(VALU_DEP_1)
	v_add_f32_e32 v1, v1, v180
	v_add_f32_e32 v1, v1, v182
	s_delay_alu instid0(VALU_DEP_1)
	v_add_f32_e32 v6, v1, v184
	v_add_f32_e32 v13, v5, v183
	ds_load_2addr_b64 v[1:4], v21 offset0:113 offset1:114
	v_add_f32_e32 v14, v6, v186
	scratch_load_b128 v[5:8], off, off offset:424
	v_dual_add_f32 v13, v13, v185 :: v_dual_add_f32 v14, v14, v188
	s_delay_alu instid0(VALU_DEP_1) | instskip(NEXT) | instid1(VALU_DEP_1)
	v_add_f32_e32 v13, v13, v187
	v_dual_add_f32 v17, v14, v190 :: v_dual_add_f32 v18, v13, v189
	ds_load_2addr_b64 v[13:16], v21 offset0:115 offset1:116
	v_add_f32_e32 v17, v17, v192
	s_wait_loadcnt_dscnt 0x101
	v_mul_f32_e32 v25, v1, v10
	v_mul_f32_e32 v10, v2, v10
	;; [unrolled: 1-line block ×4, first 2 shown]
	v_add_f32_e32 v18, v18, v191
	v_fmac_f32_e32 v25, v2, v9
	v_fma_f32 v27, v1, v9, -v10
	v_fmac_f32_e32 v26, v4, v11
	v_fma_f32 v28, v3, v11, -v12
	scratch_load_b128 v[1:4], off, off offset:440
	v_add_f32_e32 v17, v17, v194
	scratch_load_b128 v[9:12], off, off offset:456
	v_dual_add_f32 v18, v18, v193 :: v_dual_add_f32 v17, v17, v196
	s_delay_alu instid0(VALU_DEP_1) | instskip(SKIP_2) | instid1(VALU_DEP_1)
	v_dual_add_f32 v22, v18, v195 :: v_dual_add_f32 v23, v17, v198
	scratch_load_b128 v[17:20], off, off offset:472
	v_dual_add_f32 v22, v22, v197 :: v_dual_add_f32 v23, v23, v200
	v_add_f32_e32 v23, v23, v202
	s_wait_loadcnt_dscnt 0x300
	v_mul_f32_e32 v29, v13, v6
	v_mul_f32_e32 v6, v14, v6
	;; [unrolled: 1-line block ×3, first 2 shown]
	v_add_f32_e32 v22, v22, v199
	s_delay_alu instid0(VALU_DEP_4) | instskip(NEXT) | instid1(VALU_DEP_4)
	v_dual_mul_f32 v8, v16, v8 :: v_dual_fmac_f32 v29, v14, v5
	v_fma_f32 v155, v13, v5, -v6
	s_delay_alu instid0(VALU_DEP_3) | instskip(NEXT) | instid1(VALU_DEP_3)
	v_dual_fmac_f32 v32, v16, v7 :: v_dual_add_f32 v13, v22, v201
	v_fma_f32 v156, v15, v7, -v8
	ds_load_2addr_b64 v[5:8], v21 offset0:117 offset1:118
	v_dual_add_f32 v22, v23, v204 :: v_dual_add_f32 v23, v13, v203
	ds_load_2addr_b64 v[13:16], v21 offset0:119 offset1:120
	v_dual_add_f32 v158, v22, v206 :: v_dual_add_f32 v159, v23, v205
	;; [unrolled: 2-line block ×3, first 2 shown]
	s_delay_alu instid0(VALU_DEP_1) | instskip(SKIP_1) | instid1(VALU_DEP_1)
	v_dual_add_f32 v158, v158, v210 :: v_dual_add_f32 v159, v159, v209
	s_wait_loadcnt_dscnt 0x202
	v_dual_mul_f32 v160, v5, v2 :: v_dual_add_f32 v27, v158, v27
	s_delay_alu instid0(VALU_DEP_2) | instskip(SKIP_2) | instid1(VALU_DEP_4)
	v_dual_mul_f32 v2, v6, v2 :: v_dual_add_f32 v25, v159, v25
	v_mul_f32_e32 v158, v7, v4
	v_mul_f32_e32 v4, v8, v4
	v_add_f32_e32 v27, v27, v28
	s_delay_alu instid0(VALU_DEP_4) | instskip(SKIP_4) | instid1(VALU_DEP_3)
	v_fma_f32 v2, v5, v1, -v2
	v_dual_add_f32 v25, v25, v26 :: v_dual_fmac_f32 v160, v6, v1
	s_wait_loadcnt_dscnt 0x101
	v_mul_f32_e32 v159, v13, v10
	v_dual_add_f32 v27, v27, v155 :: v_dual_mul_f32 v6, v14, v10
	v_dual_add_f32 v25, v25, v29 :: v_dual_fmac_f32 v158, v8, v3
	v_fma_f32 v3, v7, v3, -v4
	s_delay_alu instid0(VALU_DEP_3) | instskip(SKIP_1) | instid1(VALU_DEP_4)
	v_add_f32_e32 v1, v27, v156
	v_mul_f32_e32 v161, v15, v12
	v_add_f32_e32 v5, v25, v32
	v_dual_mul_f32 v4, v16, v12 :: v_dual_fmac_f32 v159, v14, v9
	s_delay_alu instid0(VALU_DEP_4)
	v_add_f32_e32 v1, v1, v2
	s_wait_loadcnt_dscnt 0x0
	v_mul_f32_e32 v26, v21, v18
	v_add_f32_e32 v2, v5, v160
	v_fma_f32 v5, v13, v9, -v6
	v_fmac_f32_e32 v161, v16, v11
	v_add_f32_e32 v1, v1, v3
	v_mul_f32_e32 v3, v22, v18
	v_add_f32_e32 v2, v2, v158
	v_fma_f32 v4, v15, v11, -v4
	s_delay_alu instid0(VALU_DEP_4) | instskip(NEXT) | instid1(VALU_DEP_3)
	v_dual_mul_f32 v28, v23, v20 :: v_dual_add_f32 v1, v1, v5
	v_dual_mul_f32 v5, v24, v20 :: v_dual_add_f32 v2, v2, v159
	v_fmac_f32_e32 v26, v22, v17
	v_fma_f32 v3, v21, v17, -v3
	s_delay_alu instid0(VALU_DEP_4) | instskip(NEXT) | instid1(VALU_DEP_4)
	v_dual_add_f32 v1, v1, v4 :: v_dual_fmac_f32 v28, v24, v19
	v_add_f32_e32 v2, v2, v161
	v_fma_f32 v4, v23, v19, -v5
	s_delay_alu instid0(VALU_DEP_2) | instskip(NEXT) | instid1(VALU_DEP_1)
	v_dual_add_f32 v1, v1, v3 :: v_dual_add_f32 v2, v2, v26
	v_add_f32_e32 v1, v1, v4
	s_delay_alu instid0(VALU_DEP_2) | instskip(NEXT) | instid1(VALU_DEP_1)
	v_add_f32_e32 v2, v2, v28
	v_dual_sub_f32 v1, v30, v1 :: v_dual_sub_f32 v2, v31, v2
	scratch_store_b64 off, v[1:2], off offset:112
	v_cmpx_lt_u32_e32 13, v0
	s_cbranch_execz .LBB124_353
; %bb.352:
	scratch_load_b64 v[1:2], off, off offset:104
	v_mov_b32_e32 v3, 0
	s_delay_alu instid0(VALU_DEP_1)
	v_mov_b32_e32 v4, v3
	scratch_store_b64 off, v[3:4], off offset:104
	s_wait_loadcnt 0x0
	ds_store_b64 v157, v[1:2]
.LBB124_353:
	s_wait_alu 0xfffe
	s_or_b32 exec_lo, exec_lo, s0
	s_wait_storecnt_dscnt 0x0
	s_barrier_signal -1
	s_barrier_wait -1
	global_inv scope:SCOPE_SE
	s_clause 0x4
	scratch_load_b128 v[5:8], off, off offset:112
	scratch_load_b128 v[1:4], off, off offset:128
	;; [unrolled: 1-line block ×5, first 2 shown]
	v_mov_b32_e32 v21, 0
	ds_load_b128 v[22:25], v21 offset:608
	ds_load_b128 v[26:29], v21 offset:624
	;; [unrolled: 1-line block ×3, first 2 shown]
	scratch_load_b64 v[30:31], off, off offset:104
	s_mov_b32 s0, exec_lo
	s_wait_loadcnt_dscnt 0x502
	v_mul_f32_e32 v32, v23, v6
	v_dual_mul_f32 v155, v22, v6 :: v_dual_mul_f32 v156, v24, v8
	v_mul_f32_e32 v6, v25, v8
	s_wait_loadcnt_dscnt 0x300
	v_mul_f32_e32 v162, v160, v12
	v_fma_f32 v22, v22, v5, -v32
	v_dual_fmac_f32 v155, v23, v5 :: v_dual_fmac_f32 v156, v25, v7
	v_mul_f32_e32 v25, v28, v4
	v_fma_f32 v23, v24, v7, -v6
	ds_load_b128 v[5:8], v21 offset:656
	v_mul_f32_e32 v24, v26, v2
	v_mul_f32_e32 v4, v29, v4
	;; [unrolled: 1-line block ×5, first 2 shown]
	v_dual_mul_f32 v2, v27, v2 :: v_dual_fmac_f32 v25, v29, v3
	v_fmac_f32_e32 v24, v27, v1
	v_fma_f32 v27, v28, v3, -v4
	v_fmac_f32_e32 v32, v159, v9
	v_fma_f32 v28, v158, v9, -v10
	;; [unrolled: 2-line block ×3, first 2 shown]
	ds_load_b128 v[9:12], v21 offset:672
	s_wait_loadcnt_dscnt 0x201
	v_dual_mul_f32 v159, v7, v16 :: v_dual_mul_f32 v158, v5, v14
	v_mul_f32_e32 v14, v6, v14
	v_mul_f32_e32 v16, v8, v16
	s_delay_alu instid0(VALU_DEP_3)
	v_fmac_f32_e32 v159, v8, v15
	v_fma_f32 v26, v26, v1, -v2
	scratch_load_b128 v[1:4], off, off offset:192
	v_fmac_f32_e32 v158, v6, v13
	v_fma_f32 v13, v5, v13, -v14
	v_fma_f32 v14, v7, v15, -v16
	ds_load_b128 v[5:8], v21 offset:688
	s_wait_loadcnt_dscnt 0x201
	v_mul_f32_e32 v15, v9, v18
	v_mul_f32_e32 v16, v10, v18
	;; [unrolled: 1-line block ×3, first 2 shown]
	s_delay_alu instid0(VALU_DEP_3) | instskip(NEXT) | instid1(VALU_DEP_3)
	v_dual_mul_f32 v20, v12, v20 :: v_dual_fmac_f32 v15, v10, v17
	v_fma_f32 v16, v9, v17, -v16
	s_delay_alu instid0(VALU_DEP_3) | instskip(NEXT) | instid1(VALU_DEP_3)
	v_fmac_f32_e32 v18, v12, v19
	v_fma_f32 v17, v11, v19, -v20
	scratch_load_b128 v[9:12], off, off offset:208
	s_wait_loadcnt_dscnt 0x100
	v_mul_f32_e32 v19, v5, v2
	v_mul_f32_e32 v2, v6, v2
	;; [unrolled: 1-line block ×3, first 2 shown]
	s_delay_alu instid0(VALU_DEP_3) | instskip(NEXT) | instid1(VALU_DEP_3)
	v_dual_mul_f32 v4, v8, v4 :: v_dual_fmac_f32 v19, v6, v1
	v_fma_f32 v160, v5, v1, -v2
	s_delay_alu instid0(VALU_DEP_3) | instskip(NEXT) | instid1(VALU_DEP_3)
	v_fmac_f32_e32 v20, v8, v3
	v_fma_f32 v161, v7, v3, -v4
	ds_load_b128 v[1:4], v21 offset:704
	ds_load_b128 v[5:8], v21 offset:720
	s_wait_loadcnt_dscnt 0x1
	v_mul_f32_e32 v163, v1, v10
	v_mul_f32_e32 v10, v2, v10
	s_delay_alu instid0(VALU_DEP_2) | instskip(NEXT) | instid1(VALU_DEP_2)
	v_dual_mul_f32 v164, v3, v12 :: v_dual_fmac_f32 v163, v2, v9
	v_fma_f32 v165, v1, v9, -v10
	v_mul_f32_e32 v1, v4, v12
	s_delay_alu instid0(VALU_DEP_3) | instskip(NEXT) | instid1(VALU_DEP_2)
	v_fmac_f32_e32 v164, v4, v11
	v_fma_f32 v166, v3, v11, -v1
	s_clause 0x1
	scratch_load_b128 v[1:4], off, off offset:224
	scratch_load_b128 v[9:12], off, off offset:240
	s_wait_loadcnt_dscnt 0x100
	v_mul_f32_e32 v167, v5, v2
	v_dual_mul_f32 v2, v6, v2 :: v_dual_mul_f32 v169, v7, v4
	s_delay_alu instid0(VALU_DEP_2) | instskip(NEXT) | instid1(VALU_DEP_2)
	v_fmac_f32_e32 v167, v6, v1
	v_fma_f32 v168, v5, v1, -v2
	v_mul_f32_e32 v1, v8, v4
	s_delay_alu instid0(VALU_DEP_4) | instskip(NEXT) | instid1(VALU_DEP_2)
	v_fmac_f32_e32 v169, v8, v3
	v_fma_f32 v170, v7, v3, -v1
	ds_load_b128 v[1:4], v21 offset:736
	ds_load_b128 v[5:8], v21 offset:752
	s_wait_loadcnt_dscnt 0x1
	v_mul_f32_e32 v171, v1, v10
	v_mul_f32_e32 v173, v3, v12
	s_delay_alu instid0(VALU_DEP_2) | instskip(NEXT) | instid1(VALU_DEP_2)
	v_fmac_f32_e32 v171, v2, v9
	v_dual_mul_f32 v2, v2, v10 :: v_dual_fmac_f32 v173, v4, v11
	s_delay_alu instid0(VALU_DEP_1) | instskip(SKIP_1) | instid1(VALU_DEP_1)
	v_fma_f32 v172, v1, v9, -v2
	v_mul_f32_e32 v1, v4, v12
	v_fma_f32 v174, v3, v11, -v1
	s_clause 0x1
	scratch_load_b128 v[1:4], off, off offset:256
	scratch_load_b128 v[9:12], off, off offset:272
	s_wait_loadcnt_dscnt 0x100
	v_mul_f32_e32 v175, v5, v2
	v_dual_mul_f32 v2, v6, v2 :: v_dual_mul_f32 v177, v7, v4
	s_delay_alu instid0(VALU_DEP_2) | instskip(NEXT) | instid1(VALU_DEP_2)
	v_fmac_f32_e32 v175, v6, v1
	v_fma_f32 v176, v5, v1, -v2
	v_mul_f32_e32 v1, v8, v4
	s_delay_alu instid0(VALU_DEP_4) | instskip(NEXT) | instid1(VALU_DEP_2)
	v_fmac_f32_e32 v177, v8, v3
	v_fma_f32 v178, v7, v3, -v1
	ds_load_b128 v[1:4], v21 offset:768
	ds_load_b128 v[5:8], v21 offset:784
	s_wait_loadcnt_dscnt 0x1
	v_mul_f32_e32 v179, v1, v10
	v_mul_f32_e32 v181, v3, v12
	s_delay_alu instid0(VALU_DEP_2) | instskip(NEXT) | instid1(VALU_DEP_2)
	v_fmac_f32_e32 v179, v2, v9
	v_dual_mul_f32 v2, v2, v10 :: v_dual_fmac_f32 v181, v4, v11
	s_delay_alu instid0(VALU_DEP_1) | instskip(SKIP_1) | instid1(VALU_DEP_1)
	v_fma_f32 v180, v1, v9, -v2
	v_mul_f32_e32 v1, v4, v12
	v_fma_f32 v182, v3, v11, -v1
	s_clause 0x1
	scratch_load_b128 v[1:4], off, off offset:288
	scratch_load_b128 v[9:12], off, off offset:304
	s_wait_loadcnt_dscnt 0x100
	v_mul_f32_e32 v183, v5, v2
	v_dual_mul_f32 v2, v6, v2 :: v_dual_mul_f32 v185, v7, v4
	s_delay_alu instid0(VALU_DEP_1) | instskip(NEXT) | instid1(VALU_DEP_3)
	v_fma_f32 v184, v5, v1, -v2
	v_fmac_f32_e32 v183, v6, v1
	v_mul_f32_e32 v1, v8, v4
	s_delay_alu instid0(VALU_DEP_4) | instskip(NEXT) | instid1(VALU_DEP_2)
	v_fmac_f32_e32 v185, v8, v3
	v_fma_f32 v186, v7, v3, -v1
	ds_load_b128 v[1:4], v21 offset:800
	ds_load_b128 v[5:8], v21 offset:816
	s_wait_loadcnt_dscnt 0x1
	v_mul_f32_e32 v187, v1, v10
	v_mul_f32_e32 v189, v3, v12
	s_delay_alu instid0(VALU_DEP_2) | instskip(NEXT) | instid1(VALU_DEP_2)
	v_fmac_f32_e32 v187, v2, v9
	v_dual_mul_f32 v2, v2, v10 :: v_dual_fmac_f32 v189, v4, v11
	s_delay_alu instid0(VALU_DEP_1) | instskip(SKIP_1) | instid1(VALU_DEP_1)
	v_fma_f32 v188, v1, v9, -v2
	v_mul_f32_e32 v1, v4, v12
	v_fma_f32 v190, v3, v11, -v1
	s_clause 0x1
	scratch_load_b128 v[1:4], off, off offset:320
	scratch_load_b128 v[9:12], off, off offset:336
	s_wait_loadcnt_dscnt 0x100
	v_mul_f32_e32 v191, v5, v2
	v_dual_mul_f32 v2, v6, v2 :: v_dual_mul_f32 v193, v7, v4
	s_delay_alu instid0(VALU_DEP_2) | instskip(NEXT) | instid1(VALU_DEP_2)
	v_fmac_f32_e32 v191, v6, v1
	v_fma_f32 v192, v5, v1, -v2
	v_mul_f32_e32 v1, v8, v4
	s_delay_alu instid0(VALU_DEP_4) | instskip(NEXT) | instid1(VALU_DEP_2)
	v_fmac_f32_e32 v193, v8, v3
	v_fma_f32 v194, v7, v3, -v1
	ds_load_b128 v[1:4], v21 offset:832
	ds_load_b128 v[5:8], v21 offset:848
	s_wait_loadcnt_dscnt 0x1
	v_mul_f32_e32 v195, v1, v10
	v_mul_f32_e32 v197, v3, v12
	s_delay_alu instid0(VALU_DEP_2) | instskip(NEXT) | instid1(VALU_DEP_2)
	v_fmac_f32_e32 v195, v2, v9
	v_dual_mul_f32 v2, v2, v10 :: v_dual_fmac_f32 v197, v4, v11
	s_delay_alu instid0(VALU_DEP_1) | instskip(SKIP_1) | instid1(VALU_DEP_1)
	v_fma_f32 v196, v1, v9, -v2
	v_mul_f32_e32 v1, v4, v12
	v_fma_f32 v198, v3, v11, -v1
	s_clause 0x1
	scratch_load_b128 v[1:4], off, off offset:352
	scratch_load_b128 v[9:12], off, off offset:368
	s_wait_loadcnt_dscnt 0x100
	v_mul_f32_e32 v199, v5, v2
	v_dual_mul_f32 v2, v6, v2 :: v_dual_mul_f32 v201, v7, v4
	s_delay_alu instid0(VALU_DEP_2) | instskip(NEXT) | instid1(VALU_DEP_2)
	v_fmac_f32_e32 v199, v6, v1
	v_fma_f32 v200, v5, v1, -v2
	v_mul_f32_e32 v1, v8, v4
	s_delay_alu instid0(VALU_DEP_4) | instskip(NEXT) | instid1(VALU_DEP_2)
	v_fmac_f32_e32 v201, v8, v3
	v_fma_f32 v202, v7, v3, -v1
	ds_load_b128 v[1:4], v21 offset:864
	ds_load_b128 v[5:8], v21 offset:880
	s_wait_loadcnt_dscnt 0x1
	v_mul_f32_e32 v203, v1, v10
	v_mul_f32_e32 v205, v3, v12
	s_delay_alu instid0(VALU_DEP_2) | instskip(NEXT) | instid1(VALU_DEP_2)
	v_fmac_f32_e32 v203, v2, v9
	v_dual_mul_f32 v2, v2, v10 :: v_dual_fmac_f32 v205, v4, v11
	s_delay_alu instid0(VALU_DEP_1) | instskip(SKIP_1) | instid1(VALU_DEP_1)
	v_fma_f32 v204, v1, v9, -v2
	v_mul_f32_e32 v1, v4, v12
	v_fma_f32 v206, v3, v11, -v1
	s_clause 0x1
	scratch_load_b128 v[1:4], off, off offset:384
	scratch_load_b128 v[9:12], off, off offset:400
	s_wait_loadcnt_dscnt 0x100
	v_mul_f32_e32 v207, v5, v2
	v_mul_f32_e32 v2, v6, v2
	s_delay_alu instid0(VALU_DEP_1) | instskip(SKIP_1) | instid1(VALU_DEP_1)
	v_fma_f32 v208, v5, v1, -v2
	v_add_f32_e32 v2, 0, v155
	v_add_f32_e32 v2, v2, v156
	s_delay_alu instid0(VALU_DEP_1) | instskip(NEXT) | instid1(VALU_DEP_1)
	v_add_f32_e32 v2, v2, v24
	v_add_f32_e32 v2, v2, v25
	s_delay_alu instid0(VALU_DEP_1) | instskip(NEXT) | instid1(VALU_DEP_1)
	v_add_f32_e32 v2, v2, v32
	v_add_f32_e32 v2, v2, v162
	s_delay_alu instid0(VALU_DEP_1) | instskip(NEXT) | instid1(VALU_DEP_1)
	v_add_f32_e32 v2, v2, v158
	v_add_f32_e32 v2, v2, v159
	s_delay_alu instid0(VALU_DEP_1) | instskip(NEXT) | instid1(VALU_DEP_1)
	v_add_f32_e32 v2, v2, v15
	v_add_f32_e32 v2, v2, v18
	s_delay_alu instid0(VALU_DEP_1) | instskip(NEXT) | instid1(VALU_DEP_1)
	v_add_f32_e32 v2, v2, v19
	v_add_f32_e32 v2, v2, v20
	s_delay_alu instid0(VALU_DEP_1) | instskip(NEXT) | instid1(VALU_DEP_1)
	v_add_f32_e32 v2, v2, v163
	v_add_f32_e32 v2, v2, v164
	s_delay_alu instid0(VALU_DEP_1) | instskip(NEXT) | instid1(VALU_DEP_1)
	v_add_f32_e32 v2, v2, v167
	v_add_f32_e32 v2, v2, v169
	s_delay_alu instid0(VALU_DEP_1) | instskip(NEXT) | instid1(VALU_DEP_1)
	v_add_f32_e32 v2, v2, v171
	v_add_f32_e32 v2, v2, v173
	s_delay_alu instid0(VALU_DEP_1) | instskip(SKIP_1) | instid1(VALU_DEP_2)
	v_add_f32_e32 v2, v2, v175
	v_fmac_f32_e32 v207, v6, v1
	v_dual_mul_f32 v209, v7, v4 :: v_dual_add_f32 v2, v2, v177
	s_delay_alu instid0(VALU_DEP_1) | instskip(NEXT) | instid1(VALU_DEP_1)
	v_dual_mul_f32 v1, v8, v4 :: v_dual_add_f32 v2, v2, v179
	v_fma_f32 v210, v7, v3, -v1
	v_add_f32_e32 v1, 0, v22
	s_delay_alu instid0(VALU_DEP_3) | instskip(NEXT) | instid1(VALU_DEP_2)
	v_add_f32_e32 v5, v2, v181
	v_add_f32_e32 v1, v1, v23
	s_delay_alu instid0(VALU_DEP_1) | instskip(NEXT) | instid1(VALU_DEP_1)
	v_add_f32_e32 v1, v1, v26
	v_add_f32_e32 v1, v1, v27
	scratch_load_b64 v[26:27], off, off offset:480
	v_add_f32_e32 v1, v1, v28
	s_delay_alu instid0(VALU_DEP_1) | instskip(NEXT) | instid1(VALU_DEP_1)
	v_add_f32_e32 v1, v1, v29
	v_add_f32_e32 v1, v1, v13
	s_delay_alu instid0(VALU_DEP_1) | instskip(NEXT) | instid1(VALU_DEP_1)
	v_add_f32_e32 v1, v1, v14
	;; [unrolled: 3-line block ×9, first 2 shown]
	v_dual_add_f32 v6, v1, v184 :: v_dual_fmac_f32 v209, v8, v3
	scratch_load_b128 v[1:4], off, off offset:416
	v_dual_add_f32 v13, v5, v183 :: v_dual_add_f32 v14, v6, v186
	ds_load_b128 v[5:8], v21 offset:896
	v_dual_add_f32 v13, v13, v185 :: v_dual_add_f32 v14, v14, v188
	s_delay_alu instid0(VALU_DEP_1) | instskip(NEXT) | instid1(VALU_DEP_1)
	v_add_f32_e32 v13, v13, v187
	v_dual_add_f32 v17, v14, v190 :: v_dual_add_f32 v18, v13, v189
	ds_load_b128 v[13:16], v21 offset:912
	v_add_f32_e32 v17, v17, v192
	s_delay_alu instid0(VALU_DEP_1)
	v_add_f32_e32 v17, v17, v194
	s_wait_loadcnt_dscnt 0x201
	v_mul_f32_e32 v155, v7, v12
	v_mul_f32_e32 v12, v8, v12
	v_add_f32_e32 v18, v18, v191
	v_mul_f32_e32 v32, v5, v10
	v_dual_mul_f32 v10, v6, v10 :: v_dual_add_f32 v17, v17, v196
	s_delay_alu instid0(VALU_DEP_3) | instskip(NEXT) | instid1(VALU_DEP_3)
	v_dual_fmac_f32 v155, v8, v11 :: v_dual_add_f32 v18, v18, v193
	v_fmac_f32_e32 v32, v6, v9
	s_delay_alu instid0(VALU_DEP_3)
	v_fma_f32 v156, v5, v9, -v10
	v_fma_f32 v158, v7, v11, -v12
	s_clause 0x1
	scratch_load_b128 v[5:8], off, off offset:432
	scratch_load_b128 v[9:12], off, off offset:448
	s_wait_loadcnt_dscnt 0x200
	v_dual_add_f32 v23, v17, v198 :: v_dual_mul_f32 v160, v15, v4
	v_add_f32_e32 v22, v18, v195
	scratch_load_b128 v[17:20], off, off offset:464
	v_add_f32_e32 v23, v23, v200
	v_dual_mul_f32 v4, v16, v4 :: v_dual_mul_f32 v159, v13, v2
	v_add_f32_e32 v22, v22, v197
	v_mul_f32_e32 v2, v14, v2
	s_delay_alu instid0(VALU_DEP_4) | instskip(NEXT) | instid1(VALU_DEP_4)
	v_dual_add_f32 v23, v23, v202 :: v_dual_fmac_f32 v160, v16, v3
	v_fmac_f32_e32 v159, v14, v1
	s_delay_alu instid0(VALU_DEP_4) | instskip(NEXT) | instid1(VALU_DEP_4)
	v_add_f32_e32 v22, v22, v199
	v_fma_f32 v161, v13, v1, -v2
	s_delay_alu instid0(VALU_DEP_4) | instskip(SKIP_3) | instid1(VALU_DEP_1)
	v_add_f32_e32 v23, v23, v204
	v_fma_f32 v162, v15, v3, -v4
	ds_load_b128 v[1:4], v21 offset:928
	v_add_f32_e32 v22, v22, v201
	v_dual_add_f32 v14, v23, v206 :: v_dual_add_f32 v13, v22, v203
	s_delay_alu instid0(VALU_DEP_1) | instskip(NEXT) | instid1(VALU_DEP_2)
	v_add_f32_e32 v28, v14, v208
	v_add_f32_e32 v22, v13, v205
	ds_load_b128 v[13:16], v21 offset:944
	v_add_f32_e32 v163, v28, v210
	v_add_f32_e32 v29, v22, v207
	ds_load_b128 v[22:25], v21 offset:960
	s_wait_loadcnt_dscnt 0x202
	v_dual_add_f32 v156, v163, v156 :: v_dual_mul_f32 v163, v1, v6
	v_add_f32_e32 v164, v29, v209
	ds_load_b64 v[28:29], v21 offset:976
	v_add_f32_e32 v156, v156, v158
	v_mul_f32_e32 v6, v2, v6
	v_dual_fmac_f32 v163, v2, v5 :: v_dual_add_f32 v32, v164, v32
	s_delay_alu instid0(VALU_DEP_3) | instskip(NEXT) | instid1(VALU_DEP_3)
	v_add_f32_e32 v156, v156, v161
	v_fma_f32 v1, v1, v5, -v6
	s_delay_alu instid0(VALU_DEP_3)
	v_add_f32_e32 v32, v32, v155
	s_wait_loadcnt_dscnt 0x102
	v_mul_f32_e32 v158, v13, v10
	v_add_f32_e32 v156, v156, v162
	v_mul_f32_e32 v5, v16, v12
	v_dual_add_f32 v32, v32, v159 :: v_dual_mul_f32 v159, v15, v12
	s_delay_alu instid0(VALU_DEP_3) | instskip(SKIP_1) | instid1(VALU_DEP_4)
	v_add_f32_e32 v1, v156, v1
	v_fmac_f32_e32 v158, v14, v9
	v_fma_f32 v5, v15, v11, -v5
	s_delay_alu instid0(VALU_DEP_4) | instskip(SKIP_3) | instid1(VALU_DEP_1)
	v_add_f32_e32 v32, v32, v160
	v_fmac_f32_e32 v159, v16, v11
	s_wait_dscnt 0x0
	v_mul_f32_e32 v160, v28, v27
	v_fmac_f32_e32 v160, v29, v26
	s_wait_loadcnt 0x0
	v_dual_mul_f32 v162, v24, v20 :: v_dual_mul_f32 v161, v22, v18
	s_delay_alu instid0(VALU_DEP_1) | instskip(NEXT) | instid1(VALU_DEP_2)
	v_dual_fmac_f32 v162, v25, v19 :: v_dual_mul_f32 v155, v3, v8
	v_dual_mul_f32 v8, v4, v8 :: v_dual_fmac_f32 v161, v23, v17
	s_delay_alu instid0(VALU_DEP_2) | instskip(NEXT) | instid1(VALU_DEP_2)
	v_fmac_f32_e32 v155, v4, v7
	v_fma_f32 v2, v3, v7, -v8
	v_dual_mul_f32 v3, v14, v10 :: v_dual_add_f32 v4, v32, v163
	s_delay_alu instid0(VALU_DEP_2) | instskip(NEXT) | instid1(VALU_DEP_2)
	v_add_f32_e32 v1, v1, v2
	v_fma_f32 v3, v13, v9, -v3
	s_delay_alu instid0(VALU_DEP_3) | instskip(NEXT) | instid1(VALU_DEP_2)
	v_add_f32_e32 v2, v4, v155
	v_dual_mul_f32 v4, v23, v18 :: v_dual_add_f32 v1, v1, v3
	s_delay_alu instid0(VALU_DEP_2) | instskip(NEXT) | instid1(VALU_DEP_2)
	v_dual_add_f32 v2, v2, v158 :: v_dual_mul_f32 v3, v25, v20
	v_fma_f32 v4, v22, v17, -v4
	s_delay_alu instid0(VALU_DEP_2) | instskip(SKIP_1) | instid1(VALU_DEP_4)
	v_dual_add_f32 v1, v1, v5 :: v_dual_add_f32 v2, v2, v159
	v_mul_f32_e32 v5, v29, v27
	v_fma_f32 v3, v24, v19, -v3
	s_delay_alu instid0(VALU_DEP_3) | instskip(NEXT) | instid1(VALU_DEP_3)
	v_dual_add_f32 v1, v1, v4 :: v_dual_add_f32 v2, v2, v161
	v_fma_f32 v4, v28, v26, -v5
	s_delay_alu instid0(VALU_DEP_2) | instskip(NEXT) | instid1(VALU_DEP_1)
	v_dual_add_f32 v1, v1, v3 :: v_dual_add_f32 v2, v2, v162
	v_add_f32_e32 v1, v1, v4
	s_delay_alu instid0(VALU_DEP_2) | instskip(NEXT) | instid1(VALU_DEP_1)
	v_add_f32_e32 v2, v2, v160
	v_dual_sub_f32 v1, v30, v1 :: v_dual_sub_f32 v2, v31, v2
	scratch_store_b64 off, v[1:2], off offset:104
	v_cmpx_lt_u32_e32 12, v0
	s_cbranch_execz .LBB124_355
; %bb.354:
	scratch_load_b64 v[1:2], off, off offset:96
	v_mov_b32_e32 v22, v21
	scratch_store_b64 off, v[21:22], off offset:96
	s_wait_loadcnt 0x0
	ds_store_b64 v157, v[1:2]
.LBB124_355:
	s_wait_alu 0xfffe
	s_or_b32 exec_lo, exec_lo, s0
	s_wait_storecnt_dscnt 0x0
	s_barrier_signal -1
	s_barrier_wait -1
	global_inv scope:SCOPE_SE
	s_clause 0x4
	scratch_load_b128 v[5:8], off, off offset:104
	scratch_load_b128 v[1:4], off, off offset:120
	;; [unrolled: 1-line block ×5, first 2 shown]
	ds_load_2addr_b64 v[22:25], v21 offset0:75 offset1:76
	ds_load_2addr_b64 v[26:29], v21 offset0:77 offset1:78
	;; [unrolled: 1-line block ×3, first 2 shown]
	scratch_load_b64 v[30:31], off, off offset:96
	s_mov_b32 s0, exec_lo
	s_wait_loadcnt_dscnt 0x502
	v_mul_f32_e32 v32, v23, v6
	v_dual_mul_f32 v155, v22, v6 :: v_dual_mul_f32 v156, v24, v8
	v_mul_f32_e32 v6, v25, v8
	s_wait_loadcnt_dscnt 0x300
	v_mul_f32_e32 v162, v160, v12
	s_delay_alu instid0(VALU_DEP_3)
	v_dual_mul_f32 v12, v161, v12 :: v_dual_fmac_f32 v155, v23, v5
	v_fmac_f32_e32 v156, v25, v7
	v_fma_f32 v23, v24, v7, -v6
	v_mul_f32_e32 v25, v28, v4
	v_fma_f32 v22, v22, v5, -v32
	ds_load_2addr_b64 v[5:8], v21 offset0:81 offset1:82
	v_mul_f32_e32 v24, v26, v2
	v_mul_f32_e32 v4, v29, v4
	v_mul_f32_e32 v32, v158, v10
	v_mul_f32_e32 v10, v159, v10
	v_dual_mul_f32 v2, v27, v2 :: v_dual_fmac_f32 v25, v29, v3
	v_fmac_f32_e32 v24, v27, v1
	v_fma_f32 v27, v28, v3, -v4
	v_fmac_f32_e32 v32, v159, v9
	v_fma_f32 v28, v158, v9, -v10
	;; [unrolled: 2-line block ×3, first 2 shown]
	ds_load_2addr_b64 v[9:12], v21 offset0:83 offset1:84
	s_wait_loadcnt_dscnt 0x201
	v_dual_mul_f32 v159, v7, v16 :: v_dual_mul_f32 v158, v5, v14
	v_mul_f32_e32 v14, v6, v14
	v_mul_f32_e32 v16, v8, v16
	s_delay_alu instid0(VALU_DEP_3)
	v_fmac_f32_e32 v159, v8, v15
	v_fma_f32 v26, v26, v1, -v2
	scratch_load_b128 v[1:4], off, off offset:184
	v_fmac_f32_e32 v158, v6, v13
	v_fma_f32 v13, v5, v13, -v14
	v_fma_f32 v14, v7, v15, -v16
	ds_load_2addr_b64 v[5:8], v21 offset0:85 offset1:86
	s_wait_loadcnt_dscnt 0x201
	v_mul_f32_e32 v15, v9, v18
	v_mul_f32_e32 v16, v10, v18
	;; [unrolled: 1-line block ×3, first 2 shown]
	s_delay_alu instid0(VALU_DEP_3) | instskip(NEXT) | instid1(VALU_DEP_3)
	v_dual_mul_f32 v20, v12, v20 :: v_dual_fmac_f32 v15, v10, v17
	v_fma_f32 v16, v9, v17, -v16
	s_delay_alu instid0(VALU_DEP_3) | instskip(NEXT) | instid1(VALU_DEP_3)
	v_fmac_f32_e32 v18, v12, v19
	v_fma_f32 v17, v11, v19, -v20
	scratch_load_b128 v[9:12], off, off offset:200
	s_wait_loadcnt_dscnt 0x100
	v_mul_f32_e32 v19, v5, v2
	v_mul_f32_e32 v2, v6, v2
	;; [unrolled: 1-line block ×3, first 2 shown]
	s_delay_alu instid0(VALU_DEP_3) | instskip(NEXT) | instid1(VALU_DEP_3)
	v_dual_mul_f32 v4, v8, v4 :: v_dual_fmac_f32 v19, v6, v1
	v_fma_f32 v160, v5, v1, -v2
	s_delay_alu instid0(VALU_DEP_3) | instskip(NEXT) | instid1(VALU_DEP_3)
	v_fmac_f32_e32 v20, v8, v3
	v_fma_f32 v161, v7, v3, -v4
	ds_load_2addr_b64 v[1:4], v21 offset0:87 offset1:88
	ds_load_2addr_b64 v[5:8], v21 offset0:89 offset1:90
	s_wait_loadcnt_dscnt 0x1
	v_mul_f32_e32 v163, v1, v10
	v_mul_f32_e32 v10, v2, v10
	s_delay_alu instid0(VALU_DEP_2) | instskip(NEXT) | instid1(VALU_DEP_2)
	v_dual_mul_f32 v164, v3, v12 :: v_dual_fmac_f32 v163, v2, v9
	v_fma_f32 v165, v1, v9, -v10
	v_mul_f32_e32 v1, v4, v12
	s_delay_alu instid0(VALU_DEP_3) | instskip(NEXT) | instid1(VALU_DEP_2)
	v_fmac_f32_e32 v164, v4, v11
	v_fma_f32 v166, v3, v11, -v1
	s_clause 0x1
	scratch_load_b128 v[1:4], off, off offset:216
	scratch_load_b128 v[9:12], off, off offset:232
	s_wait_loadcnt_dscnt 0x100
	v_mul_f32_e32 v167, v5, v2
	v_dual_mul_f32 v2, v6, v2 :: v_dual_mul_f32 v169, v7, v4
	s_delay_alu instid0(VALU_DEP_2) | instskip(NEXT) | instid1(VALU_DEP_2)
	v_fmac_f32_e32 v167, v6, v1
	v_fma_f32 v168, v5, v1, -v2
	v_mul_f32_e32 v1, v8, v4
	s_delay_alu instid0(VALU_DEP_4) | instskip(NEXT) | instid1(VALU_DEP_2)
	v_fmac_f32_e32 v169, v8, v3
	v_fma_f32 v170, v7, v3, -v1
	ds_load_2addr_b64 v[1:4], v21 offset0:91 offset1:92
	ds_load_2addr_b64 v[5:8], v21 offset0:93 offset1:94
	s_wait_loadcnt_dscnt 0x1
	v_mul_f32_e32 v171, v1, v10
	v_mul_f32_e32 v173, v3, v12
	s_delay_alu instid0(VALU_DEP_2) | instskip(NEXT) | instid1(VALU_DEP_2)
	v_fmac_f32_e32 v171, v2, v9
	v_dual_mul_f32 v2, v2, v10 :: v_dual_fmac_f32 v173, v4, v11
	s_delay_alu instid0(VALU_DEP_1) | instskip(SKIP_1) | instid1(VALU_DEP_1)
	v_fma_f32 v172, v1, v9, -v2
	v_mul_f32_e32 v1, v4, v12
	v_fma_f32 v174, v3, v11, -v1
	s_clause 0x1
	scratch_load_b128 v[1:4], off, off offset:248
	scratch_load_b128 v[9:12], off, off offset:264
	s_wait_loadcnt_dscnt 0x100
	v_mul_f32_e32 v175, v5, v2
	v_dual_mul_f32 v2, v6, v2 :: v_dual_mul_f32 v177, v7, v4
	s_delay_alu instid0(VALU_DEP_2) | instskip(NEXT) | instid1(VALU_DEP_2)
	v_fmac_f32_e32 v175, v6, v1
	v_fma_f32 v176, v5, v1, -v2
	v_mul_f32_e32 v1, v8, v4
	s_delay_alu instid0(VALU_DEP_4) | instskip(NEXT) | instid1(VALU_DEP_2)
	v_fmac_f32_e32 v177, v8, v3
	v_fma_f32 v178, v7, v3, -v1
	ds_load_2addr_b64 v[1:4], v21 offset0:95 offset1:96
	ds_load_2addr_b64 v[5:8], v21 offset0:97 offset1:98
	s_wait_loadcnt_dscnt 0x1
	v_mul_f32_e32 v179, v1, v10
	v_mul_f32_e32 v181, v3, v12
	s_delay_alu instid0(VALU_DEP_2) | instskip(NEXT) | instid1(VALU_DEP_2)
	v_fmac_f32_e32 v179, v2, v9
	v_dual_mul_f32 v2, v2, v10 :: v_dual_fmac_f32 v181, v4, v11
	s_delay_alu instid0(VALU_DEP_1) | instskip(SKIP_1) | instid1(VALU_DEP_1)
	v_fma_f32 v180, v1, v9, -v2
	v_mul_f32_e32 v1, v4, v12
	;; [unrolled: 25-line block ×6, first 2 shown]
	v_fma_f32 v214, v3, v11, -v1
	s_clause 0x1
	scratch_load_b128 v[1:4], off, off offset:408
	scratch_load_b128 v[9:12], off, off offset:424
	s_wait_loadcnt_dscnt 0x100
	v_mul_f32_e32 v215, v5, v2
	v_mul_f32_e32 v2, v6, v2
	s_delay_alu instid0(VALU_DEP_2) | instskip(NEXT) | instid1(VALU_DEP_2)
	v_fmac_f32_e32 v215, v6, v1
	v_fma_f32 v216, v5, v1, -v2
	v_dual_add_f32 v2, 0, v155 :: v_dual_mul_f32 v1, v8, v4
	s_delay_alu instid0(VALU_DEP_1) | instskip(NEXT) | instid1(VALU_DEP_2)
	v_add_f32_e32 v2, v2, v156
	v_fma_f32 v218, v7, v3, -v1
	s_delay_alu instid0(VALU_DEP_2) | instskip(NEXT) | instid1(VALU_DEP_1)
	v_add_f32_e32 v2, v2, v24
	v_add_f32_e32 v2, v2, v25
	s_delay_alu instid0(VALU_DEP_1) | instskip(NEXT) | instid1(VALU_DEP_1)
	v_dual_add_f32 v2, v2, v32 :: v_dual_add_f32 v1, 0, v22
	v_dual_add_f32 v2, v2, v162 :: v_dual_add_f32 v1, v1, v23
	s_delay_alu instid0(VALU_DEP_1) | instskip(NEXT) | instid1(VALU_DEP_1)
	v_add_f32_e32 v2, v2, v158
	v_dual_add_f32 v1, v1, v26 :: v_dual_add_f32 v2, v2, v159
	s_delay_alu instid0(VALU_DEP_1) | instskip(NEXT) | instid1(VALU_DEP_2)
	v_add_f32_e32 v1, v1, v27
	v_add_f32_e32 v2, v2, v15
	s_delay_alu instid0(VALU_DEP_1) | instskip(NEXT) | instid1(VALU_DEP_1)
	v_add_f32_e32 v2, v2, v18
	v_add_f32_e32 v2, v2, v19
	s_delay_alu instid0(VALU_DEP_1) | instskip(NEXT) | instid1(VALU_DEP_1)
	;; [unrolled: 3-line block ×5, first 2 shown]
	v_dual_add_f32 v2, v2, v173 :: v_dual_add_f32 v1, v1, v28
	v_dual_add_f32 v2, v2, v175 :: v_dual_add_f32 v1, v1, v29
	s_delay_alu instid0(VALU_DEP_1) | instskip(NEXT) | instid1(VALU_DEP_1)
	v_add_f32_e32 v2, v2, v177
	v_dual_add_f32 v1, v1, v13 :: v_dual_add_f32 v2, v2, v179
	s_delay_alu instid0(VALU_DEP_1) | instskip(NEXT) | instid1(VALU_DEP_1)
	v_dual_add_f32 v2, v2, v181 :: v_dual_add_f32 v1, v1, v14
	v_add_f32_e32 v1, v1, v16
	s_delay_alu instid0(VALU_DEP_1) | instskip(NEXT) | instid1(VALU_DEP_1)
	v_add_f32_e32 v1, v1, v17
	v_add_f32_e32 v1, v1, v160
	s_delay_alu instid0(VALU_DEP_1) | instskip(NEXT) | instid1(VALU_DEP_1)
	v_add_f32_e32 v1, v1, v161
	;; [unrolled: 3-line block ×8, first 2 shown]
	v_add_f32_e32 v1, v1, v188
	s_delay_alu instid0(VALU_DEP_1) | instskip(SKIP_1) | instid1(VALU_DEP_2)
	v_add_f32_e32 v6, v1, v190
	v_add_f32_e32 v2, v2, v183
	;; [unrolled: 1-line block ×3, first 2 shown]
	s_delay_alu instid0(VALU_DEP_2) | instskip(NEXT) | instid1(VALU_DEP_2)
	v_add_f32_e32 v2, v2, v185
	v_add_f32_e32 v13, v6, v194
	s_delay_alu instid0(VALU_DEP_2) | instskip(NEXT) | instid1(VALU_DEP_2)
	v_add_f32_e32 v5, v2, v187
	v_add_f32_e32 v13, v13, v196
	;; [unrolled: 3-line block ×3, first 2 shown]
	s_delay_alu instid0(VALU_DEP_2) | instskip(SKIP_1) | instid1(VALU_DEP_3)
	v_add_f32_e32 v5, v5, v191
	v_mul_f32_e32 v217, v7, v4
	v_add_f32_e32 v13, v13, v200
	s_delay_alu instid0(VALU_DEP_2) | instskip(SKIP_3) | instid1(VALU_DEP_1)
	v_dual_add_f32 v14, v5, v193 :: v_dual_fmac_f32 v217, v8, v3
	ds_load_2addr_b64 v[1:4], v21 offset0:115 offset1:116
	ds_load_2addr_b64 v[5:8], v21 offset0:117 offset1:118
	v_add_f32_e32 v18, v13, v202
	v_add_f32_e32 v18, v18, v204
	s_delay_alu instid0(VALU_DEP_1) | instskip(SKIP_1) | instid1(VALU_DEP_1)
	v_add_f32_e32 v18, v18, v206
	s_wait_loadcnt_dscnt 0x1
	v_dual_add_f32 v22, v18, v208 :: v_dual_mul_f32 v25, v1, v10
	v_mul_f32_e32 v26, v3, v12
	v_mul_f32_e32 v10, v2, v10
	s_delay_alu instid0(VALU_DEP_3) | instskip(NEXT) | instid1(VALU_DEP_3)
	v_dual_mul_f32 v12, v4, v12 :: v_dual_add_f32 v29, v22, v210
	v_dual_fmac_f32 v25, v2, v9 :: v_dual_fmac_f32 v26, v4, v11
	s_delay_alu instid0(VALU_DEP_3) | instskip(NEXT) | instid1(VALU_DEP_3)
	v_fma_f32 v27, v1, v9, -v10
	v_fma_f32 v28, v3, v11, -v12
	s_clause 0x1
	scratch_load_b128 v[1:4], off, off offset:440
	scratch_load_b128 v[9:12], off, off offset:456
	v_dual_add_f32 v14, v14, v195 :: v_dual_add_f32 v29, v29, v212
	s_delay_alu instid0(VALU_DEP_1) | instskip(NEXT) | instid1(VALU_DEP_1)
	v_dual_add_f32 v14, v14, v197 :: v_dual_add_f32 v29, v29, v214
	v_add_f32_e32 v17, v14, v199
	scratch_load_b128 v[13:16], off, off offset:472
	v_add_f32_e32 v29, v29, v216
	v_add_f32_e32 v17, v17, v201
	s_delay_alu instid0(VALU_DEP_2) | instskip(NEXT) | instid1(VALU_DEP_2)
	v_add_f32_e32 v29, v29, v218
	v_add_f32_e32 v17, v17, v203
	s_delay_alu instid0(VALU_DEP_2) | instskip(NEXT) | instid1(VALU_DEP_2)
	v_add_f32_e32 v27, v29, v27
	v_add_f32_e32 v17, v17, v205
	s_delay_alu instid0(VALU_DEP_1)
	v_add_f32_e32 v23, v17, v207
	ds_load_2addr_b64 v[17:20], v21 offset0:119 offset1:120
	v_add_f32_e32 v32, v23, v209
	ds_load_2addr_b64 v[21:24], v21 offset0:121 offset1:122
	s_wait_loadcnt_dscnt 0x202
	v_mul_f32_e32 v156, v7, v4
	v_add_f32_e32 v32, v32, v211
	s_wait_loadcnt_dscnt 0x101
	v_mul_f32_e32 v158, v17, v10
	v_mul_f32_e32 v155, v5, v2
	;; [unrolled: 1-line block ×4, first 2 shown]
	v_add_f32_e32 v32, v32, v213
	s_delay_alu instid0(VALU_DEP_4) | instskip(NEXT) | instid1(VALU_DEP_4)
	v_dual_fmac_f32 v156, v8, v3 :: v_dual_fmac_f32 v155, v6, v1
	v_fma_f32 v2, v5, v1, -v2
	s_delay_alu instid0(VALU_DEP_3) | instskip(SKIP_3) | instid1(VALU_DEP_4)
	v_dual_add_f32 v1, v27, v28 :: v_dual_add_f32 v32, v32, v215
	v_mul_f32_e32 v6, v18, v10
	v_fma_f32 v3, v7, v3, -v4
	v_mul_f32_e32 v159, v19, v12
	v_dual_add_f32 v1, v1, v2 :: v_dual_add_f32 v32, v32, v217
	v_mul_f32_e32 v4, v20, v12
	v_fmac_f32_e32 v158, v18, v9
	s_wait_loadcnt_dscnt 0x0
	v_mul_f32_e32 v160, v21, v14
	v_add_f32_e32 v1, v1, v3
	v_add_f32_e32 v25, v32, v25
	v_mul_f32_e32 v3, v22, v14
	v_fmac_f32_e32 v159, v20, v11
	v_fma_f32 v4, v19, v11, -v4
	v_mul_f32_e32 v29, v23, v16
	v_dual_add_f32 v5, v25, v26 :: v_dual_fmac_f32 v160, v22, v13
	v_fma_f32 v3, v21, v13, -v3
	s_delay_alu instid0(VALU_DEP_3) | instskip(NEXT) | instid1(VALU_DEP_3)
	v_fmac_f32_e32 v29, v24, v15
	v_add_f32_e32 v2, v5, v155
	v_fma_f32 v5, v17, v9, -v6
	s_delay_alu instid0(VALU_DEP_1) | instskip(NEXT) | instid1(VALU_DEP_1)
	v_dual_add_f32 v2, v2, v156 :: v_dual_add_f32 v1, v1, v5
	v_dual_mul_f32 v5, v24, v16 :: v_dual_add_f32 v2, v2, v158
	s_delay_alu instid0(VALU_DEP_2) | instskip(NEXT) | instid1(VALU_DEP_2)
	v_add_f32_e32 v1, v1, v4
	v_fma_f32 v4, v23, v15, -v5
	s_delay_alu instid0(VALU_DEP_3) | instskip(NEXT) | instid1(VALU_DEP_1)
	v_add_f32_e32 v2, v2, v159
	v_dual_add_f32 v1, v1, v3 :: v_dual_add_f32 v2, v2, v160
	s_delay_alu instid0(VALU_DEP_1) | instskip(NEXT) | instid1(VALU_DEP_1)
	v_dual_add_f32 v1, v1, v4 :: v_dual_add_f32 v2, v2, v29
	v_dual_sub_f32 v1, v30, v1 :: v_dual_sub_f32 v2, v31, v2
	scratch_store_b64 off, v[1:2], off offset:96
	v_cmpx_lt_u32_e32 11, v0
	s_cbranch_execz .LBB124_357
; %bb.356:
	scratch_load_b64 v[1:2], off, off offset:88
	v_mov_b32_e32 v3, 0
	s_delay_alu instid0(VALU_DEP_1)
	v_mov_b32_e32 v4, v3
	scratch_store_b64 off, v[3:4], off offset:88
	s_wait_loadcnt 0x0
	ds_store_b64 v157, v[1:2]
.LBB124_357:
	s_wait_alu 0xfffe
	s_or_b32 exec_lo, exec_lo, s0
	s_wait_storecnt_dscnt 0x0
	s_barrier_signal -1
	s_barrier_wait -1
	global_inv scope:SCOPE_SE
	s_clause 0x4
	scratch_load_b128 v[5:8], off, off offset:96
	scratch_load_b128 v[1:4], off, off offset:112
	;; [unrolled: 1-line block ×5, first 2 shown]
	v_mov_b32_e32 v25, 0
	ds_load_b128 v[21:24], v25 offset:592
	ds_load_b128 v[26:29], v25 offset:608
	;; [unrolled: 1-line block ×3, first 2 shown]
	scratch_load_b64 v[30:31], off, off offset:88
	s_mov_b32 s0, exec_lo
	s_wait_loadcnt_dscnt 0x502
	v_mul_f32_e32 v32, v22, v6
	v_dual_mul_f32 v155, v21, v6 :: v_dual_mul_f32 v156, v23, v8
	v_mul_f32_e32 v6, v24, v8
	s_wait_loadcnt_dscnt 0x300
	v_mul_f32_e32 v162, v160, v12
	v_fma_f32 v21, v21, v5, -v32
	v_dual_fmac_f32 v155, v22, v5 :: v_dual_fmac_f32 v156, v24, v7
	v_fma_f32 v22, v23, v7, -v6
	ds_load_b128 v[5:8], v25 offset:640
	v_dual_mul_f32 v23, v26, v2 :: v_dual_mul_f32 v24, v28, v4
	v_mul_f32_e32 v4, v29, v4
	v_mul_f32_e32 v32, v158, v10
	;; [unrolled: 1-line block ×5, first 2 shown]
	v_dual_fmac_f32 v23, v27, v1 :: v_dual_fmac_f32 v24, v29, v3
	v_fma_f32 v27, v28, v3, -v4
	v_fmac_f32_e32 v32, v159, v9
	v_fma_f32 v28, v158, v9, -v10
	v_fmac_f32_e32 v162, v161, v11
	v_fma_f32 v29, v160, v11, -v12
	ds_load_b128 v[9:12], v25 offset:656
	s_wait_loadcnt_dscnt 0x201
	v_dual_mul_f32 v159, v7, v16 :: v_dual_mul_f32 v158, v5, v14
	v_mul_f32_e32 v14, v6, v14
	v_mul_f32_e32 v16, v8, v16
	s_delay_alu instid0(VALU_DEP_3)
	v_fmac_f32_e32 v159, v8, v15
	v_fma_f32 v26, v26, v1, -v2
	scratch_load_b128 v[1:4], off, off offset:176
	v_fmac_f32_e32 v158, v6, v13
	v_fma_f32 v13, v5, v13, -v14
	v_fma_f32 v14, v7, v15, -v16
	ds_load_b128 v[5:8], v25 offset:672
	s_wait_loadcnt_dscnt 0x201
	v_mul_f32_e32 v15, v9, v18
	v_mul_f32_e32 v16, v10, v18
	;; [unrolled: 1-line block ×3, first 2 shown]
	s_delay_alu instid0(VALU_DEP_3) | instskip(NEXT) | instid1(VALU_DEP_3)
	v_dual_mul_f32 v20, v12, v20 :: v_dual_fmac_f32 v15, v10, v17
	v_fma_f32 v16, v9, v17, -v16
	s_delay_alu instid0(VALU_DEP_3) | instskip(NEXT) | instid1(VALU_DEP_3)
	v_fmac_f32_e32 v18, v12, v19
	v_fma_f32 v17, v11, v19, -v20
	scratch_load_b128 v[9:12], off, off offset:192
	s_wait_loadcnt_dscnt 0x100
	v_mul_f32_e32 v19, v5, v2
	v_mul_f32_e32 v2, v6, v2
	;; [unrolled: 1-line block ×3, first 2 shown]
	s_delay_alu instid0(VALU_DEP_3) | instskip(NEXT) | instid1(VALU_DEP_3)
	v_dual_mul_f32 v4, v8, v4 :: v_dual_fmac_f32 v19, v6, v1
	v_fma_f32 v160, v5, v1, -v2
	s_delay_alu instid0(VALU_DEP_3) | instskip(NEXT) | instid1(VALU_DEP_3)
	v_fmac_f32_e32 v20, v8, v3
	v_fma_f32 v161, v7, v3, -v4
	ds_load_b128 v[1:4], v25 offset:688
	ds_load_b128 v[5:8], v25 offset:704
	s_wait_loadcnt_dscnt 0x1
	v_mul_f32_e32 v163, v1, v10
	v_mul_f32_e32 v10, v2, v10
	s_delay_alu instid0(VALU_DEP_2) | instskip(NEXT) | instid1(VALU_DEP_2)
	v_dual_mul_f32 v164, v3, v12 :: v_dual_fmac_f32 v163, v2, v9
	v_fma_f32 v165, v1, v9, -v10
	v_mul_f32_e32 v1, v4, v12
	s_delay_alu instid0(VALU_DEP_3) | instskip(NEXT) | instid1(VALU_DEP_2)
	v_fmac_f32_e32 v164, v4, v11
	v_fma_f32 v166, v3, v11, -v1
	s_clause 0x1
	scratch_load_b128 v[1:4], off, off offset:208
	scratch_load_b128 v[9:12], off, off offset:224
	s_wait_loadcnt_dscnt 0x100
	v_mul_f32_e32 v167, v5, v2
	v_dual_mul_f32 v2, v6, v2 :: v_dual_mul_f32 v169, v7, v4
	s_delay_alu instid0(VALU_DEP_2) | instskip(NEXT) | instid1(VALU_DEP_2)
	v_fmac_f32_e32 v167, v6, v1
	v_fma_f32 v168, v5, v1, -v2
	v_mul_f32_e32 v1, v8, v4
	s_delay_alu instid0(VALU_DEP_4) | instskip(NEXT) | instid1(VALU_DEP_2)
	v_fmac_f32_e32 v169, v8, v3
	v_fma_f32 v170, v7, v3, -v1
	ds_load_b128 v[1:4], v25 offset:720
	ds_load_b128 v[5:8], v25 offset:736
	s_wait_loadcnt_dscnt 0x1
	v_mul_f32_e32 v171, v1, v10
	v_mul_f32_e32 v173, v3, v12
	s_delay_alu instid0(VALU_DEP_2) | instskip(NEXT) | instid1(VALU_DEP_2)
	v_fmac_f32_e32 v171, v2, v9
	v_dual_mul_f32 v2, v2, v10 :: v_dual_fmac_f32 v173, v4, v11
	s_delay_alu instid0(VALU_DEP_1) | instskip(SKIP_1) | instid1(VALU_DEP_1)
	v_fma_f32 v172, v1, v9, -v2
	v_mul_f32_e32 v1, v4, v12
	v_fma_f32 v174, v3, v11, -v1
	s_clause 0x1
	scratch_load_b128 v[1:4], off, off offset:240
	scratch_load_b128 v[9:12], off, off offset:256
	s_wait_loadcnt_dscnt 0x100
	v_mul_f32_e32 v175, v5, v2
	v_dual_mul_f32 v2, v6, v2 :: v_dual_mul_f32 v177, v7, v4
	s_delay_alu instid0(VALU_DEP_2) | instskip(NEXT) | instid1(VALU_DEP_2)
	v_fmac_f32_e32 v175, v6, v1
	v_fma_f32 v176, v5, v1, -v2
	v_mul_f32_e32 v1, v8, v4
	s_delay_alu instid0(VALU_DEP_4) | instskip(NEXT) | instid1(VALU_DEP_2)
	v_fmac_f32_e32 v177, v8, v3
	v_fma_f32 v178, v7, v3, -v1
	ds_load_b128 v[1:4], v25 offset:752
	ds_load_b128 v[5:8], v25 offset:768
	s_wait_loadcnt_dscnt 0x1
	v_mul_f32_e32 v179, v1, v10
	v_mul_f32_e32 v181, v3, v12
	s_delay_alu instid0(VALU_DEP_2) | instskip(NEXT) | instid1(VALU_DEP_2)
	v_fmac_f32_e32 v179, v2, v9
	v_dual_mul_f32 v2, v2, v10 :: v_dual_fmac_f32 v181, v4, v11
	s_delay_alu instid0(VALU_DEP_1) | instskip(SKIP_1) | instid1(VALU_DEP_1)
	v_fma_f32 v180, v1, v9, -v2
	v_mul_f32_e32 v1, v4, v12
	;; [unrolled: 25-line block ×6, first 2 shown]
	v_fma_f32 v214, v3, v11, -v1
	s_clause 0x1
	scratch_load_b128 v[1:4], off, off offset:400
	scratch_load_b128 v[9:12], off, off offset:416
	s_wait_loadcnt_dscnt 0x100
	v_mul_f32_e32 v215, v5, v2
	v_mul_f32_e32 v2, v6, v2
	s_delay_alu instid0(VALU_DEP_2) | instskip(NEXT) | instid1(VALU_DEP_2)
	v_fmac_f32_e32 v215, v6, v1
	v_fma_f32 v216, v5, v1, -v2
	v_dual_add_f32 v2, 0, v155 :: v_dual_mul_f32 v1, v8, v4
	s_delay_alu instid0(VALU_DEP_1) | instskip(NEXT) | instid1(VALU_DEP_2)
	v_add_f32_e32 v2, v2, v156
	v_fma_f32 v218, v7, v3, -v1
	s_delay_alu instid0(VALU_DEP_2) | instskip(NEXT) | instid1(VALU_DEP_1)
	v_dual_add_f32 v1, 0, v21 :: v_dual_add_f32 v2, v2, v23
	v_dual_add_f32 v1, v1, v22 :: v_dual_add_f32 v2, v2, v24
	s_delay_alu instid0(VALU_DEP_1) | instskip(NEXT) | instid1(VALU_DEP_1)
	v_add_f32_e32 v2, v2, v32
	v_add_f32_e32 v2, v2, v162
	s_delay_alu instid0(VALU_DEP_1) | instskip(NEXT) | instid1(VALU_DEP_1)
	v_add_f32_e32 v2, v2, v158
	v_dual_add_f32 v1, v1, v26 :: v_dual_add_f32 v2, v2, v159
	s_delay_alu instid0(VALU_DEP_1) | instskip(SKIP_2) | instid1(VALU_DEP_1)
	v_add_f32_e32 v1, v1, v27
	scratch_load_b64 v[26:27], off, off offset:480
	v_dual_add_f32 v2, v2, v15 :: v_dual_add_f32 v1, v1, v28
	v_dual_add_f32 v2, v2, v18 :: v_dual_add_f32 v1, v1, v29
	s_delay_alu instid0(VALU_DEP_1) | instskip(NEXT) | instid1(VALU_DEP_1)
	v_dual_add_f32 v2, v2, v19 :: v_dual_add_f32 v1, v1, v13
	v_dual_add_f32 v2, v2, v20 :: v_dual_add_f32 v1, v1, v14
	s_delay_alu instid0(VALU_DEP_1) | instskip(NEXT) | instid1(VALU_DEP_1)
	;; [unrolled: 3-line block ×3, first 2 shown]
	v_dual_add_f32 v2, v2, v167 :: v_dual_add_f32 v1, v1, v160
	v_add_f32_e32 v2, v2, v169
	s_delay_alu instid0(VALU_DEP_1) | instskip(NEXT) | instid1(VALU_DEP_1)
	v_dual_add_f32 v1, v1, v161 :: v_dual_add_f32 v2, v2, v171
	v_add_f32_e32 v1, v1, v165
	s_delay_alu instid0(VALU_DEP_1) | instskip(NEXT) | instid1(VALU_DEP_1)
	v_dual_add_f32 v2, v2, v173 :: v_dual_add_f32 v1, v1, v166
	v_dual_add_f32 v2, v2, v175 :: v_dual_add_f32 v1, v1, v168
	s_delay_alu instid0(VALU_DEP_1) | instskip(NEXT) | instid1(VALU_DEP_1)
	v_dual_add_f32 v2, v2, v177 :: v_dual_add_f32 v1, v1, v170
	v_dual_add_f32 v2, v2, v179 :: v_dual_add_f32 v1, v1, v172
	s_delay_alu instid0(VALU_DEP_1) | instskip(NEXT) | instid1(VALU_DEP_1)
	v_dual_add_f32 v2, v2, v181 :: v_dual_add_f32 v1, v1, v174
	v_add_f32_e32 v1, v1, v176
	s_delay_alu instid0(VALU_DEP_1) | instskip(NEXT) | instid1(VALU_DEP_1)
	v_add_f32_e32 v1, v1, v178
	v_add_f32_e32 v1, v1, v180
	s_delay_alu instid0(VALU_DEP_1) | instskip(NEXT) | instid1(VALU_DEP_1)
	v_add_f32_e32 v1, v1, v182
	;; [unrolled: 3-line block ×3, first 2 shown]
	v_add_f32_e32 v1, v1, v188
	s_delay_alu instid0(VALU_DEP_1) | instskip(SKIP_1) | instid1(VALU_DEP_2)
	v_add_f32_e32 v6, v1, v190
	v_add_f32_e32 v2, v2, v183
	;; [unrolled: 1-line block ×3, first 2 shown]
	s_delay_alu instid0(VALU_DEP_2) | instskip(NEXT) | instid1(VALU_DEP_2)
	v_add_f32_e32 v2, v2, v185
	v_add_f32_e32 v13, v6, v194
	s_delay_alu instid0(VALU_DEP_2) | instskip(NEXT) | instid1(VALU_DEP_2)
	v_add_f32_e32 v5, v2, v187
	v_add_f32_e32 v13, v13, v196
	;; [unrolled: 3-line block ×3, first 2 shown]
	s_delay_alu instid0(VALU_DEP_2) | instskip(SKIP_1) | instid1(VALU_DEP_3)
	v_add_f32_e32 v5, v5, v191
	v_mul_f32_e32 v217, v7, v4
	v_add_f32_e32 v13, v13, v200
	s_delay_alu instid0(VALU_DEP_2) | instskip(SKIP_4) | instid1(VALU_DEP_2)
	v_dual_add_f32 v14, v5, v193 :: v_dual_fmac_f32 v217, v8, v3
	ds_load_b128 v[1:4], v25 offset:912
	ds_load_b128 v[5:8], v25 offset:928
	v_add_f32_e32 v18, v13, v202
	v_add_f32_e32 v14, v14, v195
	;; [unrolled: 1-line block ×3, first 2 shown]
	s_delay_alu instid0(VALU_DEP_2) | instskip(NEXT) | instid1(VALU_DEP_2)
	v_add_f32_e32 v14, v14, v197
	v_add_f32_e32 v18, v18, v206
	s_delay_alu instid0(VALU_DEP_2)
	v_add_f32_e32 v17, v14, v199
	scratch_load_b128 v[13:16], off, off offset:464
	v_dual_add_f32 v18, v18, v208 :: v_dual_add_f32 v17, v17, v201
	s_wait_loadcnt_dscnt 0x201
	v_mul_f32_e32 v32, v1, v10
	v_dual_mul_f32 v10, v2, v10 :: v_dual_mul_f32 v155, v3, v12
	v_mul_f32_e32 v12, v4, v12
	v_add_f32_e32 v18, v18, v210
	s_delay_alu instid0(VALU_DEP_4) | instskip(NEXT) | instid1(VALU_DEP_4)
	v_fmac_f32_e32 v32, v2, v9
	v_fma_f32 v156, v1, v9, -v10
	v_fmac_f32_e32 v155, v4, v11
	v_fma_f32 v158, v3, v11, -v12
	s_clause 0x1
	scratch_load_b128 v[1:4], off, off offset:432
	scratch_load_b128 v[9:12], off, off offset:448
	v_add_f32_e32 v28, v18, v212
	s_delay_alu instid0(VALU_DEP_1) | instskip(NEXT) | instid1(VALU_DEP_1)
	v_add_f32_e32 v159, v28, v214
	v_add_f32_e32 v159, v159, v216
	s_delay_alu instid0(VALU_DEP_1) | instskip(NEXT) | instid1(VALU_DEP_1)
	v_add_f32_e32 v159, v159, v218
	v_add_f32_e32 v156, v159, v156
	s_delay_alu instid0(VALU_DEP_1) | instskip(SKIP_4) | instid1(VALU_DEP_3)
	v_add_f32_e32 v156, v156, v158
	s_wait_loadcnt_dscnt 0x100
	v_dual_mul_f32 v162, v7, v4 :: v_dual_add_f32 v17, v17, v203
	v_dual_mul_f32 v4, v8, v4 :: v_dual_mul_f32 v161, v5, v2
	v_mul_f32_e32 v2, v6, v2
	v_dual_fmac_f32 v162, v8, v3 :: v_dual_add_f32 v17, v17, v205
	s_delay_alu instid0(VALU_DEP_3) | instskip(NEXT) | instid1(VALU_DEP_3)
	v_fmac_f32_e32 v161, v6, v1
	v_fma_f32 v2, v5, v1, -v2
	v_fma_f32 v1, v7, v3, -v4
	s_delay_alu instid0(VALU_DEP_2) | instskip(NEXT) | instid1(VALU_DEP_1)
	v_dual_add_f32 v17, v17, v207 :: v_dual_add_f32 v2, v156, v2
	v_add_f32_e32 v21, v17, v209
	ds_load_b128 v[17:20], v25 offset:944
	v_add_f32_e32 v1, v2, v1
	v_add_f32_e32 v29, v21, v211
	ds_load_b128 v[21:24], v25 offset:960
	v_add_f32_e32 v160, v29, v213
	ds_load_b64 v[28:29], v25 offset:976
	v_add_f32_e32 v160, v160, v215
	s_wait_loadcnt_dscnt 0x2
	s_delay_alu instid0(VALU_DEP_1) | instskip(SKIP_2) | instid1(VALU_DEP_3)
	v_dual_add_f32 v160, v160, v217 :: v_dual_mul_f32 v159, v17, v10
	v_mul_f32_e32 v3, v18, v10
	v_mul_f32_e32 v5, v20, v12
	v_add_f32_e32 v32, v160, v32
	s_delay_alu instid0(VALU_DEP_4) | instskip(NEXT) | instid1(VALU_DEP_4)
	v_dual_mul_f32 v160, v19, v12 :: v_dual_fmac_f32 v159, v18, v9
	v_fma_f32 v3, v17, v9, -v3
	s_wait_dscnt 0x1
	s_delay_alu instid0(VALU_DEP_3) | instskip(NEXT) | instid1(VALU_DEP_3)
	v_dual_mul_f32 v163, v21, v14 :: v_dual_add_f32 v32, v32, v155
	v_fmac_f32_e32 v160, v20, v11
	v_fma_f32 v5, v19, v11, -v5
	v_dual_add_f32 v1, v1, v3 :: v_dual_mul_f32 v158, v23, v16
	s_delay_alu instid0(VALU_DEP_4) | instskip(SKIP_2) | instid1(VALU_DEP_4)
	v_add_f32_e32 v4, v32, v161
	v_mul_f32_e32 v3, v24, v16
	v_fmac_f32_e32 v163, v22, v13
	v_add_f32_e32 v1, v1, v5
	s_wait_dscnt 0x0
	v_mul_f32_e32 v155, v28, v27
	v_add_f32_e32 v2, v4, v162
	v_dual_mul_f32 v4, v22, v14 :: v_dual_mul_f32 v5, v29, v27
	v_fmac_f32_e32 v158, v24, v15
	v_fma_f32 v3, v23, v15, -v3
	s_delay_alu instid0(VALU_DEP_4) | instskip(NEXT) | instid1(VALU_DEP_4)
	v_add_f32_e32 v2, v2, v159
	v_fma_f32 v4, v21, v13, -v4
	s_delay_alu instid0(VALU_DEP_2) | instskip(NEXT) | instid1(VALU_DEP_2)
	v_dual_fmac_f32 v155, v29, v26 :: v_dual_add_f32 v2, v2, v160
	v_add_f32_e32 v1, v1, v4
	v_fma_f32 v4, v28, v26, -v5
	s_delay_alu instid0(VALU_DEP_3) | instskip(NEXT) | instid1(VALU_DEP_1)
	v_add_f32_e32 v2, v2, v163
	v_dual_add_f32 v1, v1, v3 :: v_dual_add_f32 v2, v2, v158
	s_delay_alu instid0(VALU_DEP_1) | instskip(NEXT) | instid1(VALU_DEP_1)
	v_dual_add_f32 v1, v1, v4 :: v_dual_add_f32 v2, v2, v155
	v_dual_sub_f32 v1, v30, v1 :: v_dual_sub_f32 v2, v31, v2
	scratch_store_b64 off, v[1:2], off offset:88
	v_cmpx_lt_u32_e32 10, v0
	s_cbranch_execz .LBB124_359
; %bb.358:
	scratch_load_b64 v[1:2], off, off offset:80
	v_mov_b32_e32 v26, v25
	scratch_store_b64 off, v[25:26], off offset:80
	s_wait_loadcnt 0x0
	ds_store_b64 v157, v[1:2]
.LBB124_359:
	s_wait_alu 0xfffe
	s_or_b32 exec_lo, exec_lo, s0
	s_wait_storecnt_dscnt 0x0
	s_barrier_signal -1
	s_barrier_wait -1
	global_inv scope:SCOPE_SE
	s_clause 0x4
	scratch_load_b128 v[5:8], off, off offset:88
	scratch_load_b128 v[1:4], off, off offset:104
	;; [unrolled: 1-line block ×5, first 2 shown]
	ds_load_2addr_b64 v[21:24], v25 offset0:73 offset1:74
	ds_load_2addr_b64 v[26:29], v25 offset0:75 offset1:76
	;; [unrolled: 1-line block ×3, first 2 shown]
	scratch_load_b64 v[30:31], off, off offset:80
	s_mov_b32 s0, exec_lo
	s_wait_loadcnt_dscnt 0x502
	v_dual_mul_f32 v32, v21, v6 :: v_dual_mul_f32 v155, v23, v8
	v_mul_f32_e32 v6, v22, v6
	v_mul_f32_e32 v8, v24, v8
	s_wait_loadcnt_dscnt 0x300
	v_mul_f32_e32 v156, v158, v10
	v_dual_fmac_f32 v32, v22, v5 :: v_dual_fmac_f32 v155, v24, v7
	v_fma_f32 v21, v21, v5, -v6
	v_fma_f32 v22, v23, v7, -v8
	ds_load_2addr_b64 v[5:8], v25 offset0:79 offset1:80
	v_dual_mul_f32 v23, v26, v2 :: v_dual_mul_f32 v24, v28, v4
	v_mul_f32_e32 v4, v29, v4
	v_mul_f32_e32 v10, v159, v10
	;; [unrolled: 1-line block ×5, first 2 shown]
	v_dual_fmac_f32 v23, v27, v1 :: v_dual_fmac_f32 v24, v29, v3
	v_fma_f32 v27, v28, v3, -v4
	v_fmac_f32_e32 v156, v159, v9
	v_fma_f32 v28, v158, v9, -v10
	v_fmac_f32_e32 v162, v161, v11
	v_fma_f32 v29, v160, v11, -v12
	ds_load_2addr_b64 v[9:12], v25 offset0:81 offset1:82
	s_wait_loadcnt_dscnt 0x201
	v_dual_mul_f32 v159, v7, v16 :: v_dual_mul_f32 v158, v5, v14
	v_mul_f32_e32 v14, v6, v14
	v_mul_f32_e32 v16, v8, v16
	s_delay_alu instid0(VALU_DEP_3)
	v_fmac_f32_e32 v159, v8, v15
	v_fma_f32 v26, v26, v1, -v2
	scratch_load_b128 v[1:4], off, off offset:168
	v_fmac_f32_e32 v158, v6, v13
	v_fma_f32 v13, v5, v13, -v14
	v_fma_f32 v14, v7, v15, -v16
	ds_load_2addr_b64 v[5:8], v25 offset0:83 offset1:84
	s_wait_loadcnt_dscnt 0x201
	v_mul_f32_e32 v15, v9, v18
	v_mul_f32_e32 v16, v10, v18
	;; [unrolled: 1-line block ×3, first 2 shown]
	s_delay_alu instid0(VALU_DEP_3) | instskip(NEXT) | instid1(VALU_DEP_3)
	v_dual_mul_f32 v20, v12, v20 :: v_dual_fmac_f32 v15, v10, v17
	v_fma_f32 v16, v9, v17, -v16
	s_delay_alu instid0(VALU_DEP_3) | instskip(NEXT) | instid1(VALU_DEP_3)
	v_fmac_f32_e32 v18, v12, v19
	v_fma_f32 v17, v11, v19, -v20
	scratch_load_b128 v[9:12], off, off offset:184
	s_wait_loadcnt_dscnt 0x100
	v_mul_f32_e32 v19, v5, v2
	v_mul_f32_e32 v2, v6, v2
	;; [unrolled: 1-line block ×3, first 2 shown]
	s_delay_alu instid0(VALU_DEP_3) | instskip(NEXT) | instid1(VALU_DEP_3)
	v_dual_mul_f32 v4, v8, v4 :: v_dual_fmac_f32 v19, v6, v1
	v_fma_f32 v160, v5, v1, -v2
	s_delay_alu instid0(VALU_DEP_3) | instskip(NEXT) | instid1(VALU_DEP_3)
	v_fmac_f32_e32 v20, v8, v3
	v_fma_f32 v161, v7, v3, -v4
	ds_load_2addr_b64 v[1:4], v25 offset0:85 offset1:86
	ds_load_2addr_b64 v[5:8], v25 offset0:87 offset1:88
	s_wait_loadcnt_dscnt 0x1
	v_mul_f32_e32 v163, v1, v10
	v_mul_f32_e32 v10, v2, v10
	s_delay_alu instid0(VALU_DEP_2) | instskip(NEXT) | instid1(VALU_DEP_2)
	v_dual_mul_f32 v164, v3, v12 :: v_dual_fmac_f32 v163, v2, v9
	v_fma_f32 v165, v1, v9, -v10
	v_mul_f32_e32 v1, v4, v12
	s_delay_alu instid0(VALU_DEP_3) | instskip(NEXT) | instid1(VALU_DEP_2)
	v_fmac_f32_e32 v164, v4, v11
	v_fma_f32 v166, v3, v11, -v1
	s_clause 0x1
	scratch_load_b128 v[1:4], off, off offset:200
	scratch_load_b128 v[9:12], off, off offset:216
	s_wait_loadcnt_dscnt 0x100
	v_mul_f32_e32 v167, v5, v2
	v_dual_mul_f32 v2, v6, v2 :: v_dual_mul_f32 v169, v7, v4
	s_delay_alu instid0(VALU_DEP_2) | instskip(NEXT) | instid1(VALU_DEP_2)
	v_fmac_f32_e32 v167, v6, v1
	v_fma_f32 v168, v5, v1, -v2
	v_mul_f32_e32 v1, v8, v4
	s_delay_alu instid0(VALU_DEP_4) | instskip(NEXT) | instid1(VALU_DEP_2)
	v_fmac_f32_e32 v169, v8, v3
	v_fma_f32 v170, v7, v3, -v1
	ds_load_2addr_b64 v[1:4], v25 offset0:89 offset1:90
	ds_load_2addr_b64 v[5:8], v25 offset0:91 offset1:92
	s_wait_loadcnt_dscnt 0x1
	v_mul_f32_e32 v171, v1, v10
	v_mul_f32_e32 v173, v3, v12
	s_delay_alu instid0(VALU_DEP_2) | instskip(NEXT) | instid1(VALU_DEP_2)
	v_fmac_f32_e32 v171, v2, v9
	v_dual_mul_f32 v2, v2, v10 :: v_dual_fmac_f32 v173, v4, v11
	s_delay_alu instid0(VALU_DEP_1) | instskip(SKIP_1) | instid1(VALU_DEP_1)
	v_fma_f32 v172, v1, v9, -v2
	v_mul_f32_e32 v1, v4, v12
	v_fma_f32 v174, v3, v11, -v1
	s_clause 0x1
	scratch_load_b128 v[1:4], off, off offset:232
	scratch_load_b128 v[9:12], off, off offset:248
	s_wait_loadcnt_dscnt 0x100
	v_mul_f32_e32 v175, v5, v2
	v_dual_mul_f32 v2, v6, v2 :: v_dual_mul_f32 v177, v7, v4
	s_delay_alu instid0(VALU_DEP_2) | instskip(NEXT) | instid1(VALU_DEP_2)
	v_fmac_f32_e32 v175, v6, v1
	v_fma_f32 v176, v5, v1, -v2
	v_mul_f32_e32 v1, v8, v4
	s_delay_alu instid0(VALU_DEP_4) | instskip(NEXT) | instid1(VALU_DEP_2)
	v_fmac_f32_e32 v177, v8, v3
	v_fma_f32 v178, v7, v3, -v1
	ds_load_2addr_b64 v[1:4], v25 offset0:93 offset1:94
	ds_load_2addr_b64 v[5:8], v25 offset0:95 offset1:96
	s_wait_loadcnt_dscnt 0x1
	v_mul_f32_e32 v179, v1, v10
	v_mul_f32_e32 v181, v3, v12
	s_delay_alu instid0(VALU_DEP_2) | instskip(NEXT) | instid1(VALU_DEP_2)
	v_fmac_f32_e32 v179, v2, v9
	v_dual_mul_f32 v2, v2, v10 :: v_dual_fmac_f32 v181, v4, v11
	s_delay_alu instid0(VALU_DEP_1) | instskip(SKIP_1) | instid1(VALU_DEP_1)
	v_fma_f32 v180, v1, v9, -v2
	v_mul_f32_e32 v1, v4, v12
	;; [unrolled: 25-line block ×6, first 2 shown]
	v_fma_f32 v214, v3, v11, -v1
	s_clause 0x1
	scratch_load_b128 v[1:4], off, off offset:392
	scratch_load_b128 v[9:12], off, off offset:408
	s_wait_loadcnt_dscnt 0x100
	v_mul_f32_e32 v215, v5, v2
	v_mul_f32_e32 v2, v6, v2
	s_delay_alu instid0(VALU_DEP_2) | instskip(NEXT) | instid1(VALU_DEP_2)
	v_fmac_f32_e32 v215, v6, v1
	v_fma_f32 v216, v5, v1, -v2
	v_add_f32_e32 v2, 0, v32
	s_delay_alu instid0(VALU_DEP_1) | instskip(NEXT) | instid1(VALU_DEP_1)
	v_add_f32_e32 v2, v2, v155
	v_add_f32_e32 v2, v2, v23
	s_delay_alu instid0(VALU_DEP_1) | instskip(NEXT) | instid1(VALU_DEP_1)
	v_add_f32_e32 v2, v2, v24
	v_add_f32_e32 v2, v2, v156
	s_delay_alu instid0(VALU_DEP_1) | instskip(NEXT) | instid1(VALU_DEP_1)
	v_dual_mul_f32 v1, v8, v4 :: v_dual_add_f32 v2, v2, v162
	v_fma_f32 v218, v7, v3, -v1
	s_delay_alu instid0(VALU_DEP_2) | instskip(NEXT) | instid1(VALU_DEP_1)
	v_dual_add_f32 v1, 0, v21 :: v_dual_add_f32 v2, v2, v158
	v_dual_add_f32 v1, v1, v22 :: v_dual_add_f32 v2, v2, v159
	s_delay_alu instid0(VALU_DEP_1) | instskip(NEXT) | instid1(VALU_DEP_1)
	v_dual_add_f32 v1, v1, v26 :: v_dual_add_f32 v2, v2, v15
	v_dual_add_f32 v1, v1, v27 :: v_dual_add_f32 v2, v2, v18
	s_delay_alu instid0(VALU_DEP_1) | instskip(NEXT) | instid1(VALU_DEP_1)
	;; [unrolled: 3-line block ×4, first 2 shown]
	v_dual_add_f32 v1, v1, v16 :: v_dual_add_f32 v2, v2, v167
	v_add_f32_e32 v1, v1, v17
	s_delay_alu instid0(VALU_DEP_2) | instskip(NEXT) | instid1(VALU_DEP_1)
	v_add_f32_e32 v2, v2, v169
	v_add_f32_e32 v2, v2, v171
	s_delay_alu instid0(VALU_DEP_1) | instskip(NEXT) | instid1(VALU_DEP_1)
	v_add_f32_e32 v2, v2, v173
	v_add_f32_e32 v2, v2, v175
	s_delay_alu instid0(VALU_DEP_1) | instskip(NEXT) | instid1(VALU_DEP_1)
	;; [unrolled: 3-line block ×3, first 2 shown]
	v_dual_add_f32 v2, v2, v181 :: v_dual_add_f32 v1, v1, v160
	v_add_f32_e32 v1, v1, v161
	s_delay_alu instid0(VALU_DEP_1) | instskip(NEXT) | instid1(VALU_DEP_1)
	v_add_f32_e32 v1, v1, v165
	v_add_f32_e32 v1, v1, v166
	s_delay_alu instid0(VALU_DEP_1) | instskip(NEXT) | instid1(VALU_DEP_1)
	v_add_f32_e32 v1, v1, v168
	;; [unrolled: 3-line block ×7, first 2 shown]
	v_add_f32_e32 v1, v1, v190
	s_delay_alu instid0(VALU_DEP_1) | instskip(SKIP_1) | instid1(VALU_DEP_2)
	v_add_f32_e32 v6, v1, v192
	v_add_f32_e32 v2, v2, v183
	;; [unrolled: 1-line block ×3, first 2 shown]
	s_delay_alu instid0(VALU_DEP_2) | instskip(NEXT) | instid1(VALU_DEP_2)
	v_dual_add_f32 v2, v2, v185 :: v_dual_mul_f32 v217, v7, v4
	v_add_f32_e32 v14, v14, v196
	s_delay_alu instid0(VALU_DEP_2) | instskip(NEXT) | instid1(VALU_DEP_3)
	v_add_f32_e32 v2, v2, v187
	v_fmac_f32_e32 v217, v8, v3
	s_delay_alu instid0(VALU_DEP_3) | instskip(NEXT) | instid1(VALU_DEP_3)
	v_add_f32_e32 v17, v14, v198
	v_add_f32_e32 v5, v2, v189
	ds_load_2addr_b64 v[1:4], v25 offset0:113 offset1:114
	v_add_f32_e32 v17, v17, v200
	v_add_f32_e32 v13, v5, v191
	scratch_load_b128 v[5:8], off, off offset:424
	v_add_f32_e32 v17, v17, v202
	v_add_f32_e32 v13, v13, v193
	s_delay_alu instid0(VALU_DEP_2) | instskip(NEXT) | instid1(VALU_DEP_1)
	v_add_f32_e32 v17, v17, v204
	v_add_f32_e32 v22, v17, v206
	s_delay_alu instid0(VALU_DEP_1) | instskip(NEXT) | instid1(VALU_DEP_1)
	v_dual_add_f32 v13, v13, v195 :: v_dual_add_f32 v22, v22, v208
	v_add_f32_e32 v18, v13, v197
	ds_load_2addr_b64 v[13:16], v25 offset0:115 offset1:116
	s_wait_loadcnt_dscnt 0x101
	v_mul_f32_e32 v26, v1, v10
	v_dual_mul_f32 v10, v2, v10 :: v_dual_mul_f32 v27, v3, v12
	v_mul_f32_e32 v12, v4, v12
	v_add_f32_e32 v22, v22, v210
	s_delay_alu instid0(VALU_DEP_4) | instskip(NEXT) | instid1(VALU_DEP_4)
	v_fmac_f32_e32 v26, v2, v9
	v_fma_f32 v28, v1, v9, -v10
	v_fmac_f32_e32 v27, v4, v11
	v_fma_f32 v29, v3, v11, -v12
	s_clause 0x1
	scratch_load_b128 v[1:4], off, off offset:440
	scratch_load_b128 v[9:12], off, off offset:456
	s_wait_loadcnt_dscnt 0x200
	v_mul_f32_e32 v32, v13, v6
	v_dual_add_f32 v18, v18, v199 :: v_dual_mul_f32 v155, v15, v8
	v_mul_f32_e32 v8, v16, v8
	v_mul_f32_e32 v6, v14, v6
	s_delay_alu instid0(VALU_DEP_4) | instskip(NEXT) | instid1(VALU_DEP_4)
	v_fmac_f32_e32 v32, v14, v5
	v_dual_add_f32 v18, v18, v201 :: v_dual_fmac_f32 v155, v16, v7
	s_delay_alu instid0(VALU_DEP_4) | instskip(NEXT) | instid1(VALU_DEP_4)
	v_fma_f32 v158, v15, v7, -v8
	v_fma_f32 v156, v13, v5, -v6
	ds_load_2addr_b64 v[5:8], v25 offset0:117 offset1:118
	v_add_f32_e32 v21, v18, v203
	scratch_load_b128 v[17:20], off, off offset:472
	v_add_f32_e32 v21, v21, v205
	s_delay_alu instid0(VALU_DEP_1) | instskip(NEXT) | instid1(VALU_DEP_1)
	v_add_f32_e32 v21, v21, v207
	v_add_f32_e32 v13, v21, v209
	s_delay_alu instid0(VALU_DEP_1) | instskip(NEXT) | instid1(VALU_DEP_1)
	v_dual_add_f32 v21, v22, v212 :: v_dual_add_f32 v22, v13, v211
	v_add_f32_e32 v159, v21, v214
	ds_load_2addr_b64 v[13:16], v25 offset0:119 offset1:120
	v_add_f32_e32 v160, v22, v213
	ds_load_2addr_b64 v[21:24], v25 offset0:121 offset1:122
	v_add_f32_e32 v25, v159, v216
	s_wait_loadcnt_dscnt 0x202
	v_dual_add_f32 v159, v160, v215 :: v_dual_mul_f32 v160, v5, v2
	s_delay_alu instid0(VALU_DEP_2) | instskip(NEXT) | instid1(VALU_DEP_2)
	v_add_f32_e32 v25, v25, v218
	v_dual_mul_f32 v2, v6, v2 :: v_dual_add_f32 v159, v159, v217
	s_delay_alu instid0(VALU_DEP_2) | instskip(SKIP_2) | instid1(VALU_DEP_4)
	v_dual_fmac_f32 v160, v6, v1 :: v_dual_add_f32 v25, v25, v28
	v_mul_f32_e32 v28, v7, v4
	v_mul_f32_e32 v4, v8, v4
	v_add_f32_e32 v26, v159, v26
	v_fma_f32 v2, v5, v1, -v2
	v_add_f32_e32 v25, v25, v29
	s_wait_loadcnt_dscnt 0x101
	v_mul_f32_e32 v159, v13, v10
	v_mul_f32_e32 v6, v14, v10
	v_add_f32_e32 v26, v26, v27
	v_dual_fmac_f32 v28, v8, v3 :: v_dual_add_f32 v25, v25, v156
	v_fma_f32 v3, v7, v3, -v4
	v_mul_f32_e32 v161, v15, v12
	s_delay_alu instid0(VALU_DEP_4) | instskip(NEXT) | instid1(VALU_DEP_4)
	v_add_f32_e32 v26, v26, v32
	v_dual_mul_f32 v4, v16, v12 :: v_dual_add_f32 v1, v25, v158
	v_fmac_f32_e32 v159, v14, v9
	s_delay_alu instid0(VALU_DEP_4) | instskip(NEXT) | instid1(VALU_DEP_4)
	v_fmac_f32_e32 v161, v16, v11
	v_add_f32_e32 v5, v26, v155
	s_delay_alu instid0(VALU_DEP_4) | instskip(SKIP_1) | instid1(VALU_DEP_3)
	v_fma_f32 v4, v15, v11, -v4
	v_add_f32_e32 v1, v1, v2
	v_add_f32_e32 v2, v5, v160
	v_fma_f32 v5, v13, v9, -v6
	s_delay_alu instid0(VALU_DEP_2) | instskip(NEXT) | instid1(VALU_DEP_1)
	v_dual_add_f32 v1, v1, v3 :: v_dual_add_f32 v2, v2, v28
	v_dual_add_f32 v1, v1, v5 :: v_dual_add_f32 v2, v2, v159
	s_delay_alu instid0(VALU_DEP_1)
	v_dual_add_f32 v1, v1, v4 :: v_dual_add_f32 v2, v2, v161
	s_wait_loadcnt_dscnt 0x0
	v_mul_f32_e32 v27, v21, v18
	v_mul_f32_e32 v3, v22, v18
	;; [unrolled: 1-line block ×4, first 2 shown]
	s_delay_alu instid0(VALU_DEP_4) | instskip(NEXT) | instid1(VALU_DEP_4)
	v_fmac_f32_e32 v27, v22, v17
	v_fma_f32 v3, v21, v17, -v3
	s_delay_alu instid0(VALU_DEP_4) | instskip(NEXT) | instid1(VALU_DEP_4)
	v_fmac_f32_e32 v29, v24, v19
	v_fma_f32 v4, v23, v19, -v5
	s_delay_alu instid0(VALU_DEP_4) | instskip(NEXT) | instid1(VALU_DEP_1)
	v_add_f32_e32 v2, v2, v27
	v_dual_add_f32 v1, v1, v3 :: v_dual_add_f32 v2, v2, v29
	s_delay_alu instid0(VALU_DEP_1) | instskip(NEXT) | instid1(VALU_DEP_1)
	v_dual_add_f32 v1, v1, v4 :: v_dual_sub_f32 v2, v31, v2
	v_sub_f32_e32 v1, v30, v1
	scratch_store_b64 off, v[1:2], off offset:80
	v_cmpx_lt_u32_e32 9, v0
	s_cbranch_execz .LBB124_361
; %bb.360:
	scratch_load_b64 v[1:2], off, off offset:72
	v_mov_b32_e32 v3, 0
	s_delay_alu instid0(VALU_DEP_1)
	v_mov_b32_e32 v4, v3
	scratch_store_b64 off, v[3:4], off offset:72
	s_wait_loadcnt 0x0
	ds_store_b64 v157, v[1:2]
.LBB124_361:
	s_wait_alu 0xfffe
	s_or_b32 exec_lo, exec_lo, s0
	s_wait_storecnt_dscnt 0x0
	s_barrier_signal -1
	s_barrier_wait -1
	global_inv scope:SCOPE_SE
	s_clause 0x4
	scratch_load_b128 v[5:8], off, off offset:80
	scratch_load_b128 v[1:4], off, off offset:96
	;; [unrolled: 1-line block ×5, first 2 shown]
	v_mov_b32_e32 v25, 0
	ds_load_b128 v[21:24], v25 offset:576
	ds_load_b128 v[26:29], v25 offset:592
	;; [unrolled: 1-line block ×3, first 2 shown]
	scratch_load_b64 v[30:31], off, off offset:72
	s_mov_b32 s0, exec_lo
	s_wait_loadcnt_dscnt 0x502
	v_dual_mul_f32 v32, v21, v6 :: v_dual_mul_f32 v155, v23, v8
	v_mul_f32_e32 v6, v22, v6
	v_mul_f32_e32 v8, v24, v8
	s_wait_loadcnt_dscnt 0x300
	v_mul_f32_e32 v162, v160, v12
	v_dual_fmac_f32 v32, v22, v5 :: v_dual_fmac_f32 v155, v24, v7
	v_fma_f32 v21, v21, v5, -v6
	v_fma_f32 v22, v23, v7, -v8
	ds_load_b128 v[5:8], v25 offset:624
	v_dual_mul_f32 v23, v26, v2 :: v_dual_mul_f32 v24, v28, v4
	v_mul_f32_e32 v4, v29, v4
	v_mul_f32_e32 v156, v158, v10
	v_mul_f32_e32 v10, v159, v10
	v_mul_f32_e32 v12, v161, v12
	v_mul_f32_e32 v2, v27, v2
	v_dual_fmac_f32 v23, v27, v1 :: v_dual_fmac_f32 v24, v29, v3
	v_fma_f32 v27, v28, v3, -v4
	v_fmac_f32_e32 v156, v159, v9
	v_fma_f32 v28, v158, v9, -v10
	v_fmac_f32_e32 v162, v161, v11
	v_fma_f32 v29, v160, v11, -v12
	ds_load_b128 v[9:12], v25 offset:640
	s_wait_loadcnt_dscnt 0x201
	v_dual_mul_f32 v159, v7, v16 :: v_dual_mul_f32 v158, v5, v14
	v_mul_f32_e32 v14, v6, v14
	v_mul_f32_e32 v16, v8, v16
	s_delay_alu instid0(VALU_DEP_3)
	v_fmac_f32_e32 v159, v8, v15
	v_fma_f32 v26, v26, v1, -v2
	scratch_load_b128 v[1:4], off, off offset:160
	v_fmac_f32_e32 v158, v6, v13
	v_fma_f32 v13, v5, v13, -v14
	v_fma_f32 v14, v7, v15, -v16
	ds_load_b128 v[5:8], v25 offset:656
	s_wait_loadcnt_dscnt 0x201
	v_mul_f32_e32 v15, v9, v18
	v_mul_f32_e32 v16, v10, v18
	;; [unrolled: 1-line block ×3, first 2 shown]
	s_delay_alu instid0(VALU_DEP_3) | instskip(NEXT) | instid1(VALU_DEP_3)
	v_dual_mul_f32 v20, v12, v20 :: v_dual_fmac_f32 v15, v10, v17
	v_fma_f32 v16, v9, v17, -v16
	s_delay_alu instid0(VALU_DEP_3) | instskip(NEXT) | instid1(VALU_DEP_3)
	v_fmac_f32_e32 v18, v12, v19
	v_fma_f32 v17, v11, v19, -v20
	scratch_load_b128 v[9:12], off, off offset:176
	s_wait_loadcnt_dscnt 0x100
	v_mul_f32_e32 v19, v5, v2
	v_mul_f32_e32 v2, v6, v2
	;; [unrolled: 1-line block ×3, first 2 shown]
	s_delay_alu instid0(VALU_DEP_3) | instskip(NEXT) | instid1(VALU_DEP_3)
	v_dual_mul_f32 v4, v8, v4 :: v_dual_fmac_f32 v19, v6, v1
	v_fma_f32 v160, v5, v1, -v2
	s_delay_alu instid0(VALU_DEP_3) | instskip(NEXT) | instid1(VALU_DEP_3)
	v_fmac_f32_e32 v20, v8, v3
	v_fma_f32 v161, v7, v3, -v4
	ds_load_b128 v[1:4], v25 offset:672
	ds_load_b128 v[5:8], v25 offset:688
	s_wait_loadcnt_dscnt 0x1
	v_mul_f32_e32 v163, v1, v10
	v_mul_f32_e32 v10, v2, v10
	s_delay_alu instid0(VALU_DEP_2) | instskip(NEXT) | instid1(VALU_DEP_2)
	v_dual_mul_f32 v164, v3, v12 :: v_dual_fmac_f32 v163, v2, v9
	v_fma_f32 v165, v1, v9, -v10
	v_mul_f32_e32 v1, v4, v12
	s_delay_alu instid0(VALU_DEP_3) | instskip(NEXT) | instid1(VALU_DEP_2)
	v_fmac_f32_e32 v164, v4, v11
	v_fma_f32 v166, v3, v11, -v1
	s_clause 0x1
	scratch_load_b128 v[1:4], off, off offset:192
	scratch_load_b128 v[9:12], off, off offset:208
	s_wait_loadcnt_dscnt 0x100
	v_mul_f32_e32 v167, v5, v2
	v_dual_mul_f32 v2, v6, v2 :: v_dual_mul_f32 v169, v7, v4
	s_delay_alu instid0(VALU_DEP_2) | instskip(NEXT) | instid1(VALU_DEP_2)
	v_fmac_f32_e32 v167, v6, v1
	v_fma_f32 v168, v5, v1, -v2
	v_mul_f32_e32 v1, v8, v4
	s_delay_alu instid0(VALU_DEP_4) | instskip(NEXT) | instid1(VALU_DEP_2)
	v_fmac_f32_e32 v169, v8, v3
	v_fma_f32 v170, v7, v3, -v1
	ds_load_b128 v[1:4], v25 offset:704
	ds_load_b128 v[5:8], v25 offset:720
	s_wait_loadcnt_dscnt 0x1
	v_mul_f32_e32 v171, v1, v10
	v_mul_f32_e32 v173, v3, v12
	s_delay_alu instid0(VALU_DEP_2) | instskip(NEXT) | instid1(VALU_DEP_2)
	v_fmac_f32_e32 v171, v2, v9
	v_dual_mul_f32 v2, v2, v10 :: v_dual_fmac_f32 v173, v4, v11
	s_delay_alu instid0(VALU_DEP_1) | instskip(SKIP_1) | instid1(VALU_DEP_1)
	v_fma_f32 v172, v1, v9, -v2
	v_mul_f32_e32 v1, v4, v12
	v_fma_f32 v174, v3, v11, -v1
	s_clause 0x1
	scratch_load_b128 v[1:4], off, off offset:224
	scratch_load_b128 v[9:12], off, off offset:240
	s_wait_loadcnt_dscnt 0x100
	v_mul_f32_e32 v175, v5, v2
	v_dual_mul_f32 v2, v6, v2 :: v_dual_mul_f32 v177, v7, v4
	s_delay_alu instid0(VALU_DEP_2) | instskip(NEXT) | instid1(VALU_DEP_2)
	v_fmac_f32_e32 v175, v6, v1
	v_fma_f32 v176, v5, v1, -v2
	v_mul_f32_e32 v1, v8, v4
	s_delay_alu instid0(VALU_DEP_4) | instskip(NEXT) | instid1(VALU_DEP_2)
	v_fmac_f32_e32 v177, v8, v3
	v_fma_f32 v178, v7, v3, -v1
	ds_load_b128 v[1:4], v25 offset:736
	ds_load_b128 v[5:8], v25 offset:752
	s_wait_loadcnt_dscnt 0x1
	v_mul_f32_e32 v179, v1, v10
	v_mul_f32_e32 v181, v3, v12
	s_delay_alu instid0(VALU_DEP_2) | instskip(NEXT) | instid1(VALU_DEP_2)
	v_fmac_f32_e32 v179, v2, v9
	v_dual_mul_f32 v2, v2, v10 :: v_dual_fmac_f32 v181, v4, v11
	s_delay_alu instid0(VALU_DEP_1) | instskip(SKIP_1) | instid1(VALU_DEP_1)
	v_fma_f32 v180, v1, v9, -v2
	v_mul_f32_e32 v1, v4, v12
	;; [unrolled: 25-line block ×6, first 2 shown]
	v_fma_f32 v214, v3, v11, -v1
	s_clause 0x1
	scratch_load_b128 v[1:4], off, off offset:384
	scratch_load_b128 v[9:12], off, off offset:400
	s_wait_loadcnt_dscnt 0x100
	v_mul_f32_e32 v215, v5, v2
	v_mul_f32_e32 v2, v6, v2
	s_delay_alu instid0(VALU_DEP_2) | instskip(NEXT) | instid1(VALU_DEP_2)
	v_fmac_f32_e32 v215, v6, v1
	v_fma_f32 v216, v5, v1, -v2
	v_add_f32_e32 v2, 0, v32
	s_delay_alu instid0(VALU_DEP_1) | instskip(NEXT) | instid1(VALU_DEP_1)
	v_add_f32_e32 v2, v2, v155
	v_add_f32_e32 v2, v2, v23
	s_delay_alu instid0(VALU_DEP_1) | instskip(NEXT) | instid1(VALU_DEP_1)
	v_add_f32_e32 v2, v2, v24
	;; [unrolled: 3-line block ×3, first 2 shown]
	v_dual_add_f32 v2, v2, v158 :: v_dual_mul_f32 v1, v8, v4
	s_delay_alu instid0(VALU_DEP_1) | instskip(NEXT) | instid1(VALU_DEP_2)
	v_add_f32_e32 v2, v2, v159
	v_fma_f32 v218, v7, v3, -v1
	s_delay_alu instid0(VALU_DEP_2) | instskip(NEXT) | instid1(VALU_DEP_1)
	v_dual_add_f32 v1, 0, v21 :: v_dual_add_f32 v2, v2, v15
	v_add_f32_e32 v1, v1, v22
	s_delay_alu instid0(VALU_DEP_2) | instskip(NEXT) | instid1(VALU_DEP_1)
	v_add_f32_e32 v2, v2, v18
	v_dual_add_f32 v1, v1, v26 :: v_dual_add_f32 v2, v2, v19
	s_delay_alu instid0(VALU_DEP_1) | instskip(SKIP_2) | instid1(VALU_DEP_1)
	v_dual_add_f32 v2, v2, v20 :: v_dual_add_f32 v1, v1, v27
	scratch_load_b64 v[26:27], off, off offset:480
	v_dual_add_f32 v2, v2, v163 :: v_dual_add_f32 v1, v1, v28
	v_dual_add_f32 v2, v2, v164 :: v_dual_add_f32 v1, v1, v29
	s_delay_alu instid0(VALU_DEP_1) | instskip(NEXT) | instid1(VALU_DEP_1)
	v_dual_add_f32 v2, v2, v167 :: v_dual_add_f32 v1, v1, v13
	v_dual_add_f32 v2, v2, v169 :: v_dual_add_f32 v1, v1, v14
	s_delay_alu instid0(VALU_DEP_1) | instskip(NEXT) | instid1(VALU_DEP_1)
	v_dual_add_f32 v2, v2, v171 :: v_dual_add_f32 v1, v1, v16
	v_add_f32_e32 v2, v2, v173
	s_delay_alu instid0(VALU_DEP_1) | instskip(NEXT) | instid1(VALU_DEP_1)
	v_dual_add_f32 v1, v1, v17 :: v_dual_add_f32 v2, v2, v175
	v_dual_add_f32 v1, v1, v160 :: v_dual_add_f32 v2, v2, v177
	s_delay_alu instid0(VALU_DEP_1) | instskip(NEXT) | instid1(VALU_DEP_1)
	v_dual_add_f32 v1, v1, v161 :: v_dual_add_f32 v2, v2, v179
	v_add_f32_e32 v1, v1, v165
	s_delay_alu instid0(VALU_DEP_1) | instskip(NEXT) | instid1(VALU_DEP_1)
	v_dual_add_f32 v2, v2, v181 :: v_dual_add_f32 v1, v1, v166
	v_add_f32_e32 v1, v1, v168
	s_delay_alu instid0(VALU_DEP_1) | instskip(NEXT) | instid1(VALU_DEP_1)
	v_add_f32_e32 v1, v1, v170
	v_add_f32_e32 v1, v1, v172
	s_delay_alu instid0(VALU_DEP_1) | instskip(NEXT) | instid1(VALU_DEP_1)
	v_add_f32_e32 v1, v1, v174
	;; [unrolled: 3-line block ×6, first 2 shown]
	v_add_f32_e32 v6, v1, v192
	v_dual_add_f32 v2, v2, v183 :: v_dual_mul_f32 v217, v7, v4
	s_delay_alu instid0(VALU_DEP_2) | instskip(NEXT) | instid1(VALU_DEP_2)
	v_add_f32_e32 v14, v6, v194
	v_dual_add_f32 v2, v2, v185 :: v_dual_fmac_f32 v217, v8, v3
	s_delay_alu instid0(VALU_DEP_2) | instskip(NEXT) | instid1(VALU_DEP_2)
	v_add_f32_e32 v14, v14, v196
	v_add_f32_e32 v2, v2, v187
	s_delay_alu instid0(VALU_DEP_2) | instskip(NEXT) | instid1(VALU_DEP_2)
	v_add_f32_e32 v17, v14, v198
	v_add_f32_e32 v5, v2, v189
	scratch_load_b128 v[1:4], off, off offset:416
	v_add_f32_e32 v17, v17, v200
	v_add_f32_e32 v13, v5, v191
	ds_load_b128 v[5:8], v25 offset:896
	v_add_f32_e32 v17, v17, v202
	v_add_f32_e32 v13, v13, v193
	s_delay_alu instid0(VALU_DEP_2) | instskip(NEXT) | instid1(VALU_DEP_1)
	v_add_f32_e32 v17, v17, v204
	v_add_f32_e32 v22, v17, v206
	s_delay_alu instid0(VALU_DEP_1) | instskip(NEXT) | instid1(VALU_DEP_1)
	v_dual_add_f32 v13, v13, v195 :: v_dual_add_f32 v22, v22, v208
	v_add_f32_e32 v18, v13, v197
	ds_load_b128 v[13:16], v25 offset:912
	s_wait_loadcnt_dscnt 0x201
	v_mul_f32_e32 v32, v5, v10
	v_dual_mul_f32 v10, v6, v10 :: v_dual_mul_f32 v155, v7, v12
	v_mul_f32_e32 v12, v8, v12
	v_add_f32_e32 v22, v22, v210
	s_delay_alu instid0(VALU_DEP_4) | instskip(NEXT) | instid1(VALU_DEP_4)
	v_fmac_f32_e32 v32, v6, v9
	v_fma_f32 v156, v5, v9, -v10
	v_fmac_f32_e32 v155, v8, v11
	v_fma_f32 v158, v7, v11, -v12
	s_clause 0x1
	scratch_load_b128 v[5:8], off, off offset:432
	scratch_load_b128 v[9:12], off, off offset:448
	v_add_f32_e32 v22, v22, v212
	s_wait_loadcnt_dscnt 0x200
	v_mul_f32_e32 v160, v15, v4
	v_add_f32_e32 v18, v18, v199
	v_dual_mul_f32 v4, v16, v4 :: v_dual_mul_f32 v159, v13, v2
	v_mul_f32_e32 v2, v14, v2
	s_delay_alu instid0(VALU_DEP_4) | instskip(NEXT) | instid1(VALU_DEP_4)
	v_fmac_f32_e32 v160, v16, v3
	v_add_f32_e32 v18, v18, v201
	s_delay_alu instid0(VALU_DEP_4)
	v_fma_f32 v162, v15, v3, -v4
	v_fmac_f32_e32 v159, v14, v1
	v_add_f32_e32 v14, v22, v214
	v_fma_f32 v161, v13, v1, -v2
	v_add_f32_e32 v21, v18, v203
	scratch_load_b128 v[17:20], off, off offset:464
	ds_load_b128 v[1:4], v25 offset:928
	v_dual_add_f32 v28, v14, v216 :: v_dual_add_f32 v21, v21, v205
	s_delay_alu instid0(VALU_DEP_1) | instskip(NEXT) | instid1(VALU_DEP_1)
	v_add_f32_e32 v163, v28, v218
	v_dual_add_f32 v21, v21, v207 :: v_dual_add_f32 v156, v163, v156
	s_delay_alu instid0(VALU_DEP_1) | instskip(NEXT) | instid1(VALU_DEP_1)
	v_dual_add_f32 v21, v21, v209 :: v_dual_add_f32 v156, v156, v158
	v_dual_add_f32 v13, v21, v211 :: v_dual_add_f32 v156, v156, v161
	s_delay_alu instid0(VALU_DEP_1)
	v_add_f32_e32 v21, v13, v213
	ds_load_b128 v[13:16], v25 offset:944
	s_wait_loadcnt_dscnt 0x201
	v_mul_f32_e32 v163, v1, v6
	v_mul_f32_e32 v6, v2, v6
	v_dual_add_f32 v156, v156, v162 :: v_dual_add_f32 v29, v21, v215
	ds_load_b128 v[21:24], v25 offset:960
	v_fmac_f32_e32 v163, v2, v5
	v_fma_f32 v1, v1, v5, -v6
	v_add_f32_e32 v164, v29, v217
	ds_load_b64 v[28:29], v25 offset:976
	v_add_f32_e32 v1, v156, v1
	v_add_f32_e32 v32, v164, v32
	s_delay_alu instid0(VALU_DEP_1) | instskip(SKIP_3) | instid1(VALU_DEP_3)
	v_dual_add_f32 v32, v32, v155 :: v_dual_mul_f32 v155, v3, v8
	v_mul_f32_e32 v8, v4, v8
	s_wait_loadcnt_dscnt 0x102
	v_dual_mul_f32 v158, v13, v10 :: v_dual_mul_f32 v5, v16, v12
	v_add_f32_e32 v32, v32, v159
	v_fmac_f32_e32 v155, v4, v7
	v_fma_f32 v2, v3, v7, -v8
	v_mul_f32_e32 v3, v14, v10
	v_mul_f32_e32 v159, v15, v12
	v_add_f32_e32 v32, v32, v160
	s_delay_alu instid0(VALU_DEP_4) | instskip(NEXT) | instid1(VALU_DEP_4)
	v_dual_fmac_f32 v158, v14, v9 :: v_dual_add_f32 v1, v1, v2
	v_fma_f32 v3, v13, v9, -v3
	s_delay_alu instid0(VALU_DEP_4) | instskip(NEXT) | instid1(VALU_DEP_4)
	v_fmac_f32_e32 v159, v16, v11
	v_add_f32_e32 v4, v32, v163
	v_fma_f32 v5, v15, v11, -v5
	s_wait_dscnt 0x0
	v_mul_f32_e32 v160, v28, v27
	v_add_f32_e32 v1, v1, v3
	v_add_f32_e32 v2, v4, v155
	s_delay_alu instid0(VALU_DEP_3) | instskip(NEXT) | instid1(VALU_DEP_3)
	v_fmac_f32_e32 v160, v29, v26
	v_add_f32_e32 v1, v1, v5
	s_delay_alu instid0(VALU_DEP_3) | instskip(SKIP_1) | instid1(VALU_DEP_1)
	v_dual_mul_f32 v5, v29, v27 :: v_dual_add_f32 v2, v2, v158
	s_wait_loadcnt 0x0
	v_dual_add_f32 v2, v2, v159 :: v_dual_mul_f32 v161, v21, v18
	v_mul_f32_e32 v4, v22, v18
	v_mul_f32_e32 v162, v23, v20
	;; [unrolled: 1-line block ×3, first 2 shown]
	s_delay_alu instid0(VALU_DEP_4) | instskip(NEXT) | instid1(VALU_DEP_4)
	v_fmac_f32_e32 v161, v22, v17
	v_fma_f32 v4, v21, v17, -v4
	s_delay_alu instid0(VALU_DEP_4) | instskip(NEXT) | instid1(VALU_DEP_4)
	v_fmac_f32_e32 v162, v24, v19
	v_fma_f32 v3, v23, v19, -v3
	s_delay_alu instid0(VALU_DEP_3) | instskip(SKIP_1) | instid1(VALU_DEP_2)
	v_dual_add_f32 v2, v2, v161 :: v_dual_add_f32 v1, v1, v4
	v_fma_f32 v4, v28, v26, -v5
	v_dual_add_f32 v2, v2, v162 :: v_dual_add_f32 v1, v1, v3
	s_delay_alu instid0(VALU_DEP_1) | instskip(NEXT) | instid1(VALU_DEP_1)
	v_add_f32_e32 v2, v2, v160
	v_dual_add_f32 v1, v1, v4 :: v_dual_sub_f32 v2, v31, v2
	s_delay_alu instid0(VALU_DEP_1)
	v_sub_f32_e32 v1, v30, v1
	scratch_store_b64 off, v[1:2], off offset:72
	v_cmpx_lt_u32_e32 8, v0
	s_cbranch_execz .LBB124_363
; %bb.362:
	scratch_load_b64 v[1:2], off, off offset:64
	v_mov_b32_e32 v26, v25
	scratch_store_b64 off, v[25:26], off offset:64
	s_wait_loadcnt 0x0
	ds_store_b64 v157, v[1:2]
.LBB124_363:
	s_wait_alu 0xfffe
	s_or_b32 exec_lo, exec_lo, s0
	s_wait_storecnt_dscnt 0x0
	s_barrier_signal -1
	s_barrier_wait -1
	global_inv scope:SCOPE_SE
	s_clause 0x4
	scratch_load_b128 v[5:8], off, off offset:72
	scratch_load_b128 v[1:4], off, off offset:88
	;; [unrolled: 1-line block ×5, first 2 shown]
	ds_load_2addr_b64 v[21:24], v25 offset0:71 offset1:72
	ds_load_2addr_b64 v[26:29], v25 offset0:73 offset1:74
	;; [unrolled: 1-line block ×3, first 2 shown]
	scratch_load_b64 v[30:31], off, off offset:64
	s_mov_b32 s0, exec_lo
	s_wait_loadcnt_dscnt 0x502
	v_dual_mul_f32 v32, v21, v6 :: v_dual_mul_f32 v155, v23, v8
	v_mul_f32_e32 v6, v22, v6
	v_mul_f32_e32 v8, v24, v8
	s_wait_loadcnt_dscnt 0x300
	v_mul_f32_e32 v156, v158, v10
	v_dual_fmac_f32 v32, v22, v5 :: v_dual_fmac_f32 v155, v24, v7
	v_fma_f32 v21, v21, v5, -v6
	v_fma_f32 v22, v23, v7, -v8
	ds_load_2addr_b64 v[5:8], v25 offset0:77 offset1:78
	v_dual_mul_f32 v23, v26, v2 :: v_dual_mul_f32 v24, v28, v4
	v_mul_f32_e32 v4, v29, v4
	v_mul_f32_e32 v10, v159, v10
	;; [unrolled: 1-line block ×5, first 2 shown]
	v_dual_fmac_f32 v23, v27, v1 :: v_dual_fmac_f32 v24, v29, v3
	v_fma_f32 v27, v28, v3, -v4
	v_fmac_f32_e32 v156, v159, v9
	v_fma_f32 v28, v158, v9, -v10
	v_fmac_f32_e32 v162, v161, v11
	v_fma_f32 v29, v160, v11, -v12
	ds_load_2addr_b64 v[9:12], v25 offset0:79 offset1:80
	s_wait_loadcnt_dscnt 0x201
	v_dual_mul_f32 v159, v7, v16 :: v_dual_mul_f32 v158, v5, v14
	v_mul_f32_e32 v14, v6, v14
	v_mul_f32_e32 v16, v8, v16
	s_delay_alu instid0(VALU_DEP_3)
	v_fmac_f32_e32 v159, v8, v15
	v_fma_f32 v26, v26, v1, -v2
	scratch_load_b128 v[1:4], off, off offset:152
	v_fmac_f32_e32 v158, v6, v13
	v_fma_f32 v13, v5, v13, -v14
	v_fma_f32 v14, v7, v15, -v16
	ds_load_2addr_b64 v[5:8], v25 offset0:81 offset1:82
	s_wait_loadcnt_dscnt 0x201
	v_mul_f32_e32 v15, v9, v18
	v_mul_f32_e32 v16, v10, v18
	;; [unrolled: 1-line block ×3, first 2 shown]
	s_delay_alu instid0(VALU_DEP_3) | instskip(NEXT) | instid1(VALU_DEP_3)
	v_dual_mul_f32 v20, v12, v20 :: v_dual_fmac_f32 v15, v10, v17
	v_fma_f32 v16, v9, v17, -v16
	s_delay_alu instid0(VALU_DEP_3) | instskip(NEXT) | instid1(VALU_DEP_3)
	v_fmac_f32_e32 v18, v12, v19
	v_fma_f32 v17, v11, v19, -v20
	scratch_load_b128 v[9:12], off, off offset:168
	s_wait_loadcnt_dscnt 0x100
	v_mul_f32_e32 v19, v5, v2
	v_mul_f32_e32 v2, v6, v2
	v_mul_f32_e32 v20, v7, v4
	s_delay_alu instid0(VALU_DEP_3) | instskip(NEXT) | instid1(VALU_DEP_3)
	v_dual_mul_f32 v4, v8, v4 :: v_dual_fmac_f32 v19, v6, v1
	v_fma_f32 v160, v5, v1, -v2
	s_delay_alu instid0(VALU_DEP_3) | instskip(NEXT) | instid1(VALU_DEP_3)
	v_fmac_f32_e32 v20, v8, v3
	v_fma_f32 v161, v7, v3, -v4
	ds_load_2addr_b64 v[1:4], v25 offset0:83 offset1:84
	ds_load_2addr_b64 v[5:8], v25 offset0:85 offset1:86
	s_wait_loadcnt_dscnt 0x1
	v_mul_f32_e32 v163, v1, v10
	v_mul_f32_e32 v10, v2, v10
	s_delay_alu instid0(VALU_DEP_2) | instskip(NEXT) | instid1(VALU_DEP_2)
	v_dual_mul_f32 v164, v3, v12 :: v_dual_fmac_f32 v163, v2, v9
	v_fma_f32 v165, v1, v9, -v10
	v_mul_f32_e32 v1, v4, v12
	s_delay_alu instid0(VALU_DEP_3) | instskip(NEXT) | instid1(VALU_DEP_2)
	v_fmac_f32_e32 v164, v4, v11
	v_fma_f32 v166, v3, v11, -v1
	s_clause 0x1
	scratch_load_b128 v[1:4], off, off offset:184
	scratch_load_b128 v[9:12], off, off offset:200
	s_wait_loadcnt_dscnt 0x100
	v_mul_f32_e32 v167, v5, v2
	v_dual_mul_f32 v2, v6, v2 :: v_dual_mul_f32 v169, v7, v4
	s_delay_alu instid0(VALU_DEP_2) | instskip(NEXT) | instid1(VALU_DEP_2)
	v_fmac_f32_e32 v167, v6, v1
	v_fma_f32 v168, v5, v1, -v2
	v_mul_f32_e32 v1, v8, v4
	s_delay_alu instid0(VALU_DEP_4) | instskip(NEXT) | instid1(VALU_DEP_2)
	v_fmac_f32_e32 v169, v8, v3
	v_fma_f32 v170, v7, v3, -v1
	ds_load_2addr_b64 v[1:4], v25 offset0:87 offset1:88
	ds_load_2addr_b64 v[5:8], v25 offset0:89 offset1:90
	s_wait_loadcnt_dscnt 0x1
	v_mul_f32_e32 v171, v1, v10
	v_mul_f32_e32 v173, v3, v12
	s_delay_alu instid0(VALU_DEP_2) | instskip(NEXT) | instid1(VALU_DEP_2)
	v_fmac_f32_e32 v171, v2, v9
	v_dual_mul_f32 v2, v2, v10 :: v_dual_fmac_f32 v173, v4, v11
	s_delay_alu instid0(VALU_DEP_1) | instskip(SKIP_1) | instid1(VALU_DEP_1)
	v_fma_f32 v172, v1, v9, -v2
	v_mul_f32_e32 v1, v4, v12
	v_fma_f32 v174, v3, v11, -v1
	s_clause 0x1
	scratch_load_b128 v[1:4], off, off offset:216
	scratch_load_b128 v[9:12], off, off offset:232
	s_wait_loadcnt_dscnt 0x100
	v_mul_f32_e32 v175, v5, v2
	v_dual_mul_f32 v2, v6, v2 :: v_dual_mul_f32 v177, v7, v4
	s_delay_alu instid0(VALU_DEP_2) | instskip(NEXT) | instid1(VALU_DEP_2)
	v_fmac_f32_e32 v175, v6, v1
	v_fma_f32 v176, v5, v1, -v2
	v_mul_f32_e32 v1, v8, v4
	s_delay_alu instid0(VALU_DEP_4) | instskip(NEXT) | instid1(VALU_DEP_2)
	v_fmac_f32_e32 v177, v8, v3
	v_fma_f32 v178, v7, v3, -v1
	ds_load_2addr_b64 v[1:4], v25 offset0:91 offset1:92
	ds_load_2addr_b64 v[5:8], v25 offset0:93 offset1:94
	s_wait_loadcnt_dscnt 0x1
	v_mul_f32_e32 v179, v1, v10
	v_mul_f32_e32 v181, v3, v12
	s_delay_alu instid0(VALU_DEP_2) | instskip(NEXT) | instid1(VALU_DEP_2)
	v_fmac_f32_e32 v179, v2, v9
	v_dual_mul_f32 v2, v2, v10 :: v_dual_fmac_f32 v181, v4, v11
	s_delay_alu instid0(VALU_DEP_1) | instskip(SKIP_1) | instid1(VALU_DEP_1)
	v_fma_f32 v180, v1, v9, -v2
	v_mul_f32_e32 v1, v4, v12
	;; [unrolled: 25-line block ×7, first 2 shown]
	v_fma_f32 v222, v3, v11, -v1
	s_clause 0x1
	scratch_load_b128 v[1:4], off, off offset:408
	scratch_load_b128 v[9:12], off, off offset:424
	s_wait_loadcnt_dscnt 0x100
	v_mul_f32_e32 v223, v5, v2
	v_mul_f32_e32 v2, v6, v2
	s_delay_alu instid0(VALU_DEP_2) | instskip(NEXT) | instid1(VALU_DEP_2)
	v_fmac_f32_e32 v223, v6, v1
	v_fma_f32 v224, v5, v1, -v2
	v_add_f32_e32 v2, 0, v32
	s_delay_alu instid0(VALU_DEP_1) | instskip(NEXT) | instid1(VALU_DEP_1)
	v_dual_mul_f32 v1, v8, v4 :: v_dual_add_f32 v2, v2, v155
	v_fma_f32 v226, v7, v3, -v1
	s_delay_alu instid0(VALU_DEP_2) | instskip(NEXT) | instid1(VALU_DEP_1)
	v_dual_add_f32 v1, 0, v21 :: v_dual_add_f32 v2, v2, v23
	v_add_f32_e32 v2, v2, v24
	s_delay_alu instid0(VALU_DEP_1) | instskip(NEXT) | instid1(VALU_DEP_1)
	v_add_f32_e32 v2, v2, v156
	v_add_f32_e32 v2, v2, v162
	s_delay_alu instid0(VALU_DEP_1) | instskip(NEXT) | instid1(VALU_DEP_1)
	v_add_f32_e32 v2, v2, v158
	;; [unrolled: 3-line block ×4, first 2 shown]
	v_dual_add_f32 v2, v2, v20 :: v_dual_add_f32 v1, v1, v22
	s_delay_alu instid0(VALU_DEP_1) | instskip(NEXT) | instid1(VALU_DEP_1)
	v_dual_add_f32 v2, v2, v163 :: v_dual_add_f32 v1, v1, v26
	v_dual_add_f32 v2, v2, v164 :: v_dual_add_f32 v1, v1, v27
	s_delay_alu instid0(VALU_DEP_1) | instskip(NEXT) | instid1(VALU_DEP_1)
	v_dual_add_f32 v2, v2, v167 :: v_dual_add_f32 v1, v1, v28
	v_add_f32_e32 v2, v2, v169
	s_delay_alu instid0(VALU_DEP_1) | instskip(NEXT) | instid1(VALU_DEP_1)
	v_dual_add_f32 v1, v1, v29 :: v_dual_add_f32 v2, v2, v171
	v_add_f32_e32 v1, v1, v13
	s_delay_alu instid0(VALU_DEP_1) | instskip(NEXT) | instid1(VALU_DEP_1)
	v_dual_add_f32 v2, v2, v173 :: v_dual_add_f32 v1, v1, v14
	v_dual_add_f32 v2, v2, v175 :: v_dual_add_f32 v1, v1, v16
	s_delay_alu instid0(VALU_DEP_1) | instskip(NEXT) | instid1(VALU_DEP_1)
	v_add_f32_e32 v2, v2, v177
	v_dual_add_f32 v1, v1, v17 :: v_dual_add_f32 v2, v2, v179
	s_delay_alu instid0(VALU_DEP_1) | instskip(NEXT) | instid1(VALU_DEP_1)
	v_dual_add_f32 v1, v1, v160 :: v_dual_add_f32 v2, v2, v181
	v_add_f32_e32 v1, v1, v161
	s_delay_alu instid0(VALU_DEP_1) | instskip(NEXT) | instid1(VALU_DEP_1)
	v_add_f32_e32 v1, v1, v165
	v_add_f32_e32 v1, v1, v166
	s_delay_alu instid0(VALU_DEP_1) | instskip(NEXT) | instid1(VALU_DEP_1)
	v_add_f32_e32 v1, v1, v168
	;; [unrolled: 3-line block ×9, first 2 shown]
	v_add_f32_e32 v6, v1, v198
	v_add_f32_e32 v2, v2, v183
	s_delay_alu instid0(VALU_DEP_2) | instskip(NEXT) | instid1(VALU_DEP_2)
	v_add_f32_e32 v6, v6, v200
	v_add_f32_e32 v2, v2, v185
	s_delay_alu instid0(VALU_DEP_2) | instskip(NEXT) | instid1(VALU_DEP_1)
	v_add_f32_e32 v13, v6, v202
	v_dual_add_f32 v2, v2, v187 :: v_dual_add_f32 v13, v13, v204
	s_delay_alu instid0(VALU_DEP_1) | instskip(NEXT) | instid1(VALU_DEP_1)
	v_dual_add_f32 v2, v2, v189 :: v_dual_add_f32 v13, v13, v206
	v_dual_add_f32 v2, v2, v191 :: v_dual_add_f32 v13, v13, v208
	s_delay_alu instid0(VALU_DEP_1) | instskip(NEXT) | instid1(VALU_DEP_1)
	v_add_f32_e32 v2, v2, v193
	v_dual_add_f32 v18, v13, v210 :: v_dual_add_f32 v5, v2, v195
	s_delay_alu instid0(VALU_DEP_1) | instskip(NEXT) | instid1(VALU_DEP_1)
	v_dual_add_f32 v18, v18, v212 :: v_dual_add_f32 v5, v5, v197
	v_dual_add_f32 v18, v18, v214 :: v_dual_add_f32 v5, v5, v199
	s_delay_alu instid0(VALU_DEP_1) | instskip(NEXT) | instid1(VALU_DEP_1)
	v_dual_add_f32 v21, v18, v216 :: v_dual_add_f32 v14, v5, v201
	v_dual_add_f32 v32, v21, v218 :: v_dual_mul_f32 v225, v7, v4
	s_delay_alu instid0(VALU_DEP_2) | instskip(NEXT) | instid1(VALU_DEP_2)
	v_add_f32_e32 v14, v14, v203
	v_fmac_f32_e32 v225, v8, v3
	ds_load_2addr_b64 v[1:4], v25 offset0:115 offset1:116
	ds_load_2addr_b64 v[5:8], v25 offset0:117 offset1:118
	v_add_f32_e32 v14, v14, v205
	s_delay_alu instid0(VALU_DEP_1) | instskip(SKIP_2) | instid1(VALU_DEP_1)
	v_add_f32_e32 v17, v14, v207
	scratch_load_b128 v[13:16], off, off offset:472
	v_add_f32_e32 v17, v17, v209
	v_add_f32_e32 v17, v17, v211
	s_wait_loadcnt_dscnt 0x101
	v_dual_mul_f32 v26, v1, v10 :: v_dual_mul_f32 v27, v3, v12
	v_mul_f32_e32 v10, v2, v10
	s_delay_alu instid0(VALU_DEP_3) | instskip(NEXT) | instid1(VALU_DEP_3)
	v_dual_mul_f32 v12, v4, v12 :: v_dual_add_f32 v17, v17, v213
	v_dual_fmac_f32 v26, v2, v9 :: v_dual_fmac_f32 v27, v4, v11
	s_delay_alu instid0(VALU_DEP_3) | instskip(NEXT) | instid1(VALU_DEP_3)
	v_fma_f32 v28, v1, v9, -v10
	v_fma_f32 v29, v3, v11, -v12
	s_clause 0x1
	scratch_load_b128 v[1:4], off, off offset:440
	scratch_load_b128 v[9:12], off, off offset:456
	s_wait_loadcnt_dscnt 0x100
	v_mul_f32_e32 v156, v7, v4
	v_add_f32_e32 v22, v17, v215
	ds_load_2addr_b64 v[17:20], v25 offset0:119 offset1:120
	v_mul_f32_e32 v4, v8, v4
	v_dual_fmac_f32 v156, v8, v3 :: v_dual_add_f32 v155, v22, v217
	ds_load_2addr_b64 v[21:24], v25 offset0:121 offset1:122
	v_add_f32_e32 v25, v32, v220
	v_fma_f32 v3, v7, v3, -v4
	s_delay_alu instid0(VALU_DEP_2) | instskip(NEXT) | instid1(VALU_DEP_1)
	v_add_f32_e32 v25, v25, v222
	v_add_f32_e32 v25, v25, v224
	s_wait_loadcnt_dscnt 0x1
	v_mul_f32_e32 v158, v17, v10
	s_delay_alu instid0(VALU_DEP_2)
	v_dual_add_f32 v32, v155, v219 :: v_dual_add_f32 v25, v25, v226
	v_mul_f32_e32 v155, v5, v2
	v_mul_f32_e32 v2, v6, v2
	s_wait_dscnt 0x0
	v_mul_f32_e32 v160, v21, v14
	v_dual_add_f32 v32, v32, v221 :: v_dual_add_f32 v25, v25, v28
	v_fmac_f32_e32 v155, v6, v1
	v_fma_f32 v2, v5, v1, -v2
	v_mul_f32_e32 v6, v18, v10
	s_delay_alu instid0(VALU_DEP_4) | instskip(SKIP_3) | instid1(VALU_DEP_4)
	v_dual_add_f32 v32, v32, v223 :: v_dual_add_f32 v1, v25, v29
	v_mul_f32_e32 v159, v19, v12
	v_mul_f32_e32 v4, v20, v12
	v_fmac_f32_e32 v158, v18, v9
	v_dual_add_f32 v32, v32, v225 :: v_dual_add_f32 v1, v1, v2
	s_delay_alu instid0(VALU_DEP_4) | instskip(NEXT) | instid1(VALU_DEP_4)
	v_fmac_f32_e32 v159, v20, v11
	v_fma_f32 v4, v19, v11, -v4
	v_mul_f32_e32 v28, v23, v16
	s_delay_alu instid0(VALU_DEP_4) | instskip(SKIP_2) | instid1(VALU_DEP_4)
	v_dual_add_f32 v26, v32, v26 :: v_dual_add_f32 v1, v1, v3
	v_mul_f32_e32 v3, v22, v14
	v_fmac_f32_e32 v160, v22, v13
	v_fmac_f32_e32 v28, v24, v15
	s_delay_alu instid0(VALU_DEP_4) | instskip(NEXT) | instid1(VALU_DEP_4)
	v_add_f32_e32 v5, v26, v27
	v_fma_f32 v3, v21, v13, -v3
	s_delay_alu instid0(VALU_DEP_2) | instskip(SKIP_1) | instid1(VALU_DEP_1)
	v_add_f32_e32 v2, v5, v155
	v_fma_f32 v5, v17, v9, -v6
	v_dual_add_f32 v2, v2, v156 :: v_dual_add_f32 v1, v1, v5
	s_delay_alu instid0(VALU_DEP_1) | instskip(NEXT) | instid1(VALU_DEP_2)
	v_dual_mul_f32 v5, v24, v16 :: v_dual_add_f32 v2, v2, v158
	v_add_f32_e32 v1, v1, v4
	s_delay_alu instid0(VALU_DEP_2) | instskip(NEXT) | instid1(VALU_DEP_3)
	v_fma_f32 v4, v23, v15, -v5
	v_add_f32_e32 v2, v2, v159
	s_delay_alu instid0(VALU_DEP_1) | instskip(NEXT) | instid1(VALU_DEP_1)
	v_dual_add_f32 v1, v1, v3 :: v_dual_add_f32 v2, v2, v160
	v_add_f32_e32 v1, v1, v4
	s_delay_alu instid0(VALU_DEP_2) | instskip(NEXT) | instid1(VALU_DEP_1)
	v_add_f32_e32 v2, v2, v28
	v_dual_sub_f32 v1, v30, v1 :: v_dual_sub_f32 v2, v31, v2
	scratch_store_b64 off, v[1:2], off offset:64
	v_cmpx_lt_u32_e32 7, v0
	s_cbranch_execz .LBB124_365
; %bb.364:
	scratch_load_b64 v[1:2], off, off offset:56
	v_mov_b32_e32 v3, 0
	s_delay_alu instid0(VALU_DEP_1)
	v_mov_b32_e32 v4, v3
	scratch_store_b64 off, v[3:4], off offset:56
	s_wait_loadcnt 0x0
	ds_store_b64 v157, v[1:2]
.LBB124_365:
	s_wait_alu 0xfffe
	s_or_b32 exec_lo, exec_lo, s0
	s_wait_storecnt_dscnt 0x0
	s_barrier_signal -1
	s_barrier_wait -1
	global_inv scope:SCOPE_SE
	s_clause 0x4
	scratch_load_b128 v[5:8], off, off offset:64
	scratch_load_b128 v[1:4], off, off offset:80
	;; [unrolled: 1-line block ×5, first 2 shown]
	v_mov_b32_e32 v25, 0
	ds_load_b128 v[21:24], v25 offset:560
	ds_load_b128 v[26:29], v25 offset:576
	ds_load_b128 v[158:161], v25 offset:592
	scratch_load_b64 v[30:31], off, off offset:56
	s_mov_b32 s0, exec_lo
	s_wait_loadcnt_dscnt 0x502
	v_dual_mul_f32 v32, v21, v6 :: v_dual_mul_f32 v155, v23, v8
	v_mul_f32_e32 v6, v22, v6
	v_mul_f32_e32 v8, v24, v8
	s_wait_loadcnt_dscnt 0x300
	v_mul_f32_e32 v162, v160, v12
	v_dual_fmac_f32 v32, v22, v5 :: v_dual_fmac_f32 v155, v24, v7
	v_fma_f32 v21, v21, v5, -v6
	v_fma_f32 v22, v23, v7, -v8
	ds_load_b128 v[5:8], v25 offset:608
	v_dual_mul_f32 v23, v26, v2 :: v_dual_mul_f32 v24, v28, v4
	v_mul_f32_e32 v4, v29, v4
	v_mul_f32_e32 v156, v158, v10
	;; [unrolled: 1-line block ×5, first 2 shown]
	v_dual_fmac_f32 v23, v27, v1 :: v_dual_fmac_f32 v24, v29, v3
	v_fma_f32 v27, v28, v3, -v4
	v_fmac_f32_e32 v156, v159, v9
	v_fmac_f32_e32 v162, v161, v11
	v_fma_f32 v28, v158, v9, -v10
	v_fma_f32 v29, v160, v11, -v12
	ds_load_b128 v[9:12], v25 offset:624
	s_wait_loadcnt_dscnt 0x201
	v_dual_mul_f32 v159, v7, v16 :: v_dual_mul_f32 v158, v5, v14
	v_mul_f32_e32 v14, v6, v14
	v_mul_f32_e32 v16, v8, v16
	s_delay_alu instid0(VALU_DEP_3)
	v_fmac_f32_e32 v159, v8, v15
	v_fma_f32 v26, v26, v1, -v2
	scratch_load_b128 v[1:4], off, off offset:144
	v_fmac_f32_e32 v158, v6, v13
	v_fma_f32 v13, v5, v13, -v14
	v_fma_f32 v14, v7, v15, -v16
	ds_load_b128 v[5:8], v25 offset:640
	s_wait_loadcnt_dscnt 0x201
	v_mul_f32_e32 v15, v9, v18
	v_mul_f32_e32 v16, v10, v18
	;; [unrolled: 1-line block ×3, first 2 shown]
	s_delay_alu instid0(VALU_DEP_3) | instskip(NEXT) | instid1(VALU_DEP_3)
	v_dual_mul_f32 v20, v12, v20 :: v_dual_fmac_f32 v15, v10, v17
	v_fma_f32 v16, v9, v17, -v16
	s_delay_alu instid0(VALU_DEP_3) | instskip(NEXT) | instid1(VALU_DEP_3)
	v_fmac_f32_e32 v18, v12, v19
	v_fma_f32 v17, v11, v19, -v20
	scratch_load_b128 v[9:12], off, off offset:160
	s_wait_loadcnt_dscnt 0x100
	v_mul_f32_e32 v19, v5, v2
	v_mul_f32_e32 v2, v6, v2
	;; [unrolled: 1-line block ×3, first 2 shown]
	s_delay_alu instid0(VALU_DEP_3) | instskip(NEXT) | instid1(VALU_DEP_3)
	v_dual_mul_f32 v4, v8, v4 :: v_dual_fmac_f32 v19, v6, v1
	v_fma_f32 v160, v5, v1, -v2
	s_delay_alu instid0(VALU_DEP_3) | instskip(NEXT) | instid1(VALU_DEP_3)
	v_fmac_f32_e32 v20, v8, v3
	v_fma_f32 v161, v7, v3, -v4
	ds_load_b128 v[1:4], v25 offset:656
	ds_load_b128 v[5:8], v25 offset:672
	s_wait_loadcnt_dscnt 0x1
	v_mul_f32_e32 v163, v1, v10
	v_mul_f32_e32 v10, v2, v10
	s_delay_alu instid0(VALU_DEP_2) | instskip(NEXT) | instid1(VALU_DEP_2)
	v_dual_mul_f32 v164, v3, v12 :: v_dual_fmac_f32 v163, v2, v9
	v_fma_f32 v165, v1, v9, -v10
	v_mul_f32_e32 v1, v4, v12
	s_delay_alu instid0(VALU_DEP_3) | instskip(NEXT) | instid1(VALU_DEP_2)
	v_fmac_f32_e32 v164, v4, v11
	v_fma_f32 v166, v3, v11, -v1
	s_clause 0x1
	scratch_load_b128 v[1:4], off, off offset:176
	scratch_load_b128 v[9:12], off, off offset:192
	s_wait_loadcnt_dscnt 0x100
	v_mul_f32_e32 v167, v5, v2
	v_dual_mul_f32 v2, v6, v2 :: v_dual_mul_f32 v169, v7, v4
	s_delay_alu instid0(VALU_DEP_2) | instskip(NEXT) | instid1(VALU_DEP_2)
	v_fmac_f32_e32 v167, v6, v1
	v_fma_f32 v168, v5, v1, -v2
	v_mul_f32_e32 v1, v8, v4
	s_delay_alu instid0(VALU_DEP_4) | instskip(NEXT) | instid1(VALU_DEP_2)
	v_fmac_f32_e32 v169, v8, v3
	v_fma_f32 v170, v7, v3, -v1
	ds_load_b128 v[1:4], v25 offset:688
	ds_load_b128 v[5:8], v25 offset:704
	s_wait_loadcnt_dscnt 0x1
	v_mul_f32_e32 v171, v1, v10
	v_mul_f32_e32 v173, v3, v12
	s_delay_alu instid0(VALU_DEP_2) | instskip(NEXT) | instid1(VALU_DEP_2)
	v_fmac_f32_e32 v171, v2, v9
	v_dual_mul_f32 v2, v2, v10 :: v_dual_fmac_f32 v173, v4, v11
	s_delay_alu instid0(VALU_DEP_1) | instskip(SKIP_1) | instid1(VALU_DEP_1)
	v_fma_f32 v172, v1, v9, -v2
	v_mul_f32_e32 v1, v4, v12
	v_fma_f32 v174, v3, v11, -v1
	s_clause 0x1
	scratch_load_b128 v[1:4], off, off offset:208
	scratch_load_b128 v[9:12], off, off offset:224
	s_wait_loadcnt_dscnt 0x100
	v_mul_f32_e32 v175, v5, v2
	v_dual_mul_f32 v2, v6, v2 :: v_dual_mul_f32 v177, v7, v4
	s_delay_alu instid0(VALU_DEP_2) | instskip(NEXT) | instid1(VALU_DEP_2)
	v_fmac_f32_e32 v175, v6, v1
	v_fma_f32 v176, v5, v1, -v2
	v_mul_f32_e32 v1, v8, v4
	s_delay_alu instid0(VALU_DEP_4) | instskip(NEXT) | instid1(VALU_DEP_2)
	v_fmac_f32_e32 v177, v8, v3
	v_fma_f32 v178, v7, v3, -v1
	ds_load_b128 v[1:4], v25 offset:720
	ds_load_b128 v[5:8], v25 offset:736
	s_wait_loadcnt_dscnt 0x1
	v_mul_f32_e32 v179, v1, v10
	v_mul_f32_e32 v181, v3, v12
	s_delay_alu instid0(VALU_DEP_2) | instskip(NEXT) | instid1(VALU_DEP_2)
	v_fmac_f32_e32 v179, v2, v9
	v_dual_mul_f32 v2, v2, v10 :: v_dual_fmac_f32 v181, v4, v11
	s_delay_alu instid0(VALU_DEP_1) | instskip(SKIP_1) | instid1(VALU_DEP_1)
	v_fma_f32 v180, v1, v9, -v2
	v_mul_f32_e32 v1, v4, v12
	;; [unrolled: 25-line block ×7, first 2 shown]
	v_fma_f32 v222, v3, v11, -v1
	s_clause 0x1
	scratch_load_b128 v[1:4], off, off offset:400
	scratch_load_b128 v[9:12], off, off offset:416
	s_wait_loadcnt_dscnt 0x100
	v_mul_f32_e32 v223, v5, v2
	v_dual_mul_f32 v2, v6, v2 :: v_dual_mul_f32 v225, v7, v4
	s_delay_alu instid0(VALU_DEP_2) | instskip(NEXT) | instid1(VALU_DEP_2)
	v_fmac_f32_e32 v223, v6, v1
	v_fma_f32 v224, v5, v1, -v2
	s_delay_alu instid0(VALU_DEP_3) | instskip(NEXT) | instid1(VALU_DEP_1)
	v_dual_add_f32 v2, 0, v32 :: v_dual_fmac_f32 v225, v8, v3
	v_add_f32_e32 v2, v2, v155
	s_delay_alu instid0(VALU_DEP_1) | instskip(NEXT) | instid1(VALU_DEP_1)
	v_add_f32_e32 v2, v2, v23
	v_add_f32_e32 v2, v2, v24
	s_delay_alu instid0(VALU_DEP_1) | instskip(NEXT) | instid1(VALU_DEP_1)
	v_add_f32_e32 v2, v2, v156
	;; [unrolled: 3-line block ×5, first 2 shown]
	v_add_f32_e32 v2, v2, v20
	s_delay_alu instid0(VALU_DEP_1) | instskip(NEXT) | instid1(VALU_DEP_1)
	v_dual_mul_f32 v1, v8, v4 :: v_dual_add_f32 v2, v2, v163
	v_fma_f32 v226, v7, v3, -v1
	s_delay_alu instid0(VALU_DEP_2) | instskip(NEXT) | instid1(VALU_DEP_1)
	v_dual_add_f32 v1, 0, v21 :: v_dual_add_f32 v2, v2, v164
	v_dual_add_f32 v1, v1, v22 :: v_dual_add_f32 v2, v2, v167
	s_delay_alu instid0(VALU_DEP_1) | instskip(NEXT) | instid1(VALU_DEP_1)
	v_dual_add_f32 v1, v1, v26 :: v_dual_add_f32 v2, v2, v169
	v_add_f32_e32 v1, v1, v27
	scratch_load_b64 v[26:27], off, off offset:480
	v_dual_add_f32 v2, v2, v171 :: v_dual_add_f32 v1, v1, v28
	s_delay_alu instid0(VALU_DEP_1) | instskip(NEXT) | instid1(VALU_DEP_1)
	v_add_f32_e32 v2, v2, v173
	v_dual_add_f32 v1, v1, v29 :: v_dual_add_f32 v2, v2, v175
	s_delay_alu instid0(VALU_DEP_1) | instskip(NEXT) | instid1(VALU_DEP_1)
	v_add_f32_e32 v1, v1, v13
	v_dual_add_f32 v2, v2, v177 :: v_dual_add_f32 v1, v1, v14
	s_delay_alu instid0(VALU_DEP_1) | instskip(NEXT) | instid1(VALU_DEP_1)
	v_dual_add_f32 v2, v2, v179 :: v_dual_add_f32 v1, v1, v16
	v_add_f32_e32 v2, v2, v181
	s_delay_alu instid0(VALU_DEP_2) | instskip(NEXT) | instid1(VALU_DEP_1)
	v_add_f32_e32 v1, v1, v17
	v_add_f32_e32 v1, v1, v160
	s_delay_alu instid0(VALU_DEP_1) | instskip(NEXT) | instid1(VALU_DEP_1)
	v_add_f32_e32 v1, v1, v161
	v_add_f32_e32 v1, v1, v165
	s_delay_alu instid0(VALU_DEP_1) | instskip(NEXT) | instid1(VALU_DEP_1)
	;; [unrolled: 3-line block ×9, first 2 shown]
	v_add_f32_e32 v1, v1, v194
	v_add_f32_e32 v1, v1, v196
	s_delay_alu instid0(VALU_DEP_1) | instskip(SKIP_1) | instid1(VALU_DEP_2)
	v_add_f32_e32 v6, v1, v198
	v_add_f32_e32 v2, v2, v183
	;; [unrolled: 1-line block ×3, first 2 shown]
	s_delay_alu instid0(VALU_DEP_2) | instskip(NEXT) | instid1(VALU_DEP_2)
	v_add_f32_e32 v2, v2, v185
	v_add_f32_e32 v13, v6, v202
	s_delay_alu instid0(VALU_DEP_1) | instskip(NEXT) | instid1(VALU_DEP_1)
	v_dual_add_f32 v2, v2, v187 :: v_dual_add_f32 v13, v13, v204
	v_dual_add_f32 v2, v2, v189 :: v_dual_add_f32 v13, v13, v206
	s_delay_alu instid0(VALU_DEP_1) | instskip(NEXT) | instid1(VALU_DEP_1)
	v_dual_add_f32 v2, v2, v191 :: v_dual_add_f32 v13, v13, v208
	v_add_f32_e32 v2, v2, v193
	s_delay_alu instid0(VALU_DEP_1) | instskip(SKIP_2) | instid1(VALU_DEP_1)
	v_dual_add_f32 v18, v13, v210 :: v_dual_add_f32 v5, v2, v195
	ds_load_b128 v[1:4], v25 offset:912
	v_dual_add_f32 v18, v18, v212 :: v_dual_add_f32 v5, v5, v197
	v_dual_add_f32 v18, v18, v214 :: v_dual_add_f32 v5, v5, v199
	s_delay_alu instid0(VALU_DEP_1) | instskip(NEXT) | instid1(VALU_DEP_2)
	v_add_f32_e32 v18, v18, v216
	v_add_f32_e32 v14, v5, v201
	ds_load_b128 v[5:8], v25 offset:928
	v_add_f32_e32 v18, v18, v218
	s_wait_loadcnt_dscnt 0x101
	v_mul_f32_e32 v32, v1, v10
	v_dual_mul_f32 v10, v2, v10 :: v_dual_mul_f32 v155, v3, v12
	v_mul_f32_e32 v12, v4, v12
	v_add_f32_e32 v28, v18, v220
	s_delay_alu instid0(VALU_DEP_4) | instskip(NEXT) | instid1(VALU_DEP_4)
	v_fmac_f32_e32 v32, v2, v9
	v_fma_f32 v156, v1, v9, -v10
	v_fmac_f32_e32 v155, v4, v11
	v_fma_f32 v158, v3, v11, -v12
	s_clause 0x1
	scratch_load_b128 v[1:4], off, off offset:432
	scratch_load_b128 v[9:12], off, off offset:448
	v_add_f32_e32 v159, v28, v222
	s_delay_alu instid0(VALU_DEP_1) | instskip(NEXT) | instid1(VALU_DEP_1)
	v_add_f32_e32 v159, v159, v224
	v_add_f32_e32 v159, v159, v226
	s_delay_alu instid0(VALU_DEP_1) | instskip(NEXT) | instid1(VALU_DEP_1)
	v_add_f32_e32 v156, v159, v156
	v_add_f32_e32 v156, v156, v158
	s_wait_loadcnt_dscnt 0x100
	v_mul_f32_e32 v162, v7, v4
	v_add_f32_e32 v14, v14, v203
	v_dual_mul_f32 v4, v8, v4 :: v_dual_mul_f32 v161, v5, v2
	v_mul_f32_e32 v2, v6, v2
	s_delay_alu instid0(VALU_DEP_4) | instskip(NEXT) | instid1(VALU_DEP_4)
	v_fmac_f32_e32 v162, v8, v3
	v_add_f32_e32 v14, v14, v205
	s_delay_alu instid0(VALU_DEP_4) | instskip(NEXT) | instid1(VALU_DEP_4)
	v_fmac_f32_e32 v161, v6, v1
	v_fma_f32 v2, v5, v1, -v2
	v_fma_f32 v1, v7, v3, -v4
	s_delay_alu instid0(VALU_DEP_4) | instskip(SKIP_2) | instid1(VALU_DEP_1)
	v_add_f32_e32 v17, v14, v207
	scratch_load_b128 v[13:16], off, off offset:464
	v_dual_add_f32 v2, v156, v2 :: v_dual_add_f32 v17, v17, v209
	v_add_f32_e32 v1, v2, v1
	s_delay_alu instid0(VALU_DEP_2) | instskip(NEXT) | instid1(VALU_DEP_1)
	v_add_f32_e32 v17, v17, v211
	v_add_f32_e32 v17, v17, v213
	s_delay_alu instid0(VALU_DEP_1) | instskip(NEXT) | instid1(VALU_DEP_1)
	v_add_f32_e32 v17, v17, v215
	v_add_f32_e32 v21, v17, v217
	ds_load_b128 v[17:20], v25 offset:944
	v_add_f32_e32 v29, v21, v219
	ds_load_b128 v[21:24], v25 offset:960
	v_add_f32_e32 v160, v29, v221
	ds_load_b64 v[28:29], v25 offset:976
	v_add_f32_e32 v160, v160, v223
	s_wait_loadcnt_dscnt 0x102
	s_delay_alu instid0(VALU_DEP_1) | instskip(SKIP_2) | instid1(VALU_DEP_3)
	v_dual_add_f32 v160, v160, v225 :: v_dual_mul_f32 v159, v17, v10
	v_mul_f32_e32 v3, v18, v10
	v_mul_f32_e32 v5, v20, v12
	v_add_f32_e32 v32, v160, v32
	s_delay_alu instid0(VALU_DEP_4) | instskip(NEXT) | instid1(VALU_DEP_4)
	v_dual_mul_f32 v160, v19, v12 :: v_dual_fmac_f32 v159, v18, v9
	v_fma_f32 v3, v17, v9, -v3
	s_delay_alu instid0(VALU_DEP_4) | instskip(NEXT) | instid1(VALU_DEP_4)
	v_fma_f32 v5, v19, v11, -v5
	v_add_f32_e32 v32, v32, v155
	s_delay_alu instid0(VALU_DEP_4) | instskip(SKIP_2) | instid1(VALU_DEP_3)
	v_fmac_f32_e32 v160, v20, v11
	s_wait_dscnt 0x0
	v_mul_f32_e32 v155, v28, v27
	v_dual_add_f32 v1, v1, v3 :: v_dual_add_f32 v4, v32, v161
	s_delay_alu instid0(VALU_DEP_2) | instskip(NEXT) | instid1(VALU_DEP_2)
	v_fmac_f32_e32 v155, v29, v26
	v_add_f32_e32 v1, v1, v5
	s_delay_alu instid0(VALU_DEP_3) | instskip(NEXT) | instid1(VALU_DEP_1)
	v_dual_mul_f32 v5, v29, v27 :: v_dual_add_f32 v2, v4, v162
	v_add_f32_e32 v2, v2, v159
	s_wait_loadcnt 0x0
	s_delay_alu instid0(VALU_DEP_1) | instskip(SKIP_3) | instid1(VALU_DEP_4)
	v_dual_add_f32 v2, v2, v160 :: v_dual_mul_f32 v163, v21, v14
	v_mul_f32_e32 v4, v22, v14
	v_mul_f32_e32 v158, v23, v16
	v_mul_f32_e32 v3, v24, v16
	v_fmac_f32_e32 v163, v22, v13
	s_delay_alu instid0(VALU_DEP_4) | instskip(NEXT) | instid1(VALU_DEP_4)
	v_fma_f32 v4, v21, v13, -v4
	v_fmac_f32_e32 v158, v24, v15
	s_delay_alu instid0(VALU_DEP_4) | instskip(NEXT) | instid1(VALU_DEP_3)
	v_fma_f32 v3, v23, v15, -v3
	v_dual_add_f32 v2, v2, v163 :: v_dual_add_f32 v1, v1, v4
	v_fma_f32 v4, v28, v26, -v5
	s_delay_alu instid0(VALU_DEP_2) | instskip(NEXT) | instid1(VALU_DEP_1)
	v_dual_add_f32 v2, v2, v158 :: v_dual_add_f32 v1, v1, v3
	v_dual_add_f32 v2, v2, v155 :: v_dual_add_f32 v1, v1, v4
	s_delay_alu instid0(VALU_DEP_1)
	v_dual_sub_f32 v2, v31, v2 :: v_dual_sub_f32 v1, v30, v1
	scratch_store_b64 off, v[1:2], off offset:56
	v_cmpx_lt_u32_e32 6, v0
	s_cbranch_execz .LBB124_367
; %bb.366:
	scratch_load_b64 v[1:2], off, off offset:48
	v_mov_b32_e32 v26, v25
	scratch_store_b64 off, v[25:26], off offset:48
	s_wait_loadcnt 0x0
	ds_store_b64 v157, v[1:2]
.LBB124_367:
	s_wait_alu 0xfffe
	s_or_b32 exec_lo, exec_lo, s0
	s_wait_storecnt_dscnt 0x0
	s_barrier_signal -1
	s_barrier_wait -1
	global_inv scope:SCOPE_SE
	s_clause 0x4
	scratch_load_b128 v[5:8], off, off offset:56
	scratch_load_b128 v[1:4], off, off offset:72
	;; [unrolled: 1-line block ×5, first 2 shown]
	ds_load_2addr_b64 v[21:24], v25 offset0:69 offset1:70
	ds_load_2addr_b64 v[26:29], v25 offset0:71 offset1:72
	;; [unrolled: 1-line block ×3, first 2 shown]
	scratch_load_b64 v[30:31], off, off offset:48
	s_mov_b32 s0, exec_lo
	s_wait_loadcnt_dscnt 0x502
	v_dual_mul_f32 v32, v21, v6 :: v_dual_mul_f32 v155, v23, v8
	v_mul_f32_e32 v6, v22, v6
	v_mul_f32_e32 v8, v24, v8
	s_wait_loadcnt_dscnt 0x300
	v_mul_f32_e32 v156, v158, v10
	v_dual_fmac_f32 v32, v22, v5 :: v_dual_fmac_f32 v155, v24, v7
	v_fma_f32 v21, v21, v5, -v6
	v_fma_f32 v22, v23, v7, -v8
	ds_load_2addr_b64 v[5:8], v25 offset0:75 offset1:76
	v_dual_mul_f32 v23, v26, v2 :: v_dual_mul_f32 v24, v28, v4
	v_mul_f32_e32 v4, v29, v4
	v_mul_f32_e32 v162, v160, v12
	;; [unrolled: 1-line block ×5, first 2 shown]
	v_dual_fmac_f32 v23, v27, v1 :: v_dual_fmac_f32 v24, v29, v3
	v_fma_f32 v27, v28, v3, -v4
	v_fmac_f32_e32 v156, v159, v9
	v_fmac_f32_e32 v162, v161, v11
	v_fma_f32 v28, v158, v9, -v10
	v_fma_f32 v29, v160, v11, -v12
	ds_load_2addr_b64 v[9:12], v25 offset0:77 offset1:78
	s_wait_loadcnt_dscnt 0x201
	v_dual_mul_f32 v159, v7, v16 :: v_dual_mul_f32 v158, v5, v14
	v_mul_f32_e32 v14, v6, v14
	v_mul_f32_e32 v16, v8, v16
	s_delay_alu instid0(VALU_DEP_3)
	v_fmac_f32_e32 v159, v8, v15
	v_fma_f32 v26, v26, v1, -v2
	scratch_load_b128 v[1:4], off, off offset:136
	v_fmac_f32_e32 v158, v6, v13
	v_fma_f32 v13, v5, v13, -v14
	v_fma_f32 v14, v7, v15, -v16
	ds_load_2addr_b64 v[5:8], v25 offset0:79 offset1:80
	s_wait_loadcnt_dscnt 0x201
	v_mul_f32_e32 v15, v9, v18
	v_mul_f32_e32 v16, v10, v18
	;; [unrolled: 1-line block ×3, first 2 shown]
	s_delay_alu instid0(VALU_DEP_3) | instskip(NEXT) | instid1(VALU_DEP_3)
	v_dual_mul_f32 v20, v12, v20 :: v_dual_fmac_f32 v15, v10, v17
	v_fma_f32 v16, v9, v17, -v16
	s_delay_alu instid0(VALU_DEP_3) | instskip(NEXT) | instid1(VALU_DEP_3)
	v_fmac_f32_e32 v18, v12, v19
	v_fma_f32 v17, v11, v19, -v20
	scratch_load_b128 v[9:12], off, off offset:152
	s_wait_loadcnt_dscnt 0x100
	v_mul_f32_e32 v19, v5, v2
	v_mul_f32_e32 v2, v6, v2
	;; [unrolled: 1-line block ×3, first 2 shown]
	s_delay_alu instid0(VALU_DEP_3) | instskip(NEXT) | instid1(VALU_DEP_3)
	v_dual_mul_f32 v4, v8, v4 :: v_dual_fmac_f32 v19, v6, v1
	v_fma_f32 v160, v5, v1, -v2
	s_delay_alu instid0(VALU_DEP_3) | instskip(NEXT) | instid1(VALU_DEP_3)
	v_fmac_f32_e32 v20, v8, v3
	v_fma_f32 v161, v7, v3, -v4
	ds_load_2addr_b64 v[1:4], v25 offset0:81 offset1:82
	ds_load_2addr_b64 v[5:8], v25 offset0:83 offset1:84
	s_wait_loadcnt_dscnt 0x1
	v_mul_f32_e32 v163, v1, v10
	v_mul_f32_e32 v10, v2, v10
	s_delay_alu instid0(VALU_DEP_2) | instskip(NEXT) | instid1(VALU_DEP_2)
	v_dual_mul_f32 v164, v3, v12 :: v_dual_fmac_f32 v163, v2, v9
	v_fma_f32 v165, v1, v9, -v10
	v_mul_f32_e32 v1, v4, v12
	s_delay_alu instid0(VALU_DEP_3) | instskip(NEXT) | instid1(VALU_DEP_2)
	v_fmac_f32_e32 v164, v4, v11
	v_fma_f32 v166, v3, v11, -v1
	s_clause 0x1
	scratch_load_b128 v[1:4], off, off offset:168
	scratch_load_b128 v[9:12], off, off offset:184
	s_wait_loadcnt_dscnt 0x100
	v_mul_f32_e32 v167, v5, v2
	v_dual_mul_f32 v2, v6, v2 :: v_dual_mul_f32 v169, v7, v4
	s_delay_alu instid0(VALU_DEP_2) | instskip(NEXT) | instid1(VALU_DEP_2)
	v_fmac_f32_e32 v167, v6, v1
	v_fma_f32 v168, v5, v1, -v2
	v_mul_f32_e32 v1, v8, v4
	s_delay_alu instid0(VALU_DEP_4) | instskip(NEXT) | instid1(VALU_DEP_2)
	v_fmac_f32_e32 v169, v8, v3
	v_fma_f32 v170, v7, v3, -v1
	ds_load_2addr_b64 v[1:4], v25 offset0:85 offset1:86
	ds_load_2addr_b64 v[5:8], v25 offset0:87 offset1:88
	s_wait_loadcnt_dscnt 0x1
	v_mul_f32_e32 v171, v1, v10
	v_mul_f32_e32 v173, v3, v12
	s_delay_alu instid0(VALU_DEP_2) | instskip(NEXT) | instid1(VALU_DEP_2)
	v_fmac_f32_e32 v171, v2, v9
	v_dual_mul_f32 v2, v2, v10 :: v_dual_fmac_f32 v173, v4, v11
	s_delay_alu instid0(VALU_DEP_1) | instskip(SKIP_1) | instid1(VALU_DEP_1)
	v_fma_f32 v172, v1, v9, -v2
	v_mul_f32_e32 v1, v4, v12
	v_fma_f32 v174, v3, v11, -v1
	s_clause 0x1
	scratch_load_b128 v[1:4], off, off offset:200
	scratch_load_b128 v[9:12], off, off offset:216
	s_wait_loadcnt_dscnt 0x100
	v_mul_f32_e32 v175, v5, v2
	v_dual_mul_f32 v2, v6, v2 :: v_dual_mul_f32 v177, v7, v4
	s_delay_alu instid0(VALU_DEP_2) | instskip(NEXT) | instid1(VALU_DEP_2)
	v_fmac_f32_e32 v175, v6, v1
	v_fma_f32 v176, v5, v1, -v2
	v_mul_f32_e32 v1, v8, v4
	s_delay_alu instid0(VALU_DEP_4) | instskip(NEXT) | instid1(VALU_DEP_2)
	v_fmac_f32_e32 v177, v8, v3
	v_fma_f32 v178, v7, v3, -v1
	ds_load_2addr_b64 v[1:4], v25 offset0:89 offset1:90
	ds_load_2addr_b64 v[5:8], v25 offset0:91 offset1:92
	s_wait_loadcnt_dscnt 0x1
	v_mul_f32_e32 v179, v1, v10
	v_mul_f32_e32 v181, v3, v12
	s_delay_alu instid0(VALU_DEP_2) | instskip(NEXT) | instid1(VALU_DEP_2)
	v_fmac_f32_e32 v179, v2, v9
	v_dual_mul_f32 v2, v2, v10 :: v_dual_fmac_f32 v181, v4, v11
	s_delay_alu instid0(VALU_DEP_1) | instskip(SKIP_1) | instid1(VALU_DEP_1)
	v_fma_f32 v180, v1, v9, -v2
	v_mul_f32_e32 v1, v4, v12
	;; [unrolled: 25-line block ×7, first 2 shown]
	v_fma_f32 v222, v3, v11, -v1
	s_clause 0x1
	scratch_load_b128 v[1:4], off, off offset:392
	scratch_load_b128 v[9:12], off, off offset:408
	s_wait_loadcnt_dscnt 0x100
	v_mul_f32_e32 v223, v5, v2
	v_mul_f32_e32 v2, v6, v2
	s_delay_alu instid0(VALU_DEP_2) | instskip(NEXT) | instid1(VALU_DEP_2)
	v_fmac_f32_e32 v223, v6, v1
	v_fma_f32 v224, v5, v1, -v2
	v_add_f32_e32 v2, 0, v32
	s_delay_alu instid0(VALU_DEP_1) | instskip(NEXT) | instid1(VALU_DEP_1)
	v_dual_mul_f32 v1, v8, v4 :: v_dual_add_f32 v2, v2, v155
	v_fma_f32 v226, v7, v3, -v1
	s_delay_alu instid0(VALU_DEP_2) | instskip(NEXT) | instid1(VALU_DEP_1)
	v_dual_add_f32 v1, 0, v21 :: v_dual_add_f32 v2, v2, v23
	v_dual_add_f32 v1, v1, v22 :: v_dual_add_f32 v2, v2, v24
	s_delay_alu instid0(VALU_DEP_1) | instskip(NEXT) | instid1(VALU_DEP_1)
	v_add_f32_e32 v2, v2, v156
	v_add_f32_e32 v2, v2, v162
	s_delay_alu instid0(VALU_DEP_1) | instskip(NEXT) | instid1(VALU_DEP_1)
	v_add_f32_e32 v2, v2, v158
	v_add_f32_e32 v2, v2, v159
	s_delay_alu instid0(VALU_DEP_1) | instskip(NEXT) | instid1(VALU_DEP_1)
	v_add_f32_e32 v2, v2, v15
	v_add_f32_e32 v2, v2, v18
	s_delay_alu instid0(VALU_DEP_1) | instskip(NEXT) | instid1(VALU_DEP_1)
	v_add_f32_e32 v2, v2, v19
	v_add_f32_e32 v2, v2, v20
	s_delay_alu instid0(VALU_DEP_1) | instskip(NEXT) | instid1(VALU_DEP_1)
	v_add_f32_e32 v2, v2, v163
	v_add_f32_e32 v2, v2, v164
	s_delay_alu instid0(VALU_DEP_1) | instskip(NEXT) | instid1(VALU_DEP_1)
	v_add_f32_e32 v2, v2, v167
	v_dual_add_f32 v2, v2, v169 :: v_dual_add_f32 v1, v1, v26
	s_delay_alu instid0(VALU_DEP_1) | instskip(NEXT) | instid1(VALU_DEP_1)
	v_add_f32_e32 v2, v2, v171
	v_dual_add_f32 v1, v1, v27 :: v_dual_add_f32 v2, v2, v173
	s_delay_alu instid0(VALU_DEP_1) | instskip(NEXT) | instid1(VALU_DEP_1)
	v_dual_add_f32 v1, v1, v28 :: v_dual_add_f32 v2, v2, v175
	v_add_f32_e32 v1, v1, v29
	s_delay_alu instid0(VALU_DEP_2) | instskip(NEXT) | instid1(VALU_DEP_1)
	v_add_f32_e32 v2, v2, v177
	v_dual_add_f32 v1, v1, v13 :: v_dual_add_f32 v2, v2, v179
	s_delay_alu instid0(VALU_DEP_1) | instskip(NEXT) | instid1(VALU_DEP_1)
	v_dual_add_f32 v1, v1, v14 :: v_dual_add_f32 v2, v2, v181
	v_add_f32_e32 v1, v1, v16
	s_delay_alu instid0(VALU_DEP_1) | instskip(NEXT) | instid1(VALU_DEP_1)
	v_add_f32_e32 v1, v1, v17
	v_add_f32_e32 v1, v1, v160
	s_delay_alu instid0(VALU_DEP_1) | instskip(NEXT) | instid1(VALU_DEP_1)
	v_add_f32_e32 v1, v1, v161
	;; [unrolled: 3-line block ×11, first 2 shown]
	v_add_f32_e32 v6, v1, v200
	v_dual_mul_f32 v225, v7, v4 :: v_dual_add_f32 v2, v2, v183
	s_delay_alu instid0(VALU_DEP_2) | instskip(NEXT) | instid1(VALU_DEP_2)
	v_add_f32_e32 v14, v6, v202
	v_add_f32_e32 v2, v2, v185
	s_delay_alu instid0(VALU_DEP_2) | instskip(NEXT) | instid1(VALU_DEP_2)
	v_add_f32_e32 v14, v14, v204
	v_add_f32_e32 v2, v2, v187
	s_delay_alu instid0(VALU_DEP_2) | instskip(NEXT) | instid1(VALU_DEP_1)
	v_add_f32_e32 v17, v14, v206
	v_dual_add_f32 v2, v2, v189 :: v_dual_add_f32 v17, v17, v208
	s_delay_alu instid0(VALU_DEP_1) | instskip(NEXT) | instid1(VALU_DEP_1)
	v_dual_add_f32 v2, v2, v191 :: v_dual_add_f32 v17, v17, v210
	v_dual_add_f32 v2, v2, v193 :: v_dual_add_f32 v17, v17, v212
	s_delay_alu instid0(VALU_DEP_1) | instskip(NEXT) | instid1(VALU_DEP_2)
	v_add_f32_e32 v22, v17, v214
	v_add_f32_e32 v2, v2, v195
	s_delay_alu instid0(VALU_DEP_2) | instskip(NEXT) | instid1(VALU_DEP_2)
	v_add_f32_e32 v22, v22, v216
	v_add_f32_e32 v5, v2, v197
	s_delay_alu instid0(VALU_DEP_1) | instskip(NEXT) | instid1(VALU_DEP_1)
	v_dual_add_f32 v22, v22, v218 :: v_dual_add_f32 v13, v5, v199
	v_add_f32_e32 v13, v13, v201
	s_delay_alu instid0(VALU_DEP_1)
	v_add_f32_e32 v13, v13, v203
	v_fmac_f32_e32 v225, v8, v3
	ds_load_2addr_b64 v[1:4], v25 offset0:113 offset1:114
	scratch_load_b128 v[5:8], off, off offset:424
	v_add_f32_e32 v18, v13, v205
	ds_load_2addr_b64 v[13:16], v25 offset0:115 offset1:116
	v_add_f32_e32 v18, v18, v207
	s_delay_alu instid0(VALU_DEP_1) | instskip(NEXT) | instid1(VALU_DEP_1)
	v_add_f32_e32 v18, v18, v209
	v_add_f32_e32 v21, v18, v211
	scratch_load_b128 v[17:20], off, off offset:472
	s_wait_loadcnt_dscnt 0x201
	v_mul_f32_e32 v26, v1, v10
	v_dual_mul_f32 v10, v2, v10 :: v_dual_mul_f32 v27, v3, v12
	v_dual_mul_f32 v12, v4, v12 :: v_dual_add_f32 v21, v21, v213
	s_delay_alu instid0(VALU_DEP_3) | instskip(NEXT) | instid1(VALU_DEP_3)
	v_fmac_f32_e32 v26, v2, v9
	v_fma_f32 v28, v1, v9, -v10
	s_delay_alu instid0(VALU_DEP_4) | instskip(NEXT) | instid1(VALU_DEP_4)
	v_fmac_f32_e32 v27, v4, v11
	v_fma_f32 v29, v3, v11, -v12
	s_clause 0x1
	scratch_load_b128 v[1:4], off, off offset:440
	scratch_load_b128 v[9:12], off, off offset:456
	v_add_f32_e32 v21, v21, v215
	s_wait_loadcnt_dscnt 0x300
	v_mul_f32_e32 v32, v13, v6
	v_dual_mul_f32 v6, v14, v6 :: v_dual_mul_f32 v155, v15, v8
	v_mul_f32_e32 v8, v16, v8
	s_delay_alu instid0(VALU_DEP_3) | instskip(NEXT) | instid1(VALU_DEP_3)
	v_fmac_f32_e32 v32, v14, v5
	v_fma_f32 v156, v13, v5, -v6
	v_add_f32_e32 v13, v21, v217
	v_fmac_f32_e32 v155, v16, v7
	v_fma_f32 v158, v15, v7, -v8
	ds_load_2addr_b64 v[5:8], v25 offset0:117 offset1:118
	v_dual_add_f32 v21, v22, v220 :: v_dual_add_f32 v22, v13, v219
	ds_load_2addr_b64 v[13:16], v25 offset0:119 offset1:120
	v_dual_add_f32 v159, v21, v222 :: v_dual_add_f32 v160, v22, v221
	ds_load_2addr_b64 v[21:24], v25 offset0:121 offset1:122
	v_add_f32_e32 v25, v159, v224
	s_delay_alu instid0(VALU_DEP_1) | instskip(NEXT) | instid1(VALU_DEP_1)
	v_add_f32_e32 v25, v25, v226
	v_add_f32_e32 v25, v25, v28
	s_wait_loadcnt_dscnt 0x102
	v_mul_f32_e32 v28, v7, v4
	v_mul_f32_e32 v4, v8, v4
	v_dual_add_f32 v159, v160, v223 :: v_dual_mul_f32 v160, v5, v2
	v_dual_add_f32 v25, v25, v29 :: v_dual_mul_f32 v2, v6, v2
	s_delay_alu instid0(VALU_DEP_2) | instskip(NEXT) | instid1(VALU_DEP_2)
	v_dual_fmac_f32 v28, v8, v3 :: v_dual_add_f32 v159, v159, v225
	v_dual_fmac_f32 v160, v6, v1 :: v_dual_add_f32 v25, v25, v156
	s_delay_alu instid0(VALU_DEP_3)
	v_fma_f32 v2, v5, v1, -v2
	s_wait_loadcnt_dscnt 0x1
	v_mul_f32_e32 v6, v14, v10
	v_add_f32_e32 v26, v159, v26
	v_mul_f32_e32 v159, v13, v10
	v_add_f32_e32 v1, v25, v158
	v_fma_f32 v3, v7, v3, -v4
	s_delay_alu instid0(VALU_DEP_4) | instskip(NEXT) | instid1(VALU_DEP_3)
	v_dual_mul_f32 v161, v15, v12 :: v_dual_add_f32 v26, v26, v27
	v_dual_mul_f32 v4, v16, v12 :: v_dual_add_f32 v1, v1, v2
	v_fmac_f32_e32 v159, v14, v9
	s_wait_dscnt 0x0
	s_delay_alu instid0(VALU_DEP_3)
	v_dual_mul_f32 v27, v21, v18 :: v_dual_add_f32 v26, v26, v32
	v_fmac_f32_e32 v161, v16, v11
	v_add_f32_e32 v1, v1, v3
	v_mul_f32_e32 v3, v22, v18
	v_fma_f32 v4, v15, v11, -v4
	v_add_f32_e32 v5, v26, v155
	v_mul_f32_e32 v29, v23, v20
	v_fmac_f32_e32 v27, v22, v17
	v_fma_f32 v3, v21, v17, -v3
	s_delay_alu instid0(VALU_DEP_4) | instskip(SKIP_1) | instid1(VALU_DEP_2)
	v_add_f32_e32 v2, v5, v160
	v_fma_f32 v5, v13, v9, -v6
	v_dual_fmac_f32 v29, v24, v19 :: v_dual_add_f32 v2, v2, v28
	s_delay_alu instid0(VALU_DEP_2) | instskip(NEXT) | instid1(VALU_DEP_2)
	v_add_f32_e32 v1, v1, v5
	v_dual_mul_f32 v5, v24, v20 :: v_dual_add_f32 v2, v2, v159
	s_delay_alu instid0(VALU_DEP_2) | instskip(NEXT) | instid1(VALU_DEP_2)
	v_add_f32_e32 v1, v1, v4
	v_fma_f32 v4, v23, v19, -v5
	s_delay_alu instid0(VALU_DEP_2) | instskip(NEXT) | instid1(VALU_DEP_1)
	v_dual_add_f32 v2, v2, v161 :: v_dual_add_f32 v1, v1, v3
	v_dual_add_f32 v2, v2, v27 :: v_dual_add_f32 v1, v1, v4
	s_delay_alu instid0(VALU_DEP_1) | instskip(NEXT) | instid1(VALU_DEP_1)
	v_add_f32_e32 v2, v2, v29
	v_dual_sub_f32 v1, v30, v1 :: v_dual_sub_f32 v2, v31, v2
	scratch_store_b64 off, v[1:2], off offset:48
	v_cmpx_lt_u32_e32 5, v0
	s_cbranch_execz .LBB124_369
; %bb.368:
	scratch_load_b64 v[1:2], off, off offset:40
	v_mov_b32_e32 v3, 0
	s_delay_alu instid0(VALU_DEP_1)
	v_mov_b32_e32 v4, v3
	scratch_store_b64 off, v[3:4], off offset:40
	s_wait_loadcnt 0x0
	ds_store_b64 v157, v[1:2]
.LBB124_369:
	s_wait_alu 0xfffe
	s_or_b32 exec_lo, exec_lo, s0
	s_wait_storecnt_dscnt 0x0
	s_barrier_signal -1
	s_barrier_wait -1
	global_inv scope:SCOPE_SE
	s_clause 0x4
	scratch_load_b128 v[5:8], off, off offset:48
	scratch_load_b128 v[1:4], off, off offset:64
	;; [unrolled: 1-line block ×5, first 2 shown]
	v_mov_b32_e32 v29, 0
	ds_load_b128 v[21:24], v29 offset:544
	ds_load_b128 v[25:28], v29 offset:560
	;; [unrolled: 1-line block ×3, first 2 shown]
	scratch_load_b64 v[30:31], off, off offset:40
	s_mov_b32 s0, exec_lo
	s_wait_loadcnt_dscnt 0x502
	v_dual_mul_f32 v32, v21, v6 :: v_dual_mul_f32 v155, v23, v8
	v_mul_f32_e32 v6, v22, v6
	v_mul_f32_e32 v8, v24, v8
	s_wait_loadcnt_dscnt 0x300
	v_mul_f32_e32 v162, v160, v12
	v_dual_fmac_f32 v32, v22, v5 :: v_dual_fmac_f32 v155, v24, v7
	v_fma_f32 v21, v21, v5, -v6
	v_fma_f32 v22, v23, v7, -v8
	ds_load_b128 v[5:8], v29 offset:592
	v_dual_mul_f32 v23, v25, v2 :: v_dual_mul_f32 v24, v27, v4
	v_mul_f32_e32 v4, v28, v4
	v_mul_f32_e32 v156, v158, v10
	v_mul_f32_e32 v10, v159, v10
	v_mul_f32_e32 v12, v161, v12
	v_mul_f32_e32 v2, v26, v2
	v_dual_fmac_f32 v23, v26, v1 :: v_dual_fmac_f32 v24, v28, v3
	v_fma_f32 v26, v27, v3, -v4
	v_fmac_f32_e32 v156, v159, v9
	v_fmac_f32_e32 v162, v161, v11
	v_fma_f32 v27, v158, v9, -v10
	v_fma_f32 v28, v160, v11, -v12
	ds_load_b128 v[9:12], v29 offset:608
	s_wait_loadcnt_dscnt 0x201
	v_mul_f32_e32 v159, v7, v16
	v_fma_f32 v25, v25, v1, -v2
	scratch_load_b128 v[1:4], off, off offset:128
	v_mul_f32_e32 v158, v5, v14
	v_mul_f32_e32 v14, v6, v14
	;; [unrolled: 1-line block ×3, first 2 shown]
	s_delay_alu instid0(VALU_DEP_3) | instskip(NEXT) | instid1(VALU_DEP_3)
	v_dual_fmac_f32 v159, v8, v15 :: v_dual_fmac_f32 v158, v6, v13
	v_fma_f32 v13, v5, v13, -v14
	s_delay_alu instid0(VALU_DEP_3)
	v_fma_f32 v14, v7, v15, -v16
	ds_load_b128 v[5:8], v29 offset:624
	s_wait_loadcnt_dscnt 0x201
	v_mul_f32_e32 v15, v9, v18
	v_mul_f32_e32 v16, v10, v18
	;; [unrolled: 1-line block ×3, first 2 shown]
	s_delay_alu instid0(VALU_DEP_3) | instskip(NEXT) | instid1(VALU_DEP_3)
	v_dual_mul_f32 v20, v12, v20 :: v_dual_fmac_f32 v15, v10, v17
	v_fma_f32 v16, v9, v17, -v16
	s_delay_alu instid0(VALU_DEP_3) | instskip(NEXT) | instid1(VALU_DEP_3)
	v_fmac_f32_e32 v18, v12, v19
	v_fma_f32 v17, v11, v19, -v20
	scratch_load_b128 v[9:12], off, off offset:144
	s_wait_loadcnt_dscnt 0x100
	v_mul_f32_e32 v19, v5, v2
	v_mul_f32_e32 v2, v6, v2
	;; [unrolled: 1-line block ×3, first 2 shown]
	s_delay_alu instid0(VALU_DEP_3) | instskip(NEXT) | instid1(VALU_DEP_3)
	v_dual_mul_f32 v4, v8, v4 :: v_dual_fmac_f32 v19, v6, v1
	v_fma_f32 v160, v5, v1, -v2
	s_delay_alu instid0(VALU_DEP_3) | instskip(NEXT) | instid1(VALU_DEP_3)
	v_fmac_f32_e32 v20, v8, v3
	v_fma_f32 v161, v7, v3, -v4
	ds_load_b128 v[1:4], v29 offset:640
	ds_load_b128 v[5:8], v29 offset:656
	s_wait_loadcnt_dscnt 0x1
	v_mul_f32_e32 v163, v1, v10
	v_mul_f32_e32 v10, v2, v10
	s_delay_alu instid0(VALU_DEP_2) | instskip(NEXT) | instid1(VALU_DEP_2)
	v_dual_mul_f32 v164, v3, v12 :: v_dual_fmac_f32 v163, v2, v9
	v_fma_f32 v165, v1, v9, -v10
	v_mul_f32_e32 v1, v4, v12
	s_delay_alu instid0(VALU_DEP_3) | instskip(NEXT) | instid1(VALU_DEP_2)
	v_fmac_f32_e32 v164, v4, v11
	v_fma_f32 v166, v3, v11, -v1
	s_clause 0x1
	scratch_load_b128 v[1:4], off, off offset:160
	scratch_load_b128 v[9:12], off, off offset:176
	s_wait_loadcnt_dscnt 0x100
	v_mul_f32_e32 v167, v5, v2
	v_dual_mul_f32 v2, v6, v2 :: v_dual_mul_f32 v169, v7, v4
	s_delay_alu instid0(VALU_DEP_2) | instskip(NEXT) | instid1(VALU_DEP_2)
	v_fmac_f32_e32 v167, v6, v1
	v_fma_f32 v168, v5, v1, -v2
	v_mul_f32_e32 v1, v8, v4
	s_delay_alu instid0(VALU_DEP_4) | instskip(NEXT) | instid1(VALU_DEP_2)
	v_fmac_f32_e32 v169, v8, v3
	v_fma_f32 v170, v7, v3, -v1
	ds_load_b128 v[1:4], v29 offset:672
	ds_load_b128 v[5:8], v29 offset:688
	s_wait_loadcnt_dscnt 0x1
	v_mul_f32_e32 v171, v1, v10
	v_mul_f32_e32 v173, v3, v12
	s_delay_alu instid0(VALU_DEP_2) | instskip(NEXT) | instid1(VALU_DEP_2)
	v_fmac_f32_e32 v171, v2, v9
	v_dual_mul_f32 v2, v2, v10 :: v_dual_fmac_f32 v173, v4, v11
	s_delay_alu instid0(VALU_DEP_1) | instskip(SKIP_1) | instid1(VALU_DEP_1)
	v_fma_f32 v172, v1, v9, -v2
	v_mul_f32_e32 v1, v4, v12
	v_fma_f32 v174, v3, v11, -v1
	s_clause 0x1
	scratch_load_b128 v[1:4], off, off offset:192
	scratch_load_b128 v[9:12], off, off offset:208
	s_wait_loadcnt_dscnt 0x100
	v_mul_f32_e32 v175, v5, v2
	v_dual_mul_f32 v2, v6, v2 :: v_dual_mul_f32 v177, v7, v4
	s_delay_alu instid0(VALU_DEP_2) | instskip(NEXT) | instid1(VALU_DEP_2)
	v_fmac_f32_e32 v175, v6, v1
	v_fma_f32 v176, v5, v1, -v2
	v_mul_f32_e32 v1, v8, v4
	s_delay_alu instid0(VALU_DEP_4) | instskip(NEXT) | instid1(VALU_DEP_2)
	v_fmac_f32_e32 v177, v8, v3
	v_fma_f32 v178, v7, v3, -v1
	ds_load_b128 v[1:4], v29 offset:704
	ds_load_b128 v[5:8], v29 offset:720
	s_wait_loadcnt_dscnt 0x1
	v_mul_f32_e32 v179, v1, v10
	v_mul_f32_e32 v181, v3, v12
	s_delay_alu instid0(VALU_DEP_2) | instskip(NEXT) | instid1(VALU_DEP_2)
	v_fmac_f32_e32 v179, v2, v9
	v_dual_mul_f32 v2, v2, v10 :: v_dual_fmac_f32 v181, v4, v11
	s_delay_alu instid0(VALU_DEP_1) | instskip(SKIP_1) | instid1(VALU_DEP_1)
	v_fma_f32 v180, v1, v9, -v2
	v_mul_f32_e32 v1, v4, v12
	;; [unrolled: 25-line block ×7, first 2 shown]
	v_fma_f32 v222, v3, v11, -v1
	s_clause 0x1
	scratch_load_b128 v[1:4], off, off offset:384
	scratch_load_b128 v[9:12], off, off offset:400
	s_wait_loadcnt_dscnt 0x100
	v_mul_f32_e32 v223, v5, v2
	v_mul_f32_e32 v2, v6, v2
	s_delay_alu instid0(VALU_DEP_2) | instskip(NEXT) | instid1(VALU_DEP_2)
	v_fmac_f32_e32 v223, v6, v1
	v_fma_f32 v224, v5, v1, -v2
	v_add_f32_e32 v2, 0, v32
	s_delay_alu instid0(VALU_DEP_1) | instskip(NEXT) | instid1(VALU_DEP_1)
	v_dual_mul_f32 v1, v8, v4 :: v_dual_add_f32 v2, v2, v155
	v_fma_f32 v226, v7, v3, -v1
	s_delay_alu instid0(VALU_DEP_2) | instskip(NEXT) | instid1(VALU_DEP_1)
	v_dual_add_f32 v1, 0, v21 :: v_dual_add_f32 v2, v2, v23
	v_dual_add_f32 v1, v1, v22 :: v_dual_add_f32 v2, v2, v24
	s_delay_alu instid0(VALU_DEP_1) | instskip(NEXT) | instid1(VALU_DEP_1)
	v_dual_add_f32 v1, v1, v25 :: v_dual_add_f32 v2, v2, v156
	v_add_f32_e32 v2, v2, v162
	s_delay_alu instid0(VALU_DEP_1) | instskip(NEXT) | instid1(VALU_DEP_1)
	v_add_f32_e32 v2, v2, v158
	v_add_f32_e32 v2, v2, v159
	s_delay_alu instid0(VALU_DEP_1) | instskip(NEXT) | instid1(VALU_DEP_1)
	v_add_f32_e32 v2, v2, v15
	;; [unrolled: 3-line block ×6, first 2 shown]
	v_dual_add_f32 v2, v2, v173 :: v_dual_add_f32 v1, v1, v26
	scratch_load_b64 v[25:26], off, off offset:480
	v_add_f32_e32 v2, v2, v175
	s_delay_alu instid0(VALU_DEP_1) | instskip(NEXT) | instid1(VALU_DEP_1)
	v_dual_add_f32 v1, v1, v27 :: v_dual_add_f32 v2, v2, v177
	v_dual_add_f32 v1, v1, v28 :: v_dual_add_f32 v2, v2, v179
	s_delay_alu instid0(VALU_DEP_1) | instskip(NEXT) | instid1(VALU_DEP_1)
	v_add_f32_e32 v1, v1, v13
	v_dual_add_f32 v2, v2, v181 :: v_dual_add_f32 v1, v1, v14
	s_delay_alu instid0(VALU_DEP_1) | instskip(NEXT) | instid1(VALU_DEP_1)
	v_add_f32_e32 v1, v1, v16
	v_add_f32_e32 v1, v1, v17
	s_delay_alu instid0(VALU_DEP_1) | instskip(NEXT) | instid1(VALU_DEP_1)
	v_add_f32_e32 v1, v1, v160
	v_add_f32_e32 v1, v1, v161
	;; [unrolled: 3-line block ×11, first 2 shown]
	s_delay_alu instid0(VALU_DEP_1) | instskip(SKIP_1) | instid1(VALU_DEP_2)
	v_add_f32_e32 v6, v1, v200
	v_add_f32_e32 v2, v2, v183
	;; [unrolled: 1-line block ×3, first 2 shown]
	s_delay_alu instid0(VALU_DEP_2) | instskip(NEXT) | instid1(VALU_DEP_2)
	v_add_f32_e32 v2, v2, v185
	v_add_f32_e32 v14, v14, v204
	s_delay_alu instid0(VALU_DEP_2) | instskip(NEXT) | instid1(VALU_DEP_2)
	v_add_f32_e32 v2, v2, v187
	v_add_f32_e32 v17, v14, v206
	s_delay_alu instid0(VALU_DEP_1) | instskip(NEXT) | instid1(VALU_DEP_1)
	v_dual_add_f32 v2, v2, v189 :: v_dual_add_f32 v17, v17, v208
	v_dual_add_f32 v2, v2, v191 :: v_dual_add_f32 v17, v17, v210
	s_delay_alu instid0(VALU_DEP_1) | instskip(NEXT) | instid1(VALU_DEP_1)
	v_dual_add_f32 v2, v2, v193 :: v_dual_add_f32 v17, v17, v212
	v_add_f32_e32 v22, v17, v214
	s_delay_alu instid0(VALU_DEP_2) | instskip(NEXT) | instid1(VALU_DEP_2)
	v_add_f32_e32 v2, v2, v195
	v_add_f32_e32 v22, v22, v216
	s_delay_alu instid0(VALU_DEP_2) | instskip(NEXT) | instid1(VALU_DEP_1)
	v_add_f32_e32 v5, v2, v197
	v_dual_add_f32 v22, v22, v218 :: v_dual_add_f32 v13, v5, v199
	s_delay_alu instid0(VALU_DEP_1) | instskip(NEXT) | instid1(VALU_DEP_1)
	v_dual_add_f32 v22, v22, v220 :: v_dual_add_f32 v13, v13, v201
	v_add_f32_e32 v13, v13, v203
	s_delay_alu instid0(VALU_DEP_1) | instskip(NEXT) | instid1(VALU_DEP_1)
	v_dual_mul_f32 v225, v7, v4 :: v_dual_add_f32 v18, v13, v205
	v_fmac_f32_e32 v225, v8, v3
	scratch_load_b128 v[1:4], off, off offset:416
	ds_load_b128 v[5:8], v29 offset:896
	ds_load_b128 v[13:16], v29 offset:912
	s_wait_loadcnt_dscnt 0x201
	v_mul_f32_e32 v32, v5, v10
	v_dual_mul_f32 v10, v6, v10 :: v_dual_mul_f32 v155, v7, v12
	v_mul_f32_e32 v12, v8, v12
	s_delay_alu instid0(VALU_DEP_3) | instskip(NEXT) | instid1(VALU_DEP_3)
	v_fmac_f32_e32 v32, v6, v9
	v_fma_f32 v156, v5, v9, -v10
	s_delay_alu instid0(VALU_DEP_4) | instskip(NEXT) | instid1(VALU_DEP_4)
	v_fmac_f32_e32 v155, v8, v11
	v_fma_f32 v158, v7, v11, -v12
	s_clause 0x1
	scratch_load_b128 v[5:8], off, off offset:432
	scratch_load_b128 v[9:12], off, off offset:448
	s_wait_loadcnt_dscnt 0x200
	v_dual_mul_f32 v160, v15, v4 :: v_dual_mul_f32 v159, v13, v2
	v_mul_f32_e32 v2, v14, v2
	v_mul_f32_e32 v4, v16, v4
	s_delay_alu instid0(VALU_DEP_3)
	v_fmac_f32_e32 v160, v16, v3
	v_add_f32_e32 v18, v18, v207
	v_fmac_f32_e32 v159, v14, v1
	v_add_f32_e32 v14, v22, v222
	v_fma_f32 v161, v13, v1, -v2
	v_fma_f32 v162, v15, v3, -v4
	v_add_f32_e32 v18, v18, v209
	ds_load_b128 v[1:4], v29 offset:928
	v_add_f32_e32 v27, v14, v224
	v_add_f32_e32 v21, v18, v211
	scratch_load_b128 v[17:20], off, off offset:464
	v_add_f32_e32 v163, v27, v226
	s_delay_alu instid0(VALU_DEP_1) | instskip(NEXT) | instid1(VALU_DEP_1)
	v_dual_add_f32 v21, v21, v213 :: v_dual_add_f32 v156, v163, v156
	v_dual_add_f32 v21, v21, v215 :: v_dual_add_f32 v156, v156, v158
	s_delay_alu instid0(VALU_DEP_1) | instskip(NEXT) | instid1(VALU_DEP_1)
	v_add_f32_e32 v21, v21, v217
	v_dual_add_f32 v156, v156, v161 :: v_dual_add_f32 v13, v21, v219
	s_delay_alu instid0(VALU_DEP_1)
	v_dual_add_f32 v156, v156, v162 :: v_dual_add_f32 v21, v13, v221
	ds_load_b128 v[13:16], v29 offset:944
	s_wait_loadcnt_dscnt 0x201
	v_mul_f32_e32 v163, v1, v6
	v_mul_f32_e32 v6, v2, v6
	v_add_f32_e32 v28, v21, v223
	ds_load_b128 v[21:24], v29 offset:960
	v_fmac_f32_e32 v163, v2, v5
	v_fma_f32 v1, v1, v5, -v6
	v_add_f32_e32 v164, v28, v225
	ds_load_b64 v[27:28], v29 offset:976
	v_add_f32_e32 v1, v156, v1
	v_add_f32_e32 v32, v164, v32
	s_delay_alu instid0(VALU_DEP_1) | instskip(SKIP_3) | instid1(VALU_DEP_3)
	v_dual_add_f32 v32, v32, v155 :: v_dual_mul_f32 v155, v3, v8
	v_mul_f32_e32 v8, v4, v8
	s_wait_loadcnt_dscnt 0x102
	v_dual_mul_f32 v158, v13, v10 :: v_dual_mul_f32 v5, v16, v12
	v_add_f32_e32 v32, v32, v159
	v_fmac_f32_e32 v155, v4, v7
	v_fma_f32 v2, v3, v7, -v8
	v_mul_f32_e32 v3, v14, v10
	v_mul_f32_e32 v159, v15, v12
	v_add_f32_e32 v32, v32, v160
	s_delay_alu instid0(VALU_DEP_4) | instskip(NEXT) | instid1(VALU_DEP_4)
	v_dual_fmac_f32 v158, v14, v9 :: v_dual_add_f32 v1, v1, v2
	v_fma_f32 v3, v13, v9, -v3
	s_delay_alu instid0(VALU_DEP_4) | instskip(NEXT) | instid1(VALU_DEP_4)
	v_fmac_f32_e32 v159, v16, v11
	v_add_f32_e32 v4, v32, v163
	v_fma_f32 v5, v15, v11, -v5
	s_wait_dscnt 0x0
	v_dual_mul_f32 v160, v27, v26 :: v_dual_add_f32 v1, v1, v3
	s_delay_alu instid0(VALU_DEP_3) | instskip(NEXT) | instid1(VALU_DEP_2)
	v_add_f32_e32 v2, v4, v155
	v_fmac_f32_e32 v160, v28, v25
	s_delay_alu instid0(VALU_DEP_3) | instskip(SKIP_1) | instid1(VALU_DEP_4)
	v_add_f32_e32 v1, v1, v5
	v_mul_f32_e32 v5, v28, v26
	v_add_f32_e32 v2, v2, v158
	s_wait_loadcnt 0x0
	s_delay_alu instid0(VALU_DEP_1) | instskip(SKIP_3) | instid1(VALU_DEP_4)
	v_dual_add_f32 v2, v2, v159 :: v_dual_mul_f32 v161, v21, v18
	v_mul_f32_e32 v4, v22, v18
	v_mul_f32_e32 v162, v23, v20
	;; [unrolled: 1-line block ×3, first 2 shown]
	v_fmac_f32_e32 v161, v22, v17
	s_delay_alu instid0(VALU_DEP_4) | instskip(NEXT) | instid1(VALU_DEP_4)
	v_fma_f32 v4, v21, v17, -v4
	v_fmac_f32_e32 v162, v24, v19
	s_delay_alu instid0(VALU_DEP_4) | instskip(NEXT) | instid1(VALU_DEP_3)
	v_fma_f32 v3, v23, v19, -v3
	v_dual_add_f32 v2, v2, v161 :: v_dual_add_f32 v1, v1, v4
	v_fma_f32 v4, v27, v25, -v5
	s_delay_alu instid0(VALU_DEP_2) | instskip(NEXT) | instid1(VALU_DEP_1)
	v_dual_add_f32 v2, v2, v162 :: v_dual_add_f32 v1, v1, v3
	v_add_f32_e32 v2, v2, v160
	s_delay_alu instid0(VALU_DEP_1) | instskip(NEXT) | instid1(VALU_DEP_1)
	v_dual_add_f32 v1, v1, v4 :: v_dual_sub_f32 v2, v31, v2
	v_sub_f32_e32 v1, v30, v1
	scratch_store_b64 off, v[1:2], off offset:40
	v_cmpx_lt_u32_e32 4, v0
	s_cbranch_execz .LBB124_371
; %bb.370:
	scratch_load_b64 v[1:2], off, off offset:32
	v_mov_b32_e32 v30, v29
	scratch_store_b64 off, v[29:30], off offset:32
	s_wait_loadcnt 0x0
	ds_store_b64 v157, v[1:2]
.LBB124_371:
	s_wait_alu 0xfffe
	s_or_b32 exec_lo, exec_lo, s0
	s_wait_storecnt_dscnt 0x0
	s_barrier_signal -1
	s_barrier_wait -1
	global_inv scope:SCOPE_SE
	s_clause 0x4
	scratch_load_b128 v[5:8], off, off offset:40
	scratch_load_b128 v[1:4], off, off offset:56
	;; [unrolled: 1-line block ×5, first 2 shown]
	ds_load_2addr_b64 v[21:24], v29 offset0:67 offset1:68
	ds_load_2addr_b64 v[25:28], v29 offset0:69 offset1:70
	;; [unrolled: 1-line block ×3, first 2 shown]
	scratch_load_b64 v[30:31], off, off offset:32
	s_mov_b32 s0, exec_lo
	s_wait_loadcnt_dscnt 0x502
	v_dual_mul_f32 v32, v21, v6 :: v_dual_mul_f32 v155, v23, v8
	v_mul_f32_e32 v6, v22, v6
	v_mul_f32_e32 v8, v24, v8
	s_wait_loadcnt_dscnt 0x300
	v_mul_f32_e32 v156, v158, v10
	v_dual_fmac_f32 v32, v22, v5 :: v_dual_fmac_f32 v155, v24, v7
	v_fma_f32 v21, v21, v5, -v6
	v_fma_f32 v22, v23, v7, -v8
	ds_load_2addr_b64 v[5:8], v29 offset0:73 offset1:74
	v_dual_mul_f32 v23, v25, v2 :: v_dual_mul_f32 v24, v27, v4
	v_mul_f32_e32 v4, v28, v4
	v_mul_f32_e32 v162, v160, v12
	;; [unrolled: 1-line block ×5, first 2 shown]
	v_dual_fmac_f32 v23, v26, v1 :: v_dual_fmac_f32 v24, v28, v3
	v_fma_f32 v26, v27, v3, -v4
	v_fmac_f32_e32 v156, v159, v9
	v_fmac_f32_e32 v162, v161, v11
	v_fma_f32 v27, v158, v9, -v10
	v_fma_f32 v28, v160, v11, -v12
	ds_load_2addr_b64 v[9:12], v29 offset0:75 offset1:76
	s_wait_loadcnt_dscnt 0x201
	v_dual_mul_f32 v159, v7, v16 :: v_dual_mul_f32 v158, v5, v14
	v_mul_f32_e32 v14, v6, v14
	v_mul_f32_e32 v16, v8, v16
	s_delay_alu instid0(VALU_DEP_3)
	v_fmac_f32_e32 v159, v8, v15
	v_fma_f32 v25, v25, v1, -v2
	scratch_load_b128 v[1:4], off, off offset:120
	v_fmac_f32_e32 v158, v6, v13
	v_fma_f32 v13, v5, v13, -v14
	v_fma_f32 v14, v7, v15, -v16
	ds_load_2addr_b64 v[5:8], v29 offset0:77 offset1:78
	s_wait_loadcnt_dscnt 0x201
	v_mul_f32_e32 v15, v9, v18
	v_mul_f32_e32 v16, v10, v18
	;; [unrolled: 1-line block ×3, first 2 shown]
	s_delay_alu instid0(VALU_DEP_3) | instskip(NEXT) | instid1(VALU_DEP_3)
	v_dual_mul_f32 v20, v12, v20 :: v_dual_fmac_f32 v15, v10, v17
	v_fma_f32 v16, v9, v17, -v16
	s_delay_alu instid0(VALU_DEP_3) | instskip(NEXT) | instid1(VALU_DEP_3)
	v_fmac_f32_e32 v18, v12, v19
	v_fma_f32 v17, v11, v19, -v20
	scratch_load_b128 v[9:12], off, off offset:136
	s_wait_loadcnt_dscnt 0x100
	v_mul_f32_e32 v19, v5, v2
	v_mul_f32_e32 v2, v6, v2
	;; [unrolled: 1-line block ×3, first 2 shown]
	s_delay_alu instid0(VALU_DEP_3) | instskip(NEXT) | instid1(VALU_DEP_3)
	v_dual_mul_f32 v4, v8, v4 :: v_dual_fmac_f32 v19, v6, v1
	v_fma_f32 v160, v5, v1, -v2
	s_delay_alu instid0(VALU_DEP_3) | instskip(NEXT) | instid1(VALU_DEP_3)
	v_fmac_f32_e32 v20, v8, v3
	v_fma_f32 v161, v7, v3, -v4
	ds_load_2addr_b64 v[1:4], v29 offset0:79 offset1:80
	ds_load_2addr_b64 v[5:8], v29 offset0:81 offset1:82
	s_wait_loadcnt_dscnt 0x1
	v_mul_f32_e32 v163, v1, v10
	v_mul_f32_e32 v10, v2, v10
	s_delay_alu instid0(VALU_DEP_2) | instskip(NEXT) | instid1(VALU_DEP_2)
	v_dual_mul_f32 v164, v3, v12 :: v_dual_fmac_f32 v163, v2, v9
	v_fma_f32 v165, v1, v9, -v10
	v_mul_f32_e32 v1, v4, v12
	s_delay_alu instid0(VALU_DEP_3) | instskip(NEXT) | instid1(VALU_DEP_2)
	v_fmac_f32_e32 v164, v4, v11
	v_fma_f32 v166, v3, v11, -v1
	s_clause 0x1
	scratch_load_b128 v[1:4], off, off offset:152
	scratch_load_b128 v[9:12], off, off offset:168
	s_wait_loadcnt_dscnt 0x100
	v_mul_f32_e32 v167, v5, v2
	v_dual_mul_f32 v2, v6, v2 :: v_dual_mul_f32 v169, v7, v4
	s_delay_alu instid0(VALU_DEP_2) | instskip(NEXT) | instid1(VALU_DEP_2)
	v_fmac_f32_e32 v167, v6, v1
	v_fma_f32 v168, v5, v1, -v2
	v_mul_f32_e32 v1, v8, v4
	s_delay_alu instid0(VALU_DEP_4) | instskip(NEXT) | instid1(VALU_DEP_2)
	v_fmac_f32_e32 v169, v8, v3
	v_fma_f32 v170, v7, v3, -v1
	ds_load_2addr_b64 v[1:4], v29 offset0:83 offset1:84
	ds_load_2addr_b64 v[5:8], v29 offset0:85 offset1:86
	s_wait_loadcnt_dscnt 0x1
	v_mul_f32_e32 v171, v1, v10
	v_mul_f32_e32 v173, v3, v12
	s_delay_alu instid0(VALU_DEP_2) | instskip(NEXT) | instid1(VALU_DEP_2)
	v_fmac_f32_e32 v171, v2, v9
	v_dual_mul_f32 v2, v2, v10 :: v_dual_fmac_f32 v173, v4, v11
	s_delay_alu instid0(VALU_DEP_1) | instskip(SKIP_1) | instid1(VALU_DEP_1)
	v_fma_f32 v172, v1, v9, -v2
	v_mul_f32_e32 v1, v4, v12
	v_fma_f32 v174, v3, v11, -v1
	s_clause 0x1
	scratch_load_b128 v[1:4], off, off offset:184
	scratch_load_b128 v[9:12], off, off offset:200
	s_wait_loadcnt_dscnt 0x100
	v_mul_f32_e32 v175, v5, v2
	v_dual_mul_f32 v2, v6, v2 :: v_dual_mul_f32 v177, v7, v4
	s_delay_alu instid0(VALU_DEP_2) | instskip(NEXT) | instid1(VALU_DEP_2)
	v_fmac_f32_e32 v175, v6, v1
	v_fma_f32 v176, v5, v1, -v2
	v_mul_f32_e32 v1, v8, v4
	s_delay_alu instid0(VALU_DEP_4) | instskip(NEXT) | instid1(VALU_DEP_2)
	v_fmac_f32_e32 v177, v8, v3
	v_fma_f32 v178, v7, v3, -v1
	ds_load_2addr_b64 v[1:4], v29 offset0:87 offset1:88
	ds_load_2addr_b64 v[5:8], v29 offset0:89 offset1:90
	s_wait_loadcnt_dscnt 0x1
	v_mul_f32_e32 v179, v1, v10
	v_mul_f32_e32 v181, v3, v12
	s_delay_alu instid0(VALU_DEP_2) | instskip(NEXT) | instid1(VALU_DEP_2)
	v_fmac_f32_e32 v179, v2, v9
	v_dual_mul_f32 v2, v2, v10 :: v_dual_fmac_f32 v181, v4, v11
	s_delay_alu instid0(VALU_DEP_1) | instskip(SKIP_1) | instid1(VALU_DEP_1)
	v_fma_f32 v180, v1, v9, -v2
	v_mul_f32_e32 v1, v4, v12
	;; [unrolled: 25-line block ×8, first 2 shown]
	v_fma_f32 v230, v3, v11, -v1
	s_clause 0x1
	scratch_load_b128 v[1:4], off, off offset:408
	scratch_load_b128 v[9:12], off, off offset:424
	s_wait_loadcnt_dscnt 0x100
	v_mul_f32_e32 v231, v5, v2
	v_dual_mul_f32 v2, v6, v2 :: v_dual_mul_f32 v233, v7, v4
	s_delay_alu instid0(VALU_DEP_2) | instskip(NEXT) | instid1(VALU_DEP_2)
	v_fmac_f32_e32 v231, v6, v1
	v_fma_f32 v232, v5, v1, -v2
	v_mul_f32_e32 v1, v8, v4
	v_add_f32_e32 v2, 0, v32
	s_delay_alu instid0(VALU_DEP_2) | instskip(NEXT) | instid1(VALU_DEP_2)
	v_fma_f32 v234, v7, v3, -v1
	v_dual_add_f32 v1, 0, v21 :: v_dual_add_f32 v2, v2, v155
	s_delay_alu instid0(VALU_DEP_1) | instskip(NEXT) | instid1(VALU_DEP_1)
	v_dual_add_f32 v1, v1, v22 :: v_dual_add_f32 v2, v2, v23
	v_dual_add_f32 v1, v1, v25 :: v_dual_add_f32 v2, v2, v24
	s_delay_alu instid0(VALU_DEP_1) | instskip(NEXT) | instid1(VALU_DEP_1)
	v_dual_add_f32 v1, v1, v26 :: v_dual_add_f32 v2, v2, v156
	;; [unrolled: 3-line block ×5, first 2 shown]
	v_add_f32_e32 v1, v1, v160
	s_delay_alu instid0(VALU_DEP_1) | instskip(NEXT) | instid1(VALU_DEP_1)
	v_dual_add_f32 v2, v2, v20 :: v_dual_add_f32 v1, v1, v161
	v_dual_add_f32 v2, v2, v163 :: v_dual_add_f32 v1, v1, v165
	s_delay_alu instid0(VALU_DEP_1) | instskip(NEXT) | instid1(VALU_DEP_1)
	v_dual_add_f32 v2, v2, v164 :: v_dual_add_f32 v1, v1, v166
	v_dual_add_f32 v2, v2, v167 :: v_dual_add_f32 v1, v1, v168
	;; [unrolled: 3-line block ×5, first 2 shown]
	s_delay_alu instid0(VALU_DEP_1) | instskip(NEXT) | instid1(VALU_DEP_1)
	v_dual_add_f32 v2, v2, v181 :: v_dual_add_f32 v1, v1, v182
	v_add_f32_e32 v1, v1, v184
	s_delay_alu instid0(VALU_DEP_1) | instskip(NEXT) | instid1(VALU_DEP_1)
	v_add_f32_e32 v1, v1, v186
	v_add_f32_e32 v1, v1, v188
	s_delay_alu instid0(VALU_DEP_1) | instskip(NEXT) | instid1(VALU_DEP_1)
	v_add_f32_e32 v1, v1, v190
	;; [unrolled: 3-line block ×5, first 2 shown]
	v_add_f32_e32 v1, v1, v204
	s_delay_alu instid0(VALU_DEP_1) | instskip(SKIP_1) | instid1(VALU_DEP_2)
	v_add_f32_e32 v6, v1, v206
	v_add_f32_e32 v2, v2, v183
	;; [unrolled: 1-line block ×3, first 2 shown]
	s_delay_alu instid0(VALU_DEP_2) | instskip(NEXT) | instid1(VALU_DEP_2)
	v_add_f32_e32 v2, v2, v185
	v_add_f32_e32 v13, v6, v210
	s_delay_alu instid0(VALU_DEP_1) | instskip(NEXT) | instid1(VALU_DEP_1)
	v_dual_add_f32 v2, v2, v187 :: v_dual_add_f32 v13, v13, v212
	v_dual_add_f32 v2, v2, v189 :: v_dual_add_f32 v13, v13, v214
	s_delay_alu instid0(VALU_DEP_1) | instskip(NEXT) | instid1(VALU_DEP_1)
	v_dual_add_f32 v2, v2, v191 :: v_dual_add_f32 v13, v13, v216
	v_add_f32_e32 v2, v2, v193
	s_delay_alu instid0(VALU_DEP_2) | instskip(NEXT) | instid1(VALU_DEP_2)
	v_add_f32_e32 v18, v13, v218
	v_add_f32_e32 v2, v2, v195
	s_delay_alu instid0(VALU_DEP_2) | instskip(NEXT) | instid1(VALU_DEP_2)
	v_dual_fmac_f32 v233, v8, v3 :: v_dual_add_f32 v18, v18, v220
	v_add_f32_e32 v2, v2, v197
	s_delay_alu instid0(VALU_DEP_2) | instskip(NEXT) | instid1(VALU_DEP_2)
	v_add_f32_e32 v18, v18, v222
	v_add_f32_e32 v2, v2, v199
	s_delay_alu instid0(VALU_DEP_2) | instskip(NEXT) | instid1(VALU_DEP_2)
	v_add_f32_e32 v21, v18, v224
	v_add_f32_e32 v2, v2, v201
	s_delay_alu instid0(VALU_DEP_1) | instskip(SKIP_2) | instid1(VALU_DEP_1)
	v_dual_add_f32 v32, v21, v226 :: v_dual_add_f32 v5, v2, v203
	ds_load_2addr_b64 v[1:4], v29 offset0:115 offset1:116
	v_add_f32_e32 v5, v5, v205
	v_add_f32_e32 v5, v5, v207
	s_delay_alu instid0(VALU_DEP_1)
	v_add_f32_e32 v14, v5, v209
	ds_load_2addr_b64 v[5:8], v29 offset0:117 offset1:118
	s_wait_loadcnt_dscnt 0x1
	v_dual_add_f32 v14, v14, v211 :: v_dual_mul_f32 v25, v1, v10
	v_mul_f32_e32 v26, v3, v12
	v_mul_f32_e32 v10, v2, v10
	;; [unrolled: 1-line block ×3, first 2 shown]
	s_delay_alu instid0(VALU_DEP_4) | instskip(NEXT) | instid1(VALU_DEP_4)
	v_add_f32_e32 v14, v14, v213
	v_dual_fmac_f32 v25, v2, v9 :: v_dual_fmac_f32 v26, v4, v11
	s_delay_alu instid0(VALU_DEP_4) | instskip(NEXT) | instid1(VALU_DEP_4)
	v_fma_f32 v27, v1, v9, -v10
	v_fma_f32 v28, v3, v11, -v12
	s_clause 0x1
	scratch_load_b128 v[1:4], off, off offset:440
	scratch_load_b128 v[9:12], off, off offset:456
	v_add_f32_e32 v17, v14, v215
	scratch_load_b128 v[13:16], off, off offset:472
	s_wait_loadcnt_dscnt 0x200
	v_dual_add_f32 v17, v17, v217 :: v_dual_mul_f32 v156, v7, v4
	s_delay_alu instid0(VALU_DEP_1) | instskip(NEXT) | instid1(VALU_DEP_1)
	v_dual_add_f32 v17, v17, v219 :: v_dual_mul_f32 v4, v8, v4
	v_dual_fmac_f32 v156, v8, v3 :: v_dual_add_f32 v17, v17, v221
	s_delay_alu instid0(VALU_DEP_2) | instskip(NEXT) | instid1(VALU_DEP_2)
	v_fma_f32 v3, v7, v3, -v4
	v_add_f32_e32 v22, v17, v223
	ds_load_2addr_b64 v[17:20], v29 offset0:119 offset1:120
	v_add_f32_e32 v155, v22, v225
	ds_load_2addr_b64 v[21:24], v29 offset0:121 offset1:122
	v_add_f32_e32 v29, v32, v228
	s_delay_alu instid0(VALU_DEP_1) | instskip(NEXT) | instid1(VALU_DEP_1)
	v_add_f32_e32 v29, v29, v230
	v_add_f32_e32 v29, v29, v232
	s_wait_loadcnt_dscnt 0x101
	v_mul_f32_e32 v158, v17, v10
	s_delay_alu instid0(VALU_DEP_2)
	v_add_f32_e32 v29, v29, v234
	v_mul_f32_e32 v159, v19, v12
	v_mul_f32_e32 v4, v20, v12
	s_wait_loadcnt_dscnt 0x0
	v_mul_f32_e32 v160, v21, v14
	v_dual_add_f32 v32, v155, v227 :: v_dual_mul_f32 v155, v5, v2
	v_dual_mul_f32 v2, v6, v2 :: v_dual_add_f32 v27, v29, v27
	v_fmac_f32_e32 v158, v18, v9
	s_delay_alu instid0(VALU_DEP_3) | instskip(NEXT) | instid1(VALU_DEP_4)
	v_add_f32_e32 v32, v32, v229
	v_fmac_f32_e32 v155, v6, v1
	s_delay_alu instid0(VALU_DEP_4) | instskip(SKIP_1) | instid1(VALU_DEP_4)
	v_fma_f32 v2, v5, v1, -v2
	v_dual_add_f32 v1, v27, v28 :: v_dual_mul_f32 v6, v18, v10
	v_add_f32_e32 v32, v32, v231
	v_fmac_f32_e32 v159, v20, v11
	v_fma_f32 v4, v19, v11, -v4
	s_delay_alu instid0(VALU_DEP_4) | instskip(NEXT) | instid1(VALU_DEP_4)
	v_add_f32_e32 v1, v1, v2
	v_dual_mul_f32 v29, v23, v16 :: v_dual_add_f32 v32, v32, v233
	s_delay_alu instid0(VALU_DEP_2) | instskip(SKIP_1) | instid1(VALU_DEP_3)
	v_dual_fmac_f32 v160, v22, v13 :: v_dual_add_f32 v1, v1, v3
	v_mul_f32_e32 v3, v22, v14
	v_add_f32_e32 v25, v32, v25
	s_delay_alu instid0(VALU_DEP_4) | instskip(NEXT) | instid1(VALU_DEP_3)
	v_fmac_f32_e32 v29, v24, v15
	v_fma_f32 v3, v21, v13, -v3
	s_delay_alu instid0(VALU_DEP_3) | instskip(NEXT) | instid1(VALU_DEP_1)
	v_add_f32_e32 v5, v25, v26
	v_add_f32_e32 v2, v5, v155
	v_fma_f32 v5, v17, v9, -v6
	s_delay_alu instid0(VALU_DEP_1) | instskip(NEXT) | instid1(VALU_DEP_1)
	v_dual_add_f32 v2, v2, v156 :: v_dual_add_f32 v1, v1, v5
	v_dual_mul_f32 v5, v24, v16 :: v_dual_add_f32 v2, v2, v158
	s_delay_alu instid0(VALU_DEP_2) | instskip(NEXT) | instid1(VALU_DEP_2)
	v_add_f32_e32 v1, v1, v4
	v_fma_f32 v4, v23, v15, -v5
	s_delay_alu instid0(VALU_DEP_3) | instskip(NEXT) | instid1(VALU_DEP_1)
	v_add_f32_e32 v2, v2, v159
	v_dual_add_f32 v1, v1, v3 :: v_dual_add_f32 v2, v2, v160
	s_delay_alu instid0(VALU_DEP_1) | instskip(NEXT) | instid1(VALU_DEP_1)
	v_dual_add_f32 v1, v1, v4 :: v_dual_add_f32 v2, v2, v29
	v_dual_sub_f32 v1, v30, v1 :: v_dual_sub_f32 v2, v31, v2
	scratch_store_b64 off, v[1:2], off offset:32
	v_cmpx_lt_u32_e32 3, v0
	s_cbranch_execz .LBB124_373
; %bb.372:
	scratch_load_b64 v[1:2], off, off offset:24
	v_mov_b32_e32 v3, 0
	s_delay_alu instid0(VALU_DEP_1)
	v_mov_b32_e32 v4, v3
	scratch_store_b64 off, v[3:4], off offset:24
	s_wait_loadcnt 0x0
	ds_store_b64 v157, v[1:2]
.LBB124_373:
	s_wait_alu 0xfffe
	s_or_b32 exec_lo, exec_lo, s0
	s_wait_storecnt_dscnt 0x0
	s_barrier_signal -1
	s_barrier_wait -1
	global_inv scope:SCOPE_SE
	s_clause 0x4
	scratch_load_b128 v[5:8], off, off offset:32
	scratch_load_b128 v[1:4], off, off offset:48
	;; [unrolled: 1-line block ×5, first 2 shown]
	v_mov_b32_e32 v155, 0
	ds_load_b128 v[21:24], v155 offset:528
	ds_load_b128 v[25:28], v155 offset:544
	;; [unrolled: 1-line block ×3, first 2 shown]
	scratch_load_b64 v[158:159], off, off offset:24
	s_mov_b32 s0, exec_lo
	s_wait_loadcnt_dscnt 0x502
	v_mul_f32_e32 v156, v21, v6
	v_mul_f32_e32 v160, v23, v8
	;; [unrolled: 1-line block ×3, first 2 shown]
	s_wait_loadcnt_dscnt 0x300
	v_dual_mul_f32 v8, v24, v8 :: v_dual_mul_f32 v161, v29, v10
	v_fmac_f32_e32 v156, v22, v5
	v_mul_f32_e32 v162, v31, v12
	v_fma_f32 v21, v21, v5, -v6
	s_delay_alu instid0(VALU_DEP_4)
	v_fma_f32 v22, v23, v7, -v8
	v_dual_mul_f32 v23, v25, v2 :: v_dual_fmac_f32 v160, v24, v7
	ds_load_b128 v[5:8], v155 offset:576
	v_dual_mul_f32 v24, v27, v4 :: v_dual_fmac_f32 v161, v30, v9
	v_mul_f32_e32 v2, v26, v2
	v_mul_f32_e32 v4, v28, v4
	v_mul_f32_e32 v10, v30, v10
	s_delay_alu instid0(VALU_DEP_4) | instskip(NEXT) | instid1(VALU_DEP_4)
	v_dual_fmac_f32 v23, v26, v1 :: v_dual_fmac_f32 v24, v28, v3
	v_fma_f32 v25, v25, v1, -v2
	s_delay_alu instid0(VALU_DEP_4) | instskip(SKIP_4) | instid1(VALU_DEP_3)
	v_fma_f32 v26, v27, v3, -v4
	scratch_load_b128 v[1:4], off, off offset:112
	v_mul_f32_e32 v12, v32, v12
	v_fmac_f32_e32 v162, v32, v11
	v_fma_f32 v27, v29, v9, -v10
	v_fma_f32 v28, v31, v11, -v12
	ds_load_b128 v[9:12], v155 offset:592
	s_wait_loadcnt_dscnt 0x301
	v_dual_mul_f32 v29, v5, v14 :: v_dual_mul_f32 v30, v7, v16
	v_mul_f32_e32 v14, v6, v14
	s_delay_alu instid0(VALU_DEP_2) | instskip(NEXT) | instid1(VALU_DEP_3)
	v_dual_mul_f32 v16, v8, v16 :: v_dual_fmac_f32 v29, v6, v13
	v_fmac_f32_e32 v30, v8, v15
	s_delay_alu instid0(VALU_DEP_3) | instskip(NEXT) | instid1(VALU_DEP_3)
	v_fma_f32 v13, v5, v13, -v14
	v_fma_f32 v14, v7, v15, -v16
	ds_load_b128 v[5:8], v155 offset:608
	s_wait_loadcnt_dscnt 0x201
	v_dual_mul_f32 v15, v9, v18 :: v_dual_mul_f32 v16, v11, v20
	v_mul_f32_e32 v18, v10, v18
	s_delay_alu instid0(VALU_DEP_2) | instskip(NEXT) | instid1(VALU_DEP_3)
	v_dual_mul_f32 v20, v12, v20 :: v_dual_fmac_f32 v15, v10, v17
	v_fmac_f32_e32 v16, v12, v19
	s_delay_alu instid0(VALU_DEP_3) | instskip(NEXT) | instid1(VALU_DEP_3)
	v_fma_f32 v17, v9, v17, -v18
	v_fma_f32 v18, v11, v19, -v20
	scratch_load_b128 v[9:12], off, off offset:128
	s_wait_loadcnt_dscnt 0x100
	v_mul_f32_e32 v19, v5, v2
	v_mul_f32_e32 v2, v6, v2
	;; [unrolled: 1-line block ×3, first 2 shown]
	s_delay_alu instid0(VALU_DEP_3) | instskip(NEXT) | instid1(VALU_DEP_3)
	v_dual_mul_f32 v4, v8, v4 :: v_dual_fmac_f32 v19, v6, v1
	v_fma_f32 v31, v5, v1, -v2
	s_delay_alu instid0(VALU_DEP_3) | instskip(NEXT) | instid1(VALU_DEP_3)
	v_fmac_f32_e32 v20, v8, v3
	v_fma_f32 v32, v7, v3, -v4
	ds_load_b128 v[1:4], v155 offset:624
	ds_load_b128 v[5:8], v155 offset:640
	s_wait_loadcnt_dscnt 0x1
	v_mul_f32_e32 v163, v1, v10
	v_mul_f32_e32 v10, v2, v10
	s_delay_alu instid0(VALU_DEP_2) | instskip(NEXT) | instid1(VALU_DEP_2)
	v_dual_mul_f32 v164, v3, v12 :: v_dual_fmac_f32 v163, v2, v9
	v_fma_f32 v165, v1, v9, -v10
	v_mul_f32_e32 v1, v4, v12
	s_delay_alu instid0(VALU_DEP_3) | instskip(NEXT) | instid1(VALU_DEP_2)
	v_fmac_f32_e32 v164, v4, v11
	v_fma_f32 v166, v3, v11, -v1
	s_clause 0x1
	scratch_load_b128 v[1:4], off, off offset:144
	scratch_load_b128 v[9:12], off, off offset:160
	s_wait_loadcnt_dscnt 0x100
	v_mul_f32_e32 v167, v5, v2
	v_dual_mul_f32 v2, v6, v2 :: v_dual_mul_f32 v169, v7, v4
	s_delay_alu instid0(VALU_DEP_2) | instskip(NEXT) | instid1(VALU_DEP_2)
	v_fmac_f32_e32 v167, v6, v1
	v_fma_f32 v168, v5, v1, -v2
	v_mul_f32_e32 v1, v8, v4
	s_delay_alu instid0(VALU_DEP_4) | instskip(NEXT) | instid1(VALU_DEP_2)
	v_fmac_f32_e32 v169, v8, v3
	v_fma_f32 v170, v7, v3, -v1
	ds_load_b128 v[1:4], v155 offset:656
	ds_load_b128 v[5:8], v155 offset:672
	s_wait_loadcnt_dscnt 0x1
	v_mul_f32_e32 v171, v1, v10
	v_mul_f32_e32 v173, v3, v12
	s_delay_alu instid0(VALU_DEP_2) | instskip(NEXT) | instid1(VALU_DEP_2)
	v_fmac_f32_e32 v171, v2, v9
	v_dual_mul_f32 v2, v2, v10 :: v_dual_fmac_f32 v173, v4, v11
	s_delay_alu instid0(VALU_DEP_1) | instskip(SKIP_1) | instid1(VALU_DEP_1)
	v_fma_f32 v172, v1, v9, -v2
	v_mul_f32_e32 v1, v4, v12
	v_fma_f32 v174, v3, v11, -v1
	s_clause 0x1
	scratch_load_b128 v[1:4], off, off offset:176
	scratch_load_b128 v[9:12], off, off offset:192
	s_wait_loadcnt_dscnt 0x100
	v_mul_f32_e32 v175, v5, v2
	v_dual_mul_f32 v2, v6, v2 :: v_dual_mul_f32 v177, v7, v4
	s_delay_alu instid0(VALU_DEP_2) | instskip(NEXT) | instid1(VALU_DEP_2)
	v_fmac_f32_e32 v175, v6, v1
	v_fma_f32 v176, v5, v1, -v2
	v_mul_f32_e32 v1, v8, v4
	s_delay_alu instid0(VALU_DEP_4) | instskip(NEXT) | instid1(VALU_DEP_2)
	v_fmac_f32_e32 v177, v8, v3
	v_fma_f32 v178, v7, v3, -v1
	ds_load_b128 v[1:4], v155 offset:688
	ds_load_b128 v[5:8], v155 offset:704
	s_wait_loadcnt_dscnt 0x1
	v_mul_f32_e32 v179, v1, v10
	v_mul_f32_e32 v181, v3, v12
	s_delay_alu instid0(VALU_DEP_2) | instskip(NEXT) | instid1(VALU_DEP_2)
	v_fmac_f32_e32 v179, v2, v9
	v_dual_mul_f32 v2, v2, v10 :: v_dual_fmac_f32 v181, v4, v11
	s_delay_alu instid0(VALU_DEP_1) | instskip(SKIP_1) | instid1(VALU_DEP_1)
	v_fma_f32 v180, v1, v9, -v2
	v_mul_f32_e32 v1, v4, v12
	;; [unrolled: 25-line block ×8, first 2 shown]
	v_fma_f32 v230, v3, v11, -v1
	s_clause 0x1
	scratch_load_b128 v[1:4], off, off offset:400
	scratch_load_b128 v[9:12], off, off offset:416
	s_wait_loadcnt_dscnt 0x100
	v_mul_f32_e32 v231, v5, v2
	v_mul_f32_e32 v2, v6, v2
	s_delay_alu instid0(VALU_DEP_2) | instskip(NEXT) | instid1(VALU_DEP_2)
	v_fmac_f32_e32 v231, v6, v1
	v_fma_f32 v232, v5, v1, -v2
	v_mul_f32_e32 v1, v8, v4
	v_add_f32_e32 v2, 0, v156
	s_delay_alu instid0(VALU_DEP_2) | instskip(NEXT) | instid1(VALU_DEP_2)
	v_fma_f32 v234, v7, v3, -v1
	v_dual_add_f32 v1, 0, v21 :: v_dual_add_f32 v2, v2, v160
	s_delay_alu instid0(VALU_DEP_1) | instskip(NEXT) | instid1(VALU_DEP_1)
	v_dual_add_f32 v1, v1, v22 :: v_dual_add_f32 v2, v2, v23
	v_dual_add_f32 v1, v1, v25 :: v_dual_add_f32 v2, v2, v24
	s_delay_alu instid0(VALU_DEP_1) | instskip(SKIP_2) | instid1(VALU_DEP_1)
	v_dual_add_f32 v1, v1, v26 :: v_dual_add_f32 v2, v2, v161
	scratch_load_b64 v[25:26], off, off offset:480
	v_dual_add_f32 v1, v1, v27 :: v_dual_add_f32 v2, v2, v162
	v_dual_add_f32 v1, v1, v28 :: v_dual_add_f32 v2, v2, v29
	s_delay_alu instid0(VALU_DEP_1) | instskip(NEXT) | instid1(VALU_DEP_1)
	v_dual_add_f32 v1, v1, v13 :: v_dual_add_f32 v2, v2, v30
	v_dual_add_f32 v1, v1, v14 :: v_dual_add_f32 v2, v2, v15
	s_delay_alu instid0(VALU_DEP_1) | instskip(NEXT) | instid1(VALU_DEP_1)
	;; [unrolled: 3-line block ×8, first 2 shown]
	v_dual_add_f32 v1, v1, v180 :: v_dual_add_f32 v2, v2, v181
	v_add_f32_e32 v1, v1, v182
	s_delay_alu instid0(VALU_DEP_1) | instskip(NEXT) | instid1(VALU_DEP_1)
	v_add_f32_e32 v1, v1, v184
	v_add_f32_e32 v1, v1, v186
	s_delay_alu instid0(VALU_DEP_1) | instskip(NEXT) | instid1(VALU_DEP_1)
	v_add_f32_e32 v1, v1, v188
	;; [unrolled: 3-line block ×6, first 2 shown]
	v_add_f32_e32 v6, v1, v206
	v_add_f32_e32 v2, v2, v183
	s_delay_alu instid0(VALU_DEP_2) | instskip(NEXT) | instid1(VALU_DEP_2)
	v_add_f32_e32 v6, v6, v208
	v_add_f32_e32 v2, v2, v185
	s_delay_alu instid0(VALU_DEP_2) | instskip(NEXT) | instid1(VALU_DEP_1)
	v_add_f32_e32 v13, v6, v210
	v_dual_add_f32 v2, v2, v187 :: v_dual_add_f32 v13, v13, v212
	s_delay_alu instid0(VALU_DEP_1) | instskip(NEXT) | instid1(VALU_DEP_1)
	v_dual_add_f32 v2, v2, v189 :: v_dual_add_f32 v13, v13, v214
	v_dual_add_f32 v2, v2, v191 :: v_dual_add_f32 v13, v13, v216
	s_delay_alu instid0(VALU_DEP_1) | instskip(NEXT) | instid1(VALU_DEP_2)
	v_add_f32_e32 v2, v2, v193
	v_add_f32_e32 v18, v13, v218
	s_delay_alu instid0(VALU_DEP_2) | instskip(NEXT) | instid1(VALU_DEP_2)
	v_add_f32_e32 v2, v2, v195
	v_add_f32_e32 v18, v18, v220
	s_delay_alu instid0(VALU_DEP_2) | instskip(NEXT) | instid1(VALU_DEP_2)
	v_dual_add_f32 v2, v2, v197 :: v_dual_mul_f32 v233, v7, v4
	v_add_f32_e32 v18, v18, v222
	s_delay_alu instid0(VALU_DEP_2) | instskip(NEXT) | instid1(VALU_DEP_2)
	v_add_f32_e32 v2, v2, v199
	v_dual_fmac_f32 v233, v8, v3 :: v_dual_add_f32 v18, v18, v224
	s_delay_alu instid0(VALU_DEP_2) | instskip(NEXT) | instid1(VALU_DEP_2)
	v_add_f32_e32 v2, v2, v201
	v_add_f32_e32 v18, v18, v226
	s_delay_alu instid0(VALU_DEP_2) | instskip(SKIP_2) | instid1(VALU_DEP_1)
	v_add_f32_e32 v5, v2, v203
	ds_load_b128 v[1:4], v155 offset:912
	v_add_f32_e32 v27, v18, v228
	v_dual_add_f32 v5, v5, v205 :: v_dual_add_f32 v156, v27, v230
	s_delay_alu instid0(VALU_DEP_1) | instskip(NEXT) | instid1(VALU_DEP_1)
	v_dual_add_f32 v5, v5, v207 :: v_dual_add_f32 v156, v156, v232
	v_add_f32_e32 v14, v5, v209
	ds_load_b128 v[5:8], v155 offset:928
	v_add_f32_e32 v156, v156, v234
	s_wait_loadcnt_dscnt 0x101
	v_dual_add_f32 v14, v14, v211 :: v_dual_mul_f32 v29, v1, v10
	v_mul_f32_e32 v10, v2, v10
	v_mul_f32_e32 v30, v3, v12
	;; [unrolled: 1-line block ×3, first 2 shown]
	s_delay_alu instid0(VALU_DEP_4)
	v_add_f32_e32 v14, v14, v213
	v_fmac_f32_e32 v29, v2, v9
	v_fma_f32 v31, v1, v9, -v10
	v_fmac_f32_e32 v30, v4, v11
	v_fma_f32 v32, v3, v11, -v12
	s_clause 0x1
	scratch_load_b128 v[1:4], off, off offset:432
	scratch_load_b128 v[9:12], off, off offset:448
	v_add_f32_e32 v17, v14, v215
	scratch_load_b128 v[13:16], off, off offset:464
	v_add_f32_e32 v31, v156, v31
	v_add_f32_e32 v17, v17, v217
	s_delay_alu instid0(VALU_DEP_2) | instskip(NEXT) | instid1(VALU_DEP_2)
	v_add_f32_e32 v31, v31, v32
	v_add_f32_e32 v17, v17, v219
	s_wait_loadcnt_dscnt 0x200
	s_delay_alu instid0(VALU_DEP_1) | instskip(NEXT) | instid1(VALU_DEP_1)
	v_dual_add_f32 v17, v17, v221 :: v_dual_mul_f32 v162, v7, v4
	v_dual_add_f32 v17, v17, v223 :: v_dual_mul_f32 v4, v8, v4
	v_mul_f32_e32 v161, v5, v2
	v_mul_f32_e32 v2, v6, v2
	s_delay_alu instid0(VALU_DEP_3)
	v_dual_fmac_f32 v162, v8, v3 :: v_dual_add_f32 v21, v17, v225
	ds_load_b128 v[17:20], v155 offset:944
	v_fmac_f32_e32 v161, v6, v1
	v_fma_f32 v2, v5, v1, -v2
	v_fma_f32 v1, v7, v3, -v4
	v_add_f32_e32 v28, v21, v227
	ds_load_b128 v[21:24], v155 offset:960
	v_add_f32_e32 v2, v31, v2
	v_add_f32_e32 v160, v28, v229
	ds_load_b64 v[27:28], v155 offset:976
	s_wait_loadcnt_dscnt 0x102
	v_dual_add_f32 v1, v2, v1 :: v_dual_mul_f32 v156, v17, v10
	v_dual_add_f32 v160, v160, v231 :: v_dual_mul_f32 v3, v18, v10
	s_delay_alu instid0(VALU_DEP_2) | instskip(NEXT) | instid1(VALU_DEP_2)
	v_dual_mul_f32 v5, v20, v12 :: v_dual_fmac_f32 v156, v18, v9
	v_add_f32_e32 v160, v160, v233
	s_delay_alu instid0(VALU_DEP_3)
	v_fma_f32 v3, v17, v9, -v3
	s_wait_loadcnt_dscnt 0x1
	v_mul_f32_e32 v163, v21, v14
	v_fma_f32 v5, v19, v11, -v5
	v_dual_mul_f32 v32, v23, v16 :: v_dual_add_f32 v29, v160, v29
	v_dual_mul_f32 v160, v19, v12 :: v_dual_add_f32 v1, v1, v3
	v_mul_f32_e32 v3, v24, v16
	v_fmac_f32_e32 v163, v22, v13
	s_delay_alu instid0(VALU_DEP_3) | instskip(SKIP_2) | instid1(VALU_DEP_2)
	v_dual_add_f32 v29, v29, v30 :: v_dual_fmac_f32 v160, v20, v11
	s_wait_dscnt 0x0
	v_dual_add_f32 v1, v1, v5 :: v_dual_mul_f32 v30, v27, v26
	v_dual_mul_f32 v5, v28, v26 :: v_dual_add_f32 v4, v29, v161
	v_fmac_f32_e32 v32, v24, v15
	v_fma_f32 v3, v23, v15, -v3
	s_delay_alu instid0(VALU_DEP_4) | instskip(NEXT) | instid1(VALU_DEP_4)
	v_fmac_f32_e32 v30, v28, v25
	v_add_f32_e32 v2, v4, v162
	v_mul_f32_e32 v4, v22, v14
	s_delay_alu instid0(VALU_DEP_2) | instskip(NEXT) | instid1(VALU_DEP_2)
	v_add_f32_e32 v2, v2, v156
	v_fma_f32 v4, v21, v13, -v4
	s_delay_alu instid0(VALU_DEP_2) | instskip(NEXT) | instid1(VALU_DEP_2)
	v_add_f32_e32 v2, v2, v160
	v_add_f32_e32 v1, v1, v4
	v_fma_f32 v4, v27, v25, -v5
	s_delay_alu instid0(VALU_DEP_3) | instskip(NEXT) | instid1(VALU_DEP_1)
	v_add_f32_e32 v2, v2, v163
	v_dual_add_f32 v1, v1, v3 :: v_dual_add_f32 v2, v2, v32
	s_delay_alu instid0(VALU_DEP_1) | instskip(NEXT) | instid1(VALU_DEP_1)
	v_dual_add_f32 v1, v1, v4 :: v_dual_add_f32 v2, v2, v30
	v_dual_sub_f32 v1, v158, v1 :: v_dual_sub_f32 v2, v159, v2
	scratch_store_b64 off, v[1:2], off offset:24
	v_cmpx_lt_u32_e32 2, v0
	s_cbranch_execz .LBB124_375
; %bb.374:
	scratch_load_b64 v[1:2], off, off offset:16
	v_mov_b32_e32 v156, v155
	scratch_store_b64 off, v[155:156], off offset:16
	s_wait_loadcnt 0x0
	ds_store_b64 v157, v[1:2]
.LBB124_375:
	s_wait_alu 0xfffe
	s_or_b32 exec_lo, exec_lo, s0
	s_wait_storecnt_dscnt 0x0
	s_barrier_signal -1
	s_barrier_wait -1
	global_inv scope:SCOPE_SE
	s_clause 0x4
	scratch_load_b128 v[5:8], off, off offset:24
	scratch_load_b128 v[1:4], off, off offset:40
	;; [unrolled: 1-line block ×5, first 2 shown]
	ds_load_2addr_b64 v[21:24], v155 offset0:65 offset1:66
	ds_load_2addr_b64 v[25:28], v155 offset0:67 offset1:68
	;; [unrolled: 1-line block ×3, first 2 shown]
	scratch_load_b64 v[158:159], off, off offset:16
	s_mov_b32 s0, exec_lo
	s_wait_loadcnt_dscnt 0x502
	v_mul_f32_e32 v156, v21, v6
	v_mul_f32_e32 v160, v23, v8
	;; [unrolled: 1-line block ×3, first 2 shown]
	s_wait_loadcnt_dscnt 0x300
	v_dual_mul_f32 v8, v24, v8 :: v_dual_mul_f32 v161, v29, v10
	v_fmac_f32_e32 v156, v22, v5
	v_mul_f32_e32 v162, v31, v12
	v_fma_f32 v21, v21, v5, -v6
	s_delay_alu instid0(VALU_DEP_4)
	v_fma_f32 v22, v23, v7, -v8
	v_dual_mul_f32 v23, v25, v2 :: v_dual_fmac_f32 v160, v24, v7
	v_fmac_f32_e32 v161, v30, v9
	ds_load_2addr_b64 v[5:8], v155 offset0:71 offset1:72
	v_mul_f32_e32 v24, v27, v4
	v_mul_f32_e32 v2, v26, v2
	;; [unrolled: 1-line block ×4, first 2 shown]
	s_delay_alu instid0(VALU_DEP_4) | instskip(NEXT) | instid1(VALU_DEP_4)
	v_dual_fmac_f32 v23, v26, v1 :: v_dual_fmac_f32 v24, v28, v3
	v_fma_f32 v25, v25, v1, -v2
	s_delay_alu instid0(VALU_DEP_4) | instskip(SKIP_4) | instid1(VALU_DEP_3)
	v_fma_f32 v26, v27, v3, -v4
	scratch_load_b128 v[1:4], off, off offset:104
	v_mul_f32_e32 v12, v32, v12
	v_fmac_f32_e32 v162, v32, v11
	v_fma_f32 v27, v29, v9, -v10
	v_fma_f32 v28, v31, v11, -v12
	ds_load_2addr_b64 v[9:12], v155 offset0:73 offset1:74
	s_wait_loadcnt_dscnt 0x301
	v_dual_mul_f32 v29, v5, v14 :: v_dual_mul_f32 v30, v7, v16
	v_mul_f32_e32 v14, v6, v14
	s_delay_alu instid0(VALU_DEP_2) | instskip(NEXT) | instid1(VALU_DEP_3)
	v_dual_mul_f32 v16, v8, v16 :: v_dual_fmac_f32 v29, v6, v13
	v_fmac_f32_e32 v30, v8, v15
	s_delay_alu instid0(VALU_DEP_3) | instskip(NEXT) | instid1(VALU_DEP_3)
	v_fma_f32 v13, v5, v13, -v14
	v_fma_f32 v14, v7, v15, -v16
	ds_load_2addr_b64 v[5:8], v155 offset0:75 offset1:76
	s_wait_loadcnt_dscnt 0x201
	v_dual_mul_f32 v15, v9, v18 :: v_dual_mul_f32 v16, v11, v20
	v_mul_f32_e32 v18, v10, v18
	s_delay_alu instid0(VALU_DEP_2) | instskip(NEXT) | instid1(VALU_DEP_3)
	v_dual_mul_f32 v20, v12, v20 :: v_dual_fmac_f32 v15, v10, v17
	v_fmac_f32_e32 v16, v12, v19
	s_delay_alu instid0(VALU_DEP_3) | instskip(NEXT) | instid1(VALU_DEP_3)
	v_fma_f32 v17, v9, v17, -v18
	v_fma_f32 v18, v11, v19, -v20
	scratch_load_b128 v[9:12], off, off offset:120
	s_wait_loadcnt_dscnt 0x100
	v_mul_f32_e32 v19, v5, v2
	v_mul_f32_e32 v2, v6, v2
	;; [unrolled: 1-line block ×3, first 2 shown]
	s_delay_alu instid0(VALU_DEP_3) | instskip(NEXT) | instid1(VALU_DEP_3)
	v_dual_mul_f32 v4, v8, v4 :: v_dual_fmac_f32 v19, v6, v1
	v_fma_f32 v31, v5, v1, -v2
	s_delay_alu instid0(VALU_DEP_3) | instskip(NEXT) | instid1(VALU_DEP_3)
	v_fmac_f32_e32 v20, v8, v3
	v_fma_f32 v32, v7, v3, -v4
	ds_load_2addr_b64 v[1:4], v155 offset0:77 offset1:78
	ds_load_2addr_b64 v[5:8], v155 offset0:79 offset1:80
	s_wait_loadcnt_dscnt 0x1
	v_mul_f32_e32 v163, v1, v10
	v_mul_f32_e32 v10, v2, v10
	s_delay_alu instid0(VALU_DEP_2) | instskip(NEXT) | instid1(VALU_DEP_2)
	v_dual_mul_f32 v164, v3, v12 :: v_dual_fmac_f32 v163, v2, v9
	v_fma_f32 v165, v1, v9, -v10
	v_mul_f32_e32 v1, v4, v12
	s_delay_alu instid0(VALU_DEP_3) | instskip(NEXT) | instid1(VALU_DEP_2)
	v_fmac_f32_e32 v164, v4, v11
	v_fma_f32 v166, v3, v11, -v1
	s_clause 0x1
	scratch_load_b128 v[1:4], off, off offset:136
	scratch_load_b128 v[9:12], off, off offset:152
	s_wait_loadcnt_dscnt 0x100
	v_mul_f32_e32 v167, v5, v2
	v_dual_mul_f32 v2, v6, v2 :: v_dual_mul_f32 v169, v7, v4
	s_delay_alu instid0(VALU_DEP_2) | instskip(NEXT) | instid1(VALU_DEP_2)
	v_fmac_f32_e32 v167, v6, v1
	v_fma_f32 v168, v5, v1, -v2
	v_mul_f32_e32 v1, v8, v4
	s_delay_alu instid0(VALU_DEP_4) | instskip(NEXT) | instid1(VALU_DEP_2)
	v_fmac_f32_e32 v169, v8, v3
	v_fma_f32 v170, v7, v3, -v1
	ds_load_2addr_b64 v[1:4], v155 offset0:81 offset1:82
	ds_load_2addr_b64 v[5:8], v155 offset0:83 offset1:84
	s_wait_loadcnt_dscnt 0x1
	v_mul_f32_e32 v171, v1, v10
	v_mul_f32_e32 v173, v3, v12
	s_delay_alu instid0(VALU_DEP_2) | instskip(NEXT) | instid1(VALU_DEP_2)
	v_fmac_f32_e32 v171, v2, v9
	v_dual_mul_f32 v2, v2, v10 :: v_dual_fmac_f32 v173, v4, v11
	s_delay_alu instid0(VALU_DEP_1) | instskip(SKIP_1) | instid1(VALU_DEP_1)
	v_fma_f32 v172, v1, v9, -v2
	v_mul_f32_e32 v1, v4, v12
	v_fma_f32 v174, v3, v11, -v1
	s_clause 0x1
	scratch_load_b128 v[1:4], off, off offset:168
	scratch_load_b128 v[9:12], off, off offset:184
	s_wait_loadcnt_dscnt 0x100
	v_mul_f32_e32 v175, v5, v2
	v_dual_mul_f32 v2, v6, v2 :: v_dual_mul_f32 v177, v7, v4
	s_delay_alu instid0(VALU_DEP_2) | instskip(NEXT) | instid1(VALU_DEP_2)
	v_fmac_f32_e32 v175, v6, v1
	v_fma_f32 v176, v5, v1, -v2
	v_mul_f32_e32 v1, v8, v4
	s_delay_alu instid0(VALU_DEP_4) | instskip(NEXT) | instid1(VALU_DEP_2)
	v_fmac_f32_e32 v177, v8, v3
	v_fma_f32 v178, v7, v3, -v1
	ds_load_2addr_b64 v[1:4], v155 offset0:85 offset1:86
	ds_load_2addr_b64 v[5:8], v155 offset0:87 offset1:88
	s_wait_loadcnt_dscnt 0x1
	v_mul_f32_e32 v179, v1, v10
	v_mul_f32_e32 v181, v3, v12
	s_delay_alu instid0(VALU_DEP_2) | instskip(NEXT) | instid1(VALU_DEP_2)
	v_fmac_f32_e32 v179, v2, v9
	v_dual_mul_f32 v2, v2, v10 :: v_dual_fmac_f32 v181, v4, v11
	s_delay_alu instid0(VALU_DEP_1) | instskip(SKIP_1) | instid1(VALU_DEP_1)
	v_fma_f32 v180, v1, v9, -v2
	v_mul_f32_e32 v1, v4, v12
	;; [unrolled: 25-line block ×8, first 2 shown]
	v_fma_f32 v230, v3, v11, -v1
	s_clause 0x1
	scratch_load_b128 v[1:4], off, off offset:392
	scratch_load_b128 v[9:12], off, off offset:408
	s_wait_loadcnt_dscnt 0x100
	v_mul_f32_e32 v231, v5, v2
	v_dual_mul_f32 v2, v6, v2 :: v_dual_mul_f32 v233, v7, v4
	s_delay_alu instid0(VALU_DEP_2) | instskip(NEXT) | instid1(VALU_DEP_2)
	v_fmac_f32_e32 v231, v6, v1
	v_fma_f32 v232, v5, v1, -v2
	v_mul_f32_e32 v1, v8, v4
	v_add_f32_e32 v2, 0, v156
	s_delay_alu instid0(VALU_DEP_2) | instskip(NEXT) | instid1(VALU_DEP_2)
	v_fma_f32 v234, v7, v3, -v1
	v_dual_add_f32 v1, 0, v21 :: v_dual_add_f32 v2, v2, v160
	s_delay_alu instid0(VALU_DEP_1) | instskip(NEXT) | instid1(VALU_DEP_1)
	v_dual_add_f32 v1, v1, v22 :: v_dual_add_f32 v2, v2, v23
	v_dual_add_f32 v1, v1, v25 :: v_dual_add_f32 v2, v2, v24
	s_delay_alu instid0(VALU_DEP_1) | instskip(NEXT) | instid1(VALU_DEP_1)
	v_dual_add_f32 v1, v1, v26 :: v_dual_add_f32 v2, v2, v161
	;; [unrolled: 3-line block ×10, first 2 shown]
	v_dual_add_f32 v1, v1, v180 :: v_dual_add_f32 v2, v2, v181
	s_delay_alu instid0(VALU_DEP_1) | instskip(NEXT) | instid1(VALU_DEP_1)
	v_add_f32_e32 v1, v1, v182
	v_add_f32_e32 v1, v1, v184
	s_delay_alu instid0(VALU_DEP_1) | instskip(NEXT) | instid1(VALU_DEP_1)
	v_add_f32_e32 v1, v1, v186
	v_add_f32_e32 v1, v1, v188
	;; [unrolled: 3-line block ×7, first 2 shown]
	v_add_f32_e32 v2, v2, v183
	s_delay_alu instid0(VALU_DEP_2) | instskip(NEXT) | instid1(VALU_DEP_2)
	v_add_f32_e32 v14, v6, v210
	v_add_f32_e32 v2, v2, v185
	s_delay_alu instid0(VALU_DEP_2) | instskip(NEXT) | instid1(VALU_DEP_2)
	v_add_f32_e32 v14, v14, v212
	v_add_f32_e32 v2, v2, v187
	s_delay_alu instid0(VALU_DEP_2) | instskip(NEXT) | instid1(VALU_DEP_1)
	v_add_f32_e32 v17, v14, v214
	v_dual_add_f32 v2, v2, v189 :: v_dual_add_f32 v17, v17, v216
	s_delay_alu instid0(VALU_DEP_1) | instskip(NEXT) | instid1(VALU_DEP_1)
	v_dual_add_f32 v2, v2, v191 :: v_dual_add_f32 v17, v17, v218
	v_dual_add_f32 v2, v2, v193 :: v_dual_add_f32 v17, v17, v220
	s_delay_alu instid0(VALU_DEP_1) | instskip(NEXT) | instid1(VALU_DEP_2)
	v_add_f32_e32 v2, v2, v195
	v_add_f32_e32 v22, v17, v222
	s_delay_alu instid0(VALU_DEP_2) | instskip(NEXT) | instid1(VALU_DEP_2)
	v_add_f32_e32 v2, v2, v197
	v_add_f32_e32 v22, v22, v224
	s_delay_alu instid0(VALU_DEP_2) | instskip(NEXT) | instid1(VALU_DEP_2)
	v_add_f32_e32 v2, v2, v199
	v_add_f32_e32 v22, v22, v226
	s_delay_alu instid0(VALU_DEP_2) | instskip(NEXT) | instid1(VALU_DEP_1)
	v_add_f32_e32 v2, v2, v201
	v_add_f32_e32 v2, v2, v203
	s_delay_alu instid0(VALU_DEP_1) | instskip(NEXT) | instid1(VALU_DEP_1)
	v_add_f32_e32 v5, v2, v205
	v_add_f32_e32 v13, v5, v207
	s_delay_alu instid0(VALU_DEP_1) | instskip(NEXT) | instid1(VALU_DEP_1)
	v_add_f32_e32 v13, v13, v209
	v_add_f32_e32 v13, v13, v211
	s_delay_alu instid0(VALU_DEP_1)
	v_add_f32_e32 v18, v13, v213
	ds_load_2addr_b64 v[13:16], v155 offset0:115 offset1:116
	v_add_f32_e32 v18, v18, v215
	v_fmac_f32_e32 v233, v8, v3
	scratch_load_b128 v[5:8], off, off offset:424
	ds_load_2addr_b64 v[1:4], v155 offset0:113 offset1:114
	v_add_f32_e32 v18, v18, v217
	s_delay_alu instid0(VALU_DEP_1) | instskip(SKIP_2) | instid1(VALU_DEP_1)
	v_add_f32_e32 v21, v18, v219
	scratch_load_b128 v[17:20], off, off offset:472
	v_add_f32_e32 v21, v21, v221
	v_add_f32_e32 v21, v21, v223
	s_wait_loadcnt_dscnt 0x200
	v_mul_f32_e32 v25, v1, v10
	v_mul_f32_e32 v10, v2, v10
	;; [unrolled: 1-line block ×3, first 2 shown]
	s_delay_alu instid0(VALU_DEP_3) | instskip(NEXT) | instid1(VALU_DEP_3)
	v_dual_mul_f32 v12, v4, v12 :: v_dual_fmac_f32 v25, v2, v9
	v_fma_f32 v27, v1, v9, -v10
	s_delay_alu instid0(VALU_DEP_3) | instskip(NEXT) | instid1(VALU_DEP_3)
	v_fmac_f32_e32 v26, v4, v11
	v_fma_f32 v28, v3, v11, -v12
	s_clause 0x1
	scratch_load_b128 v[1:4], off, off offset:440
	scratch_load_b128 v[9:12], off, off offset:456
	s_wait_loadcnt 0x3
	v_mul_f32_e32 v29, v13, v6
	v_mul_f32_e32 v6, v14, v6
	;; [unrolled: 1-line block ×3, first 2 shown]
	s_delay_alu instid0(VALU_DEP_3) | instskip(NEXT) | instid1(VALU_DEP_3)
	v_dual_mul_f32 v8, v16, v8 :: v_dual_fmac_f32 v29, v14, v5
	v_fma_f32 v31, v13, v5, -v6
	v_add_f32_e32 v13, v21, v225
	s_delay_alu instid0(VALU_DEP_4) | instskip(NEXT) | instid1(VALU_DEP_4)
	v_dual_add_f32 v21, v22, v228 :: v_dual_fmac_f32 v30, v16, v7
	v_fma_f32 v32, v15, v7, -v8
	ds_load_2addr_b64 v[5:8], v155 offset0:117 offset1:118
	v_add_f32_e32 v22, v13, v227
	v_add_f32_e32 v156, v21, v230
	ds_load_2addr_b64 v[13:16], v155 offset0:119 offset1:120
	v_add_f32_e32 v160, v22, v229
	ds_load_2addr_b64 v[21:24], v155 offset0:121 offset1:122
	v_add_f32_e32 v155, v156, v232
	s_delay_alu instid0(VALU_DEP_1) | instskip(NEXT) | instid1(VALU_DEP_1)
	v_dual_add_f32 v156, v160, v231 :: v_dual_add_f32 v155, v155, v234
	v_dual_add_f32 v156, v156, v233 :: v_dual_add_f32 v27, v155, v27
	s_wait_loadcnt_dscnt 0x102
	s_delay_alu instid0(VALU_DEP_1) | instskip(NEXT) | instid1(VALU_DEP_2)
	v_dual_mul_f32 v160, v5, v2 :: v_dual_add_f32 v25, v156, v25
	v_dual_mul_f32 v2, v6, v2 :: v_dual_add_f32 v27, v27, v28
	v_mul_f32_e32 v155, v7, v4
	s_delay_alu instid0(VALU_DEP_3) | instskip(NEXT) | instid1(VALU_DEP_3)
	v_dual_mul_f32 v4, v8, v4 :: v_dual_add_f32 v25, v25, v26
	v_fma_f32 v2, v5, v1, -v2
	s_delay_alu instid0(VALU_DEP_4) | instskip(SKIP_3) | instid1(VALU_DEP_3)
	v_dual_add_f32 v27, v27, v31 :: v_dual_fmac_f32 v160, v6, v1
	s_wait_loadcnt_dscnt 0x1
	v_mul_f32_e32 v156, v13, v10
	v_dual_add_f32 v25, v25, v29 :: v_dual_mul_f32 v6, v14, v10
	v_add_f32_e32 v1, v27, v32
	v_fmac_f32_e32 v155, v8, v3
	v_fma_f32 v3, v7, v3, -v4
	s_delay_alu instid0(VALU_DEP_4) | instskip(SKIP_3) | instid1(VALU_DEP_4)
	v_add_f32_e32 v5, v25, v30
	v_mul_f32_e32 v161, v15, v12
	v_dual_add_f32 v1, v1, v2 :: v_dual_mul_f32 v4, v16, v12
	v_fmac_f32_e32 v156, v14, v9
	v_add_f32_e32 v2, v5, v160
	v_fma_f32 v5, v13, v9, -v6
	s_delay_alu instid0(VALU_DEP_4)
	v_add_f32_e32 v1, v1, v3
	s_wait_dscnt 0x0
	v_mul_f32_e32 v26, v21, v18
	v_mul_f32_e32 v3, v22, v18
	v_add_f32_e32 v2, v2, v155
	v_fmac_f32_e32 v161, v16, v11
	v_fma_f32 v4, v15, v11, -v4
	v_dual_add_f32 v1, v1, v5 :: v_dual_mul_f32 v28, v23, v20
	s_delay_alu instid0(VALU_DEP_4) | instskip(SKIP_2) | instid1(VALU_DEP_3)
	v_add_f32_e32 v2, v2, v156
	v_dual_mul_f32 v5, v24, v20 :: v_dual_fmac_f32 v26, v22, v17
	v_fma_f32 v3, v21, v17, -v3
	v_dual_add_f32 v1, v1, v4 :: v_dual_add_f32 v2, v2, v161
	v_fmac_f32_e32 v28, v24, v19
	s_delay_alu instid0(VALU_DEP_4) | instskip(NEXT) | instid1(VALU_DEP_3)
	v_fma_f32 v4, v23, v19, -v5
	v_dual_add_f32 v1, v1, v3 :: v_dual_add_f32 v2, v2, v26
	s_delay_alu instid0(VALU_DEP_1) | instskip(NEXT) | instid1(VALU_DEP_2)
	v_add_f32_e32 v1, v1, v4
	v_add_f32_e32 v2, v2, v28
	s_delay_alu instid0(VALU_DEP_1)
	v_dual_sub_f32 v1, v158, v1 :: v_dual_sub_f32 v2, v159, v2
	scratch_store_b64 off, v[1:2], off offset:16
	v_cmpx_lt_u32_e32 1, v0
	s_cbranch_execz .LBB124_377
; %bb.376:
	scratch_load_b64 v[1:2], off, off offset:8
	v_mov_b32_e32 v3, 0
	s_delay_alu instid0(VALU_DEP_1)
	v_mov_b32_e32 v4, v3
	scratch_store_b64 off, v[3:4], off offset:8
	s_wait_loadcnt 0x0
	ds_store_b64 v157, v[1:2]
.LBB124_377:
	s_wait_alu 0xfffe
	s_or_b32 exec_lo, exec_lo, s0
	s_wait_storecnt_dscnt 0x0
	s_barrier_signal -1
	s_barrier_wait -1
	global_inv scope:SCOPE_SE
	s_clause 0x4
	scratch_load_b128 v[5:8], off, off offset:16
	scratch_load_b128 v[1:4], off, off offset:32
	;; [unrolled: 1-line block ×5, first 2 shown]
	v_mov_b32_e32 v155, 0
	ds_load_b128 v[21:24], v155 offset:512
	ds_load_b128 v[25:28], v155 offset:528
	;; [unrolled: 1-line block ×3, first 2 shown]
	scratch_load_b64 v[158:159], off, off offset:8
	s_mov_b32 s0, exec_lo
	s_wait_loadcnt_dscnt 0x502
	v_mul_f32_e32 v156, v21, v6
	v_mul_f32_e32 v160, v23, v8
	;; [unrolled: 1-line block ×3, first 2 shown]
	s_wait_loadcnt_dscnt 0x300
	v_dual_mul_f32 v8, v24, v8 :: v_dual_mul_f32 v161, v29, v10
	v_fmac_f32_e32 v156, v22, v5
	v_mul_f32_e32 v162, v31, v12
	v_fma_f32 v21, v21, v5, -v6
	s_delay_alu instid0(VALU_DEP_4)
	v_fma_f32 v22, v23, v7, -v8
	v_dual_mul_f32 v23, v25, v2 :: v_dual_fmac_f32 v160, v24, v7
	ds_load_b128 v[5:8], v155 offset:560
	v_dual_mul_f32 v24, v27, v4 :: v_dual_fmac_f32 v161, v30, v9
	v_mul_f32_e32 v2, v26, v2
	v_mul_f32_e32 v4, v28, v4
	;; [unrolled: 1-line block ×3, first 2 shown]
	s_delay_alu instid0(VALU_DEP_4) | instskip(NEXT) | instid1(VALU_DEP_4)
	v_dual_fmac_f32 v23, v26, v1 :: v_dual_fmac_f32 v24, v28, v3
	v_fma_f32 v25, v25, v1, -v2
	s_delay_alu instid0(VALU_DEP_4) | instskip(SKIP_4) | instid1(VALU_DEP_3)
	v_fma_f32 v26, v27, v3, -v4
	scratch_load_b128 v[1:4], off, off offset:96
	v_mul_f32_e32 v12, v32, v12
	v_fmac_f32_e32 v162, v32, v11
	v_fma_f32 v27, v29, v9, -v10
	v_fma_f32 v28, v31, v11, -v12
	ds_load_b128 v[9:12], v155 offset:576
	s_wait_loadcnt_dscnt 0x301
	v_dual_mul_f32 v29, v5, v14 :: v_dual_mul_f32 v30, v7, v16
	v_mul_f32_e32 v14, v6, v14
	s_delay_alu instid0(VALU_DEP_2) | instskip(NEXT) | instid1(VALU_DEP_3)
	v_dual_mul_f32 v16, v8, v16 :: v_dual_fmac_f32 v29, v6, v13
	v_fmac_f32_e32 v30, v8, v15
	s_delay_alu instid0(VALU_DEP_3) | instskip(NEXT) | instid1(VALU_DEP_3)
	v_fma_f32 v13, v5, v13, -v14
	v_fma_f32 v14, v7, v15, -v16
	ds_load_b128 v[5:8], v155 offset:592
	s_wait_loadcnt_dscnt 0x201
	v_dual_mul_f32 v15, v9, v18 :: v_dual_mul_f32 v16, v11, v20
	v_mul_f32_e32 v18, v10, v18
	s_delay_alu instid0(VALU_DEP_2) | instskip(NEXT) | instid1(VALU_DEP_3)
	v_dual_mul_f32 v20, v12, v20 :: v_dual_fmac_f32 v15, v10, v17
	v_fmac_f32_e32 v16, v12, v19
	s_delay_alu instid0(VALU_DEP_3) | instskip(NEXT) | instid1(VALU_DEP_3)
	v_fma_f32 v17, v9, v17, -v18
	v_fma_f32 v18, v11, v19, -v20
	scratch_load_b128 v[9:12], off, off offset:112
	s_wait_loadcnt_dscnt 0x100
	v_dual_mul_f32 v19, v5, v2 :: v_dual_mul_f32 v20, v7, v4
	v_mul_f32_e32 v2, v6, v2
	s_delay_alu instid0(VALU_DEP_2) | instskip(NEXT) | instid1(VALU_DEP_3)
	v_dual_mul_f32 v4, v8, v4 :: v_dual_fmac_f32 v19, v6, v1
	v_fmac_f32_e32 v20, v8, v3
	s_delay_alu instid0(VALU_DEP_3) | instskip(NEXT) | instid1(VALU_DEP_3)
	v_fma_f32 v31, v5, v1, -v2
	v_fma_f32 v32, v7, v3, -v4
	ds_load_b128 v[1:4], v155 offset:608
	ds_load_b128 v[5:8], v155 offset:624
	s_wait_loadcnt_dscnt 0x1
	v_mul_f32_e32 v163, v1, v10
	v_mul_f32_e32 v10, v2, v10
	s_delay_alu instid0(VALU_DEP_2) | instskip(NEXT) | instid1(VALU_DEP_2)
	v_dual_mul_f32 v164, v3, v12 :: v_dual_fmac_f32 v163, v2, v9
	v_fma_f32 v165, v1, v9, -v10
	v_mul_f32_e32 v1, v4, v12
	s_delay_alu instid0(VALU_DEP_3) | instskip(NEXT) | instid1(VALU_DEP_2)
	v_fmac_f32_e32 v164, v4, v11
	v_fma_f32 v166, v3, v11, -v1
	s_clause 0x1
	scratch_load_b128 v[1:4], off, off offset:128
	scratch_load_b128 v[9:12], off, off offset:144
	s_wait_loadcnt_dscnt 0x100
	v_mul_f32_e32 v167, v5, v2
	v_dual_mul_f32 v2, v6, v2 :: v_dual_mul_f32 v169, v7, v4
	s_delay_alu instid0(VALU_DEP_2) | instskip(NEXT) | instid1(VALU_DEP_2)
	v_fmac_f32_e32 v167, v6, v1
	v_fma_f32 v168, v5, v1, -v2
	v_mul_f32_e32 v1, v8, v4
	s_delay_alu instid0(VALU_DEP_4) | instskip(NEXT) | instid1(VALU_DEP_2)
	v_fmac_f32_e32 v169, v8, v3
	v_fma_f32 v170, v7, v3, -v1
	ds_load_b128 v[1:4], v155 offset:640
	ds_load_b128 v[5:8], v155 offset:656
	s_wait_loadcnt_dscnt 0x1
	v_mul_f32_e32 v171, v1, v10
	v_mul_f32_e32 v173, v3, v12
	s_delay_alu instid0(VALU_DEP_2) | instskip(NEXT) | instid1(VALU_DEP_2)
	v_fmac_f32_e32 v171, v2, v9
	v_dual_mul_f32 v2, v2, v10 :: v_dual_fmac_f32 v173, v4, v11
	s_delay_alu instid0(VALU_DEP_1) | instskip(SKIP_1) | instid1(VALU_DEP_1)
	v_fma_f32 v172, v1, v9, -v2
	v_mul_f32_e32 v1, v4, v12
	v_fma_f32 v174, v3, v11, -v1
	s_clause 0x1
	scratch_load_b128 v[1:4], off, off offset:160
	scratch_load_b128 v[9:12], off, off offset:176
	s_wait_loadcnt_dscnt 0x100
	v_mul_f32_e32 v175, v5, v2
	v_dual_mul_f32 v2, v6, v2 :: v_dual_mul_f32 v177, v7, v4
	s_delay_alu instid0(VALU_DEP_2) | instskip(NEXT) | instid1(VALU_DEP_2)
	v_fmac_f32_e32 v175, v6, v1
	v_fma_f32 v176, v5, v1, -v2
	v_mul_f32_e32 v1, v8, v4
	s_delay_alu instid0(VALU_DEP_4) | instskip(NEXT) | instid1(VALU_DEP_2)
	v_fmac_f32_e32 v177, v8, v3
	v_fma_f32 v178, v7, v3, -v1
	ds_load_b128 v[1:4], v155 offset:672
	ds_load_b128 v[5:8], v155 offset:688
	s_wait_loadcnt_dscnt 0x1
	v_mul_f32_e32 v179, v1, v10
	v_mul_f32_e32 v181, v3, v12
	s_delay_alu instid0(VALU_DEP_2) | instskip(NEXT) | instid1(VALU_DEP_2)
	v_fmac_f32_e32 v179, v2, v9
	v_dual_mul_f32 v2, v2, v10 :: v_dual_fmac_f32 v181, v4, v11
	s_delay_alu instid0(VALU_DEP_1) | instskip(SKIP_1) | instid1(VALU_DEP_1)
	v_fma_f32 v180, v1, v9, -v2
	v_mul_f32_e32 v1, v4, v12
	;; [unrolled: 25-line block ×8, first 2 shown]
	v_fma_f32 v230, v3, v11, -v1
	s_clause 0x1
	scratch_load_b128 v[1:4], off, off offset:384
	scratch_load_b128 v[9:12], off, off offset:400
	s_wait_loadcnt_dscnt 0x100
	v_mul_f32_e32 v231, v5, v2
	v_dual_mul_f32 v2, v6, v2 :: v_dual_mul_f32 v233, v7, v4
	s_delay_alu instid0(VALU_DEP_2) | instskip(NEXT) | instid1(VALU_DEP_2)
	v_fmac_f32_e32 v231, v6, v1
	v_fma_f32 v232, v5, v1, -v2
	v_mul_f32_e32 v1, v8, v4
	v_add_f32_e32 v2, 0, v156
	s_delay_alu instid0(VALU_DEP_2) | instskip(NEXT) | instid1(VALU_DEP_2)
	v_fma_f32 v234, v7, v3, -v1
	v_dual_add_f32 v1, 0, v21 :: v_dual_add_f32 v2, v2, v160
	s_delay_alu instid0(VALU_DEP_1) | instskip(NEXT) | instid1(VALU_DEP_1)
	v_dual_add_f32 v1, v1, v22 :: v_dual_add_f32 v2, v2, v23
	v_dual_add_f32 v1, v1, v25 :: v_dual_add_f32 v2, v2, v24
	s_delay_alu instid0(VALU_DEP_1) | instskip(SKIP_2) | instid1(VALU_DEP_1)
	v_add_f32_e32 v1, v1, v26
	scratch_load_b64 v[25:26], off, off offset:480
	v_dual_add_f32 v2, v2, v161 :: v_dual_add_f32 v1, v1, v27
	v_dual_add_f32 v2, v2, v162 :: v_dual_add_f32 v1, v1, v28
	s_delay_alu instid0(VALU_DEP_1) | instskip(NEXT) | instid1(VALU_DEP_1)
	v_add_f32_e32 v2, v2, v29
	v_dual_add_f32 v1, v1, v13 :: v_dual_add_f32 v2, v2, v30
	s_delay_alu instid0(VALU_DEP_1) | instskip(NEXT) | instid1(VALU_DEP_1)
	v_dual_add_f32 v1, v1, v14 :: v_dual_add_f32 v2, v2, v15
	v_dual_add_f32 v1, v1, v17 :: v_dual_add_f32 v2, v2, v16
	s_delay_alu instid0(VALU_DEP_1) | instskip(NEXT) | instid1(VALU_DEP_1)
	v_dual_add_f32 v1, v1, v18 :: v_dual_add_f32 v2, v2, v19
	v_dual_add_f32 v1, v1, v31 :: v_dual_add_f32 v2, v2, v20
	s_delay_alu instid0(VALU_DEP_1) | instskip(NEXT) | instid1(VALU_DEP_1)
	v_dual_add_f32 v1, v1, v32 :: v_dual_add_f32 v2, v2, v163
	v_dual_add_f32 v1, v1, v165 :: v_dual_add_f32 v2, v2, v164
	s_delay_alu instid0(VALU_DEP_1) | instskip(NEXT) | instid1(VALU_DEP_1)
	v_dual_add_f32 v1, v1, v166 :: v_dual_add_f32 v2, v2, v167
	v_dual_add_f32 v1, v1, v168 :: v_dual_add_f32 v2, v2, v169
	s_delay_alu instid0(VALU_DEP_1) | instskip(NEXT) | instid1(VALU_DEP_1)
	v_dual_add_f32 v1, v1, v170 :: v_dual_add_f32 v2, v2, v171
	v_dual_add_f32 v1, v1, v172 :: v_dual_add_f32 v2, v2, v173
	s_delay_alu instid0(VALU_DEP_1) | instskip(NEXT) | instid1(VALU_DEP_1)
	v_dual_add_f32 v1, v1, v174 :: v_dual_add_f32 v2, v2, v175
	v_dual_add_f32 v1, v1, v176 :: v_dual_add_f32 v2, v2, v177
	s_delay_alu instid0(VALU_DEP_1) | instskip(NEXT) | instid1(VALU_DEP_1)
	v_dual_add_f32 v1, v1, v178 :: v_dual_add_f32 v2, v2, v179
	v_dual_add_f32 v1, v1, v180 :: v_dual_add_f32 v2, v2, v181
	s_delay_alu instid0(VALU_DEP_1) | instskip(NEXT) | instid1(VALU_DEP_1)
	v_add_f32_e32 v1, v1, v182
	v_add_f32_e32 v1, v1, v184
	s_delay_alu instid0(VALU_DEP_1) | instskip(NEXT) | instid1(VALU_DEP_1)
	v_add_f32_e32 v1, v1, v186
	v_add_f32_e32 v1, v1, v188
	;; [unrolled: 3-line block ×7, first 2 shown]
	v_add_f32_e32 v2, v2, v183
	s_delay_alu instid0(VALU_DEP_2) | instskip(NEXT) | instid1(VALU_DEP_2)
	v_add_f32_e32 v14, v6, v210
	v_dual_add_f32 v2, v2, v185 :: v_dual_fmac_f32 v233, v8, v3
	s_delay_alu instid0(VALU_DEP_2) | instskip(NEXT) | instid1(VALU_DEP_2)
	v_add_f32_e32 v14, v14, v212
	v_add_f32_e32 v2, v2, v187
	s_delay_alu instid0(VALU_DEP_2) | instskip(NEXT) | instid1(VALU_DEP_1)
	v_add_f32_e32 v17, v14, v214
	v_dual_add_f32 v2, v2, v189 :: v_dual_add_f32 v17, v17, v216
	s_delay_alu instid0(VALU_DEP_1) | instskip(NEXT) | instid1(VALU_DEP_1)
	v_dual_add_f32 v2, v2, v191 :: v_dual_add_f32 v17, v17, v218
	v_dual_add_f32 v2, v2, v193 :: v_dual_add_f32 v17, v17, v220
	s_delay_alu instid0(VALU_DEP_1) | instskip(NEXT) | instid1(VALU_DEP_2)
	v_add_f32_e32 v2, v2, v195
	v_add_f32_e32 v22, v17, v222
	s_delay_alu instid0(VALU_DEP_2) | instskip(NEXT) | instid1(VALU_DEP_2)
	v_add_f32_e32 v2, v2, v197
	v_add_f32_e32 v22, v22, v224
	s_delay_alu instid0(VALU_DEP_2) | instskip(NEXT) | instid1(VALU_DEP_2)
	;; [unrolled: 3-line block ×3, first 2 shown]
	v_add_f32_e32 v2, v2, v201
	v_add_f32_e32 v22, v22, v228
	s_delay_alu instid0(VALU_DEP_2) | instskip(NEXT) | instid1(VALU_DEP_1)
	v_add_f32_e32 v2, v2, v203
	v_add_f32_e32 v5, v2, v205
	scratch_load_b128 v[1:4], off, off offset:416
	v_add_f32_e32 v13, v5, v207
	ds_load_b128 v[5:8], v155 offset:896
	v_add_f32_e32 v13, v13, v209
	s_delay_alu instid0(VALU_DEP_1) | instskip(NEXT) | instid1(VALU_DEP_1)
	v_add_f32_e32 v13, v13, v211
	v_add_f32_e32 v18, v13, v213
	ds_load_b128 v[13:16], v155 offset:912
	s_wait_loadcnt_dscnt 0x201
	v_mul_f32_e32 v29, v5, v10
	v_mul_f32_e32 v10, v6, v10
	;; [unrolled: 1-line block ×3, first 2 shown]
	s_delay_alu instid0(VALU_DEP_3) | instskip(NEXT) | instid1(VALU_DEP_3)
	v_dual_mul_f32 v12, v8, v12 :: v_dual_fmac_f32 v29, v6, v9
	v_fma_f32 v31, v5, v9, -v10
	s_delay_alu instid0(VALU_DEP_3) | instskip(NEXT) | instid1(VALU_DEP_3)
	v_fmac_f32_e32 v30, v8, v11
	v_fma_f32 v32, v7, v11, -v12
	s_clause 0x1
	scratch_load_b128 v[9:12], off, off offset:448
	scratch_load_b128 v[5:8], off, off offset:432
	s_wait_loadcnt_dscnt 0x200
	v_mul_f32_e32 v160, v15, v4
	v_mul_f32_e32 v156, v13, v2
	;; [unrolled: 1-line block ×4, first 2 shown]
	s_delay_alu instid0(VALU_DEP_4)
	v_fmac_f32_e32 v160, v16, v3
	v_add_f32_e32 v18, v18, v215
	v_fmac_f32_e32 v156, v14, v1
	v_fma_f32 v161, v13, v1, -v2
	v_add_f32_e32 v14, v22, v230
	v_fma_f32 v162, v15, v3, -v4
	v_add_f32_e32 v18, v18, v217
	ds_load_b128 v[1:4], v155 offset:928
	v_add_f32_e32 v27, v14, v232
	v_add_f32_e32 v21, v18, v219
	scratch_load_b128 v[17:20], off, off offset:464
	v_add_f32_e32 v163, v27, v234
	v_add_f32_e32 v21, v21, v221
	s_delay_alu instid0(VALU_DEP_2) | instskip(NEXT) | instid1(VALU_DEP_2)
	v_add_f32_e32 v31, v163, v31
	v_add_f32_e32 v21, v21, v223
	s_delay_alu instid0(VALU_DEP_2) | instskip(NEXT) | instid1(VALU_DEP_2)
	;; [unrolled: 3-line block ×4, first 2 shown]
	v_add_f32_e32 v31, v31, v162
	v_add_f32_e32 v21, v13, v229
	ds_load_b128 v[13:16], v155 offset:944
	s_wait_loadcnt_dscnt 0x101
	v_mul_f32_e32 v163, v1, v6
	v_mul_f32_e32 v6, v2, v6
	s_delay_alu instid0(VALU_DEP_2) | instskip(NEXT) | instid1(VALU_DEP_2)
	v_fmac_f32_e32 v163, v2, v5
	v_fma_f32 v1, v1, v5, -v6
	s_wait_dscnt 0x0
	s_delay_alu instid0(VALU_DEP_1)
	v_dual_add_f32 v1, v31, v1 :: v_dual_mul_f32 v32, v13, v10
	v_add_f32_e32 v28, v21, v231
	ds_load_b128 v[21:24], v155 offset:960
	v_dual_mul_f32 v5, v16, v12 :: v_dual_fmac_f32 v32, v14, v9
	v_add_f32_e32 v164, v28, v233
	ds_load_b64 v[27:28], v155 offset:976
	v_fma_f32 v5, v15, v11, -v5
	v_add_f32_e32 v29, v164, v29
	s_delay_alu instid0(VALU_DEP_1) | instskip(SKIP_1) | instid1(VALU_DEP_2)
	v_dual_add_f32 v29, v29, v30 :: v_dual_mul_f32 v30, v3, v8
	v_mul_f32_e32 v8, v4, v8
	v_dual_add_f32 v29, v29, v156 :: v_dual_fmac_f32 v30, v4, v7
	s_delay_alu instid0(VALU_DEP_2) | instskip(SKIP_2) | instid1(VALU_DEP_3)
	v_fma_f32 v2, v3, v7, -v8
	v_dual_mul_f32 v3, v14, v10 :: v_dual_mul_f32 v156, v15, v12
	s_wait_dscnt 0x0
	v_dual_add_f32 v29, v29, v160 :: v_dual_mul_f32 v160, v27, v26
	s_delay_alu instid0(VALU_DEP_3) | instskip(NEXT) | instid1(VALU_DEP_3)
	v_add_f32_e32 v1, v1, v2
	v_fma_f32 v3, v13, v9, -v3
	v_fmac_f32_e32 v156, v16, v11
	s_delay_alu instid0(VALU_DEP_4) | instskip(NEXT) | instid1(VALU_DEP_3)
	v_add_f32_e32 v4, v29, v163
	v_dual_fmac_f32 v160, v28, v25 :: v_dual_add_f32 v1, v1, v3
	s_delay_alu instid0(VALU_DEP_1) | instskip(NEXT) | instid1(VALU_DEP_1)
	v_dual_add_f32 v2, v4, v30 :: v_dual_add_f32 v1, v1, v5
	v_dual_mul_f32 v5, v28, v26 :: v_dual_add_f32 v2, v2, v32
	s_wait_loadcnt 0x0
	s_delay_alu instid0(VALU_DEP_1) | instskip(SKIP_3) | instid1(VALU_DEP_4)
	v_dual_add_f32 v2, v2, v156 :: v_dual_mul_f32 v161, v21, v18
	v_mul_f32_e32 v4, v22, v18
	v_mul_f32_e32 v162, v23, v20
	;; [unrolled: 1-line block ×3, first 2 shown]
	v_fmac_f32_e32 v161, v22, v17
	s_delay_alu instid0(VALU_DEP_4) | instskip(NEXT) | instid1(VALU_DEP_4)
	v_fma_f32 v4, v21, v17, -v4
	v_fmac_f32_e32 v162, v24, v19
	s_delay_alu instid0(VALU_DEP_4) | instskip(NEXT) | instid1(VALU_DEP_3)
	v_fma_f32 v3, v23, v19, -v3
	v_dual_add_f32 v2, v2, v161 :: v_dual_add_f32 v1, v1, v4
	v_fma_f32 v4, v27, v25, -v5
	s_delay_alu instid0(VALU_DEP_2) | instskip(NEXT) | instid1(VALU_DEP_1)
	v_dual_add_f32 v2, v2, v162 :: v_dual_add_f32 v1, v1, v3
	v_add_f32_e32 v2, v2, v160
	s_delay_alu instid0(VALU_DEP_1) | instskip(NEXT) | instid1(VALU_DEP_1)
	v_dual_add_f32 v1, v1, v4 :: v_dual_sub_f32 v2, v159, v2
	v_sub_f32_e32 v1, v158, v1
	scratch_store_b64 off, v[1:2], off offset:8
	v_cmpx_ne_u32_e32 0, v0
	s_cbranch_execz .LBB124_379
; %bb.378:
	scratch_load_b64 v[0:1], off, off
	v_mov_b32_e32 v156, v155
	scratch_store_b64 off, v[155:156], off
	s_wait_loadcnt 0x0
	ds_store_b64 v157, v[0:1]
.LBB124_379:
	s_wait_alu 0xfffe
	s_or_b32 exec_lo, exec_lo, s0
	s_wait_storecnt_dscnt 0x0
	s_barrier_signal -1
	s_barrier_wait -1
	global_inv scope:SCOPE_SE
	s_clause 0x6
	scratch_load_b128 v[0:3], off, off offset:8
	scratch_load_b128 v[4:7], off, off offset:24
	;; [unrolled: 1-line block ×7, first 2 shown]
	ds_load_2addr_b64 v[28:31], v155 offset0:63 offset1:64
	ds_load_2addr_b64 v[156:159], v155 offset0:65 offset1:66
	scratch_load_b64 v[160:161], off, off
	s_and_b32 vcc_lo, exec_lo, s12
	s_wait_loadcnt_dscnt 0x701
	v_mul_f32_e32 v32, v28, v1
	v_dual_mul_f32 v162, v30, v3 :: v_dual_mul_f32 v1, v29, v1
	s_delay_alu instid0(VALU_DEP_2) | instskip(NEXT) | instid1(VALU_DEP_2)
	v_dual_mul_f32 v3, v31, v3 :: v_dual_fmac_f32 v32, v29, v0
	v_fmac_f32_e32 v162, v31, v2
	s_delay_alu instid0(VALU_DEP_3) | instskip(NEXT) | instid1(VALU_DEP_3)
	v_fma_f32 v28, v28, v0, -v1
	v_fma_f32 v29, v30, v2, -v3
	ds_load_2addr_b64 v[0:3], v155 offset0:67 offset1:68
	s_wait_loadcnt_dscnt 0x601
	v_dual_mul_f32 v30, v156, v5 :: v_dual_mul_f32 v31, v158, v7
	v_mul_f32_e32 v5, v157, v5
	s_delay_alu instid0(VALU_DEP_2) | instskip(NEXT) | instid1(VALU_DEP_3)
	v_dual_mul_f32 v7, v159, v7 :: v_dual_fmac_f32 v30, v157, v4
	v_fmac_f32_e32 v31, v159, v6
	s_delay_alu instid0(VALU_DEP_3) | instskip(NEXT) | instid1(VALU_DEP_3)
	v_fma_f32 v156, v156, v4, -v5
	v_fma_f32 v157, v158, v6, -v7
	ds_load_2addr_b64 v[4:7], v155 offset0:69 offset1:70
	s_wait_loadcnt_dscnt 0x501
	v_dual_mul_f32 v158, v0, v9 :: v_dual_mul_f32 v159, v2, v11
	v_mul_f32_e32 v9, v1, v9
	s_delay_alu instid0(VALU_DEP_2) | instskip(NEXT) | instid1(VALU_DEP_3)
	v_dual_mul_f32 v11, v3, v11 :: v_dual_fmac_f32 v158, v1, v8
	v_fmac_f32_e32 v159, v3, v10
	s_delay_alu instid0(VALU_DEP_2)
	v_fma_f32 v164, v2, v10, -v11
	s_wait_loadcnt_dscnt 0x400
	v_mul_f32_e32 v166, v6, v15
	v_fma_f32 v163, v0, v8, -v9
	ds_load_2addr_b64 v[0:3], v155 offset0:71 offset1:72
	v_mul_f32_e32 v165, v4, v13
	v_dual_mul_f32 v8, v5, v13 :: v_dual_mul_f32 v9, v7, v15
	s_delay_alu instid0(VALU_DEP_2) | instskip(NEXT) | instid1(VALU_DEP_2)
	v_dual_fmac_f32 v166, v7, v14 :: v_dual_fmac_f32 v165, v5, v12
	v_fma_f32 v12, v4, v12, -v8
	s_delay_alu instid0(VALU_DEP_3) | instskip(SKIP_4) | instid1(VALU_DEP_2)
	v_fma_f32 v13, v6, v14, -v9
	ds_load_2addr_b64 v[4:7], v155 offset0:73 offset1:74
	s_wait_loadcnt_dscnt 0x301
	v_dual_mul_f32 v14, v0, v17 :: v_dual_mul_f32 v15, v2, v19
	v_dual_mul_f32 v8, v1, v17 :: v_dual_mul_f32 v9, v3, v19
	v_dual_fmac_f32 v14, v1, v16 :: v_dual_fmac_f32 v15, v3, v18
	s_delay_alu instid0(VALU_DEP_2) | instskip(NEXT) | instid1(VALU_DEP_3)
	v_fma_f32 v16, v0, v16, -v8
	v_fma_f32 v17, v2, v18, -v9
	ds_load_2addr_b64 v[0:3], v155 offset0:75 offset1:76
	s_wait_loadcnt_dscnt 0x201
	v_dual_mul_f32 v18, v4, v21 :: v_dual_mul_f32 v19, v6, v23
	v_dual_mul_f32 v8, v5, v21 :: v_dual_mul_f32 v9, v7, v23
	s_delay_alu instid0(VALU_DEP_2) | instskip(NEXT) | instid1(VALU_DEP_2)
	v_dual_fmac_f32 v18, v5, v20 :: v_dual_fmac_f32 v19, v7, v22
	v_fma_f32 v20, v4, v20, -v8
	s_delay_alu instid0(VALU_DEP_3) | instskip(SKIP_4) | instid1(VALU_DEP_2)
	v_fma_f32 v21, v6, v22, -v9
	ds_load_2addr_b64 v[4:7], v155 offset0:77 offset1:78
	s_wait_loadcnt_dscnt 0x101
	v_mul_f32_e32 v22, v0, v25
	v_dual_mul_f32 v8, v1, v25 :: v_dual_mul_f32 v23, v2, v27
	v_dual_mul_f32 v9, v3, v27 :: v_dual_fmac_f32 v22, v1, v24
	s_delay_alu instid0(VALU_DEP_2) | instskip(NEXT) | instid1(VALU_DEP_3)
	v_fma_f32 v24, v0, v24, -v8
	v_fmac_f32_e32 v23, v3, v26
	s_delay_alu instid0(VALU_DEP_3)
	v_fma_f32 v25, v2, v26, -v9
	s_clause 0x1
	scratch_load_b128 v[0:3], off, off offset:120
	scratch_load_b128 v[8:11], off, off offset:136
	s_wait_loadcnt_dscnt 0x100
	v_mul_f32_e32 v26, v4, v1
	v_mul_f32_e32 v1, v5, v1
	s_delay_alu instid0(VALU_DEP_2) | instskip(NEXT) | instid1(VALU_DEP_2)
	v_dual_mul_f32 v167, v6, v3 :: v_dual_fmac_f32 v26, v5, v0
	v_fma_f32 v27, v4, v0, -v1
	v_mul_f32_e32 v0, v7, v3
	s_delay_alu instid0(VALU_DEP_3) | instskip(NEXT) | instid1(VALU_DEP_2)
	v_fmac_f32_e32 v167, v7, v2
	v_fma_f32 v168, v6, v2, -v0
	ds_load_2addr_b64 v[0:3], v155 offset0:79 offset1:80
	ds_load_2addr_b64 v[4:7], v155 offset0:81 offset1:82
	s_wait_loadcnt_dscnt 0x1
	v_mul_f32_e32 v169, v0, v9
	v_mul_f32_e32 v171, v2, v11
	s_delay_alu instid0(VALU_DEP_2) | instskip(SKIP_1) | instid1(VALU_DEP_3)
	v_fmac_f32_e32 v169, v1, v8
	v_mul_f32_e32 v1, v1, v9
	v_fmac_f32_e32 v171, v3, v10
	s_delay_alu instid0(VALU_DEP_2) | instskip(SKIP_1) | instid1(VALU_DEP_1)
	v_fma_f32 v170, v0, v8, -v1
	v_mul_f32_e32 v0, v3, v11
	v_fma_f32 v172, v2, v10, -v0
	s_clause 0x1
	scratch_load_b128 v[0:3], off, off offset:152
	scratch_load_b128 v[8:11], off, off offset:168
	s_wait_loadcnt_dscnt 0x100
	v_mul_f32_e32 v173, v4, v1
	v_mul_f32_e32 v1, v5, v1
	v_mul_f32_e32 v175, v6, v3
	s_delay_alu instid0(VALU_DEP_3) | instskip(NEXT) | instid1(VALU_DEP_3)
	v_fmac_f32_e32 v173, v5, v0
	v_fma_f32 v174, v4, v0, -v1
	v_mul_f32_e32 v0, v7, v3
	s_delay_alu instid0(VALU_DEP_4) | instskip(NEXT) | instid1(VALU_DEP_2)
	v_fmac_f32_e32 v175, v7, v2
	v_fma_f32 v176, v6, v2, -v0
	ds_load_2addr_b64 v[0:3], v155 offset0:83 offset1:84
	ds_load_2addr_b64 v[4:7], v155 offset0:85 offset1:86
	s_wait_loadcnt_dscnt 0x1
	v_mul_f32_e32 v177, v0, v9
	v_mul_f32_e32 v179, v2, v11
	s_delay_alu instid0(VALU_DEP_2) | instskip(SKIP_1) | instid1(VALU_DEP_3)
	v_fmac_f32_e32 v177, v1, v8
	v_mul_f32_e32 v1, v1, v9
	v_fmac_f32_e32 v179, v3, v10
	s_delay_alu instid0(VALU_DEP_2) | instskip(SKIP_1) | instid1(VALU_DEP_1)
	v_fma_f32 v178, v0, v8, -v1
	v_mul_f32_e32 v0, v3, v11
	v_fma_f32 v180, v2, v10, -v0
	s_clause 0x1
	scratch_load_b128 v[0:3], off, off offset:184
	scratch_load_b128 v[8:11], off, off offset:200
	s_wait_loadcnt_dscnt 0x100
	v_mul_f32_e32 v181, v4, v1
	v_mul_f32_e32 v1, v5, v1
	v_mul_f32_e32 v183, v6, v3
	s_delay_alu instid0(VALU_DEP_3) | instskip(NEXT) | instid1(VALU_DEP_3)
	v_fmac_f32_e32 v181, v5, v0
	v_fma_f32 v182, v4, v0, -v1
	v_mul_f32_e32 v0, v7, v3
	s_delay_alu instid0(VALU_DEP_4) | instskip(NEXT) | instid1(VALU_DEP_2)
	;; [unrolled: 27-line block ×6, first 2 shown]
	v_fmac_f32_e32 v215, v7, v2
	v_fma_f32 v216, v6, v2, -v0
	ds_load_2addr_b64 v[0:3], v155 offset0:103 offset1:104
	ds_load_2addr_b64 v[4:7], v155 offset0:105 offset1:106
	s_wait_loadcnt_dscnt 0x1
	v_mul_f32_e32 v217, v0, v9
	s_delay_alu instid0(VALU_DEP_1) | instskip(SKIP_2) | instid1(VALU_DEP_2)
	v_fmac_f32_e32 v217, v1, v8
	v_mul_f32_e32 v1, v1, v9
	v_mul_f32_e32 v219, v2, v11
	v_fma_f32 v218, v0, v8, -v1
	v_mul_f32_e32 v0, v3, v11
	s_delay_alu instid0(VALU_DEP_3) | instskip(NEXT) | instid1(VALU_DEP_2)
	v_fmac_f32_e32 v219, v3, v10
	v_fma_f32 v220, v2, v10, -v0
	s_clause 0x1
	scratch_load_b128 v[0:3], off, off offset:344
	scratch_load_b128 v[8:11], off, off offset:360
	s_wait_loadcnt_dscnt 0x100
	v_mul_f32_e32 v221, v4, v1
	v_mul_f32_e32 v1, v5, v1
	;; [unrolled: 1-line block ×3, first 2 shown]
	s_delay_alu instid0(VALU_DEP_2) | instskip(NEXT) | instid1(VALU_DEP_4)
	v_fma_f32 v222, v4, v0, -v1
	v_dual_fmac_f32 v221, v5, v0 :: v_dual_mul_f32 v0, v7, v3
	s_delay_alu instid0(VALU_DEP_3) | instskip(NEXT) | instid1(VALU_DEP_2)
	v_fmac_f32_e32 v223, v7, v2
	v_fma_f32 v224, v6, v2, -v0
	ds_load_2addr_b64 v[0:3], v155 offset0:107 offset1:108
	ds_load_2addr_b64 v[4:7], v155 offset0:109 offset1:110
	s_wait_loadcnt_dscnt 0x1
	v_mul_f32_e32 v225, v0, v9
	v_mul_f32_e32 v227, v2, v11
	s_delay_alu instid0(VALU_DEP_2) | instskip(SKIP_1) | instid1(VALU_DEP_3)
	v_fmac_f32_e32 v225, v1, v8
	v_mul_f32_e32 v1, v1, v9
	v_fmac_f32_e32 v227, v3, v10
	s_delay_alu instid0(VALU_DEP_2) | instskip(SKIP_1) | instid1(VALU_DEP_1)
	v_fma_f32 v226, v0, v8, -v1
	v_mul_f32_e32 v0, v3, v11
	v_fma_f32 v228, v2, v10, -v0
	s_clause 0x1
	scratch_load_b128 v[0:3], off, off offset:376
	scratch_load_b128 v[8:11], off, off offset:392
	s_wait_loadcnt_dscnt 0x100
	v_mul_f32_e32 v229, v4, v1
	v_mul_f32_e32 v1, v5, v1
	v_mul_f32_e32 v231, v6, v3
	s_delay_alu instid0(VALU_DEP_3) | instskip(NEXT) | instid1(VALU_DEP_3)
	v_fmac_f32_e32 v229, v5, v0
	v_fma_f32 v230, v4, v0, -v1
	v_dual_mul_f32 v0, v7, v3 :: v_dual_add_f32 v1, 0, v32
	s_delay_alu instid0(VALU_DEP_4) | instskip(NEXT) | instid1(VALU_DEP_2)
	v_fmac_f32_e32 v231, v7, v2
	v_fma_f32 v232, v6, v2, -v0
	s_delay_alu instid0(VALU_DEP_3) | instskip(NEXT) | instid1(VALU_DEP_1)
	v_dual_add_f32 v0, 0, v28 :: v_dual_add_f32 v1, v1, v162
	v_dual_add_f32 v0, v0, v29 :: v_dual_add_f32 v1, v1, v30
	s_delay_alu instid0(VALU_DEP_1) | instskip(NEXT) | instid1(VALU_DEP_1)
	v_dual_add_f32 v0, v0, v156 :: v_dual_add_f32 v1, v1, v31
	v_dual_add_f32 v0, v0, v157 :: v_dual_add_f32 v1, v1, v158
	s_delay_alu instid0(VALU_DEP_1) | instskip(NEXT) | instid1(VALU_DEP_1)
	v_add_f32_e32 v0, v0, v163
	v_dual_add_f32 v1, v1, v159 :: v_dual_add_f32 v0, v0, v164
	s_delay_alu instid0(VALU_DEP_1) | instskip(NEXT) | instid1(VALU_DEP_1)
	v_dual_add_f32 v1, v1, v165 :: v_dual_add_f32 v0, v0, v12
	v_dual_add_f32 v1, v1, v166 :: v_dual_add_f32 v0, v0, v13
	s_delay_alu instid0(VALU_DEP_1) | instskip(NEXT) | instid1(VALU_DEP_1)
	v_dual_add_f32 v1, v1, v14 :: v_dual_add_f32 v0, v0, v16
	;; [unrolled: 3-line block ×14, first 2 shown]
	v_dual_add_f32 v5, v1, v203 :: v_dual_add_f32 v4, v0, v204
	s_delay_alu instid0(VALU_DEP_1) | instskip(SKIP_4) | instid1(VALU_DEP_1)
	v_add_f32_e32 v13, v5, v205
	ds_load_2addr_b64 v[0:3], v155 offset0:111 offset1:112
	v_add_f32_e32 v12, v4, v206
	scratch_load_b128 v[4:7], off, off offset:408
	v_dual_add_f32 v13, v13, v207 :: v_dual_add_f32 v12, v12, v208
	v_add_f32_e32 v16, v13, v209
	s_delay_alu instid0(VALU_DEP_2) | instskip(NEXT) | instid1(VALU_DEP_2)
	v_add_f32_e32 v12, v12, v210
	v_add_f32_e32 v16, v16, v211
	s_delay_alu instid0(VALU_DEP_2)
	v_add_f32_e32 v17, v12, v212
	ds_load_2addr_b64 v[12:15], v155 offset0:113 offset1:114
	s_wait_loadcnt_dscnt 0x101
	v_mul_f32_e32 v32, v0, v9
	v_dual_mul_f32 v9, v1, v9 :: v_dual_mul_f32 v156, v2, v11
	v_add_f32_e32 v17, v17, v214
	s_delay_alu instid0(VALU_DEP_3) | instskip(NEXT) | instid1(VALU_DEP_3)
	v_dual_mul_f32 v11, v3, v11 :: v_dual_fmac_f32 v32, v1, v8
	v_fma_f32 v28, v0, v8, -v9
	s_delay_alu instid0(VALU_DEP_3) | instskip(NEXT) | instid1(VALU_DEP_3)
	v_dual_fmac_f32 v156, v3, v10 :: v_dual_add_f32 v17, v17, v216
	v_fma_f32 v157, v2, v10, -v11
	scratch_load_b128 v[0:3], off, off offset:424
	v_add_f32_e32 v16, v16, v213
	scratch_load_b128 v[8:11], off, off offset:440
	v_dual_add_f32 v17, v17, v218 :: v_dual_add_f32 v16, v16, v215
	s_delay_alu instid0(VALU_DEP_1) | instskip(NEXT) | instid1(VALU_DEP_2)
	v_add_f32_e32 v20, v17, v220
	v_add_f32_e32 v16, v16, v217
	s_delay_alu instid0(VALU_DEP_2) | instskip(NEXT) | instid1(VALU_DEP_1)
	v_add_f32_e32 v24, v20, v222
	v_add_f32_e32 v24, v24, v224
	s_delay_alu instid0(VALU_DEP_3)
	v_add_f32_e32 v21, v16, v219
	scratch_load_b128 v[16:19], off, off offset:456
	v_dual_add_f32 v24, v24, v226 :: v_dual_add_f32 v25, v21, v221
	scratch_load_b128 v[20:23], off, off offset:472
	s_wait_loadcnt_dscnt 0x400
	v_mul_f32_e32 v158, v12, v5
	v_mul_f32_e32 v5, v13, v5
	s_delay_alu instid0(VALU_DEP_2) | instskip(NEXT) | instid1(VALU_DEP_2)
	v_fmac_f32_e32 v158, v13, v4
	v_fma_f32 v162, v12, v4, -v5
	v_dual_add_f32 v12, v24, v228 :: v_dual_add_f32 v25, v25, v223
	s_delay_alu instid0(VALU_DEP_1) | instskip(NEXT) | instid1(VALU_DEP_1)
	v_add_f32_e32 v25, v25, v225
	v_dual_add_f32 v24, v25, v227 :: v_dual_add_f32 v25, v12, v230
	s_delay_alu instid0(VALU_DEP_1) | instskip(NEXT) | instid1(VALU_DEP_1)
	v_dual_add_f32 v24, v24, v229 :: v_dual_add_f32 v29, v25, v232
	v_add_f32_e32 v164, v24, v231
	ds_load_2addr_b64 v[24:27], v155 offset0:119 offset1:120
	v_add_f32_e32 v165, v29, v28
	ds_load_2addr_b64 v[28:31], v155 offset0:121 offset1:122
	v_mul_f32_e32 v159, v14, v7
	v_dual_mul_f32 v7, v15, v7 :: v_dual_add_f32 v32, v164, v32
	v_add_f32_e32 v157, v165, v157
	s_delay_alu instid0(VALU_DEP_3) | instskip(NEXT) | instid1(VALU_DEP_3)
	v_fmac_f32_e32 v159, v15, v6
	v_fma_f32 v163, v14, v6, -v7
	ds_load_2addr_b64 v[4:7], v155 offset0:115 offset1:116
	ds_load_2addr_b64 v[12:15], v155 offset0:117 offset1:118
	v_add_f32_e32 v32, v32, v156
	v_add_f32_e32 v156, v157, v162
	s_delay_alu instid0(VALU_DEP_2)
	v_add_f32_e32 v32, v32, v158
	s_wait_loadcnt_dscnt 0x301
	v_mul_f32_e32 v155, v4, v1
	v_dual_mul_f32 v1, v5, v1 :: v_dual_mul_f32 v164, v6, v3
	v_mul_f32_e32 v3, v7, v3
	s_wait_loadcnt_dscnt 0x200
	v_mul_f32_e32 v157, v12, v9
	v_fmac_f32_e32 v155, v5, v0
	v_fma_f32 v0, v4, v0, -v1
	v_add_f32_e32 v4, v156, v163
	v_dual_add_f32 v5, v32, v159 :: v_dual_fmac_f32 v164, v7, v2
	v_fma_f32 v1, v6, v2, -v3
	s_delay_alu instid0(VALU_DEP_3) | instskip(NEXT) | instid1(VALU_DEP_3)
	v_dual_mul_f32 v7, v13, v9 :: v_dual_add_f32 v0, v4, v0
	v_add_f32_e32 v4, v5, v155
	v_mul_f32_e32 v158, v14, v11
	v_mul_f32_e32 v5, v15, v11
	v_fmac_f32_e32 v157, v13, v8
	v_fma_f32 v7, v12, v8, -v7
	v_add_f32_e32 v0, v0, v1
	v_add_f32_e32 v1, v4, v164
	s_wait_loadcnt 0x1
	v_mul_f32_e32 v2, v24, v17
	v_mul_f32_e32 v4, v25, v17
	v_fmac_f32_e32 v158, v15, v10
	v_fma_f32 v5, v14, v10, -v5
	v_dual_add_f32 v0, v0, v7 :: v_dual_add_f32 v1, v1, v157
	v_mul_f32_e32 v3, v26, v19
	v_dual_mul_f32 v7, v27, v19 :: v_dual_fmac_f32 v2, v25, v16
	v_fma_f32 v4, v24, v16, -v4
	s_delay_alu instid0(VALU_DEP_4)
	v_dual_add_f32 v0, v0, v5 :: v_dual_add_f32 v1, v1, v158
	s_wait_loadcnt 0x0
	v_mul_f32_e32 v6, v28, v21
	v_mul_f32_e32 v5, v29, v21
	v_fmac_f32_e32 v3, v27, v18
	v_fma_f32 v7, v26, v18, -v7
	v_dual_add_f32 v0, v0, v4 :: v_dual_add_f32 v1, v1, v2
	v_mul_f32_e32 v9, v30, v23
	v_mul_f32_e32 v2, v31, v23
	v_fmac_f32_e32 v6, v29, v20
	v_fma_f32 v4, v28, v20, -v5
	v_add_f32_e32 v0, v0, v7
	v_add_f32_e32 v1, v1, v3
	v_fmac_f32_e32 v9, v31, v22
	v_fma_f32 v2, v30, v22, -v2
	s_delay_alu instid0(VALU_DEP_3) | instskip(NEXT) | instid1(VALU_DEP_1)
	v_dual_add_f32 v0, v0, v4 :: v_dual_add_f32 v1, v1, v6
	v_dual_add_f32 v0, v0, v2 :: v_dual_add_f32 v1, v1, v9
	s_delay_alu instid0(VALU_DEP_1)
	v_dual_sub_f32 v0, v160, v0 :: v_dual_sub_f32 v1, v161, v1
	scratch_store_b64 off, v[0:1], off
	s_wait_alu 0xfffe
	s_cbranch_vccz .LBB124_500
; %bb.380:
	v_mov_b32_e32 v0, 0
	global_load_b32 v1, v0, s[2:3] offset:236
	s_wait_loadcnt 0x0
	v_cmp_ne_u32_e32 vcc_lo, 60, v1
	s_cbranch_vccz .LBB124_382
; %bb.381:
	v_lshlrev_b32_e32 v1, 3, v1
	s_delay_alu instid0(VALU_DEP_1)
	v_mov_b32_e32 v5, v1
	scratch_load_b64 v[1:2], v5, off offset:-8
	scratch_load_b64 v[3:4], off, off offset:472
	s_wait_loadcnt 0x1
	scratch_store_b64 off, v[1:2], off offset:472
	s_wait_loadcnt 0x0
	scratch_store_b64 v5, v[3:4], off offset:-8
.LBB124_382:
	global_load_b32 v0, v0, s[2:3] offset:232
	s_wait_loadcnt 0x0
	v_cmp_eq_u32_e32 vcc_lo, 59, v0
	s_cbranch_vccnz .LBB124_384
; %bb.383:
	v_lshlrev_b32_e32 v0, 3, v0
	s_delay_alu instid0(VALU_DEP_1)
	v_mov_b32_e32 v4, v0
	scratch_load_b64 v[0:1], v4, off offset:-8
	scratch_load_b64 v[2:3], off, off offset:464
	s_wait_loadcnt 0x1
	scratch_store_b64 off, v[0:1], off offset:464
	s_wait_loadcnt 0x0
	scratch_store_b64 v4, v[2:3], off offset:-8
.LBB124_384:
	v_mov_b32_e32 v0, 0
	global_load_b32 v1, v0, s[2:3] offset:228
	s_wait_loadcnt 0x0
	v_cmp_eq_u32_e32 vcc_lo, 58, v1
	s_cbranch_vccnz .LBB124_386
; %bb.385:
	v_lshlrev_b32_e32 v1, 3, v1
	s_delay_alu instid0(VALU_DEP_1)
	v_mov_b32_e32 v5, v1
	scratch_load_b64 v[1:2], v5, off offset:-8
	scratch_load_b64 v[3:4], off, off offset:456
	s_wait_loadcnt 0x1
	scratch_store_b64 off, v[1:2], off offset:456
	s_wait_loadcnt 0x0
	scratch_store_b64 v5, v[3:4], off offset:-8
.LBB124_386:
	global_load_b32 v0, v0, s[2:3] offset:224
	s_wait_loadcnt 0x0
	v_cmp_eq_u32_e32 vcc_lo, 57, v0
	s_cbranch_vccnz .LBB124_388
; %bb.387:
	v_lshlrev_b32_e32 v0, 3, v0
	s_delay_alu instid0(VALU_DEP_1)
	v_mov_b32_e32 v4, v0
	scratch_load_b64 v[0:1], v4, off offset:-8
	scratch_load_b64 v[2:3], off, off offset:448
	s_wait_loadcnt 0x1
	scratch_store_b64 off, v[0:1], off offset:448
	s_wait_loadcnt 0x0
	scratch_store_b64 v4, v[2:3], off offset:-8
.LBB124_388:
	v_mov_b32_e32 v0, 0
	global_load_b32 v1, v0, s[2:3] offset:220
	s_wait_loadcnt 0x0
	v_cmp_eq_u32_e32 vcc_lo, 56, v1
	s_cbranch_vccnz .LBB124_390
; %bb.389:
	v_lshlrev_b32_e32 v1, 3, v1
	s_delay_alu instid0(VALU_DEP_1)
	v_mov_b32_e32 v5, v1
	scratch_load_b64 v[1:2], v5, off offset:-8
	scratch_load_b64 v[3:4], off, off offset:440
	s_wait_loadcnt 0x1
	scratch_store_b64 off, v[1:2], off offset:440
	s_wait_loadcnt 0x0
	scratch_store_b64 v5, v[3:4], off offset:-8
.LBB124_390:
	;; [unrolled: 31-line block ×29, first 2 shown]
	global_load_b32 v0, v0, s[2:3]
	s_wait_loadcnt 0x0
	v_cmp_eq_u32_e32 vcc_lo, 1, v0
	s_cbranch_vccnz .LBB124_500
; %bb.499:
	v_lshlrev_b32_e32 v0, 3, v0
	s_delay_alu instid0(VALU_DEP_1)
	v_mov_b32_e32 v4, v0
	scratch_load_b64 v[0:1], v4, off offset:-8
	scratch_load_b64 v[2:3], off, off
	s_wait_loadcnt 0x1
	scratch_store_b64 off, v[0:1], off
	s_wait_loadcnt 0x0
	scratch_store_b64 v4, v[2:3], off offset:-8
.LBB124_500:
	scratch_load_b64 v[0:1], off, off
	s_wait_loadcnt 0x0
	flat_store_b64 v[33:34], v[0:1]
	scratch_load_b64 v[0:1], off, off offset:8
	s_wait_loadcnt 0x0
	flat_store_b64 v[35:36], v[0:1]
	scratch_load_b64 v[0:1], off, off offset:16
	;; [unrolled: 3-line block ×60, first 2 shown]
	s_wait_loadcnt 0x0
	flat_store_b64 v[153:154], v[0:1]
	s_nop 0
	s_sendmsg sendmsg(MSG_DEALLOC_VGPRS)
	s_endpgm
	.section	.rodata,"a",@progbits
	.p2align	6, 0x0
	.amdhsa_kernel _ZN9rocsolver6v33100L18getri_kernel_smallILi61E19rocblas_complex_numIfEPKPS3_EEvT1_iilPiilS8_bb
		.amdhsa_group_segment_fixed_size 984
		.amdhsa_private_segment_fixed_size 496
		.amdhsa_kernarg_size 60
		.amdhsa_user_sgpr_count 2
		.amdhsa_user_sgpr_dispatch_ptr 0
		.amdhsa_user_sgpr_queue_ptr 0
		.amdhsa_user_sgpr_kernarg_segment_ptr 1
		.amdhsa_user_sgpr_dispatch_id 0
		.amdhsa_user_sgpr_private_segment_size 0
		.amdhsa_wavefront_size32 1
		.amdhsa_uses_dynamic_stack 0
		.amdhsa_enable_private_segment 1
		.amdhsa_system_sgpr_workgroup_id_x 1
		.amdhsa_system_sgpr_workgroup_id_y 0
		.amdhsa_system_sgpr_workgroup_id_z 0
		.amdhsa_system_sgpr_workgroup_info 0
		.amdhsa_system_vgpr_workitem_id 0
		.amdhsa_next_free_vgpr 252
		.amdhsa_next_free_sgpr 19
		.amdhsa_reserve_vcc 1
		.amdhsa_float_round_mode_32 0
		.amdhsa_float_round_mode_16_64 0
		.amdhsa_float_denorm_mode_32 3
		.amdhsa_float_denorm_mode_16_64 3
		.amdhsa_fp16_overflow 0
		.amdhsa_workgroup_processor_mode 1
		.amdhsa_memory_ordered 1
		.amdhsa_forward_progress 1
		.amdhsa_inst_pref_size 255
		.amdhsa_round_robin_scheduling 0
		.amdhsa_exception_fp_ieee_invalid_op 0
		.amdhsa_exception_fp_denorm_src 0
		.amdhsa_exception_fp_ieee_div_zero 0
		.amdhsa_exception_fp_ieee_overflow 0
		.amdhsa_exception_fp_ieee_underflow 0
		.amdhsa_exception_fp_ieee_inexact 0
		.amdhsa_exception_int_div_zero 0
	.end_amdhsa_kernel
	.section	.text._ZN9rocsolver6v33100L18getri_kernel_smallILi61E19rocblas_complex_numIfEPKPS3_EEvT1_iilPiilS8_bb,"axG",@progbits,_ZN9rocsolver6v33100L18getri_kernel_smallILi61E19rocblas_complex_numIfEPKPS3_EEvT1_iilPiilS8_bb,comdat
.Lfunc_end124:
	.size	_ZN9rocsolver6v33100L18getri_kernel_smallILi61E19rocblas_complex_numIfEPKPS3_EEvT1_iilPiilS8_bb, .Lfunc_end124-_ZN9rocsolver6v33100L18getri_kernel_smallILi61E19rocblas_complex_numIfEPKPS3_EEvT1_iilPiilS8_bb
                                        ; -- End function
	.set _ZN9rocsolver6v33100L18getri_kernel_smallILi61E19rocblas_complex_numIfEPKPS3_EEvT1_iilPiilS8_bb.num_vgpr, 252
	.set _ZN9rocsolver6v33100L18getri_kernel_smallILi61E19rocblas_complex_numIfEPKPS3_EEvT1_iilPiilS8_bb.num_agpr, 0
	.set _ZN9rocsolver6v33100L18getri_kernel_smallILi61E19rocblas_complex_numIfEPKPS3_EEvT1_iilPiilS8_bb.numbered_sgpr, 19
	.set _ZN9rocsolver6v33100L18getri_kernel_smallILi61E19rocblas_complex_numIfEPKPS3_EEvT1_iilPiilS8_bb.num_named_barrier, 0
	.set _ZN9rocsolver6v33100L18getri_kernel_smallILi61E19rocblas_complex_numIfEPKPS3_EEvT1_iilPiilS8_bb.private_seg_size, 496
	.set _ZN9rocsolver6v33100L18getri_kernel_smallILi61E19rocblas_complex_numIfEPKPS3_EEvT1_iilPiilS8_bb.uses_vcc, 1
	.set _ZN9rocsolver6v33100L18getri_kernel_smallILi61E19rocblas_complex_numIfEPKPS3_EEvT1_iilPiilS8_bb.uses_flat_scratch, 1
	.set _ZN9rocsolver6v33100L18getri_kernel_smallILi61E19rocblas_complex_numIfEPKPS3_EEvT1_iilPiilS8_bb.has_dyn_sized_stack, 0
	.set _ZN9rocsolver6v33100L18getri_kernel_smallILi61E19rocblas_complex_numIfEPKPS3_EEvT1_iilPiilS8_bb.has_recursion, 0
	.set _ZN9rocsolver6v33100L18getri_kernel_smallILi61E19rocblas_complex_numIfEPKPS3_EEvT1_iilPiilS8_bb.has_indirect_call, 0
	.section	.AMDGPU.csdata,"",@progbits
; Kernel info:
; codeLenInByte = 121192
; TotalNumSgprs: 21
; NumVgprs: 252
; ScratchSize: 496
; MemoryBound: 0
; FloatMode: 240
; IeeeMode: 1
; LDSByteSize: 984 bytes/workgroup (compile time only)
; SGPRBlocks: 0
; VGPRBlocks: 31
; NumSGPRsForWavesPerEU: 21
; NumVGPRsForWavesPerEU: 252
; Occupancy: 5
; WaveLimiterHint : 1
; COMPUTE_PGM_RSRC2:SCRATCH_EN: 1
; COMPUTE_PGM_RSRC2:USER_SGPR: 2
; COMPUTE_PGM_RSRC2:TRAP_HANDLER: 0
; COMPUTE_PGM_RSRC2:TGID_X_EN: 1
; COMPUTE_PGM_RSRC2:TGID_Y_EN: 0
; COMPUTE_PGM_RSRC2:TGID_Z_EN: 0
; COMPUTE_PGM_RSRC2:TIDIG_COMP_CNT: 0
	.section	.text._ZN9rocsolver6v33100L18getri_kernel_smallILi62E19rocblas_complex_numIfEPKPS3_EEvT1_iilPiilS8_bb,"axG",@progbits,_ZN9rocsolver6v33100L18getri_kernel_smallILi62E19rocblas_complex_numIfEPKPS3_EEvT1_iilPiilS8_bb,comdat
	.globl	_ZN9rocsolver6v33100L18getri_kernel_smallILi62E19rocblas_complex_numIfEPKPS3_EEvT1_iilPiilS8_bb ; -- Begin function _ZN9rocsolver6v33100L18getri_kernel_smallILi62E19rocblas_complex_numIfEPKPS3_EEvT1_iilPiilS8_bb
	.p2align	8
	.type	_ZN9rocsolver6v33100L18getri_kernel_smallILi62E19rocblas_complex_numIfEPKPS3_EEvT1_iilPiilS8_bb,@function
_ZN9rocsolver6v33100L18getri_kernel_smallILi62E19rocblas_complex_numIfEPKPS3_EEvT1_iilPiilS8_bb: ; @_ZN9rocsolver6v33100L18getri_kernel_smallILi62E19rocblas_complex_numIfEPKPS3_EEvT1_iilPiilS8_bb
; %bb.0:
	s_mov_b32 s2, exec_lo
	v_cmpx_gt_u32_e32 62, v0
	s_cbranch_execz .LBB125_262
; %bb.1:
	s_clause 0x1
	s_load_b32 s13, s[0:1], 0x38
	s_load_b64 s[2:3], s[0:1], 0x0
	s_mov_b32 s8, ttmp9
	s_load_b128 s[4:7], s[0:1], 0x28
	s_wait_kmcnt 0x0
	s_bitcmp1_b32 s13, 8
	s_cselect_b32 s12, -1, 0
	s_ashr_i32 s9, ttmp9, 31
	s_delay_alu instid0(SALU_CYCLE_1) | instskip(NEXT) | instid1(SALU_CYCLE_1)
	s_lshl_b64 s[10:11], s[8:9], 3
	s_add_nc_u64 s[2:3], s[2:3], s[10:11]
	s_load_b64 s[10:11], s[2:3], 0x0
	s_bfe_u32 s2, s13, 0x10008
	s_delay_alu instid0(SALU_CYCLE_1)
	s_cmp_eq_u32 s2, 0
                                        ; implicit-def: $sgpr2_sgpr3
	s_cbranch_scc1 .LBB125_3
; %bb.2:
	s_load_b96 s[16:18], s[0:1], 0x18
	s_mul_u64 s[2:3], s[4:5], s[8:9]
	s_delay_alu instid0(SALU_CYCLE_1)
	s_lshl_b64 s[2:3], s[2:3], 2
	s_wait_kmcnt 0x0
	s_ashr_i32 s5, s18, 31
	s_mov_b32 s4, s18
	s_add_nc_u64 s[2:3], s[16:17], s[2:3]
	s_lshl_b64 s[4:5], s[4:5], 2
	s_delay_alu instid0(SALU_CYCLE_1)
	s_add_nc_u64 s[2:3], s[2:3], s[4:5]
.LBB125_3:
	s_clause 0x1
	s_load_b64 s[4:5], s[0:1], 0x8
	s_load_b32 s13, s[0:1], 0x38
	v_lshlrev_b32_e32 v7, 3, v0
	s_wait_kmcnt 0x0
	s_ashr_i32 s1, s4, 31
	s_mov_b32 s0, s4
	v_add3_u32 v3, s5, s5, v0
	s_lshl_b64 s[0:1], s[0:1], 3
	s_delay_alu instid0(SALU_CYCLE_1)
	s_add_nc_u64 s[0:1], s[10:11], s[0:1]
	s_ashr_i32 s11, s5, 31
	v_add_co_u32 v33, s4, s0, v7
	s_wait_alu 0xf1ff
	v_add_co_ci_u32_e64 v34, null, s1, 0, s4
	s_mov_b32 s10, s5
	v_ashrrev_i32_e32 v4, 31, v3
	s_lshl_b64 s[10:11], s[10:11], 3
	flat_load_b64 v[1:2], v[33:34]
	v_add_co_u32 v35, vcc_lo, v33, s10
	s_delay_alu instid0(VALU_DEP_1) | instskip(SKIP_3) | instid1(VALU_DEP_2)
	v_add_co_ci_u32_e64 v36, null, s11, v34, vcc_lo
	v_lshlrev_b64_e32 v[4:5], 3, v[3:4]
	v_add_nc_u32_e32 v3, s5, v3
	s_bitcmp0_b32 s13, 0
	v_add_co_u32 v37, vcc_lo, s0, v4
	s_wait_alu 0xfffd
	s_delay_alu instid0(VALU_DEP_3) | instskip(SKIP_1) | instid1(VALU_DEP_1)
	v_add_co_ci_u32_e64 v38, null, s1, v5, vcc_lo
	v_ashrrev_i32_e32 v4, 31, v3
	v_lshlrev_b64_e32 v[4:5], 3, v[3:4]
	v_add_nc_u32_e32 v3, s5, v3
	s_delay_alu instid0(VALU_DEP_2) | instskip(SKIP_1) | instid1(VALU_DEP_3)
	v_add_co_u32 v39, vcc_lo, s0, v4
	s_wait_alu 0xfffd
	v_add_co_ci_u32_e64 v40, null, s1, v5, vcc_lo
	s_delay_alu instid0(VALU_DEP_3) | instskip(NEXT) | instid1(VALU_DEP_1)
	v_ashrrev_i32_e32 v4, 31, v3
	v_lshlrev_b64_e32 v[4:5], 3, v[3:4]
	v_add_nc_u32_e32 v3, s5, v3
	s_delay_alu instid0(VALU_DEP_2) | instskip(SKIP_1) | instid1(VALU_DEP_3)
	v_add_co_u32 v41, vcc_lo, s0, v4
	s_wait_alu 0xfffd
	v_add_co_ci_u32_e64 v42, null, s1, v5, vcc_lo
	s_delay_alu instid0(VALU_DEP_3) | instskip(NEXT) | instid1(VALU_DEP_1)
	;; [unrolled: 8-line block ×20, first 2 shown]
	v_ashrrev_i32_e32 v4, 31, v3
	v_lshlrev_b64_e32 v[4:5], 3, v[3:4]
	s_wait_loadcnt_dscnt 0x0
	scratch_store_b64 off, v[1:2], off
	flat_load_b64 v[1:2], v[35:36]
	v_add_nc_u32_e32 v3, s5, v3
	v_add_co_u32 v79, vcc_lo, s0, v4
	s_wait_alu 0xfffd
	v_add_co_ci_u32_e64 v80, null, s1, v5, vcc_lo
	s_delay_alu instid0(VALU_DEP_3) | instskip(NEXT) | instid1(VALU_DEP_1)
	v_ashrrev_i32_e32 v4, 31, v3
	v_lshlrev_b64_e32 v[4:5], 3, v[3:4]
	v_add_nc_u32_e32 v3, s5, v3
	s_delay_alu instid0(VALU_DEP_2) | instskip(SKIP_1) | instid1(VALU_DEP_3)
	v_add_co_u32 v81, vcc_lo, s0, v4
	s_wait_alu 0xfffd
	v_add_co_ci_u32_e64 v82, null, s1, v5, vcc_lo
	s_delay_alu instid0(VALU_DEP_3) | instskip(NEXT) | instid1(VALU_DEP_1)
	v_ashrrev_i32_e32 v4, 31, v3
	v_lshlrev_b64_e32 v[4:5], 3, v[3:4]
	v_add_nc_u32_e32 v3, s5, v3
	s_delay_alu instid0(VALU_DEP_2) | instskip(SKIP_1) | instid1(VALU_DEP_3)
	;; [unrolled: 8-line block ×20, first 2 shown]
	v_add_co_u32 v119, vcc_lo, s0, v4
	s_wait_alu 0xfffd
	v_add_co_ci_u32_e64 v120, null, s1, v5, vcc_lo
	s_delay_alu instid0(VALU_DEP_3) | instskip(NEXT) | instid1(VALU_DEP_1)
	v_ashrrev_i32_e32 v4, 31, v3
	v_lshlrev_b64_e32 v[4:5], 3, v[3:4]
	v_add_nc_u32_e32 v3, s5, v3
	s_delay_alu instid0(VALU_DEP_2)
	v_add_co_u32 v121, vcc_lo, s0, v4
	s_wait_loadcnt_dscnt 0x0
	scratch_store_b64 off, v[1:2], off offset:8
	flat_load_b64 v[1:2], v[37:38]
	s_wait_alu 0xfffd
	v_add_co_ci_u32_e64 v122, null, s1, v5, vcc_lo
	v_ashrrev_i32_e32 v4, 31, v3
	s_delay_alu instid0(VALU_DEP_1) | instskip(SKIP_1) | instid1(VALU_DEP_2)
	v_lshlrev_b64_e32 v[4:5], 3, v[3:4]
	v_add_nc_u32_e32 v3, s5, v3
	v_add_co_u32 v123, vcc_lo, s0, v4
	s_wait_alu 0xfffd
	s_delay_alu instid0(VALU_DEP_3) | instskip(NEXT) | instid1(VALU_DEP_3)
	v_add_co_ci_u32_e64 v124, null, s1, v5, vcc_lo
	v_ashrrev_i32_e32 v4, 31, v3
	s_delay_alu instid0(VALU_DEP_1) | instskip(SKIP_1) | instid1(VALU_DEP_2)
	v_lshlrev_b64_e32 v[4:5], 3, v[3:4]
	v_add_nc_u32_e32 v3, s5, v3
	v_add_co_u32 v125, vcc_lo, s0, v4
	s_wait_alu 0xfffd
	s_delay_alu instid0(VALU_DEP_3) | instskip(NEXT) | instid1(VALU_DEP_3)
	;; [unrolled: 8-line block ×16, first 2 shown]
	v_add_co_ci_u32_e64 v154, null, s1, v5, vcc_lo
	v_ashrrev_i32_e32 v4, 31, v3
	s_delay_alu instid0(VALU_DEP_1) | instskip(NEXT) | instid1(VALU_DEP_1)
	v_lshlrev_b64_e32 v[3:4], 3, v[3:4]
	v_add_co_u32 v155, vcc_lo, s0, v3
	s_wait_alu 0xfffd
	s_delay_alu instid0(VALU_DEP_2)
	v_add_co_ci_u32_e64 v156, null, s1, v4, vcc_lo
	s_mov_b32 s1, -1
	s_wait_loadcnt_dscnt 0x0
	scratch_store_b64 off, v[1:2], off offset:16
	flat_load_b64 v[1:2], v[39:40]
	s_wait_loadcnt_dscnt 0x0
	scratch_store_b64 off, v[1:2], off offset:24
	flat_load_b64 v[1:2], v[41:42]
	;; [unrolled: 3-line block ×59, first 2 shown]
	s_wait_loadcnt_dscnt 0x0
	scratch_store_b64 off, v[1:2], off offset:488
	s_cbranch_scc1 .LBB125_260
; %bb.4:
	v_cmp_eq_u32_e64 s0, 0, v0
	s_and_saveexec_b32 s1, s0
; %bb.5:
	v_mov_b32_e32 v1, 0
	ds_store_b32 v1, v1 offset:992
; %bb.6:
	s_wait_alu 0xfffe
	s_or_b32 exec_lo, exec_lo, s1
	s_wait_storecnt_dscnt 0x0
	s_barrier_signal -1
	s_barrier_wait -1
	global_inv scope:SCOPE_SE
	scratch_load_b64 v[1:2], v7, off
	s_wait_loadcnt 0x0
	v_cmp_eq_f32_e32 vcc_lo, 0, v1
	v_cmp_eq_f32_e64 s1, 0, v2
	s_and_b32 s1, vcc_lo, s1
	s_wait_alu 0xfffe
	s_and_saveexec_b32 s4, s1
	s_cbranch_execz .LBB125_10
; %bb.7:
	v_mov_b32_e32 v1, 0
	s_mov_b32 s5, 0
	ds_load_b32 v2, v1 offset:992
	s_wait_dscnt 0x0
	v_readfirstlane_b32 s1, v2
	v_add_nc_u32_e32 v2, 1, v0
	s_cmp_eq_u32 s1, 0
	s_delay_alu instid0(VALU_DEP_1)
	v_cmp_gt_i32_e32 vcc_lo, s1, v2
	s_cselect_b32 s10, -1, 0
	s_wait_alu 0xfffe
	s_or_b32 s10, s10, vcc_lo
	s_wait_alu 0xfffe
	s_and_b32 exec_lo, exec_lo, s10
	s_cbranch_execz .LBB125_10
; %bb.8:
	v_mov_b32_e32 v3, s1
.LBB125_9:                              ; =>This Inner Loop Header: Depth=1
	ds_cmpstore_rtn_b32 v3, v1, v2, v3 offset:992
	s_wait_dscnt 0x0
	v_cmp_ne_u32_e32 vcc_lo, 0, v3
	v_cmp_le_i32_e64 s1, v3, v2
	s_and_b32 s1, vcc_lo, s1
	s_wait_alu 0xfffe
	s_and_b32 s1, exec_lo, s1
	s_wait_alu 0xfffe
	s_or_b32 s5, s1, s5
	s_wait_alu 0xfffe
	s_and_not1_b32 exec_lo, exec_lo, s5
	s_cbranch_execnz .LBB125_9
.LBB125_10:
	s_wait_alu 0xfffe
	s_or_b32 exec_lo, exec_lo, s4
	v_mov_b32_e32 v1, 0
	s_barrier_signal -1
	s_barrier_wait -1
	global_inv scope:SCOPE_SE
	ds_load_b32 v2, v1 offset:992
	s_and_saveexec_b32 s1, s0
	s_cbranch_execz .LBB125_12
; %bb.11:
	s_lshl_b64 s[4:5], s[8:9], 2
	s_wait_alu 0xfffe
	s_add_nc_u64 s[4:5], s[6:7], s[4:5]
	s_wait_dscnt 0x0
	global_store_b32 v1, v2, s[4:5]
.LBB125_12:
	s_wait_alu 0xfffe
	s_or_b32 exec_lo, exec_lo, s1
	s_wait_dscnt 0x0
	v_cmp_ne_u32_e32 vcc_lo, 0, v2
	s_mov_b32 s1, 0
	s_cbranch_vccnz .LBB125_260
; %bb.13:
	v_mov_b32_e32 v8, v7
                                        ; implicit-def: $vgpr3
                                        ; implicit-def: $vgpr5
	scratch_load_b64 v[1:2], v8, off
	s_wait_loadcnt 0x0
	v_cmp_ngt_f32_e64 s1, |v1|, |v2|
	s_wait_alu 0xfffe
	s_and_saveexec_b32 s4, s1
	s_wait_alu 0xfffe
	s_xor_b32 s1, exec_lo, s4
	s_cbranch_execz .LBB125_15
; %bb.14:
	v_div_scale_f32 v3, null, v2, v2, v1
	v_div_scale_f32 v6, vcc_lo, v1, v2, v1
	s_delay_alu instid0(VALU_DEP_2) | instskip(NEXT) | instid1(TRANS32_DEP_1)
	v_rcp_f32_e32 v4, v3
	v_fma_f32 v5, -v3, v4, 1.0
	s_delay_alu instid0(VALU_DEP_1) | instskip(NEXT) | instid1(VALU_DEP_1)
	v_fmac_f32_e32 v4, v5, v4
	v_mul_f32_e32 v5, v6, v4
	s_delay_alu instid0(VALU_DEP_1) | instskip(NEXT) | instid1(VALU_DEP_1)
	v_fma_f32 v9, -v3, v5, v6
	v_fmac_f32_e32 v5, v9, v4
	s_delay_alu instid0(VALU_DEP_1) | instskip(SKIP_1) | instid1(VALU_DEP_1)
	v_fma_f32 v3, -v3, v5, v6
	s_wait_alu 0xfffd
	v_div_fmas_f32 v3, v3, v4, v5
	s_delay_alu instid0(VALU_DEP_1) | instskip(NEXT) | instid1(VALU_DEP_1)
	v_div_fixup_f32 v3, v3, v2, v1
	v_fmac_f32_e32 v2, v1, v3
	s_delay_alu instid0(VALU_DEP_1) | instskip(NEXT) | instid1(VALU_DEP_1)
	v_div_scale_f32 v1, null, v2, v2, 1.0
	v_rcp_f32_e32 v4, v1
	s_delay_alu instid0(TRANS32_DEP_1) | instskip(NEXT) | instid1(VALU_DEP_1)
	v_fma_f32 v5, -v1, v4, 1.0
	v_fmac_f32_e32 v4, v5, v4
	v_div_scale_f32 v5, vcc_lo, 1.0, v2, 1.0
	s_delay_alu instid0(VALU_DEP_1) | instskip(NEXT) | instid1(VALU_DEP_1)
	v_mul_f32_e32 v6, v5, v4
	v_fma_f32 v9, -v1, v6, v5
	s_delay_alu instid0(VALU_DEP_1) | instskip(NEXT) | instid1(VALU_DEP_1)
	v_fmac_f32_e32 v6, v9, v4
	v_fma_f32 v1, -v1, v6, v5
	s_wait_alu 0xfffd
	s_delay_alu instid0(VALU_DEP_1) | instskip(NEXT) | instid1(VALU_DEP_1)
	v_div_fmas_f32 v1, v1, v4, v6
	v_div_fixup_f32 v1, v1, v2, 1.0
	s_delay_alu instid0(VALU_DEP_1) | instskip(SKIP_1) | instid1(VALU_DEP_2)
	v_mul_f32_e32 v3, v3, v1
	v_xor_b32_e32 v4, 0x80000000, v1
                                        ; implicit-def: $vgpr1_vgpr2
	v_xor_b32_e32 v5, 0x80000000, v3
.LBB125_15:
	s_wait_alu 0xfffe
	s_and_not1_saveexec_b32 s1, s1
	s_cbranch_execz .LBB125_17
; %bb.16:
	v_div_scale_f32 v3, null, v1, v1, v2
	v_div_scale_f32 v6, vcc_lo, v2, v1, v2
	s_delay_alu instid0(VALU_DEP_2) | instskip(NEXT) | instid1(TRANS32_DEP_1)
	v_rcp_f32_e32 v4, v3
	v_fma_f32 v5, -v3, v4, 1.0
	s_delay_alu instid0(VALU_DEP_1) | instskip(NEXT) | instid1(VALU_DEP_1)
	v_fmac_f32_e32 v4, v5, v4
	v_mul_f32_e32 v5, v6, v4
	s_delay_alu instid0(VALU_DEP_1) | instskip(NEXT) | instid1(VALU_DEP_1)
	v_fma_f32 v9, -v3, v5, v6
	v_fmac_f32_e32 v5, v9, v4
	s_delay_alu instid0(VALU_DEP_1) | instskip(SKIP_1) | instid1(VALU_DEP_1)
	v_fma_f32 v3, -v3, v5, v6
	s_wait_alu 0xfffd
	v_div_fmas_f32 v3, v3, v4, v5
	s_delay_alu instid0(VALU_DEP_1) | instskip(NEXT) | instid1(VALU_DEP_1)
	v_div_fixup_f32 v4, v3, v1, v2
	v_fmac_f32_e32 v1, v2, v4
	s_delay_alu instid0(VALU_DEP_1) | instskip(SKIP_1) | instid1(VALU_DEP_2)
	v_div_scale_f32 v2, null, v1, v1, 1.0
	v_div_scale_f32 v6, vcc_lo, 1.0, v1, 1.0
	v_rcp_f32_e32 v3, v2
	s_delay_alu instid0(TRANS32_DEP_1) | instskip(NEXT) | instid1(VALU_DEP_1)
	v_fma_f32 v5, -v2, v3, 1.0
	v_fmac_f32_e32 v3, v5, v3
	s_delay_alu instid0(VALU_DEP_1) | instskip(NEXT) | instid1(VALU_DEP_1)
	v_mul_f32_e32 v5, v6, v3
	v_fma_f32 v9, -v2, v5, v6
	s_delay_alu instid0(VALU_DEP_1) | instskip(NEXT) | instid1(VALU_DEP_1)
	v_fmac_f32_e32 v5, v9, v3
	v_fma_f32 v2, -v2, v5, v6
	s_wait_alu 0xfffd
	s_delay_alu instid0(VALU_DEP_1) | instskip(NEXT) | instid1(VALU_DEP_1)
	v_div_fmas_f32 v2, v2, v3, v5
	v_div_fixup_f32 v3, v2, v1, 1.0
	s_delay_alu instid0(VALU_DEP_1)
	v_xor_b32_e32 v5, 0x80000000, v3
	v_mul_f32_e64 v4, v4, -v3
.LBB125_17:
	s_wait_alu 0xfffe
	s_or_b32 exec_lo, exec_lo, s1
	scratch_store_b64 v8, v[3:4], off
	scratch_load_b64 v[2:3], off, off offset:8
	v_xor_b32_e32 v6, 0x80000000, v4
	v_add_nc_u32_e32 v1, 0x1f0, v7
	s_wait_loadcnt 0x0
	ds_store_2addr_b64 v7, v[5:6], v[2:3] offset1:62
	s_wait_storecnt_dscnt 0x0
	s_barrier_signal -1
	s_barrier_wait -1
	global_inv scope:SCOPE_SE
	s_and_saveexec_b32 s1, s0
	s_cbranch_execz .LBB125_19
; %bb.18:
	scratch_load_b64 v[2:3], v8, off
	ds_load_b64 v[4:5], v1
	v_mov_b32_e32 v6, 0
	ds_load_b64 v[9:10], v6 offset:8
	s_wait_loadcnt_dscnt 0x1
	v_mul_f32_e32 v6, v4, v3
	v_mul_f32_e32 v3, v5, v3
	s_delay_alu instid0(VALU_DEP_2) | instskip(NEXT) | instid1(VALU_DEP_2)
	v_fmac_f32_e32 v6, v5, v2
	v_fma_f32 v2, v4, v2, -v3
	s_delay_alu instid0(VALU_DEP_2) | instskip(NEXT) | instid1(VALU_DEP_2)
	v_add_f32_e32 v4, 0, v6
	v_add_f32_e32 v2, 0, v2
	s_wait_dscnt 0x0
	s_delay_alu instid0(VALU_DEP_2) | instskip(NEXT) | instid1(VALU_DEP_2)
	v_mul_f32_e32 v5, v4, v10
	v_mul_f32_e32 v3, v2, v10
	s_delay_alu instid0(VALU_DEP_2) | instskip(NEXT) | instid1(VALU_DEP_2)
	v_fma_f32 v2, v2, v9, -v5
	v_fmac_f32_e32 v3, v4, v9
	scratch_store_b64 off, v[2:3], off offset:8
.LBB125_19:
	s_wait_alu 0xfffe
	s_or_b32 exec_lo, exec_lo, s1
	s_wait_loadcnt 0x0
	s_wait_storecnt 0x0
	s_barrier_signal -1
	s_barrier_wait -1
	global_inv scope:SCOPE_SE
	scratch_load_b64 v[2:3], off, off offset:16
	s_mov_b32 s1, exec_lo
	s_wait_loadcnt 0x0
	ds_store_b64 v1, v[2:3]
	s_wait_dscnt 0x0
	s_barrier_signal -1
	s_barrier_wait -1
	global_inv scope:SCOPE_SE
	v_cmpx_gt_u32_e32 2, v0
	s_cbranch_execz .LBB125_23
; %bb.20:
	scratch_load_b64 v[2:3], v8, off
	ds_load_b64 v[4:5], v1
	s_wait_loadcnt_dscnt 0x0
	v_mul_f32_e32 v6, v5, v3
	v_mul_f32_e32 v9, v4, v3
	s_delay_alu instid0(VALU_DEP_2) | instskip(NEXT) | instid1(VALU_DEP_2)
	v_fma_f32 v3, v4, v2, -v6
	v_fmac_f32_e32 v9, v5, v2
	s_delay_alu instid0(VALU_DEP_1)
	v_dual_add_f32 v3, 0, v3 :: v_dual_add_f32 v2, 0, v9
	s_and_saveexec_b32 s4, s0
	s_cbranch_execz .LBB125_22
; %bb.21:
	scratch_load_b64 v[4:5], off, off offset:8
	v_mov_b32_e32 v6, 0
	ds_load_b64 v[9:10], v6 offset:504
	s_wait_loadcnt_dscnt 0x0
	v_mul_f32_e32 v6, v9, v5
	v_mul_f32_e32 v5, v10, v5
	s_delay_alu instid0(VALU_DEP_2) | instskip(NEXT) | instid1(VALU_DEP_2)
	v_fmac_f32_e32 v6, v10, v4
	v_fma_f32 v4, v9, v4, -v5
	s_delay_alu instid0(VALU_DEP_1)
	v_dual_add_f32 v2, v2, v6 :: v_dual_add_f32 v3, v3, v4
.LBB125_22:
	s_wait_alu 0xfffe
	s_or_b32 exec_lo, exec_lo, s4
	v_mov_b32_e32 v4, 0
	ds_load_b64 v[4:5], v4 offset:16
	s_wait_dscnt 0x0
	v_mul_f32_e32 v9, v2, v5
	v_mul_f32_e32 v6, v3, v5
	s_delay_alu instid0(VALU_DEP_2) | instskip(NEXT) | instid1(VALU_DEP_2)
	v_fma_f32 v5, v3, v4, -v9
	v_fmac_f32_e32 v6, v2, v4
	scratch_store_b64 off, v[5:6], off offset:16
.LBB125_23:
	s_wait_alu 0xfffe
	s_or_b32 exec_lo, exec_lo, s1
	s_wait_loadcnt 0x0
	s_wait_storecnt 0x0
	s_barrier_signal -1
	s_barrier_wait -1
	global_inv scope:SCOPE_SE
	scratch_load_b64 v[3:4], off, off offset:24
	v_add_nc_u32_e32 v2, -1, v0
	s_mov_b32 s0, exec_lo
	s_wait_loadcnt 0x0
	ds_store_b64 v1, v[3:4]
	s_wait_dscnt 0x0
	s_barrier_signal -1
	s_barrier_wait -1
	global_inv scope:SCOPE_SE
	v_cmpx_gt_u32_e32 3, v0
	s_cbranch_execz .LBB125_27
; %bb.24:
	v_dual_mov_b32 v3, 0 :: v_dual_add_nc_u32 v4, -1, v0
	v_dual_mov_b32 v6, v7 :: v_dual_add_nc_u32 v5, 0x1f0, v7
	v_mov_b32_e32 v9, 0
	s_mov_b32 s1, 0
.LBB125_25:                             ; =>This Inner Loop Header: Depth=1
	scratch_load_b64 v[10:11], v6, off
	ds_load_b64 v[12:13], v5
	v_add_nc_u32_e32 v4, 1, v4
	v_add_nc_u32_e32 v5, 8, v5
	s_delay_alu instid0(VALU_DEP_2)
	v_cmp_lt_u32_e32 vcc_lo, 1, v4
	s_wait_alu 0xfffe
	s_or_b32 s1, vcc_lo, s1
	s_wait_loadcnt_dscnt 0x0
	v_mul_f32_e32 v14, v13, v11
	v_mul_f32_e32 v11, v12, v11
	s_delay_alu instid0(VALU_DEP_2) | instskip(NEXT) | instid1(VALU_DEP_2)
	v_fma_f32 v12, v12, v10, -v14
	v_fmac_f32_e32 v11, v13, v10
	s_delay_alu instid0(VALU_DEP_2) | instskip(NEXT) | instid1(VALU_DEP_2)
	v_dual_add_f32 v9, v9, v12 :: v_dual_add_nc_u32 v6, 8, v6
	v_add_f32_e32 v3, v3, v11
	s_wait_alu 0xfffe
	s_and_not1_b32 exec_lo, exec_lo, s1
	s_cbranch_execnz .LBB125_25
; %bb.26:
	s_or_b32 exec_lo, exec_lo, s1
	v_mov_b32_e32 v4, 0
	ds_load_b64 v[4:5], v4 offset:24
	s_wait_dscnt 0x0
	v_mul_f32_e32 v10, v3, v5
	v_mul_f32_e32 v6, v9, v5
	s_delay_alu instid0(VALU_DEP_2) | instskip(NEXT) | instid1(VALU_DEP_2)
	v_fma_f32 v5, v9, v4, -v10
	v_fmac_f32_e32 v6, v3, v4
	scratch_store_b64 off, v[5:6], off offset:24
.LBB125_27:
	s_wait_alu 0xfffe
	s_or_b32 exec_lo, exec_lo, s0
	s_wait_loadcnt 0x0
	s_wait_storecnt 0x0
	s_barrier_signal -1
	s_barrier_wait -1
	global_inv scope:SCOPE_SE
	scratch_load_b64 v[3:4], off, off offset:32
	s_mov_b32 s0, exec_lo
	s_wait_loadcnt 0x0
	ds_store_b64 v1, v[3:4]
	s_wait_dscnt 0x0
	s_barrier_signal -1
	s_barrier_wait -1
	global_inv scope:SCOPE_SE
	v_cmpx_gt_u32_e32 4, v0
	s_cbranch_execz .LBB125_31
; %bb.28:
	v_dual_mov_b32 v3, 0 :: v_dual_add_nc_u32 v4, -1, v0
	v_dual_mov_b32 v6, v7 :: v_dual_add_nc_u32 v5, 0x1f0, v7
	v_mov_b32_e32 v9, 0
	s_mov_b32 s1, 0
.LBB125_29:                             ; =>This Inner Loop Header: Depth=1
	scratch_load_b64 v[10:11], v6, off
	ds_load_b64 v[12:13], v5
	v_add_nc_u32_e32 v4, 1, v4
	v_add_nc_u32_e32 v5, 8, v5
	s_delay_alu instid0(VALU_DEP_2)
	v_cmp_lt_u32_e32 vcc_lo, 2, v4
	s_wait_alu 0xfffe
	s_or_b32 s1, vcc_lo, s1
	s_wait_loadcnt_dscnt 0x0
	v_mul_f32_e32 v14, v13, v11
	v_mul_f32_e32 v11, v12, v11
	s_delay_alu instid0(VALU_DEP_2) | instskip(NEXT) | instid1(VALU_DEP_2)
	v_fma_f32 v12, v12, v10, -v14
	v_fmac_f32_e32 v11, v13, v10
	s_delay_alu instid0(VALU_DEP_2) | instskip(NEXT) | instid1(VALU_DEP_2)
	v_dual_add_f32 v9, v9, v12 :: v_dual_add_nc_u32 v6, 8, v6
	v_add_f32_e32 v3, v3, v11
	s_wait_alu 0xfffe
	s_and_not1_b32 exec_lo, exec_lo, s1
	s_cbranch_execnz .LBB125_29
; %bb.30:
	s_or_b32 exec_lo, exec_lo, s1
	v_mov_b32_e32 v4, 0
	ds_load_b64 v[4:5], v4 offset:32
	s_wait_dscnt 0x0
	v_mul_f32_e32 v10, v3, v5
	v_mul_f32_e32 v6, v9, v5
	s_delay_alu instid0(VALU_DEP_2) | instskip(NEXT) | instid1(VALU_DEP_2)
	v_fma_f32 v5, v9, v4, -v10
	v_fmac_f32_e32 v6, v3, v4
	scratch_store_b64 off, v[5:6], off offset:32
.LBB125_31:
	s_wait_alu 0xfffe
	s_or_b32 exec_lo, exec_lo, s0
	s_wait_loadcnt 0x0
	s_wait_storecnt 0x0
	s_barrier_signal -1
	s_barrier_wait -1
	global_inv scope:SCOPE_SE
	scratch_load_b64 v[3:4], off, off offset:40
	;; [unrolled: 55-line block ×19, first 2 shown]
	s_mov_b32 s0, exec_lo
	s_wait_loadcnt 0x0
	ds_store_b64 v1, v[3:4]
	s_wait_dscnt 0x0
	s_barrier_signal -1
	s_barrier_wait -1
	global_inv scope:SCOPE_SE
	v_cmpx_gt_u32_e32 22, v0
	s_cbranch_execz .LBB125_103
; %bb.100:
	v_dual_mov_b32 v3, 0 :: v_dual_add_nc_u32 v4, -1, v0
	v_dual_mov_b32 v6, v7 :: v_dual_add_nc_u32 v5, 0x1f0, v7
	v_mov_b32_e32 v9, 0
	s_mov_b32 s1, 0
.LBB125_101:                            ; =>This Inner Loop Header: Depth=1
	scratch_load_b64 v[10:11], v6, off
	ds_load_b64 v[12:13], v5
	v_add_nc_u32_e32 v4, 1, v4
	v_add_nc_u32_e32 v5, 8, v5
	s_delay_alu instid0(VALU_DEP_2)
	v_cmp_lt_u32_e32 vcc_lo, 20, v4
	s_wait_alu 0xfffe
	s_or_b32 s1, vcc_lo, s1
	s_wait_loadcnt_dscnt 0x0
	v_mul_f32_e32 v14, v13, v11
	v_mul_f32_e32 v11, v12, v11
	s_delay_alu instid0(VALU_DEP_2) | instskip(NEXT) | instid1(VALU_DEP_2)
	v_fma_f32 v12, v12, v10, -v14
	v_fmac_f32_e32 v11, v13, v10
	s_delay_alu instid0(VALU_DEP_2) | instskip(NEXT) | instid1(VALU_DEP_2)
	v_dual_add_f32 v9, v9, v12 :: v_dual_add_nc_u32 v6, 8, v6
	v_add_f32_e32 v3, v3, v11
	s_wait_alu 0xfffe
	s_and_not1_b32 exec_lo, exec_lo, s1
	s_cbranch_execnz .LBB125_101
; %bb.102:
	s_or_b32 exec_lo, exec_lo, s1
	v_mov_b32_e32 v4, 0
	ds_load_b64 v[4:5], v4 offset:176
	s_wait_dscnt 0x0
	v_mul_f32_e32 v10, v3, v5
	v_mul_f32_e32 v6, v9, v5
	s_delay_alu instid0(VALU_DEP_2) | instskip(NEXT) | instid1(VALU_DEP_2)
	v_fma_f32 v5, v9, v4, -v10
	v_fmac_f32_e32 v6, v3, v4
	scratch_store_b64 off, v[5:6], off offset:176
.LBB125_103:
	s_wait_alu 0xfffe
	s_or_b32 exec_lo, exec_lo, s0
	s_wait_loadcnt 0x0
	s_wait_storecnt 0x0
	s_barrier_signal -1
	s_barrier_wait -1
	global_inv scope:SCOPE_SE
	scratch_load_b64 v[3:4], off, off offset:184
	s_mov_b32 s0, exec_lo
	s_wait_loadcnt 0x0
	ds_store_b64 v1, v[3:4]
	s_wait_dscnt 0x0
	s_barrier_signal -1
	s_barrier_wait -1
	global_inv scope:SCOPE_SE
	v_cmpx_gt_u32_e32 23, v0
	s_cbranch_execz .LBB125_107
; %bb.104:
	v_dual_mov_b32 v3, 0 :: v_dual_add_nc_u32 v4, -1, v0
	v_dual_mov_b32 v6, v7 :: v_dual_add_nc_u32 v5, 0x1f0, v7
	v_mov_b32_e32 v9, 0
	s_mov_b32 s1, 0
.LBB125_105:                            ; =>This Inner Loop Header: Depth=1
	scratch_load_b64 v[10:11], v6, off
	ds_load_b64 v[12:13], v5
	v_add_nc_u32_e32 v4, 1, v4
	v_add_nc_u32_e32 v5, 8, v5
	s_delay_alu instid0(VALU_DEP_2)
	v_cmp_lt_u32_e32 vcc_lo, 21, v4
	s_wait_alu 0xfffe
	s_or_b32 s1, vcc_lo, s1
	s_wait_loadcnt_dscnt 0x0
	v_mul_f32_e32 v14, v13, v11
	v_mul_f32_e32 v11, v12, v11
	s_delay_alu instid0(VALU_DEP_2) | instskip(NEXT) | instid1(VALU_DEP_2)
	v_fma_f32 v12, v12, v10, -v14
	v_fmac_f32_e32 v11, v13, v10
	s_delay_alu instid0(VALU_DEP_2) | instskip(NEXT) | instid1(VALU_DEP_2)
	v_dual_add_f32 v9, v9, v12 :: v_dual_add_nc_u32 v6, 8, v6
	v_add_f32_e32 v3, v3, v11
	s_wait_alu 0xfffe
	s_and_not1_b32 exec_lo, exec_lo, s1
	s_cbranch_execnz .LBB125_105
; %bb.106:
	s_or_b32 exec_lo, exec_lo, s1
	v_mov_b32_e32 v4, 0
	ds_load_b64 v[4:5], v4 offset:184
	s_wait_dscnt 0x0
	v_mul_f32_e32 v10, v3, v5
	v_mul_f32_e32 v6, v9, v5
	s_delay_alu instid0(VALU_DEP_2) | instskip(NEXT) | instid1(VALU_DEP_2)
	v_fma_f32 v5, v9, v4, -v10
	v_fmac_f32_e32 v6, v3, v4
	scratch_store_b64 off, v[5:6], off offset:184
.LBB125_107:
	s_wait_alu 0xfffe
	s_or_b32 exec_lo, exec_lo, s0
	s_wait_loadcnt 0x0
	s_wait_storecnt 0x0
	s_barrier_signal -1
	s_barrier_wait -1
	global_inv scope:SCOPE_SE
	scratch_load_b64 v[3:4], off, off offset:192
	;; [unrolled: 55-line block ×38, first 2 shown]
	s_mov_b32 s0, exec_lo
	s_wait_loadcnt 0x0
	ds_store_b64 v1, v[3:4]
	s_wait_dscnt 0x0
	s_barrier_signal -1
	s_barrier_wait -1
	global_inv scope:SCOPE_SE
	v_cmpx_gt_u32_e32 60, v0
	s_cbranch_execz .LBB125_255
; %bb.252:
	v_dual_mov_b32 v3, 0 :: v_dual_add_nc_u32 v4, -1, v0
	v_dual_mov_b32 v6, v7 :: v_dual_add_nc_u32 v5, 0x1f0, v7
	v_mov_b32_e32 v7, 0
	s_mov_b32 s1, 0
.LBB125_253:                            ; =>This Inner Loop Header: Depth=1
	scratch_load_b64 v[9:10], v6, off
	ds_load_b64 v[11:12], v5
	v_add_nc_u32_e32 v6, 8, v6
	v_add_nc_u32_e32 v4, 1, v4
	;; [unrolled: 1-line block ×3, first 2 shown]
	s_delay_alu instid0(VALU_DEP_2)
	v_cmp_lt_u32_e32 vcc_lo, 58, v4
	s_wait_alu 0xfffe
	s_or_b32 s1, vcc_lo, s1
	s_wait_loadcnt_dscnt 0x0
	v_mul_f32_e32 v13, v12, v10
	v_mul_f32_e32 v10, v11, v10
	s_delay_alu instid0(VALU_DEP_2) | instskip(NEXT) | instid1(VALU_DEP_1)
	v_fma_f32 v11, v11, v9, -v13
	v_dual_fmac_f32 v10, v12, v9 :: v_dual_add_f32 v7, v7, v11
	s_delay_alu instid0(VALU_DEP_1)
	v_add_f32_e32 v3, v3, v10
	s_wait_alu 0xfffe
	s_and_not1_b32 exec_lo, exec_lo, s1
	s_cbranch_execnz .LBB125_253
; %bb.254:
	s_or_b32 exec_lo, exec_lo, s1
	v_mov_b32_e32 v4, 0
	ds_load_b64 v[4:5], v4 offset:480
	s_wait_dscnt 0x0
	v_mul_f32_e32 v9, v3, v5
	v_mul_f32_e32 v6, v7, v5
	s_delay_alu instid0(VALU_DEP_2) | instskip(NEXT) | instid1(VALU_DEP_2)
	v_fma_f32 v5, v7, v4, -v9
	v_fmac_f32_e32 v6, v3, v4
	scratch_store_b64 off, v[5:6], off offset:480
.LBB125_255:
	s_wait_alu 0xfffe
	s_or_b32 exec_lo, exec_lo, s0
	s_wait_loadcnt 0x0
	s_wait_storecnt 0x0
	s_barrier_signal -1
	s_barrier_wait -1
	global_inv scope:SCOPE_SE
	scratch_load_b64 v[3:4], off, off offset:488
	s_mov_b32 s0, exec_lo
	s_wait_loadcnt 0x0
	ds_store_b64 v1, v[3:4]
	s_wait_dscnt 0x0
	s_barrier_signal -1
	s_barrier_wait -1
	global_inv scope:SCOPE_SE
	v_cmpx_ne_u32_e32 61, v0
	s_cbranch_execz .LBB125_259
; %bb.256:
	v_dual_mov_b32 v3, 0 :: v_dual_mov_b32 v4, 0
	s_mov_b32 s1, 0
.LBB125_257:                            ; =>This Inner Loop Header: Depth=1
	scratch_load_b64 v[5:6], v8, off
	ds_load_b64 v[9:10], v1
	v_add_nc_u32_e32 v2, 1, v2
	v_add_nc_u32_e32 v1, 8, v1
	;; [unrolled: 1-line block ×3, first 2 shown]
	s_delay_alu instid0(VALU_DEP_3)
	v_cmp_lt_u32_e32 vcc_lo, 59, v2
	s_wait_alu 0xfffe
	s_or_b32 s1, vcc_lo, s1
	s_wait_loadcnt_dscnt 0x0
	v_mul_f32_e32 v7, v10, v6
	v_mul_f32_e32 v6, v9, v6
	s_delay_alu instid0(VALU_DEP_2) | instskip(NEXT) | instid1(VALU_DEP_2)
	v_fma_f32 v7, v9, v5, -v7
	v_fmac_f32_e32 v6, v10, v5
	s_delay_alu instid0(VALU_DEP_1)
	v_dual_add_f32 v4, v4, v7 :: v_dual_add_f32 v3, v3, v6
	s_wait_alu 0xfffe
	s_and_not1_b32 exec_lo, exec_lo, s1
	s_cbranch_execnz .LBB125_257
; %bb.258:
	s_or_b32 exec_lo, exec_lo, s1
	v_mov_b32_e32 v1, 0
	ds_load_b64 v[1:2], v1 offset:488
	s_wait_dscnt 0x0
	v_mul_f32_e32 v6, v3, v2
	v_mul_f32_e32 v5, v4, v2
	s_delay_alu instid0(VALU_DEP_2) | instskip(NEXT) | instid1(VALU_DEP_2)
	v_fma_f32 v4, v4, v1, -v6
	v_fmac_f32_e32 v5, v3, v1
	scratch_store_b64 off, v[4:5], off offset:488
.LBB125_259:
	s_wait_alu 0xfffe
	s_or_b32 exec_lo, exec_lo, s0
	s_mov_b32 s1, -1
	s_wait_loadcnt 0x0
	s_wait_storecnt 0x0
	s_barrier_signal -1
	s_barrier_wait -1
	global_inv scope:SCOPE_SE
.LBB125_260:
	s_wait_alu 0xfffe
	s_and_b32 vcc_lo, exec_lo, s1
	s_wait_alu 0xfffe
	s_cbranch_vccz .LBB125_262
; %bb.261:
	v_mov_b32_e32 v1, 0
	s_lshl_b64 s[0:1], s[8:9], 2
	s_wait_alu 0xfffe
	s_add_nc_u64 s[0:1], s[6:7], s[0:1]
	global_load_b32 v1, v1, s[0:1]
	s_wait_loadcnt 0x0
	v_cmp_ne_u32_e32 vcc_lo, 0, v1
	s_cbranch_vccz .LBB125_263
.LBB125_262:
	s_nop 0
	s_sendmsg sendmsg(MSG_DEALLOC_VGPRS)
	s_endpgm
.LBB125_263:
	v_lshl_add_u32 v159, v0, 3, 0x1f0
	s_mov_b32 s0, exec_lo
	v_cmpx_eq_u32_e32 61, v0
	s_cbranch_execz .LBB125_265
; %bb.264:
	scratch_load_b64 v[1:2], off, off offset:480
	v_mov_b32_e32 v3, 0
	s_delay_alu instid0(VALU_DEP_1)
	v_mov_b32_e32 v4, v3
	scratch_store_b64 off, v[3:4], off offset:480
	s_wait_loadcnt 0x0
	ds_store_b64 v159, v[1:2]
.LBB125_265:
	s_wait_alu 0xfffe
	s_or_b32 exec_lo, exec_lo, s0
	s_wait_storecnt_dscnt 0x0
	s_barrier_signal -1
	s_barrier_wait -1
	global_inv scope:SCOPE_SE
	s_clause 0x1
	scratch_load_b64 v[2:3], off, off offset:488
	scratch_load_b64 v[4:5], off, off offset:480
	v_mov_b32_e32 v1, 0
	s_mov_b32 s0, exec_lo
	ds_load_b64 v[6:7], v1 offset:984
	s_wait_loadcnt_dscnt 0x100
	v_mul_f32_e32 v8, v7, v3
	v_mul_f32_e32 v3, v6, v3
	s_delay_alu instid0(VALU_DEP_2) | instskip(NEXT) | instid1(VALU_DEP_2)
	v_fma_f32 v6, v6, v2, -v8
	v_fmac_f32_e32 v3, v7, v2
	s_delay_alu instid0(VALU_DEP_1) | instskip(SKIP_1) | instid1(VALU_DEP_1)
	v_dual_add_f32 v2, 0, v6 :: v_dual_add_f32 v3, 0, v3
	s_wait_loadcnt 0x0
	v_dual_sub_f32 v2, v4, v2 :: v_dual_sub_f32 v3, v5, v3
	scratch_store_b64 off, v[2:3], off offset:480
	v_cmpx_lt_u32_e32 59, v0
	s_cbranch_execz .LBB125_267
; %bb.266:
	scratch_load_b64 v[3:4], off, off offset:472
	v_mov_b32_e32 v2, v1
	scratch_store_b64 off, v[1:2], off offset:472
	s_wait_loadcnt 0x0
	ds_store_b64 v159, v[3:4]
.LBB125_267:
	s_wait_alu 0xfffe
	s_or_b32 exec_lo, exec_lo, s0
	s_wait_storecnt_dscnt 0x0
	s_barrier_signal -1
	s_barrier_wait -1
	global_inv scope:SCOPE_SE
	s_clause 0x1
	scratch_load_b128 v[2:5], off, off offset:480
	scratch_load_b64 v[10:11], off, off offset:472
	ds_load_b128 v[6:9], v1 offset:976
	s_mov_b32 s0, exec_lo
	s_wait_loadcnt_dscnt 0x100
	v_dual_mul_f32 v1, v7, v3 :: v_dual_mul_f32 v12, v8, v5
	v_mul_f32_e32 v3, v6, v3
	s_delay_alu instid0(VALU_DEP_2) | instskip(NEXT) | instid1(VALU_DEP_2)
	v_fma_f32 v1, v6, v2, -v1
	v_dual_fmac_f32 v12, v9, v4 :: v_dual_fmac_f32 v3, v7, v2
	s_delay_alu instid0(VALU_DEP_2) | instskip(NEXT) | instid1(VALU_DEP_2)
	v_add_f32_e32 v1, 0, v1
	v_add_f32_e32 v3, 0, v3
	v_mul_f32_e32 v5, v9, v5
	s_delay_alu instid0(VALU_DEP_1) | instskip(NEXT) | instid1(VALU_DEP_1)
	v_fma_f32 v2, v8, v4, -v5
	v_dual_add_f32 v1, v1, v2 :: v_dual_add_f32 v2, v3, v12
	s_wait_loadcnt 0x0
	s_delay_alu instid0(VALU_DEP_1)
	v_dual_sub_f32 v1, v10, v1 :: v_dual_sub_f32 v2, v11, v2
	scratch_store_b64 off, v[1:2], off offset:472
	v_cmpx_lt_u32_e32 58, v0
	s_cbranch_execz .LBB125_269
; %bb.268:
	scratch_load_b64 v[1:2], off, off offset:464
	v_mov_b32_e32 v3, 0
	s_delay_alu instid0(VALU_DEP_1)
	v_mov_b32_e32 v4, v3
	scratch_store_b64 off, v[3:4], off offset:464
	s_wait_loadcnt 0x0
	ds_store_b64 v159, v[1:2]
.LBB125_269:
	s_wait_alu 0xfffe
	s_or_b32 exec_lo, exec_lo, s0
	s_wait_storecnt_dscnt 0x0
	s_barrier_signal -1
	s_barrier_wait -1
	global_inv scope:SCOPE_SE
	s_clause 0x2
	scratch_load_b128 v[2:5], off, off offset:472
	scratch_load_b64 v[10:11], off, off offset:488
	scratch_load_b64 v[12:13], off, off offset:464
	v_mov_b32_e32 v1, 0
	ds_load_2addr_b64 v[6:9], v1 offset0:121 offset1:122
	ds_load_b64 v[14:15], v1 offset:984
	s_mov_b32 s0, exec_lo
	s_wait_loadcnt_dscnt 0x201
	v_dual_mul_f32 v16, v7, v3 :: v_dual_mul_f32 v17, v8, v5
	s_wait_loadcnt_dscnt 0x100
	v_mul_f32_e32 v18, v14, v11
	v_mul_f32_e32 v3, v6, v3
	;; [unrolled: 1-line block ×3, first 2 shown]
	v_fma_f32 v6, v6, v2, -v16
	s_delay_alu instid0(VALU_DEP_4) | instskip(NEXT) | instid1(VALU_DEP_4)
	v_fmac_f32_e32 v18, v15, v10
	v_fmac_f32_e32 v3, v7, v2
	v_mul_f32_e32 v2, v15, v11
	s_delay_alu instid0(VALU_DEP_1) | instskip(SKIP_3) | instid1(VALU_DEP_1)
	v_fma_f32 v2, v14, v10, -v2
	v_fmac_f32_e32 v17, v9, v4
	v_fma_f32 v4, v8, v4, -v5
	v_add_f32_e32 v5, 0, v6
	v_add_f32_e32 v4, v5, v4
	s_delay_alu instid0(VALU_DEP_1) | instskip(SKIP_1) | instid1(VALU_DEP_1)
	v_dual_add_f32 v2, v4, v2 :: v_dual_add_f32 v3, 0, v3
	s_wait_loadcnt 0x0
	v_dual_sub_f32 v2, v12, v2 :: v_dual_add_f32 v3, v3, v17
	s_delay_alu instid0(VALU_DEP_1) | instskip(NEXT) | instid1(VALU_DEP_1)
	v_add_f32_e32 v3, v3, v18
	v_sub_f32_e32 v3, v13, v3
	scratch_store_b64 off, v[2:3], off offset:464
	v_cmpx_lt_u32_e32 57, v0
	s_cbranch_execz .LBB125_271
; %bb.270:
	scratch_load_b64 v[3:4], off, off offset:456
	v_mov_b32_e32 v2, v1
	scratch_store_b64 off, v[1:2], off offset:456
	s_wait_loadcnt 0x0
	ds_store_b64 v159, v[3:4]
.LBB125_271:
	s_wait_alu 0xfffe
	s_or_b32 exec_lo, exec_lo, s0
	s_wait_storecnt_dscnt 0x0
	s_barrier_signal -1
	s_barrier_wait -1
	global_inv scope:SCOPE_SE
	s_clause 0x2
	scratch_load_b128 v[2:5], off, off offset:464
	scratch_load_b128 v[6:9], off, off offset:480
	scratch_load_b64 v[18:19], off, off offset:456
	ds_load_b128 v[10:13], v1 offset:960
	ds_load_b128 v[14:17], v1 offset:976
	s_mov_b32 s0, exec_lo
	s_wait_loadcnt_dscnt 0x201
	v_dual_mul_f32 v1, v10, v3 :: v_dual_mul_f32 v20, v12, v5
	s_wait_loadcnt_dscnt 0x100
	v_dual_mul_f32 v3, v11, v3 :: v_dual_mul_f32 v22, v16, v9
	v_mul_f32_e32 v5, v13, v5
	s_delay_alu instid0(VALU_DEP_3) | instskip(NEXT) | instid1(VALU_DEP_3)
	v_dual_mul_f32 v21, v14, v7 :: v_dual_fmac_f32 v20, v13, v4
	v_fma_f32 v3, v10, v2, -v3
	s_delay_alu instid0(VALU_DEP_4) | instskip(SKIP_2) | instid1(VALU_DEP_4)
	v_dual_fmac_f32 v1, v11, v2 :: v_dual_fmac_f32 v22, v17, v8
	v_mul_f32_e32 v2, v15, v7
	v_fma_f32 v4, v12, v4, -v5
	v_add_f32_e32 v3, 0, v3
	v_fmac_f32_e32 v21, v15, v6
	s_delay_alu instid0(VALU_DEP_4) | instskip(NEXT) | instid1(VALU_DEP_3)
	v_fma_f32 v2, v14, v6, -v2
	v_add_f32_e32 v3, v3, v4
	s_delay_alu instid0(VALU_DEP_1) | instskip(NEXT) | instid1(VALU_DEP_1)
	v_dual_add_f32 v1, 0, v1 :: v_dual_add_f32 v2, v3, v2
	v_add_f32_e32 v1, v1, v20
	s_delay_alu instid0(VALU_DEP_1) | instskip(NEXT) | instid1(VALU_DEP_1)
	v_add_f32_e32 v1, v1, v21
	v_add_f32_e32 v3, v1, v22
	v_mul_f32_e32 v5, v17, v9
	s_delay_alu instid0(VALU_DEP_1) | instskip(NEXT) | instid1(VALU_DEP_1)
	v_fma_f32 v4, v16, v8, -v5
	v_add_f32_e32 v2, v2, v4
	s_wait_loadcnt 0x0
	s_delay_alu instid0(VALU_DEP_1)
	v_dual_sub_f32 v1, v18, v2 :: v_dual_sub_f32 v2, v19, v3
	scratch_store_b64 off, v[1:2], off offset:456
	v_cmpx_lt_u32_e32 56, v0
	s_cbranch_execz .LBB125_273
; %bb.272:
	scratch_load_b64 v[1:2], off, off offset:448
	v_mov_b32_e32 v3, 0
	s_delay_alu instid0(VALU_DEP_1)
	v_mov_b32_e32 v4, v3
	scratch_store_b64 off, v[3:4], off offset:448
	s_wait_loadcnt 0x0
	ds_store_b64 v159, v[1:2]
.LBB125_273:
	s_wait_alu 0xfffe
	s_or_b32 exec_lo, exec_lo, s0
	s_wait_storecnt_dscnt 0x0
	s_barrier_signal -1
	s_barrier_wait -1
	global_inv scope:SCOPE_SE
	s_clause 0x3
	scratch_load_b128 v[2:5], off, off offset:456
	scratch_load_b128 v[6:9], off, off offset:472
	scratch_load_b64 v[18:19], off, off offset:488
	scratch_load_b64 v[20:21], off, off offset:448
	v_mov_b32_e32 v1, 0
	ds_load_2addr_b64 v[10:13], v1 offset0:119 offset1:120
	ds_load_2addr_b64 v[14:17], v1 offset0:121 offset1:122
	ds_load_b64 v[22:23], v1 offset:984
	s_mov_b32 s0, exec_lo
	s_wait_loadcnt_dscnt 0x302
	v_dual_mul_f32 v24, v10, v3 :: v_dual_mul_f32 v25, v12, v5
	s_wait_loadcnt_dscnt 0x201
	v_dual_mul_f32 v26, v14, v7 :: v_dual_mul_f32 v5, v13, v5
	;; [unrolled: 2-line block ×3, first 2 shown]
	v_dual_fmac_f32 v24, v11, v2 :: v_dual_fmac_f32 v25, v13, v4
	s_delay_alu instid0(VALU_DEP_3) | instskip(SKIP_1) | instid1(VALU_DEP_3)
	v_fmac_f32_e32 v26, v15, v6
	v_fma_f32 v4, v12, v4, -v5
	v_dual_fmac_f32 v28, v23, v18 :: v_dual_add_f32 v5, 0, v24
	v_mul_f32_e32 v3, v11, v3
	s_delay_alu instid0(VALU_DEP_1) | instskip(SKIP_1) | instid1(VALU_DEP_2)
	v_fma_f32 v3, v10, v2, -v3
	v_dual_mul_f32 v2, v15, v7 :: v_dual_mul_f32 v7, v17, v9
	v_add_f32_e32 v3, 0, v3
	s_delay_alu instid0(VALU_DEP_2) | instskip(NEXT) | instid1(VALU_DEP_3)
	v_fma_f32 v2, v14, v6, -v2
	v_fma_f32 v6, v16, v8, -v7
	s_delay_alu instid0(VALU_DEP_3) | instskip(NEXT) | instid1(VALU_DEP_1)
	v_add_f32_e32 v3, v3, v4
	v_add_f32_e32 v2, v3, v2
	;; [unrolled: 1-line block ×3, first 2 shown]
	s_delay_alu instid0(VALU_DEP_2) | instskip(NEXT) | instid1(VALU_DEP_2)
	v_dual_add_f32 v2, v2, v6 :: v_dual_mul_f32 v5, v23, v19
	v_add_f32_e32 v3, v4, v26
	s_delay_alu instid0(VALU_DEP_2) | instskip(NEXT) | instid1(VALU_DEP_1)
	v_fma_f32 v4, v22, v18, -v5
	v_add_f32_e32 v2, v2, v4
	s_wait_loadcnt 0x0
	s_delay_alu instid0(VALU_DEP_1) | instskip(NEXT) | instid1(VALU_DEP_1)
	v_dual_fmac_f32 v27, v17, v8 :: v_dual_sub_f32 v2, v20, v2
	v_add_f32_e32 v3, v3, v27
	s_delay_alu instid0(VALU_DEP_1) | instskip(NEXT) | instid1(VALU_DEP_1)
	v_add_f32_e32 v3, v3, v28
	v_sub_f32_e32 v3, v21, v3
	scratch_store_b64 off, v[2:3], off offset:448
	v_cmpx_lt_u32_e32 55, v0
	s_cbranch_execz .LBB125_275
; %bb.274:
	scratch_load_b64 v[3:4], off, off offset:440
	v_mov_b32_e32 v2, v1
	scratch_store_b64 off, v[1:2], off offset:440
	s_wait_loadcnt 0x0
	ds_store_b64 v159, v[3:4]
.LBB125_275:
	s_wait_alu 0xfffe
	s_or_b32 exec_lo, exec_lo, s0
	s_wait_storecnt_dscnt 0x0
	s_barrier_signal -1
	s_barrier_wait -1
	global_inv scope:SCOPE_SE
	s_clause 0x3
	scratch_load_b128 v[2:5], off, off offset:448
	scratch_load_b128 v[6:9], off, off offset:464
	;; [unrolled: 1-line block ×3, first 2 shown]
	scratch_load_b64 v[26:27], off, off offset:440
	ds_load_b128 v[14:17], v1 offset:944
	ds_load_b128 v[18:21], v1 offset:960
	;; [unrolled: 1-line block ×3, first 2 shown]
	s_mov_b32 s0, exec_lo
	s_wait_loadcnt_dscnt 0x302
	v_dual_mul_f32 v1, v14, v3 :: v_dual_mul_f32 v28, v16, v5
	s_wait_loadcnt_dscnt 0x100
	v_dual_mul_f32 v3, v15, v3 :: v_dual_mul_f32 v32, v24, v13
	v_dual_mul_f32 v29, v18, v7 :: v_dual_mul_f32 v30, v20, v9
	v_mul_f32_e32 v5, v17, v5
	s_delay_alu instid0(VALU_DEP_3)
	v_fma_f32 v3, v14, v2, -v3
	v_fmac_f32_e32 v1, v15, v2
	v_mul_f32_e32 v2, v19, v7
	v_dual_mul_f32 v31, v22, v11 :: v_dual_fmac_f32 v28, v17, v4
	v_fma_f32 v4, v16, v4, -v5
	v_fmac_f32_e32 v30, v21, v8
	s_delay_alu instid0(VALU_DEP_4) | instskip(SKIP_4) | instid1(VALU_DEP_4)
	v_fma_f32 v2, v18, v6, -v2
	v_mul_f32_e32 v5, v21, v9
	v_add_f32_e32 v1, 0, v1
	v_dual_fmac_f32 v29, v19, v6 :: v_dual_fmac_f32 v32, v25, v12
	v_fmac_f32_e32 v31, v23, v10
	v_fma_f32 v5, v20, v8, -v5
	v_add_f32_e32 v3, 0, v3
	s_delay_alu instid0(VALU_DEP_1) | instskip(SKIP_1) | instid1(VALU_DEP_2)
	v_add_f32_e32 v3, v3, v4
	v_mul_f32_e32 v4, v23, v11
	v_add_f32_e32 v2, v3, v2
	s_delay_alu instid0(VALU_DEP_2) | instskip(NEXT) | instid1(VALU_DEP_2)
	v_fma_f32 v4, v22, v10, -v4
	v_add_f32_e32 v2, v2, v5
	s_delay_alu instid0(VALU_DEP_1) | instskip(NEXT) | instid1(VALU_DEP_1)
	v_dual_mul_f32 v3, v25, v13 :: v_dual_add_f32 v2, v2, v4
	v_fma_f32 v3, v24, v12, -v3
	s_delay_alu instid0(VALU_DEP_1) | instskip(NEXT) | instid1(VALU_DEP_1)
	v_dual_add_f32 v1, v1, v28 :: v_dual_add_f32 v2, v2, v3
	v_add_f32_e32 v1, v1, v29
	s_delay_alu instid0(VALU_DEP_1) | instskip(NEXT) | instid1(VALU_DEP_1)
	v_add_f32_e32 v1, v1, v30
	v_add_f32_e32 v1, v1, v31
	s_delay_alu instid0(VALU_DEP_1) | instskip(SKIP_1) | instid1(VALU_DEP_1)
	v_add_f32_e32 v3, v1, v32
	s_wait_loadcnt 0x0
	v_dual_sub_f32 v1, v26, v2 :: v_dual_sub_f32 v2, v27, v3
	scratch_store_b64 off, v[1:2], off offset:440
	v_cmpx_lt_u32_e32 54, v0
	s_cbranch_execz .LBB125_277
; %bb.276:
	scratch_load_b64 v[1:2], off, off offset:432
	v_mov_b32_e32 v3, 0
	s_delay_alu instid0(VALU_DEP_1)
	v_mov_b32_e32 v4, v3
	scratch_store_b64 off, v[3:4], off offset:432
	s_wait_loadcnt 0x0
	ds_store_b64 v159, v[1:2]
.LBB125_277:
	s_wait_alu 0xfffe
	s_or_b32 exec_lo, exec_lo, s0
	s_wait_storecnt_dscnt 0x0
	s_barrier_signal -1
	s_barrier_wait -1
	global_inv scope:SCOPE_SE
	s_clause 0x4
	scratch_load_b128 v[2:5], off, off offset:440
	scratch_load_b128 v[6:9], off, off offset:456
	;; [unrolled: 1-line block ×3, first 2 shown]
	scratch_load_b64 v[26:27], off, off offset:488
	scratch_load_b64 v[28:29], off, off offset:432
	v_mov_b32_e32 v1, 0
	ds_load_2addr_b64 v[14:17], v1 offset0:117 offset1:118
	ds_load_2addr_b64 v[18:21], v1 offset0:119 offset1:120
	;; [unrolled: 1-line block ×3, first 2 shown]
	ds_load_b64 v[30:31], v1 offset:984
	s_mov_b32 s0, exec_lo
	s_wait_loadcnt_dscnt 0x403
	v_mul_f32_e32 v32, v14, v3
	s_wait_loadcnt_dscnt 0x302
	v_dual_mul_f32 v160, v20, v9 :: v_dual_mul_f32 v3, v15, v3
	v_dual_mul_f32 v157, v16, v5 :: v_dual_mul_f32 v158, v18, v7
	s_wait_loadcnt_dscnt 0x100
	v_dual_mul_f32 v163, v30, v27 :: v_dual_fmac_f32 v32, v15, v2
	v_mul_f32_e32 v5, v17, v5
	v_fma_f32 v3, v14, v2, -v3
	v_dual_mul_f32 v2, v19, v7 :: v_dual_fmac_f32 v157, v17, v4
	v_fmac_f32_e32 v158, v19, v6
	s_delay_alu instid0(VALU_DEP_4) | instskip(SKIP_1) | instid1(VALU_DEP_4)
	v_fma_f32 v4, v16, v4, -v5
	v_dual_mul_f32 v161, v22, v11 :: v_dual_mul_f32 v162, v24, v13
	v_fma_f32 v2, v18, v6, -v2
	v_add_f32_e32 v5, 0, v32
	v_dual_add_f32 v3, 0, v3 :: v_dual_fmac_f32 v160, v21, v8
	s_delay_alu instid0(VALU_DEP_4) | instskip(NEXT) | instid1(VALU_DEP_2)
	v_dual_fmac_f32 v161, v23, v10 :: v_dual_fmac_f32 v162, v25, v12
	v_add_f32_e32 v3, v3, v4
	s_delay_alu instid0(VALU_DEP_1) | instskip(SKIP_1) | instid1(VALU_DEP_2)
	v_dual_add_f32 v2, v3, v2 :: v_dual_mul_f32 v7, v21, v9
	v_dual_add_f32 v4, v5, v157 :: v_dual_mul_f32 v5, v23, v11
	v_fma_f32 v6, v20, v8, -v7
	s_delay_alu instid0(VALU_DEP_2) | instskip(NEXT) | instid1(VALU_DEP_3)
	v_dual_add_f32 v3, v4, v158 :: v_dual_mul_f32 v4, v25, v13
	v_fma_f32 v5, v22, v10, -v5
	s_delay_alu instid0(VALU_DEP_3) | instskip(SKIP_1) | instid1(VALU_DEP_4)
	v_add_f32_e32 v2, v2, v6
	v_mul_f32_e32 v6, v31, v27
	v_add_f32_e32 v3, v3, v160
	v_fma_f32 v4, v24, v12, -v4
	s_delay_alu instid0(VALU_DEP_4) | instskip(NEXT) | instid1(VALU_DEP_4)
	v_add_f32_e32 v2, v2, v5
	v_fma_f32 v5, v30, v26, -v6
	s_delay_alu instid0(VALU_DEP_2) | instskip(SKIP_1) | instid1(VALU_DEP_2)
	v_dual_add_f32 v3, v3, v161 :: v_dual_add_f32 v2, v2, v4
	v_fmac_f32_e32 v163, v31, v26
	v_dual_add_f32 v3, v3, v162 :: v_dual_add_f32 v2, v2, v5
	s_wait_loadcnt 0x0
	s_delay_alu instid0(VALU_DEP_1) | instskip(NEXT) | instid1(VALU_DEP_1)
	v_dual_add_f32 v3, v3, v163 :: v_dual_sub_f32 v2, v28, v2
	v_sub_f32_e32 v3, v29, v3
	scratch_store_b64 off, v[2:3], off offset:432
	v_cmpx_lt_u32_e32 53, v0
	s_cbranch_execz .LBB125_279
; %bb.278:
	scratch_load_b64 v[3:4], off, off offset:424
	v_mov_b32_e32 v2, v1
	scratch_store_b64 off, v[1:2], off offset:424
	s_wait_loadcnt 0x0
	ds_store_b64 v159, v[3:4]
.LBB125_279:
	s_wait_alu 0xfffe
	s_or_b32 exec_lo, exec_lo, s0
	s_wait_storecnt_dscnt 0x0
	s_barrier_signal -1
	s_barrier_wait -1
	global_inv scope:SCOPE_SE
	s_clause 0x4
	scratch_load_b128 v[2:5], off, off offset:432
	scratch_load_b128 v[6:9], off, off offset:448
	;; [unrolled: 1-line block ×4, first 2 shown]
	scratch_load_b64 v[30:31], off, off offset:424
	ds_load_b128 v[18:21], v1 offset:928
	ds_load_b128 v[22:25], v1 offset:944
	;; [unrolled: 1-line block ×4, first 2 shown]
	s_mov_b32 s0, exec_lo
	s_wait_loadcnt_dscnt 0x403
	v_dual_mul_f32 v1, v18, v3 :: v_dual_mul_f32 v32, v20, v5
	v_mul_f32_e32 v3, v19, v3
	v_mul_f32_e32 v5, v21, v5
	s_wait_loadcnt_dscnt 0x302
	v_dual_mul_f32 v157, v22, v7 :: v_dual_mul_f32 v158, v24, v9
	v_fmac_f32_e32 v32, v21, v4
	v_fma_f32 v3, v18, v2, -v3
	s_wait_loadcnt_dscnt 0x201
	v_dual_mul_f32 v164, v26, v11 :: v_dual_mul_f32 v165, v28, v13
	s_wait_loadcnt_dscnt 0x100
	v_dual_mul_f32 v166, v160, v15 :: v_dual_mul_f32 v167, v162, v17
	v_dual_fmac_f32 v1, v19, v2 :: v_dual_fmac_f32 v158, v25, v8
	v_mul_f32_e32 v2, v23, v7
	v_fma_f32 v4, v20, v4, -v5
	v_dual_add_f32 v3, 0, v3 :: v_dual_fmac_f32 v164, v27, v10
	v_fmac_f32_e32 v166, v161, v14
	s_delay_alu instid0(VALU_DEP_4) | instskip(SKIP_1) | instid1(VALU_DEP_4)
	v_fma_f32 v2, v22, v6, -v2
	v_add_f32_e32 v1, 0, v1
	v_add_f32_e32 v3, v3, v4
	v_dual_mul_f32 v5, v25, v9 :: v_dual_mul_f32 v4, v27, v11
	v_fmac_f32_e32 v167, v163, v16
	s_delay_alu instid0(VALU_DEP_3) | instskip(NEXT) | instid1(VALU_DEP_3)
	v_dual_add_f32 v1, v1, v32 :: v_dual_add_f32 v2, v3, v2
	v_fma_f32 v5, v24, v8, -v5
	v_fmac_f32_e32 v157, v23, v6
	v_fma_f32 v4, v26, v10, -v4
	s_delay_alu instid0(VALU_DEP_3) | instskip(SKIP_1) | instid1(VALU_DEP_2)
	v_add_f32_e32 v2, v2, v5
	v_mul_f32_e32 v3, v29, v13
	v_dual_mul_f32 v5, v161, v15 :: v_dual_add_f32 v2, v2, v4
	s_delay_alu instid0(VALU_DEP_2) | instskip(SKIP_2) | instid1(VALU_DEP_4)
	v_fma_f32 v3, v28, v12, -v3
	v_mul_f32_e32 v4, v163, v17
	v_add_f32_e32 v1, v1, v157
	v_fma_f32 v5, v160, v14, -v5
	s_delay_alu instid0(VALU_DEP_4) | instskip(NEXT) | instid1(VALU_DEP_4)
	v_add_f32_e32 v2, v2, v3
	v_fma_f32 v3, v162, v16, -v4
	s_delay_alu instid0(VALU_DEP_2) | instskip(SKIP_1) | instid1(VALU_DEP_2)
	v_dual_add_f32 v1, v1, v158 :: v_dual_add_f32 v2, v2, v5
	v_fmac_f32_e32 v165, v29, v12
	v_dual_add_f32 v1, v1, v164 :: v_dual_add_f32 v2, v2, v3
	s_delay_alu instid0(VALU_DEP_1) | instskip(NEXT) | instid1(VALU_DEP_1)
	v_add_f32_e32 v1, v1, v165
	v_add_f32_e32 v1, v1, v166
	s_delay_alu instid0(VALU_DEP_1) | instskip(SKIP_1) | instid1(VALU_DEP_1)
	v_add_f32_e32 v3, v1, v167
	s_wait_loadcnt 0x0
	v_dual_sub_f32 v1, v30, v2 :: v_dual_sub_f32 v2, v31, v3
	scratch_store_b64 off, v[1:2], off offset:424
	v_cmpx_lt_u32_e32 52, v0
	s_cbranch_execz .LBB125_281
; %bb.280:
	scratch_load_b64 v[1:2], off, off offset:416
	v_mov_b32_e32 v3, 0
	s_delay_alu instid0(VALU_DEP_1)
	v_mov_b32_e32 v4, v3
	scratch_store_b64 off, v[3:4], off offset:416
	s_wait_loadcnt 0x0
	ds_store_b64 v159, v[1:2]
.LBB125_281:
	s_wait_alu 0xfffe
	s_or_b32 exec_lo, exec_lo, s0
	s_wait_storecnt_dscnt 0x0
	s_barrier_signal -1
	s_barrier_wait -1
	global_inv scope:SCOPE_SE
	s_clause 0x5
	scratch_load_b128 v[2:5], off, off offset:424
	scratch_load_b128 v[6:9], off, off offset:440
	;; [unrolled: 1-line block ×4, first 2 shown]
	scratch_load_b64 v[30:31], off, off offset:488
	scratch_load_b64 v[157:158], off, off offset:416
	v_mov_b32_e32 v1, 0
	ds_load_2addr_b64 v[18:21], v1 offset0:115 offset1:116
	ds_load_2addr_b64 v[22:25], v1 offset0:117 offset1:118
	ds_load_2addr_b64 v[26:29], v1 offset0:119 offset1:120
	ds_load_2addr_b64 v[160:163], v1 offset0:121 offset1:122
	ds_load_b64 v[164:165], v1 offset:984
	s_mov_b32 s0, exec_lo
	s_wait_loadcnt_dscnt 0x504
	v_mul_f32_e32 v32, v18, v3
	s_wait_loadcnt_dscnt 0x302
	v_dual_mul_f32 v3, v19, v3 :: v_dual_mul_f32 v170, v28, v13
	v_dual_mul_f32 v166, v20, v5 :: v_dual_mul_f32 v167, v22, v7
	v_mul_f32_e32 v5, v21, v5
	s_delay_alu instid0(VALU_DEP_3) | instskip(SKIP_3) | instid1(VALU_DEP_3)
	v_fma_f32 v3, v18, v2, -v3
	s_wait_loadcnt_dscnt 0x100
	v_dual_mul_f32 v173, v164, v31 :: v_dual_fmac_f32 v32, v19, v2
	v_mul_f32_e32 v2, v23, v7
	v_dual_fmac_f32 v166, v21, v4 :: v_dual_add_f32 v3, 0, v3
	v_fma_f32 v4, v20, v4, -v5
	v_dual_mul_f32 v168, v24, v9 :: v_dual_mul_f32 v169, v26, v11
	s_delay_alu instid0(VALU_DEP_4) | instskip(SKIP_1) | instid1(VALU_DEP_4)
	v_fma_f32 v2, v22, v6, -v2
	v_fmac_f32_e32 v167, v23, v6
	v_add_f32_e32 v3, v3, v4
	v_add_f32_e32 v5, 0, v32
	v_dual_fmac_f32 v168, v25, v8 :: v_dual_fmac_f32 v169, v27, v10
	v_dual_mul_f32 v171, v160, v15 :: v_dual_mul_f32 v172, v162, v17
	s_delay_alu instid0(VALU_DEP_4) | instskip(NEXT) | instid1(VALU_DEP_4)
	v_dual_add_f32 v2, v3, v2 :: v_dual_mul_f32 v7, v25, v9
	v_dual_add_f32 v4, v5, v166 :: v_dual_mul_f32 v5, v27, v11
	v_fmac_f32_e32 v170, v29, v12
	s_delay_alu instid0(VALU_DEP_4) | instskip(NEXT) | instid1(VALU_DEP_4)
	v_dual_fmac_f32 v171, v161, v14 :: v_dual_fmac_f32 v172, v163, v16
	v_fma_f32 v6, v24, v8, -v7
	s_delay_alu instid0(VALU_DEP_4) | instskip(SKIP_1) | instid1(VALU_DEP_2)
	v_dual_add_f32 v3, v4, v167 :: v_dual_mul_f32 v4, v29, v13
	v_fma_f32 v5, v26, v10, -v5
	v_dual_add_f32 v2, v2, v6 :: v_dual_add_f32 v3, v3, v168
	v_mul_f32_e32 v6, v161, v15
	s_delay_alu instid0(VALU_DEP_4) | instskip(NEXT) | instid1(VALU_DEP_3)
	v_fma_f32 v4, v28, v12, -v4
	v_add_f32_e32 v2, v2, v5
	s_delay_alu instid0(VALU_DEP_4) | instskip(SKIP_2) | instid1(VALU_DEP_4)
	v_add_f32_e32 v3, v3, v169
	v_mul_f32_e32 v5, v163, v17
	v_fma_f32 v6, v160, v14, -v6
	v_add_f32_e32 v2, v2, v4
	v_mul_f32_e32 v4, v165, v31
	s_delay_alu instid0(VALU_DEP_4) | instskip(NEXT) | instid1(VALU_DEP_3)
	v_fma_f32 v5, v162, v16, -v5
	v_add_f32_e32 v2, v2, v6
	v_add_f32_e32 v3, v3, v170
	s_delay_alu instid0(VALU_DEP_4) | instskip(NEXT) | instid1(VALU_DEP_2)
	v_fma_f32 v4, v164, v30, -v4
	v_dual_add_f32 v2, v2, v5 :: v_dual_add_f32 v3, v3, v171
	s_delay_alu instid0(VALU_DEP_1) | instskip(SKIP_1) | instid1(VALU_DEP_1)
	v_dual_fmac_f32 v173, v165, v30 :: v_dual_add_f32 v2, v2, v4
	s_wait_loadcnt 0x0
	v_dual_add_f32 v3, v3, v172 :: v_dual_sub_f32 v2, v157, v2
	s_delay_alu instid0(VALU_DEP_1) | instskip(NEXT) | instid1(VALU_DEP_1)
	v_add_f32_e32 v3, v3, v173
	v_sub_f32_e32 v3, v158, v3
	scratch_store_b64 off, v[2:3], off offset:416
	v_cmpx_lt_u32_e32 51, v0
	s_cbranch_execz .LBB125_283
; %bb.282:
	scratch_load_b64 v[3:4], off, off offset:408
	v_mov_b32_e32 v2, v1
	scratch_store_b64 off, v[1:2], off offset:408
	s_wait_loadcnt 0x0
	ds_store_b64 v159, v[3:4]
.LBB125_283:
	s_wait_alu 0xfffe
	s_or_b32 exec_lo, exec_lo, s0
	s_wait_storecnt_dscnt 0x0
	s_barrier_signal -1
	s_barrier_wait -1
	global_inv scope:SCOPE_SE
	s_clause 0x5
	scratch_load_b128 v[2:5], off, off offset:416
	scratch_load_b128 v[6:9], off, off offset:432
	;; [unrolled: 1-line block ×5, first 2 shown]
	scratch_load_b64 v[30:31], off, off offset:408
	ds_load_b128 v[22:25], v1 offset:912
	ds_load_b128 v[26:29], v1 offset:928
	;; [unrolled: 1-line block ×5, first 2 shown]
	s_mov_b32 s0, exec_lo
	s_wait_loadcnt_dscnt 0x504
	v_dual_mul_f32 v1, v22, v3 :: v_dual_mul_f32 v32, v24, v5
	v_mul_f32_e32 v3, v23, v3
	v_mul_f32_e32 v5, v25, v5
	s_wait_loadcnt_dscnt 0x403
	v_dual_mul_f32 v157, v26, v7 :: v_dual_mul_f32 v158, v28, v9
	v_fmac_f32_e32 v32, v25, v4
	v_fma_f32 v3, v22, v2, -v3
	v_fmac_f32_e32 v1, v23, v2
	v_mul_f32_e32 v2, v27, v7
	v_fma_f32 v4, v24, v4, -v5
	s_wait_loadcnt_dscnt 0x302
	v_dual_mul_f32 v172, v160, v11 :: v_dual_mul_f32 v173, v162, v13
	v_dual_add_f32 v3, 0, v3 :: v_dual_fmac_f32 v158, v29, v8
	v_fma_f32 v2, v26, v6, -v2
	s_delay_alu instid0(VALU_DEP_3) | instskip(SKIP_3) | instid1(VALU_DEP_2)
	v_fmac_f32_e32 v172, v161, v10
	s_wait_loadcnt_dscnt 0x201
	v_dual_mul_f32 v174, v164, v15 :: v_dual_mul_f32 v175, v166, v17
	v_dual_add_f32 v3, v3, v4 :: v_dual_mul_f32 v4, v161, v11
	v_dual_add_f32 v1, 0, v1 :: v_dual_fmac_f32 v174, v165, v14
	s_wait_loadcnt_dscnt 0x100
	v_dual_mul_f32 v176, v168, v19 :: v_dual_mul_f32 v177, v170, v21
	s_delay_alu instid0(VALU_DEP_3) | instskip(SKIP_4) | instid1(VALU_DEP_4)
	v_fma_f32 v4, v160, v10, -v4
	v_dual_mul_f32 v5, v29, v9 :: v_dual_add_f32 v2, v3, v2
	v_add_f32_e32 v1, v1, v32
	v_mul_f32_e32 v3, v163, v13
	v_dual_fmac_f32 v173, v163, v12 :: v_dual_fmac_f32 v176, v169, v18
	v_fma_f32 v5, v28, v8, -v5
	v_fmac_f32_e32 v157, v27, v6
	s_delay_alu instid0(VALU_DEP_4) | instskip(SKIP_1) | instid1(VALU_DEP_4)
	v_fma_f32 v3, v162, v12, -v3
	v_fmac_f32_e32 v175, v167, v16
	v_dual_fmac_f32 v177, v171, v20 :: v_dual_add_f32 v2, v2, v5
	s_delay_alu instid0(VALU_DEP_1) | instskip(SKIP_1) | instid1(VALU_DEP_2)
	v_add_f32_e32 v2, v2, v4
	v_mul_f32_e32 v4, v167, v17
	v_dual_add_f32 v1, v1, v157 :: v_dual_add_f32 v2, v2, v3
	s_delay_alu instid0(VALU_DEP_2) | instskip(SKIP_2) | instid1(VALU_DEP_2)
	v_fma_f32 v4, v166, v16, -v4
	v_mul_f32_e32 v5, v165, v15
	v_mul_f32_e32 v3, v169, v19
	v_fma_f32 v5, v164, v14, -v5
	v_add_f32_e32 v1, v1, v158
	s_delay_alu instid0(VALU_DEP_3) | instskip(NEXT) | instid1(VALU_DEP_3)
	v_fma_f32 v3, v168, v18, -v3
	v_add_f32_e32 v2, v2, v5
	s_delay_alu instid0(VALU_DEP_1) | instskip(NEXT) | instid1(VALU_DEP_4)
	v_dual_mul_f32 v5, v171, v21 :: v_dual_add_f32 v2, v2, v4
	v_add_f32_e32 v1, v1, v172
	s_delay_alu instid0(VALU_DEP_2) | instskip(NEXT) | instid1(VALU_DEP_2)
	v_fma_f32 v4, v170, v20, -v5
	v_dual_add_f32 v2, v2, v3 :: v_dual_add_f32 v1, v1, v173
	s_delay_alu instid0(VALU_DEP_1) | instskip(NEXT) | instid1(VALU_DEP_1)
	v_dual_add_f32 v2, v2, v4 :: v_dual_add_f32 v1, v1, v174
	v_add_f32_e32 v1, v1, v175
	s_delay_alu instid0(VALU_DEP_1) | instskip(NEXT) | instid1(VALU_DEP_1)
	v_add_f32_e32 v1, v1, v176
	v_add_f32_e32 v3, v1, v177
	s_wait_loadcnt 0x0
	s_delay_alu instid0(VALU_DEP_1)
	v_dual_sub_f32 v1, v30, v2 :: v_dual_sub_f32 v2, v31, v3
	scratch_store_b64 off, v[1:2], off offset:408
	v_cmpx_lt_u32_e32 50, v0
	s_cbranch_execz .LBB125_285
; %bb.284:
	scratch_load_b64 v[1:2], off, off offset:400
	v_mov_b32_e32 v3, 0
	s_delay_alu instid0(VALU_DEP_1)
	v_mov_b32_e32 v4, v3
	scratch_store_b64 off, v[3:4], off offset:400
	s_wait_loadcnt 0x0
	ds_store_b64 v159, v[1:2]
.LBB125_285:
	s_wait_alu 0xfffe
	s_or_b32 exec_lo, exec_lo, s0
	s_wait_storecnt_dscnt 0x0
	s_barrier_signal -1
	s_barrier_wait -1
	global_inv scope:SCOPE_SE
	s_clause 0x6
	scratch_load_b128 v[2:5], off, off offset:408
	scratch_load_b128 v[6:9], off, off offset:424
	;; [unrolled: 1-line block ×5, first 2 shown]
	scratch_load_b64 v[30:31], off, off offset:488
	scratch_load_b64 v[157:158], off, off offset:400
	v_mov_b32_e32 v1, 0
	ds_load_2addr_b64 v[22:25], v1 offset0:113 offset1:114
	ds_load_2addr_b64 v[26:29], v1 offset0:115 offset1:116
	;; [unrolled: 1-line block ×5, first 2 shown]
	ds_load_b64 v[172:173], v1 offset:984
	s_mov_b32 s0, exec_lo
	s_wait_loadcnt_dscnt 0x605
	v_mul_f32_e32 v32, v22, v3
	s_wait_loadcnt_dscnt 0x504
	v_dual_mul_f32 v176, v28, v9 :: v_dual_mul_f32 v3, v23, v3
	v_dual_mul_f32 v174, v24, v5 :: v_dual_mul_f32 v175, v26, v7
	v_mul_f32_e32 v5, v25, v5
	s_wait_loadcnt_dscnt 0x100
	v_dual_mul_f32 v183, v172, v31 :: v_dual_fmac_f32 v32, v23, v2
	v_fma_f32 v3, v22, v2, -v3
	v_mul_f32_e32 v2, v27, v7
	v_fmac_f32_e32 v174, v25, v4
	v_fma_f32 v4, v24, v4, -v5
	v_dual_fmac_f32 v175, v27, v6 :: v_dual_fmac_f32 v176, v29, v8
	v_add_f32_e32 v3, 0, v3
	v_fma_f32 v2, v26, v6, -v2
	v_dual_mul_f32 v177, v160, v11 :: v_dual_mul_f32 v178, v162, v13
	v_dual_mul_f32 v179, v164, v15 :: v_dual_mul_f32 v180, v166, v17
	s_delay_alu instid0(VALU_DEP_4) | instskip(SKIP_1) | instid1(VALU_DEP_3)
	v_add_f32_e32 v3, v3, v4
	v_add_f32_e32 v5, 0, v32
	v_dual_fmac_f32 v178, v163, v12 :: v_dual_fmac_f32 v179, v165, v14
	s_delay_alu instid0(VALU_DEP_4) | instskip(NEXT) | instid1(VALU_DEP_4)
	v_fmac_f32_e32 v180, v167, v16
	v_dual_add_f32 v2, v3, v2 :: v_dual_mul_f32 v7, v29, v9
	s_delay_alu instid0(VALU_DEP_4) | instskip(SKIP_2) | instid1(VALU_DEP_4)
	v_add_f32_e32 v4, v5, v174
	v_mul_f32_e32 v5, v161, v11
	v_dual_mul_f32 v181, v168, v19 :: v_dual_mul_f32 v182, v170, v21
	v_fma_f32 v6, v28, v8, -v7
	s_delay_alu instid0(VALU_DEP_4) | instskip(NEXT) | instid1(VALU_DEP_4)
	v_dual_add_f32 v3, v4, v175 :: v_dual_mul_f32 v4, v163, v13
	v_fma_f32 v5, v160, v10, -v5
	s_delay_alu instid0(VALU_DEP_4) | instskip(NEXT) | instid1(VALU_DEP_4)
	v_fmac_f32_e32 v181, v169, v18
	v_add_f32_e32 v2, v2, v6
	v_fmac_f32_e32 v177, v161, v10
	v_dual_add_f32 v3, v3, v176 :: v_dual_mul_f32 v6, v165, v15
	v_fma_f32 v4, v162, v12, -v4
	s_delay_alu instid0(VALU_DEP_4) | instskip(SKIP_1) | instid1(VALU_DEP_4)
	v_add_f32_e32 v2, v2, v5
	v_mul_f32_e32 v5, v167, v17
	v_add_f32_e32 v3, v3, v177
	v_fma_f32 v6, v164, v14, -v6
	v_fmac_f32_e32 v182, v171, v20
	v_add_f32_e32 v2, v2, v4
	v_mul_f32_e32 v4, v169, v19
	v_fma_f32 v5, v166, v16, -v5
	s_delay_alu instid0(VALU_DEP_3) | instskip(SKIP_3) | instid1(VALU_DEP_3)
	v_add_f32_e32 v2, v2, v6
	v_add_f32_e32 v3, v3, v178
	v_mul_f32_e32 v6, v171, v21
	v_fma_f32 v4, v168, v18, -v4
	v_dual_add_f32 v2, v2, v5 :: v_dual_add_f32 v3, v3, v179
	s_delay_alu instid0(VALU_DEP_3) | instskip(NEXT) | instid1(VALU_DEP_2)
	v_fma_f32 v6, v170, v20, -v6
	v_dual_mul_f32 v5, v173, v31 :: v_dual_add_f32 v2, v2, v4
	s_delay_alu instid0(VALU_DEP_3) | instskip(NEXT) | instid1(VALU_DEP_2)
	v_add_f32_e32 v3, v3, v180
	v_fma_f32 v4, v172, v30, -v5
	s_delay_alu instid0(VALU_DEP_2) | instskip(NEXT) | instid1(VALU_DEP_1)
	v_dual_add_f32 v2, v2, v6 :: v_dual_add_f32 v3, v3, v181
	v_dual_fmac_f32 v183, v173, v30 :: v_dual_add_f32 v2, v2, v4
	s_delay_alu instid0(VALU_DEP_2) | instskip(SKIP_1) | instid1(VALU_DEP_1)
	v_add_f32_e32 v3, v3, v182
	s_wait_loadcnt 0x0
	v_dual_sub_f32 v2, v157, v2 :: v_dual_add_f32 v3, v3, v183
	s_delay_alu instid0(VALU_DEP_1)
	v_sub_f32_e32 v3, v158, v3
	scratch_store_b64 off, v[2:3], off offset:400
	v_cmpx_lt_u32_e32 49, v0
	s_cbranch_execz .LBB125_287
; %bb.286:
	scratch_load_b64 v[3:4], off, off offset:392
	v_mov_b32_e32 v2, v1
	scratch_store_b64 off, v[1:2], off offset:392
	s_wait_loadcnt 0x0
	ds_store_b64 v159, v[3:4]
.LBB125_287:
	s_wait_alu 0xfffe
	s_or_b32 exec_lo, exec_lo, s0
	s_wait_storecnt_dscnt 0x0
	s_barrier_signal -1
	s_barrier_wait -1
	global_inv scope:SCOPE_SE
	s_clause 0x6
	scratch_load_b128 v[2:5], off, off offset:400
	scratch_load_b128 v[6:9], off, off offset:416
	scratch_load_b128 v[10:13], off, off offset:432
	scratch_load_b128 v[14:17], off, off offset:448
	scratch_load_b128 v[18:21], off, off offset:464
	scratch_load_b128 v[22:25], off, off offset:480
	scratch_load_b64 v[30:31], off, off offset:392
	ds_load_b128 v[26:29], v1 offset:896
	ds_load_b128 v[160:163], v1 offset:912
	;; [unrolled: 1-line block ×6, first 2 shown]
	s_mov_b32 s0, exec_lo
	s_wait_loadcnt_dscnt 0x605
	v_dual_mul_f32 v1, v26, v3 :: v_dual_mul_f32 v32, v28, v5
	v_mul_f32_e32 v3, v27, v3
	s_wait_loadcnt_dscnt 0x504
	v_dual_mul_f32 v157, v160, v7 :: v_dual_mul_f32 v158, v162, v9
	v_mul_f32_e32 v5, v29, v5
	v_fmac_f32_e32 v32, v29, v4
	v_fma_f32 v3, v26, v2, -v3
	s_wait_loadcnt_dscnt 0x403
	v_dual_mul_f32 v180, v164, v11 :: v_dual_mul_f32 v181, v166, v13
	v_dual_fmac_f32 v1, v27, v2 :: v_dual_mul_f32 v2, v161, v7
	s_delay_alu instid0(VALU_DEP_2)
	v_dual_add_f32 v3, 0, v3 :: v_dual_fmac_f32 v180, v165, v10
	v_fmac_f32_e32 v158, v163, v8
	v_fma_f32 v4, v28, v4, -v5
	s_wait_loadcnt_dscnt 0x302
	v_dual_mul_f32 v182, v168, v15 :: v_dual_mul_f32 v183, v170, v17
	v_add_f32_e32 v1, 0, v1
	v_fma_f32 v2, v160, v6, -v2
	s_delay_alu instid0(VALU_DEP_3) | instskip(SKIP_3) | instid1(VALU_DEP_3)
	v_dual_add_f32 v3, v3, v4 :: v_dual_fmac_f32 v182, v169, v14
	v_mul_f32_e32 v4, v165, v11
	s_wait_loadcnt_dscnt 0x201
	v_dual_add_f32 v1, v1, v32 :: v_dual_mul_f32 v184, v172, v19
	v_dual_mul_f32 v185, v174, v21 :: v_dual_add_f32 v2, v3, v2
	s_delay_alu instid0(VALU_DEP_3) | instskip(SKIP_1) | instid1(VALU_DEP_4)
	v_fma_f32 v4, v164, v10, -v4
	v_mul_f32_e32 v5, v163, v9
	v_dual_mul_f32 v3, v167, v13 :: v_dual_fmac_f32 v184, v173, v18
	s_wait_loadcnt_dscnt 0x100
	v_dual_mul_f32 v186, v176, v23 :: v_dual_mul_f32 v187, v178, v25
	s_delay_alu instid0(VALU_DEP_3) | instskip(SKIP_3) | instid1(VALU_DEP_4)
	v_fma_f32 v5, v162, v8, -v5
	v_fmac_f32_e32 v157, v161, v6
	v_fma_f32 v3, v166, v12, -v3
	v_fmac_f32_e32 v183, v171, v16
	v_dual_fmac_f32 v185, v175, v20 :: v_dual_add_f32 v2, v2, v5
	v_dual_fmac_f32 v187, v179, v24 :: v_dual_fmac_f32 v186, v177, v22
	s_delay_alu instid0(VALU_DEP_2) | instskip(SKIP_1) | instid1(VALU_DEP_2)
	v_dual_add_f32 v2, v2, v4 :: v_dual_add_f32 v1, v1, v157
	v_mul_f32_e32 v4, v171, v17
	v_dual_add_f32 v2, v2, v3 :: v_dual_add_f32 v1, v1, v158
	s_delay_alu instid0(VALU_DEP_2) | instskip(SKIP_1) | instid1(VALU_DEP_1)
	v_fma_f32 v4, v170, v16, -v4
	v_mul_f32_e32 v5, v169, v15
	v_fma_f32 v5, v168, v14, -v5
	s_delay_alu instid0(VALU_DEP_1) | instskip(NEXT) | instid1(VALU_DEP_1)
	v_dual_fmac_f32 v181, v167, v12 :: v_dual_add_f32 v2, v2, v5
	v_dual_mul_f32 v5, v175, v21 :: v_dual_add_f32 v2, v2, v4
	s_delay_alu instid0(VALU_DEP_1) | instskip(SKIP_2) | instid1(VALU_DEP_2)
	v_fma_f32 v5, v174, v20, -v5
	v_mul_f32_e32 v3, v173, v19
	v_mul_f32_e32 v4, v177, v23
	v_fma_f32 v3, v172, v18, -v3
	v_add_f32_e32 v1, v1, v180
	s_delay_alu instid0(VALU_DEP_3) | instskip(NEXT) | instid1(VALU_DEP_3)
	v_fma_f32 v4, v176, v22, -v4
	v_dual_add_f32 v2, v2, v3 :: v_dual_mul_f32 v3, v179, v25
	s_delay_alu instid0(VALU_DEP_1) | instskip(NEXT) | instid1(VALU_DEP_4)
	v_add_f32_e32 v2, v2, v5
	v_add_f32_e32 v1, v1, v181
	s_delay_alu instid0(VALU_DEP_3) | instskip(NEXT) | instid1(VALU_DEP_2)
	v_fma_f32 v3, v178, v24, -v3
	v_dual_add_f32 v2, v2, v4 :: v_dual_add_f32 v1, v1, v182
	s_delay_alu instid0(VALU_DEP_1) | instskip(NEXT) | instid1(VALU_DEP_2)
	v_add_f32_e32 v2, v2, v3
	v_add_f32_e32 v1, v1, v183
	s_delay_alu instid0(VALU_DEP_1) | instskip(NEXT) | instid1(VALU_DEP_1)
	v_add_f32_e32 v1, v1, v184
	v_add_f32_e32 v1, v1, v185
	s_delay_alu instid0(VALU_DEP_1) | instskip(NEXT) | instid1(VALU_DEP_1)
	v_add_f32_e32 v1, v1, v186
	v_add_f32_e32 v3, v1, v187
	s_wait_loadcnt 0x0
	s_delay_alu instid0(VALU_DEP_1)
	v_dual_sub_f32 v1, v30, v2 :: v_dual_sub_f32 v2, v31, v3
	scratch_store_b64 off, v[1:2], off offset:392
	v_cmpx_lt_u32_e32 48, v0
	s_cbranch_execz .LBB125_289
; %bb.288:
	scratch_load_b64 v[1:2], off, off offset:384
	v_mov_b32_e32 v3, 0
	s_delay_alu instid0(VALU_DEP_1)
	v_mov_b32_e32 v4, v3
	scratch_store_b64 off, v[3:4], off offset:384
	s_wait_loadcnt 0x0
	ds_store_b64 v159, v[1:2]
.LBB125_289:
	s_wait_alu 0xfffe
	s_or_b32 exec_lo, exec_lo, s0
	s_wait_storecnt_dscnt 0x0
	s_barrier_signal -1
	s_barrier_wait -1
	global_inv scope:SCOPE_SE
	s_clause 0x7
	scratch_load_b128 v[2:5], off, off offset:392
	scratch_load_b128 v[6:9], off, off offset:408
	;; [unrolled: 1-line block ×6, first 2 shown]
	scratch_load_b64 v[30:31], off, off offset:488
	scratch_load_b64 v[157:158], off, off offset:384
	v_mov_b32_e32 v1, 0
	ds_load_2addr_b64 v[26:29], v1 offset0:111 offset1:112
	ds_load_2addr_b64 v[160:163], v1 offset0:113 offset1:114
	;; [unrolled: 1-line block ×6, first 2 shown]
	ds_load_b64 v[180:181], v1 offset:984
	s_mov_b32 s0, exec_lo
	s_wait_loadcnt_dscnt 0x706
	v_mul_f32_e32 v32, v26, v3
	v_dual_mul_f32 v182, v28, v5 :: v_dual_mul_f32 v3, v27, v3
	s_wait_loadcnt_dscnt 0x605
	v_dual_mul_f32 v183, v160, v7 :: v_dual_mul_f32 v184, v162, v9
	v_mul_f32_e32 v5, v29, v5
	s_wait_loadcnt_dscnt 0x100
	v_dual_mul_f32 v193, v180, v31 :: v_dual_fmac_f32 v32, v27, v2
	v_fma_f32 v3, v26, v2, -v3
	v_mul_f32_e32 v2, v161, v7
	v_fmac_f32_e32 v182, v29, v4
	v_fmac_f32_e32 v184, v163, v8
	v_fma_f32 v4, v28, v4, -v5
	v_add_f32_e32 v3, 0, v3
	v_add_f32_e32 v5, 0, v32
	v_mul_f32_e32 v7, v163, v9
	v_fma_f32 v2, v160, v6, -v2
	v_fmac_f32_e32 v183, v161, v6
	s_delay_alu instid0(VALU_DEP_4) | instskip(SKIP_3) | instid1(VALU_DEP_4)
	v_dual_add_f32 v3, v3, v4 :: v_dual_add_f32 v4, v5, v182
	v_mul_f32_e32 v5, v165, v11
	v_fma_f32 v6, v162, v8, -v7
	v_dual_mul_f32 v185, v164, v11 :: v_dual_mul_f32 v186, v166, v13
	v_dual_add_f32 v2, v3, v2 :: v_dual_add_f32 v3, v4, v183
	v_mul_f32_e32 v4, v167, v13
	v_fma_f32 v5, v164, v10, -v5
	s_delay_alu instid0(VALU_DEP_4) | instskip(NEXT) | instid1(VALU_DEP_4)
	v_fmac_f32_e32 v186, v167, v12
	v_add_f32_e32 v2, v2, v6
	v_fmac_f32_e32 v185, v165, v10
	v_dual_add_f32 v3, v3, v184 :: v_dual_mul_f32 v6, v169, v15
	v_fma_f32 v4, v166, v12, -v4
	s_delay_alu instid0(VALU_DEP_4) | instskip(SKIP_1) | instid1(VALU_DEP_4)
	v_dual_add_f32 v2, v2, v5 :: v_dual_mul_f32 v187, v168, v15
	v_mul_f32_e32 v188, v170, v17
	v_add_f32_e32 v3, v3, v185
	v_mul_f32_e32 v5, v171, v17
	v_fma_f32 v6, v168, v14, -v6
	v_dual_add_f32 v2, v2, v4 :: v_dual_fmac_f32 v187, v169, v14
	v_fmac_f32_e32 v188, v171, v16
	v_mul_f32_e32 v4, v173, v19
	v_fma_f32 v5, v170, v16, -v5
	s_delay_alu instid0(VALU_DEP_4) | instskip(SKIP_4) | instid1(VALU_DEP_4)
	v_add_f32_e32 v2, v2, v6
	v_add_f32_e32 v3, v3, v186
	v_dual_mul_f32 v189, v172, v19 :: v_dual_mul_f32 v190, v174, v21
	v_mul_f32_e32 v6, v175, v21
	v_fma_f32 v4, v172, v18, -v4
	v_dual_add_f32 v2, v2, v5 :: v_dual_add_f32 v3, v3, v187
	s_delay_alu instid0(VALU_DEP_4) | instskip(NEXT) | instid1(VALU_DEP_4)
	v_fmac_f32_e32 v189, v173, v18
	v_fma_f32 v6, v174, v20, -v6
	v_dual_mul_f32 v191, v176, v23 :: v_dual_mul_f32 v192, v178, v25
	s_delay_alu instid0(VALU_DEP_4) | instskip(SKIP_2) | instid1(VALU_DEP_4)
	v_add_f32_e32 v2, v2, v4
	v_add_f32_e32 v3, v3, v188
	v_dual_mul_f32 v5, v177, v23 :: v_dual_fmac_f32 v190, v175, v20
	v_dual_mul_f32 v4, v179, v25 :: v_dual_fmac_f32 v191, v177, v22
	s_delay_alu instid0(VALU_DEP_3) | instskip(NEXT) | instid1(VALU_DEP_3)
	v_dual_add_f32 v2, v2, v6 :: v_dual_add_f32 v3, v3, v189
	v_fma_f32 v5, v176, v22, -v5
	v_mul_f32_e32 v6, v181, v31
	v_dual_fmac_f32 v192, v179, v24 :: v_dual_fmac_f32 v193, v181, v30
	s_delay_alu instid0(VALU_DEP_4) | instskip(SKIP_3) | instid1(VALU_DEP_4)
	v_add_f32_e32 v3, v3, v190
	v_fma_f32 v4, v178, v24, -v4
	v_add_f32_e32 v2, v2, v5
	v_fma_f32 v5, v180, v30, -v6
	v_add_f32_e32 v3, v3, v191
	s_delay_alu instid0(VALU_DEP_1) | instskip(NEXT) | instid1(VALU_DEP_1)
	v_add_f32_e32 v3, v3, v192
	v_dual_add_f32 v2, v2, v4 :: v_dual_add_f32 v3, v3, v193
	s_delay_alu instid0(VALU_DEP_1) | instskip(SKIP_1) | instid1(VALU_DEP_1)
	v_add_f32_e32 v2, v2, v5
	s_wait_loadcnt 0x0
	v_dual_sub_f32 v3, v158, v3 :: v_dual_sub_f32 v2, v157, v2
	scratch_store_b64 off, v[2:3], off offset:384
	v_cmpx_lt_u32_e32 47, v0
	s_cbranch_execz .LBB125_291
; %bb.290:
	scratch_load_b64 v[3:4], off, off offset:376
	v_mov_b32_e32 v2, v1
	scratch_store_b64 off, v[1:2], off offset:376
	s_wait_loadcnt 0x0
	ds_store_b64 v159, v[3:4]
.LBB125_291:
	s_wait_alu 0xfffe
	s_or_b32 exec_lo, exec_lo, s0
	s_wait_storecnt_dscnt 0x0
	s_barrier_signal -1
	s_barrier_wait -1
	global_inv scope:SCOPE_SE
	s_clause 0x7
	scratch_load_b128 v[2:5], off, off offset:384
	scratch_load_b128 v[6:9], off, off offset:400
	;; [unrolled: 1-line block ×7, first 2 shown]
	scratch_load_b64 v[30:31], off, off offset:376
	ds_load_b128 v[160:163], v1 offset:880
	ds_load_b128 v[164:167], v1 offset:896
	;; [unrolled: 1-line block ×7, first 2 shown]
	s_mov_b32 s0, exec_lo
	s_wait_loadcnt_dscnt 0x706
	v_dual_mul_f32 v1, v160, v3 :: v_dual_mul_f32 v32, v162, v5
	v_mul_f32_e32 v3, v161, v3
	v_mul_f32_e32 v5, v163, v5
	s_wait_loadcnt_dscnt 0x605
	v_dual_mul_f32 v157, v164, v7 :: v_dual_mul_f32 v158, v166, v9
	v_fmac_f32_e32 v32, v163, v4
	v_fma_f32 v3, v160, v2, -v3
	s_wait_loadcnt_dscnt 0x504
	v_dual_mul_f32 v188, v168, v11 :: v_dual_mul_f32 v189, v170, v13
	v_dual_fmac_f32 v1, v161, v2 :: v_dual_fmac_f32 v158, v167, v8
	v_mul_f32_e32 v2, v165, v7
	v_fma_f32 v4, v162, v4, -v5
	s_delay_alu instid0(VALU_DEP_4) | instskip(SKIP_3) | instid1(VALU_DEP_3)
	v_dual_add_f32 v3, 0, v3 :: v_dual_fmac_f32 v188, v169, v10
	s_wait_loadcnt_dscnt 0x403
	v_dual_mul_f32 v190, v172, v15 :: v_dual_mul_f32 v191, v174, v17
	v_add_f32_e32 v1, 0, v1
	v_dual_add_f32 v3, v3, v4 :: v_dual_mul_f32 v4, v169, v11
	v_fma_f32 v2, v164, v6, -v2
	s_delay_alu instid0(VALU_DEP_4)
	v_fmac_f32_e32 v190, v173, v14
	s_wait_loadcnt_dscnt 0x302
	v_dual_add_f32 v1, v1, v32 :: v_dual_mul_f32 v192, v176, v19
	v_mul_f32_e32 v193, v178, v21
	v_fma_f32 v4, v168, v10, -v4
	v_mul_f32_e32 v5, v167, v9
	v_add_f32_e32 v2, v3, v2
	v_dual_mul_f32 v3, v171, v13 :: v_dual_fmac_f32 v192, v177, v18
	s_wait_loadcnt_dscnt 0x201
	v_dual_mul_f32 v194, v180, v23 :: v_dual_mul_f32 v195, v182, v25
	v_fma_f32 v5, v166, v8, -v5
	v_fmac_f32_e32 v157, v165, v6
	v_fma_f32 v3, v170, v12, -v3
	s_wait_loadcnt_dscnt 0x100
	v_dual_fmac_f32 v191, v175, v16 :: v_dual_mul_f32 v196, v184, v27
	v_mul_f32_e32 v197, v186, v29
	v_dual_add_f32 v2, v2, v5 :: v_dual_fmac_f32 v193, v179, v20
	v_fmac_f32_e32 v194, v181, v22
	s_delay_alu instid0(VALU_DEP_3) | instskip(NEXT) | instid1(VALU_DEP_3)
	v_dual_fmac_f32 v196, v185, v26 :: v_dual_fmac_f32 v197, v187, v28
	v_dual_add_f32 v2, v2, v4 :: v_dual_add_f32 v1, v1, v157
	v_mul_f32_e32 v4, v175, v17
	s_delay_alu instid0(VALU_DEP_2) | instskip(NEXT) | instid1(VALU_DEP_2)
	v_dual_add_f32 v2, v2, v3 :: v_dual_add_f32 v1, v1, v158
	v_fma_f32 v4, v174, v16, -v4
	v_mul_f32_e32 v5, v173, v15
	s_delay_alu instid0(VALU_DEP_1) | instskip(NEXT) | instid1(VALU_DEP_1)
	v_fma_f32 v5, v172, v14, -v5
	v_dual_fmac_f32 v189, v171, v12 :: v_dual_add_f32 v2, v2, v5
	s_delay_alu instid0(VALU_DEP_1) | instskip(NEXT) | instid1(VALU_DEP_1)
	v_dual_mul_f32 v5, v179, v21 :: v_dual_add_f32 v2, v2, v4
	v_fma_f32 v5, v178, v20, -v5
	v_mul_f32_e32 v3, v177, v19
	v_mul_f32_e32 v4, v181, v23
	s_delay_alu instid0(VALU_DEP_2) | instskip(SKIP_1) | instid1(VALU_DEP_3)
	v_fma_f32 v3, v176, v18, -v3
	v_add_f32_e32 v1, v1, v188
	v_fma_f32 v4, v180, v22, -v4
	s_delay_alu instid0(VALU_DEP_3) | instskip(NEXT) | instid1(VALU_DEP_1)
	v_dual_add_f32 v2, v2, v3 :: v_dual_mul_f32 v3, v183, v25
	v_add_f32_e32 v2, v2, v5
	s_delay_alu instid0(VALU_DEP_4) | instskip(SKIP_1) | instid1(VALU_DEP_4)
	v_add_f32_e32 v1, v1, v189
	v_mul_f32_e32 v5, v185, v27
	v_fma_f32 v3, v182, v24, -v3
	s_delay_alu instid0(VALU_DEP_3) | instskip(SKIP_3) | instid1(VALU_DEP_4)
	v_dual_add_f32 v2, v2, v4 :: v_dual_add_f32 v1, v1, v190
	v_mul_f32_e32 v4, v187, v29
	v_fmac_f32_e32 v195, v183, v24
	v_fma_f32 v5, v184, v26, -v5
	v_add_f32_e32 v2, v2, v3
	v_add_f32_e32 v1, v1, v191
	v_fma_f32 v3, v186, v28, -v4
	s_delay_alu instid0(VALU_DEP_2) | instskip(NEXT) | instid1(VALU_DEP_1)
	v_dual_add_f32 v2, v2, v5 :: v_dual_add_f32 v1, v1, v192
	v_dual_add_f32 v2, v2, v3 :: v_dual_add_f32 v1, v1, v193
	s_delay_alu instid0(VALU_DEP_1) | instskip(NEXT) | instid1(VALU_DEP_1)
	v_add_f32_e32 v1, v1, v194
	v_add_f32_e32 v1, v1, v195
	s_delay_alu instid0(VALU_DEP_1) | instskip(NEXT) | instid1(VALU_DEP_1)
	v_add_f32_e32 v1, v1, v196
	v_add_f32_e32 v3, v1, v197
	s_wait_loadcnt 0x0
	s_delay_alu instid0(VALU_DEP_1)
	v_dual_sub_f32 v1, v30, v2 :: v_dual_sub_f32 v2, v31, v3
	scratch_store_b64 off, v[1:2], off offset:376
	v_cmpx_lt_u32_e32 46, v0
	s_cbranch_execz .LBB125_293
; %bb.292:
	scratch_load_b64 v[1:2], off, off offset:368
	v_mov_b32_e32 v3, 0
	s_delay_alu instid0(VALU_DEP_1)
	v_mov_b32_e32 v4, v3
	scratch_store_b64 off, v[3:4], off offset:368
	s_wait_loadcnt 0x0
	ds_store_b64 v159, v[1:2]
.LBB125_293:
	s_wait_alu 0xfffe
	s_or_b32 exec_lo, exec_lo, s0
	s_wait_storecnt_dscnt 0x0
	s_barrier_signal -1
	s_barrier_wait -1
	global_inv scope:SCOPE_SE
	s_clause 0x8
	scratch_load_b128 v[2:5], off, off offset:376
	scratch_load_b128 v[6:9], off, off offset:392
	;; [unrolled: 1-line block ×7, first 2 shown]
	scratch_load_b64 v[30:31], off, off offset:488
	scratch_load_b64 v[157:158], off, off offset:368
	v_mov_b32_e32 v1, 0
	ds_load_2addr_b64 v[160:163], v1 offset0:109 offset1:110
	ds_load_2addr_b64 v[164:167], v1 offset0:111 offset1:112
	;; [unrolled: 1-line block ×7, first 2 shown]
	ds_load_b64 v[188:189], v1 offset:984
	s_mov_b32 s0, exec_lo
	s_wait_loadcnt_dscnt 0x807
	v_mul_f32_e32 v32, v160, v3
	v_dual_mul_f32 v3, v161, v3 :: v_dual_mul_f32 v190, v162, v5
	s_wait_loadcnt_dscnt 0x706
	v_mul_f32_e32 v191, v164, v7
	v_mul_f32_e32 v5, v163, v5
	s_wait_loadcnt_dscnt 0x302
	v_mul_f32_e32 v200, v182, v25
	v_fma_f32 v3, v160, v2, -v3
	s_wait_loadcnt_dscnt 0x100
	v_dual_mul_f32 v203, v188, v31 :: v_dual_fmac_f32 v32, v161, v2
	v_mul_f32_e32 v2, v165, v7
	s_delay_alu instid0(VALU_DEP_3) | instskip(SKIP_2) | instid1(VALU_DEP_4)
	v_dual_fmac_f32 v190, v163, v4 :: v_dual_add_f32 v3, 0, v3
	v_fma_f32 v4, v162, v4, -v5
	v_dual_mul_f32 v192, v166, v9 :: v_dual_mul_f32 v193, v168, v11
	v_fma_f32 v2, v164, v6, -v2
	v_fmac_f32_e32 v191, v165, v6
	s_delay_alu instid0(VALU_DEP_4) | instskip(SKIP_2) | instid1(VALU_DEP_3)
	v_add_f32_e32 v3, v3, v4
	v_dual_add_f32 v5, 0, v32 :: v_dual_mul_f32 v194, v170, v13
	v_dual_mul_f32 v195, v172, v15 :: v_dual_fmac_f32 v192, v167, v8
	v_add_f32_e32 v2, v3, v2
	s_delay_alu instid0(VALU_DEP_3) | instskip(NEXT) | instid1(VALU_DEP_4)
	v_dual_mul_f32 v7, v167, v9 :: v_dual_add_f32 v4, v5, v190
	v_dual_mul_f32 v5, v169, v11 :: v_dual_fmac_f32 v194, v171, v12
	v_dual_mul_f32 v196, v174, v17 :: v_dual_mul_f32 v197, v176, v19
	s_delay_alu instid0(VALU_DEP_3) | instskip(NEXT) | instid1(VALU_DEP_4)
	v_fma_f32 v6, v166, v8, -v7
	v_dual_add_f32 v3, v4, v191 :: v_dual_mul_f32 v4, v171, v13
	s_delay_alu instid0(VALU_DEP_4) | instskip(NEXT) | instid1(VALU_DEP_4)
	v_fma_f32 v5, v168, v10, -v5
	v_dual_fmac_f32 v195, v173, v14 :: v_dual_fmac_f32 v196, v175, v16
	s_delay_alu instid0(VALU_DEP_4) | instskip(SKIP_3) | instid1(VALU_DEP_4)
	v_add_f32_e32 v2, v2, v6
	v_fmac_f32_e32 v193, v169, v10
	v_dual_add_f32 v3, v3, v192 :: v_dual_mul_f32 v6, v173, v15
	v_fma_f32 v4, v170, v12, -v4
	v_add_f32_e32 v2, v2, v5
	v_mul_f32_e32 v5, v175, v17
	s_delay_alu instid0(VALU_DEP_4)
	v_add_f32_e32 v3, v3, v193
	v_fma_f32 v6, v172, v14, -v6
	v_dual_mul_f32 v198, v178, v21 :: v_dual_mul_f32 v199, v180, v23
	v_add_f32_e32 v2, v2, v4
	v_mul_f32_e32 v4, v177, v19
	v_fma_f32 v5, v174, v16, -v5
	v_fmac_f32_e32 v197, v177, v18
	v_dual_mul_f32 v201, v184, v27 :: v_dual_mul_f32 v202, v186, v29
	v_add_f32_e32 v2, v2, v6
	v_add_f32_e32 v3, v3, v194
	v_mul_f32_e32 v6, v179, v21
	v_fma_f32 v4, v176, v18, -v4
	v_fmac_f32_e32 v198, v179, v20
	s_delay_alu instid0(VALU_DEP_4) | instskip(NEXT) | instid1(VALU_DEP_4)
	v_dual_add_f32 v2, v2, v5 :: v_dual_add_f32 v3, v3, v195
	v_fma_f32 v6, v178, v20, -v6
	v_mul_f32_e32 v5, v181, v23
	s_delay_alu instid0(VALU_DEP_3) | instskip(NEXT) | instid1(VALU_DEP_4)
	v_dual_fmac_f32 v199, v181, v22 :: v_dual_add_f32 v2, v2, v4
	v_add_f32_e32 v3, v3, v196
	v_mul_f32_e32 v4, v183, v25
	s_delay_alu instid0(VALU_DEP_4) | instskip(SKIP_1) | instid1(VALU_DEP_4)
	v_fma_f32 v5, v180, v22, -v5
	v_dual_fmac_f32 v200, v183, v24 :: v_dual_fmac_f32 v201, v185, v26
	v_dual_add_f32 v2, v2, v6 :: v_dual_add_f32 v3, v3, v197
	v_mul_f32_e32 v6, v185, v27
	v_fma_f32 v4, v182, v24, -v4
	v_dual_fmac_f32 v202, v187, v28 :: v_dual_fmac_f32 v203, v189, v30
	s_delay_alu instid0(VALU_DEP_4) | instskip(NEXT) | instid1(VALU_DEP_4)
	v_dual_add_f32 v3, v3, v198 :: v_dual_add_f32 v2, v2, v5
	v_fma_f32 v6, v184, v26, -v6
	s_delay_alu instid0(VALU_DEP_2) | instskip(NEXT) | instid1(VALU_DEP_3)
	v_add_f32_e32 v3, v3, v199
	v_dual_mul_f32 v5, v187, v29 :: v_dual_add_f32 v2, v2, v4
	s_delay_alu instid0(VALU_DEP_2) | instskip(NEXT) | instid1(VALU_DEP_2)
	v_dual_mul_f32 v4, v189, v31 :: v_dual_add_f32 v3, v3, v200
	v_fma_f32 v5, v186, v28, -v5
	s_delay_alu instid0(VALU_DEP_3) | instskip(NEXT) | instid1(VALU_DEP_3)
	v_add_f32_e32 v2, v2, v6
	v_fma_f32 v4, v188, v30, -v4
	s_delay_alu instid0(VALU_DEP_4) | instskip(NEXT) | instid1(VALU_DEP_1)
	v_add_f32_e32 v3, v3, v201
	v_dual_add_f32 v2, v2, v5 :: v_dual_add_f32 v3, v3, v202
	s_delay_alu instid0(VALU_DEP_1) | instskip(SKIP_1) | instid1(VALU_DEP_1)
	v_dual_add_f32 v2, v2, v4 :: v_dual_add_f32 v3, v3, v203
	s_wait_loadcnt 0x0
	v_dual_sub_f32 v2, v157, v2 :: v_dual_sub_f32 v3, v158, v3
	scratch_store_b64 off, v[2:3], off offset:368
	v_cmpx_lt_u32_e32 45, v0
	s_cbranch_execz .LBB125_295
; %bb.294:
	scratch_load_b64 v[3:4], off, off offset:360
	v_mov_b32_e32 v2, v1
	scratch_store_b64 off, v[1:2], off offset:360
	s_wait_loadcnt 0x0
	ds_store_b64 v159, v[3:4]
.LBB125_295:
	s_wait_alu 0xfffe
	s_or_b32 exec_lo, exec_lo, s0
	s_wait_storecnt_dscnt 0x0
	s_barrier_signal -1
	s_barrier_wait -1
	global_inv scope:SCOPE_SE
	s_clause 0x8
	scratch_load_b128 v[2:5], off, off offset:368
	scratch_load_b128 v[6:9], off, off offset:384
	scratch_load_b128 v[10:13], off, off offset:400
	scratch_load_b128 v[14:17], off, off offset:416
	scratch_load_b128 v[18:21], off, off offset:432
	scratch_load_b128 v[22:25], off, off offset:448
	scratch_load_b128 v[26:29], off, off offset:464
	scratch_load_b128 v[160:163], off, off offset:480
	scratch_load_b64 v[30:31], off, off offset:360
	ds_load_b128 v[164:167], v1 offset:864
	ds_load_b128 v[168:171], v1 offset:880
	;; [unrolled: 1-line block ×8, first 2 shown]
	s_mov_b32 s0, exec_lo
	s_wait_loadcnt_dscnt 0x807
	v_dual_mul_f32 v1, v164, v3 :: v_dual_mul_f32 v32, v166, v5
	v_mul_f32_e32 v3, v165, v3
	v_mul_f32_e32 v5, v167, v5
	s_wait_loadcnt_dscnt 0x706
	v_dual_mul_f32 v157, v168, v7 :: v_dual_mul_f32 v158, v170, v9
	s_wait_loadcnt_dscnt 0x605
	v_dual_mul_f32 v196, v172, v11 :: v_dual_mul_f32 v197, v174, v13
	s_wait_loadcnt_dscnt 0x100
	v_mul_f32_e32 v206, v192, v161
	v_fma_f32 v3, v164, v2, -v3
	v_dual_mul_f32 v207, v194, v163 :: v_dual_fmac_f32 v32, v167, v4
	v_dual_fmac_f32 v1, v165, v2 :: v_dual_fmac_f32 v158, v171, v8
	v_mul_f32_e32 v2, v169, v7
	v_fma_f32 v4, v166, v4, -v5
	v_dual_add_f32 v3, 0, v3 :: v_dual_fmac_f32 v196, v173, v10
	v_dual_mul_f32 v198, v176, v15 :: v_dual_mul_f32 v199, v178, v17
	v_add_f32_e32 v1, 0, v1
	s_delay_alu instid0(VALU_DEP_3) | instskip(SKIP_1) | instid1(VALU_DEP_4)
	v_dual_add_f32 v3, v3, v4 :: v_dual_mul_f32 v4, v173, v11
	v_fma_f32 v2, v168, v6, -v2
	v_fmac_f32_e32 v198, v177, v14
	s_delay_alu instid0(VALU_DEP_4)
	v_dual_add_f32 v1, v1, v32 :: v_dual_mul_f32 v200, v180, v19
	v_mul_f32_e32 v201, v182, v21
	v_fma_f32 v4, v172, v10, -v4
	v_mul_f32_e32 v5, v171, v9
	v_add_f32_e32 v2, v3, v2
	v_dual_mul_f32 v3, v175, v13 :: v_dual_fmac_f32 v200, v181, v18
	v_dual_mul_f32 v202, v184, v23 :: v_dual_mul_f32 v203, v186, v25
	s_delay_alu instid0(VALU_DEP_4) | instskip(SKIP_1) | instid1(VALU_DEP_4)
	v_fma_f32 v5, v170, v8, -v5
	v_fmac_f32_e32 v157, v169, v6
	v_fma_f32 v3, v174, v12, -v3
	v_dual_fmac_f32 v199, v179, v16 :: v_dual_mul_f32 v204, v188, v27
	v_mul_f32_e32 v205, v190, v29
	v_dual_add_f32 v2, v2, v5 :: v_dual_fmac_f32 v201, v183, v20
	v_fmac_f32_e32 v207, v195, v162
	s_delay_alu instid0(VALU_DEP_3) | instskip(NEXT) | instid1(VALU_DEP_3)
	v_dual_fmac_f32 v204, v189, v26 :: v_dual_fmac_f32 v205, v191, v28
	v_dual_add_f32 v2, v2, v4 :: v_dual_add_f32 v1, v1, v157
	v_mul_f32_e32 v4, v179, v17
	v_fmac_f32_e32 v202, v185, v22
	v_fmac_f32_e32 v206, v193, v160
	s_delay_alu instid0(VALU_DEP_4) | instskip(NEXT) | instid1(VALU_DEP_4)
	v_dual_add_f32 v2, v2, v3 :: v_dual_add_f32 v1, v1, v158
	v_fma_f32 v4, v178, v16, -v4
	v_mul_f32_e32 v5, v177, v15
	s_delay_alu instid0(VALU_DEP_1) | instskip(NEXT) | instid1(VALU_DEP_1)
	v_fma_f32 v5, v176, v14, -v5
	v_dual_fmac_f32 v197, v175, v12 :: v_dual_add_f32 v2, v2, v5
	s_delay_alu instid0(VALU_DEP_1) | instskip(NEXT) | instid1(VALU_DEP_1)
	v_dual_mul_f32 v5, v183, v21 :: v_dual_add_f32 v2, v2, v4
	v_fma_f32 v5, v182, v20, -v5
	v_mul_f32_e32 v3, v181, v19
	v_mul_f32_e32 v4, v185, v23
	s_delay_alu instid0(VALU_DEP_2) | instskip(SKIP_1) | instid1(VALU_DEP_3)
	v_fma_f32 v3, v180, v18, -v3
	v_add_f32_e32 v1, v1, v196
	v_fma_f32 v4, v184, v22, -v4
	s_delay_alu instid0(VALU_DEP_3) | instskip(NEXT) | instid1(VALU_DEP_1)
	v_dual_add_f32 v2, v2, v3 :: v_dual_mul_f32 v3, v187, v25
	v_add_f32_e32 v2, v2, v5
	s_delay_alu instid0(VALU_DEP_4) | instskip(NEXT) | instid1(VALU_DEP_3)
	v_add_f32_e32 v1, v1, v197
	v_fma_f32 v3, v186, v24, -v3
	s_delay_alu instid0(VALU_DEP_2) | instskip(SKIP_1) | instid1(VALU_DEP_2)
	v_dual_add_f32 v2, v2, v4 :: v_dual_add_f32 v1, v1, v198
	v_mul_f32_e32 v4, v191, v29
	v_dual_fmac_f32 v203, v187, v24 :: v_dual_add_f32 v2, v2, v3
	v_mul_f32_e32 v3, v193, v161
	s_delay_alu instid0(VALU_DEP_3) | instskip(SKIP_1) | instid1(VALU_DEP_3)
	v_fma_f32 v4, v190, v28, -v4
	v_mul_f32_e32 v5, v189, v27
	v_fma_f32 v3, v192, v160, -v3
	s_delay_alu instid0(VALU_DEP_2) | instskip(NEXT) | instid1(VALU_DEP_1)
	v_fma_f32 v5, v188, v26, -v5
	v_dual_add_f32 v1, v1, v199 :: v_dual_add_f32 v2, v2, v5
	s_delay_alu instid0(VALU_DEP_1) | instskip(NEXT) | instid1(VALU_DEP_2)
	v_dual_mul_f32 v5, v195, v163 :: v_dual_add_f32 v2, v2, v4
	v_add_f32_e32 v1, v1, v200
	s_delay_alu instid0(VALU_DEP_2) | instskip(NEXT) | instid1(VALU_DEP_2)
	v_fma_f32 v4, v194, v162, -v5
	v_dual_add_f32 v2, v2, v3 :: v_dual_add_f32 v1, v1, v201
	s_delay_alu instid0(VALU_DEP_1) | instskip(NEXT) | instid1(VALU_DEP_1)
	v_dual_add_f32 v2, v2, v4 :: v_dual_add_f32 v1, v1, v202
	v_add_f32_e32 v1, v1, v203
	s_delay_alu instid0(VALU_DEP_1) | instskip(NEXT) | instid1(VALU_DEP_1)
	v_add_f32_e32 v1, v1, v204
	v_add_f32_e32 v1, v1, v205
	s_delay_alu instid0(VALU_DEP_1) | instskip(NEXT) | instid1(VALU_DEP_1)
	v_add_f32_e32 v1, v1, v206
	v_add_f32_e32 v3, v1, v207
	s_wait_loadcnt 0x0
	s_delay_alu instid0(VALU_DEP_1)
	v_dual_sub_f32 v1, v30, v2 :: v_dual_sub_f32 v2, v31, v3
	scratch_store_b64 off, v[1:2], off offset:360
	v_cmpx_lt_u32_e32 44, v0
	s_cbranch_execz .LBB125_297
; %bb.296:
	scratch_load_b64 v[1:2], off, off offset:352
	v_mov_b32_e32 v3, 0
	s_delay_alu instid0(VALU_DEP_1)
	v_mov_b32_e32 v4, v3
	scratch_store_b64 off, v[3:4], off offset:352
	s_wait_loadcnt 0x0
	ds_store_b64 v159, v[1:2]
.LBB125_297:
	s_wait_alu 0xfffe
	s_or_b32 exec_lo, exec_lo, s0
	s_wait_storecnt_dscnt 0x0
	s_barrier_signal -1
	s_barrier_wait -1
	global_inv scope:SCOPE_SE
	s_clause 0x9
	scratch_load_b128 v[2:5], off, off offset:360
	scratch_load_b128 v[6:9], off, off offset:376
	scratch_load_b128 v[10:13], off, off offset:392
	scratch_load_b128 v[14:17], off, off offset:408
	scratch_load_b128 v[18:21], off, off offset:424
	scratch_load_b128 v[22:25], off, off offset:440
	scratch_load_b128 v[26:29], off, off offset:456
	scratch_load_b128 v[160:163], off, off offset:472
	scratch_load_b64 v[30:31], off, off offset:488
	scratch_load_b64 v[157:158], off, off offset:352
	v_mov_b32_e32 v1, 0
	ds_load_2addr_b64 v[164:167], v1 offset0:107 offset1:108
	ds_load_2addr_b64 v[168:171], v1 offset0:109 offset1:110
	;; [unrolled: 1-line block ×8, first 2 shown]
	ds_load_b64 v[196:197], v1 offset:984
	s_mov_b32 s0, exec_lo
	s_wait_loadcnt_dscnt 0x908
	v_mul_f32_e32 v32, v164, v3
	s_wait_loadcnt_dscnt 0x807
	v_dual_mul_f32 v198, v166, v5 :: v_dual_mul_f32 v199, v168, v7
	v_mul_f32_e32 v3, v165, v3
	s_delay_alu instid0(VALU_DEP_3)
	v_dual_mul_f32 v5, v167, v5 :: v_dual_fmac_f32 v32, v165, v2
	s_wait_loadcnt_dscnt 0x302
	v_mul_f32_e32 v210, v190, v29
	v_dual_mul_f32 v200, v170, v9 :: v_dual_mul_f32 v201, v172, v11
	v_fma_f32 v3, v164, v2, -v3
	s_wait_loadcnt_dscnt 0x100
	v_mul_f32_e32 v213, v196, v31
	v_mul_f32_e32 v2, v169, v7
	v_fmac_f32_e32 v198, v167, v4
	v_fma_f32 v4, v166, v4, -v5
	v_add_f32_e32 v3, 0, v3
	v_dual_fmac_f32 v199, v169, v6 :: v_dual_fmac_f32 v200, v171, v8
	v_fma_f32 v2, v168, v6, -v2
	v_dual_mul_f32 v202, v174, v13 :: v_dual_mul_f32 v203, v176, v15
	s_delay_alu instid0(VALU_DEP_4) | instskip(SKIP_2) | instid1(VALU_DEP_4)
	v_add_f32_e32 v3, v3, v4
	v_dual_add_f32 v5, 0, v32 :: v_dual_mul_f32 v204, v178, v17
	v_mul_f32_e32 v205, v180, v19
	v_fmac_f32_e32 v203, v177, v14
	s_delay_alu instid0(VALU_DEP_4) | instskip(NEXT) | instid1(VALU_DEP_4)
	v_add_f32_e32 v2, v3, v2
	v_dual_mul_f32 v7, v171, v9 :: v_dual_add_f32 v4, v5, v198
	v_dual_mul_f32 v5, v173, v11 :: v_dual_fmac_f32 v202, v175, v12
	v_fmac_f32_e32 v204, v179, v16
	s_delay_alu instid0(VALU_DEP_3) | instskip(NEXT) | instid1(VALU_DEP_4)
	v_fma_f32 v6, v170, v8, -v7
	v_dual_add_f32 v3, v4, v199 :: v_dual_mul_f32 v4, v175, v13
	s_delay_alu instid0(VALU_DEP_4) | instskip(SKIP_1) | instid1(VALU_DEP_4)
	v_fma_f32 v5, v172, v10, -v5
	v_dual_mul_f32 v206, v182, v21 :: v_dual_mul_f32 v207, v184, v23
	v_add_f32_e32 v2, v2, v6
	v_fmac_f32_e32 v201, v173, v10
	v_dual_add_f32 v3, v3, v200 :: v_dual_mul_f32 v6, v177, v15
	v_fma_f32 v4, v174, v12, -v4
	s_delay_alu instid0(VALU_DEP_4) | instskip(SKIP_1) | instid1(VALU_DEP_4)
	v_add_f32_e32 v2, v2, v5
	v_mul_f32_e32 v5, v179, v17
	v_add_f32_e32 v3, v3, v201
	v_fma_f32 v6, v176, v14, -v6
	v_dual_mul_f32 v208, v186, v25 :: v_dual_mul_f32 v209, v188, v27
	v_add_f32_e32 v2, v2, v4
	v_mul_f32_e32 v4, v181, v19
	v_fma_f32 v5, v178, v16, -v5
	v_dual_fmac_f32 v205, v181, v18 :: v_dual_fmac_f32 v206, v183, v20
	s_delay_alu instid0(VALU_DEP_4) | instskip(SKIP_3) | instid1(VALU_DEP_4)
	v_add_f32_e32 v2, v2, v6
	v_add_f32_e32 v3, v3, v202
	v_mul_f32_e32 v6, v183, v21
	v_fma_f32 v4, v180, v18, -v4
	v_dual_fmac_f32 v207, v185, v22 :: v_dual_add_f32 v2, v2, v5
	s_delay_alu instid0(VALU_DEP_4) | instskip(NEXT) | instid1(VALU_DEP_4)
	v_add_f32_e32 v3, v3, v203
	v_fma_f32 v6, v182, v20, -v6
	v_dual_mul_f32 v5, v185, v23 :: v_dual_fmac_f32 v208, v187, v24
	s_delay_alu instid0(VALU_DEP_4) | instskip(NEXT) | instid1(VALU_DEP_4)
	v_dual_fmac_f32 v209, v189, v26 :: v_dual_add_f32 v2, v2, v4
	v_add_f32_e32 v3, v3, v204
	v_mul_f32_e32 v4, v187, v25
	s_delay_alu instid0(VALU_DEP_4) | instskip(SKIP_1) | instid1(VALU_DEP_4)
	v_fma_f32 v5, v184, v22, -v5
	v_dual_mul_f32 v211, v192, v161 :: v_dual_mul_f32 v212, v194, v163
	v_dual_add_f32 v2, v2, v6 :: v_dual_add_f32 v3, v3, v205
	v_mul_f32_e32 v6, v189, v27
	v_fma_f32 v4, v186, v24, -v4
	v_fmac_f32_e32 v210, v191, v28
	v_fmac_f32_e32 v212, v195, v162
	v_dual_add_f32 v3, v3, v206 :: v_dual_add_f32 v2, v2, v5
	v_fma_f32 v6, v188, v26, -v6
	v_fmac_f32_e32 v211, v193, v160
	s_delay_alu instid0(VALU_DEP_3) | instskip(NEXT) | instid1(VALU_DEP_4)
	v_add_f32_e32 v3, v3, v207
	v_dual_mul_f32 v5, v191, v29 :: v_dual_add_f32 v2, v2, v4
	s_delay_alu instid0(VALU_DEP_2) | instskip(NEXT) | instid1(VALU_DEP_2)
	v_dual_mul_f32 v4, v193, v161 :: v_dual_add_f32 v3, v3, v208
	v_fma_f32 v5, v190, v28, -v5
	s_delay_alu instid0(VALU_DEP_3) | instskip(SKIP_1) | instid1(VALU_DEP_4)
	v_add_f32_e32 v2, v2, v6
	v_mul_f32_e32 v6, v195, v163
	v_fma_f32 v4, v192, v160, -v4
	v_add_f32_e32 v3, v3, v209
	s_delay_alu instid0(VALU_DEP_4) | instskip(NEXT) | instid1(VALU_DEP_4)
	v_dual_add_f32 v2, v2, v5 :: v_dual_mul_f32 v5, v197, v31
	v_fma_f32 v6, v194, v162, -v6
	s_delay_alu instid0(VALU_DEP_2) | instskip(NEXT) | instid1(VALU_DEP_3)
	v_dual_add_f32 v3, v3, v210 :: v_dual_add_f32 v2, v2, v4
	v_fma_f32 v4, v196, v30, -v5
	s_delay_alu instid0(VALU_DEP_2) | instskip(NEXT) | instid1(VALU_DEP_1)
	v_dual_add_f32 v3, v3, v211 :: v_dual_add_f32 v2, v2, v6
	v_add_f32_e32 v3, v3, v212
	s_delay_alu instid0(VALU_DEP_2) | instskip(SKIP_1) | instid1(VALU_DEP_1)
	v_dual_fmac_f32 v213, v197, v30 :: v_dual_add_f32 v2, v2, v4
	s_wait_loadcnt 0x0
	v_dual_add_f32 v3, v3, v213 :: v_dual_sub_f32 v2, v157, v2
	s_delay_alu instid0(VALU_DEP_1)
	v_sub_f32_e32 v3, v158, v3
	scratch_store_b64 off, v[2:3], off offset:352
	v_cmpx_lt_u32_e32 43, v0
	s_cbranch_execz .LBB125_299
; %bb.298:
	scratch_load_b64 v[3:4], off, off offset:344
	v_mov_b32_e32 v2, v1
	scratch_store_b64 off, v[1:2], off offset:344
	s_wait_loadcnt 0x0
	ds_store_b64 v159, v[3:4]
.LBB125_299:
	s_wait_alu 0xfffe
	s_or_b32 exec_lo, exec_lo, s0
	s_wait_storecnt_dscnt 0x0
	s_barrier_signal -1
	s_barrier_wait -1
	global_inv scope:SCOPE_SE
	s_clause 0x9
	scratch_load_b128 v[2:5], off, off offset:352
	scratch_load_b128 v[6:9], off, off offset:368
	;; [unrolled: 1-line block ×9, first 2 shown]
	scratch_load_b64 v[30:31], off, off offset:344
	ds_load_b128 v[168:171], v1 offset:848
	ds_load_b128 v[172:175], v1 offset:864
	;; [unrolled: 1-line block ×9, first 2 shown]
	s_mov_b32 s0, exec_lo
	s_wait_loadcnt_dscnt 0x908
	v_dual_mul_f32 v1, v168, v3 :: v_dual_mul_f32 v32, v170, v5
	v_mul_f32_e32 v5, v171, v5
	v_mul_f32_e32 v3, v169, v3
	s_wait_loadcnt_dscnt 0x807
	v_dual_mul_f32 v157, v172, v7 :: v_dual_mul_f32 v158, v174, v9
	s_wait_loadcnt_dscnt 0x706
	v_dual_mul_f32 v204, v176, v11 :: v_dual_mul_f32 v205, v178, v13
	s_wait_loadcnt_dscnt 0x201
	v_mul_f32_e32 v214, v196, v161
	v_fma_f32 v3, v168, v2, -v3
	s_wait_loadcnt_dscnt 0x100
	v_dual_mul_f32 v217, v202, v167 :: v_dual_fmac_f32 v32, v171, v4
	v_dual_fmac_f32 v1, v169, v2 :: v_dual_fmac_f32 v158, v175, v8
	v_mul_f32_e32 v2, v173, v7
	v_fma_f32 v4, v170, v4, -v5
	v_dual_add_f32 v3, 0, v3 :: v_dual_fmac_f32 v204, v177, v10
	v_dual_mul_f32 v206, v180, v15 :: v_dual_mul_f32 v207, v182, v17
	v_add_f32_e32 v1, 0, v1
	s_delay_alu instid0(VALU_DEP_3) | instskip(SKIP_1) | instid1(VALU_DEP_4)
	v_dual_add_f32 v3, v3, v4 :: v_dual_mul_f32 v4, v177, v11
	v_fma_f32 v2, v172, v6, -v2
	v_fmac_f32_e32 v206, v181, v14
	s_delay_alu instid0(VALU_DEP_4)
	v_dual_add_f32 v1, v1, v32 :: v_dual_mul_f32 v208, v184, v19
	v_mul_f32_e32 v209, v186, v21
	v_fma_f32 v4, v176, v10, -v4
	v_mul_f32_e32 v5, v175, v9
	v_add_f32_e32 v2, v3, v2
	v_dual_mul_f32 v3, v179, v13 :: v_dual_fmac_f32 v208, v185, v18
	v_dual_mul_f32 v210, v188, v23 :: v_dual_mul_f32 v211, v190, v25
	s_delay_alu instid0(VALU_DEP_4) | instskip(SKIP_1) | instid1(VALU_DEP_4)
	v_fma_f32 v5, v174, v8, -v5
	v_fmac_f32_e32 v157, v173, v6
	v_fma_f32 v3, v178, v12, -v3
	v_dual_fmac_f32 v207, v183, v16 :: v_dual_mul_f32 v212, v192, v27
	v_mul_f32_e32 v213, v194, v29
	v_add_f32_e32 v2, v2, v5
	v_dual_mul_f32 v215, v198, v163 :: v_dual_mul_f32 v216, v200, v165
	s_delay_alu instid0(VALU_DEP_4) | instskip(NEXT) | instid1(VALU_DEP_3)
	v_dual_fmac_f32 v209, v187, v20 :: v_dual_fmac_f32 v212, v193, v26
	v_dual_add_f32 v2, v2, v4 :: v_dual_add_f32 v1, v1, v157
	v_mul_f32_e32 v4, v183, v17
	v_fmac_f32_e32 v213, v195, v28
	s_delay_alu instid0(VALU_DEP_3) | instskip(NEXT) | instid1(VALU_DEP_4)
	v_dual_fmac_f32 v217, v203, v166 :: v_dual_add_f32 v2, v2, v3
	v_add_f32_e32 v1, v1, v158
	s_delay_alu instid0(VALU_DEP_4) | instskip(SKIP_4) | instid1(VALU_DEP_4)
	v_fma_f32 v4, v182, v16, -v4
	v_mul_f32_e32 v5, v181, v15
	v_fmac_f32_e32 v210, v189, v22
	v_fmac_f32_e32 v214, v197, v160
	;; [unrolled: 1-line block ×3, first 2 shown]
	v_fma_f32 v5, v180, v14, -v5
	s_delay_alu instid0(VALU_DEP_1) | instskip(NEXT) | instid1(VALU_DEP_1)
	v_dual_fmac_f32 v205, v179, v12 :: v_dual_add_f32 v2, v2, v5
	v_dual_mul_f32 v5, v187, v21 :: v_dual_add_f32 v2, v2, v4
	s_delay_alu instid0(VALU_DEP_1) | instskip(SKIP_2) | instid1(VALU_DEP_2)
	v_fma_f32 v5, v186, v20, -v5
	v_mul_f32_e32 v3, v185, v19
	v_mul_f32_e32 v4, v189, v23
	v_fma_f32 v3, v184, v18, -v3
	v_add_f32_e32 v1, v1, v204
	s_delay_alu instid0(VALU_DEP_3) | instskip(NEXT) | instid1(VALU_DEP_3)
	v_fma_f32 v4, v188, v22, -v4
	v_dual_add_f32 v2, v2, v3 :: v_dual_mul_f32 v3, v191, v25
	s_delay_alu instid0(VALU_DEP_1) | instskip(NEXT) | instid1(VALU_DEP_4)
	v_add_f32_e32 v2, v2, v5
	v_add_f32_e32 v1, v1, v205
	s_delay_alu instid0(VALU_DEP_3) | instskip(NEXT) | instid1(VALU_DEP_2)
	v_fma_f32 v3, v190, v24, -v3
	v_dual_add_f32 v2, v2, v4 :: v_dual_add_f32 v1, v1, v206
	v_mul_f32_e32 v4, v195, v29
	s_delay_alu instid0(VALU_DEP_2) | instskip(SKIP_1) | instid1(VALU_DEP_3)
	v_dual_fmac_f32 v211, v191, v24 :: v_dual_add_f32 v2, v2, v3
	v_mul_f32_e32 v3, v197, v161
	v_fma_f32 v4, v194, v28, -v4
	v_mul_f32_e32 v5, v193, v27
	s_delay_alu instid0(VALU_DEP_3) | instskip(NEXT) | instid1(VALU_DEP_2)
	v_fma_f32 v3, v196, v160, -v3
	v_fma_f32 v5, v192, v26, -v5
	s_delay_alu instid0(VALU_DEP_1) | instskip(NEXT) | instid1(VALU_DEP_1)
	v_dual_add_f32 v1, v1, v207 :: v_dual_add_f32 v2, v2, v5
	v_dual_mul_f32 v5, v199, v163 :: v_dual_add_f32 v2, v2, v4
	s_delay_alu instid0(VALU_DEP_2) | instskip(SKIP_1) | instid1(VALU_DEP_3)
	v_add_f32_e32 v1, v1, v208
	v_mul_f32_e32 v4, v201, v165
	v_fma_f32 v5, v198, v162, -v5
	s_delay_alu instid0(VALU_DEP_4) | instskip(SKIP_1) | instid1(VALU_DEP_4)
	v_dual_add_f32 v2, v2, v3 :: v_dual_fmac_f32 v215, v199, v162
	v_mul_f32_e32 v3, v203, v167
	v_fma_f32 v4, v200, v164, -v4
	s_delay_alu instid0(VALU_DEP_3) | instskip(SKIP_1) | instid1(VALU_DEP_4)
	v_add_f32_e32 v2, v2, v5
	v_add_f32_e32 v1, v1, v209
	v_fma_f32 v3, v202, v166, -v3
	s_delay_alu instid0(VALU_DEP_2) | instskip(NEXT) | instid1(VALU_DEP_1)
	v_dual_add_f32 v2, v2, v4 :: v_dual_add_f32 v1, v1, v210
	v_add_f32_e32 v2, v2, v3
	s_delay_alu instid0(VALU_DEP_2) | instskip(NEXT) | instid1(VALU_DEP_1)
	v_add_f32_e32 v1, v1, v211
	v_add_f32_e32 v1, v1, v212
	s_delay_alu instid0(VALU_DEP_1) | instskip(NEXT) | instid1(VALU_DEP_1)
	v_add_f32_e32 v1, v1, v213
	v_add_f32_e32 v1, v1, v214
	s_delay_alu instid0(VALU_DEP_1) | instskip(NEXT) | instid1(VALU_DEP_1)
	v_add_f32_e32 v1, v1, v215
	v_add_f32_e32 v1, v1, v216
	s_delay_alu instid0(VALU_DEP_1) | instskip(SKIP_1) | instid1(VALU_DEP_1)
	v_add_f32_e32 v3, v1, v217
	s_wait_loadcnt 0x0
	v_dual_sub_f32 v1, v30, v2 :: v_dual_sub_f32 v2, v31, v3
	scratch_store_b64 off, v[1:2], off offset:344
	v_cmpx_lt_u32_e32 42, v0
	s_cbranch_execz .LBB125_301
; %bb.300:
	scratch_load_b64 v[1:2], off, off offset:336
	v_mov_b32_e32 v3, 0
	s_delay_alu instid0(VALU_DEP_1)
	v_mov_b32_e32 v4, v3
	scratch_store_b64 off, v[3:4], off offset:336
	s_wait_loadcnt 0x0
	ds_store_b64 v159, v[1:2]
.LBB125_301:
	s_wait_alu 0xfffe
	s_or_b32 exec_lo, exec_lo, s0
	s_wait_storecnt_dscnt 0x0
	s_barrier_signal -1
	s_barrier_wait -1
	global_inv scope:SCOPE_SE
	s_clause 0xa
	scratch_load_b128 v[2:5], off, off offset:344
	scratch_load_b128 v[6:9], off, off offset:360
	;; [unrolled: 1-line block ×9, first 2 shown]
	scratch_load_b64 v[30:31], off, off offset:488
	scratch_load_b64 v[157:158], off, off offset:336
	v_mov_b32_e32 v1, 0
	ds_load_2addr_b64 v[168:171], v1 offset0:105 offset1:106
	ds_load_2addr_b64 v[172:175], v1 offset0:107 offset1:108
	;; [unrolled: 1-line block ×9, first 2 shown]
	ds_load_b64 v[204:205], v1 offset:984
	s_mov_b32 s0, exec_lo
	s_wait_loadcnt_dscnt 0xa09
	v_mul_f32_e32 v32, v168, v3
	s_wait_loadcnt_dscnt 0x908
	v_dual_mul_f32 v206, v170, v5 :: v_dual_mul_f32 v207, v172, v7
	v_mul_f32_e32 v3, v169, v3
	s_delay_alu instid0(VALU_DEP_3)
	v_dual_mul_f32 v5, v171, v5 :: v_dual_fmac_f32 v32, v169, v2
	s_wait_loadcnt_dscnt 0x403
	v_mul_f32_e32 v218, v194, v29
	v_dual_mul_f32 v208, v174, v9 :: v_dual_mul_f32 v209, v176, v11
	v_fma_f32 v3, v168, v2, -v3
	s_wait_loadcnt_dscnt 0x100
	v_mul_f32_e32 v223, v204, v31
	v_mul_f32_e32 v2, v173, v7
	v_fmac_f32_e32 v206, v171, v4
	v_fma_f32 v4, v170, v4, -v5
	v_add_f32_e32 v3, 0, v3
	v_dual_fmac_f32 v207, v173, v6 :: v_dual_fmac_f32 v208, v175, v8
	v_fma_f32 v2, v172, v6, -v2
	v_dual_mul_f32 v210, v178, v13 :: v_dual_mul_f32 v211, v180, v15
	s_delay_alu instid0(VALU_DEP_4) | instskip(SKIP_2) | instid1(VALU_DEP_4)
	v_add_f32_e32 v3, v3, v4
	v_dual_add_f32 v5, 0, v32 :: v_dual_mul_f32 v212, v182, v17
	v_mul_f32_e32 v213, v184, v19
	v_fmac_f32_e32 v211, v181, v14
	s_delay_alu instid0(VALU_DEP_4) | instskip(NEXT) | instid1(VALU_DEP_4)
	v_add_f32_e32 v2, v3, v2
	v_dual_mul_f32 v7, v175, v9 :: v_dual_add_f32 v4, v5, v206
	v_dual_mul_f32 v5, v177, v11 :: v_dual_fmac_f32 v210, v179, v12
	v_fmac_f32_e32 v212, v183, v16
	s_delay_alu instid0(VALU_DEP_3) | instskip(NEXT) | instid1(VALU_DEP_4)
	v_fma_f32 v6, v174, v8, -v7
	v_dual_add_f32 v3, v4, v207 :: v_dual_mul_f32 v4, v179, v13
	s_delay_alu instid0(VALU_DEP_4) | instskip(SKIP_1) | instid1(VALU_DEP_4)
	v_fma_f32 v5, v176, v10, -v5
	v_dual_mul_f32 v214, v186, v21 :: v_dual_mul_f32 v215, v188, v23
	v_add_f32_e32 v2, v2, v6
	v_fmac_f32_e32 v209, v177, v10
	v_dual_add_f32 v3, v3, v208 :: v_dual_mul_f32 v6, v181, v15
	v_fma_f32 v4, v178, v12, -v4
	s_delay_alu instid0(VALU_DEP_4) | instskip(SKIP_1) | instid1(VALU_DEP_4)
	v_add_f32_e32 v2, v2, v5
	v_mul_f32_e32 v5, v183, v17
	v_add_f32_e32 v3, v3, v209
	v_fma_f32 v6, v180, v14, -v6
	v_dual_mul_f32 v216, v190, v25 :: v_dual_mul_f32 v217, v192, v27
	v_add_f32_e32 v2, v2, v4
	v_mul_f32_e32 v4, v185, v19
	v_fma_f32 v5, v182, v16, -v5
	v_dual_fmac_f32 v213, v185, v18 :: v_dual_fmac_f32 v214, v187, v20
	s_delay_alu instid0(VALU_DEP_4) | instskip(SKIP_3) | instid1(VALU_DEP_4)
	v_add_f32_e32 v2, v2, v6
	v_add_f32_e32 v3, v3, v210
	v_mul_f32_e32 v6, v187, v21
	v_fma_f32 v4, v184, v18, -v4
	v_dual_fmac_f32 v215, v189, v22 :: v_dual_add_f32 v2, v2, v5
	s_delay_alu instid0(VALU_DEP_4) | instskip(NEXT) | instid1(VALU_DEP_4)
	v_add_f32_e32 v3, v3, v211
	v_fma_f32 v6, v186, v20, -v6
	v_dual_mul_f32 v5, v189, v23 :: v_dual_fmac_f32 v216, v191, v24
	s_delay_alu instid0(VALU_DEP_4) | instskip(NEXT) | instid1(VALU_DEP_4)
	v_dual_fmac_f32 v217, v193, v26 :: v_dual_add_f32 v2, v2, v4
	v_add_f32_e32 v3, v3, v212
	v_mul_f32_e32 v4, v191, v25
	s_delay_alu instid0(VALU_DEP_4) | instskip(SKIP_1) | instid1(VALU_DEP_4)
	v_fma_f32 v5, v188, v22, -v5
	v_dual_mul_f32 v219, v196, v161 :: v_dual_mul_f32 v220, v198, v163
	v_dual_add_f32 v2, v2, v6 :: v_dual_add_f32 v3, v3, v213
	v_mul_f32_e32 v6, v193, v27
	v_fma_f32 v4, v190, v24, -v4
	v_dual_fmac_f32 v218, v195, v28 :: v_dual_mul_f32 v221, v200, v165
	s_delay_alu instid0(VALU_DEP_4)
	v_dual_mul_f32 v222, v202, v167 :: v_dual_add_f32 v3, v3, v214
	v_add_f32_e32 v2, v2, v5
	v_fma_f32 v6, v192, v26, -v6
	v_dual_fmac_f32 v219, v197, v160 :: v_dual_fmac_f32 v220, v199, v162
	v_fmac_f32_e32 v221, v201, v164
	v_add_f32_e32 v3, v3, v215
	v_dual_mul_f32 v5, v195, v29 :: v_dual_add_f32 v2, v2, v4
	v_mul_f32_e32 v4, v197, v161
	v_fmac_f32_e32 v222, v203, v166
	s_delay_alu instid0(VALU_DEP_4) | instskip(NEXT) | instid1(VALU_DEP_4)
	v_add_f32_e32 v3, v3, v216
	v_fma_f32 v5, v194, v28, -v5
	v_add_f32_e32 v2, v2, v6
	v_mul_f32_e32 v6, v199, v163
	v_fma_f32 v4, v196, v160, -v4
	v_add_f32_e32 v3, v3, v217
	s_delay_alu instid0(VALU_DEP_4) | instskip(SKIP_2) | instid1(VALU_DEP_3)
	v_dual_fmac_f32 v223, v205, v30 :: v_dual_add_f32 v2, v2, v5
	v_mul_f32_e32 v5, v201, v165
	v_fma_f32 v6, v198, v162, -v6
	v_dual_add_f32 v3, v3, v218 :: v_dual_add_f32 v2, v2, v4
	v_mul_f32_e32 v4, v203, v167
	s_delay_alu instid0(VALU_DEP_4) | instskip(NEXT) | instid1(VALU_DEP_3)
	v_fma_f32 v5, v200, v164, -v5
	v_dual_add_f32 v3, v3, v219 :: v_dual_add_f32 v2, v2, v6
	s_delay_alu instid0(VALU_DEP_3) | instskip(NEXT) | instid1(VALU_DEP_2)
	v_fma_f32 v4, v202, v166, -v4
	v_dual_add_f32 v3, v3, v220 :: v_dual_mul_f32 v6, v205, v31
	s_delay_alu instid0(VALU_DEP_1) | instskip(NEXT) | instid1(VALU_DEP_4)
	v_add_f32_e32 v3, v3, v221
	v_add_f32_e32 v2, v2, v5
	s_delay_alu instid0(VALU_DEP_3) | instskip(NEXT) | instid1(VALU_DEP_2)
	v_fma_f32 v5, v204, v30, -v6
	v_dual_add_f32 v3, v3, v222 :: v_dual_add_f32 v2, v2, v4
	s_delay_alu instid0(VALU_DEP_1) | instskip(SKIP_1) | instid1(VALU_DEP_1)
	v_dual_add_f32 v3, v3, v223 :: v_dual_add_f32 v2, v2, v5
	s_wait_loadcnt 0x0
	v_dual_sub_f32 v3, v158, v3 :: v_dual_sub_f32 v2, v157, v2
	scratch_store_b64 off, v[2:3], off offset:336
	v_cmpx_lt_u32_e32 41, v0
	s_cbranch_execz .LBB125_303
; %bb.302:
	scratch_load_b64 v[3:4], off, off offset:328
	v_mov_b32_e32 v2, v1
	scratch_store_b64 off, v[1:2], off offset:328
	s_wait_loadcnt 0x0
	ds_store_b64 v159, v[3:4]
.LBB125_303:
	s_wait_alu 0xfffe
	s_or_b32 exec_lo, exec_lo, s0
	s_wait_storecnt_dscnt 0x0
	s_barrier_signal -1
	s_barrier_wait -1
	global_inv scope:SCOPE_SE
	s_clause 0xa
	scratch_load_b128 v[2:5], off, off offset:336
	scratch_load_b128 v[6:9], off, off offset:352
	;; [unrolled: 1-line block ×10, first 2 shown]
	scratch_load_b64 v[30:31], off, off offset:328
	ds_load_b128 v[172:175], v1 offset:832
	ds_load_b128 v[176:179], v1 offset:848
	;; [unrolled: 1-line block ×10, first 2 shown]
	s_mov_b32 s0, exec_lo
	s_wait_loadcnt_dscnt 0xa09
	v_dual_mul_f32 v1, v172, v3 :: v_dual_mul_f32 v32, v174, v5
	v_mul_f32_e32 v5, v175, v5
	s_wait_loadcnt_dscnt 0x908
	v_dual_mul_f32 v157, v176, v7 :: v_dual_mul_f32 v158, v178, v9
	v_mul_f32_e32 v3, v173, v3
	s_wait_loadcnt_dscnt 0x807
	v_dual_mul_f32 v212, v180, v11 :: v_dual_mul_f32 v213, v182, v13
	s_wait_loadcnt_dscnt 0x100
	v_dual_mul_f32 v224, v204, v165 :: v_dual_mul_f32 v227, v210, v171
	v_fmac_f32_e32 v32, v175, v4
	v_fma_f32 v3, v172, v2, -v3
	v_dual_fmac_f32 v1, v173, v2 :: v_dual_fmac_f32 v158, v179, v8
	v_mul_f32_e32 v2, v177, v7
	v_fma_f32 v4, v174, v4, -v5
	s_delay_alu instid0(VALU_DEP_4) | instskip(SKIP_2) | instid1(VALU_DEP_3)
	v_dual_add_f32 v3, 0, v3 :: v_dual_fmac_f32 v212, v181, v10
	v_dual_mul_f32 v214, v184, v15 :: v_dual_mul_f32 v215, v186, v17
	v_add_f32_e32 v1, 0, v1
	v_dual_add_f32 v3, v3, v4 :: v_dual_mul_f32 v4, v181, v11
	v_fma_f32 v2, v176, v6, -v2
	s_delay_alu instid0(VALU_DEP_4) | instskip(NEXT) | instid1(VALU_DEP_4)
	v_fmac_f32_e32 v214, v185, v14
	v_dual_add_f32 v1, v1, v32 :: v_dual_mul_f32 v216, v188, v19
	v_mul_f32_e32 v217, v190, v21
	v_fma_f32 v4, v180, v10, -v4
	v_mul_f32_e32 v5, v179, v9
	v_add_f32_e32 v2, v3, v2
	v_dual_mul_f32 v3, v183, v13 :: v_dual_fmac_f32 v216, v189, v18
	v_dual_mul_f32 v218, v192, v23 :: v_dual_mul_f32 v219, v194, v25
	s_delay_alu instid0(VALU_DEP_4) | instskip(SKIP_1) | instid1(VALU_DEP_4)
	v_fma_f32 v5, v178, v8, -v5
	v_fmac_f32_e32 v157, v177, v6
	v_fma_f32 v3, v182, v12, -v3
	v_dual_fmac_f32 v215, v187, v16 :: v_dual_mul_f32 v222, v200, v161
	v_mul_f32_e32 v223, v202, v163
	v_add_f32_e32 v2, v2, v5
	v_dual_mul_f32 v220, v196, v27 :: v_dual_mul_f32 v221, v198, v29
	v_fmac_f32_e32 v217, v191, v20
	v_dual_mul_f32 v225, v206, v167 :: v_dual_mul_f32 v226, v208, v169
	s_delay_alu instid0(VALU_DEP_4) | instskip(SKIP_2) | instid1(VALU_DEP_3)
	v_dual_add_f32 v2, v2, v4 :: v_dual_add_f32 v1, v1, v157
	v_mul_f32_e32 v4, v187, v17
	v_dual_fmac_f32 v221, v199, v28 :: v_dual_fmac_f32 v220, v197, v26
	v_dual_add_f32 v2, v2, v3 :: v_dual_add_f32 v1, v1, v158
	s_delay_alu instid0(VALU_DEP_3)
	v_fma_f32 v4, v186, v16, -v4
	v_mul_f32_e32 v5, v185, v15
	v_fmac_f32_e32 v225, v207, v166
	v_fmac_f32_e32 v227, v211, v170
	v_fmac_f32_e32 v218, v193, v22
	v_fmac_f32_e32 v222, v201, v160
	v_fma_f32 v5, v184, v14, -v5
	v_fmac_f32_e32 v213, v183, v12
	v_fmac_f32_e32 v224, v205, v164
	;; [unrolled: 1-line block ×3, first 2 shown]
	s_delay_alu instid0(VALU_DEP_4) | instskip(NEXT) | instid1(VALU_DEP_1)
	v_add_f32_e32 v2, v2, v5
	v_dual_mul_f32 v5, v191, v21 :: v_dual_add_f32 v2, v2, v4
	s_delay_alu instid0(VALU_DEP_1) | instskip(SKIP_2) | instid1(VALU_DEP_2)
	v_fma_f32 v5, v190, v20, -v5
	v_mul_f32_e32 v3, v189, v19
	v_mul_f32_e32 v4, v193, v23
	v_fma_f32 v3, v188, v18, -v3
	v_add_f32_e32 v1, v1, v212
	s_delay_alu instid0(VALU_DEP_3) | instskip(NEXT) | instid1(VALU_DEP_3)
	v_fma_f32 v4, v192, v22, -v4
	v_dual_add_f32 v2, v2, v3 :: v_dual_mul_f32 v3, v195, v25
	s_delay_alu instid0(VALU_DEP_1) | instskip(NEXT) | instid1(VALU_DEP_4)
	v_add_f32_e32 v2, v2, v5
	v_add_f32_e32 v1, v1, v213
	s_delay_alu instid0(VALU_DEP_3) | instskip(NEXT) | instid1(VALU_DEP_2)
	v_fma_f32 v3, v194, v24, -v3
	v_dual_add_f32 v2, v2, v4 :: v_dual_add_f32 v1, v1, v214
	v_mul_f32_e32 v4, v199, v29
	s_delay_alu instid0(VALU_DEP_2) | instskip(SKIP_1) | instid1(VALU_DEP_3)
	v_dual_fmac_f32 v219, v195, v24 :: v_dual_add_f32 v2, v2, v3
	v_mul_f32_e32 v3, v201, v161
	v_fma_f32 v4, v198, v28, -v4
	v_mul_f32_e32 v5, v197, v27
	s_delay_alu instid0(VALU_DEP_3) | instskip(NEXT) | instid1(VALU_DEP_2)
	v_fma_f32 v3, v200, v160, -v3
	v_fma_f32 v5, v196, v26, -v5
	s_delay_alu instid0(VALU_DEP_1) | instskip(NEXT) | instid1(VALU_DEP_1)
	v_dual_add_f32 v1, v1, v215 :: v_dual_add_f32 v2, v2, v5
	v_dual_mul_f32 v5, v203, v163 :: v_dual_add_f32 v2, v2, v4
	s_delay_alu instid0(VALU_DEP_2) | instskip(SKIP_1) | instid1(VALU_DEP_3)
	v_add_f32_e32 v1, v1, v216
	v_mul_f32_e32 v4, v205, v165
	v_fma_f32 v5, v202, v162, -v5
	s_delay_alu instid0(VALU_DEP_4) | instskip(SKIP_1) | instid1(VALU_DEP_4)
	v_dual_add_f32 v2, v2, v3 :: v_dual_fmac_f32 v223, v203, v162
	v_mul_f32_e32 v3, v207, v167
	v_fma_f32 v4, v204, v164, -v4
	s_delay_alu instid0(VALU_DEP_3) | instskip(SKIP_1) | instid1(VALU_DEP_4)
	v_add_f32_e32 v2, v2, v5
	v_add_f32_e32 v1, v1, v217
	v_fma_f32 v3, v206, v166, -v3
	s_delay_alu instid0(VALU_DEP_2) | instskip(SKIP_1) | instid1(VALU_DEP_2)
	v_dual_add_f32 v2, v2, v4 :: v_dual_add_f32 v1, v1, v218
	v_dual_mul_f32 v4, v211, v171 :: v_dual_mul_f32 v5, v209, v169
	v_add_f32_e32 v2, v2, v3
	s_delay_alu instid0(VALU_DEP_2) | instskip(NEXT) | instid1(VALU_DEP_3)
	v_fma_f32 v3, v210, v170, -v4
	v_fma_f32 v5, v208, v168, -v5
	s_delay_alu instid0(VALU_DEP_1) | instskip(NEXT) | instid1(VALU_DEP_1)
	v_dual_add_f32 v1, v1, v219 :: v_dual_add_f32 v2, v2, v5
	v_dual_add_f32 v1, v1, v220 :: v_dual_add_f32 v2, v2, v3
	s_delay_alu instid0(VALU_DEP_1) | instskip(NEXT) | instid1(VALU_DEP_1)
	v_add_f32_e32 v1, v1, v221
	v_add_f32_e32 v1, v1, v222
	s_delay_alu instid0(VALU_DEP_1) | instskip(NEXT) | instid1(VALU_DEP_1)
	v_add_f32_e32 v1, v1, v223
	v_add_f32_e32 v1, v1, v224
	;; [unrolled: 3-line block ×3, first 2 shown]
	s_delay_alu instid0(VALU_DEP_1) | instskip(SKIP_1) | instid1(VALU_DEP_1)
	v_add_f32_e32 v3, v1, v227
	s_wait_loadcnt 0x0
	v_dual_sub_f32 v1, v30, v2 :: v_dual_sub_f32 v2, v31, v3
	scratch_store_b64 off, v[1:2], off offset:328
	v_cmpx_lt_u32_e32 40, v0
	s_cbranch_execz .LBB125_305
; %bb.304:
	scratch_load_b64 v[1:2], off, off offset:320
	v_mov_b32_e32 v3, 0
	s_delay_alu instid0(VALU_DEP_1)
	v_mov_b32_e32 v4, v3
	scratch_store_b64 off, v[3:4], off offset:320
	s_wait_loadcnt 0x0
	ds_store_b64 v159, v[1:2]
.LBB125_305:
	s_wait_alu 0xfffe
	s_or_b32 exec_lo, exec_lo, s0
	s_wait_storecnt_dscnt 0x0
	s_barrier_signal -1
	s_barrier_wait -1
	global_inv scope:SCOPE_SE
	s_clause 0xb
	scratch_load_b128 v[2:5], off, off offset:328
	scratch_load_b128 v[6:9], off, off offset:344
	;; [unrolled: 1-line block ×10, first 2 shown]
	scratch_load_b64 v[30:31], off, off offset:488
	scratch_load_b64 v[157:158], off, off offset:320
	v_mov_b32_e32 v1, 0
	ds_load_2addr_b64 v[172:175], v1 offset0:103 offset1:104
	ds_load_2addr_b64 v[176:179], v1 offset0:105 offset1:106
	;; [unrolled: 1-line block ×10, first 2 shown]
	ds_load_b64 v[212:213], v1 offset:984
	s_mov_b32 s0, exec_lo
	s_wait_loadcnt_dscnt 0xb0a
	v_mul_f32_e32 v32, v172, v3
	s_wait_loadcnt_dscnt 0xa09
	v_dual_mul_f32 v214, v174, v5 :: v_dual_mul_f32 v215, v176, v7
	v_mul_f32_e32 v3, v173, v3
	v_mul_f32_e32 v5, v175, v5
	s_wait_loadcnt_dscnt 0x908
	v_dual_mul_f32 v216, v178, v9 :: v_dual_mul_f32 v217, v180, v11
	s_wait_loadcnt_dscnt 0x504
	v_mul_f32_e32 v226, v198, v29
	v_fma_f32 v3, v172, v2, -v3
	s_wait_loadcnt_dscnt 0x100
	v_dual_fmac_f32 v32, v173, v2 :: v_dual_mul_f32 v233, v212, v31
	v_mul_f32_e32 v2, v177, v7
	s_delay_alu instid0(VALU_DEP_3) | instskip(SKIP_2) | instid1(VALU_DEP_4)
	v_dual_fmac_f32 v214, v175, v4 :: v_dual_add_f32 v3, 0, v3
	v_fma_f32 v4, v174, v4, -v5
	v_dual_fmac_f32 v215, v177, v6 :: v_dual_fmac_f32 v216, v179, v8
	v_fma_f32 v2, v176, v6, -v2
	v_dual_mul_f32 v218, v182, v13 :: v_dual_mul_f32 v219, v184, v15
	s_delay_alu instid0(VALU_DEP_4) | instskip(SKIP_2) | instid1(VALU_DEP_4)
	v_add_f32_e32 v3, v3, v4
	v_dual_add_f32 v5, 0, v32 :: v_dual_mul_f32 v220, v186, v17
	v_mul_f32_e32 v221, v188, v19
	v_fmac_f32_e32 v219, v185, v14
	s_delay_alu instid0(VALU_DEP_4) | instskip(NEXT) | instid1(VALU_DEP_4)
	v_add_f32_e32 v2, v3, v2
	v_dual_mul_f32 v7, v179, v9 :: v_dual_add_f32 v4, v5, v214
	v_dual_mul_f32 v5, v181, v11 :: v_dual_fmac_f32 v218, v183, v12
	v_fmac_f32_e32 v220, v187, v16
	s_delay_alu instid0(VALU_DEP_3) | instskip(NEXT) | instid1(VALU_DEP_4)
	v_fma_f32 v6, v178, v8, -v7
	v_dual_add_f32 v3, v4, v215 :: v_dual_mul_f32 v4, v183, v13
	s_delay_alu instid0(VALU_DEP_4) | instskip(SKIP_1) | instid1(VALU_DEP_4)
	v_fma_f32 v5, v180, v10, -v5
	v_dual_mul_f32 v222, v190, v21 :: v_dual_mul_f32 v223, v192, v23
	v_add_f32_e32 v2, v2, v6
	v_fmac_f32_e32 v217, v181, v10
	v_dual_add_f32 v3, v3, v216 :: v_dual_mul_f32 v6, v185, v15
	v_fma_f32 v4, v182, v12, -v4
	s_delay_alu instid0(VALU_DEP_4) | instskip(SKIP_1) | instid1(VALU_DEP_4)
	v_add_f32_e32 v2, v2, v5
	v_mul_f32_e32 v5, v187, v17
	v_add_f32_e32 v3, v3, v217
	v_fma_f32 v6, v184, v14, -v6
	v_dual_mul_f32 v224, v194, v25 :: v_dual_mul_f32 v225, v196, v27
	v_add_f32_e32 v2, v2, v4
	v_mul_f32_e32 v4, v189, v19
	v_fma_f32 v5, v186, v16, -v5
	v_dual_fmac_f32 v221, v189, v18 :: v_dual_fmac_f32 v222, v191, v20
	s_delay_alu instid0(VALU_DEP_4) | instskip(SKIP_3) | instid1(VALU_DEP_4)
	v_add_f32_e32 v2, v2, v6
	v_add_f32_e32 v3, v3, v218
	v_mul_f32_e32 v6, v191, v21
	v_fma_f32 v4, v188, v18, -v4
	v_dual_fmac_f32 v223, v193, v22 :: v_dual_add_f32 v2, v2, v5
	s_delay_alu instid0(VALU_DEP_4) | instskip(NEXT) | instid1(VALU_DEP_4)
	v_add_f32_e32 v3, v3, v219
	v_fma_f32 v6, v190, v20, -v6
	v_dual_mul_f32 v5, v193, v23 :: v_dual_fmac_f32 v224, v195, v24
	s_delay_alu instid0(VALU_DEP_4) | instskip(NEXT) | instid1(VALU_DEP_4)
	v_dual_fmac_f32 v225, v197, v26 :: v_dual_add_f32 v2, v2, v4
	v_add_f32_e32 v3, v3, v220
	v_mul_f32_e32 v4, v195, v25
	s_delay_alu instid0(VALU_DEP_4) | instskip(SKIP_1) | instid1(VALU_DEP_4)
	v_fma_f32 v5, v192, v22, -v5
	v_dual_mul_f32 v227, v200, v161 :: v_dual_mul_f32 v228, v202, v163
	v_dual_add_f32 v2, v2, v6 :: v_dual_add_f32 v3, v3, v221
	v_mul_f32_e32 v6, v197, v27
	v_fma_f32 v4, v194, v24, -v4
	v_dual_fmac_f32 v226, v199, v28 :: v_dual_mul_f32 v229, v204, v165
	s_delay_alu instid0(VALU_DEP_4)
	v_dual_mul_f32 v230, v206, v167 :: v_dual_add_f32 v3, v3, v222
	v_add_f32_e32 v2, v2, v5
	v_fma_f32 v6, v196, v26, -v6
	v_dual_fmac_f32 v227, v201, v160 :: v_dual_fmac_f32 v228, v203, v162
	v_fmac_f32_e32 v229, v205, v164
	v_add_f32_e32 v3, v3, v223
	v_dual_mul_f32 v5, v199, v29 :: v_dual_add_f32 v2, v2, v4
	v_mul_f32_e32 v4, v201, v161
	v_dual_mul_f32 v231, v208, v169 :: v_dual_mul_f32 v232, v210, v171
	s_delay_alu instid0(VALU_DEP_4) | instskip(NEXT) | instid1(VALU_DEP_4)
	v_add_f32_e32 v3, v3, v224
	v_fma_f32 v5, v198, v28, -v5
	v_add_f32_e32 v2, v2, v6
	v_mul_f32_e32 v6, v203, v163
	v_fma_f32 v4, v200, v160, -v4
	v_add_f32_e32 v3, v3, v225
	v_fmac_f32_e32 v230, v207, v166
	v_add_f32_e32 v2, v2, v5
	v_mul_f32_e32 v5, v205, v165
	v_fma_f32 v6, v202, v162, -v6
	v_add_f32_e32 v3, v3, v226
	v_fmac_f32_e32 v231, v209, v168
	;; [unrolled: 5-line block ×3, first 2 shown]
	v_add_f32_e32 v2, v2, v6
	v_mul_f32_e32 v6, v209, v169
	v_fma_f32 v4, v206, v166, -v4
	v_add_f32_e32 v3, v3, v228
	s_delay_alu instid0(VALU_DEP_1) | instskip(SKIP_2) | instid1(VALU_DEP_2)
	v_add_f32_e32 v3, v3, v229
	v_dual_add_f32 v2, v2, v5 :: v_dual_mul_f32 v5, v211, v171
	v_fma_f32 v6, v208, v168, -v6
	v_dual_add_f32 v3, v3, v230 :: v_dual_add_f32 v2, v2, v4
	s_delay_alu instid0(VALU_DEP_3) | instskip(NEXT) | instid1(VALU_DEP_2)
	v_fma_f32 v5, v210, v170, -v5
	v_dual_add_f32 v3, v3, v231 :: v_dual_add_f32 v2, v2, v6
	v_mul_f32_e32 v4, v213, v31
	v_fmac_f32_e32 v233, v213, v30
	s_delay_alu instid0(VALU_DEP_3) | instskip(NEXT) | instid1(VALU_DEP_3)
	v_dual_add_f32 v3, v3, v232 :: v_dual_add_f32 v2, v2, v5
	v_fma_f32 v4, v212, v30, -v4
	s_delay_alu instid0(VALU_DEP_1) | instskip(SKIP_1) | instid1(VALU_DEP_1)
	v_dual_add_f32 v3, v3, v233 :: v_dual_add_f32 v2, v2, v4
	s_wait_loadcnt 0x0
	v_dual_sub_f32 v3, v158, v3 :: v_dual_sub_f32 v2, v157, v2
	scratch_store_b64 off, v[2:3], off offset:320
	v_cmpx_lt_u32_e32 39, v0
	s_cbranch_execz .LBB125_307
; %bb.306:
	scratch_load_b64 v[3:4], off, off offset:312
	v_mov_b32_e32 v2, v1
	scratch_store_b64 off, v[1:2], off offset:312
	s_wait_loadcnt 0x0
	ds_store_b64 v159, v[3:4]
.LBB125_307:
	s_wait_alu 0xfffe
	s_or_b32 exec_lo, exec_lo, s0
	s_wait_storecnt_dscnt 0x0
	s_barrier_signal -1
	s_barrier_wait -1
	global_inv scope:SCOPE_SE
	s_clause 0xb
	scratch_load_b128 v[2:5], off, off offset:320
	scratch_load_b128 v[6:9], off, off offset:336
	;; [unrolled: 1-line block ×11, first 2 shown]
	scratch_load_b64 v[30:31], off, off offset:312
	ds_load_b128 v[176:179], v1 offset:816
	ds_load_b128 v[180:183], v1 offset:832
	ds_load_b128 v[184:187], v1 offset:848
	ds_load_b128 v[188:191], v1 offset:864
	ds_load_b128 v[192:195], v1 offset:880
	ds_load_b128 v[196:199], v1 offset:896
	ds_load_b128 v[200:203], v1 offset:912
	ds_load_b128 v[204:207], v1 offset:928
	ds_load_b128 v[208:211], v1 offset:944
	ds_load_b128 v[212:215], v1 offset:960
	ds_load_b128 v[216:219], v1 offset:976
	s_mov_b32 s0, exec_lo
	s_wait_loadcnt_dscnt 0xb0a
	v_dual_mul_f32 v1, v176, v3 :: v_dual_mul_f32 v32, v178, v5
	v_mul_f32_e32 v5, v179, v5
	s_wait_loadcnt_dscnt 0xa09
	v_dual_mul_f32 v157, v180, v7 :: v_dual_mul_f32 v158, v182, v9
	v_mul_f32_e32 v3, v177, v3
	s_wait_loadcnt_dscnt 0x908
	v_dual_mul_f32 v220, v184, v11 :: v_dual_mul_f32 v221, v186, v13
	s_delay_alu instid0(VALU_DEP_3)
	v_dual_fmac_f32 v1, v177, v2 :: v_dual_fmac_f32 v158, v183, v8
	s_wait_loadcnt_dscnt 0x201
	v_mul_f32_e32 v234, v212, v169
	v_fma_f32 v3, v176, v2, -v3
	s_wait_loadcnt_dscnt 0x100
	v_dual_mul_f32 v237, v218, v175 :: v_dual_fmac_f32 v32, v179, v4
	v_mul_f32_e32 v2, v181, v7
	v_fma_f32 v4, v178, v4, -v5
	v_dual_add_f32 v3, 0, v3 :: v_dual_fmac_f32 v220, v185, v10
	v_dual_mul_f32 v222, v188, v15 :: v_dual_mul_f32 v223, v190, v17
	v_add_f32_e32 v1, 0, v1
	s_delay_alu instid0(VALU_DEP_3) | instskip(SKIP_1) | instid1(VALU_DEP_4)
	v_dual_add_f32 v3, v3, v4 :: v_dual_mul_f32 v4, v185, v11
	v_fma_f32 v2, v180, v6, -v2
	v_fmac_f32_e32 v222, v189, v14
	s_delay_alu instid0(VALU_DEP_4)
	v_dual_add_f32 v1, v1, v32 :: v_dual_mul_f32 v224, v192, v19
	v_mul_f32_e32 v225, v194, v21
	v_fma_f32 v4, v184, v10, -v4
	v_mul_f32_e32 v5, v183, v9
	v_add_f32_e32 v2, v3, v2
	v_dual_mul_f32 v3, v187, v13 :: v_dual_fmac_f32 v224, v193, v18
	v_dual_mul_f32 v226, v196, v23 :: v_dual_mul_f32 v227, v198, v25
	s_delay_alu instid0(VALU_DEP_4) | instskip(SKIP_1) | instid1(VALU_DEP_4)
	v_fma_f32 v5, v182, v8, -v5
	v_fmac_f32_e32 v157, v181, v6
	v_fma_f32 v3, v186, v12, -v3
	v_dual_fmac_f32 v223, v191, v16 :: v_dual_mul_f32 v230, v204, v161
	v_mul_f32_e32 v231, v206, v163
	v_add_f32_e32 v2, v2, v5
	v_dual_mul_f32 v228, v200, v27 :: v_dual_mul_f32 v229, v202, v29
	v_dual_mul_f32 v232, v208, v165 :: v_dual_mul_f32 v233, v210, v167
	s_delay_alu instid0(VALU_DEP_3) | instskip(SKIP_1) | instid1(VALU_DEP_4)
	v_dual_add_f32 v2, v2, v4 :: v_dual_add_f32 v1, v1, v157
	v_mul_f32_e32 v4, v191, v17
	v_fmac_f32_e32 v229, v203, v28
	v_dual_fmac_f32 v225, v195, v20 :: v_dual_fmac_f32 v228, v201, v26
	s_delay_alu instid0(VALU_DEP_4) | instskip(NEXT) | instid1(VALU_DEP_4)
	v_dual_add_f32 v2, v2, v3 :: v_dual_add_f32 v1, v1, v158
	v_fma_f32 v4, v190, v16, -v4
	v_mul_f32_e32 v5, v189, v15
	v_dual_mul_f32 v235, v214, v171 :: v_dual_mul_f32 v236, v216, v173
	v_fmac_f32_e32 v233, v211, v166
	v_fmac_f32_e32 v237, v219, v174
	s_delay_alu instid0(VALU_DEP_4) | instskip(SKIP_2) | instid1(VALU_DEP_3)
	v_fma_f32 v5, v188, v14, -v5
	v_dual_fmac_f32 v221, v187, v12 :: v_dual_fmac_f32 v226, v197, v22
	v_dual_fmac_f32 v236, v217, v172 :: v_dual_fmac_f32 v235, v215, v170
	v_add_f32_e32 v2, v2, v5
	v_dual_mul_f32 v5, v195, v21 :: v_dual_fmac_f32 v230, v205, v160
	v_fmac_f32_e32 v232, v209, v164
	v_fmac_f32_e32 v234, v213, v168
	s_delay_alu instid0(VALU_DEP_4) | instskip(NEXT) | instid1(VALU_DEP_4)
	v_add_f32_e32 v2, v2, v4
	v_fma_f32 v5, v194, v20, -v5
	v_mul_f32_e32 v3, v193, v19
	v_mul_f32_e32 v4, v197, v23
	s_delay_alu instid0(VALU_DEP_2) | instskip(SKIP_1) | instid1(VALU_DEP_3)
	v_fma_f32 v3, v192, v18, -v3
	v_add_f32_e32 v1, v1, v220
	v_fma_f32 v4, v196, v22, -v4
	s_delay_alu instid0(VALU_DEP_3) | instskip(NEXT) | instid1(VALU_DEP_1)
	v_dual_add_f32 v2, v2, v3 :: v_dual_mul_f32 v3, v199, v25
	v_add_f32_e32 v2, v2, v5
	s_delay_alu instid0(VALU_DEP_4) | instskip(NEXT) | instid1(VALU_DEP_3)
	v_add_f32_e32 v1, v1, v221
	v_fma_f32 v3, v198, v24, -v3
	s_delay_alu instid0(VALU_DEP_2) | instskip(SKIP_1) | instid1(VALU_DEP_2)
	v_dual_add_f32 v2, v2, v4 :: v_dual_add_f32 v1, v1, v222
	v_mul_f32_e32 v4, v203, v29
	v_dual_fmac_f32 v227, v199, v24 :: v_dual_add_f32 v2, v2, v3
	v_mul_f32_e32 v3, v205, v161
	s_delay_alu instid0(VALU_DEP_3) | instskip(SKIP_1) | instid1(VALU_DEP_3)
	v_fma_f32 v4, v202, v28, -v4
	v_mul_f32_e32 v5, v201, v27
	v_fma_f32 v3, v204, v160, -v3
	s_delay_alu instid0(VALU_DEP_2) | instskip(NEXT) | instid1(VALU_DEP_1)
	v_fma_f32 v5, v200, v26, -v5
	v_dual_add_f32 v1, v1, v223 :: v_dual_add_f32 v2, v2, v5
	s_delay_alu instid0(VALU_DEP_1) | instskip(NEXT) | instid1(VALU_DEP_2)
	v_dual_mul_f32 v5, v207, v163 :: v_dual_add_f32 v2, v2, v4
	v_add_f32_e32 v1, v1, v224
	v_mul_f32_e32 v4, v209, v165
	s_delay_alu instid0(VALU_DEP_3) | instskip(NEXT) | instid1(VALU_DEP_4)
	v_fma_f32 v5, v206, v162, -v5
	v_dual_add_f32 v2, v2, v3 :: v_dual_fmac_f32 v231, v207, v162
	v_mul_f32_e32 v3, v211, v167
	s_delay_alu instid0(VALU_DEP_4) | instskip(NEXT) | instid1(VALU_DEP_3)
	v_fma_f32 v4, v208, v164, -v4
	v_add_f32_e32 v2, v2, v5
	v_add_f32_e32 v1, v1, v225
	s_delay_alu instid0(VALU_DEP_4) | instskip(NEXT) | instid1(VALU_DEP_3)
	v_fma_f32 v3, v210, v166, -v3
	v_dual_add_f32 v2, v2, v4 :: v_dual_mul_f32 v5, v213, v169
	s_delay_alu instid0(VALU_DEP_3) | instskip(NEXT) | instid1(VALU_DEP_2)
	v_dual_add_f32 v1, v1, v226 :: v_dual_mul_f32 v4, v215, v171
	v_add_f32_e32 v2, v2, v3
	s_delay_alu instid0(VALU_DEP_3) | instskip(NEXT) | instid1(VALU_DEP_3)
	v_fma_f32 v5, v212, v168, -v5
	v_add_f32_e32 v1, v1, v227
	v_mul_f32_e32 v3, v217, v173
	v_fma_f32 v4, v214, v170, -v4
	s_delay_alu instid0(VALU_DEP_4) | instskip(NEXT) | instid1(VALU_DEP_3)
	v_dual_add_f32 v2, v2, v5 :: v_dual_mul_f32 v5, v219, v175
	v_fma_f32 v3, v216, v172, -v3
	s_delay_alu instid0(VALU_DEP_2) | instskip(SKIP_1) | instid1(VALU_DEP_4)
	v_add_f32_e32 v2, v2, v4
	v_add_f32_e32 v1, v1, v228
	v_fma_f32 v4, v218, v174, -v5
	s_delay_alu instid0(VALU_DEP_2) | instskip(NEXT) | instid1(VALU_DEP_1)
	v_dual_add_f32 v2, v2, v3 :: v_dual_add_f32 v1, v1, v229
	v_dual_add_f32 v2, v2, v4 :: v_dual_add_f32 v1, v1, v230
	s_delay_alu instid0(VALU_DEP_1) | instskip(NEXT) | instid1(VALU_DEP_1)
	v_add_f32_e32 v1, v1, v231
	v_add_f32_e32 v1, v1, v232
	s_delay_alu instid0(VALU_DEP_1) | instskip(NEXT) | instid1(VALU_DEP_1)
	v_add_f32_e32 v1, v1, v233
	v_add_f32_e32 v1, v1, v234
	;; [unrolled: 3-line block ×3, first 2 shown]
	s_delay_alu instid0(VALU_DEP_1) | instskip(SKIP_1) | instid1(VALU_DEP_1)
	v_add_f32_e32 v3, v1, v237
	s_wait_loadcnt 0x0
	v_dual_sub_f32 v1, v30, v2 :: v_dual_sub_f32 v2, v31, v3
	scratch_store_b64 off, v[1:2], off offset:312
	v_cmpx_lt_u32_e32 38, v0
	s_cbranch_execz .LBB125_309
; %bb.308:
	scratch_load_b64 v[1:2], off, off offset:304
	v_mov_b32_e32 v3, 0
	s_delay_alu instid0(VALU_DEP_1)
	v_mov_b32_e32 v4, v3
	scratch_store_b64 off, v[3:4], off offset:304
	s_wait_loadcnt 0x0
	ds_store_b64 v159, v[1:2]
.LBB125_309:
	s_wait_alu 0xfffe
	s_or_b32 exec_lo, exec_lo, s0
	s_wait_storecnt_dscnt 0x0
	s_barrier_signal -1
	s_barrier_wait -1
	global_inv scope:SCOPE_SE
	s_clause 0xc
	scratch_load_b128 v[2:5], off, off offset:312
	scratch_load_b128 v[6:9], off, off offset:328
	;; [unrolled: 1-line block ×11, first 2 shown]
	scratch_load_b64 v[30:31], off, off offset:488
	scratch_load_b64 v[157:158], off, off offset:304
	v_mov_b32_e32 v1, 0
	ds_load_2addr_b64 v[176:179], v1 offset0:101 offset1:102
	ds_load_2addr_b64 v[180:183], v1 offset0:103 offset1:104
	;; [unrolled: 1-line block ×11, first 2 shown]
	ds_load_b64 v[220:221], v1 offset:984
	s_mov_b32 s0, exec_lo
	s_wait_loadcnt_dscnt 0xc0b
	v_mul_f32_e32 v32, v176, v3
	s_wait_loadcnt_dscnt 0xb0a
	v_dual_mul_f32 v222, v178, v5 :: v_dual_mul_f32 v223, v180, v7
	v_mul_f32_e32 v3, v177, v3
	v_mul_f32_e32 v5, v179, v5
	s_wait_loadcnt_dscnt 0xa09
	v_dual_mul_f32 v224, v182, v9 :: v_dual_mul_f32 v225, v184, v11
	s_wait_loadcnt_dscnt 0x605
	v_mul_f32_e32 v234, v202, v29
	v_fma_f32 v3, v176, v2, -v3
	v_fmac_f32_e32 v32, v177, v2
	v_mul_f32_e32 v2, v181, v7
	s_wait_loadcnt_dscnt 0x100
	v_dual_mul_f32 v243, v220, v31 :: v_dual_fmac_f32 v222, v179, v4
	v_add_f32_e32 v3, 0, v3
	v_fma_f32 v4, v178, v4, -v5
	v_fma_f32 v2, v180, v6, -v2
	v_dual_fmac_f32 v223, v181, v6 :: v_dual_fmac_f32 v224, v183, v8
	v_dual_mul_f32 v226, v186, v13 :: v_dual_mul_f32 v227, v188, v15
	s_delay_alu instid0(VALU_DEP_4) | instskip(SKIP_2) | instid1(VALU_DEP_4)
	v_add_f32_e32 v3, v3, v4
	v_dual_add_f32 v5, 0, v32 :: v_dual_mul_f32 v228, v190, v17
	v_mul_f32_e32 v229, v192, v19
	v_fmac_f32_e32 v227, v189, v14
	s_delay_alu instid0(VALU_DEP_4) | instskip(NEXT) | instid1(VALU_DEP_4)
	v_add_f32_e32 v2, v3, v2
	v_dual_mul_f32 v7, v183, v9 :: v_dual_add_f32 v4, v5, v222
	v_dual_mul_f32 v5, v185, v11 :: v_dual_fmac_f32 v226, v187, v12
	v_fmac_f32_e32 v228, v191, v16
	s_delay_alu instid0(VALU_DEP_3) | instskip(NEXT) | instid1(VALU_DEP_4)
	v_fma_f32 v6, v182, v8, -v7
	v_dual_add_f32 v3, v4, v223 :: v_dual_mul_f32 v4, v187, v13
	s_delay_alu instid0(VALU_DEP_4) | instskip(SKIP_1) | instid1(VALU_DEP_4)
	v_fma_f32 v5, v184, v10, -v5
	v_dual_mul_f32 v230, v194, v21 :: v_dual_mul_f32 v231, v196, v23
	v_add_f32_e32 v2, v2, v6
	v_fmac_f32_e32 v225, v185, v10
	v_dual_add_f32 v3, v3, v224 :: v_dual_mul_f32 v6, v189, v15
	v_fma_f32 v4, v186, v12, -v4
	s_delay_alu instid0(VALU_DEP_4) | instskip(SKIP_1) | instid1(VALU_DEP_4)
	v_add_f32_e32 v2, v2, v5
	v_mul_f32_e32 v5, v191, v17
	v_add_f32_e32 v3, v3, v225
	v_fma_f32 v6, v188, v14, -v6
	v_dual_mul_f32 v232, v198, v25 :: v_dual_mul_f32 v233, v200, v27
	v_add_f32_e32 v2, v2, v4
	v_mul_f32_e32 v4, v193, v19
	v_fma_f32 v5, v190, v16, -v5
	v_dual_fmac_f32 v229, v193, v18 :: v_dual_fmac_f32 v230, v195, v20
	s_delay_alu instid0(VALU_DEP_4) | instskip(SKIP_3) | instid1(VALU_DEP_4)
	v_add_f32_e32 v2, v2, v6
	v_add_f32_e32 v3, v3, v226
	v_mul_f32_e32 v6, v195, v21
	v_fma_f32 v4, v192, v18, -v4
	v_dual_fmac_f32 v231, v197, v22 :: v_dual_add_f32 v2, v2, v5
	s_delay_alu instid0(VALU_DEP_4) | instskip(NEXT) | instid1(VALU_DEP_4)
	v_add_f32_e32 v3, v3, v227
	v_fma_f32 v6, v194, v20, -v6
	v_dual_mul_f32 v5, v197, v23 :: v_dual_fmac_f32 v232, v199, v24
	s_delay_alu instid0(VALU_DEP_4) | instskip(NEXT) | instid1(VALU_DEP_4)
	v_dual_fmac_f32 v233, v201, v26 :: v_dual_add_f32 v2, v2, v4
	v_add_f32_e32 v3, v3, v228
	v_mul_f32_e32 v4, v199, v25
	s_delay_alu instid0(VALU_DEP_4) | instskip(SKIP_1) | instid1(VALU_DEP_4)
	v_fma_f32 v5, v196, v22, -v5
	v_dual_mul_f32 v235, v204, v161 :: v_dual_mul_f32 v236, v206, v163
	v_dual_add_f32 v2, v2, v6 :: v_dual_add_f32 v3, v3, v229
	v_mul_f32_e32 v6, v201, v27
	v_fma_f32 v4, v198, v24, -v4
	v_dual_fmac_f32 v234, v203, v28 :: v_dual_mul_f32 v237, v208, v165
	s_delay_alu instid0(VALU_DEP_4)
	v_dual_mul_f32 v238, v210, v167 :: v_dual_add_f32 v3, v3, v230
	v_add_f32_e32 v2, v2, v5
	v_fma_f32 v6, v200, v26, -v6
	v_dual_fmac_f32 v235, v205, v160 :: v_dual_fmac_f32 v236, v207, v162
	v_fmac_f32_e32 v237, v209, v164
	v_add_f32_e32 v3, v3, v231
	v_dual_mul_f32 v5, v203, v29 :: v_dual_add_f32 v2, v2, v4
	v_mul_f32_e32 v4, v205, v161
	v_dual_mul_f32 v239, v212, v169 :: v_dual_mul_f32 v240, v214, v171
	s_delay_alu instid0(VALU_DEP_4) | instskip(NEXT) | instid1(VALU_DEP_4)
	v_add_f32_e32 v3, v3, v232
	v_fma_f32 v5, v202, v28, -v5
	v_add_f32_e32 v2, v2, v6
	v_mul_f32_e32 v6, v207, v163
	v_fma_f32 v4, v204, v160, -v4
	v_add_f32_e32 v3, v3, v233
	v_dual_mul_f32 v241, v216, v173 :: v_dual_mul_f32 v242, v218, v175
	v_add_f32_e32 v2, v2, v5
	v_mul_f32_e32 v5, v209, v165
	s_delay_alu instid0(VALU_DEP_4) | instskip(SKIP_2) | instid1(VALU_DEP_3)
	v_add_f32_e32 v3, v3, v234
	v_fma_f32 v6, v206, v162, -v6
	v_dual_fmac_f32 v238, v211, v166 :: v_dual_fmac_f32 v241, v217, v172
	v_dual_add_f32 v2, v2, v4 :: v_dual_add_f32 v3, v3, v235
	v_dual_mul_f32 v4, v211, v167 :: v_dual_fmac_f32 v239, v213, v168
	v_fma_f32 v5, v208, v164, -v5
	s_delay_alu instid0(VALU_DEP_3) | instskip(SKIP_1) | instid1(VALU_DEP_4)
	v_dual_add_f32 v2, v2, v6 :: v_dual_add_f32 v3, v3, v236
	v_mul_f32_e32 v6, v213, v169
	v_fma_f32 v4, v210, v166, -v4
	v_fmac_f32_e32 v240, v215, v170
	v_fmac_f32_e32 v242, v219, v174
	v_add_f32_e32 v3, v3, v237
	v_dual_add_f32 v2, v2, v5 :: v_dual_mul_f32 v5, v215, v171
	v_fma_f32 v6, v212, v168, -v6
	v_fmac_f32_e32 v243, v221, v30
	s_delay_alu instid0(VALU_DEP_3) | instskip(SKIP_2) | instid1(VALU_DEP_3)
	v_dual_add_f32 v3, v3, v238 :: v_dual_add_f32 v2, v2, v4
	v_mul_f32_e32 v4, v217, v173
	v_fma_f32 v5, v214, v170, -v5
	v_dual_add_f32 v3, v3, v239 :: v_dual_add_f32 v2, v2, v6
	v_mul_f32_e32 v6, v219, v175
	s_delay_alu instid0(VALU_DEP_4) | instskip(NEXT) | instid1(VALU_DEP_3)
	v_fma_f32 v4, v216, v172, -v4
	v_dual_add_f32 v2, v2, v5 :: v_dual_mul_f32 v5, v221, v31
	s_delay_alu instid0(VALU_DEP_4) | instskip(NEXT) | instid1(VALU_DEP_4)
	v_add_f32_e32 v3, v3, v240
	v_fma_f32 v6, v218, v174, -v6
	s_delay_alu instid0(VALU_DEP_2) | instskip(NEXT) | instid1(VALU_DEP_1)
	v_add_f32_e32 v3, v3, v241
	v_dual_add_f32 v3, v3, v242 :: v_dual_add_f32 v2, v2, v4
	v_fma_f32 v4, v220, v30, -v5
	s_delay_alu instid0(VALU_DEP_2) | instskip(SKIP_1) | instid1(VALU_DEP_1)
	v_dual_add_f32 v3, v3, v243 :: v_dual_add_f32 v2, v2, v6
	s_wait_loadcnt 0x0
	v_sub_f32_e32 v3, v158, v3
	s_delay_alu instid0(VALU_DEP_2) | instskip(NEXT) | instid1(VALU_DEP_1)
	v_add_f32_e32 v2, v2, v4
	v_sub_f32_e32 v2, v157, v2
	scratch_store_b64 off, v[2:3], off offset:304
	v_cmpx_lt_u32_e32 37, v0
	s_cbranch_execz .LBB125_311
; %bb.310:
	scratch_load_b64 v[3:4], off, off offset:296
	v_mov_b32_e32 v2, v1
	scratch_store_b64 off, v[1:2], off offset:296
	s_wait_loadcnt 0x0
	ds_store_b64 v159, v[3:4]
.LBB125_311:
	s_wait_alu 0xfffe
	s_or_b32 exec_lo, exec_lo, s0
	s_wait_storecnt_dscnt 0x0
	s_barrier_signal -1
	s_barrier_wait -1
	global_inv scope:SCOPE_SE
	s_clause 0xc
	scratch_load_b128 v[2:5], off, off offset:304
	scratch_load_b128 v[6:9], off, off offset:320
	;; [unrolled: 1-line block ×12, first 2 shown]
	scratch_load_b64 v[30:31], off, off offset:296
	ds_load_b128 v[180:183], v1 offset:800
	ds_load_b128 v[184:187], v1 offset:816
	;; [unrolled: 1-line block ×12, first 2 shown]
	s_mov_b32 s0, exec_lo
	s_wait_loadcnt_dscnt 0xc0b
	v_dual_mul_f32 v1, v180, v3 :: v_dual_mul_f32 v32, v182, v5
	v_mul_f32_e32 v5, v183, v5
	s_wait_loadcnt_dscnt 0xb0a
	v_dual_mul_f32 v157, v184, v7 :: v_dual_mul_f32 v158, v186, v9
	s_wait_loadcnt_dscnt 0xa09
	v_dual_mul_f32 v228, v188, v11 :: v_dual_mul_f32 v229, v190, v13
	v_mul_f32_e32 v3, v181, v3
	s_delay_alu instid0(VALU_DEP_3)
	v_dual_fmac_f32 v1, v181, v2 :: v_dual_fmac_f32 v158, v187, v8
	s_wait_loadcnt_dscnt 0x100
	v_dual_mul_f32 v244, v220, v173 :: v_dual_mul_f32 v247, v226, v179
	v_fmac_f32_e32 v32, v183, v4
	v_fma_f32 v3, v180, v2, -v3
	v_mul_f32_e32 v2, v185, v7
	v_fma_f32 v4, v182, v4, -v5
	v_dual_mul_f32 v230, v192, v15 :: v_dual_mul_f32 v231, v194, v17
	s_delay_alu instid0(VALU_DEP_4) | instskip(SKIP_2) | instid1(VALU_DEP_3)
	v_dual_add_f32 v3, 0, v3 :: v_dual_fmac_f32 v228, v189, v10
	v_add_f32_e32 v1, 0, v1
	v_fma_f32 v2, v184, v6, -v2
	v_dual_fmac_f32 v230, v193, v14 :: v_dual_add_f32 v3, v3, v4
	v_mul_f32_e32 v4, v189, v11
	s_delay_alu instid0(VALU_DEP_4) | instskip(NEXT) | instid1(VALU_DEP_3)
	v_dual_add_f32 v1, v1, v32 :: v_dual_mul_f32 v232, v196, v19
	v_dual_mul_f32 v233, v198, v21 :: v_dual_add_f32 v2, v3, v2
	s_delay_alu instid0(VALU_DEP_3) | instskip(SKIP_1) | instid1(VALU_DEP_4)
	v_fma_f32 v4, v188, v10, -v4
	v_mul_f32_e32 v5, v187, v9
	v_dual_mul_f32 v3, v191, v13 :: v_dual_fmac_f32 v232, v197, v18
	v_dual_mul_f32 v234, v200, v23 :: v_dual_mul_f32 v235, v202, v25
	s_delay_alu instid0(VALU_DEP_3) | instskip(SKIP_1) | instid1(VALU_DEP_4)
	v_fma_f32 v5, v186, v8, -v5
	v_fmac_f32_e32 v157, v185, v6
	v_fma_f32 v3, v190, v12, -v3
	v_dual_fmac_f32 v231, v195, v16 :: v_dual_mul_f32 v238, v208, v161
	v_mul_f32_e32 v239, v210, v163
	v_add_f32_e32 v2, v2, v5
	v_dual_mul_f32 v236, v204, v27 :: v_dual_mul_f32 v237, v206, v29
	v_dual_mul_f32 v240, v212, v165 :: v_dual_mul_f32 v241, v214, v167
	s_delay_alu instid0(VALU_DEP_3) | instskip(SKIP_1) | instid1(VALU_DEP_4)
	v_dual_add_f32 v2, v2, v4 :: v_dual_add_f32 v1, v1, v157
	v_mul_f32_e32 v4, v195, v17
	v_dual_fmac_f32 v237, v207, v28 :: v_dual_mul_f32 v242, v216, v169
	v_mul_f32_e32 v243, v218, v171
	s_delay_alu instid0(VALU_DEP_4) | instskip(NEXT) | instid1(VALU_DEP_4)
	v_dual_add_f32 v2, v2, v3 :: v_dual_add_f32 v1, v1, v158
	v_fma_f32 v4, v194, v16, -v4
	v_mul_f32_e32 v5, v193, v15
	v_dual_fmac_f32 v233, v199, v20 :: v_dual_fmac_f32 v236, v205, v26
	v_dual_mul_f32 v245, v222, v175 :: v_dual_mul_f32 v246, v224, v177
	s_delay_alu instid0(VALU_DEP_3) | instskip(SKIP_3) | instid1(VALU_DEP_4)
	v_fma_f32 v5, v192, v14, -v5
	v_dual_fmac_f32 v229, v191, v12 :: v_dual_fmac_f32 v234, v201, v22
	v_fmac_f32_e32 v243, v219, v170
	v_dual_fmac_f32 v241, v215, v166 :: v_dual_fmac_f32 v244, v221, v172
	v_add_f32_e32 v2, v2, v5
	v_mul_f32_e32 v5, v199, v21
	v_dual_fmac_f32 v247, v227, v178 :: v_dual_fmac_f32 v238, v209, v160
	v_fmac_f32_e32 v240, v213, v164
	s_delay_alu instid0(VALU_DEP_4) | instskip(NEXT) | instid1(VALU_DEP_4)
	v_add_f32_e32 v2, v2, v4
	v_fma_f32 v5, v198, v20, -v5
	v_mul_f32_e32 v3, v197, v19
	v_mul_f32_e32 v4, v201, v23
	v_fmac_f32_e32 v242, v217, v168
	v_fmac_f32_e32 v246, v225, v176
	s_delay_alu instid0(VALU_DEP_4) | instskip(SKIP_2) | instid1(VALU_DEP_3)
	v_fma_f32 v3, v196, v18, -v3
	v_add_f32_e32 v1, v1, v228
	v_fma_f32 v4, v200, v22, -v4
	v_dual_add_f32 v2, v2, v3 :: v_dual_mul_f32 v3, v203, v25
	s_delay_alu instid0(VALU_DEP_1) | instskip(NEXT) | instid1(VALU_DEP_4)
	v_add_f32_e32 v2, v2, v5
	v_add_f32_e32 v1, v1, v229
	s_delay_alu instid0(VALU_DEP_3) | instskip(NEXT) | instid1(VALU_DEP_2)
	v_fma_f32 v3, v202, v24, -v3
	v_dual_add_f32 v2, v2, v4 :: v_dual_add_f32 v1, v1, v230
	v_mul_f32_e32 v4, v207, v29
	s_delay_alu instid0(VALU_DEP_2) | instskip(SKIP_1) | instid1(VALU_DEP_3)
	v_dual_fmac_f32 v235, v203, v24 :: v_dual_add_f32 v2, v2, v3
	v_mul_f32_e32 v3, v209, v161
	v_fma_f32 v4, v206, v28, -v4
	v_mul_f32_e32 v5, v205, v27
	s_delay_alu instid0(VALU_DEP_3) | instskip(NEXT) | instid1(VALU_DEP_2)
	v_fma_f32 v3, v208, v160, -v3
	v_fma_f32 v5, v204, v26, -v5
	s_delay_alu instid0(VALU_DEP_1) | instskip(NEXT) | instid1(VALU_DEP_1)
	v_dual_add_f32 v1, v1, v231 :: v_dual_add_f32 v2, v2, v5
	v_dual_mul_f32 v5, v211, v163 :: v_dual_add_f32 v2, v2, v4
	s_delay_alu instid0(VALU_DEP_2) | instskip(SKIP_1) | instid1(VALU_DEP_3)
	v_add_f32_e32 v1, v1, v232
	v_mul_f32_e32 v4, v213, v165
	v_fma_f32 v5, v210, v162, -v5
	s_delay_alu instid0(VALU_DEP_4) | instskip(SKIP_1) | instid1(VALU_DEP_4)
	v_dual_add_f32 v2, v2, v3 :: v_dual_fmac_f32 v239, v211, v162
	v_mul_f32_e32 v3, v215, v167
	v_fma_f32 v4, v212, v164, -v4
	s_delay_alu instid0(VALU_DEP_3) | instskip(SKIP_1) | instid1(VALU_DEP_4)
	v_add_f32_e32 v2, v2, v5
	v_add_f32_e32 v1, v1, v233
	v_fma_f32 v3, v214, v166, -v3
	s_delay_alu instid0(VALU_DEP_3) | instskip(NEXT) | instid1(VALU_DEP_3)
	v_dual_add_f32 v2, v2, v4 :: v_dual_mul_f32 v5, v217, v169
	v_dual_add_f32 v1, v1, v234 :: v_dual_mul_f32 v4, v219, v171
	s_delay_alu instid0(VALU_DEP_2) | instskip(NEXT) | instid1(VALU_DEP_3)
	v_add_f32_e32 v2, v2, v3
	v_fma_f32 v5, v216, v168, -v5
	s_delay_alu instid0(VALU_DEP_3) | instskip(SKIP_2) | instid1(VALU_DEP_4)
	v_add_f32_e32 v1, v1, v235
	v_mul_f32_e32 v3, v221, v173
	v_fma_f32 v4, v218, v170, -v4
	v_dual_add_f32 v2, v2, v5 :: v_dual_mul_f32 v5, v223, v175
	s_delay_alu instid0(VALU_DEP_3) | instskip(NEXT) | instid1(VALU_DEP_2)
	v_fma_f32 v3, v220, v172, -v3
	v_add_f32_e32 v2, v2, v4
	v_add_f32_e32 v1, v1, v236
	v_mul_f32_e32 v4, v225, v177
	v_fma_f32 v5, v222, v174, -v5
	s_delay_alu instid0(VALU_DEP_4) | instskip(SKIP_1) | instid1(VALU_DEP_4)
	v_dual_add_f32 v2, v2, v3 :: v_dual_fmac_f32 v245, v223, v174
	v_mul_f32_e32 v3, v227, v179
	v_fma_f32 v4, v224, v176, -v4
	s_delay_alu instid0(VALU_DEP_3) | instskip(SKIP_1) | instid1(VALU_DEP_4)
	v_add_f32_e32 v2, v2, v5
	v_add_f32_e32 v1, v1, v237
	v_fma_f32 v3, v226, v178, -v3
	s_delay_alu instid0(VALU_DEP_2) | instskip(NEXT) | instid1(VALU_DEP_1)
	v_dual_add_f32 v2, v2, v4 :: v_dual_add_f32 v1, v1, v238
	v_add_f32_e32 v2, v2, v3
	s_delay_alu instid0(VALU_DEP_2) | instskip(NEXT) | instid1(VALU_DEP_1)
	v_add_f32_e32 v1, v1, v239
	v_add_f32_e32 v1, v1, v240
	s_delay_alu instid0(VALU_DEP_1) | instskip(NEXT) | instid1(VALU_DEP_1)
	v_add_f32_e32 v1, v1, v241
	v_add_f32_e32 v1, v1, v242
	s_delay_alu instid0(VALU_DEP_1) | instskip(NEXT) | instid1(VALU_DEP_1)
	;; [unrolled: 3-line block ×3, first 2 shown]
	v_add_f32_e32 v1, v1, v245
	v_add_f32_e32 v1, v1, v246
	s_delay_alu instid0(VALU_DEP_1) | instskip(SKIP_1) | instid1(VALU_DEP_1)
	v_add_f32_e32 v3, v1, v247
	s_wait_loadcnt 0x0
	v_dual_sub_f32 v1, v30, v2 :: v_dual_sub_f32 v2, v31, v3
	scratch_store_b64 off, v[1:2], off offset:296
	v_cmpx_lt_u32_e32 36, v0
	s_cbranch_execz .LBB125_313
; %bb.312:
	scratch_load_b64 v[1:2], off, off offset:288
	v_mov_b32_e32 v3, 0
	s_delay_alu instid0(VALU_DEP_1)
	v_mov_b32_e32 v4, v3
	scratch_store_b64 off, v[3:4], off offset:288
	s_wait_loadcnt 0x0
	ds_store_b64 v159, v[1:2]
.LBB125_313:
	s_wait_alu 0xfffe
	s_or_b32 exec_lo, exec_lo, s0
	s_wait_storecnt_dscnt 0x0
	s_barrier_signal -1
	s_barrier_wait -1
	global_inv scope:SCOPE_SE
	s_clause 0xd
	scratch_load_b128 v[2:5], off, off offset:296
	scratch_load_b128 v[6:9], off, off offset:312
	;; [unrolled: 1-line block ×12, first 2 shown]
	scratch_load_b64 v[30:31], off, off offset:488
	scratch_load_b64 v[157:158], off, off offset:288
	v_mov_b32_e32 v1, 0
	ds_load_2addr_b64 v[180:183], v1 offset0:99 offset1:100
	ds_load_2addr_b64 v[184:187], v1 offset0:101 offset1:102
	;; [unrolled: 1-line block ×12, first 2 shown]
	ds_load_b64 v[228:229], v1 offset:984
	s_mov_b32 s0, exec_lo
	s_wait_loadcnt_dscnt 0xd0c
	v_mul_f32_e32 v32, v180, v3
	s_wait_loadcnt_dscnt 0xc0b
	v_dual_mul_f32 v230, v182, v5 :: v_dual_mul_f32 v231, v184, v7
	v_mul_f32_e32 v3, v181, v3
	v_mul_f32_e32 v5, v183, v5
	s_wait_loadcnt_dscnt 0xb0a
	v_dual_mul_f32 v232, v186, v9 :: v_dual_mul_f32 v233, v188, v11
	s_wait_loadcnt_dscnt 0x706
	v_mul_f32_e32 v242, v206, v29
	v_fma_f32 v3, v180, v2, -v3
	v_fmac_f32_e32 v32, v181, v2
	v_mul_f32_e32 v2, v185, v7
	s_wait_loadcnt_dscnt 0x100
	v_dual_fmac_f32 v230, v183, v4 :: v_dual_mul_f32 v253, v228, v31
	v_fma_f32 v4, v182, v4, -v5
	v_add_f32_e32 v3, 0, v3
	v_fma_f32 v2, v184, v6, -v2
	v_dual_fmac_f32 v231, v185, v6 :: v_dual_fmac_f32 v232, v187, v8
	v_dual_mul_f32 v234, v190, v13 :: v_dual_mul_f32 v235, v192, v15
	s_delay_alu instid0(VALU_DEP_4) | instskip(SKIP_2) | instid1(VALU_DEP_4)
	v_add_f32_e32 v3, v3, v4
	v_dual_add_f32 v5, 0, v32 :: v_dual_mul_f32 v236, v194, v17
	v_mul_f32_e32 v237, v196, v19
	v_fmac_f32_e32 v235, v193, v14
	s_delay_alu instid0(VALU_DEP_4) | instskip(NEXT) | instid1(VALU_DEP_4)
	v_add_f32_e32 v2, v3, v2
	v_dual_mul_f32 v7, v187, v9 :: v_dual_add_f32 v4, v5, v230
	v_dual_mul_f32 v5, v189, v11 :: v_dual_fmac_f32 v234, v191, v12
	v_fmac_f32_e32 v236, v195, v16
	s_delay_alu instid0(VALU_DEP_3) | instskip(NEXT) | instid1(VALU_DEP_4)
	v_fma_f32 v6, v186, v8, -v7
	v_dual_add_f32 v3, v4, v231 :: v_dual_mul_f32 v4, v191, v13
	s_delay_alu instid0(VALU_DEP_4) | instskip(SKIP_1) | instid1(VALU_DEP_4)
	v_fma_f32 v5, v188, v10, -v5
	v_dual_mul_f32 v238, v198, v21 :: v_dual_mul_f32 v239, v200, v23
	v_add_f32_e32 v2, v2, v6
	v_fmac_f32_e32 v233, v189, v10
	v_dual_add_f32 v3, v3, v232 :: v_dual_mul_f32 v6, v193, v15
	v_fma_f32 v4, v190, v12, -v4
	s_delay_alu instid0(VALU_DEP_4) | instskip(SKIP_1) | instid1(VALU_DEP_4)
	v_add_f32_e32 v2, v2, v5
	v_mul_f32_e32 v5, v195, v17
	v_add_f32_e32 v3, v3, v233
	v_fma_f32 v6, v192, v14, -v6
	v_dual_mul_f32 v240, v202, v25 :: v_dual_mul_f32 v241, v204, v27
	v_add_f32_e32 v2, v2, v4
	v_mul_f32_e32 v4, v197, v19
	v_fma_f32 v5, v194, v16, -v5
	v_dual_fmac_f32 v237, v197, v18 :: v_dual_fmac_f32 v238, v199, v20
	s_delay_alu instid0(VALU_DEP_4) | instskip(SKIP_3) | instid1(VALU_DEP_4)
	v_add_f32_e32 v2, v2, v6
	v_add_f32_e32 v3, v3, v234
	v_mul_f32_e32 v6, v199, v21
	v_fma_f32 v4, v196, v18, -v4
	v_dual_fmac_f32 v239, v201, v22 :: v_dual_add_f32 v2, v2, v5
	s_delay_alu instid0(VALU_DEP_4) | instskip(NEXT) | instid1(VALU_DEP_4)
	v_add_f32_e32 v3, v3, v235
	v_fma_f32 v6, v198, v20, -v6
	v_dual_mul_f32 v5, v201, v23 :: v_dual_fmac_f32 v240, v203, v24
	s_delay_alu instid0(VALU_DEP_4) | instskip(NEXT) | instid1(VALU_DEP_4)
	v_dual_fmac_f32 v241, v205, v26 :: v_dual_add_f32 v2, v2, v4
	v_add_f32_e32 v3, v3, v236
	v_mul_f32_e32 v4, v203, v25
	s_delay_alu instid0(VALU_DEP_4) | instskip(SKIP_1) | instid1(VALU_DEP_4)
	v_fma_f32 v5, v200, v22, -v5
	v_dual_mul_f32 v243, v208, v161 :: v_dual_mul_f32 v244, v210, v163
	v_dual_add_f32 v2, v2, v6 :: v_dual_add_f32 v3, v3, v237
	v_mul_f32_e32 v6, v205, v27
	v_fma_f32 v4, v202, v24, -v4
	v_dual_fmac_f32 v242, v207, v28 :: v_dual_mul_f32 v245, v212, v165
	s_delay_alu instid0(VALU_DEP_4)
	v_dual_mul_f32 v246, v214, v167 :: v_dual_add_f32 v3, v3, v238
	v_add_f32_e32 v2, v2, v5
	v_fma_f32 v6, v204, v26, -v6
	v_dual_fmac_f32 v243, v209, v160 :: v_dual_fmac_f32 v244, v211, v162
	v_fmac_f32_e32 v245, v213, v164
	v_add_f32_e32 v3, v3, v239
	v_dual_mul_f32 v5, v207, v29 :: v_dual_add_f32 v2, v2, v4
	v_mul_f32_e32 v4, v209, v161
	v_dual_mul_f32 v247, v216, v169 :: v_dual_mul_f32 v248, v218, v171
	s_delay_alu instid0(VALU_DEP_4) | instskip(NEXT) | instid1(VALU_DEP_4)
	v_add_f32_e32 v3, v3, v240
	v_fma_f32 v5, v206, v28, -v5
	v_add_f32_e32 v2, v2, v6
	v_mul_f32_e32 v6, v211, v163
	v_fma_f32 v4, v208, v160, -v4
	v_add_f32_e32 v3, v3, v241
	v_dual_mul_f32 v249, v220, v173 :: v_dual_mul_f32 v250, v222, v175
	v_add_f32_e32 v2, v2, v5
	v_mul_f32_e32 v5, v213, v165
	s_delay_alu instid0(VALU_DEP_4) | instskip(SKIP_2) | instid1(VALU_DEP_3)
	v_add_f32_e32 v3, v3, v242
	v_fma_f32 v6, v210, v162, -v6
	v_dual_fmac_f32 v246, v215, v166 :: v_dual_fmac_f32 v249, v221, v172
	v_dual_add_f32 v2, v2, v4 :: v_dual_add_f32 v3, v3, v243
	v_dual_mul_f32 v4, v215, v167 :: v_dual_fmac_f32 v247, v217, v168
	v_fma_f32 v5, v212, v164, -v5
	s_delay_alu instid0(VALU_DEP_3) | instskip(SKIP_1) | instid1(VALU_DEP_4)
	v_dual_add_f32 v2, v2, v6 :: v_dual_add_f32 v3, v3, v244
	v_mul_f32_e32 v6, v217, v169
	v_fma_f32 v4, v214, v166, -v4
	v_dual_fmac_f32 v248, v219, v170 :: v_dual_mul_f32 v251, v224, v177
	s_delay_alu instid0(VALU_DEP_4) | instskip(SKIP_3) | instid1(VALU_DEP_3)
	v_dual_mul_f32 v252, v226, v179 :: v_dual_add_f32 v3, v3, v245
	v_dual_add_f32 v2, v2, v5 :: v_dual_mul_f32 v5, v219, v171
	v_fma_f32 v6, v216, v168, -v6
	v_fmac_f32_e32 v250, v223, v174
	v_dual_add_f32 v3, v3, v246 :: v_dual_add_f32 v2, v2, v4
	v_mul_f32_e32 v4, v221, v173
	v_fma_f32 v5, v218, v170, -v5
	v_fmac_f32_e32 v251, v225, v176
	s_delay_alu instid0(VALU_DEP_4) | instskip(SKIP_3) | instid1(VALU_DEP_4)
	v_dual_add_f32 v3, v3, v247 :: v_dual_add_f32 v2, v2, v6
	v_mul_f32_e32 v6, v223, v175
	v_fma_f32 v4, v220, v172, -v4
	v_fmac_f32_e32 v252, v227, v178
	v_dual_fmac_f32 v253, v229, v30 :: v_dual_add_f32 v2, v2, v5
	v_mul_f32_e32 v5, v225, v177
	v_add_f32_e32 v3, v3, v248
	v_fma_f32 v6, v222, v174, -v6
	s_delay_alu instid0(VALU_DEP_3) | instskip(NEXT) | instid1(VALU_DEP_3)
	v_fma_f32 v5, v224, v176, -v5
	v_add_f32_e32 v3, v3, v249
	s_delay_alu instid0(VALU_DEP_1) | instskip(SKIP_1) | instid1(VALU_DEP_2)
	v_dual_add_f32 v3, v3, v250 :: v_dual_add_f32 v2, v2, v4
	v_mul_f32_e32 v4, v227, v179
	v_dual_add_f32 v3, v3, v251 :: v_dual_add_f32 v2, v2, v6
	v_mul_f32_e32 v6, v229, v31
	s_delay_alu instid0(VALU_DEP_3) | instskip(NEXT) | instid1(VALU_DEP_3)
	v_fma_f32 v4, v226, v178, -v4
	v_dual_add_f32 v3, v3, v252 :: v_dual_add_f32 v2, v2, v5
	s_delay_alu instid0(VALU_DEP_3) | instskip(NEXT) | instid1(VALU_DEP_2)
	v_fma_f32 v5, v228, v30, -v6
	v_dual_add_f32 v3, v3, v253 :: v_dual_add_f32 v2, v2, v4
	s_wait_loadcnt 0x0
	s_delay_alu instid0(VALU_DEP_1) | instskip(NEXT) | instid1(VALU_DEP_2)
	v_sub_f32_e32 v3, v158, v3
	v_add_f32_e32 v2, v2, v5
	s_delay_alu instid0(VALU_DEP_1)
	v_sub_f32_e32 v2, v157, v2
	scratch_store_b64 off, v[2:3], off offset:288
	v_cmpx_lt_u32_e32 35, v0
	s_cbranch_execz .LBB125_315
; %bb.314:
	scratch_load_b64 v[3:4], off, off offset:280
	v_mov_b32_e32 v2, v1
	scratch_store_b64 off, v[1:2], off offset:280
	s_wait_loadcnt 0x0
	ds_store_b64 v159, v[3:4]
.LBB125_315:
	s_wait_alu 0xfffe
	s_or_b32 exec_lo, exec_lo, s0
	s_wait_storecnt_dscnt 0x0
	s_barrier_signal -1
	s_barrier_wait -1
	global_inv scope:SCOPE_SE
	s_clause 0x4
	scratch_load_b128 v[2:5], off, off offset:288
	scratch_load_b128 v[6:9], off, off offset:304
	;; [unrolled: 1-line block ×5, first 2 shown]
	ds_load_b128 v[22:25], v1 offset:784
	ds_load_b128 v[26:29], v1 offset:800
	;; [unrolled: 1-line block ×3, first 2 shown]
	scratch_load_b64 v[30:31], off, off offset:280
	s_mov_b32 s0, exec_lo
	s_wait_loadcnt_dscnt 0x502
	v_mul_f32_e32 v32, v23, v3
	v_dual_mul_f32 v157, v22, v3 :: v_dual_mul_f32 v158, v24, v5
	v_mul_f32_e32 v3, v25, v5
	s_wait_loadcnt_dscnt 0x300
	v_mul_f32_e32 v164, v162, v13
	v_fma_f32 v22, v22, v2, -v32
	v_dual_fmac_f32 v157, v23, v2 :: v_dual_fmac_f32 v158, v25, v4
	v_fma_f32 v23, v24, v4, -v3
	ds_load_b128 v[2:5], v1 offset:832
	v_dual_mul_f32 v24, v26, v7 :: v_dual_mul_f32 v25, v28, v9
	v_mul_f32_e32 v7, v27, v7
	v_dual_mul_f32 v9, v29, v9 :: v_dual_mul_f32 v32, v160, v11
	s_delay_alu instid0(VALU_DEP_3) | instskip(SKIP_2) | instid1(VALU_DEP_4)
	v_dual_mul_f32 v11, v161, v11 :: v_dual_fmac_f32 v24, v27, v6
	v_mul_f32_e32 v13, v163, v13
	v_fmac_f32_e32 v25, v29, v8
	v_fma_f32 v27, v28, v8, -v9
	v_fmac_f32_e32 v32, v161, v10
	v_fma_f32 v28, v160, v10, -v11
	;; [unrolled: 2-line block ×3, first 2 shown]
	ds_load_b128 v[10:13], v1 offset:848
	v_fma_f32 v26, v26, v6, -v7
	scratch_load_b128 v[6:9], off, off offset:368
	s_wait_loadcnt_dscnt 0x301
	v_mul_f32_e32 v160, v2, v15
	v_mul_f32_e32 v15, v3, v15
	;; [unrolled: 1-line block ×3, first 2 shown]
	s_delay_alu instid0(VALU_DEP_3) | instskip(NEXT) | instid1(VALU_DEP_2)
	v_dual_mul_f32 v17, v5, v17 :: v_dual_fmac_f32 v160, v3, v14
	v_fmac_f32_e32 v161, v5, v16
	s_delay_alu instid0(VALU_DEP_2)
	v_fma_f32 v163, v4, v16, -v17
	s_wait_loadcnt_dscnt 0x200
	v_mul_f32_e32 v166, v12, v21
	v_fma_f32 v162, v2, v14, -v15
	v_mul_f32_e32 v165, v10, v19
	v_dual_mul_f32 v14, v11, v19 :: v_dual_mul_f32 v15, v13, v21
	ds_load_b128 v[2:5], v1 offset:864
	v_dual_fmac_f32 v166, v13, v20 :: v_dual_fmac_f32 v165, v11, v18
	v_fma_f32 v18, v10, v18, -v14
	v_fma_f32 v19, v12, v20, -v15
	scratch_load_b128 v[10:13], off, off offset:384
	s_wait_loadcnt_dscnt 0x100
	v_dual_mul_f32 v168, v4, v9 :: v_dual_mul_f32 v167, v2, v7
	v_mul_f32_e32 v7, v3, v7
	v_mul_f32_e32 v9, v5, v9
	s_delay_alu instid0(VALU_DEP_3) | instskip(NEXT) | instid1(VALU_DEP_3)
	v_dual_fmac_f32 v168, v5, v8 :: v_dual_fmac_f32 v167, v3, v6
	v_fma_f32 v169, v2, v6, -v7
	s_delay_alu instid0(VALU_DEP_3)
	v_fma_f32 v170, v4, v8, -v9
	ds_load_b128 v[2:5], v1 offset:880
	ds_load_b128 v[6:9], v1 offset:896
	s_wait_loadcnt_dscnt 0x1
	v_mul_f32_e32 v171, v2, v11
	v_dual_mul_f32 v11, v3, v11 :: v_dual_mul_f32 v172, v4, v13
	s_delay_alu instid0(VALU_DEP_1) | instskip(NEXT) | instid1(VALU_DEP_3)
	v_fma_f32 v173, v2, v10, -v11
	v_dual_mul_f32 v2, v5, v13 :: v_dual_fmac_f32 v171, v3, v10
	s_delay_alu instid0(VALU_DEP_3) | instskip(NEXT) | instid1(VALU_DEP_2)
	v_fmac_f32_e32 v172, v5, v12
	v_fma_f32 v174, v4, v12, -v2
	s_clause 0x1
	scratch_load_b128 v[2:5], off, off offset:400
	scratch_load_b128 v[10:13], off, off offset:416
	s_wait_loadcnt_dscnt 0x100
	v_mul_f32_e32 v175, v6, v3
	v_mul_f32_e32 v3, v7, v3
	;; [unrolled: 1-line block ×3, first 2 shown]
	s_delay_alu instid0(VALU_DEP_2) | instskip(SKIP_1) | instid1(VALU_DEP_1)
	v_fma_f32 v176, v6, v2, -v3
	v_add_f32_e32 v3, 0, v157
	v_add_f32_e32 v6, v3, v158
	s_delay_alu instid0(VALU_DEP_1) | instskip(SKIP_1) | instid1(VALU_DEP_2)
	v_dual_add_f32 v14, v6, v24 :: v_dual_fmac_f32 v175, v7, v2
	v_mul_f32_e32 v2, v9, v5
	v_add_f32_e32 v14, v14, v25
	s_delay_alu instid0(VALU_DEP_2) | instskip(SKIP_1) | instid1(VALU_DEP_3)
	v_fma_f32 v178, v8, v4, -v2
	v_add_f32_e32 v2, 0, v22
	v_add_f32_e32 v14, v14, v32
	s_delay_alu instid0(VALU_DEP_2) | instskip(NEXT) | instid1(VALU_DEP_2)
	v_add_f32_e32 v2, v2, v23
	v_add_f32_e32 v21, v14, v164
	s_delay_alu instid0(VALU_DEP_2) | instskip(NEXT) | instid1(VALU_DEP_2)
	;; [unrolled: 3-line block ×3, first 2 shown]
	v_add_f32_e32 v15, v7, v27
	v_add_f32_e32 v21, v21, v161
	s_delay_alu instid0(VALU_DEP_1)
	v_dual_add_f32 v15, v15, v28 :: v_dual_add_f32 v22, v21, v165
	v_fmac_f32_e32 v177, v9, v4
	ds_load_b128 v[2:5], v1 offset:912
	scratch_load_b128 v[6:9], off, off offset:432
	v_add_f32_e32 v20, v15, v29
	ds_load_b128 v[14:17], v1 offset:928
	v_add_f32_e32 v22, v22, v166
	v_add_f32_e32 v20, v20, v162
	s_delay_alu instid0(VALU_DEP_2) | instskip(NEXT) | instid1(VALU_DEP_2)
	v_add_f32_e32 v22, v22, v167
	v_add_f32_e32 v20, v20, v163
	s_delay_alu instid0(VALU_DEP_1) | instskip(SKIP_4) | instid1(VALU_DEP_3)
	v_add_f32_e32 v18, v20, v18
	s_wait_loadcnt_dscnt 0x101
	v_mul_f32_e32 v26, v2, v11
	v_mul_f32_e32 v11, v3, v11
	v_mul_f32_e32 v27, v4, v13
	v_dual_mul_f32 v13, v5, v13 :: v_dual_fmac_f32 v26, v3, v10
	v_add_f32_e32 v23, v18, v19
	s_delay_alu instid0(VALU_DEP_4) | instskip(NEXT) | instid1(VALU_DEP_3)
	v_fma_f32 v28, v2, v10, -v11
	v_fma_f32 v29, v4, v12, -v13
	scratch_load_b128 v[18:21], off, off offset:480
	v_add_f32_e32 v23, v23, v169
	s_delay_alu instid0(VALU_DEP_1)
	v_add_f32_e32 v23, v23, v170
	v_fmac_f32_e32 v27, v5, v12
	s_clause 0x1
	scratch_load_b128 v[2:5], off, off offset:448
	scratch_load_b128 v[10:13], off, off offset:464
	s_wait_loadcnt_dscnt 0x300
	v_mul_f32_e32 v32, v14, v7
	v_mul_f32_e32 v7, v15, v7
	s_delay_alu instid0(VALU_DEP_2) | instskip(NEXT) | instid1(VALU_DEP_2)
	v_fmac_f32_e32 v32, v15, v6
	v_fma_f32 v158, v14, v6, -v7
	v_add_f32_e32 v14, v22, v168
	s_delay_alu instid0(VALU_DEP_1) | instskip(SKIP_1) | instid1(VALU_DEP_2)
	v_dual_add_f32 v22, v23, v173 :: v_dual_add_f32 v23, v14, v171
	v_mul_f32_e32 v157, v16, v9
	v_dual_mul_f32 v9, v17, v9 :: v_dual_add_f32 v162, v23, v172
	s_delay_alu instid0(VALU_DEP_2) | instskip(NEXT) | instid1(VALU_DEP_2)
	v_fmac_f32_e32 v157, v17, v8
	v_fma_f32 v160, v16, v8, -v9
	ds_load_b128 v[6:9], v1 offset:944
	ds_load_b128 v[14:17], v1 offset:960
	v_add_f32_e32 v161, v22, v174
	ds_load_b128 v[22:25], v1 offset:976
	v_add_f32_e32 v1, v161, v176
	v_add_f32_e32 v161, v162, v175
	s_wait_loadcnt_dscnt 0x102
	v_mul_f32_e32 v162, v6, v3
	s_delay_alu instid0(VALU_DEP_1) | instskip(SKIP_1) | instid1(VALU_DEP_1)
	v_dual_fmac_f32 v162, v7, v2 :: v_dual_add_f32 v161, v161, v177
	s_wait_loadcnt_dscnt 0x1
	v_dual_add_f32 v26, v161, v26 :: v_dual_mul_f32 v161, v14, v11
	s_delay_alu instid0(VALU_DEP_1) | instskip(SKIP_3) | instid1(VALU_DEP_3)
	v_dual_add_f32 v26, v26, v27 :: v_dual_fmac_f32 v161, v15, v10
	v_mul_f32_e32 v3, v7, v3
	s_wait_dscnt 0x0
	v_mul_f32_e32 v27, v22, v19
	v_add_f32_e32 v26, v26, v32
	s_delay_alu instid0(VALU_DEP_3) | instskip(NEXT) | instid1(VALU_DEP_3)
	v_fma_f32 v3, v6, v2, -v3
	v_fmac_f32_e32 v27, v23, v18
	v_mul_f32_e32 v163, v16, v13
	s_delay_alu instid0(VALU_DEP_4) | instskip(NEXT) | instid1(VALU_DEP_2)
	v_add_f32_e32 v2, v26, v157
	v_dual_mul_f32 v6, v15, v11 :: v_dual_fmac_f32 v163, v17, v12
	s_delay_alu instid0(VALU_DEP_2) | instskip(SKIP_1) | instid1(VALU_DEP_1)
	v_add_f32_e32 v2, v2, v162
	v_add_f32_e32 v1, v1, v178
	v_dual_add_f32 v1, v1, v28 :: v_dual_mul_f32 v28, v8, v5
	v_mul_f32_e32 v5, v9, v5
	s_delay_alu instid0(VALU_DEP_2) | instskip(NEXT) | instid1(VALU_DEP_2)
	v_fmac_f32_e32 v28, v9, v4
	v_fma_f32 v4, v8, v4, -v5
	v_fma_f32 v5, v14, v10, -v6
	s_delay_alu instid0(VALU_DEP_3) | instskip(NEXT) | instid1(VALU_DEP_1)
	v_add_f32_e32 v2, v2, v28
	v_add_f32_e32 v2, v2, v161
	;; [unrolled: 1-line block ×3, first 2 shown]
	s_delay_alu instid0(VALU_DEP_2) | instskip(NEXT) | instid1(VALU_DEP_1)
	v_dual_mul_f32 v29, v24, v21 :: v_dual_add_f32 v2, v2, v163
	v_dual_fmac_f32 v29, v25, v20 :: v_dual_add_f32 v2, v2, v27
	s_delay_alu instid0(VALU_DEP_1) | instskip(NEXT) | instid1(VALU_DEP_1)
	v_dual_add_f32 v1, v1, v158 :: v_dual_add_f32 v2, v2, v29
	v_dual_add_f32 v1, v1, v160 :: v_dual_sub_f32 v2, v31, v2
	s_delay_alu instid0(VALU_DEP_1) | instskip(SKIP_1) | instid1(VALU_DEP_2)
	v_add_f32_e32 v1, v1, v3
	v_mul_f32_e32 v3, v17, v13
	v_dual_add_f32 v1, v1, v4 :: v_dual_mul_f32 v4, v23, v19
	s_delay_alu instid0(VALU_DEP_2) | instskip(NEXT) | instid1(VALU_DEP_2)
	v_fma_f32 v3, v16, v12, -v3
	v_add_f32_e32 v1, v1, v5
	v_mul_f32_e32 v5, v25, v21
	s_delay_alu instid0(VALU_DEP_4) | instskip(NEXT) | instid1(VALU_DEP_3)
	v_fma_f32 v4, v22, v18, -v4
	v_add_f32_e32 v1, v1, v3
	s_delay_alu instid0(VALU_DEP_3) | instskip(NEXT) | instid1(VALU_DEP_2)
	v_fma_f32 v3, v24, v20, -v5
	v_add_f32_e32 v1, v1, v4
	s_delay_alu instid0(VALU_DEP_1) | instskip(NEXT) | instid1(VALU_DEP_1)
	v_add_f32_e32 v1, v1, v3
	v_sub_f32_e32 v1, v30, v1
	scratch_store_b64 off, v[1:2], off offset:280
	v_cmpx_lt_u32_e32 34, v0
	s_cbranch_execz .LBB125_317
; %bb.316:
	scratch_load_b64 v[1:2], off, off offset:272
	v_mov_b32_e32 v3, 0
	s_delay_alu instid0(VALU_DEP_1)
	v_mov_b32_e32 v4, v3
	scratch_store_b64 off, v[3:4], off offset:272
	s_wait_loadcnt 0x0
	ds_store_b64 v159, v[1:2]
.LBB125_317:
	s_wait_alu 0xfffe
	s_or_b32 exec_lo, exec_lo, s0
	s_wait_storecnt_dscnt 0x0
	s_barrier_signal -1
	s_barrier_wait -1
	global_inv scope:SCOPE_SE
	s_clause 0x4
	scratch_load_b128 v[2:5], off, off offset:280
	scratch_load_b128 v[6:9], off, off offset:296
	;; [unrolled: 1-line block ×5, first 2 shown]
	v_mov_b32_e32 v1, 0
	ds_load_2addr_b64 v[22:25], v1 offset0:97 offset1:98
	ds_load_2addr_b64 v[26:29], v1 offset0:99 offset1:100
	;; [unrolled: 1-line block ×3, first 2 shown]
	scratch_load_b64 v[30:31], off, off offset:272
	s_mov_b32 s0, exec_lo
	s_wait_loadcnt_dscnt 0x502
	v_mul_f32_e32 v32, v23, v3
	v_dual_mul_f32 v157, v22, v3 :: v_dual_mul_f32 v158, v24, v5
	v_mul_f32_e32 v3, v25, v5
	s_wait_loadcnt_dscnt 0x300
	v_mul_f32_e32 v164, v162, v13
	v_fma_f32 v22, v22, v2, -v32
	v_dual_fmac_f32 v157, v23, v2 :: v_dual_fmac_f32 v158, v25, v4
	v_fma_f32 v23, v24, v4, -v3
	v_mul_f32_e32 v24, v26, v7
	v_mul_f32_e32 v7, v27, v7
	;; [unrolled: 1-line block ×3, first 2 shown]
	v_dual_mul_f32 v9, v29, v9 :: v_dual_mul_f32 v32, v160, v11
	ds_load_2addr_b64 v[2:5], v1 offset0:103 offset1:104
	v_fmac_f32_e32 v24, v27, v6
	v_fma_f32 v26, v26, v6, -v7
	v_fmac_f32_e32 v25, v29, v8
	v_fma_f32 v27, v28, v8, -v9
	scratch_load_b128 v[6:9], off, off offset:360
	v_dual_mul_f32 v11, v161, v11 :: v_dual_fmac_f32 v164, v163, v12
	v_dual_mul_f32 v13, v163, v13 :: v_dual_fmac_f32 v32, v161, v10
	s_delay_alu instid0(VALU_DEP_2) | instskip(NEXT) | instid1(VALU_DEP_2)
	v_fma_f32 v28, v160, v10, -v11
	v_fma_f32 v29, v162, v12, -v13
	ds_load_2addr_b64 v[10:13], v1 offset0:105 offset1:106
	s_wait_loadcnt_dscnt 0x301
	v_mul_f32_e32 v160, v2, v15
	v_mul_f32_e32 v15, v3, v15
	;; [unrolled: 1-line block ×3, first 2 shown]
	s_delay_alu instid0(VALU_DEP_3) | instskip(SKIP_1) | instid1(VALU_DEP_2)
	v_dual_mul_f32 v17, v5, v17 :: v_dual_fmac_f32 v160, v3, v14
	s_wait_loadcnt_dscnt 0x200
	v_dual_fmac_f32 v161, v5, v16 :: v_dual_mul_f32 v166, v12, v21
	v_fma_f32 v162, v2, v14, -v15
	v_mul_f32_e32 v14, v11, v19
	v_fma_f32 v163, v4, v16, -v17
	ds_load_2addr_b64 v[2:5], v1 offset0:107 offset1:108
	v_dual_mul_f32 v165, v10, v19 :: v_dual_fmac_f32 v166, v13, v20
	v_mul_f32_e32 v15, v13, v21
	s_delay_alu instid0(VALU_DEP_1) | instskip(SKIP_1) | instid1(VALU_DEP_3)
	v_fma_f32 v19, v12, v20, -v15
	s_wait_loadcnt_dscnt 0x0
	v_dual_mul_f32 v168, v4, v9 :: v_dual_fmac_f32 v165, v11, v18
	v_fma_f32 v18, v10, v18, -v14
	scratch_load_b128 v[10:13], off, off offset:376
	v_mul_f32_e32 v167, v2, v7
	v_mul_f32_e32 v7, v3, v7
	;; [unrolled: 1-line block ×3, first 2 shown]
	s_delay_alu instid0(VALU_DEP_3) | instskip(NEXT) | instid1(VALU_DEP_3)
	v_dual_fmac_f32 v168, v5, v8 :: v_dual_fmac_f32 v167, v3, v6
	v_fma_f32 v169, v2, v6, -v7
	s_delay_alu instid0(VALU_DEP_3)
	v_fma_f32 v170, v4, v8, -v9
	ds_load_2addr_b64 v[2:5], v1 offset0:109 offset1:110
	ds_load_2addr_b64 v[6:9], v1 offset0:111 offset1:112
	s_wait_loadcnt_dscnt 0x1
	v_mul_f32_e32 v171, v2, v11
	v_dual_mul_f32 v11, v3, v11 :: v_dual_mul_f32 v172, v4, v13
	s_delay_alu instid0(VALU_DEP_2) | instskip(NEXT) | instid1(VALU_DEP_2)
	v_fmac_f32_e32 v171, v3, v10
	v_fma_f32 v173, v2, v10, -v11
	v_mul_f32_e32 v2, v5, v13
	s_delay_alu instid0(VALU_DEP_4) | instskip(NEXT) | instid1(VALU_DEP_2)
	v_fmac_f32_e32 v172, v5, v12
	v_fma_f32 v174, v4, v12, -v2
	s_clause 0x1
	scratch_load_b128 v[2:5], off, off offset:392
	scratch_load_b128 v[10:13], off, off offset:408
	s_wait_loadcnt_dscnt 0x100
	v_mul_f32_e32 v175, v6, v3
	v_mul_f32_e32 v3, v7, v3
	;; [unrolled: 1-line block ×3, first 2 shown]
	s_delay_alu instid0(VALU_DEP_2) | instskip(SKIP_1) | instid1(VALU_DEP_1)
	v_fma_f32 v176, v6, v2, -v3
	v_add_f32_e32 v3, 0, v157
	v_add_f32_e32 v6, v3, v158
	s_delay_alu instid0(VALU_DEP_1) | instskip(NEXT) | instid1(VALU_DEP_1)
	v_add_f32_e32 v14, v6, v24
	v_dual_add_f32 v14, v14, v25 :: v_dual_fmac_f32 v175, v7, v2
	v_mul_f32_e32 v2, v9, v5
	s_delay_alu instid0(VALU_DEP_2) | instskip(NEXT) | instid1(VALU_DEP_2)
	v_add_f32_e32 v14, v14, v32
	v_fma_f32 v178, v8, v4, -v2
	s_delay_alu instid0(VALU_DEP_2) | instskip(NEXT) | instid1(VALU_DEP_1)
	v_dual_add_f32 v2, 0, v22 :: v_dual_add_f32 v21, v14, v164
	v_dual_add_f32 v2, v2, v23 :: v_dual_add_f32 v21, v21, v160
	s_delay_alu instid0(VALU_DEP_1) | instskip(NEXT) | instid1(VALU_DEP_1)
	v_add_f32_e32 v21, v21, v161
	v_dual_add_f32 v7, v2, v26 :: v_dual_add_f32 v22, v21, v165
	s_delay_alu instid0(VALU_DEP_1)
	v_add_f32_e32 v15, v7, v27
	scratch_load_b64 v[26:27], off, off offset:488
	v_dual_add_f32 v22, v22, v166 :: v_dual_add_f32 v15, v15, v28
	v_fmac_f32_e32 v177, v9, v4
	scratch_load_b128 v[2:5], off, off offset:424
	ds_load_2addr_b64 v[6:9], v1 offset0:113 offset1:114
	v_add_f32_e32 v22, v22, v167
	v_add_f32_e32 v20, v15, v29
	ds_load_2addr_b64 v[14:17], v1 offset0:115 offset1:116
	v_add_f32_e32 v22, v22, v168
	v_add_f32_e32 v20, v20, v162
	s_delay_alu instid0(VALU_DEP_1) | instskip(NEXT) | instid1(VALU_DEP_1)
	v_add_f32_e32 v20, v20, v163
	v_add_f32_e32 v18, v20, v18
	s_wait_loadcnt_dscnt 0x201
	v_mul_f32_e32 v32, v6, v11
	v_mul_f32_e32 v11, v7, v11
	;; [unrolled: 1-line block ×4, first 2 shown]
	s_delay_alu instid0(VALU_DEP_4) | instskip(NEXT) | instid1(VALU_DEP_4)
	v_dual_add_f32 v23, v18, v19 :: v_dual_fmac_f32 v32, v7, v10
	v_fma_f32 v158, v6, v10, -v11
	s_delay_alu instid0(VALU_DEP_4) | instskip(NEXT) | instid1(VALU_DEP_4)
	v_fmac_f32_e32 v157, v9, v12
	v_fma_f32 v160, v8, v12, -v13
	s_clause 0x2
	scratch_load_b128 v[6:9], off, off offset:440
	scratch_load_b128 v[10:13], off, off offset:456
	;; [unrolled: 1-line block ×3, first 2 shown]
	v_add_f32_e32 v23, v23, v169
	s_wait_loadcnt_dscnt 0x300
	v_dual_mul_f32 v162, v16, v5 :: v_dual_mul_f32 v161, v14, v3
	s_delay_alu instid0(VALU_DEP_1) | instskip(NEXT) | instid1(VALU_DEP_1)
	v_dual_mul_f32 v3, v15, v3 :: v_dual_fmac_f32 v162, v17, v4
	v_fma_f32 v163, v14, v2, -v3
	v_add_f32_e32 v14, v22, v171
	s_delay_alu instid0(VALU_DEP_1) | instskip(NEXT) | instid1(VALU_DEP_1)
	v_add_f32_e32 v22, v14, v172
	v_add_f32_e32 v29, v22, v175
	s_delay_alu instid0(VALU_DEP_1) | instskip(NEXT) | instid1(VALU_DEP_1)
	v_dual_add_f32 v23, v23, v170 :: v_dual_add_f32 v166, v29, v177
	v_dual_add_f32 v23, v23, v173 :: v_dual_add_f32 v32, v166, v32
	s_delay_alu instid0(VALU_DEP_1) | instskip(NEXT) | instid1(VALU_DEP_2)
	v_dual_add_f32 v32, v32, v157 :: v_dual_fmac_f32 v161, v15, v2
	v_add_f32_e32 v15, v23, v174
	ds_load_2addr_b64 v[22:25], v1 offset0:121 offset1:122
	v_add_f32_e32 v28, v15, v176
	s_delay_alu instid0(VALU_DEP_1) | instskip(SKIP_2) | instid1(VALU_DEP_1)
	v_add_f32_e32 v165, v28, v178
	ds_load_b64 v[28:29], v1 offset:984
	v_add_f32_e32 v158, v165, v158
	v_dual_add_f32 v158, v158, v160 :: v_dual_mul_f32 v5, v17, v5
	s_delay_alu instid0(VALU_DEP_1) | instskip(NEXT) | instid1(VALU_DEP_2)
	v_add_f32_e32 v158, v158, v163
	v_fma_f32 v164, v16, v4, -v5
	ds_load_2addr_b64 v[2:5], v1 offset0:117 offset1:118
	ds_load_2addr_b64 v[14:17], v1 offset0:119 offset1:120
	s_wait_loadcnt_dscnt 0x3
	v_mul_f32_e32 v163, v22, v19
	v_add_f32_e32 v158, v158, v164
	v_mul_f32_e32 v164, v24, v21
	s_wait_dscnt 0x1
	s_delay_alu instid0(VALU_DEP_1)
	v_dual_fmac_f32 v164, v25, v20 :: v_dual_mul_f32 v157, v4, v9
	s_wait_dscnt 0x0
	v_mul_f32_e32 v160, v14, v11
	v_dual_add_f32 v32, v32, v161 :: v_dual_mul_f32 v165, v2, v7
	v_mul_f32_e32 v7, v3, v7
	v_mul_f32_e32 v9, v5, v9
	s_delay_alu instid0(VALU_DEP_4) | instskip(NEXT) | instid1(VALU_DEP_4)
	v_dual_mul_f32 v161, v16, v13 :: v_dual_fmac_f32 v160, v15, v10
	v_add_f32_e32 v32, v32, v162
	s_delay_alu instid0(VALU_DEP_4) | instskip(SKIP_1) | instid1(VALU_DEP_2)
	v_fma_f32 v2, v2, v6, -v7
	v_mul_f32_e32 v162, v28, v27
	v_add_f32_e32 v2, v158, v2
	v_fmac_f32_e32 v165, v3, v6
	v_fma_f32 v3, v4, v8, -v9
	v_mul_f32_e32 v4, v15, v11
	v_dual_mul_f32 v6, v17, v13 :: v_dual_fmac_f32 v163, v23, v18
	v_fmac_f32_e32 v162, v29, v26
	s_delay_alu instid0(VALU_DEP_4) | instskip(NEXT) | instid1(VALU_DEP_4)
	v_add_f32_e32 v2, v2, v3
	v_fma_f32 v4, v14, v10, -v4
	s_delay_alu instid0(VALU_DEP_4) | instskip(NEXT) | instid1(VALU_DEP_2)
	v_fma_f32 v6, v16, v12, -v6
	v_add_f32_e32 v2, v2, v4
	v_fmac_f32_e32 v157, v5, v8
	v_add_f32_e32 v5, v32, v165
	v_mul_f32_e32 v4, v25, v21
	s_delay_alu instid0(VALU_DEP_4) | instskip(SKIP_1) | instid1(VALU_DEP_3)
	v_add_f32_e32 v2, v2, v6
	v_mul_f32_e32 v6, v29, v27
	v_fma_f32 v4, v24, v20, -v4
	v_add_f32_e32 v3, v5, v157
	v_mul_f32_e32 v5, v23, v19
	s_delay_alu instid0(VALU_DEP_1) | instskip(NEXT) | instid1(VALU_DEP_1)
	v_fma_f32 v5, v22, v18, -v5
	v_dual_fmac_f32 v161, v17, v12 :: v_dual_add_f32 v2, v2, v5
	v_fma_f32 v5, v28, v26, -v6
	s_delay_alu instid0(VALU_DEP_2) | instskip(NEXT) | instid1(VALU_DEP_1)
	v_add_f32_e32 v2, v2, v4
	v_dual_add_f32 v3, v3, v160 :: v_dual_add_f32 v2, v2, v5
	s_delay_alu instid0(VALU_DEP_1) | instskip(NEXT) | instid1(VALU_DEP_1)
	v_dual_add_f32 v3, v3, v161 :: v_dual_sub_f32 v2, v30, v2
	v_add_f32_e32 v3, v3, v163
	s_delay_alu instid0(VALU_DEP_1) | instskip(NEXT) | instid1(VALU_DEP_1)
	v_add_f32_e32 v3, v3, v164
	v_add_f32_e32 v3, v3, v162
	s_delay_alu instid0(VALU_DEP_1)
	v_sub_f32_e32 v3, v31, v3
	scratch_store_b64 off, v[2:3], off offset:272
	v_cmpx_lt_u32_e32 33, v0
	s_cbranch_execz .LBB125_319
; %bb.318:
	scratch_load_b64 v[3:4], off, off offset:264
	v_mov_b32_e32 v2, v1
	scratch_store_b64 off, v[1:2], off offset:264
	s_wait_loadcnt 0x0
	ds_store_b64 v159, v[3:4]
.LBB125_319:
	s_wait_alu 0xfffe
	s_or_b32 exec_lo, exec_lo, s0
	s_wait_storecnt_dscnt 0x0
	s_barrier_signal -1
	s_barrier_wait -1
	global_inv scope:SCOPE_SE
	s_clause 0x4
	scratch_load_b128 v[2:5], off, off offset:272
	scratch_load_b128 v[6:9], off, off offset:288
	;; [unrolled: 1-line block ×5, first 2 shown]
	ds_load_b128 v[22:25], v1 offset:768
	ds_load_b128 v[26:29], v1 offset:784
	;; [unrolled: 1-line block ×3, first 2 shown]
	scratch_load_b64 v[30:31], off, off offset:264
	s_mov_b32 s0, exec_lo
	s_wait_loadcnt_dscnt 0x502
	v_mul_f32_e32 v32, v23, v3
	v_dual_mul_f32 v157, v22, v3 :: v_dual_mul_f32 v158, v24, v5
	v_mul_f32_e32 v3, v25, v5
	s_wait_loadcnt_dscnt 0x300
	v_mul_f32_e32 v164, v162, v13
	v_fma_f32 v22, v22, v2, -v32
	v_dual_fmac_f32 v157, v23, v2 :: v_dual_fmac_f32 v158, v25, v4
	v_fma_f32 v23, v24, v4, -v3
	ds_load_b128 v[2:5], v1 offset:816
	v_dual_mul_f32 v24, v26, v7 :: v_dual_mul_f32 v25, v28, v9
	v_mul_f32_e32 v7, v27, v7
	v_dual_mul_f32 v9, v29, v9 :: v_dual_mul_f32 v32, v160, v11
	s_delay_alu instid0(VALU_DEP_3) | instskip(SKIP_2) | instid1(VALU_DEP_4)
	v_dual_mul_f32 v11, v161, v11 :: v_dual_fmac_f32 v24, v27, v6
	v_mul_f32_e32 v13, v163, v13
	v_fmac_f32_e32 v25, v29, v8
	v_fma_f32 v27, v28, v8, -v9
	v_fmac_f32_e32 v32, v161, v10
	v_fma_f32 v28, v160, v10, -v11
	;; [unrolled: 2-line block ×3, first 2 shown]
	ds_load_b128 v[10:13], v1 offset:832
	v_fma_f32 v26, v26, v6, -v7
	scratch_load_b128 v[6:9], off, off offset:352
	s_wait_loadcnt_dscnt 0x301
	v_mul_f32_e32 v160, v2, v15
	v_mul_f32_e32 v15, v3, v15
	;; [unrolled: 1-line block ×3, first 2 shown]
	s_delay_alu instid0(VALU_DEP_3) | instskip(NEXT) | instid1(VALU_DEP_3)
	v_dual_mul_f32 v17, v5, v17 :: v_dual_fmac_f32 v160, v3, v14
	v_fma_f32 v14, v2, v14, -v15
	s_delay_alu instid0(VALU_DEP_3) | instskip(NEXT) | instid1(VALU_DEP_3)
	v_fmac_f32_e32 v161, v5, v16
	v_fma_f32 v15, v4, v16, -v17
	ds_load_b128 v[2:5], v1 offset:848
	s_wait_loadcnt_dscnt 0x201
	v_mul_f32_e32 v16, v10, v19
	v_mul_f32_e32 v17, v11, v19
	;; [unrolled: 1-line block ×3, first 2 shown]
	s_delay_alu instid0(VALU_DEP_3) | instskip(NEXT) | instid1(VALU_DEP_3)
	v_dual_mul_f32 v21, v13, v21 :: v_dual_fmac_f32 v16, v11, v18
	v_fma_f32 v17, v10, v18, -v17
	s_delay_alu instid0(VALU_DEP_3) | instskip(NEXT) | instid1(VALU_DEP_3)
	v_fmac_f32_e32 v19, v13, v20
	v_fma_f32 v18, v12, v20, -v21
	scratch_load_b128 v[10:13], off, off offset:368
	s_wait_loadcnt_dscnt 0x100
	v_mul_f32_e32 v20, v2, v7
	v_mul_f32_e32 v7, v3, v7
	;; [unrolled: 1-line block ×3, first 2 shown]
	s_delay_alu instid0(VALU_DEP_3) | instskip(NEXT) | instid1(VALU_DEP_3)
	v_dual_mul_f32 v9, v5, v9 :: v_dual_fmac_f32 v20, v3, v6
	v_fma_f32 v162, v2, v6, -v7
	s_delay_alu instid0(VALU_DEP_3) | instskip(NEXT) | instid1(VALU_DEP_3)
	v_fmac_f32_e32 v21, v5, v8
	v_fma_f32 v163, v4, v8, -v9
	ds_load_b128 v[2:5], v1 offset:864
	ds_load_b128 v[6:9], v1 offset:880
	s_wait_loadcnt_dscnt 0x1
	v_mul_f32_e32 v165, v2, v11
	v_dual_mul_f32 v11, v3, v11 :: v_dual_mul_f32 v166, v4, v13
	s_delay_alu instid0(VALU_DEP_2) | instskip(NEXT) | instid1(VALU_DEP_2)
	v_fmac_f32_e32 v165, v3, v10
	v_fma_f32 v167, v2, v10, -v11
	v_mul_f32_e32 v2, v5, v13
	s_delay_alu instid0(VALU_DEP_4) | instskip(NEXT) | instid1(VALU_DEP_2)
	v_fmac_f32_e32 v166, v5, v12
	v_fma_f32 v168, v4, v12, -v2
	s_clause 0x1
	scratch_load_b128 v[2:5], off, off offset:384
	scratch_load_b128 v[10:13], off, off offset:400
	s_wait_loadcnt_dscnt 0x100
	v_mul_f32_e32 v169, v6, v3
	v_mul_f32_e32 v3, v7, v3
	;; [unrolled: 1-line block ×3, first 2 shown]
	s_delay_alu instid0(VALU_DEP_3) | instskip(NEXT) | instid1(VALU_DEP_3)
	v_fmac_f32_e32 v169, v7, v2
	v_fma_f32 v170, v6, v2, -v3
	v_mul_f32_e32 v2, v9, v5
	s_delay_alu instid0(VALU_DEP_4) | instskip(NEXT) | instid1(VALU_DEP_2)
	v_fmac_f32_e32 v171, v9, v4
	v_fma_f32 v172, v8, v4, -v2
	ds_load_b128 v[2:5], v1 offset:896
	ds_load_b128 v[6:9], v1 offset:912
	s_wait_loadcnt_dscnt 0x1
	v_mul_f32_e32 v173, v2, v11
	v_mul_f32_e32 v175, v4, v13
	s_delay_alu instid0(VALU_DEP_2) | instskip(SKIP_1) | instid1(VALU_DEP_3)
	v_fmac_f32_e32 v173, v3, v10
	v_mul_f32_e32 v3, v3, v11
	v_fmac_f32_e32 v175, v5, v12
	s_delay_alu instid0(VALU_DEP_2) | instskip(SKIP_1) | instid1(VALU_DEP_1)
	v_fma_f32 v174, v2, v10, -v3
	v_mul_f32_e32 v2, v5, v13
	v_fma_f32 v176, v4, v12, -v2
	s_clause 0x1
	scratch_load_b128 v[2:5], off, off offset:416
	scratch_load_b128 v[10:13], off, off offset:432
	s_wait_loadcnt_dscnt 0x100
	v_mul_f32_e32 v177, v6, v3
	v_mul_f32_e32 v3, v7, v3
	s_delay_alu instid0(VALU_DEP_2) | instskip(NEXT) | instid1(VALU_DEP_2)
	v_fmac_f32_e32 v177, v7, v2
	v_fma_f32 v178, v6, v2, -v3
	v_mul_f32_e32 v2, v9, v5
	v_add_f32_e32 v3, 0, v157
	s_delay_alu instid0(VALU_DEP_2) | instskip(SKIP_1) | instid1(VALU_DEP_1)
	v_fma_f32 v180, v8, v4, -v2
	v_add_f32_e32 v2, 0, v22
	v_dual_add_f32 v3, v3, v158 :: v_dual_add_f32 v2, v2, v23
	s_delay_alu instid0(VALU_DEP_1) | instskip(NEXT) | instid1(VALU_DEP_1)
	v_dual_add_f32 v3, v3, v24 :: v_dual_add_f32 v2, v2, v26
	v_add_f32_e32 v2, v2, v27
	s_delay_alu instid0(VALU_DEP_1) | instskip(NEXT) | instid1(VALU_DEP_1)
	v_add_f32_e32 v2, v2, v28
	v_add_f32_e32 v7, v2, v29
	s_delay_alu instid0(VALU_DEP_1) | instskip(NEXT) | instid1(VALU_DEP_1)
	v_add_f32_e32 v7, v7, v14
	;; [unrolled: 3-line block ×3, first 2 shown]
	v_dual_add_f32 v14, v14, v18 :: v_dual_add_f32 v3, v3, v25
	s_delay_alu instid0(VALU_DEP_1) | instskip(NEXT) | instid1(VALU_DEP_2)
	v_add_f32_e32 v14, v14, v162
	v_add_f32_e32 v6, v3, v32
	s_delay_alu instid0(VALU_DEP_1) | instskip(NEXT) | instid1(VALU_DEP_1)
	v_add_f32_e32 v6, v6, v164
	v_add_f32_e32 v6, v6, v160
	s_delay_alu instid0(VALU_DEP_1) | instskip(NEXT) | instid1(VALU_DEP_1)
	;; [unrolled: 3-line block ×3, first 2 shown]
	v_add_f32_e32 v15, v15, v19
	v_dual_add_f32 v19, v14, v163 :: v_dual_add_f32 v18, v15, v20
	scratch_load_b128 v[14:17], off, off offset:480
	v_dual_add_f32 v19, v19, v167 :: v_dual_add_f32 v18, v18, v21
	s_delay_alu instid0(VALU_DEP_1) | instskip(NEXT) | instid1(VALU_DEP_1)
	v_dual_add_f32 v19, v19, v168 :: v_dual_add_f32 v18, v18, v165
	v_dual_mul_f32 v179, v8, v5 :: v_dual_add_f32 v22, v19, v170
	s_delay_alu instid0(VALU_DEP_1)
	v_dual_add_f32 v18, v18, v166 :: v_dual_fmac_f32 v179, v9, v4
	ds_load_b128 v[2:5], v1 offset:928
	ds_load_b128 v[6:9], v1 offset:944
	v_add_f32_e32 v32, v22, v172
	v_add_f32_e32 v23, v18, v169
	ds_load_b128 v[18:21], v1 offset:960
	v_add_f32_e32 v157, v23, v171
	ds_load_b128 v[22:25], v1 offset:976
	v_dual_add_f32 v1, v32, v174 :: v_dual_add_f32 v32, v157, v173
	s_delay_alu instid0(VALU_DEP_1)
	v_add_f32_e32 v32, v32, v175
	s_wait_loadcnt_dscnt 0x103
	v_dual_mul_f32 v26, v2, v11 :: v_dual_mul_f32 v27, v4, v13
	v_mul_f32_e32 v11, v3, v11
	v_mul_f32_e32 v13, v5, v13
	v_add_f32_e32 v32, v32, v177
	s_delay_alu instid0(VALU_DEP_4) | instskip(NEXT) | instid1(VALU_DEP_4)
	v_dual_fmac_f32 v26, v3, v10 :: v_dual_fmac_f32 v27, v5, v12
	v_fma_f32 v28, v2, v10, -v11
	s_delay_alu instid0(VALU_DEP_3) | instskip(NEXT) | instid1(VALU_DEP_1)
	v_add_f32_e32 v32, v32, v179
	v_add_f32_e32 v26, v32, v26
	s_wait_loadcnt_dscnt 0x0
	v_mul_f32_e32 v162, v22, v15
	v_fma_f32 v29, v4, v12, -v13
	s_clause 0x1
	scratch_load_b128 v[2:5], off, off offset:448
	scratch_load_b128 v[10:13], off, off offset:464
	s_wait_loadcnt 0x1
	v_dual_fmac_f32 v162, v23, v14 :: v_dual_mul_f32 v157, v6, v3
	v_dual_mul_f32 v3, v7, v3 :: v_dual_mul_f32 v158, v8, v5
	s_wait_loadcnt 0x0
	v_dual_mul_f32 v160, v18, v11 :: v_dual_mul_f32 v5, v9, v5
	s_delay_alu instid0(VALU_DEP_3) | instskip(NEXT) | instid1(VALU_DEP_3)
	v_fmac_f32_e32 v157, v7, v2
	v_fma_f32 v3, v6, v2, -v3
	v_mul_f32_e32 v6, v19, v11
	v_add_f32_e32 v2, v26, v27
	v_fmac_f32_e32 v158, v9, v4
	v_fmac_f32_e32 v160, v19, v10
	v_fma_f32 v4, v8, v4, -v5
	v_fma_f32 v5, v18, v10, -v6
	v_add_f32_e32 v2, v2, v157
	s_delay_alu instid0(VALU_DEP_1) | instskip(NEXT) | instid1(VALU_DEP_1)
	v_dual_add_f32 v2, v2, v158 :: v_dual_mul_f32 v161, v20, v13
	v_add_f32_e32 v2, v2, v160
	s_delay_alu instid0(VALU_DEP_2) | instskip(NEXT) | instid1(VALU_DEP_1)
	v_fmac_f32_e32 v161, v21, v12
	v_dual_add_f32 v1, v1, v176 :: v_dual_add_f32 v2, v2, v161
	s_delay_alu instid0(VALU_DEP_1) | instskip(NEXT) | instid1(VALU_DEP_2)
	v_add_f32_e32 v2, v2, v162
	v_add_f32_e32 v1, v1, v178
	s_delay_alu instid0(VALU_DEP_1) | instskip(NEXT) | instid1(VALU_DEP_1)
	v_add_f32_e32 v1, v1, v180
	v_dual_add_f32 v1, v1, v28 :: v_dual_mul_f32 v28, v24, v17
	s_delay_alu instid0(VALU_DEP_1) | instskip(NEXT) | instid1(VALU_DEP_2)
	v_add_f32_e32 v1, v1, v29
	v_fmac_f32_e32 v28, v25, v16
	s_delay_alu instid0(VALU_DEP_2) | instskip(NEXT) | instid1(VALU_DEP_2)
	v_add_f32_e32 v1, v1, v3
	v_dual_mul_f32 v3, v21, v13 :: v_dual_add_f32 v2, v2, v28
	s_delay_alu instid0(VALU_DEP_2) | instskip(NEXT) | instid1(VALU_DEP_2)
	v_dual_add_f32 v1, v1, v4 :: v_dual_mul_f32 v4, v23, v15
	v_fma_f32 v3, v20, v12, -v3
	s_delay_alu instid0(VALU_DEP_2) | instskip(SKIP_1) | instid1(VALU_DEP_4)
	v_dual_sub_f32 v2, v31, v2 :: v_dual_add_f32 v1, v1, v5
	v_mul_f32_e32 v5, v25, v17
	v_fma_f32 v4, v22, v14, -v4
	s_delay_alu instid0(VALU_DEP_3) | instskip(NEXT) | instid1(VALU_DEP_3)
	v_add_f32_e32 v1, v1, v3
	v_fma_f32 v3, v24, v16, -v5
	s_delay_alu instid0(VALU_DEP_2) | instskip(NEXT) | instid1(VALU_DEP_1)
	v_add_f32_e32 v1, v1, v4
	v_add_f32_e32 v1, v1, v3
	s_delay_alu instid0(VALU_DEP_1)
	v_sub_f32_e32 v1, v30, v1
	scratch_store_b64 off, v[1:2], off offset:264
	v_cmpx_lt_u32_e32 32, v0
	s_cbranch_execz .LBB125_321
; %bb.320:
	scratch_load_b64 v[1:2], off, off offset:256
	v_mov_b32_e32 v3, 0
	s_delay_alu instid0(VALU_DEP_1)
	v_mov_b32_e32 v4, v3
	scratch_store_b64 off, v[3:4], off offset:256
	s_wait_loadcnt 0x0
	ds_store_b64 v159, v[1:2]
.LBB125_321:
	s_wait_alu 0xfffe
	s_or_b32 exec_lo, exec_lo, s0
	s_wait_storecnt_dscnt 0x0
	s_barrier_signal -1
	s_barrier_wait -1
	global_inv scope:SCOPE_SE
	s_clause 0x4
	scratch_load_b128 v[2:5], off, off offset:264
	scratch_load_b128 v[6:9], off, off offset:280
	;; [unrolled: 1-line block ×5, first 2 shown]
	v_mov_b32_e32 v1, 0
	ds_load_2addr_b64 v[22:25], v1 offset0:95 offset1:96
	ds_load_2addr_b64 v[26:29], v1 offset0:97 offset1:98
	;; [unrolled: 1-line block ×3, first 2 shown]
	scratch_load_b64 v[30:31], off, off offset:256
	s_mov_b32 s0, exec_lo
	s_wait_loadcnt_dscnt 0x502
	v_mul_f32_e32 v32, v23, v3
	v_dual_mul_f32 v157, v22, v3 :: v_dual_mul_f32 v158, v24, v5
	v_mul_f32_e32 v3, v25, v5
	s_wait_loadcnt_dscnt 0x300
	v_mul_f32_e32 v164, v162, v13
	v_fma_f32 v22, v22, v2, -v32
	v_dual_fmac_f32 v157, v23, v2 :: v_dual_fmac_f32 v158, v25, v4
	v_fma_f32 v23, v24, v4, -v3
	ds_load_2addr_b64 v[2:5], v1 offset0:101 offset1:102
	v_mul_f32_e32 v24, v26, v7
	v_mul_f32_e32 v7, v27, v7
	;; [unrolled: 1-line block ×3, first 2 shown]
	v_dual_mul_f32 v9, v29, v9 :: v_dual_mul_f32 v32, v160, v11
	v_dual_mul_f32 v11, v161, v11 :: v_dual_fmac_f32 v164, v163, v12
	v_mul_f32_e32 v13, v163, v13
	s_delay_alu instid0(VALU_DEP_4) | instskip(NEXT) | instid1(VALU_DEP_4)
	v_dual_fmac_f32 v24, v27, v6 :: v_dual_fmac_f32 v25, v29, v8
	v_fma_f32 v27, v28, v8, -v9
	v_fmac_f32_e32 v32, v161, v10
	v_fma_f32 v28, v160, v10, -v11
	v_fma_f32 v29, v162, v12, -v13
	ds_load_2addr_b64 v[10:13], v1 offset0:103 offset1:104
	v_fma_f32 v26, v26, v6, -v7
	scratch_load_b128 v[6:9], off, off offset:344
	s_wait_loadcnt_dscnt 0x301
	v_mul_f32_e32 v160, v2, v15
	v_mul_f32_e32 v15, v3, v15
	;; [unrolled: 1-line block ×3, first 2 shown]
	s_delay_alu instid0(VALU_DEP_3) | instskip(NEXT) | instid1(VALU_DEP_3)
	v_dual_mul_f32 v17, v5, v17 :: v_dual_fmac_f32 v160, v3, v14
	v_fma_f32 v14, v2, v14, -v15
	s_delay_alu instid0(VALU_DEP_3) | instskip(NEXT) | instid1(VALU_DEP_3)
	v_fmac_f32_e32 v161, v5, v16
	v_fma_f32 v15, v4, v16, -v17
	ds_load_2addr_b64 v[2:5], v1 offset0:105 offset1:106
	s_wait_loadcnt_dscnt 0x201
	v_mul_f32_e32 v16, v10, v19
	v_mul_f32_e32 v17, v11, v19
	v_mul_f32_e32 v19, v12, v21
	s_delay_alu instid0(VALU_DEP_3) | instskip(NEXT) | instid1(VALU_DEP_3)
	v_dual_mul_f32 v21, v13, v21 :: v_dual_fmac_f32 v16, v11, v18
	v_fma_f32 v17, v10, v18, -v17
	s_delay_alu instid0(VALU_DEP_3) | instskip(NEXT) | instid1(VALU_DEP_3)
	v_fmac_f32_e32 v19, v13, v20
	v_fma_f32 v18, v12, v20, -v21
	scratch_load_b128 v[10:13], off, off offset:360
	s_wait_loadcnt_dscnt 0x100
	v_mul_f32_e32 v20, v2, v7
	v_mul_f32_e32 v7, v3, v7
	v_mul_f32_e32 v21, v4, v9
	s_delay_alu instid0(VALU_DEP_3) | instskip(NEXT) | instid1(VALU_DEP_3)
	v_dual_mul_f32 v9, v5, v9 :: v_dual_fmac_f32 v20, v3, v6
	v_fma_f32 v162, v2, v6, -v7
	s_delay_alu instid0(VALU_DEP_3) | instskip(NEXT) | instid1(VALU_DEP_3)
	v_fmac_f32_e32 v21, v5, v8
	v_fma_f32 v163, v4, v8, -v9
	ds_load_2addr_b64 v[2:5], v1 offset0:107 offset1:108
	ds_load_2addr_b64 v[6:9], v1 offset0:109 offset1:110
	s_wait_loadcnt_dscnt 0x1
	v_mul_f32_e32 v165, v2, v11
	v_dual_mul_f32 v11, v3, v11 :: v_dual_mul_f32 v166, v4, v13
	s_delay_alu instid0(VALU_DEP_2) | instskip(NEXT) | instid1(VALU_DEP_2)
	v_fmac_f32_e32 v165, v3, v10
	v_fma_f32 v167, v2, v10, -v11
	v_mul_f32_e32 v2, v5, v13
	s_delay_alu instid0(VALU_DEP_4) | instskip(NEXT) | instid1(VALU_DEP_2)
	v_fmac_f32_e32 v166, v5, v12
	v_fma_f32 v168, v4, v12, -v2
	s_clause 0x1
	scratch_load_b128 v[2:5], off, off offset:376
	scratch_load_b128 v[10:13], off, off offset:392
	s_wait_loadcnt_dscnt 0x100
	v_mul_f32_e32 v169, v6, v3
	v_mul_f32_e32 v3, v7, v3
	;; [unrolled: 1-line block ×3, first 2 shown]
	s_delay_alu instid0(VALU_DEP_3) | instskip(NEXT) | instid1(VALU_DEP_3)
	v_fmac_f32_e32 v169, v7, v2
	v_fma_f32 v170, v6, v2, -v3
	v_mul_f32_e32 v2, v9, v5
	s_delay_alu instid0(VALU_DEP_4) | instskip(NEXT) | instid1(VALU_DEP_2)
	v_fmac_f32_e32 v171, v9, v4
	v_fma_f32 v172, v8, v4, -v2
	ds_load_2addr_b64 v[2:5], v1 offset0:111 offset1:112
	ds_load_2addr_b64 v[6:9], v1 offset0:113 offset1:114
	s_wait_loadcnt_dscnt 0x1
	v_mul_f32_e32 v173, v2, v11
	v_mul_f32_e32 v175, v4, v13
	s_delay_alu instid0(VALU_DEP_2) | instskip(SKIP_1) | instid1(VALU_DEP_3)
	v_fmac_f32_e32 v173, v3, v10
	v_mul_f32_e32 v3, v3, v11
	v_fmac_f32_e32 v175, v5, v12
	s_delay_alu instid0(VALU_DEP_2) | instskip(SKIP_1) | instid1(VALU_DEP_1)
	v_fma_f32 v174, v2, v10, -v3
	v_mul_f32_e32 v2, v5, v13
	v_fma_f32 v176, v4, v12, -v2
	s_clause 0x1
	scratch_load_b128 v[2:5], off, off offset:408
	scratch_load_b128 v[10:13], off, off offset:424
	s_wait_loadcnt_dscnt 0x100
	v_mul_f32_e32 v177, v6, v3
	v_mul_f32_e32 v3, v7, v3
	s_delay_alu instid0(VALU_DEP_2) | instskip(NEXT) | instid1(VALU_DEP_2)
	v_fmac_f32_e32 v177, v7, v2
	v_fma_f32 v178, v6, v2, -v3
	v_mul_f32_e32 v2, v9, v5
	s_delay_alu instid0(VALU_DEP_1) | instskip(SKIP_1) | instid1(VALU_DEP_1)
	v_fma_f32 v180, v8, v4, -v2
	v_add_f32_e32 v2, 0, v22
	v_add_f32_e32 v2, v2, v23
	s_delay_alu instid0(VALU_DEP_1) | instskip(NEXT) | instid1(VALU_DEP_1)
	v_add_f32_e32 v2, v2, v26
	v_add_f32_e32 v2, v2, v27
	scratch_load_b64 v[26:27], off, off offset:488
	v_add_f32_e32 v2, v2, v28
	s_delay_alu instid0(VALU_DEP_1) | instskip(NEXT) | instid1(VALU_DEP_1)
	v_add_f32_e32 v7, v2, v29
	v_add_f32_e32 v7, v7, v14
	s_delay_alu instid0(VALU_DEP_1) | instskip(NEXT) | instid1(VALU_DEP_1)
	v_dual_add_f32 v14, v7, v15 :: v_dual_add_f32 v3, 0, v157
	v_dual_add_f32 v14, v14, v17 :: v_dual_add_f32 v3, v3, v158
	s_delay_alu instid0(VALU_DEP_1) | instskip(NEXT) | instid1(VALU_DEP_1)
	v_dual_add_f32 v14, v14, v18 :: v_dual_add_f32 v3, v3, v24
	v_dual_add_f32 v14, v14, v162 :: v_dual_add_f32 v3, v3, v25
	s_delay_alu instid0(VALU_DEP_1) | instskip(NEXT) | instid1(VALU_DEP_1)
	v_add_f32_e32 v6, v3, v32
	v_add_f32_e32 v6, v6, v164
	s_delay_alu instid0(VALU_DEP_1) | instskip(NEXT) | instid1(VALU_DEP_1)
	v_add_f32_e32 v6, v6, v160
	v_add_f32_e32 v15, v6, v161
	;; [unrolled: 3-line block ×4, first 2 shown]
	s_delay_alu instid0(VALU_DEP_1) | instskip(NEXT) | instid1(VALU_DEP_1)
	v_add_f32_e32 v18, v18, v165
	v_dual_mul_f32 v179, v8, v5 :: v_dual_add_f32 v18, v18, v166
	s_delay_alu instid0(VALU_DEP_1)
	v_fmac_f32_e32 v179, v9, v4
	ds_load_2addr_b64 v[2:5], v1 offset0:115 offset1:116
	ds_load_2addr_b64 v[6:9], v1 offset0:117 offset1:118
	v_add_f32_e32 v19, v14, v163
	scratch_load_b128 v[14:17], off, off offset:472
	v_dual_add_f32 v18, v18, v169 :: v_dual_add_f32 v19, v19, v167
	s_delay_alu instid0(VALU_DEP_1) | instskip(NEXT) | instid1(VALU_DEP_1)
	v_dual_add_f32 v22, v18, v171 :: v_dual_add_f32 v19, v19, v168
	v_add_f32_e32 v29, v22, v173
	ds_load_2addr_b64 v[22:25], v1 offset0:121 offset1:122
	v_dual_add_f32 v19, v19, v170 :: v_dual_add_f32 v162, v29, v175
	s_wait_loadcnt_dscnt 0x202
	s_delay_alu instid0(VALU_DEP_1) | instskip(NEXT) | instid1(VALU_DEP_2)
	v_dual_mul_f32 v32, v2, v11 :: v_dual_add_f32 v19, v19, v172
	v_add_f32_e32 v162, v162, v177
	s_delay_alu instid0(VALU_DEP_2) | instskip(NEXT) | instid1(VALU_DEP_3)
	v_fmac_f32_e32 v32, v3, v10
	v_add_f32_e32 v28, v19, v174
	ds_load_2addr_b64 v[18:21], v1 offset0:119 offset1:120
	v_add_f32_e32 v162, v162, v179
	v_mul_f32_e32 v11, v3, v11
	v_add_f32_e32 v161, v28, v176
	ds_load_b64 v[28:29], v1 offset:984
	v_add_f32_e32 v32, v162, v32
	v_fma_f32 v158, v2, v10, -v11
	v_add_f32_e32 v161, v161, v178
	s_delay_alu instid0(VALU_DEP_1) | instskip(NEXT) | instid1(VALU_DEP_1)
	v_add_f32_e32 v161, v161, v180
	v_dual_add_f32 v158, v161, v158 :: v_dual_mul_f32 v157, v4, v13
	v_mul_f32_e32 v13, v5, v13
	s_delay_alu instid0(VALU_DEP_1) | instskip(NEXT) | instid1(VALU_DEP_1)
	v_fma_f32 v160, v4, v12, -v13
	v_add_f32_e32 v158, v158, v160
	s_delay_alu instid0(VALU_DEP_4)
	v_fmac_f32_e32 v157, v5, v12
	s_clause 0x1
	scratch_load_b128 v[2:5], off, off offset:440
	scratch_load_b128 v[10:13], off, off offset:456
	s_wait_loadcnt_dscnt 0x202
	v_mul_f32_e32 v160, v24, v17
	v_dual_add_f32 v32, v32, v157 :: v_dual_mul_f32 v165, v22, v15
	s_delay_alu instid0(VALU_DEP_1)
	v_dual_fmac_f32 v160, v25, v16 :: v_dual_fmac_f32 v165, v23, v14
	s_wait_loadcnt 0x1
	v_mul_f32_e32 v163, v6, v3
	v_dual_mul_f32 v3, v7, v3 :: v_dual_mul_f32 v164, v8, v5
	v_mul_f32_e32 v5, v9, v5
	s_wait_loadcnt_dscnt 0x1
	v_mul_f32_e32 v161, v18, v11
	v_fmac_f32_e32 v163, v7, v2
	v_fma_f32 v3, v6, v2, -v3
	v_fmac_f32_e32 v164, v9, v4
	v_fma_f32 v2, v8, v4, -v5
	v_mul_f32_e32 v4, v19, v11
	v_add_f32_e32 v5, v32, v163
	v_dual_add_f32 v3, v158, v3 :: v_dual_mul_f32 v6, v21, v13
	v_mul_f32_e32 v162, v20, v13
	s_delay_alu instid0(VALU_DEP_4) | instskip(SKIP_1) | instid1(VALU_DEP_4)
	v_fma_f32 v4, v18, v10, -v4
	v_fmac_f32_e32 v161, v19, v10
	v_dual_add_f32 v2, v3, v2 :: v_dual_add_f32 v3, v5, v164
	v_mul_f32_e32 v5, v23, v15
	v_fma_f32 v6, v20, v12, -v6
	v_fmac_f32_e32 v162, v21, v12
	s_delay_alu instid0(VALU_DEP_4) | instskip(SKIP_2) | instid1(VALU_DEP_3)
	v_dual_add_f32 v2, v2, v4 :: v_dual_add_f32 v3, v3, v161
	v_mul_f32_e32 v4, v25, v17
	v_fma_f32 v5, v22, v14, -v5
	v_add_f32_e32 v2, v2, v6
	s_wait_dscnt 0x0
	v_dual_add_f32 v3, v3, v162 :: v_dual_mul_f32 v6, v29, v27
	v_fma_f32 v4, v24, v16, -v4
	s_delay_alu instid0(VALU_DEP_3) | instskip(NEXT) | instid1(VALU_DEP_3)
	v_add_f32_e32 v2, v2, v5
	v_add_f32_e32 v3, v3, v165
	s_delay_alu instid0(VALU_DEP_4) | instskip(NEXT) | instid1(VALU_DEP_3)
	v_fma_f32 v5, v28, v26, -v6
	v_dual_add_f32 v2, v2, v4 :: v_dual_mul_f32 v157, v28, v27
	s_delay_alu instid0(VALU_DEP_1) | instskip(NEXT) | instid1(VALU_DEP_2)
	v_dual_add_f32 v3, v3, v160 :: v_dual_add_f32 v2, v2, v5
	v_fmac_f32_e32 v157, v29, v26
	s_delay_alu instid0(VALU_DEP_1) | instskip(NEXT) | instid1(VALU_DEP_1)
	v_dual_sub_f32 v2, v30, v2 :: v_dual_add_f32 v3, v3, v157
	v_sub_f32_e32 v3, v31, v3
	scratch_store_b64 off, v[2:3], off offset:256
	v_cmpx_lt_u32_e32 31, v0
	s_cbranch_execz .LBB125_323
; %bb.322:
	scratch_load_b64 v[3:4], off, off offset:248
	v_mov_b32_e32 v2, v1
	scratch_store_b64 off, v[1:2], off offset:248
	s_wait_loadcnt 0x0
	ds_store_b64 v159, v[3:4]
.LBB125_323:
	s_wait_alu 0xfffe
	s_or_b32 exec_lo, exec_lo, s0
	s_wait_storecnt_dscnt 0x0
	s_barrier_signal -1
	s_barrier_wait -1
	global_inv scope:SCOPE_SE
	s_clause 0x4
	scratch_load_b128 v[2:5], off, off offset:256
	scratch_load_b128 v[6:9], off, off offset:272
	;; [unrolled: 1-line block ×5, first 2 shown]
	ds_load_b128 v[22:25], v1 offset:752
	ds_load_b128 v[26:29], v1 offset:768
	;; [unrolled: 1-line block ×3, first 2 shown]
	scratch_load_b64 v[30:31], off, off offset:248
	s_mov_b32 s0, exec_lo
	s_wait_loadcnt_dscnt 0x502
	v_mul_f32_e32 v32, v23, v3
	v_dual_mul_f32 v157, v22, v3 :: v_dual_mul_f32 v158, v24, v5
	v_mul_f32_e32 v3, v25, v5
	s_wait_loadcnt_dscnt 0x300
	v_mul_f32_e32 v164, v162, v13
	v_fma_f32 v22, v22, v2, -v32
	v_dual_fmac_f32 v157, v23, v2 :: v_dual_fmac_f32 v158, v25, v4
	v_fma_f32 v23, v24, v4, -v3
	ds_load_b128 v[2:5], v1 offset:800
	v_dual_mul_f32 v24, v26, v7 :: v_dual_mul_f32 v25, v28, v9
	v_mul_f32_e32 v7, v27, v7
	v_dual_mul_f32 v9, v29, v9 :: v_dual_mul_f32 v32, v160, v11
	s_delay_alu instid0(VALU_DEP_3) | instskip(SKIP_2) | instid1(VALU_DEP_4)
	v_dual_mul_f32 v11, v161, v11 :: v_dual_fmac_f32 v24, v27, v6
	v_mul_f32_e32 v13, v163, v13
	v_fmac_f32_e32 v25, v29, v8
	v_fma_f32 v27, v28, v8, -v9
	v_fmac_f32_e32 v32, v161, v10
	v_fma_f32 v28, v160, v10, -v11
	;; [unrolled: 2-line block ×3, first 2 shown]
	ds_load_b128 v[10:13], v1 offset:816
	v_fma_f32 v26, v26, v6, -v7
	scratch_load_b128 v[6:9], off, off offset:336
	s_wait_loadcnt_dscnt 0x301
	v_mul_f32_e32 v160, v2, v15
	v_mul_f32_e32 v15, v3, v15
	;; [unrolled: 1-line block ×3, first 2 shown]
	s_delay_alu instid0(VALU_DEP_3) | instskip(NEXT) | instid1(VALU_DEP_3)
	v_dual_mul_f32 v17, v5, v17 :: v_dual_fmac_f32 v160, v3, v14
	v_fma_f32 v14, v2, v14, -v15
	s_delay_alu instid0(VALU_DEP_3) | instskip(NEXT) | instid1(VALU_DEP_3)
	v_fmac_f32_e32 v161, v5, v16
	v_fma_f32 v15, v4, v16, -v17
	ds_load_b128 v[2:5], v1 offset:832
	s_wait_loadcnt_dscnt 0x201
	v_mul_f32_e32 v16, v10, v19
	v_mul_f32_e32 v17, v11, v19
	;; [unrolled: 1-line block ×3, first 2 shown]
	s_delay_alu instid0(VALU_DEP_3) | instskip(NEXT) | instid1(VALU_DEP_3)
	v_dual_mul_f32 v21, v13, v21 :: v_dual_fmac_f32 v16, v11, v18
	v_fma_f32 v17, v10, v18, -v17
	s_delay_alu instid0(VALU_DEP_3) | instskip(NEXT) | instid1(VALU_DEP_3)
	v_fmac_f32_e32 v19, v13, v20
	v_fma_f32 v18, v12, v20, -v21
	scratch_load_b128 v[10:13], off, off offset:352
	s_wait_loadcnt_dscnt 0x100
	v_mul_f32_e32 v20, v2, v7
	v_mul_f32_e32 v7, v3, v7
	;; [unrolled: 1-line block ×3, first 2 shown]
	s_delay_alu instid0(VALU_DEP_3) | instskip(NEXT) | instid1(VALU_DEP_3)
	v_dual_mul_f32 v9, v5, v9 :: v_dual_fmac_f32 v20, v3, v6
	v_fma_f32 v162, v2, v6, -v7
	s_delay_alu instid0(VALU_DEP_3) | instskip(NEXT) | instid1(VALU_DEP_3)
	v_fmac_f32_e32 v21, v5, v8
	v_fma_f32 v163, v4, v8, -v9
	ds_load_b128 v[2:5], v1 offset:848
	ds_load_b128 v[6:9], v1 offset:864
	s_wait_loadcnt_dscnt 0x1
	v_mul_f32_e32 v165, v2, v11
	v_dual_mul_f32 v11, v3, v11 :: v_dual_mul_f32 v166, v4, v13
	s_delay_alu instid0(VALU_DEP_2) | instskip(NEXT) | instid1(VALU_DEP_2)
	v_fmac_f32_e32 v165, v3, v10
	v_fma_f32 v167, v2, v10, -v11
	v_mul_f32_e32 v2, v5, v13
	s_delay_alu instid0(VALU_DEP_4) | instskip(NEXT) | instid1(VALU_DEP_2)
	v_fmac_f32_e32 v166, v5, v12
	v_fma_f32 v168, v4, v12, -v2
	s_clause 0x1
	scratch_load_b128 v[2:5], off, off offset:368
	scratch_load_b128 v[10:13], off, off offset:384
	s_wait_loadcnt_dscnt 0x100
	v_mul_f32_e32 v169, v6, v3
	v_mul_f32_e32 v3, v7, v3
	;; [unrolled: 1-line block ×3, first 2 shown]
	s_delay_alu instid0(VALU_DEP_3) | instskip(NEXT) | instid1(VALU_DEP_3)
	v_fmac_f32_e32 v169, v7, v2
	v_fma_f32 v170, v6, v2, -v3
	v_mul_f32_e32 v2, v9, v5
	s_delay_alu instid0(VALU_DEP_4) | instskip(NEXT) | instid1(VALU_DEP_2)
	v_fmac_f32_e32 v171, v9, v4
	v_fma_f32 v172, v8, v4, -v2
	ds_load_b128 v[2:5], v1 offset:880
	ds_load_b128 v[6:9], v1 offset:896
	s_wait_loadcnt_dscnt 0x1
	v_mul_f32_e32 v173, v2, v11
	v_mul_f32_e32 v175, v4, v13
	s_delay_alu instid0(VALU_DEP_2) | instskip(SKIP_1) | instid1(VALU_DEP_3)
	v_fmac_f32_e32 v173, v3, v10
	v_mul_f32_e32 v3, v3, v11
	v_fmac_f32_e32 v175, v5, v12
	s_delay_alu instid0(VALU_DEP_2) | instskip(SKIP_1) | instid1(VALU_DEP_1)
	v_fma_f32 v174, v2, v10, -v3
	v_mul_f32_e32 v2, v5, v13
	v_fma_f32 v176, v4, v12, -v2
	s_clause 0x1
	scratch_load_b128 v[2:5], off, off offset:400
	scratch_load_b128 v[10:13], off, off offset:416
	s_wait_loadcnt_dscnt 0x100
	v_mul_f32_e32 v177, v6, v3
	v_mul_f32_e32 v3, v7, v3
	s_delay_alu instid0(VALU_DEP_2) | instskip(NEXT) | instid1(VALU_DEP_2)
	v_fmac_f32_e32 v177, v7, v2
	v_fma_f32 v178, v6, v2, -v3
	v_mul_f32_e32 v2, v9, v5
	v_add_f32_e32 v3, 0, v157
	s_delay_alu instid0(VALU_DEP_2) | instskip(SKIP_1) | instid1(VALU_DEP_1)
	v_fma_f32 v180, v8, v4, -v2
	v_add_f32_e32 v2, 0, v22
	v_add_f32_e32 v2, v2, v23
	s_delay_alu instid0(VALU_DEP_1) | instskip(NEXT) | instid1(VALU_DEP_1)
	v_add_f32_e32 v2, v2, v26
	v_dual_add_f32 v2, v2, v27 :: v_dual_add_f32 v3, v3, v158
	s_delay_alu instid0(VALU_DEP_1) | instskip(NEXT) | instid1(VALU_DEP_1)
	v_add_f32_e32 v2, v2, v28
	v_dual_add_f32 v2, v2, v29 :: v_dual_add_f32 v3, v3, v24
	s_delay_alu instid0(VALU_DEP_1) | instskip(NEXT) | instid1(VALU_DEP_2)
	v_add_f32_e32 v7, v2, v14
	v_add_f32_e32 v3, v3, v25
	s_delay_alu instid0(VALU_DEP_2) | instskip(NEXT) | instid1(VALU_DEP_2)
	v_add_f32_e32 v15, v7, v15
	v_add_f32_e32 v3, v3, v32
	s_delay_alu instid0(VALU_DEP_2) | instskip(NEXT) | instid1(VALU_DEP_2)
	;; [unrolled: 3-line block ×5, first 2 shown]
	v_add_f32_e32 v18, v18, v163
	v_dual_add_f32 v14, v14, v16 :: v_dual_mul_f32 v179, v8, v5
	s_delay_alu instid0(VALU_DEP_2) | instskip(NEXT) | instid1(VALU_DEP_2)
	v_add_f32_e32 v18, v18, v167
	v_add_f32_e32 v19, v14, v19
	ds_load_b128 v[14:17], v1 offset:928
	v_add_f32_e32 v23, v18, v168
	v_add_f32_e32 v19, v19, v20
	s_delay_alu instid0(VALU_DEP_2) | instskip(NEXT) | instid1(VALU_DEP_2)
	v_add_f32_e32 v23, v23, v170
	v_add_f32_e32 v19, v19, v21
	v_fmac_f32_e32 v179, v9, v4
	scratch_load_b128 v[6:9], off, off offset:432
	ds_load_b128 v[2:5], v1 offset:912
	v_add_f32_e32 v23, v23, v172
	v_add_f32_e32 v22, v19, v165
	scratch_load_b128 v[18:21], off, off offset:480
	v_add_f32_e32 v22, v22, v166
	s_delay_alu instid0(VALU_DEP_1) | instskip(SKIP_4) | instid1(VALU_DEP_3)
	v_add_f32_e32 v22, v22, v169
	s_wait_loadcnt_dscnt 0x200
	v_mul_f32_e32 v26, v2, v11
	v_mul_f32_e32 v11, v3, v11
	;; [unrolled: 1-line block ×3, first 2 shown]
	v_dual_mul_f32 v13, v5, v13 :: v_dual_fmac_f32 v26, v3, v10
	s_delay_alu instid0(VALU_DEP_3) | instskip(NEXT) | instid1(VALU_DEP_3)
	v_fma_f32 v28, v2, v10, -v11
	v_fmac_f32_e32 v27, v5, v12
	s_delay_alu instid0(VALU_DEP_3)
	v_fma_f32 v29, v4, v12, -v13
	s_clause 0x1
	scratch_load_b128 v[2:5], off, off offset:448
	scratch_load_b128 v[10:13], off, off offset:464
	s_wait_loadcnt 0x3
	v_mul_f32_e32 v32, v14, v7
	v_mul_f32_e32 v7, v15, v7
	s_delay_alu instid0(VALU_DEP_2) | instskip(NEXT) | instid1(VALU_DEP_2)
	v_fmac_f32_e32 v32, v15, v6
	v_fma_f32 v158, v14, v6, -v7
	v_add_f32_e32 v14, v22, v171
	s_delay_alu instid0(VALU_DEP_1) | instskip(NEXT) | instid1(VALU_DEP_1)
	v_dual_add_f32 v22, v23, v174 :: v_dual_add_f32 v23, v14, v173
	v_dual_add_f32 v161, v22, v176 :: v_dual_add_f32 v162, v23, v175
	ds_load_b128 v[22:25], v1 offset:976
	v_mul_f32_e32 v157, v16, v9
	v_mul_f32_e32 v9, v17, v9
	s_delay_alu instid0(VALU_DEP_2) | instskip(NEXT) | instid1(VALU_DEP_2)
	v_fmac_f32_e32 v157, v17, v8
	v_fma_f32 v160, v16, v8, -v9
	ds_load_b128 v[6:9], v1 offset:944
	ds_load_b128 v[14:17], v1 offset:960
	v_add_f32_e32 v1, v161, v178
	v_add_f32_e32 v161, v162, v177
	s_delay_alu instid0(VALU_DEP_2) | instskip(NEXT) | instid1(VALU_DEP_2)
	v_add_f32_e32 v1, v1, v180
	v_add_f32_e32 v161, v161, v179
	s_delay_alu instid0(VALU_DEP_2) | instskip(NEXT) | instid1(VALU_DEP_2)
	v_add_f32_e32 v1, v1, v28
	v_add_f32_e32 v26, v161, v26
	s_delay_alu instid0(VALU_DEP_2) | instskip(SKIP_3) | instid1(VALU_DEP_3)
	v_add_f32_e32 v1, v1, v29
	s_wait_loadcnt_dscnt 0x101
	v_dual_mul_f32 v29, v24, v21 :: v_dual_mul_f32 v162, v6, v3
	v_mul_f32_e32 v3, v7, v3
	v_dual_add_f32 v1, v1, v158 :: v_dual_mul_f32 v28, v8, v5
	s_delay_alu instid0(VALU_DEP_3) | instskip(NEXT) | instid1(VALU_DEP_3)
	v_dual_mul_f32 v5, v9, v5 :: v_dual_fmac_f32 v162, v7, v2
	v_fma_f32 v3, v6, v2, -v3
	s_wait_loadcnt_dscnt 0x0
	v_mul_f32_e32 v6, v15, v11
	v_dual_add_f32 v26, v26, v27 :: v_dual_add_f32 v1, v1, v160
	v_dual_mul_f32 v161, v14, v11 :: v_dual_fmac_f32 v28, v9, v4
	v_fma_f32 v4, v8, v4, -v5
	s_delay_alu instid0(VALU_DEP_3) | instskip(SKIP_2) | instid1(VALU_DEP_3)
	v_dual_add_f32 v26, v26, v32 :: v_dual_add_f32 v1, v1, v3
	v_mul_f32_e32 v163, v16, v13
	v_mul_f32_e32 v3, v17, v13
	v_dual_fmac_f32 v161, v15, v10 :: v_dual_add_f32 v2, v26, v157
	v_fma_f32 v5, v14, v10, -v6
	v_add_f32_e32 v1, v1, v4
	v_mul_f32_e32 v27, v22, v19
	v_mul_f32_e32 v4, v23, v19
	v_dual_add_f32 v2, v2, v162 :: v_dual_fmac_f32 v163, v17, v12
	v_fma_f32 v3, v16, v12, -v3
	v_add_f32_e32 v1, v1, v5
	s_delay_alu instid0(VALU_DEP_3) | instskip(SKIP_2) | instid1(VALU_DEP_4)
	v_dual_mul_f32 v5, v25, v21 :: v_dual_add_f32 v2, v2, v28
	v_fmac_f32_e32 v27, v23, v18
	v_fma_f32 v4, v22, v18, -v4
	v_add_f32_e32 v1, v1, v3
	s_delay_alu instid0(VALU_DEP_4) | instskip(SKIP_1) | instid1(VALU_DEP_2)
	v_dual_fmac_f32 v29, v25, v20 :: v_dual_add_f32 v2, v2, v161
	v_fma_f32 v3, v24, v20, -v5
	v_dual_add_f32 v1, v1, v4 :: v_dual_add_f32 v2, v2, v163
	s_delay_alu instid0(VALU_DEP_1) | instskip(NEXT) | instid1(VALU_DEP_2)
	v_add_f32_e32 v1, v1, v3
	v_add_f32_e32 v2, v2, v27
	s_delay_alu instid0(VALU_DEP_2) | instskip(NEXT) | instid1(VALU_DEP_2)
	v_sub_f32_e32 v1, v30, v1
	v_add_f32_e32 v2, v2, v29
	s_delay_alu instid0(VALU_DEP_1)
	v_sub_f32_e32 v2, v31, v2
	scratch_store_b64 off, v[1:2], off offset:248
	v_cmpx_lt_u32_e32 30, v0
	s_cbranch_execz .LBB125_325
; %bb.324:
	scratch_load_b64 v[1:2], off, off offset:240
	v_mov_b32_e32 v3, 0
	s_delay_alu instid0(VALU_DEP_1)
	v_mov_b32_e32 v4, v3
	scratch_store_b64 off, v[3:4], off offset:240
	s_wait_loadcnt 0x0
	ds_store_b64 v159, v[1:2]
.LBB125_325:
	s_wait_alu 0xfffe
	s_or_b32 exec_lo, exec_lo, s0
	s_wait_storecnt_dscnt 0x0
	s_barrier_signal -1
	s_barrier_wait -1
	global_inv scope:SCOPE_SE
	s_clause 0x4
	scratch_load_b128 v[5:8], off, off offset:248
	scratch_load_b128 v[1:4], off, off offset:264
	;; [unrolled: 1-line block ×5, first 2 shown]
	v_mov_b32_e32 v21, 0
	ds_load_2addr_b64 v[22:25], v21 offset0:93 offset1:94
	ds_load_2addr_b64 v[26:29], v21 offset0:95 offset1:96
	;; [unrolled: 1-line block ×3, first 2 shown]
	scratch_load_b64 v[30:31], off, off offset:240
	s_mov_b32 s0, exec_lo
	s_wait_loadcnt_dscnt 0x502
	v_mul_f32_e32 v32, v23, v6
	v_dual_mul_f32 v157, v22, v6 :: v_dual_mul_f32 v158, v24, v8
	v_mul_f32_e32 v6, v25, v8
	s_wait_loadcnt_dscnt 0x300
	v_mul_f32_e32 v164, v162, v12
	v_fma_f32 v22, v22, v5, -v32
	v_dual_fmac_f32 v157, v23, v5 :: v_dual_fmac_f32 v158, v25, v7
	v_mul_f32_e32 v25, v28, v4
	v_fma_f32 v23, v24, v7, -v6
	ds_load_2addr_b64 v[5:8], v21 offset0:99 offset1:100
	v_mul_f32_e32 v24, v26, v2
	v_mul_f32_e32 v4, v29, v4
	;; [unrolled: 1-line block ×5, first 2 shown]
	v_dual_mul_f32 v2, v27, v2 :: v_dual_fmac_f32 v25, v29, v3
	v_fmac_f32_e32 v24, v27, v1
	v_fma_f32 v27, v28, v3, -v4
	v_fmac_f32_e32 v32, v161, v9
	v_fma_f32 v28, v160, v9, -v10
	;; [unrolled: 2-line block ×3, first 2 shown]
	ds_load_2addr_b64 v[9:12], v21 offset0:101 offset1:102
	s_wait_loadcnt_dscnt 0x201
	v_dual_mul_f32 v161, v7, v16 :: v_dual_mul_f32 v160, v5, v14
	v_mul_f32_e32 v14, v6, v14
	v_mul_f32_e32 v16, v8, v16
	s_delay_alu instid0(VALU_DEP_3)
	v_fmac_f32_e32 v161, v8, v15
	v_fma_f32 v26, v26, v1, -v2
	scratch_load_b128 v[1:4], off, off offset:328
	v_fmac_f32_e32 v160, v6, v13
	v_fma_f32 v13, v5, v13, -v14
	v_fma_f32 v14, v7, v15, -v16
	ds_load_2addr_b64 v[5:8], v21 offset0:103 offset1:104
	s_wait_loadcnt_dscnt 0x201
	v_mul_f32_e32 v15, v9, v18
	v_mul_f32_e32 v16, v10, v18
	;; [unrolled: 1-line block ×3, first 2 shown]
	s_delay_alu instid0(VALU_DEP_3) | instskip(NEXT) | instid1(VALU_DEP_3)
	v_dual_mul_f32 v20, v12, v20 :: v_dual_fmac_f32 v15, v10, v17
	v_fma_f32 v16, v9, v17, -v16
	s_delay_alu instid0(VALU_DEP_3) | instskip(NEXT) | instid1(VALU_DEP_3)
	v_fmac_f32_e32 v18, v12, v19
	v_fma_f32 v17, v11, v19, -v20
	scratch_load_b128 v[9:12], off, off offset:344
	s_wait_loadcnt_dscnt 0x100
	v_mul_f32_e32 v19, v5, v2
	v_mul_f32_e32 v2, v6, v2
	;; [unrolled: 1-line block ×3, first 2 shown]
	s_delay_alu instid0(VALU_DEP_3) | instskip(NEXT) | instid1(VALU_DEP_3)
	v_dual_mul_f32 v4, v8, v4 :: v_dual_fmac_f32 v19, v6, v1
	v_fma_f32 v162, v5, v1, -v2
	s_delay_alu instid0(VALU_DEP_3) | instskip(NEXT) | instid1(VALU_DEP_3)
	v_fmac_f32_e32 v20, v8, v3
	v_fma_f32 v163, v7, v3, -v4
	ds_load_2addr_b64 v[1:4], v21 offset0:105 offset1:106
	ds_load_2addr_b64 v[5:8], v21 offset0:107 offset1:108
	s_wait_loadcnt_dscnt 0x1
	v_mul_f32_e32 v165, v1, v10
	v_mul_f32_e32 v10, v2, v10
	s_delay_alu instid0(VALU_DEP_2) | instskip(NEXT) | instid1(VALU_DEP_2)
	v_dual_mul_f32 v166, v3, v12 :: v_dual_fmac_f32 v165, v2, v9
	v_fma_f32 v167, v1, v9, -v10
	v_mul_f32_e32 v1, v4, v12
	s_delay_alu instid0(VALU_DEP_3) | instskip(NEXT) | instid1(VALU_DEP_2)
	v_fmac_f32_e32 v166, v4, v11
	v_fma_f32 v168, v3, v11, -v1
	s_clause 0x1
	scratch_load_b128 v[1:4], off, off offset:360
	scratch_load_b128 v[9:12], off, off offset:376
	s_wait_loadcnt_dscnt 0x100
	v_mul_f32_e32 v169, v5, v2
	v_dual_mul_f32 v2, v6, v2 :: v_dual_mul_f32 v171, v7, v4
	s_delay_alu instid0(VALU_DEP_2) | instskip(NEXT) | instid1(VALU_DEP_2)
	v_fmac_f32_e32 v169, v6, v1
	v_fma_f32 v170, v5, v1, -v2
	v_mul_f32_e32 v1, v8, v4
	s_delay_alu instid0(VALU_DEP_4) | instskip(NEXT) | instid1(VALU_DEP_2)
	v_fmac_f32_e32 v171, v8, v3
	v_fma_f32 v172, v7, v3, -v1
	ds_load_2addr_b64 v[1:4], v21 offset0:109 offset1:110
	ds_load_2addr_b64 v[5:8], v21 offset0:111 offset1:112
	s_wait_loadcnt_dscnt 0x1
	v_mul_f32_e32 v173, v1, v10
	v_mul_f32_e32 v175, v3, v12
	s_delay_alu instid0(VALU_DEP_2) | instskip(NEXT) | instid1(VALU_DEP_2)
	v_fmac_f32_e32 v173, v2, v9
	v_dual_mul_f32 v2, v2, v10 :: v_dual_fmac_f32 v175, v4, v11
	s_delay_alu instid0(VALU_DEP_1) | instskip(SKIP_1) | instid1(VALU_DEP_1)
	v_fma_f32 v174, v1, v9, -v2
	v_mul_f32_e32 v1, v4, v12
	v_fma_f32 v176, v3, v11, -v1
	s_clause 0x1
	scratch_load_b128 v[1:4], off, off offset:392
	scratch_load_b128 v[9:12], off, off offset:408
	s_wait_loadcnt_dscnt 0x100
	v_mul_f32_e32 v177, v5, v2
	v_dual_mul_f32 v2, v6, v2 :: v_dual_mul_f32 v179, v7, v4
	s_delay_alu instid0(VALU_DEP_2) | instskip(NEXT) | instid1(VALU_DEP_2)
	v_fmac_f32_e32 v177, v6, v1
	v_fma_f32 v178, v5, v1, -v2
	v_mul_f32_e32 v1, v8, v4
	s_delay_alu instid0(VALU_DEP_4) | instskip(NEXT) | instid1(VALU_DEP_2)
	v_fmac_f32_e32 v179, v8, v3
	v_fma_f32 v180, v7, v3, -v1
	v_add_f32_e32 v1, 0, v22
	s_delay_alu instid0(VALU_DEP_1) | instskip(NEXT) | instid1(VALU_DEP_1)
	v_dual_add_f32 v1, v1, v23 :: v_dual_add_f32 v2, 0, v157
	v_add_f32_e32 v1, v1, v26
	s_delay_alu instid0(VALU_DEP_1) | instskip(SKIP_2) | instid1(VALU_DEP_1)
	v_dual_add_f32 v1, v1, v27 :: v_dual_add_f32 v2, v2, v158
	scratch_load_b64 v[26:27], off, off offset:488
	v_add_f32_e32 v1, v1, v28
	v_dual_add_f32 v2, v2, v24 :: v_dual_add_f32 v1, v1, v29
	s_delay_alu instid0(VALU_DEP_1) | instskip(NEXT) | instid1(VALU_DEP_2)
	v_add_f32_e32 v2, v2, v25
	v_add_f32_e32 v6, v1, v13
	s_delay_alu instid0(VALU_DEP_2) | instskip(NEXT) | instid1(VALU_DEP_1)
	v_add_f32_e32 v2, v2, v32
	v_add_f32_e32 v5, v2, v164
	scratch_load_b128 v[1:4], off, off offset:424
	v_add_f32_e32 v13, v5, v160
	s_delay_alu instid0(VALU_DEP_1) | instskip(SKIP_2) | instid1(VALU_DEP_1)
	v_dual_add_f32 v13, v13, v161 :: v_dual_add_f32 v14, v6, v14
	ds_load_2addr_b64 v[5:8], v21 offset0:113 offset1:114
	v_dual_add_f32 v13, v13, v15 :: v_dual_add_f32 v14, v14, v16
	v_dual_add_f32 v18, v13, v18 :: v_dual_add_f32 v17, v14, v17
	ds_load_2addr_b64 v[13:16], v21 offset0:115 offset1:116
	v_add_f32_e32 v17, v17, v162
	s_delay_alu instid0(VALU_DEP_1) | instskip(SKIP_3) | instid1(VALU_DEP_3)
	v_add_f32_e32 v17, v17, v163
	s_wait_loadcnt_dscnt 0x201
	v_dual_mul_f32 v32, v5, v10 :: v_dual_mul_f32 v157, v7, v12
	v_mul_f32_e32 v10, v6, v10
	v_dual_mul_f32 v12, v8, v12 :: v_dual_add_f32 v17, v17, v167
	s_delay_alu instid0(VALU_DEP_3) | instskip(NEXT) | instid1(VALU_DEP_3)
	v_dual_fmac_f32 v32, v6, v9 :: v_dual_fmac_f32 v157, v8, v11
	v_fma_f32 v158, v5, v9, -v10
	s_delay_alu instid0(VALU_DEP_3) | instskip(SKIP_4) | instid1(VALU_DEP_1)
	v_fma_f32 v160, v7, v11, -v12
	scratch_load_b128 v[5:8], off, off offset:440
	v_dual_add_f32 v18, v18, v19 :: v_dual_add_f32 v23, v17, v168
	scratch_load_b128 v[9:12], off, off offset:456
	v_dual_add_f32 v18, v18, v20 :: v_dual_add_f32 v23, v23, v170
	v_dual_add_f32 v22, v18, v165 :: v_dual_add_f32 v23, v23, v172
	scratch_load_b128 v[17:20], off, off offset:472
	v_add_f32_e32 v23, v23, v174
	s_wait_loadcnt_dscnt 0x300
	v_mul_f32_e32 v161, v13, v2
	v_mul_f32_e32 v2, v14, v2
	;; [unrolled: 1-line block ×3, first 2 shown]
	s_delay_alu instid0(VALU_DEP_3) | instskip(SKIP_1) | instid1(VALU_DEP_4)
	v_dual_mul_f32 v4, v16, v4 :: v_dual_fmac_f32 v161, v14, v1
	v_add_f32_e32 v14, v23, v176
	v_fma_f32 v163, v13, v1, -v2
	s_delay_alu instid0(VALU_DEP_4) | instskip(NEXT) | instid1(VALU_DEP_4)
	v_fmac_f32_e32 v162, v16, v3
	v_fma_f32 v164, v15, v3, -v4
	ds_load_2addr_b64 v[1:4], v21 offset0:117 offset1:118
	v_add_f32_e32 v28, v14, v178
	s_delay_alu instid0(VALU_DEP_1) | instskip(NEXT) | instid1(VALU_DEP_1)
	v_dual_add_f32 v22, v22, v166 :: v_dual_add_f32 v165, v28, v180
	v_add_f32_e32 v22, v22, v169
	s_delay_alu instid0(VALU_DEP_1) | instskip(NEXT) | instid1(VALU_DEP_1)
	v_add_f32_e32 v22, v22, v171
	v_add_f32_e32 v13, v22, v173
	s_delay_alu instid0(VALU_DEP_1)
	v_add_f32_e32 v22, v13, v175
	ds_load_2addr_b64 v[13:16], v21 offset0:119 offset1:120
	v_dual_add_f32 v158, v165, v158 :: v_dual_add_f32 v29, v22, v177
	ds_load_2addr_b64 v[22:25], v21 offset0:121 offset1:122
	s_wait_loadcnt_dscnt 0x202
	v_mul_f32_e32 v165, v1, v6
	v_mul_f32_e32 v6, v2, v6
	v_add_f32_e32 v166, v29, v179
	ds_load_b64 v[28:29], v21 offset:984
	v_fmac_f32_e32 v165, v2, v5
	v_add_f32_e32 v158, v158, v160
	v_fma_f32 v1, v1, v5, -v6
	s_wait_loadcnt_dscnt 0x102
	s_delay_alu instid0(VALU_DEP_2) | instskip(SKIP_2) | instid1(VALU_DEP_2)
	v_dual_add_f32 v158, v158, v163 :: v_dual_mul_f32 v5, v16, v12
	s_wait_loadcnt_dscnt 0x1
	v_mul_f32_e32 v163, v22, v18
	v_add_f32_e32 v158, v158, v164
	s_delay_alu instid0(VALU_DEP_3) | instskip(NEXT) | instid1(VALU_DEP_3)
	v_fma_f32 v5, v15, v11, -v5
	v_dual_fmac_f32 v163, v23, v17 :: v_dual_mul_f32 v160, v13, v10
	s_delay_alu instid0(VALU_DEP_3) | instskip(SKIP_1) | instid1(VALU_DEP_3)
	v_add_f32_e32 v1, v158, v1
	v_add_f32_e32 v32, v166, v32
	v_fmac_f32_e32 v160, v14, v9
	s_delay_alu instid0(VALU_DEP_2) | instskip(SKIP_1) | instid1(VALU_DEP_2)
	v_dual_add_f32 v32, v32, v157 :: v_dual_mul_f32 v157, v3, v8
	v_mul_f32_e32 v8, v4, v8
	v_fmac_f32_e32 v157, v4, v7
	s_delay_alu instid0(VALU_DEP_2) | instskip(NEXT) | instid1(VALU_DEP_4)
	v_fma_f32 v2, v3, v7, -v8
	v_dual_mul_f32 v3, v14, v10 :: v_dual_add_f32 v32, v32, v161
	v_mul_f32_e32 v161, v15, v12
	s_delay_alu instid0(VALU_DEP_3) | instskip(NEXT) | instid1(VALU_DEP_3)
	v_add_f32_e32 v1, v1, v2
	v_fma_f32 v3, v13, v9, -v3
	s_delay_alu instid0(VALU_DEP_3) | instskip(NEXT) | instid1(VALU_DEP_2)
	v_fmac_f32_e32 v161, v16, v11
	v_dual_add_f32 v1, v1, v3 :: v_dual_mul_f32 v164, v24, v20
	v_mul_f32_e32 v3, v25, v20
	s_delay_alu instid0(VALU_DEP_2) | instskip(SKIP_2) | instid1(VALU_DEP_3)
	v_add_f32_e32 v1, v1, v5
	s_wait_dscnt 0x0
	v_dual_mul_f32 v5, v29, v27 :: v_dual_add_f32 v32, v32, v162
	v_fma_f32 v3, v24, v19, -v3
	v_fmac_f32_e32 v164, v25, v19
	s_delay_alu instid0(VALU_DEP_3) | instskip(NEXT) | instid1(VALU_DEP_1)
	v_add_f32_e32 v4, v32, v165
	v_add_f32_e32 v2, v4, v157
	v_mul_f32_e32 v4, v23, v18
	s_delay_alu instid0(VALU_DEP_2) | instskip(NEXT) | instid1(VALU_DEP_2)
	v_add_f32_e32 v2, v2, v160
	v_fma_f32 v4, v22, v17, -v4
	s_delay_alu instid0(VALU_DEP_1) | instskip(SKIP_1) | instid1(VALU_DEP_2)
	v_dual_add_f32 v2, v2, v161 :: v_dual_add_f32 v1, v1, v4
	v_fma_f32 v4, v28, v26, -v5
	v_add_f32_e32 v2, v2, v163
	s_delay_alu instid0(VALU_DEP_3) | instskip(SKIP_1) | instid1(VALU_DEP_3)
	v_add_f32_e32 v1, v1, v3
	v_mul_f32_e32 v162, v28, v27
	v_add_f32_e32 v2, v2, v164
	s_delay_alu instid0(VALU_DEP_3) | instskip(NEXT) | instid1(VALU_DEP_1)
	v_add_f32_e32 v1, v1, v4
	v_dual_fmac_f32 v162, v29, v26 :: v_dual_sub_f32 v1, v30, v1
	s_delay_alu instid0(VALU_DEP_1) | instskip(NEXT) | instid1(VALU_DEP_1)
	v_add_f32_e32 v2, v2, v162
	v_sub_f32_e32 v2, v31, v2
	scratch_store_b64 off, v[1:2], off offset:240
	v_cmpx_lt_u32_e32 29, v0
	s_cbranch_execz .LBB125_327
; %bb.326:
	scratch_load_b64 v[1:2], off, off offset:232
	v_mov_b32_e32 v22, v21
	scratch_store_b64 off, v[21:22], off offset:232
	s_wait_loadcnt 0x0
	ds_store_b64 v159, v[1:2]
.LBB125_327:
	s_wait_alu 0xfffe
	s_or_b32 exec_lo, exec_lo, s0
	s_wait_storecnt_dscnt 0x0
	s_barrier_signal -1
	s_barrier_wait -1
	global_inv scope:SCOPE_SE
	s_clause 0x4
	scratch_load_b128 v[5:8], off, off offset:240
	scratch_load_b128 v[1:4], off, off offset:256
	;; [unrolled: 1-line block ×5, first 2 shown]
	ds_load_b128 v[22:25], v21 offset:736
	ds_load_b128 v[26:29], v21 offset:752
	;; [unrolled: 1-line block ×3, first 2 shown]
	scratch_load_b64 v[30:31], off, off offset:232
	s_mov_b32 s0, exec_lo
	s_wait_loadcnt_dscnt 0x502
	v_mul_f32_e32 v32, v23, v6
	v_dual_mul_f32 v157, v22, v6 :: v_dual_mul_f32 v158, v24, v8
	v_mul_f32_e32 v6, v25, v8
	s_wait_loadcnt_dscnt 0x300
	v_mul_f32_e32 v164, v162, v12
	v_mul_f32_e32 v12, v163, v12
	v_dual_fmac_f32 v157, v23, v5 :: v_dual_fmac_f32 v158, v25, v7
	v_fma_f32 v23, v24, v7, -v6
	v_mul_f32_e32 v25, v28, v4
	v_fma_f32 v22, v22, v5, -v32
	ds_load_b128 v[5:8], v21 offset:784
	v_mul_f32_e32 v24, v26, v2
	v_mul_f32_e32 v4, v29, v4
	;; [unrolled: 1-line block ×4, first 2 shown]
	v_dual_mul_f32 v2, v27, v2 :: v_dual_fmac_f32 v25, v29, v3
	v_fmac_f32_e32 v24, v27, v1
	v_fma_f32 v27, v28, v3, -v4
	v_fmac_f32_e32 v32, v161, v9
	v_fma_f32 v28, v160, v9, -v10
	;; [unrolled: 2-line block ×3, first 2 shown]
	ds_load_b128 v[9:12], v21 offset:800
	s_wait_loadcnt_dscnt 0x201
	v_dual_mul_f32 v161, v7, v16 :: v_dual_mul_f32 v160, v5, v14
	v_mul_f32_e32 v14, v6, v14
	v_mul_f32_e32 v16, v8, v16
	s_delay_alu instid0(VALU_DEP_3)
	v_fmac_f32_e32 v161, v8, v15
	v_fma_f32 v26, v26, v1, -v2
	scratch_load_b128 v[1:4], off, off offset:320
	v_fmac_f32_e32 v160, v6, v13
	v_fma_f32 v13, v5, v13, -v14
	v_fma_f32 v14, v7, v15, -v16
	ds_load_b128 v[5:8], v21 offset:816
	s_wait_loadcnt_dscnt 0x201
	v_mul_f32_e32 v15, v9, v18
	v_mul_f32_e32 v16, v10, v18
	v_mul_f32_e32 v18, v11, v20
	s_delay_alu instid0(VALU_DEP_3) | instskip(NEXT) | instid1(VALU_DEP_3)
	v_dual_mul_f32 v20, v12, v20 :: v_dual_fmac_f32 v15, v10, v17
	v_fma_f32 v16, v9, v17, -v16
	s_delay_alu instid0(VALU_DEP_3) | instskip(NEXT) | instid1(VALU_DEP_3)
	v_fmac_f32_e32 v18, v12, v19
	v_fma_f32 v17, v11, v19, -v20
	scratch_load_b128 v[9:12], off, off offset:336
	s_wait_loadcnt_dscnt 0x100
	v_mul_f32_e32 v19, v5, v2
	v_mul_f32_e32 v2, v6, v2
	;; [unrolled: 1-line block ×3, first 2 shown]
	s_delay_alu instid0(VALU_DEP_3) | instskip(NEXT) | instid1(VALU_DEP_3)
	v_dual_mul_f32 v4, v8, v4 :: v_dual_fmac_f32 v19, v6, v1
	v_fma_f32 v162, v5, v1, -v2
	s_delay_alu instid0(VALU_DEP_3) | instskip(NEXT) | instid1(VALU_DEP_3)
	v_fmac_f32_e32 v20, v8, v3
	v_fma_f32 v163, v7, v3, -v4
	ds_load_b128 v[1:4], v21 offset:832
	ds_load_b128 v[5:8], v21 offset:848
	s_wait_loadcnt_dscnt 0x1
	v_mul_f32_e32 v165, v1, v10
	v_mul_f32_e32 v10, v2, v10
	s_delay_alu instid0(VALU_DEP_2) | instskip(NEXT) | instid1(VALU_DEP_2)
	v_dual_mul_f32 v166, v3, v12 :: v_dual_fmac_f32 v165, v2, v9
	v_fma_f32 v167, v1, v9, -v10
	v_mul_f32_e32 v1, v4, v12
	s_delay_alu instid0(VALU_DEP_3) | instskip(NEXT) | instid1(VALU_DEP_2)
	v_fmac_f32_e32 v166, v4, v11
	v_fma_f32 v168, v3, v11, -v1
	s_clause 0x1
	scratch_load_b128 v[1:4], off, off offset:352
	scratch_load_b128 v[9:12], off, off offset:368
	s_wait_loadcnt_dscnt 0x100
	v_mul_f32_e32 v169, v5, v2
	v_dual_mul_f32 v2, v6, v2 :: v_dual_mul_f32 v171, v7, v4
	s_delay_alu instid0(VALU_DEP_2) | instskip(NEXT) | instid1(VALU_DEP_2)
	v_fmac_f32_e32 v169, v6, v1
	v_fma_f32 v170, v5, v1, -v2
	v_mul_f32_e32 v1, v8, v4
	s_delay_alu instid0(VALU_DEP_4) | instskip(NEXT) | instid1(VALU_DEP_2)
	v_fmac_f32_e32 v171, v8, v3
	v_fma_f32 v172, v7, v3, -v1
	ds_load_b128 v[1:4], v21 offset:864
	ds_load_b128 v[5:8], v21 offset:880
	s_wait_loadcnt_dscnt 0x1
	v_mul_f32_e32 v173, v1, v10
	v_mul_f32_e32 v175, v3, v12
	s_delay_alu instid0(VALU_DEP_2) | instskip(NEXT) | instid1(VALU_DEP_2)
	v_fmac_f32_e32 v173, v2, v9
	v_dual_mul_f32 v2, v2, v10 :: v_dual_fmac_f32 v175, v4, v11
	s_delay_alu instid0(VALU_DEP_1) | instskip(SKIP_1) | instid1(VALU_DEP_1)
	v_fma_f32 v174, v1, v9, -v2
	v_mul_f32_e32 v1, v4, v12
	v_fma_f32 v176, v3, v11, -v1
	s_clause 0x1
	scratch_load_b128 v[1:4], off, off offset:384
	scratch_load_b128 v[9:12], off, off offset:400
	s_wait_loadcnt_dscnt 0x100
	v_mul_f32_e32 v177, v5, v2
	v_dual_mul_f32 v2, v6, v2 :: v_dual_mul_f32 v179, v7, v4
	s_delay_alu instid0(VALU_DEP_2) | instskip(NEXT) | instid1(VALU_DEP_2)
	v_fmac_f32_e32 v177, v6, v1
	v_fma_f32 v178, v5, v1, -v2
	v_mul_f32_e32 v1, v8, v4
	s_delay_alu instid0(VALU_DEP_4) | instskip(NEXT) | instid1(VALU_DEP_2)
	v_fmac_f32_e32 v179, v8, v3
	v_fma_f32 v180, v7, v3, -v1
	ds_load_b128 v[1:4], v21 offset:896
	ds_load_b128 v[5:8], v21 offset:912
	s_wait_loadcnt_dscnt 0x1
	v_mul_f32_e32 v181, v1, v10
	v_mul_f32_e32 v183, v3, v12
	s_delay_alu instid0(VALU_DEP_2) | instskip(NEXT) | instid1(VALU_DEP_2)
	v_fmac_f32_e32 v181, v2, v9
	v_dual_mul_f32 v2, v2, v10 :: v_dual_fmac_f32 v183, v4, v11
	s_delay_alu instid0(VALU_DEP_1) | instskip(SKIP_1) | instid1(VALU_DEP_1)
	v_fma_f32 v182, v1, v9, -v2
	v_mul_f32_e32 v1, v4, v12
	v_fma_f32 v184, v3, v11, -v1
	s_clause 0x1
	scratch_load_b128 v[1:4], off, off offset:416
	scratch_load_b128 v[9:12], off, off offset:432
	s_wait_loadcnt_dscnt 0x100
	v_mul_f32_e32 v185, v5, v2
	v_dual_mul_f32 v2, v6, v2 :: v_dual_mul_f32 v187, v7, v4
	s_delay_alu instid0(VALU_DEP_1) | instskip(NEXT) | instid1(VALU_DEP_2)
	v_fma_f32 v186, v5, v1, -v2
	v_dual_add_f32 v2, 0, v157 :: v_dual_fmac_f32 v187, v8, v3
	s_delay_alu instid0(VALU_DEP_1) | instskip(NEXT) | instid1(VALU_DEP_1)
	v_add_f32_e32 v2, v2, v158
	v_add_f32_e32 v2, v2, v24
	s_delay_alu instid0(VALU_DEP_1) | instskip(NEXT) | instid1(VALU_DEP_1)
	v_add_f32_e32 v2, v2, v25
	v_add_f32_e32 v2, v2, v32
	;; [unrolled: 3-line block ×5, first 2 shown]
	v_fmac_f32_e32 v185, v6, v1
	v_mul_f32_e32 v1, v8, v4
	s_delay_alu instid0(VALU_DEP_1) | instskip(SKIP_1) | instid1(VALU_DEP_1)
	v_fma_f32 v188, v7, v3, -v1
	v_add_f32_e32 v1, 0, v22
	v_add_f32_e32 v1, v1, v23
	s_delay_alu instid0(VALU_DEP_1) | instskip(NEXT) | instid1(VALU_DEP_1)
	v_add_f32_e32 v1, v1, v26
	v_add_f32_e32 v1, v1, v27
	s_delay_alu instid0(VALU_DEP_1) | instskip(NEXT) | instid1(VALU_DEP_1)
	;; [unrolled: 3-line block ×3, first 2 shown]
	v_add_f32_e32 v1, v1, v13
	v_add_f32_e32 v1, v1, v14
	;; [unrolled: 1-line block ×3, first 2 shown]
	s_delay_alu instid0(VALU_DEP_1) | instskip(NEXT) | instid1(VALU_DEP_1)
	v_dual_add_f32 v1, v1, v16 :: v_dual_add_f32 v14, v14, v165
	v_add_f32_e32 v6, v1, v17
	s_delay_alu instid0(VALU_DEP_2) | instskip(SKIP_3) | instid1(VALU_DEP_1)
	v_add_f32_e32 v14, v14, v166
	ds_load_b128 v[1:4], v21 offset:928
	v_add_f32_e32 v6, v6, v162
	v_add_f32_e32 v17, v14, v169
	v_add_f32_e32 v17, v17, v171
	s_delay_alu instid0(VALU_DEP_1) | instskip(NEXT) | instid1(VALU_DEP_1)
	v_add_f32_e32 v17, v17, v173
	v_add_f32_e32 v17, v17, v175
	s_delay_alu instid0(VALU_DEP_1) | instskip(NEXT) | instid1(VALU_DEP_1)
	v_add_f32_e32 v23, v17, v177
	v_add_f32_e32 v32, v23, v179
	;; [unrolled: 1-line block ×3, first 2 shown]
	ds_load_b128 v[5:8], v21 offset:944
	s_wait_loadcnt_dscnt 0x1
	v_mul_f32_e32 v26, v3, v12
	v_mul_f32_e32 v12, v4, v12
	v_dual_add_f32 v32, v32, v181 :: v_dual_add_f32 v13, v13, v167
	s_delay_alu instid0(VALU_DEP_3) | instskip(NEXT) | instid1(VALU_DEP_3)
	v_fmac_f32_e32 v26, v4, v11
	v_fma_f32 v28, v3, v11, -v12
	s_delay_alu instid0(VALU_DEP_3) | instskip(NEXT) | instid1(VALU_DEP_1)
	v_dual_add_f32 v32, v32, v183 :: v_dual_add_f32 v13, v13, v168
	v_dual_add_f32 v32, v32, v185 :: v_dual_add_f32 v13, v13, v170
	s_delay_alu instid0(VALU_DEP_1) | instskip(NEXT) | instid1(VALU_DEP_2)
	v_add_f32_e32 v32, v32, v187
	v_add_f32_e32 v18, v13, v172
	scratch_load_b128 v[13:16], off, off offset:480
	v_add_f32_e32 v18, v18, v174
	v_mul_f32_e32 v25, v1, v10
	v_mul_f32_e32 v10, v2, v10
	s_delay_alu instid0(VALU_DEP_3) | instskip(NEXT) | instid1(VALU_DEP_3)
	v_add_f32_e32 v18, v18, v176
	v_fmac_f32_e32 v25, v2, v9
	s_delay_alu instid0(VALU_DEP_3)
	v_fma_f32 v27, v1, v9, -v10
	s_clause 0x1
	scratch_load_b128 v[1:4], off, off offset:448
	scratch_load_b128 v[9:12], off, off offset:464
	v_add_f32_e32 v22, v18, v178
	ds_load_b128 v[17:20], v21 offset:960
	v_add_f32_e32 v29, v22, v180
	ds_load_b128 v[21:24], v21 offset:976
	s_wait_loadcnt_dscnt 0x200
	v_mul_f32_e32 v162, v21, v14
	s_delay_alu instid0(VALU_DEP_1)
	v_fmac_f32_e32 v162, v22, v13
	s_wait_loadcnt 0x1
	v_mul_f32_e32 v158, v7, v4
	s_wait_loadcnt 0x0
	v_mul_f32_e32 v160, v17, v10
	v_dual_add_f32 v29, v29, v182 :: v_dual_mul_f32 v4, v8, v4
	s_delay_alu instid0(VALU_DEP_3) | instskip(NEXT) | instid1(VALU_DEP_2)
	v_dual_mul_f32 v157, v5, v2 :: v_dual_fmac_f32 v158, v8, v3
	v_dual_mul_f32 v2, v6, v2 :: v_dual_add_f32 v29, v29, v184
	s_delay_alu instid0(VALU_DEP_3)
	v_fma_f32 v3, v7, v3, -v4
	v_mul_f32_e32 v4, v20, v12
	v_add_f32_e32 v25, v32, v25
	v_fmac_f32_e32 v157, v6, v1
	v_add_f32_e32 v29, v29, v186
	v_dual_mul_f32 v6, v18, v10 :: v_dual_mul_f32 v161, v19, v12
	v_fma_f32 v2, v5, v1, -v2
	s_delay_alu instid0(VALU_DEP_3) | instskip(SKIP_1) | instid1(VALU_DEP_4)
	v_dual_fmac_f32 v160, v18, v9 :: v_dual_add_f32 v29, v29, v188
	v_add_f32_e32 v5, v25, v26
	v_fmac_f32_e32 v161, v20, v11
	v_fma_f32 v4, v19, v11, -v4
	s_delay_alu instid0(VALU_DEP_4) | instskip(SKIP_1) | instid1(VALU_DEP_2)
	v_add_f32_e32 v27, v29, v27
	v_mul_f32_e32 v29, v23, v16
	v_add_f32_e32 v1, v27, v28
	s_delay_alu instid0(VALU_DEP_1) | instskip(SKIP_2) | instid1(VALU_DEP_2)
	v_add_f32_e32 v1, v1, v2
	v_add_f32_e32 v2, v5, v157
	v_fma_f32 v5, v17, v9, -v6
	v_dual_fmac_f32 v29, v24, v15 :: v_dual_add_f32 v2, v2, v158
	s_delay_alu instid0(VALU_DEP_1) | instskip(NEXT) | instid1(VALU_DEP_1)
	v_add_f32_e32 v2, v2, v160
	v_dual_add_f32 v2, v2, v161 :: v_dual_add_f32 v1, v1, v3
	v_mul_f32_e32 v3, v22, v14
	s_delay_alu instid0(VALU_DEP_2) | instskip(SKIP_1) | instid1(VALU_DEP_3)
	v_dual_add_f32 v2, v2, v162 :: v_dual_add_f32 v1, v1, v5
	v_mul_f32_e32 v5, v24, v16
	v_fma_f32 v3, v21, v13, -v3
	s_delay_alu instid0(VALU_DEP_3) | instskip(NEXT) | instid1(VALU_DEP_3)
	v_dual_add_f32 v2, v2, v29 :: v_dual_add_f32 v1, v1, v4
	v_fma_f32 v4, v23, v15, -v5
	s_delay_alu instid0(VALU_DEP_2) | instskip(NEXT) | instid1(VALU_DEP_1)
	v_dual_sub_f32 v2, v31, v2 :: v_dual_add_f32 v1, v1, v3
	v_add_f32_e32 v1, v1, v4
	s_delay_alu instid0(VALU_DEP_1)
	v_sub_f32_e32 v1, v30, v1
	scratch_store_b64 off, v[1:2], off offset:232
	v_cmpx_lt_u32_e32 28, v0
	s_cbranch_execz .LBB125_329
; %bb.328:
	scratch_load_b64 v[1:2], off, off offset:224
	v_mov_b32_e32 v3, 0
	s_delay_alu instid0(VALU_DEP_1)
	v_mov_b32_e32 v4, v3
	scratch_store_b64 off, v[3:4], off offset:224
	s_wait_loadcnt 0x0
	ds_store_b64 v159, v[1:2]
.LBB125_329:
	s_wait_alu 0xfffe
	s_or_b32 exec_lo, exec_lo, s0
	s_wait_storecnt_dscnt 0x0
	s_barrier_signal -1
	s_barrier_wait -1
	global_inv scope:SCOPE_SE
	s_clause 0x4
	scratch_load_b128 v[5:8], off, off offset:232
	scratch_load_b128 v[1:4], off, off offset:248
	;; [unrolled: 1-line block ×5, first 2 shown]
	v_mov_b32_e32 v21, 0
	ds_load_2addr_b64 v[22:25], v21 offset0:91 offset1:92
	ds_load_2addr_b64 v[26:29], v21 offset0:93 offset1:94
	;; [unrolled: 1-line block ×3, first 2 shown]
	scratch_load_b64 v[30:31], off, off offset:224
	s_mov_b32 s0, exec_lo
	s_wait_loadcnt_dscnt 0x502
	v_mul_f32_e32 v32, v23, v6
	v_dual_mul_f32 v157, v22, v6 :: v_dual_mul_f32 v158, v24, v8
	v_mul_f32_e32 v6, v25, v8
	s_wait_loadcnt_dscnt 0x300
	v_mul_f32_e32 v164, v162, v12
	v_fma_f32 v22, v22, v5, -v32
	v_dual_fmac_f32 v157, v23, v5 :: v_dual_fmac_f32 v158, v25, v7
	v_mul_f32_e32 v25, v28, v4
	v_fma_f32 v23, v24, v7, -v6
	ds_load_2addr_b64 v[5:8], v21 offset0:97 offset1:98
	v_mul_f32_e32 v24, v26, v2
	v_mul_f32_e32 v4, v29, v4
	;; [unrolled: 1-line block ×5, first 2 shown]
	v_dual_mul_f32 v2, v27, v2 :: v_dual_fmac_f32 v25, v29, v3
	v_fmac_f32_e32 v24, v27, v1
	v_fma_f32 v27, v28, v3, -v4
	v_fmac_f32_e32 v32, v161, v9
	v_fma_f32 v28, v160, v9, -v10
	;; [unrolled: 2-line block ×3, first 2 shown]
	ds_load_2addr_b64 v[9:12], v21 offset0:99 offset1:100
	s_wait_loadcnt_dscnt 0x201
	v_dual_mul_f32 v161, v7, v16 :: v_dual_mul_f32 v160, v5, v14
	v_mul_f32_e32 v14, v6, v14
	v_mul_f32_e32 v16, v8, v16
	s_delay_alu instid0(VALU_DEP_3)
	v_fmac_f32_e32 v161, v8, v15
	v_fma_f32 v26, v26, v1, -v2
	scratch_load_b128 v[1:4], off, off offset:312
	v_fmac_f32_e32 v160, v6, v13
	v_fma_f32 v13, v5, v13, -v14
	v_fma_f32 v14, v7, v15, -v16
	ds_load_2addr_b64 v[5:8], v21 offset0:101 offset1:102
	s_wait_loadcnt_dscnt 0x201
	v_mul_f32_e32 v15, v9, v18
	v_mul_f32_e32 v16, v10, v18
	;; [unrolled: 1-line block ×3, first 2 shown]
	s_delay_alu instid0(VALU_DEP_3) | instskip(NEXT) | instid1(VALU_DEP_3)
	v_dual_mul_f32 v20, v12, v20 :: v_dual_fmac_f32 v15, v10, v17
	v_fma_f32 v16, v9, v17, -v16
	s_delay_alu instid0(VALU_DEP_3) | instskip(NEXT) | instid1(VALU_DEP_3)
	v_fmac_f32_e32 v18, v12, v19
	v_fma_f32 v17, v11, v19, -v20
	scratch_load_b128 v[9:12], off, off offset:328
	s_wait_loadcnt_dscnt 0x100
	v_mul_f32_e32 v19, v5, v2
	v_mul_f32_e32 v2, v6, v2
	;; [unrolled: 1-line block ×3, first 2 shown]
	s_delay_alu instid0(VALU_DEP_3) | instskip(NEXT) | instid1(VALU_DEP_3)
	v_dual_mul_f32 v4, v8, v4 :: v_dual_fmac_f32 v19, v6, v1
	v_fma_f32 v162, v5, v1, -v2
	s_delay_alu instid0(VALU_DEP_3) | instskip(NEXT) | instid1(VALU_DEP_3)
	v_fmac_f32_e32 v20, v8, v3
	v_fma_f32 v163, v7, v3, -v4
	ds_load_2addr_b64 v[1:4], v21 offset0:103 offset1:104
	ds_load_2addr_b64 v[5:8], v21 offset0:105 offset1:106
	s_wait_loadcnt_dscnt 0x1
	v_mul_f32_e32 v165, v1, v10
	v_mul_f32_e32 v10, v2, v10
	s_delay_alu instid0(VALU_DEP_2) | instskip(NEXT) | instid1(VALU_DEP_2)
	v_dual_mul_f32 v166, v3, v12 :: v_dual_fmac_f32 v165, v2, v9
	v_fma_f32 v167, v1, v9, -v10
	v_mul_f32_e32 v1, v4, v12
	s_delay_alu instid0(VALU_DEP_3) | instskip(NEXT) | instid1(VALU_DEP_2)
	v_fmac_f32_e32 v166, v4, v11
	v_fma_f32 v168, v3, v11, -v1
	s_clause 0x1
	scratch_load_b128 v[1:4], off, off offset:344
	scratch_load_b128 v[9:12], off, off offset:360
	s_wait_loadcnt_dscnt 0x100
	v_mul_f32_e32 v169, v5, v2
	v_dual_mul_f32 v2, v6, v2 :: v_dual_mul_f32 v171, v7, v4
	s_delay_alu instid0(VALU_DEP_2) | instskip(NEXT) | instid1(VALU_DEP_2)
	v_fmac_f32_e32 v169, v6, v1
	v_fma_f32 v170, v5, v1, -v2
	v_mul_f32_e32 v1, v8, v4
	s_delay_alu instid0(VALU_DEP_4) | instskip(NEXT) | instid1(VALU_DEP_2)
	v_fmac_f32_e32 v171, v8, v3
	v_fma_f32 v172, v7, v3, -v1
	ds_load_2addr_b64 v[1:4], v21 offset0:107 offset1:108
	ds_load_2addr_b64 v[5:8], v21 offset0:109 offset1:110
	s_wait_loadcnt_dscnt 0x1
	v_mul_f32_e32 v173, v1, v10
	v_mul_f32_e32 v175, v3, v12
	s_delay_alu instid0(VALU_DEP_2) | instskip(NEXT) | instid1(VALU_DEP_2)
	v_fmac_f32_e32 v173, v2, v9
	v_dual_mul_f32 v2, v2, v10 :: v_dual_fmac_f32 v175, v4, v11
	s_delay_alu instid0(VALU_DEP_1) | instskip(SKIP_1) | instid1(VALU_DEP_1)
	v_fma_f32 v174, v1, v9, -v2
	v_mul_f32_e32 v1, v4, v12
	v_fma_f32 v176, v3, v11, -v1
	s_clause 0x1
	scratch_load_b128 v[1:4], off, off offset:376
	scratch_load_b128 v[9:12], off, off offset:392
	s_wait_loadcnt_dscnt 0x100
	v_mul_f32_e32 v177, v5, v2
	v_dual_mul_f32 v2, v6, v2 :: v_dual_mul_f32 v179, v7, v4
	s_delay_alu instid0(VALU_DEP_2) | instskip(NEXT) | instid1(VALU_DEP_2)
	v_fmac_f32_e32 v177, v6, v1
	v_fma_f32 v178, v5, v1, -v2
	v_mul_f32_e32 v1, v8, v4
	s_delay_alu instid0(VALU_DEP_4) | instskip(NEXT) | instid1(VALU_DEP_2)
	v_fmac_f32_e32 v179, v8, v3
	v_fma_f32 v180, v7, v3, -v1
	ds_load_2addr_b64 v[1:4], v21 offset0:111 offset1:112
	ds_load_2addr_b64 v[5:8], v21 offset0:113 offset1:114
	s_wait_loadcnt_dscnt 0x1
	v_mul_f32_e32 v181, v1, v10
	v_mul_f32_e32 v183, v3, v12
	s_delay_alu instid0(VALU_DEP_2) | instskip(NEXT) | instid1(VALU_DEP_2)
	v_fmac_f32_e32 v181, v2, v9
	v_dual_mul_f32 v2, v2, v10 :: v_dual_fmac_f32 v183, v4, v11
	s_delay_alu instid0(VALU_DEP_1) | instskip(SKIP_1) | instid1(VALU_DEP_1)
	v_fma_f32 v182, v1, v9, -v2
	v_mul_f32_e32 v1, v4, v12
	v_fma_f32 v184, v3, v11, -v1
	s_clause 0x1
	scratch_load_b128 v[1:4], off, off offset:408
	scratch_load_b128 v[9:12], off, off offset:424
	s_wait_loadcnt_dscnt 0x100
	v_mul_f32_e32 v185, v5, v2
	v_dual_mul_f32 v2, v6, v2 :: v_dual_mul_f32 v187, v7, v4
	s_delay_alu instid0(VALU_DEP_1) | instskip(NEXT) | instid1(VALU_DEP_2)
	v_fma_f32 v186, v5, v1, -v2
	v_dual_add_f32 v2, 0, v157 :: v_dual_fmac_f32 v187, v8, v3
	s_delay_alu instid0(VALU_DEP_4) | instskip(NEXT) | instid1(VALU_DEP_2)
	v_fmac_f32_e32 v185, v6, v1
	v_add_f32_e32 v2, v2, v158
	s_delay_alu instid0(VALU_DEP_1) | instskip(NEXT) | instid1(VALU_DEP_1)
	v_add_f32_e32 v2, v2, v24
	v_dual_mul_f32 v1, v8, v4 :: v_dual_add_f32 v2, v2, v25
	s_delay_alu instid0(VALU_DEP_1) | instskip(NEXT) | instid1(VALU_DEP_2)
	v_fma_f32 v188, v7, v3, -v1
	v_dual_add_f32 v1, 0, v22 :: v_dual_add_f32 v2, v2, v32
	s_delay_alu instid0(VALU_DEP_1) | instskip(NEXT) | instid1(VALU_DEP_1)
	v_dual_add_f32 v1, v1, v23 :: v_dual_add_f32 v2, v2, v164
	v_dual_add_f32 v1, v1, v26 :: v_dual_add_f32 v2, v2, v160
	s_delay_alu instid0(VALU_DEP_1) | instskip(SKIP_2) | instid1(VALU_DEP_1)
	v_add_f32_e32 v1, v1, v27
	scratch_load_b64 v[26:27], off, off offset:488
	v_dual_add_f32 v2, v2, v161 :: v_dual_add_f32 v1, v1, v28
	v_add_f32_e32 v5, v2, v15
	s_delay_alu instid0(VALU_DEP_2) | instskip(NEXT) | instid1(VALU_DEP_2)
	v_add_f32_e32 v1, v1, v29
	v_add_f32_e32 v5, v5, v18
	s_delay_alu instid0(VALU_DEP_2) | instskip(NEXT) | instid1(VALU_DEP_2)
	v_add_f32_e32 v1, v1, v13
	;; [unrolled: 3-line block ×3, first 2 shown]
	v_add_f32_e32 v14, v5, v20
	s_delay_alu instid0(VALU_DEP_1) | instskip(NEXT) | instid1(VALU_DEP_1)
	v_dual_add_f32 v14, v14, v165 :: v_dual_add_f32 v1, v1, v16
	v_add_f32_e32 v14, v14, v166
	s_delay_alu instid0(VALU_DEP_2) | instskip(SKIP_3) | instid1(VALU_DEP_1)
	v_add_f32_e32 v6, v1, v17
	ds_load_2addr_b64 v[1:4], v21 offset0:115 offset1:116
	v_add_f32_e32 v17, v14, v169
	v_add_f32_e32 v6, v6, v162
	;; [unrolled: 1-line block ×3, first 2 shown]
	ds_load_2addr_b64 v[5:8], v21 offset0:117 offset1:118
	s_wait_loadcnt_dscnt 0x101
	v_mul_f32_e32 v32, v1, v10
	v_dual_mul_f32 v10, v2, v10 :: v_dual_mul_f32 v157, v3, v12
	v_mul_f32_e32 v12, v4, v12
	s_delay_alu instid0(VALU_DEP_3) | instskip(NEXT) | instid1(VALU_DEP_3)
	v_fmac_f32_e32 v32, v2, v9
	v_fma_f32 v158, v1, v9, -v10
	s_delay_alu instid0(VALU_DEP_4) | instskip(NEXT) | instid1(VALU_DEP_4)
	v_fmac_f32_e32 v157, v4, v11
	v_fma_f32 v160, v3, v11, -v12
	s_clause 0x1
	scratch_load_b128 v[1:4], off, off offset:440
	scratch_load_b128 v[9:12], off, off offset:456
	s_wait_loadcnt_dscnt 0x100
	v_dual_mul_f32 v164, v7, v4 :: v_dual_add_f32 v13, v13, v167
	v_mul_f32_e32 v163, v5, v2
	v_mul_f32_e32 v2, v6, v2
	;; [unrolled: 1-line block ×3, first 2 shown]
	s_delay_alu instid0(VALU_DEP_4) | instskip(NEXT) | instid1(VALU_DEP_3)
	v_dual_fmac_f32 v164, v8, v3 :: v_dual_add_f32 v13, v13, v168
	v_fma_f32 v2, v5, v1, -v2
	s_delay_alu instid0(VALU_DEP_2) | instskip(NEXT) | instid1(VALU_DEP_1)
	v_add_f32_e32 v13, v13, v170
	v_add_f32_e32 v18, v13, v172
	scratch_load_b128 v[13:16], off, off offset:472
	v_add_f32_e32 v18, v18, v174
	s_delay_alu instid0(VALU_DEP_1) | instskip(NEXT) | instid1(VALU_DEP_1)
	v_add_f32_e32 v18, v18, v176
	v_dual_add_f32 v18, v18, v178 :: v_dual_add_f32 v17, v17, v171
	s_delay_alu instid0(VALU_DEP_1) | instskip(NEXT) | instid1(VALU_DEP_1)
	v_dual_add_f32 v18, v18, v180 :: v_dual_add_f32 v17, v17, v173
	v_dual_add_f32 v28, v18, v182 :: v_dual_add_f32 v17, v17, v175
	s_delay_alu instid0(VALU_DEP_1) | instskip(NEXT) | instid1(VALU_DEP_2)
	v_add_f32_e32 v161, v28, v184
	v_add_f32_e32 v17, v17, v177
	s_delay_alu instid0(VALU_DEP_1)
	v_add_f32_e32 v22, v17, v179
	ds_load_2addr_b64 v[17:20], v21 offset0:119 offset1:120
	v_add_f32_e32 v29, v22, v181
	ds_load_2addr_b64 v[22:25], v21 offset0:121 offset1:122
	v_add_f32_e32 v162, v29, v183
	ds_load_b64 v[28:29], v21 offset:984
	v_add_f32_e32 v162, v162, v185
	s_delay_alu instid0(VALU_DEP_1) | instskip(SKIP_2) | instid1(VALU_DEP_2)
	v_dual_add_f32 v162, v162, v187 :: v_dual_add_f32 v161, v161, v186
	s_wait_loadcnt_dscnt 0x102
	v_mul_f32_e32 v5, v20, v12
	v_add_f32_e32 v32, v162, v32
	s_delay_alu instid0(VALU_DEP_3) | instskip(SKIP_2) | instid1(VALU_DEP_4)
	v_add_f32_e32 v161, v161, v188
	v_dual_mul_f32 v162, v19, v12 :: v_dual_fmac_f32 v163, v6, v1
	v_fma_f32 v1, v7, v3, -v4
	v_add_f32_e32 v32, v32, v157
	s_wait_dscnt 0x0
	v_dual_add_f32 v158, v161, v158 :: v_dual_mul_f32 v157, v28, v27
	v_mul_f32_e32 v161, v17, v10
	s_delay_alu instid0(VALU_DEP_3) | instskip(NEXT) | instid1(VALU_DEP_3)
	v_dual_mul_f32 v3, v18, v10 :: v_dual_add_f32 v4, v32, v163
	v_add_f32_e32 v158, v158, v160
	s_delay_alu instid0(VALU_DEP_3) | instskip(NEXT) | instid1(VALU_DEP_3)
	v_dual_fmac_f32 v162, v20, v11 :: v_dual_fmac_f32 v161, v18, v9
	v_fma_f32 v3, v17, v9, -v3
	v_fma_f32 v5, v19, v11, -v5
	s_delay_alu instid0(VALU_DEP_4) | instskip(SKIP_1) | instid1(VALU_DEP_2)
	v_add_f32_e32 v2, v158, v2
	v_fmac_f32_e32 v157, v29, v26
	v_dual_add_f32 v1, v2, v1 :: v_dual_add_f32 v2, v4, v164
	s_delay_alu instid0(VALU_DEP_1) | instskip(SKIP_2) | instid1(VALU_DEP_3)
	v_add_f32_e32 v2, v2, v161
	s_wait_loadcnt 0x0
	v_dual_mul_f32 v165, v22, v14 :: v_dual_mul_f32 v160, v24, v16
	v_dual_mul_f32 v4, v23, v14 :: v_dual_add_f32 v1, v1, v3
	v_mul_f32_e32 v3, v25, v16
	s_delay_alu instid0(VALU_DEP_3) | instskip(NEXT) | instid1(VALU_DEP_4)
	v_dual_fmac_f32 v165, v23, v13 :: v_dual_add_f32 v2, v2, v162
	v_fmac_f32_e32 v160, v25, v15
	s_delay_alu instid0(VALU_DEP_4) | instskip(NEXT) | instid1(VALU_DEP_4)
	v_fma_f32 v4, v22, v13, -v4
	v_fma_f32 v3, v24, v15, -v3
	s_delay_alu instid0(VALU_DEP_4) | instskip(NEXT) | instid1(VALU_DEP_1)
	v_add_f32_e32 v2, v2, v165
	v_dual_add_f32 v1, v1, v5 :: v_dual_add_f32 v2, v2, v160
	s_delay_alu instid0(VALU_DEP_1) | instskip(NEXT) | instid1(VALU_DEP_2)
	v_dual_mul_f32 v5, v29, v27 :: v_dual_add_f32 v2, v2, v157
	v_add_f32_e32 v1, v1, v4
	s_delay_alu instid0(VALU_DEP_2) | instskip(NEXT) | instid1(VALU_DEP_2)
	v_fma_f32 v4, v28, v26, -v5
	v_dual_sub_f32 v2, v31, v2 :: v_dual_add_f32 v1, v1, v3
	s_delay_alu instid0(VALU_DEP_1) | instskip(NEXT) | instid1(VALU_DEP_1)
	v_add_f32_e32 v1, v1, v4
	v_sub_f32_e32 v1, v30, v1
	scratch_store_b64 off, v[1:2], off offset:224
	v_cmpx_lt_u32_e32 27, v0
	s_cbranch_execz .LBB125_331
; %bb.330:
	scratch_load_b64 v[1:2], off, off offset:216
	v_mov_b32_e32 v22, v21
	scratch_store_b64 off, v[21:22], off offset:216
	s_wait_loadcnt 0x0
	ds_store_b64 v159, v[1:2]
.LBB125_331:
	s_wait_alu 0xfffe
	s_or_b32 exec_lo, exec_lo, s0
	s_wait_storecnt_dscnt 0x0
	s_barrier_signal -1
	s_barrier_wait -1
	global_inv scope:SCOPE_SE
	s_clause 0x4
	scratch_load_b128 v[5:8], off, off offset:224
	scratch_load_b128 v[1:4], off, off offset:240
	;; [unrolled: 1-line block ×5, first 2 shown]
	ds_load_b128 v[22:25], v21 offset:720
	ds_load_b128 v[26:29], v21 offset:736
	;; [unrolled: 1-line block ×3, first 2 shown]
	scratch_load_b64 v[30:31], off, off offset:216
	s_mov_b32 s0, exec_lo
	s_wait_loadcnt_dscnt 0x502
	v_mul_f32_e32 v32, v23, v6
	v_dual_mul_f32 v157, v22, v6 :: v_dual_mul_f32 v158, v24, v8
	v_mul_f32_e32 v6, v25, v8
	s_wait_loadcnt_dscnt 0x300
	v_mul_f32_e32 v164, v162, v12
	v_mul_f32_e32 v12, v163, v12
	v_dual_fmac_f32 v157, v23, v5 :: v_dual_fmac_f32 v158, v25, v7
	v_fma_f32 v23, v24, v7, -v6
	v_mul_f32_e32 v25, v28, v4
	v_fma_f32 v22, v22, v5, -v32
	ds_load_b128 v[5:8], v21 offset:768
	v_mul_f32_e32 v24, v26, v2
	v_mul_f32_e32 v4, v29, v4
	;; [unrolled: 1-line block ×4, first 2 shown]
	v_dual_mul_f32 v2, v27, v2 :: v_dual_fmac_f32 v25, v29, v3
	v_fmac_f32_e32 v24, v27, v1
	v_fma_f32 v27, v28, v3, -v4
	v_fmac_f32_e32 v32, v161, v9
	v_fma_f32 v28, v160, v9, -v10
	v_fmac_f32_e32 v164, v163, v11
	v_fma_f32 v29, v162, v11, -v12
	ds_load_b128 v[9:12], v21 offset:784
	s_wait_loadcnt_dscnt 0x201
	v_dual_mul_f32 v161, v7, v16 :: v_dual_mul_f32 v160, v5, v14
	v_mul_f32_e32 v14, v6, v14
	v_mul_f32_e32 v16, v8, v16
	s_delay_alu instid0(VALU_DEP_3)
	v_fmac_f32_e32 v161, v8, v15
	v_fma_f32 v26, v26, v1, -v2
	scratch_load_b128 v[1:4], off, off offset:304
	v_fmac_f32_e32 v160, v6, v13
	v_fma_f32 v13, v5, v13, -v14
	v_fma_f32 v14, v7, v15, -v16
	ds_load_b128 v[5:8], v21 offset:800
	s_wait_loadcnt_dscnt 0x201
	v_mul_f32_e32 v15, v9, v18
	v_mul_f32_e32 v16, v10, v18
	;; [unrolled: 1-line block ×3, first 2 shown]
	s_delay_alu instid0(VALU_DEP_3) | instskip(NEXT) | instid1(VALU_DEP_3)
	v_dual_mul_f32 v20, v12, v20 :: v_dual_fmac_f32 v15, v10, v17
	v_fma_f32 v16, v9, v17, -v16
	s_delay_alu instid0(VALU_DEP_3) | instskip(NEXT) | instid1(VALU_DEP_3)
	v_fmac_f32_e32 v18, v12, v19
	v_fma_f32 v17, v11, v19, -v20
	scratch_load_b128 v[9:12], off, off offset:320
	s_wait_loadcnt_dscnt 0x100
	v_mul_f32_e32 v19, v5, v2
	v_mul_f32_e32 v2, v6, v2
	;; [unrolled: 1-line block ×3, first 2 shown]
	s_delay_alu instid0(VALU_DEP_3) | instskip(NEXT) | instid1(VALU_DEP_3)
	v_dual_mul_f32 v4, v8, v4 :: v_dual_fmac_f32 v19, v6, v1
	v_fma_f32 v162, v5, v1, -v2
	s_delay_alu instid0(VALU_DEP_3) | instskip(NEXT) | instid1(VALU_DEP_3)
	v_fmac_f32_e32 v20, v8, v3
	v_fma_f32 v163, v7, v3, -v4
	ds_load_b128 v[1:4], v21 offset:816
	ds_load_b128 v[5:8], v21 offset:832
	s_wait_loadcnt_dscnt 0x1
	v_mul_f32_e32 v165, v1, v10
	v_mul_f32_e32 v10, v2, v10
	s_delay_alu instid0(VALU_DEP_2) | instskip(NEXT) | instid1(VALU_DEP_2)
	v_dual_mul_f32 v166, v3, v12 :: v_dual_fmac_f32 v165, v2, v9
	v_fma_f32 v167, v1, v9, -v10
	v_mul_f32_e32 v1, v4, v12
	s_delay_alu instid0(VALU_DEP_3) | instskip(NEXT) | instid1(VALU_DEP_2)
	v_fmac_f32_e32 v166, v4, v11
	v_fma_f32 v168, v3, v11, -v1
	s_clause 0x1
	scratch_load_b128 v[1:4], off, off offset:336
	scratch_load_b128 v[9:12], off, off offset:352
	s_wait_loadcnt_dscnt 0x100
	v_mul_f32_e32 v169, v5, v2
	v_dual_mul_f32 v2, v6, v2 :: v_dual_mul_f32 v171, v7, v4
	s_delay_alu instid0(VALU_DEP_2) | instskip(NEXT) | instid1(VALU_DEP_2)
	v_fmac_f32_e32 v169, v6, v1
	v_fma_f32 v170, v5, v1, -v2
	v_mul_f32_e32 v1, v8, v4
	s_delay_alu instid0(VALU_DEP_4) | instskip(NEXT) | instid1(VALU_DEP_2)
	v_fmac_f32_e32 v171, v8, v3
	v_fma_f32 v172, v7, v3, -v1
	ds_load_b128 v[1:4], v21 offset:848
	ds_load_b128 v[5:8], v21 offset:864
	s_wait_loadcnt_dscnt 0x1
	v_mul_f32_e32 v173, v1, v10
	v_mul_f32_e32 v175, v3, v12
	s_delay_alu instid0(VALU_DEP_2) | instskip(NEXT) | instid1(VALU_DEP_2)
	v_fmac_f32_e32 v173, v2, v9
	v_dual_mul_f32 v2, v2, v10 :: v_dual_fmac_f32 v175, v4, v11
	s_delay_alu instid0(VALU_DEP_1) | instskip(SKIP_1) | instid1(VALU_DEP_1)
	v_fma_f32 v174, v1, v9, -v2
	v_mul_f32_e32 v1, v4, v12
	v_fma_f32 v176, v3, v11, -v1
	s_clause 0x1
	scratch_load_b128 v[1:4], off, off offset:368
	scratch_load_b128 v[9:12], off, off offset:384
	s_wait_loadcnt_dscnt 0x100
	v_mul_f32_e32 v177, v5, v2
	v_dual_mul_f32 v2, v6, v2 :: v_dual_mul_f32 v179, v7, v4
	s_delay_alu instid0(VALU_DEP_2) | instskip(NEXT) | instid1(VALU_DEP_2)
	v_fmac_f32_e32 v177, v6, v1
	v_fma_f32 v178, v5, v1, -v2
	v_mul_f32_e32 v1, v8, v4
	s_delay_alu instid0(VALU_DEP_4) | instskip(NEXT) | instid1(VALU_DEP_2)
	v_fmac_f32_e32 v179, v8, v3
	v_fma_f32 v180, v7, v3, -v1
	ds_load_b128 v[1:4], v21 offset:880
	ds_load_b128 v[5:8], v21 offset:896
	s_wait_loadcnt_dscnt 0x1
	v_mul_f32_e32 v181, v1, v10
	v_mul_f32_e32 v183, v3, v12
	s_delay_alu instid0(VALU_DEP_2) | instskip(NEXT) | instid1(VALU_DEP_2)
	v_fmac_f32_e32 v181, v2, v9
	v_dual_mul_f32 v2, v2, v10 :: v_dual_fmac_f32 v183, v4, v11
	s_delay_alu instid0(VALU_DEP_1) | instskip(SKIP_1) | instid1(VALU_DEP_1)
	v_fma_f32 v182, v1, v9, -v2
	v_mul_f32_e32 v1, v4, v12
	v_fma_f32 v184, v3, v11, -v1
	s_clause 0x1
	scratch_load_b128 v[1:4], off, off offset:400
	scratch_load_b128 v[9:12], off, off offset:416
	s_wait_loadcnt_dscnt 0x100
	v_mul_f32_e32 v185, v5, v2
	v_dual_mul_f32 v2, v6, v2 :: v_dual_mul_f32 v187, v7, v4
	s_delay_alu instid0(VALU_DEP_1) | instskip(NEXT) | instid1(VALU_DEP_2)
	v_fma_f32 v186, v5, v1, -v2
	v_dual_add_f32 v2, 0, v157 :: v_dual_fmac_f32 v187, v8, v3
	s_delay_alu instid0(VALU_DEP_4) | instskip(NEXT) | instid1(VALU_DEP_2)
	v_fmac_f32_e32 v185, v6, v1
	v_add_f32_e32 v2, v2, v158
	s_delay_alu instid0(VALU_DEP_1) | instskip(NEXT) | instid1(VALU_DEP_1)
	v_add_f32_e32 v2, v2, v24
	v_dual_mul_f32 v1, v8, v4 :: v_dual_add_f32 v2, v2, v25
	s_delay_alu instid0(VALU_DEP_1) | instskip(NEXT) | instid1(VALU_DEP_2)
	v_fma_f32 v188, v7, v3, -v1
	v_dual_add_f32 v1, 0, v22 :: v_dual_add_f32 v2, v2, v32
	s_delay_alu instid0(VALU_DEP_1) | instskip(NEXT) | instid1(VALU_DEP_1)
	v_dual_add_f32 v1, v1, v23 :: v_dual_add_f32 v2, v2, v164
	v_dual_add_f32 v1, v1, v26 :: v_dual_add_f32 v2, v2, v160
	s_delay_alu instid0(VALU_DEP_1) | instskip(NEXT) | instid1(VALU_DEP_1)
	v_dual_add_f32 v1, v1, v27 :: v_dual_add_f32 v2, v2, v161
	v_dual_add_f32 v1, v1, v28 :: v_dual_add_f32 v2, v2, v15
	s_delay_alu instid0(VALU_DEP_1) | instskip(NEXT) | instid1(VALU_DEP_2)
	v_add_f32_e32 v1, v1, v29
	v_add_f32_e32 v5, v2, v18
	s_delay_alu instid0(VALU_DEP_2) | instskip(NEXT) | instid1(VALU_DEP_2)
	v_add_f32_e32 v1, v1, v13
	v_add_f32_e32 v13, v5, v19
	s_delay_alu instid0(VALU_DEP_2) | instskip(NEXT) | instid1(VALU_DEP_1)
	v_add_f32_e32 v1, v1, v14
	v_add_f32_e32 v1, v1, v16
	s_delay_alu instid0(VALU_DEP_1) | instskip(NEXT) | instid1(VALU_DEP_1)
	v_add_f32_e32 v1, v1, v17
	v_add_f32_e32 v6, v1, v162
	ds_load_b128 v[1:4], v21 offset:912
	v_dual_add_f32 v13, v13, v20 :: v_dual_add_f32 v14, v6, v163
	scratch_load_b128 v[5:8], off, off offset:432
	v_dual_add_f32 v13, v13, v165 :: v_dual_add_f32 v14, v14, v167
	s_delay_alu instid0(VALU_DEP_1) | instskip(SKIP_4) | instid1(VALU_DEP_2)
	v_dual_add_f32 v18, v13, v166 :: v_dual_add_f32 v17, v14, v168
	ds_load_b128 v[13:16], v21 offset:928
	v_add_f32_e32 v18, v18, v169
	s_wait_loadcnt_dscnt 0x101
	v_mul_f32_e32 v26, v3, v12
	v_dual_add_f32 v18, v18, v171 :: v_dual_add_f32 v17, v17, v170
	v_mul_f32_e32 v12, v4, v12
	s_delay_alu instid0(VALU_DEP_3) | instskip(NEXT) | instid1(VALU_DEP_3)
	v_fmac_f32_e32 v26, v4, v11
	v_dual_add_f32 v22, v18, v173 :: v_dual_mul_f32 v25, v1, v10
	v_mul_f32_e32 v10, v2, v10
	s_delay_alu instid0(VALU_DEP_4) | instskip(NEXT) | instid1(VALU_DEP_3)
	v_fma_f32 v28, v3, v11, -v12
	v_add_f32_e32 v22, v22, v175
	s_delay_alu instid0(VALU_DEP_4) | instskip(NEXT) | instid1(VALU_DEP_4)
	v_fmac_f32_e32 v25, v2, v9
	v_fma_f32 v27, v1, v9, -v10
	scratch_load_b128 v[1:4], off, off offset:448
	v_add_f32_e32 v17, v17, v172
	scratch_load_b128 v[9:12], off, off offset:464
	s_wait_loadcnt_dscnt 0x200
	v_dual_add_f32 v22, v22, v177 :: v_dual_mul_f32 v29, v13, v6
	v_mul_f32_e32 v6, v14, v6
	v_dual_add_f32 v17, v17, v174 :: v_dual_mul_f32 v32, v15, v8
	v_mul_f32_e32 v8, v16, v8
	s_delay_alu instid0(VALU_DEP_3) | instskip(NEXT) | instid1(VALU_DEP_3)
	v_fma_f32 v157, v13, v5, -v6
	v_dual_add_f32 v23, v17, v176 :: v_dual_fmac_f32 v32, v16, v7
	scratch_load_b128 v[17:20], off, off offset:480
	v_fma_f32 v158, v15, v7, -v8
	v_add_f32_e32 v23, v23, v178
	s_delay_alu instid0(VALU_DEP_1) | instskip(NEXT) | instid1(VALU_DEP_1)
	v_add_f32_e32 v23, v23, v180
	v_dual_add_f32 v13, v22, v179 :: v_dual_add_f32 v22, v23, v182
	s_delay_alu instid0(VALU_DEP_1) | instskip(NEXT) | instid1(VALU_DEP_1)
	v_add_f32_e32 v160, v22, v184
	v_dual_add_f32 v160, v160, v186 :: v_dual_fmac_f32 v29, v14, v5
	ds_load_b128 v[5:8], v21 offset:944
	v_add_f32_e32 v23, v13, v181
	ds_load_b128 v[13:16], v21 offset:960
	v_add_f32_e32 v160, v160, v188
	s_wait_loadcnt_dscnt 0x201
	s_delay_alu instid0(VALU_DEP_1)
	v_dual_add_f32 v27, v160, v27 :: v_dual_mul_f32 v160, v7, v4
	v_dual_add_f32 v161, v23, v183 :: v_dual_mul_f32 v162, v5, v2
	ds_load_b128 v[21:24], v21 offset:976
	v_mul_f32_e32 v2, v6, v2
	v_dual_mul_f32 v4, v8, v4 :: v_dual_add_f32 v161, v161, v185
	s_wait_loadcnt_dscnt 0x101
	v_dual_fmac_f32 v162, v6, v1 :: v_dual_mul_f32 v163, v15, v12
	v_mul_f32_e32 v6, v14, v10
	v_fma_f32 v2, v5, v1, -v2
	v_add_f32_e32 v161, v161, v187
	v_fmac_f32_e32 v160, v8, v3
	v_fma_f32 v3, v7, v3, -v4
	s_delay_alu instid0(VALU_DEP_3) | instskip(SKIP_1) | instid1(VALU_DEP_2)
	v_dual_mul_f32 v4, v16, v12 :: v_dual_add_f32 v25, v161, v25
	v_mul_f32_e32 v161, v13, v10
	v_fma_f32 v4, v15, v11, -v4
	s_delay_alu instid0(VALU_DEP_3) | instskip(NEXT) | instid1(VALU_DEP_1)
	v_add_f32_e32 v25, v25, v26
	v_add_f32_e32 v25, v25, v29
	s_wait_loadcnt_dscnt 0x0
	v_dual_mul_f32 v26, v21, v18 :: v_dual_add_f32 v27, v27, v28
	v_mul_f32_e32 v28, v23, v20
	s_delay_alu instid0(VALU_DEP_3) | instskip(SKIP_1) | instid1(VALU_DEP_4)
	v_add_f32_e32 v5, v25, v32
	v_fmac_f32_e32 v161, v14, v9
	v_fmac_f32_e32 v26, v22, v17
	s_delay_alu instid0(VALU_DEP_4) | instskip(SKIP_1) | instid1(VALU_DEP_2)
	v_dual_add_f32 v27, v27, v157 :: v_dual_fmac_f32 v28, v24, v19
	v_fmac_f32_e32 v163, v16, v11
	v_add_f32_e32 v1, v27, v158
	s_delay_alu instid0(VALU_DEP_1) | instskip(SKIP_2) | instid1(VALU_DEP_2)
	v_add_f32_e32 v1, v1, v2
	v_add_f32_e32 v2, v5, v162
	v_fma_f32 v5, v13, v9, -v6
	v_add_f32_e32 v2, v2, v160
	s_delay_alu instid0(VALU_DEP_1) | instskip(NEXT) | instid1(VALU_DEP_1)
	v_add_f32_e32 v2, v2, v161
	v_add_f32_e32 v2, v2, v163
	;; [unrolled: 1-line block ×3, first 2 shown]
	v_mul_f32_e32 v3, v22, v18
	s_delay_alu instid0(VALU_DEP_3) | instskip(NEXT) | instid1(VALU_DEP_2)
	v_add_f32_e32 v2, v2, v26
	v_fma_f32 v3, v21, v17, -v3
	s_delay_alu instid0(VALU_DEP_2) | instskip(NEXT) | instid1(VALU_DEP_1)
	v_dual_add_f32 v2, v2, v28 :: v_dual_add_f32 v1, v1, v5
	v_dual_mul_f32 v5, v24, v20 :: v_dual_sub_f32 v2, v31, v2
	s_delay_alu instid0(VALU_DEP_2) | instskip(NEXT) | instid1(VALU_DEP_2)
	v_add_f32_e32 v1, v1, v4
	v_fma_f32 v4, v23, v19, -v5
	s_delay_alu instid0(VALU_DEP_2) | instskip(NEXT) | instid1(VALU_DEP_1)
	v_add_f32_e32 v1, v1, v3
	v_add_f32_e32 v1, v1, v4
	s_delay_alu instid0(VALU_DEP_1)
	v_sub_f32_e32 v1, v30, v1
	scratch_store_b64 off, v[1:2], off offset:216
	v_cmpx_lt_u32_e32 26, v0
	s_cbranch_execz .LBB125_333
; %bb.332:
	scratch_load_b64 v[1:2], off, off offset:208
	v_mov_b32_e32 v3, 0
	s_delay_alu instid0(VALU_DEP_1)
	v_mov_b32_e32 v4, v3
	scratch_store_b64 off, v[3:4], off offset:208
	s_wait_loadcnt 0x0
	ds_store_b64 v159, v[1:2]
.LBB125_333:
	s_wait_alu 0xfffe
	s_or_b32 exec_lo, exec_lo, s0
	s_wait_storecnt_dscnt 0x0
	s_barrier_signal -1
	s_barrier_wait -1
	global_inv scope:SCOPE_SE
	s_clause 0x4
	scratch_load_b128 v[5:8], off, off offset:216
	scratch_load_b128 v[1:4], off, off offset:232
	;; [unrolled: 1-line block ×5, first 2 shown]
	v_mov_b32_e32 v21, 0
	ds_load_2addr_b64 v[22:25], v21 offset0:89 offset1:90
	ds_load_2addr_b64 v[26:29], v21 offset0:91 offset1:92
	;; [unrolled: 1-line block ×3, first 2 shown]
	scratch_load_b64 v[30:31], off, off offset:208
	s_mov_b32 s0, exec_lo
	s_wait_loadcnt_dscnt 0x502
	v_mul_f32_e32 v32, v23, v6
	v_dual_mul_f32 v157, v22, v6 :: v_dual_mul_f32 v158, v24, v8
	v_mul_f32_e32 v6, v25, v8
	s_wait_loadcnt_dscnt 0x300
	v_mul_f32_e32 v164, v162, v12
	v_fma_f32 v22, v22, v5, -v32
	v_dual_fmac_f32 v157, v23, v5 :: v_dual_fmac_f32 v158, v25, v7
	v_mul_f32_e32 v25, v28, v4
	v_fma_f32 v23, v24, v7, -v6
	ds_load_2addr_b64 v[5:8], v21 offset0:95 offset1:96
	v_mul_f32_e32 v24, v26, v2
	v_mul_f32_e32 v4, v29, v4
	;; [unrolled: 1-line block ×5, first 2 shown]
	v_dual_mul_f32 v2, v27, v2 :: v_dual_fmac_f32 v25, v29, v3
	v_fmac_f32_e32 v24, v27, v1
	v_fma_f32 v27, v28, v3, -v4
	v_fmac_f32_e32 v32, v161, v9
	v_fma_f32 v28, v160, v9, -v10
	;; [unrolled: 2-line block ×3, first 2 shown]
	ds_load_2addr_b64 v[9:12], v21 offset0:97 offset1:98
	s_wait_loadcnt_dscnt 0x201
	v_dual_mul_f32 v161, v7, v16 :: v_dual_mul_f32 v160, v5, v14
	v_mul_f32_e32 v14, v6, v14
	v_mul_f32_e32 v16, v8, v16
	s_delay_alu instid0(VALU_DEP_3)
	v_fmac_f32_e32 v161, v8, v15
	v_fma_f32 v26, v26, v1, -v2
	scratch_load_b128 v[1:4], off, off offset:296
	v_fmac_f32_e32 v160, v6, v13
	v_fma_f32 v13, v5, v13, -v14
	v_fma_f32 v14, v7, v15, -v16
	ds_load_2addr_b64 v[5:8], v21 offset0:99 offset1:100
	s_wait_loadcnt_dscnt 0x201
	v_mul_f32_e32 v15, v9, v18
	v_mul_f32_e32 v16, v10, v18
	;; [unrolled: 1-line block ×3, first 2 shown]
	s_delay_alu instid0(VALU_DEP_3) | instskip(NEXT) | instid1(VALU_DEP_3)
	v_dual_mul_f32 v20, v12, v20 :: v_dual_fmac_f32 v15, v10, v17
	v_fma_f32 v16, v9, v17, -v16
	s_delay_alu instid0(VALU_DEP_3) | instskip(NEXT) | instid1(VALU_DEP_3)
	v_fmac_f32_e32 v18, v12, v19
	v_fma_f32 v17, v11, v19, -v20
	scratch_load_b128 v[9:12], off, off offset:312
	s_wait_loadcnt_dscnt 0x100
	v_mul_f32_e32 v19, v5, v2
	v_mul_f32_e32 v2, v6, v2
	;; [unrolled: 1-line block ×3, first 2 shown]
	s_delay_alu instid0(VALU_DEP_3) | instskip(NEXT) | instid1(VALU_DEP_3)
	v_dual_mul_f32 v4, v8, v4 :: v_dual_fmac_f32 v19, v6, v1
	v_fma_f32 v162, v5, v1, -v2
	s_delay_alu instid0(VALU_DEP_3) | instskip(NEXT) | instid1(VALU_DEP_3)
	v_fmac_f32_e32 v20, v8, v3
	v_fma_f32 v163, v7, v3, -v4
	ds_load_2addr_b64 v[1:4], v21 offset0:101 offset1:102
	ds_load_2addr_b64 v[5:8], v21 offset0:103 offset1:104
	s_wait_loadcnt_dscnt 0x1
	v_mul_f32_e32 v165, v1, v10
	v_mul_f32_e32 v10, v2, v10
	s_delay_alu instid0(VALU_DEP_2) | instskip(NEXT) | instid1(VALU_DEP_2)
	v_dual_mul_f32 v166, v3, v12 :: v_dual_fmac_f32 v165, v2, v9
	v_fma_f32 v167, v1, v9, -v10
	v_mul_f32_e32 v1, v4, v12
	s_delay_alu instid0(VALU_DEP_3) | instskip(NEXT) | instid1(VALU_DEP_2)
	v_fmac_f32_e32 v166, v4, v11
	v_fma_f32 v168, v3, v11, -v1
	s_clause 0x1
	scratch_load_b128 v[1:4], off, off offset:328
	scratch_load_b128 v[9:12], off, off offset:344
	s_wait_loadcnt_dscnt 0x100
	v_mul_f32_e32 v169, v5, v2
	v_dual_mul_f32 v2, v6, v2 :: v_dual_mul_f32 v171, v7, v4
	s_delay_alu instid0(VALU_DEP_2) | instskip(NEXT) | instid1(VALU_DEP_2)
	v_fmac_f32_e32 v169, v6, v1
	v_fma_f32 v170, v5, v1, -v2
	v_mul_f32_e32 v1, v8, v4
	s_delay_alu instid0(VALU_DEP_4) | instskip(NEXT) | instid1(VALU_DEP_2)
	v_fmac_f32_e32 v171, v8, v3
	v_fma_f32 v172, v7, v3, -v1
	ds_load_2addr_b64 v[1:4], v21 offset0:105 offset1:106
	ds_load_2addr_b64 v[5:8], v21 offset0:107 offset1:108
	s_wait_loadcnt_dscnt 0x1
	v_mul_f32_e32 v173, v1, v10
	v_mul_f32_e32 v175, v3, v12
	s_delay_alu instid0(VALU_DEP_2) | instskip(NEXT) | instid1(VALU_DEP_2)
	v_fmac_f32_e32 v173, v2, v9
	v_dual_mul_f32 v2, v2, v10 :: v_dual_fmac_f32 v175, v4, v11
	s_delay_alu instid0(VALU_DEP_1) | instskip(SKIP_1) | instid1(VALU_DEP_1)
	v_fma_f32 v174, v1, v9, -v2
	v_mul_f32_e32 v1, v4, v12
	v_fma_f32 v176, v3, v11, -v1
	s_clause 0x1
	scratch_load_b128 v[1:4], off, off offset:360
	scratch_load_b128 v[9:12], off, off offset:376
	s_wait_loadcnt_dscnt 0x100
	v_mul_f32_e32 v177, v5, v2
	v_dual_mul_f32 v2, v6, v2 :: v_dual_mul_f32 v179, v7, v4
	s_delay_alu instid0(VALU_DEP_2) | instskip(NEXT) | instid1(VALU_DEP_2)
	v_fmac_f32_e32 v177, v6, v1
	v_fma_f32 v178, v5, v1, -v2
	v_mul_f32_e32 v1, v8, v4
	s_delay_alu instid0(VALU_DEP_4) | instskip(NEXT) | instid1(VALU_DEP_2)
	v_fmac_f32_e32 v179, v8, v3
	v_fma_f32 v180, v7, v3, -v1
	ds_load_2addr_b64 v[1:4], v21 offset0:109 offset1:110
	ds_load_2addr_b64 v[5:8], v21 offset0:111 offset1:112
	s_wait_loadcnt_dscnt 0x1
	v_mul_f32_e32 v181, v1, v10
	v_mul_f32_e32 v183, v3, v12
	s_delay_alu instid0(VALU_DEP_2) | instskip(NEXT) | instid1(VALU_DEP_2)
	v_fmac_f32_e32 v181, v2, v9
	v_dual_mul_f32 v2, v2, v10 :: v_dual_fmac_f32 v183, v4, v11
	s_delay_alu instid0(VALU_DEP_1) | instskip(SKIP_1) | instid1(VALU_DEP_1)
	v_fma_f32 v182, v1, v9, -v2
	v_mul_f32_e32 v1, v4, v12
	v_fma_f32 v184, v3, v11, -v1
	s_clause 0x1
	scratch_load_b128 v[1:4], off, off offset:392
	scratch_load_b128 v[9:12], off, off offset:408
	s_wait_loadcnt_dscnt 0x100
	v_mul_f32_e32 v185, v5, v2
	v_dual_mul_f32 v2, v6, v2 :: v_dual_mul_f32 v187, v7, v4
	s_delay_alu instid0(VALU_DEP_1) | instskip(NEXT) | instid1(VALU_DEP_2)
	v_fma_f32 v186, v5, v1, -v2
	v_dual_add_f32 v2, 0, v157 :: v_dual_fmac_f32 v187, v8, v3
	s_delay_alu instid0(VALU_DEP_4) | instskip(NEXT) | instid1(VALU_DEP_2)
	v_fmac_f32_e32 v185, v6, v1
	v_add_f32_e32 v2, v2, v158
	s_delay_alu instid0(VALU_DEP_1) | instskip(NEXT) | instid1(VALU_DEP_1)
	v_add_f32_e32 v2, v2, v24
	v_dual_mul_f32 v1, v8, v4 :: v_dual_add_f32 v2, v2, v25
	s_delay_alu instid0(VALU_DEP_1) | instskip(NEXT) | instid1(VALU_DEP_2)
	v_fma_f32 v188, v7, v3, -v1
	v_dual_add_f32 v1, 0, v22 :: v_dual_add_f32 v2, v2, v32
	s_delay_alu instid0(VALU_DEP_1) | instskip(NEXT) | instid1(VALU_DEP_1)
	v_dual_add_f32 v1, v1, v23 :: v_dual_add_f32 v2, v2, v164
	v_dual_add_f32 v1, v1, v26 :: v_dual_add_f32 v2, v2, v160
	s_delay_alu instid0(VALU_DEP_1) | instskip(SKIP_2) | instid1(VALU_DEP_1)
	v_add_f32_e32 v1, v1, v27
	scratch_load_b64 v[26:27], off, off offset:488
	v_dual_add_f32 v2, v2, v161 :: v_dual_add_f32 v1, v1, v28
	v_dual_add_f32 v2, v2, v15 :: v_dual_add_f32 v1, v1, v29
	s_delay_alu instid0(VALU_DEP_1) | instskip(NEXT) | instid1(VALU_DEP_2)
	v_add_f32_e32 v5, v2, v18
	v_add_f32_e32 v1, v1, v13
	s_delay_alu instid0(VALU_DEP_2) | instskip(NEXT) | instid1(VALU_DEP_2)
	v_add_f32_e32 v13, v5, v19
	v_add_f32_e32 v1, v1, v14
	s_delay_alu instid0(VALU_DEP_1) | instskip(NEXT) | instid1(VALU_DEP_1)
	v_add_f32_e32 v1, v1, v16
	v_add_f32_e32 v1, v1, v17
	s_delay_alu instid0(VALU_DEP_1) | instskip(SKIP_4) | instid1(VALU_DEP_1)
	v_add_f32_e32 v6, v1, v162
	scratch_load_b128 v[1:4], off, off offset:424
	v_add_f32_e32 v14, v6, v163
	ds_load_2addr_b64 v[5:8], v21 offset0:113 offset1:114
	v_dual_add_f32 v13, v13, v20 :: v_dual_add_f32 v14, v14, v167
	v_add_f32_e32 v13, v13, v165
	s_delay_alu instid0(VALU_DEP_1) | instskip(SKIP_4) | instid1(VALU_DEP_2)
	v_dual_add_f32 v17, v14, v168 :: v_dual_add_f32 v18, v13, v166
	ds_load_2addr_b64 v[13:16], v21 offset0:115 offset1:116
	v_add_f32_e32 v18, v18, v169
	s_wait_loadcnt_dscnt 0x201
	v_mul_f32_e32 v32, v5, v10
	v_dual_add_f32 v18, v18, v171 :: v_dual_add_f32 v17, v17, v170
	v_mul_f32_e32 v10, v6, v10
	s_delay_alu instid0(VALU_DEP_3) | instskip(NEXT) | instid1(VALU_DEP_3)
	v_fmac_f32_e32 v32, v6, v9
	v_dual_add_f32 v22, v18, v173 :: v_dual_mul_f32 v157, v7, v12
	v_mul_f32_e32 v12, v8, v12
	s_delay_alu instid0(VALU_DEP_4) | instskip(NEXT) | instid1(VALU_DEP_3)
	v_fma_f32 v158, v5, v9, -v10
	v_add_f32_e32 v22, v22, v175
	s_delay_alu instid0(VALU_DEP_4) | instskip(NEXT) | instid1(VALU_DEP_4)
	v_fmac_f32_e32 v157, v8, v11
	v_fma_f32 v160, v7, v11, -v12
	scratch_load_b128 v[5:8], off, off offset:440
	v_dual_add_f32 v17, v17, v172 :: v_dual_add_f32 v22, v22, v177
	scratch_load_b128 v[9:12], off, off offset:456
	v_dual_add_f32 v17, v17, v174 :: v_dual_add_f32 v22, v22, v179
	s_wait_loadcnt_dscnt 0x200
	v_mul_f32_e32 v162, v15, v4
	s_delay_alu instid0(VALU_DEP_2)
	v_add_f32_e32 v23, v17, v176
	scratch_load_b128 v[17:20], off, off offset:472
	v_mul_f32_e32 v161, v13, v2
	v_mul_f32_e32 v2, v14, v2
	;; [unrolled: 1-line block ×3, first 2 shown]
	v_dual_fmac_f32 v162, v16, v3 :: v_dual_add_f32 v23, v23, v178
	s_delay_alu instid0(VALU_DEP_4) | instskip(NEXT) | instid1(VALU_DEP_4)
	v_fmac_f32_e32 v161, v14, v1
	v_fma_f32 v163, v13, v1, -v2
	s_delay_alu instid0(VALU_DEP_4) | instskip(SKIP_2) | instid1(VALU_DEP_1)
	v_fma_f32 v164, v15, v3, -v4
	ds_load_2addr_b64 v[1:4], v21 offset0:117 offset1:118
	v_add_f32_e32 v13, v22, v181
	v_dual_add_f32 v23, v23, v180 :: v_dual_add_f32 v22, v13, v183
	s_delay_alu instid0(VALU_DEP_1) | instskip(NEXT) | instid1(VALU_DEP_1)
	v_add_f32_e32 v29, v22, v185
	v_dual_add_f32 v23, v23, v182 :: v_dual_add_f32 v166, v29, v187
	s_delay_alu instid0(VALU_DEP_1)
	v_add_f32_e32 v14, v23, v184
	ds_load_2addr_b64 v[22:25], v21 offset0:121 offset1:122
	v_add_f32_e32 v28, v14, v186
	ds_load_2addr_b64 v[13:16], v21 offset0:119 offset1:120
	v_add_f32_e32 v32, v166, v32
	s_wait_loadcnt_dscnt 0x202
	s_delay_alu instid0(VALU_DEP_1)
	v_dual_add_f32 v32, v32, v157 :: v_dual_mul_f32 v157, v3, v8
	v_add_f32_e32 v165, v28, v188
	ds_load_b64 v[28:29], v21 offset:984
	v_mul_f32_e32 v8, v4, v8
	v_dual_fmac_f32 v157, v4, v7 :: v_dual_add_f32 v158, v165, v158
	v_mul_f32_e32 v165, v1, v6
	v_mul_f32_e32 v6, v2, v6
	v_add_f32_e32 v32, v32, v161
	s_delay_alu instid0(VALU_DEP_4) | instskip(NEXT) | instid1(VALU_DEP_4)
	v_add_f32_e32 v158, v158, v160
	v_fmac_f32_e32 v165, v2, v5
	s_delay_alu instid0(VALU_DEP_4)
	v_fma_f32 v1, v1, v5, -v6
	v_fma_f32 v2, v3, v7, -v8
	s_wait_loadcnt_dscnt 0x101
	v_dual_mul_f32 v5, v16, v12 :: v_dual_add_f32 v158, v158, v163
	v_mul_f32_e32 v3, v14, v10
	v_dual_mul_f32 v160, v13, v10 :: v_dual_mul_f32 v161, v15, v12
	s_delay_alu instid0(VALU_DEP_3) | instskip(NEXT) | instid1(VALU_DEP_4)
	v_fma_f32 v5, v15, v11, -v5
	v_add_f32_e32 v158, v158, v164
	s_delay_alu instid0(VALU_DEP_4) | instskip(NEXT) | instid1(VALU_DEP_4)
	v_fma_f32 v3, v13, v9, -v3
	v_dual_fmac_f32 v160, v14, v9 :: v_dual_fmac_f32 v161, v16, v11
	s_delay_alu instid0(VALU_DEP_3) | instskip(NEXT) | instid1(VALU_DEP_1)
	v_add_f32_e32 v1, v158, v1
	v_add_f32_e32 v1, v1, v2
	s_delay_alu instid0(VALU_DEP_1) | instskip(NEXT) | instid1(VALU_DEP_1)
	v_add_f32_e32 v1, v1, v3
	v_add_f32_e32 v1, v1, v5
	s_wait_dscnt 0x0
	v_mul_f32_e32 v5, v29, v27
	s_wait_loadcnt 0x0
	v_mul_f32_e32 v163, v22, v18
	v_add_f32_e32 v32, v32, v162
	v_mul_f32_e32 v164, v24, v20
	v_dual_mul_f32 v162, v28, v27 :: v_dual_mul_f32 v3, v25, v20
	s_delay_alu instid0(VALU_DEP_4) | instskip(NEXT) | instid1(VALU_DEP_4)
	v_fmac_f32_e32 v163, v23, v17
	v_add_f32_e32 v4, v32, v165
	s_delay_alu instid0(VALU_DEP_3) | instskip(NEXT) | instid1(VALU_DEP_4)
	v_fmac_f32_e32 v162, v29, v26
	v_fma_f32 v3, v24, v19, -v3
	s_delay_alu instid0(VALU_DEP_3) | instskip(SKIP_1) | instid1(VALU_DEP_2)
	v_add_f32_e32 v2, v4, v157
	v_mul_f32_e32 v4, v23, v18
	v_add_f32_e32 v2, v2, v160
	s_delay_alu instid0(VALU_DEP_2) | instskip(NEXT) | instid1(VALU_DEP_1)
	v_fma_f32 v4, v22, v17, -v4
	v_dual_add_f32 v2, v2, v161 :: v_dual_add_f32 v1, v1, v4
	v_fma_f32 v4, v28, v26, -v5
	s_delay_alu instid0(VALU_DEP_2) | instskip(NEXT) | instid1(VALU_DEP_3)
	v_add_f32_e32 v2, v2, v163
	v_add_f32_e32 v1, v1, v3
	s_delay_alu instid0(VALU_DEP_1) | instskip(NEXT) | instid1(VALU_DEP_1)
	v_add_f32_e32 v1, v1, v4
	v_dual_fmac_f32 v164, v25, v19 :: v_dual_sub_f32 v1, v30, v1
	s_delay_alu instid0(VALU_DEP_1) | instskip(NEXT) | instid1(VALU_DEP_1)
	v_add_f32_e32 v2, v2, v164
	v_add_f32_e32 v2, v2, v162
	s_delay_alu instid0(VALU_DEP_1)
	v_sub_f32_e32 v2, v31, v2
	scratch_store_b64 off, v[1:2], off offset:208
	v_cmpx_lt_u32_e32 25, v0
	s_cbranch_execz .LBB125_335
; %bb.334:
	scratch_load_b64 v[1:2], off, off offset:200
	v_mov_b32_e32 v22, v21
	scratch_store_b64 off, v[21:22], off offset:200
	s_wait_loadcnt 0x0
	ds_store_b64 v159, v[1:2]
.LBB125_335:
	s_wait_alu 0xfffe
	s_or_b32 exec_lo, exec_lo, s0
	s_wait_storecnt_dscnt 0x0
	s_barrier_signal -1
	s_barrier_wait -1
	global_inv scope:SCOPE_SE
	s_clause 0x4
	scratch_load_b128 v[5:8], off, off offset:208
	scratch_load_b128 v[1:4], off, off offset:224
	;; [unrolled: 1-line block ×5, first 2 shown]
	ds_load_b128 v[22:25], v21 offset:704
	ds_load_b128 v[26:29], v21 offset:720
	;; [unrolled: 1-line block ×3, first 2 shown]
	scratch_load_b64 v[30:31], off, off offset:200
	s_mov_b32 s0, exec_lo
	s_wait_loadcnt_dscnt 0x502
	v_mul_f32_e32 v32, v23, v6
	v_dual_mul_f32 v157, v22, v6 :: v_dual_mul_f32 v158, v24, v8
	v_mul_f32_e32 v6, v25, v8
	s_wait_loadcnt_dscnt 0x300
	v_mul_f32_e32 v164, v162, v12
	v_mul_f32_e32 v12, v163, v12
	v_dual_fmac_f32 v157, v23, v5 :: v_dual_fmac_f32 v158, v25, v7
	v_fma_f32 v23, v24, v7, -v6
	v_mul_f32_e32 v25, v28, v4
	v_fma_f32 v22, v22, v5, -v32
	ds_load_b128 v[5:8], v21 offset:752
	v_mul_f32_e32 v24, v26, v2
	v_mul_f32_e32 v4, v29, v4
	;; [unrolled: 1-line block ×4, first 2 shown]
	v_dual_mul_f32 v2, v27, v2 :: v_dual_fmac_f32 v25, v29, v3
	v_fmac_f32_e32 v24, v27, v1
	v_fma_f32 v27, v28, v3, -v4
	v_fmac_f32_e32 v32, v161, v9
	v_fma_f32 v28, v160, v9, -v10
	;; [unrolled: 2-line block ×3, first 2 shown]
	ds_load_b128 v[9:12], v21 offset:768
	s_wait_loadcnt_dscnt 0x201
	v_dual_mul_f32 v161, v7, v16 :: v_dual_mul_f32 v160, v5, v14
	v_mul_f32_e32 v14, v6, v14
	v_mul_f32_e32 v16, v8, v16
	s_delay_alu instid0(VALU_DEP_3)
	v_fmac_f32_e32 v161, v8, v15
	v_fma_f32 v26, v26, v1, -v2
	scratch_load_b128 v[1:4], off, off offset:288
	v_fmac_f32_e32 v160, v6, v13
	v_fma_f32 v13, v5, v13, -v14
	v_fma_f32 v14, v7, v15, -v16
	ds_load_b128 v[5:8], v21 offset:784
	s_wait_loadcnt_dscnt 0x201
	v_mul_f32_e32 v15, v9, v18
	v_mul_f32_e32 v16, v10, v18
	;; [unrolled: 1-line block ×3, first 2 shown]
	s_delay_alu instid0(VALU_DEP_3) | instskip(NEXT) | instid1(VALU_DEP_3)
	v_dual_mul_f32 v20, v12, v20 :: v_dual_fmac_f32 v15, v10, v17
	v_fma_f32 v16, v9, v17, -v16
	s_delay_alu instid0(VALU_DEP_3) | instskip(NEXT) | instid1(VALU_DEP_3)
	v_fmac_f32_e32 v18, v12, v19
	v_fma_f32 v17, v11, v19, -v20
	scratch_load_b128 v[9:12], off, off offset:304
	s_wait_loadcnt_dscnt 0x100
	v_mul_f32_e32 v19, v5, v2
	v_mul_f32_e32 v2, v6, v2
	;; [unrolled: 1-line block ×3, first 2 shown]
	s_delay_alu instid0(VALU_DEP_3) | instskip(NEXT) | instid1(VALU_DEP_3)
	v_dual_mul_f32 v4, v8, v4 :: v_dual_fmac_f32 v19, v6, v1
	v_fma_f32 v162, v5, v1, -v2
	s_delay_alu instid0(VALU_DEP_3) | instskip(NEXT) | instid1(VALU_DEP_3)
	v_fmac_f32_e32 v20, v8, v3
	v_fma_f32 v163, v7, v3, -v4
	ds_load_b128 v[1:4], v21 offset:800
	ds_load_b128 v[5:8], v21 offset:816
	s_wait_loadcnt_dscnt 0x1
	v_mul_f32_e32 v165, v1, v10
	v_mul_f32_e32 v10, v2, v10
	s_delay_alu instid0(VALU_DEP_2) | instskip(NEXT) | instid1(VALU_DEP_2)
	v_dual_mul_f32 v166, v3, v12 :: v_dual_fmac_f32 v165, v2, v9
	v_fma_f32 v167, v1, v9, -v10
	v_mul_f32_e32 v1, v4, v12
	s_delay_alu instid0(VALU_DEP_3) | instskip(NEXT) | instid1(VALU_DEP_2)
	v_fmac_f32_e32 v166, v4, v11
	v_fma_f32 v168, v3, v11, -v1
	s_clause 0x1
	scratch_load_b128 v[1:4], off, off offset:320
	scratch_load_b128 v[9:12], off, off offset:336
	s_wait_loadcnt_dscnt 0x100
	v_mul_f32_e32 v169, v5, v2
	v_dual_mul_f32 v2, v6, v2 :: v_dual_mul_f32 v171, v7, v4
	s_delay_alu instid0(VALU_DEP_2) | instskip(NEXT) | instid1(VALU_DEP_2)
	v_fmac_f32_e32 v169, v6, v1
	v_fma_f32 v170, v5, v1, -v2
	v_mul_f32_e32 v1, v8, v4
	s_delay_alu instid0(VALU_DEP_4) | instskip(NEXT) | instid1(VALU_DEP_2)
	v_fmac_f32_e32 v171, v8, v3
	v_fma_f32 v172, v7, v3, -v1
	ds_load_b128 v[1:4], v21 offset:832
	ds_load_b128 v[5:8], v21 offset:848
	s_wait_loadcnt_dscnt 0x1
	v_mul_f32_e32 v173, v1, v10
	v_mul_f32_e32 v175, v3, v12
	s_delay_alu instid0(VALU_DEP_2) | instskip(NEXT) | instid1(VALU_DEP_2)
	v_fmac_f32_e32 v173, v2, v9
	v_dual_mul_f32 v2, v2, v10 :: v_dual_fmac_f32 v175, v4, v11
	s_delay_alu instid0(VALU_DEP_1) | instskip(SKIP_1) | instid1(VALU_DEP_1)
	v_fma_f32 v174, v1, v9, -v2
	v_mul_f32_e32 v1, v4, v12
	v_fma_f32 v176, v3, v11, -v1
	s_clause 0x1
	scratch_load_b128 v[1:4], off, off offset:352
	scratch_load_b128 v[9:12], off, off offset:368
	s_wait_loadcnt_dscnt 0x100
	v_mul_f32_e32 v177, v5, v2
	v_dual_mul_f32 v2, v6, v2 :: v_dual_mul_f32 v179, v7, v4
	s_delay_alu instid0(VALU_DEP_2) | instskip(NEXT) | instid1(VALU_DEP_2)
	v_fmac_f32_e32 v177, v6, v1
	v_fma_f32 v178, v5, v1, -v2
	v_mul_f32_e32 v1, v8, v4
	s_delay_alu instid0(VALU_DEP_4) | instskip(NEXT) | instid1(VALU_DEP_2)
	v_fmac_f32_e32 v179, v8, v3
	v_fma_f32 v180, v7, v3, -v1
	ds_load_b128 v[1:4], v21 offset:864
	ds_load_b128 v[5:8], v21 offset:880
	s_wait_loadcnt_dscnt 0x1
	v_mul_f32_e32 v181, v1, v10
	v_mul_f32_e32 v183, v3, v12
	s_delay_alu instid0(VALU_DEP_2) | instskip(NEXT) | instid1(VALU_DEP_2)
	v_fmac_f32_e32 v181, v2, v9
	v_dual_mul_f32 v2, v2, v10 :: v_dual_fmac_f32 v183, v4, v11
	s_delay_alu instid0(VALU_DEP_1) | instskip(SKIP_1) | instid1(VALU_DEP_1)
	v_fma_f32 v182, v1, v9, -v2
	v_mul_f32_e32 v1, v4, v12
	;; [unrolled: 25-line block ×3, first 2 shown]
	v_fma_f32 v192, v3, v11, -v1
	s_clause 0x1
	scratch_load_b128 v[1:4], off, off offset:416
	scratch_load_b128 v[9:12], off, off offset:432
	s_wait_loadcnt_dscnt 0x100
	v_mul_f32_e32 v193, v5, v2
	v_mul_f32_e32 v2, v6, v2
	s_delay_alu instid0(VALU_DEP_1) | instskip(SKIP_1) | instid1(VALU_DEP_1)
	v_fma_f32 v194, v5, v1, -v2
	v_add_f32_e32 v2, 0, v157
	v_add_f32_e32 v2, v2, v158
	s_delay_alu instid0(VALU_DEP_1) | instskip(NEXT) | instid1(VALU_DEP_1)
	v_add_f32_e32 v2, v2, v24
	v_add_f32_e32 v2, v2, v25
	s_delay_alu instid0(VALU_DEP_1) | instskip(SKIP_1) | instid1(VALU_DEP_2)
	v_add_f32_e32 v2, v2, v32
	v_fmac_f32_e32 v193, v6, v1
	v_add_f32_e32 v2, v2, v164
	s_delay_alu instid0(VALU_DEP_1) | instskip(NEXT) | instid1(VALU_DEP_1)
	v_add_f32_e32 v2, v2, v160
	v_dual_add_f32 v2, v2, v161 :: v_dual_mul_f32 v195, v7, v4
	s_delay_alu instid0(VALU_DEP_1) | instskip(NEXT) | instid1(VALU_DEP_1)
	v_add_f32_e32 v2, v2, v15
	v_dual_fmac_f32 v195, v8, v3 :: v_dual_add_f32 v2, v2, v18
	s_delay_alu instid0(VALU_DEP_1) | instskip(NEXT) | instid1(VALU_DEP_1)
	v_dual_mul_f32 v1, v8, v4 :: v_dual_add_f32 v2, v2, v19
	v_fma_f32 v196, v7, v3, -v1
	s_delay_alu instid0(VALU_DEP_2) | instskip(NEXT) | instid1(VALU_DEP_1)
	v_dual_add_f32 v1, 0, v22 :: v_dual_add_f32 v2, v2, v20
	v_add_f32_e32 v1, v1, v23
	s_delay_alu instid0(VALU_DEP_2) | instskip(NEXT) | instid1(VALU_DEP_2)
	v_add_f32_e32 v5, v2, v165
	v_add_f32_e32 v1, v1, v26
	s_delay_alu instid0(VALU_DEP_2) | instskip(NEXT) | instid1(VALU_DEP_2)
	v_add_f32_e32 v5, v5, v166
	;; [unrolled: 3-line block ×3, first 2 shown]
	v_add_f32_e32 v1, v1, v28
	s_delay_alu instid0(VALU_DEP_1) | instskip(NEXT) | instid1(VALU_DEP_1)
	v_add_f32_e32 v1, v1, v29
	v_add_f32_e32 v1, v1, v13
	s_delay_alu instid0(VALU_DEP_1) | instskip(SKIP_1) | instid1(VALU_DEP_1)
	v_add_f32_e32 v1, v1, v14
	v_add_f32_e32 v14, v5, v171
	v_dual_add_f32 v14, v14, v173 :: v_dual_add_f32 v1, v1, v16
	s_delay_alu instid0(VALU_DEP_1) | instskip(NEXT) | instid1(VALU_DEP_1)
	v_dual_add_f32 v14, v14, v175 :: v_dual_add_f32 v1, v1, v17
	v_add_f32_e32 v17, v14, v177
	s_delay_alu instid0(VALU_DEP_2) | instskip(NEXT) | instid1(VALU_DEP_2)
	v_add_f32_e32 v1, v1, v162
	v_add_f32_e32 v17, v17, v179
	s_delay_alu instid0(VALU_DEP_2) | instskip(NEXT) | instid1(VALU_DEP_2)
	v_add_f32_e32 v1, v1, v163
	;; [unrolled: 3-line block ×3, first 2 shown]
	v_add_f32_e32 v17, v17, v183
	s_delay_alu instid0(VALU_DEP_2) | instskip(SKIP_2) | instid1(VALU_DEP_1)
	v_add_f32_e32 v6, v1, v168
	ds_load_b128 v[1:4], v21 offset:928
	v_dual_add_f32 v23, v17, v185 :: v_dual_add_f32 v6, v6, v170
	v_add_f32_e32 v32, v23, v187
	s_delay_alu instid0(VALU_DEP_1) | instskip(NEXT) | instid1(VALU_DEP_1)
	v_add_f32_e32 v32, v32, v189
	v_dual_add_f32 v32, v32, v191 :: v_dual_add_f32 v13, v6, v172
	ds_load_b128 v[5:8], v21 offset:944
	s_wait_loadcnt_dscnt 0x1
	v_mul_f32_e32 v26, v3, v12
	v_mul_f32_e32 v12, v4, v12
	v_dual_add_f32 v32, v32, v193 :: v_dual_mul_f32 v25, v1, v10
	v_mul_f32_e32 v10, v2, v10
	s_delay_alu instid0(VALU_DEP_4) | instskip(NEXT) | instid1(VALU_DEP_4)
	v_fmac_f32_e32 v26, v4, v11
	v_fma_f32 v28, v3, v11, -v12
	s_delay_alu instid0(VALU_DEP_4) | instskip(NEXT) | instid1(VALU_DEP_4)
	v_dual_add_f32 v32, v32, v195 :: v_dual_fmac_f32 v25, v2, v9
	v_fma_f32 v27, v1, v9, -v10
	s_clause 0x1
	scratch_load_b128 v[1:4], off, off offset:448
	scratch_load_b128 v[9:12], off, off offset:464
	s_wait_loadcnt_dscnt 0x100
	v_dual_add_f32 v13, v13, v174 :: v_dual_mul_f32 v158, v7, v4
	s_delay_alu instid0(VALU_DEP_1) | instskip(SKIP_3) | instid1(VALU_DEP_4)
	v_add_f32_e32 v13, v13, v176
	v_mul_f32_e32 v157, v5, v2
	v_mul_f32_e32 v2, v6, v2
	;; [unrolled: 1-line block ×3, first 2 shown]
	v_dual_fmac_f32 v158, v8, v3 :: v_dual_add_f32 v13, v13, v178
	s_delay_alu instid0(VALU_DEP_4) | instskip(NEXT) | instid1(VALU_DEP_4)
	v_fmac_f32_e32 v157, v6, v1
	v_fma_f32 v2, v5, v1, -v2
	s_delay_alu instid0(VALU_DEP_4) | instskip(NEXT) | instid1(VALU_DEP_4)
	v_fma_f32 v3, v7, v3, -v4
	v_add_f32_e32 v18, v13, v180
	scratch_load_b128 v[13:16], off, off offset:480
	v_add_f32_e32 v18, v18, v182
	s_delay_alu instid0(VALU_DEP_1) | instskip(NEXT) | instid1(VALU_DEP_1)
	v_add_f32_e32 v18, v18, v184
	v_add_f32_e32 v22, v18, v186
	ds_load_b128 v[17:20], v21 offset:960
	s_wait_loadcnt_dscnt 0x100
	v_dual_mul_f32 v160, v17, v10 :: v_dual_add_f32 v25, v32, v25
	v_mul_f32_e32 v6, v18, v10
	v_mul_f32_e32 v4, v20, v12
	s_delay_alu instid0(VALU_DEP_3)
	v_dual_fmac_f32 v160, v18, v9 :: v_dual_add_f32 v5, v25, v26
	v_add_f32_e32 v29, v22, v188
	ds_load_b128 v[21:24], v21 offset:976
	v_fma_f32 v4, v19, v11, -v4
	v_add_f32_e32 v29, v29, v190
	s_wait_loadcnt_dscnt 0x0
	v_mul_f32_e32 v162, v21, v14
	s_delay_alu instid0(VALU_DEP_1) | instskip(SKIP_1) | instid1(VALU_DEP_1)
	v_dual_add_f32 v29, v29, v192 :: v_dual_fmac_f32 v162, v22, v13
	v_mul_f32_e32 v161, v19, v12
	v_fmac_f32_e32 v161, v20, v11
	s_delay_alu instid0(VALU_DEP_3) | instskip(NEXT) | instid1(VALU_DEP_1)
	v_add_f32_e32 v29, v29, v194
	v_add_f32_e32 v29, v29, v196
	s_delay_alu instid0(VALU_DEP_1) | instskip(SKIP_1) | instid1(VALU_DEP_2)
	v_add_f32_e32 v27, v29, v27
	v_mul_f32_e32 v29, v23, v16
	v_add_f32_e32 v1, v27, v28
	s_delay_alu instid0(VALU_DEP_2) | instskip(NEXT) | instid1(VALU_DEP_2)
	v_fmac_f32_e32 v29, v24, v15
	v_add_f32_e32 v1, v1, v2
	v_add_f32_e32 v2, v5, v157
	v_fma_f32 v5, v17, v9, -v6
	s_delay_alu instid0(VALU_DEP_2) | instskip(SKIP_1) | instid1(VALU_DEP_2)
	v_dual_add_f32 v1, v1, v3 :: v_dual_add_f32 v2, v2, v158
	v_mul_f32_e32 v3, v22, v14
	v_dual_add_f32 v1, v1, v5 :: v_dual_add_f32 v2, v2, v160
	v_mul_f32_e32 v5, v24, v16
	s_delay_alu instid0(VALU_DEP_3) | instskip(NEXT) | instid1(VALU_DEP_3)
	v_fma_f32 v3, v21, v13, -v3
	v_dual_add_f32 v1, v1, v4 :: v_dual_add_f32 v2, v2, v161
	s_delay_alu instid0(VALU_DEP_3) | instskip(NEXT) | instid1(VALU_DEP_2)
	v_fma_f32 v4, v23, v15, -v5
	v_dual_add_f32 v1, v1, v3 :: v_dual_add_f32 v2, v2, v162
	s_delay_alu instid0(VALU_DEP_1) | instskip(NEXT) | instid1(VALU_DEP_1)
	v_dual_add_f32 v1, v1, v4 :: v_dual_add_f32 v2, v2, v29
	v_dual_sub_f32 v1, v30, v1 :: v_dual_sub_f32 v2, v31, v2
	scratch_store_b64 off, v[1:2], off offset:200
	v_cmpx_lt_u32_e32 24, v0
	s_cbranch_execz .LBB125_337
; %bb.336:
	scratch_load_b64 v[1:2], off, off offset:192
	v_mov_b32_e32 v3, 0
	s_delay_alu instid0(VALU_DEP_1)
	v_mov_b32_e32 v4, v3
	scratch_store_b64 off, v[3:4], off offset:192
	s_wait_loadcnt 0x0
	ds_store_b64 v159, v[1:2]
.LBB125_337:
	s_wait_alu 0xfffe
	s_or_b32 exec_lo, exec_lo, s0
	s_wait_storecnt_dscnt 0x0
	s_barrier_signal -1
	s_barrier_wait -1
	global_inv scope:SCOPE_SE
	s_clause 0x4
	scratch_load_b128 v[5:8], off, off offset:200
	scratch_load_b128 v[1:4], off, off offset:216
	;; [unrolled: 1-line block ×5, first 2 shown]
	v_mov_b32_e32 v21, 0
	ds_load_2addr_b64 v[22:25], v21 offset0:87 offset1:88
	ds_load_2addr_b64 v[26:29], v21 offset0:89 offset1:90
	;; [unrolled: 1-line block ×3, first 2 shown]
	scratch_load_b64 v[30:31], off, off offset:192
	s_mov_b32 s0, exec_lo
	s_wait_loadcnt_dscnt 0x502
	v_mul_f32_e32 v32, v23, v6
	v_dual_mul_f32 v157, v22, v6 :: v_dual_mul_f32 v158, v24, v8
	v_mul_f32_e32 v6, v25, v8
	s_wait_loadcnt_dscnt 0x300
	v_mul_f32_e32 v164, v162, v12
	v_fma_f32 v22, v22, v5, -v32
	v_dual_fmac_f32 v157, v23, v5 :: v_dual_fmac_f32 v158, v25, v7
	v_mul_f32_e32 v25, v28, v4
	v_fma_f32 v23, v24, v7, -v6
	ds_load_2addr_b64 v[5:8], v21 offset0:93 offset1:94
	v_mul_f32_e32 v24, v26, v2
	v_mul_f32_e32 v4, v29, v4
	;; [unrolled: 1-line block ×5, first 2 shown]
	v_dual_mul_f32 v2, v27, v2 :: v_dual_fmac_f32 v25, v29, v3
	v_fmac_f32_e32 v24, v27, v1
	v_fma_f32 v27, v28, v3, -v4
	v_fmac_f32_e32 v32, v161, v9
	v_fma_f32 v28, v160, v9, -v10
	;; [unrolled: 2-line block ×3, first 2 shown]
	ds_load_2addr_b64 v[9:12], v21 offset0:95 offset1:96
	s_wait_loadcnt_dscnt 0x201
	v_dual_mul_f32 v161, v7, v16 :: v_dual_mul_f32 v160, v5, v14
	v_mul_f32_e32 v14, v6, v14
	v_mul_f32_e32 v16, v8, v16
	s_delay_alu instid0(VALU_DEP_3)
	v_fmac_f32_e32 v161, v8, v15
	v_fma_f32 v26, v26, v1, -v2
	scratch_load_b128 v[1:4], off, off offset:280
	v_fmac_f32_e32 v160, v6, v13
	v_fma_f32 v13, v5, v13, -v14
	v_fma_f32 v14, v7, v15, -v16
	ds_load_2addr_b64 v[5:8], v21 offset0:97 offset1:98
	s_wait_loadcnt_dscnt 0x201
	v_mul_f32_e32 v15, v9, v18
	v_mul_f32_e32 v16, v10, v18
	;; [unrolled: 1-line block ×3, first 2 shown]
	s_delay_alu instid0(VALU_DEP_3) | instskip(NEXT) | instid1(VALU_DEP_3)
	v_dual_mul_f32 v20, v12, v20 :: v_dual_fmac_f32 v15, v10, v17
	v_fma_f32 v16, v9, v17, -v16
	s_delay_alu instid0(VALU_DEP_3) | instskip(NEXT) | instid1(VALU_DEP_3)
	v_fmac_f32_e32 v18, v12, v19
	v_fma_f32 v17, v11, v19, -v20
	scratch_load_b128 v[9:12], off, off offset:296
	s_wait_loadcnt_dscnt 0x100
	v_mul_f32_e32 v19, v5, v2
	v_mul_f32_e32 v2, v6, v2
	;; [unrolled: 1-line block ×3, first 2 shown]
	s_delay_alu instid0(VALU_DEP_3) | instskip(NEXT) | instid1(VALU_DEP_3)
	v_dual_mul_f32 v4, v8, v4 :: v_dual_fmac_f32 v19, v6, v1
	v_fma_f32 v162, v5, v1, -v2
	s_delay_alu instid0(VALU_DEP_3) | instskip(NEXT) | instid1(VALU_DEP_3)
	v_fmac_f32_e32 v20, v8, v3
	v_fma_f32 v163, v7, v3, -v4
	ds_load_2addr_b64 v[1:4], v21 offset0:99 offset1:100
	ds_load_2addr_b64 v[5:8], v21 offset0:101 offset1:102
	s_wait_loadcnt_dscnt 0x1
	v_mul_f32_e32 v165, v1, v10
	v_mul_f32_e32 v10, v2, v10
	s_delay_alu instid0(VALU_DEP_2) | instskip(NEXT) | instid1(VALU_DEP_2)
	v_dual_mul_f32 v166, v3, v12 :: v_dual_fmac_f32 v165, v2, v9
	v_fma_f32 v167, v1, v9, -v10
	v_mul_f32_e32 v1, v4, v12
	s_delay_alu instid0(VALU_DEP_3) | instskip(NEXT) | instid1(VALU_DEP_2)
	v_fmac_f32_e32 v166, v4, v11
	v_fma_f32 v168, v3, v11, -v1
	s_clause 0x1
	scratch_load_b128 v[1:4], off, off offset:312
	scratch_load_b128 v[9:12], off, off offset:328
	s_wait_loadcnt_dscnt 0x100
	v_mul_f32_e32 v169, v5, v2
	v_dual_mul_f32 v2, v6, v2 :: v_dual_mul_f32 v171, v7, v4
	s_delay_alu instid0(VALU_DEP_2) | instskip(NEXT) | instid1(VALU_DEP_2)
	v_fmac_f32_e32 v169, v6, v1
	v_fma_f32 v170, v5, v1, -v2
	v_mul_f32_e32 v1, v8, v4
	s_delay_alu instid0(VALU_DEP_4) | instskip(NEXT) | instid1(VALU_DEP_2)
	v_fmac_f32_e32 v171, v8, v3
	v_fma_f32 v172, v7, v3, -v1
	ds_load_2addr_b64 v[1:4], v21 offset0:103 offset1:104
	ds_load_2addr_b64 v[5:8], v21 offset0:105 offset1:106
	s_wait_loadcnt_dscnt 0x1
	v_mul_f32_e32 v173, v1, v10
	v_mul_f32_e32 v175, v3, v12
	s_delay_alu instid0(VALU_DEP_2) | instskip(NEXT) | instid1(VALU_DEP_2)
	v_fmac_f32_e32 v173, v2, v9
	v_dual_mul_f32 v2, v2, v10 :: v_dual_fmac_f32 v175, v4, v11
	s_delay_alu instid0(VALU_DEP_1) | instskip(SKIP_1) | instid1(VALU_DEP_1)
	v_fma_f32 v174, v1, v9, -v2
	v_mul_f32_e32 v1, v4, v12
	v_fma_f32 v176, v3, v11, -v1
	s_clause 0x1
	scratch_load_b128 v[1:4], off, off offset:344
	scratch_load_b128 v[9:12], off, off offset:360
	s_wait_loadcnt_dscnt 0x100
	v_mul_f32_e32 v177, v5, v2
	v_dual_mul_f32 v2, v6, v2 :: v_dual_mul_f32 v179, v7, v4
	s_delay_alu instid0(VALU_DEP_2) | instskip(NEXT) | instid1(VALU_DEP_2)
	v_fmac_f32_e32 v177, v6, v1
	v_fma_f32 v178, v5, v1, -v2
	v_mul_f32_e32 v1, v8, v4
	s_delay_alu instid0(VALU_DEP_4) | instskip(NEXT) | instid1(VALU_DEP_2)
	v_fmac_f32_e32 v179, v8, v3
	v_fma_f32 v180, v7, v3, -v1
	ds_load_2addr_b64 v[1:4], v21 offset0:107 offset1:108
	ds_load_2addr_b64 v[5:8], v21 offset0:109 offset1:110
	s_wait_loadcnt_dscnt 0x1
	v_mul_f32_e32 v181, v1, v10
	v_mul_f32_e32 v183, v3, v12
	s_delay_alu instid0(VALU_DEP_2) | instskip(NEXT) | instid1(VALU_DEP_2)
	v_fmac_f32_e32 v181, v2, v9
	v_dual_mul_f32 v2, v2, v10 :: v_dual_fmac_f32 v183, v4, v11
	s_delay_alu instid0(VALU_DEP_1) | instskip(SKIP_1) | instid1(VALU_DEP_1)
	v_fma_f32 v182, v1, v9, -v2
	v_mul_f32_e32 v1, v4, v12
	;; [unrolled: 25-line block ×3, first 2 shown]
	v_fma_f32 v192, v3, v11, -v1
	s_clause 0x1
	scratch_load_b128 v[1:4], off, off offset:408
	scratch_load_b128 v[9:12], off, off offset:424
	s_wait_loadcnt_dscnt 0x100
	v_mul_f32_e32 v193, v5, v2
	v_mul_f32_e32 v2, v6, v2
	s_delay_alu instid0(VALU_DEP_1) | instskip(SKIP_1) | instid1(VALU_DEP_1)
	v_fma_f32 v194, v5, v1, -v2
	v_add_f32_e32 v2, 0, v157
	v_add_f32_e32 v2, v2, v158
	s_delay_alu instid0(VALU_DEP_1) | instskip(NEXT) | instid1(VALU_DEP_1)
	v_add_f32_e32 v2, v2, v24
	v_add_f32_e32 v2, v2, v25
	s_delay_alu instid0(VALU_DEP_1) | instskip(SKIP_1) | instid1(VALU_DEP_2)
	v_add_f32_e32 v2, v2, v32
	v_fmac_f32_e32 v193, v6, v1
	v_add_f32_e32 v2, v2, v164
	s_delay_alu instid0(VALU_DEP_1) | instskip(NEXT) | instid1(VALU_DEP_1)
	v_add_f32_e32 v2, v2, v160
	v_dual_add_f32 v2, v2, v161 :: v_dual_mul_f32 v195, v7, v4
	s_delay_alu instid0(VALU_DEP_1) | instskip(NEXT) | instid1(VALU_DEP_1)
	v_add_f32_e32 v2, v2, v15
	v_dual_fmac_f32 v195, v8, v3 :: v_dual_add_f32 v2, v2, v18
	s_delay_alu instid0(VALU_DEP_1) | instskip(NEXT) | instid1(VALU_DEP_1)
	v_dual_mul_f32 v1, v8, v4 :: v_dual_add_f32 v2, v2, v19
	v_fma_f32 v196, v7, v3, -v1
	s_delay_alu instid0(VALU_DEP_2) | instskip(NEXT) | instid1(VALU_DEP_1)
	v_dual_add_f32 v1, 0, v22 :: v_dual_add_f32 v2, v2, v20
	v_add_f32_e32 v1, v1, v23
	s_delay_alu instid0(VALU_DEP_1) | instskip(NEXT) | instid1(VALU_DEP_1)
	v_add_f32_e32 v1, v1, v26
	v_add_f32_e32 v1, v1, v27
	scratch_load_b64 v[26:27], off, off offset:488
	v_add_f32_e32 v1, v1, v28
	s_delay_alu instid0(VALU_DEP_1) | instskip(NEXT) | instid1(VALU_DEP_1)
	v_add_f32_e32 v1, v1, v29
	v_add_f32_e32 v1, v1, v13
	s_delay_alu instid0(VALU_DEP_1) | instskip(NEXT) | instid1(VALU_DEP_1)
	v_add_f32_e32 v1, v1, v14
	v_add_f32_e32 v1, v1, v16
	s_delay_alu instid0(VALU_DEP_1) | instskip(NEXT) | instid1(VALU_DEP_1)
	v_add_f32_e32 v1, v1, v17
	v_add_f32_e32 v1, v1, v162
	s_delay_alu instid0(VALU_DEP_1) | instskip(NEXT) | instid1(VALU_DEP_1)
	v_add_f32_e32 v1, v1, v163
	v_add_f32_e32 v1, v1, v167
	s_delay_alu instid0(VALU_DEP_1) | instskip(NEXT) | instid1(VALU_DEP_1)
	v_add_f32_e32 v6, v1, v168
	v_add_f32_e32 v6, v6, v170
	s_delay_alu instid0(VALU_DEP_1) | instskip(NEXT) | instid1(VALU_DEP_1)
	v_add_f32_e32 v13, v6, v172
	v_add_f32_e32 v13, v13, v174
	s_delay_alu instid0(VALU_DEP_1) | instskip(NEXT) | instid1(VALU_DEP_1)
	v_add_f32_e32 v13, v13, v176
	v_add_f32_e32 v13, v13, v178
	v_add_f32_e32 v5, v2, v165
	ds_load_2addr_b64 v[1:4], v21 offset0:115 offset1:116
	v_add_f32_e32 v18, v13, v180
	v_add_f32_e32 v5, v5, v166
	s_delay_alu instid0(VALU_DEP_1) | instskip(NEXT) | instid1(VALU_DEP_1)
	v_dual_add_f32 v18, v18, v182 :: v_dual_add_f32 v5, v5, v169
	v_add_f32_e32 v18, v18, v184
	s_delay_alu instid0(VALU_DEP_2)
	v_add_f32_e32 v14, v5, v171
	ds_load_2addr_b64 v[5:8], v21 offset0:117 offset1:118
	v_add_f32_e32 v18, v18, v186
	v_add_f32_e32 v14, v14, v173
	s_wait_loadcnt_dscnt 0x101
	v_mul_f32_e32 v32, v1, v10
	v_mul_f32_e32 v10, v2, v10
	v_add_f32_e32 v18, v18, v188
	v_add_f32_e32 v14, v14, v175
	s_delay_alu instid0(VALU_DEP_4) | instskip(NEXT) | instid1(VALU_DEP_4)
	v_fmac_f32_e32 v32, v2, v9
	v_fma_f32 v158, v1, v9, -v10
	s_delay_alu instid0(VALU_DEP_4) | instskip(NEXT) | instid1(VALU_DEP_1)
	v_add_f32_e32 v28, v18, v190
	v_add_f32_e32 v161, v28, v192
	s_delay_alu instid0(VALU_DEP_1) | instskip(NEXT) | instid1(VALU_DEP_1)
	v_add_f32_e32 v161, v161, v194
	v_add_f32_e32 v161, v161, v196
	;; [unrolled: 1-line block ×3, first 2 shown]
	scratch_load_b128 v[13:16], off, off offset:472
	v_add_f32_e32 v158, v161, v158
	v_add_f32_e32 v17, v17, v179
	s_delay_alu instid0(VALU_DEP_1) | instskip(NEXT) | instid1(VALU_DEP_1)
	v_add_f32_e32 v17, v17, v181
	v_add_f32_e32 v17, v17, v183
	s_delay_alu instid0(VALU_DEP_1) | instskip(NEXT) | instid1(VALU_DEP_1)
	v_add_f32_e32 v17, v17, v185
	v_add_f32_e32 v22, v17, v187
	ds_load_2addr_b64 v[17:20], v21 offset0:119 offset1:120
	v_add_f32_e32 v29, v22, v189
	v_mul_f32_e32 v157, v3, v12
	v_mul_f32_e32 v12, v4, v12
	ds_load_2addr_b64 v[22:25], v21 offset0:121 offset1:122
	v_add_f32_e32 v162, v29, v191
	v_fmac_f32_e32 v157, v4, v11
	v_fma_f32 v160, v3, v11, -v12
	s_clause 0x1
	scratch_load_b128 v[1:4], off, off offset:440
	scratch_load_b128 v[9:12], off, off offset:456
	v_add_f32_e32 v162, v162, v193
	ds_load_b64 v[28:29], v21 offset:984
	v_add_f32_e32 v158, v158, v160
	v_add_f32_e32 v162, v162, v195
	s_delay_alu instid0(VALU_DEP_1) | instskip(SKIP_2) | instid1(VALU_DEP_1)
	v_add_f32_e32 v32, v162, v32
	s_wait_loadcnt_dscnt 0x201
	v_dual_mul_f32 v160, v24, v16 :: v_dual_mul_f32 v165, v22, v14
	v_dual_fmac_f32 v160, v25, v15 :: v_dual_fmac_f32 v165, v23, v13
	s_wait_loadcnt 0x1
	v_mul_f32_e32 v164, v7, v4
	v_mul_f32_e32 v4, v8, v4
	v_add_f32_e32 v32, v32, v157
	s_wait_loadcnt 0x0
	v_dual_mul_f32 v162, v19, v12 :: v_dual_mul_f32 v161, v17, v10
	v_dual_fmac_f32 v164, v8, v3 :: v_dual_mul_f32 v163, v5, v2
	v_mul_f32_e32 v2, v6, v2
	s_delay_alu instid0(VALU_DEP_3) | instskip(NEXT) | instid1(VALU_DEP_3)
	v_dual_fmac_f32 v162, v20, v11 :: v_dual_fmac_f32 v161, v18, v9
	v_fmac_f32_e32 v163, v6, v1
	s_delay_alu instid0(VALU_DEP_3) | instskip(SKIP_1) | instid1(VALU_DEP_3)
	v_fma_f32 v2, v5, v1, -v2
	v_fma_f32 v1, v7, v3, -v4
	v_dual_mul_f32 v3, v18, v10 :: v_dual_add_f32 v4, v32, v163
	s_delay_alu instid0(VALU_DEP_3) | instskip(NEXT) | instid1(VALU_DEP_2)
	v_add_f32_e32 v2, v158, v2
	v_fma_f32 v3, v17, v9, -v3
	s_delay_alu instid0(VALU_DEP_2) | instskip(SKIP_2) | instid1(VALU_DEP_2)
	v_dual_add_f32 v1, v2, v1 :: v_dual_add_f32 v2, v4, v164
	s_wait_dscnt 0x0
	v_dual_mul_f32 v157, v28, v27 :: v_dual_mul_f32 v4, v23, v14
	v_dual_add_f32 v2, v2, v161 :: v_dual_mul_f32 v5, v20, v12
	s_delay_alu instid0(VALU_DEP_2) | instskip(NEXT) | instid1(VALU_DEP_3)
	v_fma_f32 v4, v22, v13, -v4
	v_fmac_f32_e32 v157, v29, v26
	s_delay_alu instid0(VALU_DEP_3) | instskip(NEXT) | instid1(VALU_DEP_4)
	v_add_f32_e32 v2, v2, v162
	v_fma_f32 v5, v19, v11, -v5
	s_delay_alu instid0(VALU_DEP_2) | instskip(NEXT) | instid1(VALU_DEP_1)
	v_dual_add_f32 v1, v1, v3 :: v_dual_add_f32 v2, v2, v165
	v_add_f32_e32 v1, v1, v5
	s_delay_alu instid0(VALU_DEP_2) | instskip(SKIP_1) | instid1(VALU_DEP_3)
	v_dual_mul_f32 v5, v29, v27 :: v_dual_add_f32 v2, v2, v160
	v_mul_f32_e32 v3, v25, v16
	v_add_f32_e32 v1, v1, v4
	s_delay_alu instid0(VALU_DEP_3) | instskip(NEXT) | instid1(VALU_DEP_4)
	v_fma_f32 v4, v28, v26, -v5
	v_add_f32_e32 v2, v2, v157
	s_delay_alu instid0(VALU_DEP_4) | instskip(NEXT) | instid1(VALU_DEP_1)
	v_fma_f32 v3, v24, v15, -v3
	v_dual_sub_f32 v2, v31, v2 :: v_dual_add_f32 v1, v1, v3
	s_delay_alu instid0(VALU_DEP_1) | instskip(NEXT) | instid1(VALU_DEP_1)
	v_add_f32_e32 v1, v1, v4
	v_sub_f32_e32 v1, v30, v1
	scratch_store_b64 off, v[1:2], off offset:192
	v_cmpx_lt_u32_e32 23, v0
	s_cbranch_execz .LBB125_339
; %bb.338:
	scratch_load_b64 v[1:2], off, off offset:184
	v_mov_b32_e32 v22, v21
	scratch_store_b64 off, v[21:22], off offset:184
	s_wait_loadcnt 0x0
	ds_store_b64 v159, v[1:2]
.LBB125_339:
	s_wait_alu 0xfffe
	s_or_b32 exec_lo, exec_lo, s0
	s_wait_storecnt_dscnt 0x0
	s_barrier_signal -1
	s_barrier_wait -1
	global_inv scope:SCOPE_SE
	s_clause 0x4
	scratch_load_b128 v[5:8], off, off offset:192
	scratch_load_b128 v[1:4], off, off offset:208
	;; [unrolled: 1-line block ×5, first 2 shown]
	ds_load_b128 v[22:25], v21 offset:688
	ds_load_b128 v[26:29], v21 offset:704
	;; [unrolled: 1-line block ×3, first 2 shown]
	scratch_load_b64 v[30:31], off, off offset:184
	s_mov_b32 s0, exec_lo
	s_wait_loadcnt_dscnt 0x502
	v_mul_f32_e32 v32, v23, v6
	v_dual_mul_f32 v157, v22, v6 :: v_dual_mul_f32 v158, v24, v8
	v_mul_f32_e32 v6, v25, v8
	s_wait_loadcnt_dscnt 0x300
	v_mul_f32_e32 v164, v162, v12
	v_mul_f32_e32 v12, v163, v12
	v_dual_fmac_f32 v157, v23, v5 :: v_dual_fmac_f32 v158, v25, v7
	v_fma_f32 v23, v24, v7, -v6
	v_mul_f32_e32 v25, v28, v4
	v_fma_f32 v22, v22, v5, -v32
	ds_load_b128 v[5:8], v21 offset:736
	v_mul_f32_e32 v24, v26, v2
	v_mul_f32_e32 v4, v29, v4
	;; [unrolled: 1-line block ×4, first 2 shown]
	v_dual_mul_f32 v2, v27, v2 :: v_dual_fmac_f32 v25, v29, v3
	v_fmac_f32_e32 v24, v27, v1
	v_fma_f32 v27, v28, v3, -v4
	v_fmac_f32_e32 v32, v161, v9
	v_fma_f32 v28, v160, v9, -v10
	;; [unrolled: 2-line block ×3, first 2 shown]
	ds_load_b128 v[9:12], v21 offset:752
	s_wait_loadcnt_dscnt 0x201
	v_dual_mul_f32 v161, v7, v16 :: v_dual_mul_f32 v160, v5, v14
	v_mul_f32_e32 v14, v6, v14
	v_mul_f32_e32 v16, v8, v16
	s_delay_alu instid0(VALU_DEP_3)
	v_fmac_f32_e32 v161, v8, v15
	v_fma_f32 v26, v26, v1, -v2
	scratch_load_b128 v[1:4], off, off offset:272
	v_fmac_f32_e32 v160, v6, v13
	v_fma_f32 v13, v5, v13, -v14
	v_fma_f32 v14, v7, v15, -v16
	ds_load_b128 v[5:8], v21 offset:768
	s_wait_loadcnt_dscnt 0x201
	v_mul_f32_e32 v15, v9, v18
	v_mul_f32_e32 v16, v10, v18
	;; [unrolled: 1-line block ×3, first 2 shown]
	s_delay_alu instid0(VALU_DEP_3) | instskip(NEXT) | instid1(VALU_DEP_3)
	v_dual_mul_f32 v20, v12, v20 :: v_dual_fmac_f32 v15, v10, v17
	v_fma_f32 v16, v9, v17, -v16
	s_delay_alu instid0(VALU_DEP_3) | instskip(NEXT) | instid1(VALU_DEP_3)
	v_fmac_f32_e32 v18, v12, v19
	v_fma_f32 v17, v11, v19, -v20
	scratch_load_b128 v[9:12], off, off offset:288
	s_wait_loadcnt_dscnt 0x100
	v_mul_f32_e32 v19, v5, v2
	v_mul_f32_e32 v2, v6, v2
	;; [unrolled: 1-line block ×3, first 2 shown]
	s_delay_alu instid0(VALU_DEP_3) | instskip(NEXT) | instid1(VALU_DEP_3)
	v_dual_mul_f32 v4, v8, v4 :: v_dual_fmac_f32 v19, v6, v1
	v_fma_f32 v162, v5, v1, -v2
	s_delay_alu instid0(VALU_DEP_3) | instskip(NEXT) | instid1(VALU_DEP_3)
	v_fmac_f32_e32 v20, v8, v3
	v_fma_f32 v163, v7, v3, -v4
	ds_load_b128 v[1:4], v21 offset:784
	ds_load_b128 v[5:8], v21 offset:800
	s_wait_loadcnt_dscnt 0x1
	v_mul_f32_e32 v165, v1, v10
	v_mul_f32_e32 v10, v2, v10
	s_delay_alu instid0(VALU_DEP_2) | instskip(NEXT) | instid1(VALU_DEP_2)
	v_dual_mul_f32 v166, v3, v12 :: v_dual_fmac_f32 v165, v2, v9
	v_fma_f32 v167, v1, v9, -v10
	v_mul_f32_e32 v1, v4, v12
	s_delay_alu instid0(VALU_DEP_3) | instskip(NEXT) | instid1(VALU_DEP_2)
	v_fmac_f32_e32 v166, v4, v11
	v_fma_f32 v168, v3, v11, -v1
	s_clause 0x1
	scratch_load_b128 v[1:4], off, off offset:304
	scratch_load_b128 v[9:12], off, off offset:320
	s_wait_loadcnt_dscnt 0x100
	v_mul_f32_e32 v169, v5, v2
	v_dual_mul_f32 v2, v6, v2 :: v_dual_mul_f32 v171, v7, v4
	s_delay_alu instid0(VALU_DEP_2) | instskip(NEXT) | instid1(VALU_DEP_2)
	v_fmac_f32_e32 v169, v6, v1
	v_fma_f32 v170, v5, v1, -v2
	v_mul_f32_e32 v1, v8, v4
	s_delay_alu instid0(VALU_DEP_4) | instskip(NEXT) | instid1(VALU_DEP_2)
	v_fmac_f32_e32 v171, v8, v3
	v_fma_f32 v172, v7, v3, -v1
	ds_load_b128 v[1:4], v21 offset:816
	ds_load_b128 v[5:8], v21 offset:832
	s_wait_loadcnt_dscnt 0x1
	v_mul_f32_e32 v173, v1, v10
	v_mul_f32_e32 v175, v3, v12
	s_delay_alu instid0(VALU_DEP_2) | instskip(NEXT) | instid1(VALU_DEP_2)
	v_fmac_f32_e32 v173, v2, v9
	v_dual_mul_f32 v2, v2, v10 :: v_dual_fmac_f32 v175, v4, v11
	s_delay_alu instid0(VALU_DEP_1) | instskip(SKIP_1) | instid1(VALU_DEP_1)
	v_fma_f32 v174, v1, v9, -v2
	v_mul_f32_e32 v1, v4, v12
	v_fma_f32 v176, v3, v11, -v1
	s_clause 0x1
	scratch_load_b128 v[1:4], off, off offset:336
	scratch_load_b128 v[9:12], off, off offset:352
	s_wait_loadcnt_dscnt 0x100
	v_mul_f32_e32 v177, v5, v2
	v_dual_mul_f32 v2, v6, v2 :: v_dual_mul_f32 v179, v7, v4
	s_delay_alu instid0(VALU_DEP_2) | instskip(NEXT) | instid1(VALU_DEP_2)
	v_fmac_f32_e32 v177, v6, v1
	v_fma_f32 v178, v5, v1, -v2
	v_mul_f32_e32 v1, v8, v4
	s_delay_alu instid0(VALU_DEP_4) | instskip(NEXT) | instid1(VALU_DEP_2)
	v_fmac_f32_e32 v179, v8, v3
	v_fma_f32 v180, v7, v3, -v1
	ds_load_b128 v[1:4], v21 offset:848
	ds_load_b128 v[5:8], v21 offset:864
	s_wait_loadcnt_dscnt 0x1
	v_mul_f32_e32 v181, v1, v10
	v_mul_f32_e32 v183, v3, v12
	s_delay_alu instid0(VALU_DEP_2) | instskip(NEXT) | instid1(VALU_DEP_2)
	v_fmac_f32_e32 v181, v2, v9
	v_dual_mul_f32 v2, v2, v10 :: v_dual_fmac_f32 v183, v4, v11
	s_delay_alu instid0(VALU_DEP_1) | instskip(SKIP_1) | instid1(VALU_DEP_1)
	v_fma_f32 v182, v1, v9, -v2
	v_mul_f32_e32 v1, v4, v12
	;; [unrolled: 25-line block ×3, first 2 shown]
	v_fma_f32 v192, v3, v11, -v1
	s_clause 0x1
	scratch_load_b128 v[1:4], off, off offset:400
	scratch_load_b128 v[9:12], off, off offset:416
	s_wait_loadcnt_dscnt 0x100
	v_mul_f32_e32 v193, v5, v2
	v_mul_f32_e32 v2, v6, v2
	s_delay_alu instid0(VALU_DEP_1) | instskip(SKIP_1) | instid1(VALU_DEP_1)
	v_fma_f32 v194, v5, v1, -v2
	v_add_f32_e32 v2, 0, v157
	v_add_f32_e32 v2, v2, v158
	s_delay_alu instid0(VALU_DEP_1) | instskip(NEXT) | instid1(VALU_DEP_1)
	v_add_f32_e32 v2, v2, v24
	v_add_f32_e32 v2, v2, v25
	s_delay_alu instid0(VALU_DEP_1) | instskip(SKIP_1) | instid1(VALU_DEP_2)
	v_add_f32_e32 v2, v2, v32
	v_fmac_f32_e32 v193, v6, v1
	v_add_f32_e32 v2, v2, v164
	s_delay_alu instid0(VALU_DEP_1) | instskip(NEXT) | instid1(VALU_DEP_1)
	v_add_f32_e32 v2, v2, v160
	v_dual_add_f32 v2, v2, v161 :: v_dual_mul_f32 v195, v7, v4
	s_delay_alu instid0(VALU_DEP_1) | instskip(NEXT) | instid1(VALU_DEP_1)
	v_add_f32_e32 v2, v2, v15
	v_dual_fmac_f32 v195, v8, v3 :: v_dual_add_f32 v2, v2, v18
	s_delay_alu instid0(VALU_DEP_1) | instskip(NEXT) | instid1(VALU_DEP_1)
	v_dual_mul_f32 v1, v8, v4 :: v_dual_add_f32 v2, v2, v19
	v_fma_f32 v196, v7, v3, -v1
	s_delay_alu instid0(VALU_DEP_2) | instskip(NEXT) | instid1(VALU_DEP_1)
	v_dual_add_f32 v1, 0, v22 :: v_dual_add_f32 v2, v2, v20
	v_dual_add_f32 v1, v1, v23 :: v_dual_add_f32 v2, v2, v165
	s_delay_alu instid0(VALU_DEP_1) | instskip(NEXT) | instid1(VALU_DEP_2)
	v_add_f32_e32 v1, v1, v26
	v_add_f32_e32 v5, v2, v166
	s_delay_alu instid0(VALU_DEP_2) | instskip(NEXT) | instid1(VALU_DEP_1)
	v_add_f32_e32 v1, v1, v27
	v_add_f32_e32 v1, v1, v28
	s_delay_alu instid0(VALU_DEP_1) | instskip(NEXT) | instid1(VALU_DEP_1)
	v_add_f32_e32 v1, v1, v29
	v_add_f32_e32 v1, v1, v13
	;; [unrolled: 1-line block ×3, first 2 shown]
	s_delay_alu instid0(VALU_DEP_2) | instskip(NEXT) | instid1(VALU_DEP_2)
	v_add_f32_e32 v1, v1, v14
	v_add_f32_e32 v13, v13, v171
	s_delay_alu instid0(VALU_DEP_1) | instskip(NEXT) | instid1(VALU_DEP_1)
	v_add_f32_e32 v13, v13, v173
	v_add_f32_e32 v18, v13, v175
	s_delay_alu instid0(VALU_DEP_1) | instskip(NEXT) | instid1(VALU_DEP_1)
	v_dual_add_f32 v1, v1, v16 :: v_dual_add_f32 v18, v18, v177
	v_dual_add_f32 v1, v1, v17 :: v_dual_add_f32 v18, v18, v179
	s_delay_alu instid0(VALU_DEP_1) | instskip(NEXT) | instid1(VALU_DEP_1)
	v_dual_add_f32 v1, v1, v162 :: v_dual_add_f32 v22, v18, v181
	v_add_f32_e32 v1, v1, v163
	s_delay_alu instid0(VALU_DEP_2) | instskip(NEXT) | instid1(VALU_DEP_2)
	v_add_f32_e32 v22, v22, v183
	v_add_f32_e32 v1, v1, v167
	s_delay_alu instid0(VALU_DEP_1) | instskip(NEXT) | instid1(VALU_DEP_1)
	v_add_f32_e32 v1, v1, v168
	v_add_f32_e32 v6, v1, v170
	ds_load_b128 v[1:4], v21 offset:912
	v_add_f32_e32 v22, v22, v185
	v_add_f32_e32 v14, v6, v172
	scratch_load_b128 v[5:8], off, off offset:432
	v_add_f32_e32 v14, v14, v174
	s_delay_alu instid0(VALU_DEP_1)
	v_add_f32_e32 v17, v14, v176
	ds_load_b128 v[13:16], v21 offset:928
	v_add_f32_e32 v17, v17, v178
	s_wait_loadcnt_dscnt 0x101
	v_mul_f32_e32 v25, v1, v10
	v_mul_f32_e32 v10, v2, v10
	;; [unrolled: 1-line block ×4, first 2 shown]
	v_add_f32_e32 v17, v17, v180
	v_fmac_f32_e32 v25, v2, v9
	v_fma_f32 v27, v1, v9, -v10
	v_fmac_f32_e32 v26, v4, v11
	v_fma_f32 v28, v3, v11, -v12
	s_clause 0x1
	scratch_load_b128 v[1:4], off, off offset:448
	scratch_load_b128 v[9:12], off, off offset:464
	s_wait_loadcnt_dscnt 0x200
	v_mul_f32_e32 v29, v13, v6
	v_mul_f32_e32 v6, v14, v6
	;; [unrolled: 1-line block ×3, first 2 shown]
	s_delay_alu instid0(VALU_DEP_3) | instskip(NEXT) | instid1(VALU_DEP_3)
	v_dual_mul_f32 v8, v16, v8 :: v_dual_fmac_f32 v29, v14, v5
	v_fma_f32 v157, v13, v5, -v6
	s_delay_alu instid0(VALU_DEP_3) | instskip(NEXT) | instid1(VALU_DEP_3)
	v_fmac_f32_e32 v32, v16, v7
	v_fma_f32 v158, v15, v7, -v8
	ds_load_b128 v[5:8], v21 offset:944
	v_add_f32_e32 v17, v17, v182
	v_add_f32_e32 v13, v22, v187
	s_delay_alu instid0(VALU_DEP_2) | instskip(SKIP_2) | instid1(VALU_DEP_1)
	v_add_f32_e32 v23, v17, v184
	scratch_load_b128 v[17:20], off, off offset:480
	v_add_f32_e32 v23, v23, v186
	v_add_f32_e32 v23, v23, v188
	s_delay_alu instid0(VALU_DEP_1)
	v_dual_add_f32 v22, v23, v190 :: v_dual_add_f32 v23, v13, v189
	ds_load_b128 v[13:16], v21 offset:960
	s_wait_loadcnt_dscnt 0x201
	v_mul_f32_e32 v162, v5, v2
	v_mul_f32_e32 v2, v6, v2
	v_add_f32_e32 v160, v22, v192
	s_delay_alu instid0(VALU_DEP_3) | instskip(NEXT) | instid1(VALU_DEP_3)
	v_fmac_f32_e32 v162, v6, v1
	v_fma_f32 v2, v5, v1, -v2
	s_delay_alu instid0(VALU_DEP_3) | instskip(NEXT) | instid1(VALU_DEP_1)
	v_add_f32_e32 v160, v160, v194
	v_add_f32_e32 v160, v160, v196
	s_delay_alu instid0(VALU_DEP_1)
	v_dual_add_f32 v27, v160, v27 :: v_dual_mul_f32 v160, v7, v4
	v_mul_f32_e32 v4, v8, v4
	s_wait_loadcnt_dscnt 0x100
	v_dual_mul_f32 v6, v14, v10 :: v_dual_add_f32 v161, v23, v191
	ds_load_b128 v[21:24], v21 offset:976
	v_fmac_f32_e32 v160, v8, v3
	v_fma_f32 v3, v7, v3, -v4
	v_dual_mul_f32 v4, v16, v12 :: v_dual_add_f32 v161, v161, v193
	v_mul_f32_e32 v163, v15, v12
	s_delay_alu instid0(VALU_DEP_2) | instskip(NEXT) | instid1(VALU_DEP_3)
	v_fma_f32 v4, v15, v11, -v4
	v_add_f32_e32 v161, v161, v195
	s_delay_alu instid0(VALU_DEP_3) | instskip(NEXT) | instid1(VALU_DEP_2)
	v_fmac_f32_e32 v163, v16, v11
	v_add_f32_e32 v25, v161, v25
	s_delay_alu instid0(VALU_DEP_1) | instskip(NEXT) | instid1(VALU_DEP_1)
	v_add_f32_e32 v25, v25, v26
	v_add_f32_e32 v25, v25, v29
	s_delay_alu instid0(VALU_DEP_1) | instskip(SKIP_2) | instid1(VALU_DEP_1)
	v_add_f32_e32 v5, v25, v32
	s_wait_loadcnt_dscnt 0x0
	v_mul_f32_e32 v26, v21, v18
	v_dual_fmac_f32 v26, v22, v17 :: v_dual_add_f32 v27, v27, v28
	v_dual_mul_f32 v28, v23, v20 :: v_dual_mul_f32 v161, v13, v10
	s_delay_alu instid0(VALU_DEP_1) | instskip(NEXT) | instid1(VALU_DEP_2)
	v_dual_add_f32 v27, v27, v157 :: v_dual_fmac_f32 v28, v24, v19
	v_fmac_f32_e32 v161, v14, v9
	s_delay_alu instid0(VALU_DEP_2) | instskip(NEXT) | instid1(VALU_DEP_1)
	v_add_f32_e32 v1, v27, v158
	v_add_f32_e32 v1, v1, v2
	;; [unrolled: 1-line block ×3, first 2 shown]
	v_fma_f32 v5, v13, v9, -v6
	s_delay_alu instid0(VALU_DEP_2) | instskip(SKIP_1) | instid1(VALU_DEP_2)
	v_dual_add_f32 v1, v1, v3 :: v_dual_add_f32 v2, v2, v160
	v_mul_f32_e32 v3, v22, v18
	v_add_f32_e32 v1, v1, v5
	s_delay_alu instid0(VALU_DEP_3) | instskip(NEXT) | instid1(VALU_DEP_3)
	v_dual_add_f32 v2, v2, v161 :: v_dual_mul_f32 v5, v24, v20
	v_fma_f32 v3, v21, v17, -v3
	s_delay_alu instid0(VALU_DEP_2) | instskip(NEXT) | instid1(VALU_DEP_3)
	v_dual_add_f32 v1, v1, v4 :: v_dual_add_f32 v2, v2, v163
	v_fma_f32 v4, v23, v19, -v5
	s_delay_alu instid0(VALU_DEP_2) | instskip(NEXT) | instid1(VALU_DEP_1)
	v_dual_add_f32 v1, v1, v3 :: v_dual_add_f32 v2, v2, v26
	v_add_f32_e32 v1, v1, v4
	s_delay_alu instid0(VALU_DEP_2) | instskip(NEXT) | instid1(VALU_DEP_1)
	v_add_f32_e32 v2, v2, v28
	v_dual_sub_f32 v1, v30, v1 :: v_dual_sub_f32 v2, v31, v2
	scratch_store_b64 off, v[1:2], off offset:184
	v_cmpx_lt_u32_e32 22, v0
	s_cbranch_execz .LBB125_341
; %bb.340:
	scratch_load_b64 v[1:2], off, off offset:176
	v_mov_b32_e32 v3, 0
	s_delay_alu instid0(VALU_DEP_1)
	v_mov_b32_e32 v4, v3
	scratch_store_b64 off, v[3:4], off offset:176
	s_wait_loadcnt 0x0
	ds_store_b64 v159, v[1:2]
.LBB125_341:
	s_wait_alu 0xfffe
	s_or_b32 exec_lo, exec_lo, s0
	s_wait_storecnt_dscnt 0x0
	s_barrier_signal -1
	s_barrier_wait -1
	global_inv scope:SCOPE_SE
	s_clause 0x4
	scratch_load_b128 v[5:8], off, off offset:184
	scratch_load_b128 v[1:4], off, off offset:200
	scratch_load_b128 v[9:12], off, off offset:216
	scratch_load_b128 v[13:16], off, off offset:232
	scratch_load_b128 v[17:20], off, off offset:248
	v_mov_b32_e32 v21, 0
	ds_load_2addr_b64 v[22:25], v21 offset0:85 offset1:86
	ds_load_2addr_b64 v[26:29], v21 offset0:87 offset1:88
	;; [unrolled: 1-line block ×3, first 2 shown]
	scratch_load_b64 v[30:31], off, off offset:176
	s_mov_b32 s0, exec_lo
	s_wait_loadcnt_dscnt 0x502
	v_mul_f32_e32 v32, v23, v6
	v_dual_mul_f32 v157, v22, v6 :: v_dual_mul_f32 v158, v24, v8
	v_mul_f32_e32 v6, v25, v8
	s_wait_loadcnt_dscnt 0x300
	v_mul_f32_e32 v164, v162, v12
	v_fma_f32 v22, v22, v5, -v32
	v_dual_fmac_f32 v157, v23, v5 :: v_dual_fmac_f32 v158, v25, v7
	v_mul_f32_e32 v25, v28, v4
	v_fma_f32 v23, v24, v7, -v6
	ds_load_2addr_b64 v[5:8], v21 offset0:91 offset1:92
	v_mul_f32_e32 v24, v26, v2
	v_mul_f32_e32 v4, v29, v4
	v_mul_f32_e32 v32, v160, v10
	v_mul_f32_e32 v10, v161, v10
	v_mul_f32_e32 v12, v163, v12
	v_dual_mul_f32 v2, v27, v2 :: v_dual_fmac_f32 v25, v29, v3
	v_fmac_f32_e32 v24, v27, v1
	v_fma_f32 v27, v28, v3, -v4
	v_fmac_f32_e32 v32, v161, v9
	v_fma_f32 v28, v160, v9, -v10
	;; [unrolled: 2-line block ×3, first 2 shown]
	ds_load_2addr_b64 v[9:12], v21 offset0:93 offset1:94
	s_wait_loadcnt_dscnt 0x201
	v_dual_mul_f32 v161, v7, v16 :: v_dual_mul_f32 v160, v5, v14
	v_mul_f32_e32 v14, v6, v14
	v_mul_f32_e32 v16, v8, v16
	s_delay_alu instid0(VALU_DEP_3)
	v_fmac_f32_e32 v161, v8, v15
	v_fma_f32 v26, v26, v1, -v2
	scratch_load_b128 v[1:4], off, off offset:264
	v_fmac_f32_e32 v160, v6, v13
	v_fma_f32 v13, v5, v13, -v14
	v_fma_f32 v14, v7, v15, -v16
	ds_load_2addr_b64 v[5:8], v21 offset0:95 offset1:96
	s_wait_loadcnt_dscnt 0x201
	v_mul_f32_e32 v15, v9, v18
	v_mul_f32_e32 v16, v10, v18
	;; [unrolled: 1-line block ×3, first 2 shown]
	s_delay_alu instid0(VALU_DEP_3) | instskip(NEXT) | instid1(VALU_DEP_3)
	v_dual_mul_f32 v20, v12, v20 :: v_dual_fmac_f32 v15, v10, v17
	v_fma_f32 v16, v9, v17, -v16
	s_delay_alu instid0(VALU_DEP_3) | instskip(NEXT) | instid1(VALU_DEP_3)
	v_fmac_f32_e32 v18, v12, v19
	v_fma_f32 v17, v11, v19, -v20
	scratch_load_b128 v[9:12], off, off offset:280
	s_wait_loadcnt_dscnt 0x100
	v_mul_f32_e32 v19, v5, v2
	v_mul_f32_e32 v2, v6, v2
	;; [unrolled: 1-line block ×3, first 2 shown]
	s_delay_alu instid0(VALU_DEP_3) | instskip(NEXT) | instid1(VALU_DEP_3)
	v_dual_mul_f32 v4, v8, v4 :: v_dual_fmac_f32 v19, v6, v1
	v_fma_f32 v162, v5, v1, -v2
	s_delay_alu instid0(VALU_DEP_3) | instskip(NEXT) | instid1(VALU_DEP_3)
	v_fmac_f32_e32 v20, v8, v3
	v_fma_f32 v163, v7, v3, -v4
	ds_load_2addr_b64 v[1:4], v21 offset0:97 offset1:98
	ds_load_2addr_b64 v[5:8], v21 offset0:99 offset1:100
	s_wait_loadcnt_dscnt 0x1
	v_mul_f32_e32 v165, v1, v10
	v_mul_f32_e32 v10, v2, v10
	s_delay_alu instid0(VALU_DEP_2) | instskip(NEXT) | instid1(VALU_DEP_2)
	v_dual_mul_f32 v166, v3, v12 :: v_dual_fmac_f32 v165, v2, v9
	v_fma_f32 v167, v1, v9, -v10
	v_mul_f32_e32 v1, v4, v12
	s_delay_alu instid0(VALU_DEP_3) | instskip(NEXT) | instid1(VALU_DEP_2)
	v_fmac_f32_e32 v166, v4, v11
	v_fma_f32 v168, v3, v11, -v1
	s_clause 0x1
	scratch_load_b128 v[1:4], off, off offset:296
	scratch_load_b128 v[9:12], off, off offset:312
	s_wait_loadcnt_dscnt 0x100
	v_mul_f32_e32 v169, v5, v2
	v_dual_mul_f32 v2, v6, v2 :: v_dual_mul_f32 v171, v7, v4
	s_delay_alu instid0(VALU_DEP_2) | instskip(NEXT) | instid1(VALU_DEP_2)
	v_fmac_f32_e32 v169, v6, v1
	v_fma_f32 v170, v5, v1, -v2
	v_mul_f32_e32 v1, v8, v4
	s_delay_alu instid0(VALU_DEP_4) | instskip(NEXT) | instid1(VALU_DEP_2)
	v_fmac_f32_e32 v171, v8, v3
	v_fma_f32 v172, v7, v3, -v1
	ds_load_2addr_b64 v[1:4], v21 offset0:101 offset1:102
	ds_load_2addr_b64 v[5:8], v21 offset0:103 offset1:104
	s_wait_loadcnt_dscnt 0x1
	v_mul_f32_e32 v173, v1, v10
	v_mul_f32_e32 v175, v3, v12
	s_delay_alu instid0(VALU_DEP_2) | instskip(NEXT) | instid1(VALU_DEP_2)
	v_fmac_f32_e32 v173, v2, v9
	v_dual_mul_f32 v2, v2, v10 :: v_dual_fmac_f32 v175, v4, v11
	s_delay_alu instid0(VALU_DEP_1) | instskip(SKIP_1) | instid1(VALU_DEP_1)
	v_fma_f32 v174, v1, v9, -v2
	v_mul_f32_e32 v1, v4, v12
	v_fma_f32 v176, v3, v11, -v1
	s_clause 0x1
	scratch_load_b128 v[1:4], off, off offset:328
	scratch_load_b128 v[9:12], off, off offset:344
	s_wait_loadcnt_dscnt 0x100
	v_mul_f32_e32 v177, v5, v2
	v_dual_mul_f32 v2, v6, v2 :: v_dual_mul_f32 v179, v7, v4
	s_delay_alu instid0(VALU_DEP_2) | instskip(NEXT) | instid1(VALU_DEP_2)
	v_fmac_f32_e32 v177, v6, v1
	v_fma_f32 v178, v5, v1, -v2
	v_mul_f32_e32 v1, v8, v4
	s_delay_alu instid0(VALU_DEP_4) | instskip(NEXT) | instid1(VALU_DEP_2)
	v_fmac_f32_e32 v179, v8, v3
	v_fma_f32 v180, v7, v3, -v1
	ds_load_2addr_b64 v[1:4], v21 offset0:105 offset1:106
	ds_load_2addr_b64 v[5:8], v21 offset0:107 offset1:108
	s_wait_loadcnt_dscnt 0x1
	v_mul_f32_e32 v181, v1, v10
	v_mul_f32_e32 v183, v3, v12
	s_delay_alu instid0(VALU_DEP_2) | instskip(NEXT) | instid1(VALU_DEP_2)
	v_fmac_f32_e32 v181, v2, v9
	v_dual_mul_f32 v2, v2, v10 :: v_dual_fmac_f32 v183, v4, v11
	s_delay_alu instid0(VALU_DEP_1) | instskip(SKIP_1) | instid1(VALU_DEP_1)
	v_fma_f32 v182, v1, v9, -v2
	v_mul_f32_e32 v1, v4, v12
	;; [unrolled: 25-line block ×3, first 2 shown]
	v_fma_f32 v192, v3, v11, -v1
	s_clause 0x1
	scratch_load_b128 v[1:4], off, off offset:392
	scratch_load_b128 v[9:12], off, off offset:408
	s_wait_loadcnt_dscnt 0x100
	v_mul_f32_e32 v193, v5, v2
	v_mul_f32_e32 v2, v6, v2
	s_delay_alu instid0(VALU_DEP_1) | instskip(SKIP_1) | instid1(VALU_DEP_1)
	v_fma_f32 v194, v5, v1, -v2
	v_add_f32_e32 v2, 0, v157
	v_add_f32_e32 v2, v2, v158
	s_delay_alu instid0(VALU_DEP_1) | instskip(NEXT) | instid1(VALU_DEP_1)
	v_add_f32_e32 v2, v2, v24
	v_add_f32_e32 v2, v2, v25
	s_delay_alu instid0(VALU_DEP_1) | instskip(SKIP_1) | instid1(VALU_DEP_2)
	v_add_f32_e32 v2, v2, v32
	v_fmac_f32_e32 v193, v6, v1
	v_add_f32_e32 v2, v2, v164
	s_delay_alu instid0(VALU_DEP_1) | instskip(NEXT) | instid1(VALU_DEP_1)
	v_add_f32_e32 v2, v2, v160
	v_dual_add_f32 v2, v2, v161 :: v_dual_mul_f32 v195, v7, v4
	s_delay_alu instid0(VALU_DEP_1) | instskip(NEXT) | instid1(VALU_DEP_1)
	v_add_f32_e32 v2, v2, v15
	v_dual_fmac_f32 v195, v8, v3 :: v_dual_add_f32 v2, v2, v18
	s_delay_alu instid0(VALU_DEP_1) | instskip(NEXT) | instid1(VALU_DEP_1)
	v_dual_mul_f32 v1, v8, v4 :: v_dual_add_f32 v2, v2, v19
	v_fma_f32 v196, v7, v3, -v1
	s_delay_alu instid0(VALU_DEP_2) | instskip(NEXT) | instid1(VALU_DEP_1)
	v_dual_add_f32 v1, 0, v22 :: v_dual_add_f32 v2, v2, v20
	v_dual_add_f32 v1, v1, v23 :: v_dual_add_f32 v2, v2, v165
	s_delay_alu instid0(VALU_DEP_1) | instskip(NEXT) | instid1(VALU_DEP_2)
	v_add_f32_e32 v1, v1, v26
	v_add_f32_e32 v5, v2, v166
	s_delay_alu instid0(VALU_DEP_2) | instskip(SKIP_2) | instid1(VALU_DEP_1)
	v_add_f32_e32 v1, v1, v27
	scratch_load_b64 v[26:27], off, off offset:488
	v_add_f32_e32 v1, v1, v28
	v_add_f32_e32 v1, v1, v29
	s_delay_alu instid0(VALU_DEP_1) | instskip(SKIP_1) | instid1(VALU_DEP_2)
	v_add_f32_e32 v1, v1, v13
	v_add_f32_e32 v13, v5, v169
	;; [unrolled: 1-line block ×3, first 2 shown]
	s_delay_alu instid0(VALU_DEP_2) | instskip(NEXT) | instid1(VALU_DEP_1)
	v_add_f32_e32 v13, v13, v171
	v_add_f32_e32 v13, v13, v173
	s_delay_alu instid0(VALU_DEP_1) | instskip(NEXT) | instid1(VALU_DEP_1)
	v_add_f32_e32 v18, v13, v175
	v_dual_add_f32 v1, v1, v16 :: v_dual_add_f32 v18, v18, v177
	s_delay_alu instid0(VALU_DEP_1) | instskip(NEXT) | instid1(VALU_DEP_1)
	v_dual_add_f32 v1, v1, v17 :: v_dual_add_f32 v18, v18, v179
	v_add_f32_e32 v1, v1, v162
	s_delay_alu instid0(VALU_DEP_1) | instskip(NEXT) | instid1(VALU_DEP_1)
	v_add_f32_e32 v1, v1, v163
	v_add_f32_e32 v1, v1, v167
	s_delay_alu instid0(VALU_DEP_1) | instskip(NEXT) | instid1(VALU_DEP_1)
	v_add_f32_e32 v1, v1, v168
	v_add_f32_e32 v6, v1, v170
	scratch_load_b128 v[1:4], off, off offset:424
	v_add_f32_e32 v22, v18, v181
	v_add_f32_e32 v14, v6, v172
	ds_load_2addr_b64 v[5:8], v21 offset0:113 offset1:114
	v_add_f32_e32 v22, v22, v183
	v_add_f32_e32 v14, v14, v174
	s_delay_alu instid0(VALU_DEP_2) | instskip(NEXT) | instid1(VALU_DEP_2)
	v_add_f32_e32 v22, v22, v185
	v_add_f32_e32 v17, v14, v176
	ds_load_2addr_b64 v[13:16], v21 offset0:115 offset1:116
	v_add_f32_e32 v22, v22, v187
	s_wait_loadcnt_dscnt 0x201
	v_mul_f32_e32 v32, v5, v10
	v_dual_mul_f32 v10, v6, v10 :: v_dual_mul_f32 v157, v7, v12
	v_mul_f32_e32 v12, v8, v12
	s_delay_alu instid0(VALU_DEP_3) | instskip(NEXT) | instid1(VALU_DEP_3)
	v_fmac_f32_e32 v32, v6, v9
	v_fma_f32 v158, v5, v9, -v10
	s_delay_alu instid0(VALU_DEP_4) | instskip(NEXT) | instid1(VALU_DEP_4)
	v_fmac_f32_e32 v157, v8, v11
	v_fma_f32 v160, v7, v11, -v12
	s_clause 0x1
	scratch_load_b128 v[5:8], off, off offset:440
	scratch_load_b128 v[9:12], off, off offset:456
	s_wait_loadcnt_dscnt 0x200
	v_mul_f32_e32 v161, v13, v2
	v_mul_f32_e32 v2, v14, v2
	;; [unrolled: 1-line block ×4, first 2 shown]
	s_delay_alu instid0(VALU_DEP_3) | instskip(NEXT) | instid1(VALU_DEP_3)
	v_fma_f32 v163, v13, v1, -v2
	v_dual_add_f32 v13, v22, v189 :: v_dual_fmac_f32 v162, v16, v3
	s_delay_alu instid0(VALU_DEP_3) | instskip(NEXT) | instid1(VALU_DEP_2)
	v_fma_f32 v164, v15, v3, -v4
	v_add_f32_e32 v22, v13, v191
	v_add_f32_e32 v17, v17, v178
	s_delay_alu instid0(VALU_DEP_2) | instskip(SKIP_4) | instid1(VALU_DEP_1)
	v_add_f32_e32 v29, v22, v193
	v_fmac_f32_e32 v161, v14, v1
	ds_load_2addr_b64 v[1:4], v21 offset0:117 offset1:118
	v_add_f32_e32 v17, v17, v180
	v_add_f32_e32 v166, v29, v195
	v_dual_add_f32 v17, v17, v182 :: v_dual_add_f32 v32, v166, v32
	s_delay_alu instid0(VALU_DEP_1) | instskip(SKIP_2) | instid1(VALU_DEP_1)
	v_add_f32_e32 v23, v17, v184
	scratch_load_b128 v[17:20], off, off offset:472
	v_add_f32_e32 v23, v23, v186
	v_add_f32_e32 v23, v23, v188
	s_delay_alu instid0(VALU_DEP_1) | instskip(NEXT) | instid1(VALU_DEP_1)
	v_add_f32_e32 v23, v23, v190
	v_add_f32_e32 v14, v23, v192
	ds_load_2addr_b64 v[22:25], v21 offset0:121 offset1:122
	v_add_f32_e32 v28, v14, v194
	ds_load_2addr_b64 v[13:16], v21 offset0:119 offset1:120
	v_add_f32_e32 v165, v28, v196
	ds_load_b64 v[28:29], v21 offset:984
	v_add_f32_e32 v158, v165, v158
	v_add_f32_e32 v32, v32, v157
	s_delay_alu instid0(VALU_DEP_2) | instskip(SKIP_1) | instid1(VALU_DEP_2)
	v_add_f32_e32 v158, v158, v160
	s_wait_loadcnt_dscnt 0x203
	v_dual_add_f32 v32, v32, v161 :: v_dual_mul_f32 v157, v3, v8
	v_mul_f32_e32 v8, v4, v8
	s_delay_alu instid0(VALU_DEP_3)
	v_dual_add_f32 v158, v158, v163 :: v_dual_mul_f32 v165, v1, v6
	v_mul_f32_e32 v6, v2, v6
	s_wait_loadcnt_dscnt 0x101
	v_mul_f32_e32 v160, v13, v10
	v_add_f32_e32 v32, v32, v162
	v_add_f32_e32 v158, v158, v164
	v_fmac_f32_e32 v165, v2, v5
	v_fma_f32 v1, v1, v5, -v6
	v_fma_f32 v2, v3, v7, -v8
	v_dual_fmac_f32 v160, v14, v9 :: v_dual_fmac_f32 v157, v4, v7
	s_wait_dscnt 0x0
	v_dual_mul_f32 v161, v15, v12 :: v_dual_mul_f32 v162, v28, v27
	v_dual_add_f32 v4, v32, v165 :: v_dual_mul_f32 v3, v14, v10
	s_delay_alu instid0(VALU_DEP_2) | instskip(SKIP_3) | instid1(VALU_DEP_2)
	v_dual_fmac_f32 v161, v16, v11 :: v_dual_fmac_f32 v162, v29, v26
	s_wait_loadcnt 0x0
	v_dual_mul_f32 v163, v22, v18 :: v_dual_mul_f32 v164, v24, v20
	v_add_f32_e32 v1, v158, v1
	v_dual_fmac_f32 v163, v23, v17 :: v_dual_fmac_f32 v164, v25, v19
	s_delay_alu instid0(VALU_DEP_2) | instskip(SKIP_2) | instid1(VALU_DEP_3)
	v_dual_add_f32 v1, v1, v2 :: v_dual_add_f32 v2, v4, v157
	v_fma_f32 v3, v13, v9, -v3
	v_mul_f32_e32 v4, v23, v18
	v_add_f32_e32 v2, v2, v160
	v_mul_f32_e32 v5, v16, v12
	s_delay_alu instid0(VALU_DEP_3) | instskip(NEXT) | instid1(VALU_DEP_3)
	v_fma_f32 v4, v22, v17, -v4
	v_add_f32_e32 v2, v2, v161
	s_delay_alu instid0(VALU_DEP_3) | instskip(NEXT) | instid1(VALU_DEP_2)
	v_fma_f32 v5, v15, v11, -v5
	v_add_f32_e32 v2, v2, v163
	s_delay_alu instid0(VALU_DEP_1) | instskip(NEXT) | instid1(VALU_DEP_1)
	v_dual_add_f32 v1, v1, v3 :: v_dual_add_f32 v2, v2, v164
	v_dual_mul_f32 v3, v25, v20 :: v_dual_add_f32 v2, v2, v162
	s_delay_alu instid0(VALU_DEP_2) | instskip(SKIP_1) | instid1(VALU_DEP_3)
	v_add_f32_e32 v1, v1, v5
	v_mul_f32_e32 v5, v29, v27
	v_fma_f32 v3, v24, v19, -v3
	s_delay_alu instid0(VALU_DEP_3) | instskip(NEXT) | instid1(VALU_DEP_3)
	v_dual_sub_f32 v2, v31, v2 :: v_dual_add_f32 v1, v1, v4
	v_fma_f32 v4, v28, v26, -v5
	s_delay_alu instid0(VALU_DEP_2) | instskip(NEXT) | instid1(VALU_DEP_1)
	v_add_f32_e32 v1, v1, v3
	v_add_f32_e32 v1, v1, v4
	s_delay_alu instid0(VALU_DEP_1)
	v_sub_f32_e32 v1, v30, v1
	scratch_store_b64 off, v[1:2], off offset:176
	v_cmpx_lt_u32_e32 21, v0
	s_cbranch_execz .LBB125_343
; %bb.342:
	scratch_load_b64 v[1:2], off, off offset:168
	v_mov_b32_e32 v22, v21
	scratch_store_b64 off, v[21:22], off offset:168
	s_wait_loadcnt 0x0
	ds_store_b64 v159, v[1:2]
.LBB125_343:
	s_wait_alu 0xfffe
	s_or_b32 exec_lo, exec_lo, s0
	s_wait_storecnt_dscnt 0x0
	s_barrier_signal -1
	s_barrier_wait -1
	global_inv scope:SCOPE_SE
	s_clause 0x4
	scratch_load_b128 v[5:8], off, off offset:176
	scratch_load_b128 v[1:4], off, off offset:192
	;; [unrolled: 1-line block ×5, first 2 shown]
	ds_load_b128 v[22:25], v21 offset:672
	ds_load_b128 v[26:29], v21 offset:688
	;; [unrolled: 1-line block ×3, first 2 shown]
	scratch_load_b64 v[30:31], off, off offset:168
	s_mov_b32 s0, exec_lo
	s_wait_loadcnt_dscnt 0x502
	v_mul_f32_e32 v32, v23, v6
	v_dual_mul_f32 v157, v22, v6 :: v_dual_mul_f32 v158, v24, v8
	v_mul_f32_e32 v6, v25, v8
	s_wait_loadcnt_dscnt 0x300
	v_mul_f32_e32 v164, v162, v12
	v_mul_f32_e32 v12, v163, v12
	v_dual_fmac_f32 v157, v23, v5 :: v_dual_fmac_f32 v158, v25, v7
	v_fma_f32 v23, v24, v7, -v6
	v_mul_f32_e32 v25, v28, v4
	v_fma_f32 v22, v22, v5, -v32
	ds_load_b128 v[5:8], v21 offset:720
	v_mul_f32_e32 v24, v26, v2
	v_mul_f32_e32 v4, v29, v4
	;; [unrolled: 1-line block ×4, first 2 shown]
	v_dual_mul_f32 v2, v27, v2 :: v_dual_fmac_f32 v25, v29, v3
	v_fmac_f32_e32 v24, v27, v1
	v_fma_f32 v27, v28, v3, -v4
	v_fmac_f32_e32 v32, v161, v9
	v_fma_f32 v28, v160, v9, -v10
	;; [unrolled: 2-line block ×3, first 2 shown]
	ds_load_b128 v[9:12], v21 offset:736
	s_wait_loadcnt_dscnt 0x201
	v_dual_mul_f32 v161, v7, v16 :: v_dual_mul_f32 v160, v5, v14
	v_mul_f32_e32 v14, v6, v14
	v_mul_f32_e32 v16, v8, v16
	s_delay_alu instid0(VALU_DEP_3)
	v_fmac_f32_e32 v161, v8, v15
	v_fma_f32 v26, v26, v1, -v2
	scratch_load_b128 v[1:4], off, off offset:256
	v_fmac_f32_e32 v160, v6, v13
	v_fma_f32 v13, v5, v13, -v14
	v_fma_f32 v14, v7, v15, -v16
	ds_load_b128 v[5:8], v21 offset:752
	s_wait_loadcnt_dscnt 0x201
	v_mul_f32_e32 v15, v9, v18
	v_mul_f32_e32 v16, v10, v18
	;; [unrolled: 1-line block ×3, first 2 shown]
	s_delay_alu instid0(VALU_DEP_3) | instskip(NEXT) | instid1(VALU_DEP_3)
	v_dual_mul_f32 v20, v12, v20 :: v_dual_fmac_f32 v15, v10, v17
	v_fma_f32 v16, v9, v17, -v16
	s_delay_alu instid0(VALU_DEP_3) | instskip(NEXT) | instid1(VALU_DEP_3)
	v_fmac_f32_e32 v18, v12, v19
	v_fma_f32 v17, v11, v19, -v20
	scratch_load_b128 v[9:12], off, off offset:272
	s_wait_loadcnt_dscnt 0x100
	v_mul_f32_e32 v19, v5, v2
	v_mul_f32_e32 v2, v6, v2
	;; [unrolled: 1-line block ×3, first 2 shown]
	s_delay_alu instid0(VALU_DEP_3) | instskip(NEXT) | instid1(VALU_DEP_3)
	v_dual_mul_f32 v4, v8, v4 :: v_dual_fmac_f32 v19, v6, v1
	v_fma_f32 v162, v5, v1, -v2
	s_delay_alu instid0(VALU_DEP_3) | instskip(NEXT) | instid1(VALU_DEP_3)
	v_fmac_f32_e32 v20, v8, v3
	v_fma_f32 v163, v7, v3, -v4
	ds_load_b128 v[1:4], v21 offset:768
	ds_load_b128 v[5:8], v21 offset:784
	s_wait_loadcnt_dscnt 0x1
	v_mul_f32_e32 v165, v1, v10
	v_mul_f32_e32 v10, v2, v10
	s_delay_alu instid0(VALU_DEP_2) | instskip(NEXT) | instid1(VALU_DEP_2)
	v_dual_mul_f32 v166, v3, v12 :: v_dual_fmac_f32 v165, v2, v9
	v_fma_f32 v167, v1, v9, -v10
	v_mul_f32_e32 v1, v4, v12
	s_delay_alu instid0(VALU_DEP_3) | instskip(NEXT) | instid1(VALU_DEP_2)
	v_fmac_f32_e32 v166, v4, v11
	v_fma_f32 v168, v3, v11, -v1
	s_clause 0x1
	scratch_load_b128 v[1:4], off, off offset:288
	scratch_load_b128 v[9:12], off, off offset:304
	s_wait_loadcnt_dscnt 0x100
	v_mul_f32_e32 v169, v5, v2
	v_dual_mul_f32 v2, v6, v2 :: v_dual_mul_f32 v171, v7, v4
	s_delay_alu instid0(VALU_DEP_2) | instskip(NEXT) | instid1(VALU_DEP_2)
	v_fmac_f32_e32 v169, v6, v1
	v_fma_f32 v170, v5, v1, -v2
	v_mul_f32_e32 v1, v8, v4
	s_delay_alu instid0(VALU_DEP_4) | instskip(NEXT) | instid1(VALU_DEP_2)
	v_fmac_f32_e32 v171, v8, v3
	v_fma_f32 v172, v7, v3, -v1
	ds_load_b128 v[1:4], v21 offset:800
	ds_load_b128 v[5:8], v21 offset:816
	s_wait_loadcnt_dscnt 0x1
	v_mul_f32_e32 v173, v1, v10
	v_mul_f32_e32 v175, v3, v12
	s_delay_alu instid0(VALU_DEP_2) | instskip(NEXT) | instid1(VALU_DEP_2)
	v_fmac_f32_e32 v173, v2, v9
	v_dual_mul_f32 v2, v2, v10 :: v_dual_fmac_f32 v175, v4, v11
	s_delay_alu instid0(VALU_DEP_1) | instskip(SKIP_1) | instid1(VALU_DEP_1)
	v_fma_f32 v174, v1, v9, -v2
	v_mul_f32_e32 v1, v4, v12
	v_fma_f32 v176, v3, v11, -v1
	s_clause 0x1
	scratch_load_b128 v[1:4], off, off offset:320
	scratch_load_b128 v[9:12], off, off offset:336
	s_wait_loadcnt_dscnt 0x100
	v_mul_f32_e32 v177, v5, v2
	v_dual_mul_f32 v2, v6, v2 :: v_dual_mul_f32 v179, v7, v4
	s_delay_alu instid0(VALU_DEP_2) | instskip(NEXT) | instid1(VALU_DEP_2)
	v_fmac_f32_e32 v177, v6, v1
	v_fma_f32 v178, v5, v1, -v2
	v_mul_f32_e32 v1, v8, v4
	s_delay_alu instid0(VALU_DEP_4) | instskip(NEXT) | instid1(VALU_DEP_2)
	v_fmac_f32_e32 v179, v8, v3
	v_fma_f32 v180, v7, v3, -v1
	ds_load_b128 v[1:4], v21 offset:832
	ds_load_b128 v[5:8], v21 offset:848
	s_wait_loadcnt_dscnt 0x1
	v_mul_f32_e32 v181, v1, v10
	v_mul_f32_e32 v183, v3, v12
	s_delay_alu instid0(VALU_DEP_2) | instskip(NEXT) | instid1(VALU_DEP_2)
	v_fmac_f32_e32 v181, v2, v9
	v_dual_mul_f32 v2, v2, v10 :: v_dual_fmac_f32 v183, v4, v11
	s_delay_alu instid0(VALU_DEP_1) | instskip(SKIP_1) | instid1(VALU_DEP_1)
	v_fma_f32 v182, v1, v9, -v2
	v_mul_f32_e32 v1, v4, v12
	v_fma_f32 v184, v3, v11, -v1
	s_clause 0x1
	scratch_load_b128 v[1:4], off, off offset:352
	scratch_load_b128 v[9:12], off, off offset:368
	s_wait_loadcnt_dscnt 0x100
	v_mul_f32_e32 v185, v5, v2
	v_dual_mul_f32 v2, v6, v2 :: v_dual_mul_f32 v187, v7, v4
	s_delay_alu instid0(VALU_DEP_2) | instskip(NEXT) | instid1(VALU_DEP_2)
	v_fmac_f32_e32 v185, v6, v1
	v_fma_f32 v186, v5, v1, -v2
	v_mul_f32_e32 v1, v8, v4
	s_delay_alu instid0(VALU_DEP_4) | instskip(NEXT) | instid1(VALU_DEP_2)
	v_fmac_f32_e32 v187, v8, v3
	v_fma_f32 v188, v7, v3, -v1
	ds_load_b128 v[1:4], v21 offset:864
	ds_load_b128 v[5:8], v21 offset:880
	s_wait_loadcnt_dscnt 0x1
	v_mul_f32_e32 v189, v1, v10
	v_mul_f32_e32 v191, v3, v12
	s_delay_alu instid0(VALU_DEP_2) | instskip(NEXT) | instid1(VALU_DEP_2)
	v_fmac_f32_e32 v189, v2, v9
	v_dual_mul_f32 v2, v2, v10 :: v_dual_fmac_f32 v191, v4, v11
	s_delay_alu instid0(VALU_DEP_1) | instskip(SKIP_1) | instid1(VALU_DEP_1)
	v_fma_f32 v190, v1, v9, -v2
	v_mul_f32_e32 v1, v4, v12
	v_fma_f32 v192, v3, v11, -v1
	s_clause 0x1
	scratch_load_b128 v[1:4], off, off offset:384
	scratch_load_b128 v[9:12], off, off offset:400
	s_wait_loadcnt_dscnt 0x100
	v_mul_f32_e32 v193, v5, v2
	v_dual_mul_f32 v2, v6, v2 :: v_dual_mul_f32 v195, v7, v4
	s_delay_alu instid0(VALU_DEP_2) | instskip(NEXT) | instid1(VALU_DEP_2)
	v_fmac_f32_e32 v193, v6, v1
	v_fma_f32 v194, v5, v1, -v2
	v_mul_f32_e32 v1, v8, v4
	s_delay_alu instid0(VALU_DEP_4) | instskip(NEXT) | instid1(VALU_DEP_2)
	v_fmac_f32_e32 v195, v8, v3
	v_fma_f32 v196, v7, v3, -v1
	ds_load_b128 v[1:4], v21 offset:896
	ds_load_b128 v[5:8], v21 offset:912
	s_wait_loadcnt_dscnt 0x1
	v_mul_f32_e32 v197, v1, v10
	v_mul_f32_e32 v199, v3, v12
	s_delay_alu instid0(VALU_DEP_2) | instskip(NEXT) | instid1(VALU_DEP_2)
	v_fmac_f32_e32 v197, v2, v9
	v_dual_mul_f32 v2, v2, v10 :: v_dual_fmac_f32 v199, v4, v11
	s_delay_alu instid0(VALU_DEP_1) | instskip(SKIP_1) | instid1(VALU_DEP_1)
	v_fma_f32 v198, v1, v9, -v2
	v_mul_f32_e32 v1, v4, v12
	v_fma_f32 v200, v3, v11, -v1
	s_clause 0x1
	scratch_load_b128 v[1:4], off, off offset:416
	scratch_load_b128 v[9:12], off, off offset:432
	s_wait_loadcnt_dscnt 0x100
	v_mul_f32_e32 v201, v5, v2
	v_mul_f32_e32 v2, v6, v2
	s_delay_alu instid0(VALU_DEP_1) | instskip(SKIP_1) | instid1(VALU_DEP_1)
	v_fma_f32 v202, v5, v1, -v2
	v_add_f32_e32 v2, 0, v157
	v_add_f32_e32 v2, v2, v158
	s_delay_alu instid0(VALU_DEP_1) | instskip(NEXT) | instid1(VALU_DEP_1)
	v_add_f32_e32 v2, v2, v24
	v_add_f32_e32 v2, v2, v25
	s_delay_alu instid0(VALU_DEP_1) | instskip(NEXT) | instid1(VALU_DEP_1)
	;; [unrolled: 3-line block ×5, first 2 shown]
	v_add_f32_e32 v2, v2, v19
	v_add_f32_e32 v2, v2, v20
	v_mul_f32_e32 v203, v7, v4
	v_fmac_f32_e32 v201, v6, v1
	s_delay_alu instid0(VALU_DEP_2) | instskip(NEXT) | instid1(VALU_DEP_1)
	v_dual_add_f32 v2, v2, v165 :: v_dual_fmac_f32 v203, v8, v3
	v_dual_add_f32 v2, v2, v166 :: v_dual_mul_f32 v1, v8, v4
	s_delay_alu instid0(VALU_DEP_1) | instskip(NEXT) | instid1(VALU_DEP_2)
	v_add_f32_e32 v2, v2, v169
	v_fma_f32 v204, v7, v3, -v1
	s_delay_alu instid0(VALU_DEP_2) | instskip(NEXT) | instid1(VALU_DEP_1)
	v_dual_add_f32 v1, 0, v22 :: v_dual_add_f32 v2, v2, v171
	v_add_f32_e32 v1, v1, v23
	s_delay_alu instid0(VALU_DEP_1) | instskip(NEXT) | instid1(VALU_DEP_1)
	v_add_f32_e32 v1, v1, v26
	v_add_f32_e32 v1, v1, v27
	s_delay_alu instid0(VALU_DEP_1) | instskip(NEXT) | instid1(VALU_DEP_1)
	v_add_f32_e32 v1, v1, v28
	;; [unrolled: 3-line block ×10, first 2 shown]
	v_add_f32_e32 v13, v13, v184
	s_delay_alu instid0(VALU_DEP_1) | instskip(SKIP_3) | instid1(VALU_DEP_1)
	v_add_f32_e32 v13, v13, v186
	v_add_f32_e32 v5, v2, v173
	ds_load_b128 v[1:4], v21 offset:928
	v_add_f32_e32 v18, v13, v188
	v_dual_add_f32 v5, v5, v175 :: v_dual_add_f32 v18, v18, v190
	s_delay_alu instid0(VALU_DEP_1) | instskip(NEXT) | instid1(VALU_DEP_1)
	v_dual_add_f32 v5, v5, v177 :: v_dual_add_f32 v18, v18, v192
	v_add_f32_e32 v14, v5, v179
	ds_load_b128 v[5:8], v21 offset:944
	v_add_f32_e32 v22, v18, v194
	s_wait_loadcnt_dscnt 0x1
	v_dual_add_f32 v14, v14, v181 :: v_dual_mul_f32 v25, v1, v10
	v_mul_f32_e32 v26, v3, v12
	v_mul_f32_e32 v10, v2, v10
	;; [unrolled: 1-line block ×3, first 2 shown]
	s_delay_alu instid0(VALU_DEP_4) | instskip(NEXT) | instid1(VALU_DEP_4)
	v_add_f32_e32 v14, v14, v183
	v_dual_add_f32 v29, v22, v196 :: v_dual_fmac_f32 v26, v4, v11
	s_delay_alu instid0(VALU_DEP_4) | instskip(NEXT) | instid1(VALU_DEP_4)
	v_fma_f32 v27, v1, v9, -v10
	v_fma_f32 v28, v3, v11, -v12
	s_delay_alu instid0(VALU_DEP_4) | instskip(SKIP_3) | instid1(VALU_DEP_2)
	v_add_f32_e32 v17, v14, v185
	scratch_load_b128 v[13:16], off, off offset:480
	v_add_f32_e32 v29, v29, v198
	v_add_f32_e32 v17, v17, v187
	;; [unrolled: 1-line block ×3, first 2 shown]
	s_delay_alu instid0(VALU_DEP_2) | instskip(NEXT) | instid1(VALU_DEP_2)
	v_add_f32_e32 v17, v17, v189
	v_add_f32_e32 v29, v29, v202
	s_delay_alu instid0(VALU_DEP_2) | instskip(NEXT) | instid1(VALU_DEP_2)
	v_add_f32_e32 v17, v17, v191
	v_add_f32_e32 v29, v29, v204
	s_delay_alu instid0(VALU_DEP_2)
	v_add_f32_e32 v23, v17, v193
	ds_load_b128 v[17:20], v21 offset:960
	v_add_f32_e32 v27, v29, v27
	v_add_f32_e32 v32, v23, v195
	ds_load_b128 v[21:24], v21 offset:976
	v_fmac_f32_e32 v25, v2, v9
	s_clause 0x1
	scratch_load_b128 v[1:4], off, off offset:448
	scratch_load_b128 v[9:12], off, off offset:464
	v_add_f32_e32 v32, v32, v197
	s_delay_alu instid0(VALU_DEP_1) | instskip(NEXT) | instid1(VALU_DEP_1)
	v_add_f32_e32 v32, v32, v199
	v_add_f32_e32 v32, v32, v201
	s_delay_alu instid0(VALU_DEP_1) | instskip(SKIP_1) | instid1(VALU_DEP_1)
	v_add_f32_e32 v32, v32, v203
	s_wait_loadcnt_dscnt 0x200
	v_dual_mul_f32 v162, v21, v14 :: v_dual_add_f32 v25, v32, v25
	s_delay_alu instid0(VALU_DEP_1) | instskip(NEXT) | instid1(VALU_DEP_1)
	v_dual_mul_f32 v29, v23, v16 :: v_dual_fmac_f32 v162, v22, v13
	v_fmac_f32_e32 v29, v24, v15
	s_wait_loadcnt 0x1
	v_mul_f32_e32 v157, v5, v2
	v_mul_f32_e32 v2, v6, v2
	;; [unrolled: 1-line block ×4, first 2 shown]
	s_wait_loadcnt 0x0
	v_dual_mul_f32 v160, v17, v10 :: v_dual_fmac_f32 v157, v6, v1
	v_fma_f32 v2, v5, v1, -v2
	v_add_f32_e32 v1, v27, v28
	v_add_f32_e32 v5, v25, v26
	v_mul_f32_e32 v6, v18, v10
	v_fmac_f32_e32 v158, v8, v3
	v_fma_f32 v3, v7, v3, -v4
	v_add_f32_e32 v1, v1, v2
	v_dual_add_f32 v2, v5, v157 :: v_dual_mul_f32 v161, v19, v12
	v_mul_f32_e32 v4, v20, v12
	v_fmac_f32_e32 v160, v18, v9
	v_fma_f32 v5, v17, v9, -v6
	s_delay_alu instid0(VALU_DEP_4) | instskip(SKIP_3) | instid1(VALU_DEP_4)
	v_dual_add_f32 v1, v1, v3 :: v_dual_add_f32 v2, v2, v158
	v_mul_f32_e32 v3, v22, v14
	v_fmac_f32_e32 v161, v20, v11
	v_fma_f32 v4, v19, v11, -v4
	v_dual_add_f32 v1, v1, v5 :: v_dual_add_f32 v2, v2, v160
	v_mul_f32_e32 v5, v24, v16
	v_fma_f32 v3, v21, v13, -v3
	s_delay_alu instid0(VALU_DEP_3) | instskip(NEXT) | instid1(VALU_DEP_3)
	v_dual_add_f32 v1, v1, v4 :: v_dual_add_f32 v2, v2, v161
	v_fma_f32 v4, v23, v15, -v5
	s_delay_alu instid0(VALU_DEP_2) | instskip(NEXT) | instid1(VALU_DEP_1)
	v_dual_add_f32 v1, v1, v3 :: v_dual_add_f32 v2, v2, v162
	v_dual_add_f32 v1, v1, v4 :: v_dual_add_f32 v2, v2, v29
	s_delay_alu instid0(VALU_DEP_1)
	v_dual_sub_f32 v1, v30, v1 :: v_dual_sub_f32 v2, v31, v2
	scratch_store_b64 off, v[1:2], off offset:168
	v_cmpx_lt_u32_e32 20, v0
	s_cbranch_execz .LBB125_345
; %bb.344:
	scratch_load_b64 v[1:2], off, off offset:160
	v_mov_b32_e32 v3, 0
	s_delay_alu instid0(VALU_DEP_1)
	v_mov_b32_e32 v4, v3
	scratch_store_b64 off, v[3:4], off offset:160
	s_wait_loadcnt 0x0
	ds_store_b64 v159, v[1:2]
.LBB125_345:
	s_wait_alu 0xfffe
	s_or_b32 exec_lo, exec_lo, s0
	s_wait_storecnt_dscnt 0x0
	s_barrier_signal -1
	s_barrier_wait -1
	global_inv scope:SCOPE_SE
	s_clause 0x4
	scratch_load_b128 v[5:8], off, off offset:168
	scratch_load_b128 v[1:4], off, off offset:184
	;; [unrolled: 1-line block ×5, first 2 shown]
	v_mov_b32_e32 v21, 0
	ds_load_2addr_b64 v[22:25], v21 offset0:83 offset1:84
	ds_load_2addr_b64 v[26:29], v21 offset0:85 offset1:86
	;; [unrolled: 1-line block ×3, first 2 shown]
	scratch_load_b64 v[30:31], off, off offset:160
	s_mov_b32 s0, exec_lo
	s_wait_loadcnt_dscnt 0x502
	v_mul_f32_e32 v32, v23, v6
	v_dual_mul_f32 v157, v22, v6 :: v_dual_mul_f32 v158, v24, v8
	v_mul_f32_e32 v6, v25, v8
	s_wait_loadcnt_dscnt 0x300
	v_mul_f32_e32 v164, v162, v12
	v_fma_f32 v22, v22, v5, -v32
	v_dual_fmac_f32 v157, v23, v5 :: v_dual_fmac_f32 v158, v25, v7
	v_mul_f32_e32 v25, v28, v4
	v_fma_f32 v23, v24, v7, -v6
	ds_load_2addr_b64 v[5:8], v21 offset0:89 offset1:90
	v_mul_f32_e32 v24, v26, v2
	v_mul_f32_e32 v4, v29, v4
	;; [unrolled: 1-line block ×5, first 2 shown]
	v_dual_mul_f32 v2, v27, v2 :: v_dual_fmac_f32 v25, v29, v3
	v_fmac_f32_e32 v24, v27, v1
	v_fma_f32 v27, v28, v3, -v4
	v_fmac_f32_e32 v32, v161, v9
	v_fma_f32 v28, v160, v9, -v10
	;; [unrolled: 2-line block ×3, first 2 shown]
	ds_load_2addr_b64 v[9:12], v21 offset0:91 offset1:92
	s_wait_loadcnt_dscnt 0x201
	v_dual_mul_f32 v161, v7, v16 :: v_dual_mul_f32 v160, v5, v14
	v_mul_f32_e32 v14, v6, v14
	v_mul_f32_e32 v16, v8, v16
	s_delay_alu instid0(VALU_DEP_3)
	v_fmac_f32_e32 v161, v8, v15
	v_fma_f32 v26, v26, v1, -v2
	scratch_load_b128 v[1:4], off, off offset:248
	v_fmac_f32_e32 v160, v6, v13
	v_fma_f32 v13, v5, v13, -v14
	v_fma_f32 v14, v7, v15, -v16
	ds_load_2addr_b64 v[5:8], v21 offset0:93 offset1:94
	s_wait_loadcnt_dscnt 0x201
	v_mul_f32_e32 v15, v9, v18
	v_mul_f32_e32 v16, v10, v18
	;; [unrolled: 1-line block ×3, first 2 shown]
	s_delay_alu instid0(VALU_DEP_3) | instskip(NEXT) | instid1(VALU_DEP_3)
	v_dual_mul_f32 v20, v12, v20 :: v_dual_fmac_f32 v15, v10, v17
	v_fma_f32 v16, v9, v17, -v16
	s_delay_alu instid0(VALU_DEP_3) | instskip(NEXT) | instid1(VALU_DEP_3)
	v_fmac_f32_e32 v18, v12, v19
	v_fma_f32 v17, v11, v19, -v20
	scratch_load_b128 v[9:12], off, off offset:264
	s_wait_loadcnt_dscnt 0x100
	v_mul_f32_e32 v19, v5, v2
	v_mul_f32_e32 v2, v6, v2
	;; [unrolled: 1-line block ×3, first 2 shown]
	s_delay_alu instid0(VALU_DEP_3) | instskip(NEXT) | instid1(VALU_DEP_3)
	v_dual_mul_f32 v4, v8, v4 :: v_dual_fmac_f32 v19, v6, v1
	v_fma_f32 v162, v5, v1, -v2
	s_delay_alu instid0(VALU_DEP_3) | instskip(NEXT) | instid1(VALU_DEP_3)
	v_fmac_f32_e32 v20, v8, v3
	v_fma_f32 v163, v7, v3, -v4
	ds_load_2addr_b64 v[1:4], v21 offset0:95 offset1:96
	ds_load_2addr_b64 v[5:8], v21 offset0:97 offset1:98
	s_wait_loadcnt_dscnt 0x1
	v_mul_f32_e32 v165, v1, v10
	v_mul_f32_e32 v10, v2, v10
	s_delay_alu instid0(VALU_DEP_2) | instskip(NEXT) | instid1(VALU_DEP_2)
	v_dual_mul_f32 v166, v3, v12 :: v_dual_fmac_f32 v165, v2, v9
	v_fma_f32 v167, v1, v9, -v10
	v_mul_f32_e32 v1, v4, v12
	s_delay_alu instid0(VALU_DEP_3) | instskip(NEXT) | instid1(VALU_DEP_2)
	v_fmac_f32_e32 v166, v4, v11
	v_fma_f32 v168, v3, v11, -v1
	s_clause 0x1
	scratch_load_b128 v[1:4], off, off offset:280
	scratch_load_b128 v[9:12], off, off offset:296
	s_wait_loadcnt_dscnt 0x100
	v_mul_f32_e32 v169, v5, v2
	v_dual_mul_f32 v2, v6, v2 :: v_dual_mul_f32 v171, v7, v4
	s_delay_alu instid0(VALU_DEP_2) | instskip(NEXT) | instid1(VALU_DEP_2)
	v_fmac_f32_e32 v169, v6, v1
	v_fma_f32 v170, v5, v1, -v2
	v_mul_f32_e32 v1, v8, v4
	s_delay_alu instid0(VALU_DEP_4) | instskip(NEXT) | instid1(VALU_DEP_2)
	v_fmac_f32_e32 v171, v8, v3
	v_fma_f32 v172, v7, v3, -v1
	ds_load_2addr_b64 v[1:4], v21 offset0:99 offset1:100
	ds_load_2addr_b64 v[5:8], v21 offset0:101 offset1:102
	s_wait_loadcnt_dscnt 0x1
	v_mul_f32_e32 v173, v1, v10
	v_mul_f32_e32 v175, v3, v12
	s_delay_alu instid0(VALU_DEP_2) | instskip(NEXT) | instid1(VALU_DEP_2)
	v_fmac_f32_e32 v173, v2, v9
	v_dual_mul_f32 v2, v2, v10 :: v_dual_fmac_f32 v175, v4, v11
	s_delay_alu instid0(VALU_DEP_1) | instskip(SKIP_1) | instid1(VALU_DEP_1)
	v_fma_f32 v174, v1, v9, -v2
	v_mul_f32_e32 v1, v4, v12
	v_fma_f32 v176, v3, v11, -v1
	s_clause 0x1
	scratch_load_b128 v[1:4], off, off offset:312
	scratch_load_b128 v[9:12], off, off offset:328
	s_wait_loadcnt_dscnt 0x100
	v_mul_f32_e32 v177, v5, v2
	v_dual_mul_f32 v2, v6, v2 :: v_dual_mul_f32 v179, v7, v4
	s_delay_alu instid0(VALU_DEP_2) | instskip(NEXT) | instid1(VALU_DEP_2)
	v_fmac_f32_e32 v177, v6, v1
	v_fma_f32 v178, v5, v1, -v2
	v_mul_f32_e32 v1, v8, v4
	s_delay_alu instid0(VALU_DEP_4) | instskip(NEXT) | instid1(VALU_DEP_2)
	v_fmac_f32_e32 v179, v8, v3
	v_fma_f32 v180, v7, v3, -v1
	ds_load_2addr_b64 v[1:4], v21 offset0:103 offset1:104
	ds_load_2addr_b64 v[5:8], v21 offset0:105 offset1:106
	s_wait_loadcnt_dscnt 0x1
	v_mul_f32_e32 v181, v1, v10
	v_mul_f32_e32 v183, v3, v12
	s_delay_alu instid0(VALU_DEP_2) | instskip(NEXT) | instid1(VALU_DEP_2)
	v_fmac_f32_e32 v181, v2, v9
	v_dual_mul_f32 v2, v2, v10 :: v_dual_fmac_f32 v183, v4, v11
	s_delay_alu instid0(VALU_DEP_1) | instskip(SKIP_1) | instid1(VALU_DEP_1)
	v_fma_f32 v182, v1, v9, -v2
	v_mul_f32_e32 v1, v4, v12
	;; [unrolled: 25-line block ×4, first 2 shown]
	v_fma_f32 v200, v3, v11, -v1
	s_clause 0x1
	scratch_load_b128 v[1:4], off, off offset:408
	scratch_load_b128 v[9:12], off, off offset:424
	s_wait_loadcnt_dscnt 0x100
	v_mul_f32_e32 v201, v5, v2
	v_mul_f32_e32 v2, v6, v2
	s_delay_alu instid0(VALU_DEP_1) | instskip(SKIP_1) | instid1(VALU_DEP_1)
	v_fma_f32 v202, v5, v1, -v2
	v_add_f32_e32 v2, 0, v157
	v_add_f32_e32 v2, v2, v158
	s_delay_alu instid0(VALU_DEP_1) | instskip(NEXT) | instid1(VALU_DEP_1)
	v_add_f32_e32 v2, v2, v24
	v_add_f32_e32 v2, v2, v25
	s_delay_alu instid0(VALU_DEP_1) | instskip(NEXT) | instid1(VALU_DEP_1)
	;; [unrolled: 3-line block ×5, first 2 shown]
	v_add_f32_e32 v2, v2, v19
	v_add_f32_e32 v2, v2, v20
	v_mul_f32_e32 v203, v7, v4
	v_fmac_f32_e32 v201, v6, v1
	s_delay_alu instid0(VALU_DEP_2) | instskip(NEXT) | instid1(VALU_DEP_1)
	v_dual_add_f32 v2, v2, v165 :: v_dual_fmac_f32 v203, v8, v3
	v_dual_add_f32 v2, v2, v166 :: v_dual_mul_f32 v1, v8, v4
	s_delay_alu instid0(VALU_DEP_1) | instskip(NEXT) | instid1(VALU_DEP_2)
	v_add_f32_e32 v2, v2, v169
	v_fma_f32 v204, v7, v3, -v1
	s_delay_alu instid0(VALU_DEP_2) | instskip(NEXT) | instid1(VALU_DEP_1)
	v_dual_add_f32 v1, 0, v22 :: v_dual_add_f32 v2, v2, v171
	v_add_f32_e32 v1, v1, v23
	s_delay_alu instid0(VALU_DEP_2) | instskip(NEXT) | instid1(VALU_DEP_2)
	v_add_f32_e32 v5, v2, v173
	v_add_f32_e32 v1, v1, v26
	s_delay_alu instid0(VALU_DEP_2) | instskip(NEXT) | instid1(VALU_DEP_2)
	v_add_f32_e32 v5, v5, v175
	v_add_f32_e32 v1, v1, v27
	scratch_load_b64 v[26:27], off, off offset:488
	v_add_f32_e32 v5, v5, v177
	v_add_f32_e32 v1, v1, v28
	s_delay_alu instid0(VALU_DEP_1) | instskip(NEXT) | instid1(VALU_DEP_1)
	v_add_f32_e32 v1, v1, v29
	v_add_f32_e32 v1, v1, v13
	s_delay_alu instid0(VALU_DEP_1) | instskip(SKIP_1) | instid1(VALU_DEP_2)
	v_add_f32_e32 v1, v1, v14
	v_add_f32_e32 v14, v5, v179
	;; [unrolled: 1-line block ×3, first 2 shown]
	s_delay_alu instid0(VALU_DEP_1) | instskip(NEXT) | instid1(VALU_DEP_1)
	v_add_f32_e32 v1, v1, v17
	v_add_f32_e32 v1, v1, v162
	s_delay_alu instid0(VALU_DEP_1) | instskip(NEXT) | instid1(VALU_DEP_1)
	v_add_f32_e32 v1, v1, v163
	v_add_f32_e32 v1, v1, v167
	;; [unrolled: 3-line block ×4, first 2 shown]
	s_delay_alu instid0(VALU_DEP_1) | instskip(SKIP_3) | instid1(VALU_DEP_2)
	v_add_f32_e32 v6, v1, v176
	ds_load_2addr_b64 v[1:4], v21 offset0:115 offset1:116
	v_add_f32_e32 v14, v14, v181
	v_add_f32_e32 v6, v6, v178
	;; [unrolled: 1-line block ×3, first 2 shown]
	s_delay_alu instid0(VALU_DEP_2)
	v_add_f32_e32 v13, v6, v180
	ds_load_2addr_b64 v[5:8], v21 offset0:117 offset1:118
	s_wait_loadcnt_dscnt 0x101
	v_mul_f32_e32 v32, v1, v10
	v_dual_mul_f32 v10, v2, v10 :: v_dual_mul_f32 v157, v3, v12
	v_mul_f32_e32 v12, v4, v12
	s_delay_alu instid0(VALU_DEP_3) | instskip(NEXT) | instid1(VALU_DEP_3)
	v_fmac_f32_e32 v32, v2, v9
	v_fma_f32 v158, v1, v9, -v10
	s_delay_alu instid0(VALU_DEP_4) | instskip(NEXT) | instid1(VALU_DEP_4)
	v_fmac_f32_e32 v157, v4, v11
	v_fma_f32 v160, v3, v11, -v12
	s_clause 0x1
	scratch_load_b128 v[1:4], off, off offset:440
	scratch_load_b128 v[9:12], off, off offset:456
	v_add_f32_e32 v13, v13, v182
	s_wait_loadcnt_dscnt 0x100
	v_mul_f32_e32 v163, v5, v2
	v_mul_f32_e32 v2, v6, v2
	;; [unrolled: 1-line block ×3, first 2 shown]
	s_delay_alu instid0(VALU_DEP_3) | instskip(NEXT) | instid1(VALU_DEP_3)
	v_dual_mul_f32 v4, v8, v4 :: v_dual_fmac_f32 v163, v6, v1
	v_fma_f32 v2, v5, v1, -v2
	v_add_f32_e32 v13, v13, v184
	s_delay_alu instid0(VALU_DEP_4) | instskip(NEXT) | instid1(VALU_DEP_4)
	v_dual_add_f32 v17, v14, v185 :: v_dual_fmac_f32 v164, v8, v3
	v_fma_f32 v1, v7, v3, -v4
	s_delay_alu instid0(VALU_DEP_3) | instskip(NEXT) | instid1(VALU_DEP_3)
	v_add_f32_e32 v13, v13, v186
	v_add_f32_e32 v17, v17, v187
	s_delay_alu instid0(VALU_DEP_2) | instskip(SKIP_2) | instid1(VALU_DEP_1)
	v_add_f32_e32 v18, v13, v188
	scratch_load_b128 v[13:16], off, off offset:472
	v_dual_add_f32 v17, v17, v189 :: v_dual_add_f32 v18, v18, v190
	v_dual_add_f32 v17, v17, v191 :: v_dual_add_f32 v18, v18, v192
	s_delay_alu instid0(VALU_DEP_1) | instskip(NEXT) | instid1(VALU_DEP_1)
	v_dual_add_f32 v17, v17, v193 :: v_dual_add_f32 v18, v18, v194
	v_add_f32_e32 v22, v17, v195
	s_delay_alu instid0(VALU_DEP_2) | instskip(NEXT) | instid1(VALU_DEP_2)
	v_add_f32_e32 v18, v18, v196
	v_add_f32_e32 v29, v22, v197
	ds_load_2addr_b64 v[22:25], v21 offset0:121 offset1:122
	v_add_f32_e32 v28, v18, v198
	ds_load_2addr_b64 v[17:20], v21 offset0:119 offset1:120
	s_wait_loadcnt_dscnt 0x100
	v_mul_f32_e32 v3, v18, v10
	v_mul_f32_e32 v5, v20, v12
	s_delay_alu instid0(VALU_DEP_2) | instskip(NEXT) | instid1(VALU_DEP_2)
	v_fma_f32 v3, v17, v9, -v3
	v_fma_f32 v5, v19, v11, -v5
	s_wait_loadcnt 0x0
	v_mul_f32_e32 v165, v22, v14
	s_delay_alu instid0(VALU_DEP_1) | instskip(SKIP_1) | instid1(VALU_DEP_1)
	v_fmac_f32_e32 v165, v23, v13
	v_add_f32_e32 v161, v28, v200
	v_add_f32_e32 v161, v161, v202
	s_delay_alu instid0(VALU_DEP_1) | instskip(NEXT) | instid1(VALU_DEP_1)
	v_add_f32_e32 v161, v161, v204
	v_add_f32_e32 v158, v161, v158
	s_delay_alu instid0(VALU_DEP_1) | instskip(NEXT) | instid1(VALU_DEP_1)
	v_dual_mul_f32 v161, v17, v10 :: v_dual_add_f32 v158, v158, v160
	v_dual_mul_f32 v160, v24, v16 :: v_dual_fmac_f32 v161, v18, v9
	s_delay_alu instid0(VALU_DEP_2) | instskip(NEXT) | instid1(VALU_DEP_2)
	v_add_f32_e32 v2, v158, v2
	v_fmac_f32_e32 v160, v25, v15
	v_add_f32_e32 v162, v29, v199
	ds_load_b64 v[28:29], v21 offset:984
	v_add_f32_e32 v1, v2, v1
	s_delay_alu instid0(VALU_DEP_1) | instskip(NEXT) | instid1(VALU_DEP_1)
	v_dual_add_f32 v162, v162, v201 :: v_dual_add_f32 v1, v1, v3
	v_dual_mul_f32 v3, v25, v16 :: v_dual_add_f32 v162, v162, v203
	s_delay_alu instid0(VALU_DEP_2) | instskip(NEXT) | instid1(VALU_DEP_2)
	v_add_f32_e32 v1, v1, v5
	v_fma_f32 v3, v24, v15, -v3
	s_delay_alu instid0(VALU_DEP_3) | instskip(SKIP_1) | instid1(VALU_DEP_2)
	v_add_f32_e32 v32, v162, v32
	v_mul_f32_e32 v162, v19, v12
	v_add_f32_e32 v32, v32, v157
	s_delay_alu instid0(VALU_DEP_2) | instskip(SKIP_3) | instid1(VALU_DEP_2)
	v_fmac_f32_e32 v162, v20, v11
	s_wait_dscnt 0x0
	v_mul_f32_e32 v157, v28, v27
	v_mul_f32_e32 v5, v29, v27
	v_dual_add_f32 v4, v32, v163 :: v_dual_fmac_f32 v157, v29, v26
	s_delay_alu instid0(VALU_DEP_1) | instskip(SKIP_1) | instid1(VALU_DEP_2)
	v_add_f32_e32 v2, v4, v164
	v_mul_f32_e32 v4, v23, v14
	v_add_f32_e32 v2, v2, v161
	s_delay_alu instid0(VALU_DEP_2) | instskip(NEXT) | instid1(VALU_DEP_1)
	v_fma_f32 v4, v22, v13, -v4
	v_dual_add_f32 v2, v2, v162 :: v_dual_add_f32 v1, v1, v4
	v_fma_f32 v4, v28, v26, -v5
	s_delay_alu instid0(VALU_DEP_2) | instskip(NEXT) | instid1(VALU_DEP_1)
	v_dual_add_f32 v2, v2, v165 :: v_dual_add_f32 v1, v1, v3
	v_add_f32_e32 v2, v2, v160
	s_delay_alu instid0(VALU_DEP_1) | instskip(NEXT) | instid1(VALU_DEP_1)
	v_dual_add_f32 v1, v1, v4 :: v_dual_add_f32 v2, v2, v157
	v_dual_sub_f32 v1, v30, v1 :: v_dual_sub_f32 v2, v31, v2
	scratch_store_b64 off, v[1:2], off offset:160
	v_cmpx_lt_u32_e32 19, v0
	s_cbranch_execz .LBB125_347
; %bb.346:
	scratch_load_b64 v[1:2], off, off offset:152
	v_mov_b32_e32 v22, v21
	scratch_store_b64 off, v[21:22], off offset:152
	s_wait_loadcnt 0x0
	ds_store_b64 v159, v[1:2]
.LBB125_347:
	s_wait_alu 0xfffe
	s_or_b32 exec_lo, exec_lo, s0
	s_wait_storecnt_dscnt 0x0
	s_barrier_signal -1
	s_barrier_wait -1
	global_inv scope:SCOPE_SE
	s_clause 0x4
	scratch_load_b128 v[5:8], off, off offset:160
	scratch_load_b128 v[1:4], off, off offset:176
	;; [unrolled: 1-line block ×5, first 2 shown]
	ds_load_b128 v[22:25], v21 offset:656
	ds_load_b128 v[26:29], v21 offset:672
	;; [unrolled: 1-line block ×3, first 2 shown]
	scratch_load_b64 v[30:31], off, off offset:152
	s_mov_b32 s0, exec_lo
	s_wait_loadcnt_dscnt 0x502
	v_mul_f32_e32 v32, v23, v6
	v_dual_mul_f32 v157, v22, v6 :: v_dual_mul_f32 v158, v24, v8
	v_mul_f32_e32 v6, v25, v8
	s_wait_loadcnt_dscnt 0x300
	v_mul_f32_e32 v164, v162, v12
	v_mul_f32_e32 v12, v163, v12
	v_dual_fmac_f32 v157, v23, v5 :: v_dual_fmac_f32 v158, v25, v7
	v_fma_f32 v23, v24, v7, -v6
	v_mul_f32_e32 v25, v28, v4
	v_fma_f32 v22, v22, v5, -v32
	ds_load_b128 v[5:8], v21 offset:704
	v_mul_f32_e32 v24, v26, v2
	v_mul_f32_e32 v4, v29, v4
	v_mul_f32_e32 v32, v160, v10
	v_mul_f32_e32 v10, v161, v10
	v_dual_mul_f32 v2, v27, v2 :: v_dual_fmac_f32 v25, v29, v3
	v_fmac_f32_e32 v24, v27, v1
	v_fma_f32 v27, v28, v3, -v4
	v_fmac_f32_e32 v32, v161, v9
	v_fma_f32 v28, v160, v9, -v10
	;; [unrolled: 2-line block ×3, first 2 shown]
	ds_load_b128 v[9:12], v21 offset:720
	s_wait_loadcnt_dscnt 0x201
	v_dual_mul_f32 v161, v7, v16 :: v_dual_mul_f32 v160, v5, v14
	v_mul_f32_e32 v14, v6, v14
	v_mul_f32_e32 v16, v8, v16
	s_delay_alu instid0(VALU_DEP_3)
	v_fmac_f32_e32 v161, v8, v15
	v_fma_f32 v26, v26, v1, -v2
	scratch_load_b128 v[1:4], off, off offset:240
	v_fmac_f32_e32 v160, v6, v13
	v_fma_f32 v13, v5, v13, -v14
	v_fma_f32 v14, v7, v15, -v16
	ds_load_b128 v[5:8], v21 offset:736
	s_wait_loadcnt_dscnt 0x201
	v_mul_f32_e32 v15, v9, v18
	v_mul_f32_e32 v16, v10, v18
	;; [unrolled: 1-line block ×3, first 2 shown]
	s_delay_alu instid0(VALU_DEP_3) | instskip(NEXT) | instid1(VALU_DEP_3)
	v_dual_mul_f32 v20, v12, v20 :: v_dual_fmac_f32 v15, v10, v17
	v_fma_f32 v16, v9, v17, -v16
	s_delay_alu instid0(VALU_DEP_3) | instskip(NEXT) | instid1(VALU_DEP_3)
	v_fmac_f32_e32 v18, v12, v19
	v_fma_f32 v17, v11, v19, -v20
	scratch_load_b128 v[9:12], off, off offset:256
	s_wait_loadcnt_dscnt 0x100
	v_mul_f32_e32 v19, v5, v2
	v_mul_f32_e32 v2, v6, v2
	;; [unrolled: 1-line block ×3, first 2 shown]
	s_delay_alu instid0(VALU_DEP_3) | instskip(NEXT) | instid1(VALU_DEP_3)
	v_dual_mul_f32 v4, v8, v4 :: v_dual_fmac_f32 v19, v6, v1
	v_fma_f32 v162, v5, v1, -v2
	s_delay_alu instid0(VALU_DEP_3) | instskip(NEXT) | instid1(VALU_DEP_3)
	v_fmac_f32_e32 v20, v8, v3
	v_fma_f32 v163, v7, v3, -v4
	ds_load_b128 v[1:4], v21 offset:752
	ds_load_b128 v[5:8], v21 offset:768
	s_wait_loadcnt_dscnt 0x1
	v_mul_f32_e32 v165, v1, v10
	v_mul_f32_e32 v10, v2, v10
	s_delay_alu instid0(VALU_DEP_2) | instskip(NEXT) | instid1(VALU_DEP_2)
	v_dual_mul_f32 v166, v3, v12 :: v_dual_fmac_f32 v165, v2, v9
	v_fma_f32 v167, v1, v9, -v10
	v_mul_f32_e32 v1, v4, v12
	s_delay_alu instid0(VALU_DEP_3) | instskip(NEXT) | instid1(VALU_DEP_2)
	v_fmac_f32_e32 v166, v4, v11
	v_fma_f32 v168, v3, v11, -v1
	s_clause 0x1
	scratch_load_b128 v[1:4], off, off offset:272
	scratch_load_b128 v[9:12], off, off offset:288
	s_wait_loadcnt_dscnt 0x100
	v_mul_f32_e32 v169, v5, v2
	v_dual_mul_f32 v2, v6, v2 :: v_dual_mul_f32 v171, v7, v4
	s_delay_alu instid0(VALU_DEP_2) | instskip(NEXT) | instid1(VALU_DEP_2)
	v_fmac_f32_e32 v169, v6, v1
	v_fma_f32 v170, v5, v1, -v2
	v_mul_f32_e32 v1, v8, v4
	s_delay_alu instid0(VALU_DEP_4) | instskip(NEXT) | instid1(VALU_DEP_2)
	v_fmac_f32_e32 v171, v8, v3
	v_fma_f32 v172, v7, v3, -v1
	ds_load_b128 v[1:4], v21 offset:784
	ds_load_b128 v[5:8], v21 offset:800
	s_wait_loadcnt_dscnt 0x1
	v_mul_f32_e32 v173, v1, v10
	v_mul_f32_e32 v175, v3, v12
	s_delay_alu instid0(VALU_DEP_2) | instskip(NEXT) | instid1(VALU_DEP_2)
	v_fmac_f32_e32 v173, v2, v9
	v_dual_mul_f32 v2, v2, v10 :: v_dual_fmac_f32 v175, v4, v11
	s_delay_alu instid0(VALU_DEP_1) | instskip(SKIP_1) | instid1(VALU_DEP_1)
	v_fma_f32 v174, v1, v9, -v2
	v_mul_f32_e32 v1, v4, v12
	v_fma_f32 v176, v3, v11, -v1
	s_clause 0x1
	scratch_load_b128 v[1:4], off, off offset:304
	scratch_load_b128 v[9:12], off, off offset:320
	s_wait_loadcnt_dscnt 0x100
	v_mul_f32_e32 v177, v5, v2
	v_dual_mul_f32 v2, v6, v2 :: v_dual_mul_f32 v179, v7, v4
	s_delay_alu instid0(VALU_DEP_2) | instskip(NEXT) | instid1(VALU_DEP_2)
	v_fmac_f32_e32 v177, v6, v1
	v_fma_f32 v178, v5, v1, -v2
	v_mul_f32_e32 v1, v8, v4
	s_delay_alu instid0(VALU_DEP_4) | instskip(NEXT) | instid1(VALU_DEP_2)
	v_fmac_f32_e32 v179, v8, v3
	v_fma_f32 v180, v7, v3, -v1
	ds_load_b128 v[1:4], v21 offset:816
	ds_load_b128 v[5:8], v21 offset:832
	s_wait_loadcnt_dscnt 0x1
	v_mul_f32_e32 v181, v1, v10
	v_mul_f32_e32 v183, v3, v12
	s_delay_alu instid0(VALU_DEP_2) | instskip(NEXT) | instid1(VALU_DEP_2)
	v_fmac_f32_e32 v181, v2, v9
	v_dual_mul_f32 v2, v2, v10 :: v_dual_fmac_f32 v183, v4, v11
	s_delay_alu instid0(VALU_DEP_1) | instskip(SKIP_1) | instid1(VALU_DEP_1)
	v_fma_f32 v182, v1, v9, -v2
	v_mul_f32_e32 v1, v4, v12
	;; [unrolled: 25-line block ×4, first 2 shown]
	v_fma_f32 v200, v3, v11, -v1
	s_clause 0x1
	scratch_load_b128 v[1:4], off, off offset:400
	scratch_load_b128 v[9:12], off, off offset:416
	s_wait_loadcnt_dscnt 0x100
	v_mul_f32_e32 v201, v5, v2
	v_mul_f32_e32 v2, v6, v2
	s_delay_alu instid0(VALU_DEP_1) | instskip(SKIP_1) | instid1(VALU_DEP_1)
	v_fma_f32 v202, v5, v1, -v2
	v_add_f32_e32 v2, 0, v157
	v_add_f32_e32 v2, v2, v158
	s_delay_alu instid0(VALU_DEP_1) | instskip(NEXT) | instid1(VALU_DEP_1)
	v_add_f32_e32 v2, v2, v24
	v_add_f32_e32 v2, v2, v25
	s_delay_alu instid0(VALU_DEP_1) | instskip(NEXT) | instid1(VALU_DEP_1)
	;; [unrolled: 3-line block ×5, first 2 shown]
	v_add_f32_e32 v2, v2, v19
	v_add_f32_e32 v2, v2, v20
	v_mul_f32_e32 v203, v7, v4
	v_fmac_f32_e32 v201, v6, v1
	s_delay_alu instid0(VALU_DEP_2) | instskip(NEXT) | instid1(VALU_DEP_1)
	v_dual_add_f32 v2, v2, v165 :: v_dual_fmac_f32 v203, v8, v3
	v_dual_add_f32 v2, v2, v166 :: v_dual_mul_f32 v1, v8, v4
	s_delay_alu instid0(VALU_DEP_1) | instskip(NEXT) | instid1(VALU_DEP_2)
	v_add_f32_e32 v2, v2, v169
	v_fma_f32 v204, v7, v3, -v1
	s_delay_alu instid0(VALU_DEP_2) | instskip(NEXT) | instid1(VALU_DEP_1)
	v_dual_add_f32 v1, 0, v22 :: v_dual_add_f32 v2, v2, v171
	v_dual_add_f32 v1, v1, v23 :: v_dual_add_f32 v2, v2, v173
	s_delay_alu instid0(VALU_DEP_1) | instskip(NEXT) | instid1(VALU_DEP_2)
	v_add_f32_e32 v1, v1, v26
	v_add_f32_e32 v5, v2, v175
	s_delay_alu instid0(VALU_DEP_2) | instskip(NEXT) | instid1(VALU_DEP_1)
	v_add_f32_e32 v1, v1, v27
	v_add_f32_e32 v1, v1, v28
	s_delay_alu instid0(VALU_DEP_1) | instskip(NEXT) | instid1(VALU_DEP_1)
	v_add_f32_e32 v1, v1, v29
	v_add_f32_e32 v1, v1, v13
	;; [unrolled: 1-line block ×3, first 2 shown]
	s_delay_alu instid0(VALU_DEP_1) | instskip(NEXT) | instid1(VALU_DEP_1)
	v_add_f32_e32 v13, v13, v179
	v_add_f32_e32 v13, v13, v181
	s_delay_alu instid0(VALU_DEP_1) | instskip(SKIP_1) | instid1(VALU_DEP_1)
	v_add_f32_e32 v18, v13, v183
	v_add_f32_e32 v1, v1, v14
	;; [unrolled: 1-line block ×3, first 2 shown]
	s_delay_alu instid0(VALU_DEP_1) | instskip(NEXT) | instid1(VALU_DEP_1)
	v_add_f32_e32 v1, v1, v17
	v_add_f32_e32 v1, v1, v162
	s_delay_alu instid0(VALU_DEP_1) | instskip(NEXT) | instid1(VALU_DEP_1)
	v_add_f32_e32 v1, v1, v163
	v_add_f32_e32 v1, v1, v167
	;; [unrolled: 3-line block ×5, first 2 shown]
	ds_load_b128 v[1:4], v21 offset:912
	v_add_f32_e32 v18, v18, v185
	v_add_f32_e32 v14, v6, v180
	scratch_load_b128 v[5:8], off, off offset:432
	v_add_f32_e32 v18, v18, v187
	v_add_f32_e32 v14, v14, v182
	s_delay_alu instid0(VALU_DEP_2) | instskip(NEXT) | instid1(VALU_DEP_2)
	v_add_f32_e32 v22, v18, v189
	v_add_f32_e32 v17, v14, v184
	ds_load_b128 v[13:16], v21 offset:928
	s_wait_loadcnt_dscnt 0x101
	v_dual_add_f32 v22, v22, v191 :: v_dual_mul_f32 v25, v1, v10
	v_mul_f32_e32 v10, v2, v10
	v_mul_f32_e32 v26, v3, v12
	;; [unrolled: 1-line block ×3, first 2 shown]
	s_delay_alu instid0(VALU_DEP_4)
	v_add_f32_e32 v22, v22, v193
	v_fmac_f32_e32 v25, v2, v9
	v_fma_f32 v27, v1, v9, -v10
	v_fmac_f32_e32 v26, v4, v11
	v_fma_f32 v28, v3, v11, -v12
	s_clause 0x1
	scratch_load_b128 v[1:4], off, off offset:448
	scratch_load_b128 v[9:12], off, off offset:464
	s_wait_loadcnt_dscnt 0x200
	v_mul_f32_e32 v29, v13, v6
	v_mul_f32_e32 v6, v14, v6
	;; [unrolled: 1-line block ×3, first 2 shown]
	s_delay_alu instid0(VALU_DEP_3) | instskip(NEXT) | instid1(VALU_DEP_3)
	v_dual_mul_f32 v8, v16, v8 :: v_dual_fmac_f32 v29, v14, v5
	v_fma_f32 v157, v13, v5, -v6
	s_delay_alu instid0(VALU_DEP_3) | instskip(NEXT) | instid1(VALU_DEP_3)
	v_fmac_f32_e32 v32, v16, v7
	v_fma_f32 v158, v15, v7, -v8
	ds_load_b128 v[5:8], v21 offset:944
	v_add_f32_e32 v17, v17, v186
	v_add_f32_e32 v13, v22, v195
	s_delay_alu instid0(VALU_DEP_2) | instskip(NEXT) | instid1(VALU_DEP_1)
	v_add_f32_e32 v17, v17, v188
	v_add_f32_e32 v17, v17, v190
	s_delay_alu instid0(VALU_DEP_1) | instskip(SKIP_2) | instid1(VALU_DEP_1)
	v_add_f32_e32 v23, v17, v192
	scratch_load_b128 v[17:20], off, off offset:480
	v_add_f32_e32 v23, v23, v194
	v_add_f32_e32 v23, v23, v196
	s_delay_alu instid0(VALU_DEP_1)
	v_dual_add_f32 v22, v23, v198 :: v_dual_add_f32 v23, v13, v197
	ds_load_b128 v[13:16], v21 offset:960
	s_wait_loadcnt_dscnt 0x201
	v_mul_f32_e32 v162, v5, v2
	v_mul_f32_e32 v2, v6, v2
	v_dual_add_f32 v160, v22, v200 :: v_dual_add_f32 v161, v23, v199
	ds_load_b128 v[21:24], v21 offset:976
	v_fmac_f32_e32 v162, v6, v1
	v_fma_f32 v2, v5, v1, -v2
	v_add_f32_e32 v160, v160, v202
	s_delay_alu instid0(VALU_DEP_1) | instskip(NEXT) | instid1(VALU_DEP_1)
	v_add_f32_e32 v160, v160, v204
	v_dual_add_f32 v27, v160, v27 :: v_dual_mul_f32 v160, v7, v4
	v_mul_f32_e32 v4, v8, v4
	s_wait_loadcnt_dscnt 0x101
	v_dual_mul_f32 v6, v14, v10 :: v_dual_mul_f32 v163, v15, v12
	s_delay_alu instid0(VALU_DEP_3) | instskip(NEXT) | instid1(VALU_DEP_3)
	v_dual_add_f32 v27, v27, v28 :: v_dual_fmac_f32 v160, v8, v3
	v_fma_f32 v3, v7, v3, -v4
	v_mul_f32_e32 v4, v16, v12
	s_delay_alu instid0(VALU_DEP_4) | instskip(NEXT) | instid1(VALU_DEP_4)
	v_fmac_f32_e32 v163, v16, v11
	v_add_f32_e32 v27, v27, v157
	s_delay_alu instid0(VALU_DEP_3) | instskip(NEXT) | instid1(VALU_DEP_2)
	v_fma_f32 v4, v15, v11, -v4
	v_add_f32_e32 v1, v27, v158
	s_delay_alu instid0(VALU_DEP_1) | instskip(SKIP_1) | instid1(VALU_DEP_1)
	v_add_f32_e32 v1, v1, v2
	s_wait_loadcnt_dscnt 0x0
	v_dual_add_f32 v1, v1, v3 :: v_dual_mul_f32 v28, v23, v20
	s_delay_alu instid0(VALU_DEP_1) | instskip(SKIP_1) | instid1(VALU_DEP_2)
	v_dual_mul_f32 v3, v22, v18 :: v_dual_fmac_f32 v28, v24, v19
	v_add_f32_e32 v161, v161, v201
	v_fma_f32 v3, v21, v17, -v3
	s_delay_alu instid0(VALU_DEP_2) | instskip(NEXT) | instid1(VALU_DEP_1)
	v_add_f32_e32 v161, v161, v203
	v_add_f32_e32 v25, v161, v25
	v_mul_f32_e32 v161, v13, v10
	s_delay_alu instid0(VALU_DEP_2) | instskip(NEXT) | instid1(VALU_DEP_2)
	v_add_f32_e32 v25, v25, v26
	v_dual_fmac_f32 v161, v14, v9 :: v_dual_mul_f32 v26, v21, v18
	s_delay_alu instid0(VALU_DEP_2) | instskip(NEXT) | instid1(VALU_DEP_1)
	v_add_f32_e32 v25, v25, v29
	v_dual_fmac_f32 v26, v22, v17 :: v_dual_add_f32 v5, v25, v32
	s_delay_alu instid0(VALU_DEP_1) | instskip(SKIP_1) | instid1(VALU_DEP_1)
	v_add_f32_e32 v2, v5, v162
	v_fma_f32 v5, v13, v9, -v6
	v_dual_add_f32 v2, v2, v160 :: v_dual_add_f32 v1, v1, v5
	s_delay_alu instid0(VALU_DEP_1) | instskip(NEXT) | instid1(VALU_DEP_2)
	v_dual_mul_f32 v5, v24, v20 :: v_dual_add_f32 v2, v2, v161
	v_add_f32_e32 v1, v1, v4
	s_delay_alu instid0(VALU_DEP_2) | instskip(NEXT) | instid1(VALU_DEP_3)
	v_fma_f32 v4, v23, v19, -v5
	v_add_f32_e32 v2, v2, v163
	s_delay_alu instid0(VALU_DEP_1) | instskip(NEXT) | instid1(VALU_DEP_1)
	v_dual_add_f32 v1, v1, v3 :: v_dual_add_f32 v2, v2, v26
	v_add_f32_e32 v1, v1, v4
	s_delay_alu instid0(VALU_DEP_2) | instskip(NEXT) | instid1(VALU_DEP_1)
	v_add_f32_e32 v2, v2, v28
	v_dual_sub_f32 v1, v30, v1 :: v_dual_sub_f32 v2, v31, v2
	scratch_store_b64 off, v[1:2], off offset:152
	v_cmpx_lt_u32_e32 18, v0
	s_cbranch_execz .LBB125_349
; %bb.348:
	scratch_load_b64 v[1:2], off, off offset:144
	v_mov_b32_e32 v3, 0
	s_delay_alu instid0(VALU_DEP_1)
	v_mov_b32_e32 v4, v3
	scratch_store_b64 off, v[3:4], off offset:144
	s_wait_loadcnt 0x0
	ds_store_b64 v159, v[1:2]
.LBB125_349:
	s_wait_alu 0xfffe
	s_or_b32 exec_lo, exec_lo, s0
	s_wait_storecnt_dscnt 0x0
	s_barrier_signal -1
	s_barrier_wait -1
	global_inv scope:SCOPE_SE
	s_clause 0x4
	scratch_load_b128 v[5:8], off, off offset:152
	scratch_load_b128 v[1:4], off, off offset:168
	;; [unrolled: 1-line block ×5, first 2 shown]
	v_mov_b32_e32 v21, 0
	ds_load_2addr_b64 v[22:25], v21 offset0:81 offset1:82
	ds_load_2addr_b64 v[26:29], v21 offset0:83 offset1:84
	;; [unrolled: 1-line block ×3, first 2 shown]
	scratch_load_b64 v[30:31], off, off offset:144
	s_mov_b32 s0, exec_lo
	s_wait_loadcnt_dscnt 0x502
	v_mul_f32_e32 v32, v23, v6
	v_dual_mul_f32 v157, v22, v6 :: v_dual_mul_f32 v158, v24, v8
	v_mul_f32_e32 v6, v25, v8
	s_wait_loadcnt_dscnt 0x300
	v_mul_f32_e32 v164, v162, v12
	v_fma_f32 v22, v22, v5, -v32
	v_dual_fmac_f32 v157, v23, v5 :: v_dual_fmac_f32 v158, v25, v7
	v_mul_f32_e32 v25, v28, v4
	v_fma_f32 v23, v24, v7, -v6
	ds_load_2addr_b64 v[5:8], v21 offset0:87 offset1:88
	v_mul_f32_e32 v24, v26, v2
	v_mul_f32_e32 v4, v29, v4
	;; [unrolled: 1-line block ×5, first 2 shown]
	v_dual_mul_f32 v2, v27, v2 :: v_dual_fmac_f32 v25, v29, v3
	v_fmac_f32_e32 v24, v27, v1
	v_fma_f32 v27, v28, v3, -v4
	v_fmac_f32_e32 v32, v161, v9
	v_fma_f32 v28, v160, v9, -v10
	;; [unrolled: 2-line block ×3, first 2 shown]
	ds_load_2addr_b64 v[9:12], v21 offset0:89 offset1:90
	s_wait_loadcnt_dscnt 0x201
	v_dual_mul_f32 v161, v7, v16 :: v_dual_mul_f32 v160, v5, v14
	v_mul_f32_e32 v14, v6, v14
	v_mul_f32_e32 v16, v8, v16
	s_delay_alu instid0(VALU_DEP_3)
	v_fmac_f32_e32 v161, v8, v15
	v_fma_f32 v26, v26, v1, -v2
	scratch_load_b128 v[1:4], off, off offset:232
	v_fmac_f32_e32 v160, v6, v13
	v_fma_f32 v13, v5, v13, -v14
	v_fma_f32 v14, v7, v15, -v16
	ds_load_2addr_b64 v[5:8], v21 offset0:91 offset1:92
	s_wait_loadcnt_dscnt 0x201
	v_mul_f32_e32 v15, v9, v18
	v_mul_f32_e32 v16, v10, v18
	;; [unrolled: 1-line block ×3, first 2 shown]
	s_delay_alu instid0(VALU_DEP_3) | instskip(NEXT) | instid1(VALU_DEP_3)
	v_dual_mul_f32 v20, v12, v20 :: v_dual_fmac_f32 v15, v10, v17
	v_fma_f32 v16, v9, v17, -v16
	s_delay_alu instid0(VALU_DEP_3) | instskip(NEXT) | instid1(VALU_DEP_3)
	v_fmac_f32_e32 v18, v12, v19
	v_fma_f32 v17, v11, v19, -v20
	scratch_load_b128 v[9:12], off, off offset:248
	s_wait_loadcnt_dscnt 0x100
	v_mul_f32_e32 v19, v5, v2
	v_mul_f32_e32 v2, v6, v2
	;; [unrolled: 1-line block ×3, first 2 shown]
	s_delay_alu instid0(VALU_DEP_3) | instskip(NEXT) | instid1(VALU_DEP_3)
	v_dual_mul_f32 v4, v8, v4 :: v_dual_fmac_f32 v19, v6, v1
	v_fma_f32 v162, v5, v1, -v2
	s_delay_alu instid0(VALU_DEP_3) | instskip(NEXT) | instid1(VALU_DEP_3)
	v_fmac_f32_e32 v20, v8, v3
	v_fma_f32 v163, v7, v3, -v4
	ds_load_2addr_b64 v[1:4], v21 offset0:93 offset1:94
	ds_load_2addr_b64 v[5:8], v21 offset0:95 offset1:96
	s_wait_loadcnt_dscnt 0x1
	v_mul_f32_e32 v165, v1, v10
	v_mul_f32_e32 v10, v2, v10
	s_delay_alu instid0(VALU_DEP_2) | instskip(NEXT) | instid1(VALU_DEP_2)
	v_dual_mul_f32 v166, v3, v12 :: v_dual_fmac_f32 v165, v2, v9
	v_fma_f32 v167, v1, v9, -v10
	v_mul_f32_e32 v1, v4, v12
	s_delay_alu instid0(VALU_DEP_3) | instskip(NEXT) | instid1(VALU_DEP_2)
	v_fmac_f32_e32 v166, v4, v11
	v_fma_f32 v168, v3, v11, -v1
	s_clause 0x1
	scratch_load_b128 v[1:4], off, off offset:264
	scratch_load_b128 v[9:12], off, off offset:280
	s_wait_loadcnt_dscnt 0x100
	v_mul_f32_e32 v169, v5, v2
	v_dual_mul_f32 v2, v6, v2 :: v_dual_mul_f32 v171, v7, v4
	s_delay_alu instid0(VALU_DEP_2) | instskip(NEXT) | instid1(VALU_DEP_2)
	v_fmac_f32_e32 v169, v6, v1
	v_fma_f32 v170, v5, v1, -v2
	v_mul_f32_e32 v1, v8, v4
	s_delay_alu instid0(VALU_DEP_4) | instskip(NEXT) | instid1(VALU_DEP_2)
	v_fmac_f32_e32 v171, v8, v3
	v_fma_f32 v172, v7, v3, -v1
	ds_load_2addr_b64 v[1:4], v21 offset0:97 offset1:98
	ds_load_2addr_b64 v[5:8], v21 offset0:99 offset1:100
	s_wait_loadcnt_dscnt 0x1
	v_mul_f32_e32 v173, v1, v10
	v_mul_f32_e32 v175, v3, v12
	s_delay_alu instid0(VALU_DEP_2) | instskip(NEXT) | instid1(VALU_DEP_2)
	v_fmac_f32_e32 v173, v2, v9
	v_dual_mul_f32 v2, v2, v10 :: v_dual_fmac_f32 v175, v4, v11
	s_delay_alu instid0(VALU_DEP_1) | instskip(SKIP_1) | instid1(VALU_DEP_1)
	v_fma_f32 v174, v1, v9, -v2
	v_mul_f32_e32 v1, v4, v12
	v_fma_f32 v176, v3, v11, -v1
	s_clause 0x1
	scratch_load_b128 v[1:4], off, off offset:296
	scratch_load_b128 v[9:12], off, off offset:312
	s_wait_loadcnt_dscnt 0x100
	v_mul_f32_e32 v177, v5, v2
	v_dual_mul_f32 v2, v6, v2 :: v_dual_mul_f32 v179, v7, v4
	s_delay_alu instid0(VALU_DEP_2) | instskip(NEXT) | instid1(VALU_DEP_2)
	v_fmac_f32_e32 v177, v6, v1
	v_fma_f32 v178, v5, v1, -v2
	v_mul_f32_e32 v1, v8, v4
	s_delay_alu instid0(VALU_DEP_4) | instskip(NEXT) | instid1(VALU_DEP_2)
	v_fmac_f32_e32 v179, v8, v3
	v_fma_f32 v180, v7, v3, -v1
	ds_load_2addr_b64 v[1:4], v21 offset0:101 offset1:102
	ds_load_2addr_b64 v[5:8], v21 offset0:103 offset1:104
	s_wait_loadcnt_dscnt 0x1
	v_mul_f32_e32 v181, v1, v10
	v_mul_f32_e32 v183, v3, v12
	s_delay_alu instid0(VALU_DEP_2) | instskip(NEXT) | instid1(VALU_DEP_2)
	v_fmac_f32_e32 v181, v2, v9
	v_dual_mul_f32 v2, v2, v10 :: v_dual_fmac_f32 v183, v4, v11
	s_delay_alu instid0(VALU_DEP_1) | instskip(SKIP_1) | instid1(VALU_DEP_1)
	v_fma_f32 v182, v1, v9, -v2
	v_mul_f32_e32 v1, v4, v12
	v_fma_f32 v184, v3, v11, -v1
	s_clause 0x1
	scratch_load_b128 v[1:4], off, off offset:328
	scratch_load_b128 v[9:12], off, off offset:344
	s_wait_loadcnt_dscnt 0x100
	v_mul_f32_e32 v185, v5, v2
	v_dual_mul_f32 v2, v6, v2 :: v_dual_mul_f32 v187, v7, v4
	s_delay_alu instid0(VALU_DEP_2) | instskip(NEXT) | instid1(VALU_DEP_2)
	v_fmac_f32_e32 v185, v6, v1
	v_fma_f32 v186, v5, v1, -v2
	v_mul_f32_e32 v1, v8, v4
	s_delay_alu instid0(VALU_DEP_4) | instskip(NEXT) | instid1(VALU_DEP_2)
	v_fmac_f32_e32 v187, v8, v3
	v_fma_f32 v188, v7, v3, -v1
	ds_load_2addr_b64 v[1:4], v21 offset0:105 offset1:106
	ds_load_2addr_b64 v[5:8], v21 offset0:107 offset1:108
	s_wait_loadcnt_dscnt 0x1
	v_mul_f32_e32 v189, v1, v10
	v_mul_f32_e32 v191, v3, v12
	s_delay_alu instid0(VALU_DEP_2) | instskip(NEXT) | instid1(VALU_DEP_2)
	v_fmac_f32_e32 v189, v2, v9
	v_dual_mul_f32 v2, v2, v10 :: v_dual_fmac_f32 v191, v4, v11
	s_delay_alu instid0(VALU_DEP_1) | instskip(SKIP_1) | instid1(VALU_DEP_1)
	v_fma_f32 v190, v1, v9, -v2
	v_mul_f32_e32 v1, v4, v12
	v_fma_f32 v192, v3, v11, -v1
	s_clause 0x1
	scratch_load_b128 v[1:4], off, off offset:360
	scratch_load_b128 v[9:12], off, off offset:376
	s_wait_loadcnt_dscnt 0x100
	v_mul_f32_e32 v193, v5, v2
	v_dual_mul_f32 v2, v6, v2 :: v_dual_mul_f32 v195, v7, v4
	s_delay_alu instid0(VALU_DEP_2) | instskip(NEXT) | instid1(VALU_DEP_2)
	v_fmac_f32_e32 v193, v6, v1
	v_fma_f32 v194, v5, v1, -v2
	v_mul_f32_e32 v1, v8, v4
	s_delay_alu instid0(VALU_DEP_4) | instskip(NEXT) | instid1(VALU_DEP_2)
	v_fmac_f32_e32 v195, v8, v3
	v_fma_f32 v196, v7, v3, -v1
	ds_load_2addr_b64 v[1:4], v21 offset0:109 offset1:110
	ds_load_2addr_b64 v[5:8], v21 offset0:111 offset1:112
	s_wait_loadcnt_dscnt 0x1
	v_mul_f32_e32 v197, v1, v10
	v_mul_f32_e32 v199, v3, v12
	s_delay_alu instid0(VALU_DEP_2) | instskip(NEXT) | instid1(VALU_DEP_2)
	v_fmac_f32_e32 v197, v2, v9
	v_dual_mul_f32 v2, v2, v10 :: v_dual_fmac_f32 v199, v4, v11
	s_delay_alu instid0(VALU_DEP_1) | instskip(SKIP_1) | instid1(VALU_DEP_1)
	v_fma_f32 v198, v1, v9, -v2
	v_mul_f32_e32 v1, v4, v12
	v_fma_f32 v200, v3, v11, -v1
	s_clause 0x1
	scratch_load_b128 v[1:4], off, off offset:392
	scratch_load_b128 v[9:12], off, off offset:408
	s_wait_loadcnt_dscnt 0x100
	v_mul_f32_e32 v201, v5, v2
	v_mul_f32_e32 v2, v6, v2
	s_delay_alu instid0(VALU_DEP_1) | instskip(SKIP_1) | instid1(VALU_DEP_1)
	v_fma_f32 v202, v5, v1, -v2
	v_add_f32_e32 v2, 0, v157
	v_add_f32_e32 v2, v2, v158
	s_delay_alu instid0(VALU_DEP_1) | instskip(NEXT) | instid1(VALU_DEP_1)
	v_add_f32_e32 v2, v2, v24
	v_add_f32_e32 v2, v2, v25
	s_delay_alu instid0(VALU_DEP_1) | instskip(NEXT) | instid1(VALU_DEP_1)
	;; [unrolled: 3-line block ×5, first 2 shown]
	v_add_f32_e32 v2, v2, v19
	v_add_f32_e32 v2, v2, v20
	v_mul_f32_e32 v203, v7, v4
	v_fmac_f32_e32 v201, v6, v1
	s_delay_alu instid0(VALU_DEP_2) | instskip(NEXT) | instid1(VALU_DEP_1)
	v_dual_add_f32 v2, v2, v165 :: v_dual_fmac_f32 v203, v8, v3
	v_dual_add_f32 v2, v2, v166 :: v_dual_mul_f32 v1, v8, v4
	s_delay_alu instid0(VALU_DEP_1) | instskip(NEXT) | instid1(VALU_DEP_2)
	v_add_f32_e32 v2, v2, v169
	v_fma_f32 v204, v7, v3, -v1
	s_delay_alu instid0(VALU_DEP_2) | instskip(NEXT) | instid1(VALU_DEP_1)
	v_dual_add_f32 v1, 0, v22 :: v_dual_add_f32 v2, v2, v171
	v_dual_add_f32 v1, v1, v23 :: v_dual_add_f32 v2, v2, v173
	s_delay_alu instid0(VALU_DEP_1) | instskip(NEXT) | instid1(VALU_DEP_2)
	v_add_f32_e32 v1, v1, v26
	v_add_f32_e32 v5, v2, v175
	s_delay_alu instid0(VALU_DEP_2) | instskip(SKIP_2) | instid1(VALU_DEP_1)
	v_add_f32_e32 v1, v1, v27
	scratch_load_b64 v[26:27], off, off offset:488
	v_add_f32_e32 v1, v1, v28
	v_add_f32_e32 v1, v1, v29
	s_delay_alu instid0(VALU_DEP_1) | instskip(SKIP_1) | instid1(VALU_DEP_2)
	v_add_f32_e32 v1, v1, v13
	v_add_f32_e32 v13, v5, v177
	;; [unrolled: 1-line block ×3, first 2 shown]
	s_delay_alu instid0(VALU_DEP_2) | instskip(NEXT) | instid1(VALU_DEP_2)
	v_add_f32_e32 v13, v13, v179
	v_add_f32_e32 v1, v1, v16
	s_delay_alu instid0(VALU_DEP_1) | instskip(NEXT) | instid1(VALU_DEP_1)
	v_add_f32_e32 v1, v1, v17
	v_add_f32_e32 v1, v1, v162
	s_delay_alu instid0(VALU_DEP_1) | instskip(NEXT) | instid1(VALU_DEP_1)
	;; [unrolled: 3-line block ×5, first 2 shown]
	v_add_f32_e32 v1, v1, v176
	v_add_f32_e32 v6, v1, v178
	scratch_load_b128 v[1:4], off, off offset:424
	v_dual_add_f32 v13, v13, v181 :: v_dual_add_f32 v14, v6, v180
	ds_load_2addr_b64 v[5:8], v21 offset0:113 offset1:114
	v_add_f32_e32 v18, v13, v183
	v_add_f32_e32 v14, v14, v182
	s_delay_alu instid0(VALU_DEP_2) | instskip(NEXT) | instid1(VALU_DEP_2)
	v_add_f32_e32 v18, v18, v185
	v_add_f32_e32 v17, v14, v184
	ds_load_2addr_b64 v[13:16], v21 offset0:115 offset1:116
	v_add_f32_e32 v18, v18, v187
	s_wait_loadcnt_dscnt 0x201
	v_mul_f32_e32 v32, v5, v10
	s_delay_alu instid0(VALU_DEP_2) | instskip(SKIP_2) | instid1(VALU_DEP_4)
	v_add_f32_e32 v22, v18, v189
	v_dual_mul_f32 v10, v6, v10 :: v_dual_mul_f32 v157, v7, v12
	v_mul_f32_e32 v12, v8, v12
	v_fmac_f32_e32 v32, v6, v9
	s_delay_alu instid0(VALU_DEP_4) | instskip(NEXT) | instid1(VALU_DEP_4)
	v_add_f32_e32 v22, v22, v191
	v_fma_f32 v158, v5, v9, -v10
	v_fmac_f32_e32 v157, v8, v11
	v_fma_f32 v160, v7, v11, -v12
	scratch_load_b128 v[5:8], off, off offset:440
	v_add_f32_e32 v22, v22, v193
	scratch_load_b128 v[9:12], off, off offset:456
	s_wait_loadcnt_dscnt 0x200
	v_dual_add_f32 v22, v22, v195 :: v_dual_mul_f32 v161, v13, v2
	v_mul_f32_e32 v2, v14, v2
	v_mul_f32_e32 v162, v15, v4
	s_delay_alu instid0(VALU_DEP_3) | instskip(NEXT) | instid1(VALU_DEP_3)
	v_dual_mul_f32 v4, v16, v4 :: v_dual_fmac_f32 v161, v14, v1
	v_fma_f32 v163, v13, v1, -v2
	v_add_f32_e32 v13, v22, v197
	s_delay_alu instid0(VALU_DEP_3) | instskip(SKIP_4) | instid1(VALU_DEP_2)
	v_fma_f32 v164, v15, v3, -v4
	v_fmac_f32_e32 v162, v16, v3
	ds_load_2addr_b64 v[1:4], v21 offset0:117 offset1:118
	v_add_f32_e32 v22, v13, v199
	v_add_f32_e32 v17, v17, v186
	;; [unrolled: 1-line block ×3, first 2 shown]
	s_delay_alu instid0(VALU_DEP_1) | instskip(NEXT) | instid1(VALU_DEP_1)
	v_add_f32_e32 v166, v29, v203
	v_add_f32_e32 v32, v166, v32
	s_delay_alu instid0(VALU_DEP_1) | instskip(NEXT) | instid1(VALU_DEP_1)
	v_dual_add_f32 v32, v32, v157 :: v_dual_add_f32 v17, v17, v188
	v_dual_add_f32 v32, v32, v161 :: v_dual_add_f32 v17, v17, v190
	s_delay_alu instid0(VALU_DEP_1) | instskip(SKIP_2) | instid1(VALU_DEP_1)
	v_dual_add_f32 v32, v32, v162 :: v_dual_add_f32 v23, v17, v192
	scratch_load_b128 v[17:20], off, off offset:472
	v_add_f32_e32 v23, v23, v194
	v_add_f32_e32 v23, v23, v196
	s_delay_alu instid0(VALU_DEP_1) | instskip(NEXT) | instid1(VALU_DEP_1)
	v_add_f32_e32 v23, v23, v198
	v_add_f32_e32 v14, v23, v200
	ds_load_2addr_b64 v[22:25], v21 offset0:121 offset1:122
	v_add_f32_e32 v28, v14, v202
	ds_load_2addr_b64 v[13:16], v21 offset0:119 offset1:120
	s_wait_loadcnt_dscnt 0x100
	v_mul_f32_e32 v161, v15, v12
	s_delay_alu instid0(VALU_DEP_1) | instskip(SKIP_3) | instid1(VALU_DEP_1)
	v_fmac_f32_e32 v161, v16, v11
	v_add_f32_e32 v165, v28, v204
	ds_load_b64 v[28:29], v21 offset:984
	v_add_f32_e32 v158, v165, v158
	v_add_f32_e32 v158, v158, v160
	v_mul_f32_e32 v160, v13, v10
	s_delay_alu instid0(VALU_DEP_2) | instskip(NEXT) | instid1(VALU_DEP_2)
	v_add_f32_e32 v158, v158, v163
	v_fmac_f32_e32 v160, v14, v9
	s_delay_alu instid0(VALU_DEP_2) | instskip(SKIP_2) | instid1(VALU_DEP_1)
	v_add_f32_e32 v158, v158, v164
	s_wait_dscnt 0x0
	v_mul_f32_e32 v162, v28, v27
	v_fmac_f32_e32 v162, v29, v26
	s_wait_loadcnt 0x0
	v_dual_mul_f32 v163, v22, v18 :: v_dual_mul_f32 v164, v24, v20
	s_delay_alu instid0(VALU_DEP_1) | instskip(SKIP_2) | instid1(VALU_DEP_4)
	v_fmac_f32_e32 v163, v23, v17
	v_mul_f32_e32 v157, v3, v8
	v_mul_f32_e32 v8, v4, v8
	v_fmac_f32_e32 v164, v25, v19
	s_delay_alu instid0(VALU_DEP_3) | instskip(SKIP_2) | instid1(VALU_DEP_2)
	v_fmac_f32_e32 v157, v4, v7
	v_mul_f32_e32 v165, v1, v6
	v_mul_f32_e32 v6, v2, v6
	v_fmac_f32_e32 v165, v2, v5
	s_delay_alu instid0(VALU_DEP_2) | instskip(SKIP_1) | instid1(VALU_DEP_3)
	v_fma_f32 v1, v1, v5, -v6
	v_fma_f32 v2, v3, v7, -v8
	v_dual_mul_f32 v3, v14, v10 :: v_dual_add_f32 v4, v32, v165
	s_delay_alu instid0(VALU_DEP_3) | instskip(NEXT) | instid1(VALU_DEP_2)
	v_add_f32_e32 v1, v158, v1
	v_fma_f32 v3, v13, v9, -v3
	s_delay_alu instid0(VALU_DEP_2) | instskip(SKIP_1) | instid1(VALU_DEP_2)
	v_dual_add_f32 v1, v1, v2 :: v_dual_add_f32 v2, v4, v157
	v_mul_f32_e32 v4, v23, v18
	v_add_f32_e32 v2, v2, v160
	s_delay_alu instid0(VALU_DEP_2) | instskip(NEXT) | instid1(VALU_DEP_2)
	v_fma_f32 v4, v22, v17, -v4
	v_add_f32_e32 v2, v2, v161
	s_delay_alu instid0(VALU_DEP_1) | instskip(NEXT) | instid1(VALU_DEP_1)
	v_add_f32_e32 v2, v2, v163
	v_add_f32_e32 v2, v2, v164
	v_mul_f32_e32 v5, v16, v12
	v_add_f32_e32 v1, v1, v3
	s_delay_alu instid0(VALU_DEP_3) | instskip(NEXT) | instid1(VALU_DEP_3)
	v_dual_mul_f32 v3, v25, v20 :: v_dual_add_f32 v2, v2, v162
	v_fma_f32 v5, v15, v11, -v5
	s_delay_alu instid0(VALU_DEP_2) | instskip(NEXT) | instid1(VALU_DEP_2)
	v_fma_f32 v3, v24, v19, -v3
	v_dual_sub_f32 v2, v31, v2 :: v_dual_add_f32 v1, v1, v5
	v_mul_f32_e32 v5, v29, v27
	s_delay_alu instid0(VALU_DEP_2) | instskip(NEXT) | instid1(VALU_DEP_2)
	v_add_f32_e32 v1, v1, v4
	v_fma_f32 v4, v28, v26, -v5
	s_delay_alu instid0(VALU_DEP_2) | instskip(NEXT) | instid1(VALU_DEP_1)
	v_add_f32_e32 v1, v1, v3
	v_add_f32_e32 v1, v1, v4
	s_delay_alu instid0(VALU_DEP_1)
	v_sub_f32_e32 v1, v30, v1
	scratch_store_b64 off, v[1:2], off offset:144
	v_cmpx_lt_u32_e32 17, v0
	s_cbranch_execz .LBB125_351
; %bb.350:
	scratch_load_b64 v[1:2], off, off offset:136
	v_mov_b32_e32 v22, v21
	scratch_store_b64 off, v[21:22], off offset:136
	s_wait_loadcnt 0x0
	ds_store_b64 v159, v[1:2]
.LBB125_351:
	s_wait_alu 0xfffe
	s_or_b32 exec_lo, exec_lo, s0
	s_wait_storecnt_dscnt 0x0
	s_barrier_signal -1
	s_barrier_wait -1
	global_inv scope:SCOPE_SE
	s_clause 0x4
	scratch_load_b128 v[5:8], off, off offset:144
	scratch_load_b128 v[1:4], off, off offset:160
	;; [unrolled: 1-line block ×5, first 2 shown]
	ds_load_b128 v[22:25], v21 offset:640
	ds_load_b128 v[26:29], v21 offset:656
	;; [unrolled: 1-line block ×3, first 2 shown]
	scratch_load_b64 v[30:31], off, off offset:136
	s_mov_b32 s0, exec_lo
	s_wait_loadcnt_dscnt 0x502
	v_mul_f32_e32 v32, v23, v6
	v_dual_mul_f32 v157, v22, v6 :: v_dual_mul_f32 v158, v24, v8
	v_mul_f32_e32 v6, v25, v8
	s_wait_loadcnt_dscnt 0x300
	v_mul_f32_e32 v164, v162, v12
	v_mul_f32_e32 v12, v163, v12
	v_dual_fmac_f32 v157, v23, v5 :: v_dual_fmac_f32 v158, v25, v7
	v_fma_f32 v23, v24, v7, -v6
	v_mul_f32_e32 v25, v28, v4
	v_fma_f32 v22, v22, v5, -v32
	ds_load_b128 v[5:8], v21 offset:688
	v_mul_f32_e32 v24, v26, v2
	v_mul_f32_e32 v4, v29, v4
	;; [unrolled: 1-line block ×4, first 2 shown]
	v_dual_mul_f32 v2, v27, v2 :: v_dual_fmac_f32 v25, v29, v3
	v_fmac_f32_e32 v24, v27, v1
	v_fma_f32 v27, v28, v3, -v4
	v_fmac_f32_e32 v32, v161, v9
	v_fma_f32 v28, v160, v9, -v10
	v_fmac_f32_e32 v164, v163, v11
	v_fma_f32 v29, v162, v11, -v12
	ds_load_b128 v[9:12], v21 offset:704
	s_wait_loadcnt_dscnt 0x201
	v_dual_mul_f32 v161, v7, v16 :: v_dual_mul_f32 v160, v5, v14
	v_mul_f32_e32 v14, v6, v14
	v_mul_f32_e32 v16, v8, v16
	s_delay_alu instid0(VALU_DEP_3)
	v_fmac_f32_e32 v161, v8, v15
	v_fma_f32 v26, v26, v1, -v2
	scratch_load_b128 v[1:4], off, off offset:224
	v_fmac_f32_e32 v160, v6, v13
	v_fma_f32 v13, v5, v13, -v14
	v_fma_f32 v14, v7, v15, -v16
	ds_load_b128 v[5:8], v21 offset:720
	s_wait_loadcnt_dscnt 0x201
	v_mul_f32_e32 v15, v9, v18
	v_mul_f32_e32 v16, v10, v18
	;; [unrolled: 1-line block ×3, first 2 shown]
	s_delay_alu instid0(VALU_DEP_3) | instskip(NEXT) | instid1(VALU_DEP_3)
	v_dual_mul_f32 v20, v12, v20 :: v_dual_fmac_f32 v15, v10, v17
	v_fma_f32 v16, v9, v17, -v16
	s_delay_alu instid0(VALU_DEP_3) | instskip(NEXT) | instid1(VALU_DEP_3)
	v_fmac_f32_e32 v18, v12, v19
	v_fma_f32 v17, v11, v19, -v20
	scratch_load_b128 v[9:12], off, off offset:240
	s_wait_loadcnt_dscnt 0x100
	v_mul_f32_e32 v19, v5, v2
	v_mul_f32_e32 v2, v6, v2
	;; [unrolled: 1-line block ×3, first 2 shown]
	s_delay_alu instid0(VALU_DEP_3) | instskip(NEXT) | instid1(VALU_DEP_3)
	v_dual_mul_f32 v4, v8, v4 :: v_dual_fmac_f32 v19, v6, v1
	v_fma_f32 v162, v5, v1, -v2
	s_delay_alu instid0(VALU_DEP_3) | instskip(NEXT) | instid1(VALU_DEP_3)
	v_fmac_f32_e32 v20, v8, v3
	v_fma_f32 v163, v7, v3, -v4
	ds_load_b128 v[1:4], v21 offset:736
	ds_load_b128 v[5:8], v21 offset:752
	s_wait_loadcnt_dscnt 0x1
	v_mul_f32_e32 v165, v1, v10
	v_mul_f32_e32 v10, v2, v10
	s_delay_alu instid0(VALU_DEP_2) | instskip(NEXT) | instid1(VALU_DEP_2)
	v_dual_mul_f32 v166, v3, v12 :: v_dual_fmac_f32 v165, v2, v9
	v_fma_f32 v167, v1, v9, -v10
	v_mul_f32_e32 v1, v4, v12
	s_delay_alu instid0(VALU_DEP_3) | instskip(NEXT) | instid1(VALU_DEP_2)
	v_fmac_f32_e32 v166, v4, v11
	v_fma_f32 v168, v3, v11, -v1
	s_clause 0x1
	scratch_load_b128 v[1:4], off, off offset:256
	scratch_load_b128 v[9:12], off, off offset:272
	s_wait_loadcnt_dscnt 0x100
	v_mul_f32_e32 v169, v5, v2
	v_dual_mul_f32 v2, v6, v2 :: v_dual_mul_f32 v171, v7, v4
	s_delay_alu instid0(VALU_DEP_2) | instskip(NEXT) | instid1(VALU_DEP_2)
	v_fmac_f32_e32 v169, v6, v1
	v_fma_f32 v170, v5, v1, -v2
	v_mul_f32_e32 v1, v8, v4
	s_delay_alu instid0(VALU_DEP_4) | instskip(NEXT) | instid1(VALU_DEP_2)
	v_fmac_f32_e32 v171, v8, v3
	v_fma_f32 v172, v7, v3, -v1
	ds_load_b128 v[1:4], v21 offset:768
	ds_load_b128 v[5:8], v21 offset:784
	s_wait_loadcnt_dscnt 0x1
	v_mul_f32_e32 v173, v1, v10
	v_mul_f32_e32 v175, v3, v12
	s_delay_alu instid0(VALU_DEP_2) | instskip(NEXT) | instid1(VALU_DEP_2)
	v_fmac_f32_e32 v173, v2, v9
	v_dual_mul_f32 v2, v2, v10 :: v_dual_fmac_f32 v175, v4, v11
	s_delay_alu instid0(VALU_DEP_1) | instskip(SKIP_1) | instid1(VALU_DEP_1)
	v_fma_f32 v174, v1, v9, -v2
	v_mul_f32_e32 v1, v4, v12
	v_fma_f32 v176, v3, v11, -v1
	s_clause 0x1
	scratch_load_b128 v[1:4], off, off offset:288
	scratch_load_b128 v[9:12], off, off offset:304
	s_wait_loadcnt_dscnt 0x100
	v_mul_f32_e32 v177, v5, v2
	v_dual_mul_f32 v2, v6, v2 :: v_dual_mul_f32 v179, v7, v4
	s_delay_alu instid0(VALU_DEP_2) | instskip(NEXT) | instid1(VALU_DEP_2)
	v_fmac_f32_e32 v177, v6, v1
	v_fma_f32 v178, v5, v1, -v2
	v_mul_f32_e32 v1, v8, v4
	s_delay_alu instid0(VALU_DEP_4) | instskip(NEXT) | instid1(VALU_DEP_2)
	v_fmac_f32_e32 v179, v8, v3
	v_fma_f32 v180, v7, v3, -v1
	ds_load_b128 v[1:4], v21 offset:800
	ds_load_b128 v[5:8], v21 offset:816
	s_wait_loadcnt_dscnt 0x1
	v_mul_f32_e32 v181, v1, v10
	v_mul_f32_e32 v183, v3, v12
	s_delay_alu instid0(VALU_DEP_2) | instskip(NEXT) | instid1(VALU_DEP_2)
	v_fmac_f32_e32 v181, v2, v9
	v_dual_mul_f32 v2, v2, v10 :: v_dual_fmac_f32 v183, v4, v11
	s_delay_alu instid0(VALU_DEP_1) | instskip(SKIP_1) | instid1(VALU_DEP_1)
	v_fma_f32 v182, v1, v9, -v2
	v_mul_f32_e32 v1, v4, v12
	;; [unrolled: 25-line block ×5, first 2 shown]
	v_fma_f32 v208, v3, v11, -v1
	s_clause 0x1
	scratch_load_b128 v[1:4], off, off offset:416
	scratch_load_b128 v[9:12], off, off offset:432
	s_wait_loadcnt_dscnt 0x100
	v_mul_f32_e32 v209, v5, v2
	v_mul_f32_e32 v2, v6, v2
	s_delay_alu instid0(VALU_DEP_1) | instskip(SKIP_1) | instid1(VALU_DEP_1)
	v_fma_f32 v210, v5, v1, -v2
	v_add_f32_e32 v2, 0, v157
	v_add_f32_e32 v2, v2, v158
	s_delay_alu instid0(VALU_DEP_1) | instskip(NEXT) | instid1(VALU_DEP_1)
	v_add_f32_e32 v2, v2, v24
	v_add_f32_e32 v2, v2, v25
	s_delay_alu instid0(VALU_DEP_1) | instskip(NEXT) | instid1(VALU_DEP_1)
	;; [unrolled: 3-line block ×8, first 2 shown]
	v_add_f32_e32 v2, v2, v173
	v_add_f32_e32 v2, v2, v175
	v_fmac_f32_e32 v209, v6, v1
	s_delay_alu instid0(VALU_DEP_2) | instskip(NEXT) | instid1(VALU_DEP_1)
	v_dual_mul_f32 v211, v7, v4 :: v_dual_add_f32 v2, v2, v177
	v_dual_mul_f32 v1, v8, v4 :: v_dual_add_f32 v2, v2, v179
	s_delay_alu instid0(VALU_DEP_1) | instskip(SKIP_1) | instid1(VALU_DEP_3)
	v_fma_f32 v212, v7, v3, -v1
	v_add_f32_e32 v1, 0, v22
	v_add_f32_e32 v5, v2, v181
	s_delay_alu instid0(VALU_DEP_2) | instskip(NEXT) | instid1(VALU_DEP_2)
	v_add_f32_e32 v1, v1, v23
	v_add_f32_e32 v5, v5, v183
	s_delay_alu instid0(VALU_DEP_2) | instskip(NEXT) | instid1(VALU_DEP_1)
	v_add_f32_e32 v1, v1, v26
	v_add_f32_e32 v1, v1, v27
	s_delay_alu instid0(VALU_DEP_1) | instskip(NEXT) | instid1(VALU_DEP_1)
	v_add_f32_e32 v1, v1, v28
	v_add_f32_e32 v1, v1, v29
	s_delay_alu instid0(VALU_DEP_1) | instskip(NEXT) | instid1(VALU_DEP_1)
	;; [unrolled: 3-line block ×9, first 2 shown]
	v_add_f32_e32 v1, v1, v182
	v_dual_add_f32 v6, v1, v184 :: v_dual_fmac_f32 v211, v8, v3
	ds_load_b128 v[1:4], v21 offset:928
	v_dual_add_f32 v5, v5, v185 :: v_dual_add_f32 v6, v6, v186
	s_delay_alu instid0(VALU_DEP_1) | instskip(SKIP_2) | instid1(VALU_DEP_1)
	v_dual_add_f32 v14, v5, v187 :: v_dual_add_f32 v13, v6, v188
	ds_load_b128 v[5:8], v21 offset:944
	v_dual_add_f32 v14, v14, v189 :: v_dual_add_f32 v13, v13, v190
	v_dual_add_f32 v14, v14, v191 :: v_dual_add_f32 v13, v13, v192
	s_wait_loadcnt_dscnt 0x1
	v_dual_mul_f32 v25, v1, v10 :: v_dual_mul_f32 v26, v3, v12
	v_mul_f32_e32 v10, v2, v10
	s_delay_alu instid0(VALU_DEP_3) | instskip(NEXT) | instid1(VALU_DEP_3)
	v_dual_mul_f32 v12, v4, v12 :: v_dual_add_f32 v13, v13, v194
	v_dual_fmac_f32 v25, v2, v9 :: v_dual_fmac_f32 v26, v4, v11
	s_delay_alu instid0(VALU_DEP_3) | instskip(NEXT) | instid1(VALU_DEP_3)
	v_fma_f32 v27, v1, v9, -v10
	v_fma_f32 v28, v3, v11, -v12
	s_clause 0x1
	scratch_load_b128 v[1:4], off, off offset:448
	scratch_load_b128 v[9:12], off, off offset:464
	v_dual_add_f32 v17, v14, v193 :: v_dual_add_f32 v18, v13, v196
	scratch_load_b128 v[13:16], off, off offset:480
	v_dual_add_f32 v17, v17, v195 :: v_dual_add_f32 v18, v18, v198
	s_delay_alu instid0(VALU_DEP_1) | instskip(NEXT) | instid1(VALU_DEP_1)
	v_dual_add_f32 v17, v17, v197 :: v_dual_add_f32 v18, v18, v200
	v_dual_add_f32 v17, v17, v199 :: v_dual_add_f32 v22, v18, v202
	s_delay_alu instid0(VALU_DEP_1) | instskip(SKIP_2) | instid1(VALU_DEP_1)
	v_add_f32_e32 v23, v17, v201
	ds_load_b128 v[17:20], v21 offset:960
	v_add_f32_e32 v32, v23, v203
	v_add_f32_e32 v32, v32, v205
	s_delay_alu instid0(VALU_DEP_1) | instskip(NEXT) | instid1(VALU_DEP_1)
	v_add_f32_e32 v32, v32, v207
	v_add_f32_e32 v32, v32, v209
	s_delay_alu instid0(VALU_DEP_1) | instskip(NEXT) | instid1(VALU_DEP_1)
	v_add_f32_e32 v32, v32, v211
	v_add_f32_e32 v25, v32, v25
	s_wait_loadcnt_dscnt 0x201
	v_mul_f32_e32 v157, v5, v2
	v_mul_f32_e32 v2, v6, v2
	;; [unrolled: 1-line block ×4, first 2 shown]
	s_wait_loadcnt_dscnt 0x100
	v_dual_mul_f32 v160, v17, v10 :: v_dual_fmac_f32 v157, v6, v1
	v_fma_f32 v2, v5, v1, -v2
	v_add_f32_e32 v5, v25, v26
	v_add_f32_e32 v29, v22, v204
	ds_load_b128 v[21:24], v21 offset:976
	v_mul_f32_e32 v6, v18, v10
	v_fmac_f32_e32 v158, v8, v3
	v_fma_f32 v3, v7, v3, -v4
	v_add_f32_e32 v29, v29, v206
	v_mul_f32_e32 v161, v19, v12
	v_mul_f32_e32 v4, v20, v12
	s_delay_alu instid0(VALU_DEP_3) | instskip(NEXT) | instid1(VALU_DEP_3)
	v_dual_fmac_f32 v160, v18, v9 :: v_dual_add_f32 v29, v29, v208
	v_fmac_f32_e32 v161, v20, v11
	s_delay_alu instid0(VALU_DEP_3) | instskip(NEXT) | instid1(VALU_DEP_3)
	v_fma_f32 v4, v19, v11, -v4
	v_add_f32_e32 v29, v29, v210
	s_delay_alu instid0(VALU_DEP_1) | instskip(SKIP_2) | instid1(VALU_DEP_2)
	v_add_f32_e32 v29, v29, v212
	s_wait_loadcnt_dscnt 0x0
	v_mul_f32_e32 v162, v21, v14
	v_add_f32_e32 v27, v29, v27
	s_delay_alu instid0(VALU_DEP_2) | instskip(NEXT) | instid1(VALU_DEP_2)
	v_dual_mul_f32 v29, v23, v16 :: v_dual_fmac_f32 v162, v22, v13
	v_add_f32_e32 v1, v27, v28
	s_delay_alu instid0(VALU_DEP_2) | instskip(NEXT) | instid1(VALU_DEP_2)
	v_fmac_f32_e32 v29, v24, v15
	v_add_f32_e32 v1, v1, v2
	v_add_f32_e32 v2, v5, v157
	v_fma_f32 v5, v17, v9, -v6
	s_delay_alu instid0(VALU_DEP_2) | instskip(SKIP_1) | instid1(VALU_DEP_2)
	v_dual_add_f32 v1, v1, v3 :: v_dual_add_f32 v2, v2, v158
	v_mul_f32_e32 v3, v22, v14
	v_dual_add_f32 v1, v1, v5 :: v_dual_add_f32 v2, v2, v160
	v_mul_f32_e32 v5, v24, v16
	s_delay_alu instid0(VALU_DEP_3) | instskip(NEXT) | instid1(VALU_DEP_3)
	v_fma_f32 v3, v21, v13, -v3
	v_dual_add_f32 v1, v1, v4 :: v_dual_add_f32 v2, v2, v161
	s_delay_alu instid0(VALU_DEP_3) | instskip(NEXT) | instid1(VALU_DEP_2)
	v_fma_f32 v4, v23, v15, -v5
	v_dual_add_f32 v1, v1, v3 :: v_dual_add_f32 v2, v2, v162
	s_delay_alu instid0(VALU_DEP_1) | instskip(NEXT) | instid1(VALU_DEP_1)
	v_dual_add_f32 v1, v1, v4 :: v_dual_add_f32 v2, v2, v29
	v_dual_sub_f32 v1, v30, v1 :: v_dual_sub_f32 v2, v31, v2
	scratch_store_b64 off, v[1:2], off offset:136
	v_cmpx_lt_u32_e32 16, v0
	s_cbranch_execz .LBB125_353
; %bb.352:
	scratch_load_b64 v[1:2], off, off offset:128
	v_mov_b32_e32 v3, 0
	s_delay_alu instid0(VALU_DEP_1)
	v_mov_b32_e32 v4, v3
	scratch_store_b64 off, v[3:4], off offset:128
	s_wait_loadcnt 0x0
	ds_store_b64 v159, v[1:2]
.LBB125_353:
	s_wait_alu 0xfffe
	s_or_b32 exec_lo, exec_lo, s0
	s_wait_storecnt_dscnt 0x0
	s_barrier_signal -1
	s_barrier_wait -1
	global_inv scope:SCOPE_SE
	s_clause 0x4
	scratch_load_b128 v[5:8], off, off offset:136
	scratch_load_b128 v[1:4], off, off offset:152
	scratch_load_b128 v[9:12], off, off offset:168
	scratch_load_b128 v[13:16], off, off offset:184
	scratch_load_b128 v[17:20], off, off offset:200
	v_mov_b32_e32 v21, 0
	ds_load_2addr_b64 v[22:25], v21 offset0:79 offset1:80
	ds_load_2addr_b64 v[26:29], v21 offset0:81 offset1:82
	;; [unrolled: 1-line block ×3, first 2 shown]
	scratch_load_b64 v[30:31], off, off offset:128
	s_mov_b32 s0, exec_lo
	s_wait_loadcnt_dscnt 0x502
	v_mul_f32_e32 v32, v23, v6
	v_dual_mul_f32 v157, v22, v6 :: v_dual_mul_f32 v158, v24, v8
	v_mul_f32_e32 v6, v25, v8
	s_wait_loadcnt_dscnt 0x300
	v_mul_f32_e32 v164, v162, v12
	v_fma_f32 v22, v22, v5, -v32
	v_dual_fmac_f32 v157, v23, v5 :: v_dual_fmac_f32 v158, v25, v7
	v_mul_f32_e32 v25, v28, v4
	v_fma_f32 v23, v24, v7, -v6
	ds_load_2addr_b64 v[5:8], v21 offset0:85 offset1:86
	v_mul_f32_e32 v24, v26, v2
	v_mul_f32_e32 v4, v29, v4
	v_mul_f32_e32 v32, v160, v10
	v_mul_f32_e32 v10, v161, v10
	v_mul_f32_e32 v12, v163, v12
	v_dual_mul_f32 v2, v27, v2 :: v_dual_fmac_f32 v25, v29, v3
	v_fmac_f32_e32 v24, v27, v1
	v_fma_f32 v27, v28, v3, -v4
	v_fmac_f32_e32 v32, v161, v9
	v_fma_f32 v28, v160, v9, -v10
	;; [unrolled: 2-line block ×3, first 2 shown]
	ds_load_2addr_b64 v[9:12], v21 offset0:87 offset1:88
	s_wait_loadcnt_dscnt 0x201
	v_dual_mul_f32 v161, v7, v16 :: v_dual_mul_f32 v160, v5, v14
	v_mul_f32_e32 v14, v6, v14
	v_mul_f32_e32 v16, v8, v16
	s_delay_alu instid0(VALU_DEP_3)
	v_fmac_f32_e32 v161, v8, v15
	v_fma_f32 v26, v26, v1, -v2
	scratch_load_b128 v[1:4], off, off offset:216
	v_fmac_f32_e32 v160, v6, v13
	v_fma_f32 v13, v5, v13, -v14
	v_fma_f32 v14, v7, v15, -v16
	ds_load_2addr_b64 v[5:8], v21 offset0:89 offset1:90
	s_wait_loadcnt_dscnt 0x201
	v_mul_f32_e32 v15, v9, v18
	v_mul_f32_e32 v16, v10, v18
	;; [unrolled: 1-line block ×3, first 2 shown]
	s_delay_alu instid0(VALU_DEP_3) | instskip(NEXT) | instid1(VALU_DEP_3)
	v_dual_mul_f32 v20, v12, v20 :: v_dual_fmac_f32 v15, v10, v17
	v_fma_f32 v16, v9, v17, -v16
	s_delay_alu instid0(VALU_DEP_3) | instskip(NEXT) | instid1(VALU_DEP_3)
	v_fmac_f32_e32 v18, v12, v19
	v_fma_f32 v17, v11, v19, -v20
	scratch_load_b128 v[9:12], off, off offset:232
	s_wait_loadcnt_dscnt 0x100
	v_mul_f32_e32 v19, v5, v2
	v_mul_f32_e32 v2, v6, v2
	;; [unrolled: 1-line block ×3, first 2 shown]
	s_delay_alu instid0(VALU_DEP_3) | instskip(NEXT) | instid1(VALU_DEP_3)
	v_dual_mul_f32 v4, v8, v4 :: v_dual_fmac_f32 v19, v6, v1
	v_fma_f32 v162, v5, v1, -v2
	s_delay_alu instid0(VALU_DEP_3) | instskip(NEXT) | instid1(VALU_DEP_3)
	v_fmac_f32_e32 v20, v8, v3
	v_fma_f32 v163, v7, v3, -v4
	ds_load_2addr_b64 v[1:4], v21 offset0:91 offset1:92
	ds_load_2addr_b64 v[5:8], v21 offset0:93 offset1:94
	s_wait_loadcnt_dscnt 0x1
	v_mul_f32_e32 v165, v1, v10
	v_mul_f32_e32 v10, v2, v10
	s_delay_alu instid0(VALU_DEP_2) | instskip(NEXT) | instid1(VALU_DEP_2)
	v_dual_mul_f32 v166, v3, v12 :: v_dual_fmac_f32 v165, v2, v9
	v_fma_f32 v167, v1, v9, -v10
	v_mul_f32_e32 v1, v4, v12
	s_delay_alu instid0(VALU_DEP_3) | instskip(NEXT) | instid1(VALU_DEP_2)
	v_fmac_f32_e32 v166, v4, v11
	v_fma_f32 v168, v3, v11, -v1
	s_clause 0x1
	scratch_load_b128 v[1:4], off, off offset:248
	scratch_load_b128 v[9:12], off, off offset:264
	s_wait_loadcnt_dscnt 0x100
	v_mul_f32_e32 v169, v5, v2
	v_dual_mul_f32 v2, v6, v2 :: v_dual_mul_f32 v171, v7, v4
	s_delay_alu instid0(VALU_DEP_2) | instskip(NEXT) | instid1(VALU_DEP_2)
	v_fmac_f32_e32 v169, v6, v1
	v_fma_f32 v170, v5, v1, -v2
	v_mul_f32_e32 v1, v8, v4
	s_delay_alu instid0(VALU_DEP_4) | instskip(NEXT) | instid1(VALU_DEP_2)
	v_fmac_f32_e32 v171, v8, v3
	v_fma_f32 v172, v7, v3, -v1
	ds_load_2addr_b64 v[1:4], v21 offset0:95 offset1:96
	ds_load_2addr_b64 v[5:8], v21 offset0:97 offset1:98
	s_wait_loadcnt_dscnt 0x1
	v_mul_f32_e32 v173, v1, v10
	v_mul_f32_e32 v175, v3, v12
	s_delay_alu instid0(VALU_DEP_2) | instskip(NEXT) | instid1(VALU_DEP_2)
	v_fmac_f32_e32 v173, v2, v9
	v_dual_mul_f32 v2, v2, v10 :: v_dual_fmac_f32 v175, v4, v11
	s_delay_alu instid0(VALU_DEP_1) | instskip(SKIP_1) | instid1(VALU_DEP_1)
	v_fma_f32 v174, v1, v9, -v2
	v_mul_f32_e32 v1, v4, v12
	v_fma_f32 v176, v3, v11, -v1
	s_clause 0x1
	scratch_load_b128 v[1:4], off, off offset:280
	scratch_load_b128 v[9:12], off, off offset:296
	s_wait_loadcnt_dscnt 0x100
	v_mul_f32_e32 v177, v5, v2
	v_dual_mul_f32 v2, v6, v2 :: v_dual_mul_f32 v179, v7, v4
	s_delay_alu instid0(VALU_DEP_2) | instskip(NEXT) | instid1(VALU_DEP_2)
	v_fmac_f32_e32 v177, v6, v1
	v_fma_f32 v178, v5, v1, -v2
	v_mul_f32_e32 v1, v8, v4
	s_delay_alu instid0(VALU_DEP_4) | instskip(NEXT) | instid1(VALU_DEP_2)
	v_fmac_f32_e32 v179, v8, v3
	v_fma_f32 v180, v7, v3, -v1
	ds_load_2addr_b64 v[1:4], v21 offset0:99 offset1:100
	ds_load_2addr_b64 v[5:8], v21 offset0:101 offset1:102
	s_wait_loadcnt_dscnt 0x1
	v_mul_f32_e32 v181, v1, v10
	v_mul_f32_e32 v183, v3, v12
	s_delay_alu instid0(VALU_DEP_2) | instskip(NEXT) | instid1(VALU_DEP_2)
	v_fmac_f32_e32 v181, v2, v9
	v_dual_mul_f32 v2, v2, v10 :: v_dual_fmac_f32 v183, v4, v11
	s_delay_alu instid0(VALU_DEP_1) | instskip(SKIP_1) | instid1(VALU_DEP_1)
	v_fma_f32 v182, v1, v9, -v2
	v_mul_f32_e32 v1, v4, v12
	v_fma_f32 v184, v3, v11, -v1
	s_clause 0x1
	scratch_load_b128 v[1:4], off, off offset:312
	scratch_load_b128 v[9:12], off, off offset:328
	s_wait_loadcnt_dscnt 0x100
	v_mul_f32_e32 v185, v5, v2
	v_dual_mul_f32 v2, v6, v2 :: v_dual_mul_f32 v187, v7, v4
	s_delay_alu instid0(VALU_DEP_1) | instskip(NEXT) | instid1(VALU_DEP_2)
	v_fma_f32 v186, v5, v1, -v2
	v_fmac_f32_e32 v187, v8, v3
	s_delay_alu instid0(VALU_DEP_4) | instskip(SKIP_1) | instid1(VALU_DEP_1)
	v_fmac_f32_e32 v185, v6, v1
	v_mul_f32_e32 v1, v8, v4
	v_fma_f32 v188, v7, v3, -v1
	ds_load_2addr_b64 v[1:4], v21 offset0:103 offset1:104
	ds_load_2addr_b64 v[5:8], v21 offset0:105 offset1:106
	s_wait_loadcnt_dscnt 0x1
	v_mul_f32_e32 v189, v1, v10
	v_mul_f32_e32 v191, v3, v12
	s_delay_alu instid0(VALU_DEP_2) | instskip(NEXT) | instid1(VALU_DEP_2)
	v_fmac_f32_e32 v189, v2, v9
	v_dual_mul_f32 v2, v2, v10 :: v_dual_fmac_f32 v191, v4, v11
	s_delay_alu instid0(VALU_DEP_1) | instskip(SKIP_1) | instid1(VALU_DEP_1)
	v_fma_f32 v190, v1, v9, -v2
	v_mul_f32_e32 v1, v4, v12
	v_fma_f32 v192, v3, v11, -v1
	s_clause 0x1
	scratch_load_b128 v[1:4], off, off offset:344
	scratch_load_b128 v[9:12], off, off offset:360
	s_wait_loadcnt_dscnt 0x100
	v_mul_f32_e32 v193, v5, v2
	v_dual_mul_f32 v2, v6, v2 :: v_dual_mul_f32 v195, v7, v4
	s_delay_alu instid0(VALU_DEP_2) | instskip(NEXT) | instid1(VALU_DEP_2)
	v_fmac_f32_e32 v193, v6, v1
	v_fma_f32 v194, v5, v1, -v2
	v_mul_f32_e32 v1, v8, v4
	s_delay_alu instid0(VALU_DEP_4) | instskip(NEXT) | instid1(VALU_DEP_2)
	v_fmac_f32_e32 v195, v8, v3
	v_fma_f32 v196, v7, v3, -v1
	ds_load_2addr_b64 v[1:4], v21 offset0:107 offset1:108
	ds_load_2addr_b64 v[5:8], v21 offset0:109 offset1:110
	s_wait_loadcnt_dscnt 0x1
	v_mul_f32_e32 v197, v1, v10
	v_mul_f32_e32 v199, v3, v12
	s_delay_alu instid0(VALU_DEP_2) | instskip(NEXT) | instid1(VALU_DEP_2)
	v_fmac_f32_e32 v197, v2, v9
	v_dual_mul_f32 v2, v2, v10 :: v_dual_fmac_f32 v199, v4, v11
	s_delay_alu instid0(VALU_DEP_1) | instskip(SKIP_1) | instid1(VALU_DEP_1)
	v_fma_f32 v198, v1, v9, -v2
	v_mul_f32_e32 v1, v4, v12
	v_fma_f32 v200, v3, v11, -v1
	s_clause 0x1
	scratch_load_b128 v[1:4], off, off offset:376
	scratch_load_b128 v[9:12], off, off offset:392
	s_wait_loadcnt_dscnt 0x100
	v_mul_f32_e32 v201, v5, v2
	v_dual_mul_f32 v2, v6, v2 :: v_dual_mul_f32 v203, v7, v4
	s_delay_alu instid0(VALU_DEP_1) | instskip(NEXT) | instid1(VALU_DEP_2)
	v_fma_f32 v202, v5, v1, -v2
	v_fmac_f32_e32 v203, v8, v3
	s_delay_alu instid0(VALU_DEP_4) | instskip(SKIP_1) | instid1(VALU_DEP_1)
	v_fmac_f32_e32 v201, v6, v1
	v_mul_f32_e32 v1, v8, v4
	v_fma_f32 v204, v7, v3, -v1
	ds_load_2addr_b64 v[1:4], v21 offset0:111 offset1:112
	ds_load_2addr_b64 v[5:8], v21 offset0:113 offset1:114
	s_wait_loadcnt_dscnt 0x1
	v_mul_f32_e32 v205, v1, v10
	v_mul_f32_e32 v207, v3, v12
	s_delay_alu instid0(VALU_DEP_1) | instskip(NEXT) | instid1(VALU_DEP_3)
	v_fmac_f32_e32 v207, v4, v11
	v_fmac_f32_e32 v205, v2, v9
	v_mul_f32_e32 v2, v2, v10
	s_delay_alu instid0(VALU_DEP_1) | instskip(SKIP_1) | instid1(VALU_DEP_1)
	v_fma_f32 v206, v1, v9, -v2
	v_mul_f32_e32 v1, v4, v12
	v_fma_f32 v208, v3, v11, -v1
	s_clause 0x1
	scratch_load_b128 v[1:4], off, off offset:408
	scratch_load_b128 v[9:12], off, off offset:424
	s_wait_loadcnt_dscnt 0x100
	v_mul_f32_e32 v209, v5, v2
	v_mul_f32_e32 v2, v6, v2
	s_delay_alu instid0(VALU_DEP_1) | instskip(SKIP_1) | instid1(VALU_DEP_1)
	v_fma_f32 v210, v5, v1, -v2
	v_add_f32_e32 v2, 0, v157
	v_add_f32_e32 v2, v2, v158
	s_delay_alu instid0(VALU_DEP_1) | instskip(NEXT) | instid1(VALU_DEP_1)
	v_add_f32_e32 v2, v2, v24
	v_add_f32_e32 v2, v2, v25
	s_delay_alu instid0(VALU_DEP_1) | instskip(NEXT) | instid1(VALU_DEP_1)
	;; [unrolled: 3-line block ×8, first 2 shown]
	v_add_f32_e32 v2, v2, v173
	v_add_f32_e32 v2, v2, v175
	v_fmac_f32_e32 v209, v6, v1
	s_delay_alu instid0(VALU_DEP_2) | instskip(NEXT) | instid1(VALU_DEP_1)
	v_dual_mul_f32 v211, v7, v4 :: v_dual_add_f32 v2, v2, v177
	v_dual_mul_f32 v1, v8, v4 :: v_dual_add_f32 v2, v2, v179
	s_delay_alu instid0(VALU_DEP_1) | instskip(SKIP_1) | instid1(VALU_DEP_1)
	v_fma_f32 v212, v7, v3, -v1
	v_add_f32_e32 v1, 0, v22
	v_add_f32_e32 v1, v1, v23
	s_delay_alu instid0(VALU_DEP_1) | instskip(NEXT) | instid1(VALU_DEP_1)
	v_add_f32_e32 v1, v1, v26
	v_add_f32_e32 v1, v1, v27
	scratch_load_b64 v[26:27], off, off offset:488
	v_add_f32_e32 v1, v1, v28
	s_delay_alu instid0(VALU_DEP_1) | instskip(NEXT) | instid1(VALU_DEP_1)
	v_add_f32_e32 v1, v1, v29
	v_add_f32_e32 v1, v1, v13
	s_delay_alu instid0(VALU_DEP_1) | instskip(NEXT) | instid1(VALU_DEP_1)
	v_add_f32_e32 v1, v1, v14
	;; [unrolled: 3-line block ×8, first 2 shown]
	v_add_f32_e32 v1, v1, v182
	s_delay_alu instid0(VALU_DEP_1) | instskip(NEXT) | instid1(VALU_DEP_1)
	v_dual_add_f32 v6, v1, v184 :: v_dual_fmac_f32 v211, v8, v3
	v_add_f32_e32 v6, v6, v186
	s_delay_alu instid0(VALU_DEP_1) | instskip(NEXT) | instid1(VALU_DEP_1)
	v_add_f32_e32 v13, v6, v188
	v_add_f32_e32 v13, v13, v190
	s_delay_alu instid0(VALU_DEP_1) | instskip(NEXT) | instid1(VALU_DEP_1)
	v_add_f32_e32 v13, v13, v192
	;; [unrolled: 3-line block ×6, first 2 shown]
	v_add_f32_e32 v161, v161, v210
	s_delay_alu instid0(VALU_DEP_1) | instskip(SKIP_3) | instid1(VALU_DEP_1)
	v_add_f32_e32 v161, v161, v212
	v_add_f32_e32 v5, v2, v181
	ds_load_2addr_b64 v[1:4], v21 offset0:115 offset1:116
	v_add_f32_e32 v5, v5, v183
	v_add_f32_e32 v5, v5, v185
	s_delay_alu instid0(VALU_DEP_1)
	v_add_f32_e32 v14, v5, v187
	ds_load_2addr_b64 v[5:8], v21 offset0:117 offset1:118
	s_wait_loadcnt_dscnt 0x101
	v_mul_f32_e32 v32, v1, v10
	v_dual_add_f32 v14, v14, v189 :: v_dual_mul_f32 v157, v3, v12
	v_mul_f32_e32 v12, v4, v12
	v_mul_f32_e32 v10, v2, v10
	s_delay_alu instid0(VALU_DEP_4) | instskip(NEXT) | instid1(VALU_DEP_4)
	v_fmac_f32_e32 v32, v2, v9
	v_add_f32_e32 v14, v14, v191
	s_delay_alu instid0(VALU_DEP_4) | instskip(NEXT) | instid1(VALU_DEP_4)
	v_fma_f32 v160, v3, v11, -v12
	v_fma_f32 v158, v1, v9, -v10
	s_delay_alu instid0(VALU_DEP_3) | instskip(SKIP_2) | instid1(VALU_DEP_1)
	v_add_f32_e32 v17, v14, v193
	scratch_load_b128 v[13:16], off, off offset:472
	v_add_f32_e32 v158, v161, v158
	v_dual_add_f32 v17, v17, v195 :: v_dual_add_f32 v158, v158, v160
	s_delay_alu instid0(VALU_DEP_1) | instskip(NEXT) | instid1(VALU_DEP_1)
	v_add_f32_e32 v17, v17, v197
	v_add_f32_e32 v17, v17, v199
	s_delay_alu instid0(VALU_DEP_1) | instskip(NEXT) | instid1(VALU_DEP_1)
	v_add_f32_e32 v17, v17, v201
	v_add_f32_e32 v22, v17, v203
	ds_load_2addr_b64 v[17:20], v21 offset0:119 offset1:120
	v_add_f32_e32 v29, v22, v205
	ds_load_2addr_b64 v[22:25], v21 offset0:121 offset1:122
	v_add_f32_e32 v162, v29, v207
	ds_load_b64 v[28:29], v21 offset:984
	s_wait_loadcnt_dscnt 0x1
	v_dual_mul_f32 v160, v24, v16 :: v_dual_mul_f32 v165, v22, v14
	s_delay_alu instid0(VALU_DEP_1)
	v_fmac_f32_e32 v160, v25, v15
	v_fmac_f32_e32 v157, v4, v11
	s_clause 0x1
	scratch_load_b128 v[1:4], off, off offset:440
	scratch_load_b128 v[9:12], off, off offset:456
	v_fmac_f32_e32 v165, v23, v13
	s_wait_loadcnt 0x1
	v_mul_f32_e32 v164, v7, v4
	v_dual_add_f32 v162, v162, v209 :: v_dual_mul_f32 v163, v5, v2
	v_mul_f32_e32 v2, v6, v2
	s_wait_loadcnt 0x0
	v_dual_mul_f32 v4, v8, v4 :: v_dual_mul_f32 v161, v17, v10
	s_delay_alu instid0(VALU_DEP_3)
	v_add_f32_e32 v162, v162, v211
	v_fmac_f32_e32 v163, v6, v1
	v_fma_f32 v2, v5, v1, -v2
	v_fmac_f32_e32 v164, v8, v3
	v_fma_f32 v1, v7, v3, -v4
	v_add_f32_e32 v32, v162, v32
	v_mul_f32_e32 v3, v18, v10
	v_add_f32_e32 v2, v158, v2
	v_mul_f32_e32 v162, v19, v12
	v_mul_f32_e32 v5, v20, v12
	v_add_f32_e32 v32, v32, v157
	v_fmac_f32_e32 v161, v18, v9
	v_fma_f32 v3, v17, v9, -v3
	v_dual_add_f32 v1, v2, v1 :: v_dual_fmac_f32 v162, v20, v11
	s_delay_alu instid0(VALU_DEP_4)
	v_add_f32_e32 v4, v32, v163
	v_fma_f32 v5, v19, v11, -v5
	s_wait_dscnt 0x0
	v_mul_f32_e32 v157, v28, v27
	v_add_f32_e32 v1, v1, v3
	v_mul_f32_e32 v3, v25, v16
	v_add_f32_e32 v2, v4, v164
	v_mul_f32_e32 v4, v23, v14
	v_fmac_f32_e32 v157, v29, v26
	v_add_f32_e32 v1, v1, v5
	s_delay_alu instid0(VALU_DEP_4) | instskip(NEXT) | instid1(VALU_DEP_4)
	v_dual_mul_f32 v5, v29, v27 :: v_dual_add_f32 v2, v2, v161
	v_fma_f32 v4, v22, v13, -v4
	v_fma_f32 v3, v24, v15, -v3
	s_delay_alu instid0(VALU_DEP_2) | instskip(NEXT) | instid1(VALU_DEP_4)
	v_dual_add_f32 v2, v2, v162 :: v_dual_add_f32 v1, v1, v4
	v_fma_f32 v4, v28, v26, -v5
	s_delay_alu instid0(VALU_DEP_2) | instskip(NEXT) | instid1(VALU_DEP_1)
	v_dual_add_f32 v2, v2, v165 :: v_dual_add_f32 v1, v1, v3
	v_add_f32_e32 v2, v2, v160
	s_delay_alu instid0(VALU_DEP_1) | instskip(NEXT) | instid1(VALU_DEP_1)
	v_dual_add_f32 v1, v1, v4 :: v_dual_add_f32 v2, v2, v157
	v_dual_sub_f32 v1, v30, v1 :: v_dual_sub_f32 v2, v31, v2
	scratch_store_b64 off, v[1:2], off offset:128
	v_cmpx_lt_u32_e32 15, v0
	s_cbranch_execz .LBB125_355
; %bb.354:
	scratch_load_b64 v[1:2], off, off offset:120
	v_mov_b32_e32 v22, v21
	scratch_store_b64 off, v[21:22], off offset:120
	s_wait_loadcnt 0x0
	ds_store_b64 v159, v[1:2]
.LBB125_355:
	s_wait_alu 0xfffe
	s_or_b32 exec_lo, exec_lo, s0
	s_wait_storecnt_dscnt 0x0
	s_barrier_signal -1
	s_barrier_wait -1
	global_inv scope:SCOPE_SE
	s_clause 0x4
	scratch_load_b128 v[5:8], off, off offset:128
	scratch_load_b128 v[1:4], off, off offset:144
	;; [unrolled: 1-line block ×5, first 2 shown]
	ds_load_b128 v[22:25], v21 offset:624
	ds_load_b128 v[26:29], v21 offset:640
	;; [unrolled: 1-line block ×3, first 2 shown]
	scratch_load_b64 v[30:31], off, off offset:120
	s_mov_b32 s0, exec_lo
	s_wait_loadcnt_dscnt 0x502
	v_mul_f32_e32 v32, v23, v6
	v_dual_mul_f32 v157, v22, v6 :: v_dual_mul_f32 v158, v24, v8
	v_mul_f32_e32 v6, v25, v8
	s_wait_loadcnt_dscnt 0x300
	v_mul_f32_e32 v164, v162, v12
	v_mul_f32_e32 v12, v163, v12
	v_dual_fmac_f32 v157, v23, v5 :: v_dual_fmac_f32 v158, v25, v7
	v_fma_f32 v23, v24, v7, -v6
	v_mul_f32_e32 v25, v28, v4
	v_fma_f32 v22, v22, v5, -v32
	ds_load_b128 v[5:8], v21 offset:672
	v_mul_f32_e32 v24, v26, v2
	v_mul_f32_e32 v4, v29, v4
	;; [unrolled: 1-line block ×4, first 2 shown]
	v_dual_mul_f32 v2, v27, v2 :: v_dual_fmac_f32 v25, v29, v3
	v_fmac_f32_e32 v24, v27, v1
	v_fma_f32 v27, v28, v3, -v4
	v_fmac_f32_e32 v32, v161, v9
	v_fma_f32 v28, v160, v9, -v10
	;; [unrolled: 2-line block ×3, first 2 shown]
	ds_load_b128 v[9:12], v21 offset:688
	s_wait_loadcnt_dscnt 0x201
	v_dual_mul_f32 v161, v7, v16 :: v_dual_mul_f32 v160, v5, v14
	v_mul_f32_e32 v14, v6, v14
	v_mul_f32_e32 v16, v8, v16
	s_delay_alu instid0(VALU_DEP_3)
	v_fmac_f32_e32 v161, v8, v15
	v_fma_f32 v26, v26, v1, -v2
	scratch_load_b128 v[1:4], off, off offset:208
	v_fmac_f32_e32 v160, v6, v13
	v_fma_f32 v13, v5, v13, -v14
	v_fma_f32 v14, v7, v15, -v16
	ds_load_b128 v[5:8], v21 offset:704
	s_wait_loadcnt_dscnt 0x201
	v_mul_f32_e32 v15, v9, v18
	v_mul_f32_e32 v16, v10, v18
	;; [unrolled: 1-line block ×3, first 2 shown]
	s_delay_alu instid0(VALU_DEP_3) | instskip(NEXT) | instid1(VALU_DEP_3)
	v_dual_mul_f32 v20, v12, v20 :: v_dual_fmac_f32 v15, v10, v17
	v_fma_f32 v16, v9, v17, -v16
	s_delay_alu instid0(VALU_DEP_3) | instskip(NEXT) | instid1(VALU_DEP_3)
	v_fmac_f32_e32 v18, v12, v19
	v_fma_f32 v17, v11, v19, -v20
	scratch_load_b128 v[9:12], off, off offset:224
	s_wait_loadcnt_dscnt 0x100
	v_mul_f32_e32 v19, v5, v2
	v_mul_f32_e32 v2, v6, v2
	;; [unrolled: 1-line block ×3, first 2 shown]
	s_delay_alu instid0(VALU_DEP_3) | instskip(NEXT) | instid1(VALU_DEP_3)
	v_dual_mul_f32 v4, v8, v4 :: v_dual_fmac_f32 v19, v6, v1
	v_fma_f32 v162, v5, v1, -v2
	s_delay_alu instid0(VALU_DEP_3) | instskip(NEXT) | instid1(VALU_DEP_3)
	v_fmac_f32_e32 v20, v8, v3
	v_fma_f32 v163, v7, v3, -v4
	ds_load_b128 v[1:4], v21 offset:720
	ds_load_b128 v[5:8], v21 offset:736
	s_wait_loadcnt_dscnt 0x1
	v_mul_f32_e32 v165, v1, v10
	v_mul_f32_e32 v10, v2, v10
	s_delay_alu instid0(VALU_DEP_2) | instskip(NEXT) | instid1(VALU_DEP_2)
	v_dual_mul_f32 v166, v3, v12 :: v_dual_fmac_f32 v165, v2, v9
	v_fma_f32 v167, v1, v9, -v10
	v_mul_f32_e32 v1, v4, v12
	s_delay_alu instid0(VALU_DEP_3) | instskip(NEXT) | instid1(VALU_DEP_2)
	v_fmac_f32_e32 v166, v4, v11
	v_fma_f32 v168, v3, v11, -v1
	s_clause 0x1
	scratch_load_b128 v[1:4], off, off offset:240
	scratch_load_b128 v[9:12], off, off offset:256
	s_wait_loadcnt_dscnt 0x100
	v_mul_f32_e32 v169, v5, v2
	v_dual_mul_f32 v2, v6, v2 :: v_dual_mul_f32 v171, v7, v4
	s_delay_alu instid0(VALU_DEP_2) | instskip(NEXT) | instid1(VALU_DEP_2)
	v_fmac_f32_e32 v169, v6, v1
	v_fma_f32 v170, v5, v1, -v2
	v_mul_f32_e32 v1, v8, v4
	s_delay_alu instid0(VALU_DEP_4) | instskip(NEXT) | instid1(VALU_DEP_2)
	v_fmac_f32_e32 v171, v8, v3
	v_fma_f32 v172, v7, v3, -v1
	ds_load_b128 v[1:4], v21 offset:752
	ds_load_b128 v[5:8], v21 offset:768
	s_wait_loadcnt_dscnt 0x1
	v_mul_f32_e32 v173, v1, v10
	v_mul_f32_e32 v175, v3, v12
	s_delay_alu instid0(VALU_DEP_2) | instskip(NEXT) | instid1(VALU_DEP_2)
	v_fmac_f32_e32 v173, v2, v9
	v_dual_mul_f32 v2, v2, v10 :: v_dual_fmac_f32 v175, v4, v11
	s_delay_alu instid0(VALU_DEP_1) | instskip(SKIP_1) | instid1(VALU_DEP_1)
	v_fma_f32 v174, v1, v9, -v2
	v_mul_f32_e32 v1, v4, v12
	v_fma_f32 v176, v3, v11, -v1
	s_clause 0x1
	scratch_load_b128 v[1:4], off, off offset:272
	scratch_load_b128 v[9:12], off, off offset:288
	s_wait_loadcnt_dscnt 0x100
	v_mul_f32_e32 v177, v5, v2
	v_dual_mul_f32 v2, v6, v2 :: v_dual_mul_f32 v179, v7, v4
	s_delay_alu instid0(VALU_DEP_2) | instskip(NEXT) | instid1(VALU_DEP_2)
	v_fmac_f32_e32 v177, v6, v1
	v_fma_f32 v178, v5, v1, -v2
	v_mul_f32_e32 v1, v8, v4
	s_delay_alu instid0(VALU_DEP_4) | instskip(NEXT) | instid1(VALU_DEP_2)
	v_fmac_f32_e32 v179, v8, v3
	v_fma_f32 v180, v7, v3, -v1
	ds_load_b128 v[1:4], v21 offset:784
	ds_load_b128 v[5:8], v21 offset:800
	s_wait_loadcnt_dscnt 0x1
	v_mul_f32_e32 v181, v1, v10
	v_mul_f32_e32 v183, v3, v12
	s_delay_alu instid0(VALU_DEP_2) | instskip(NEXT) | instid1(VALU_DEP_2)
	v_fmac_f32_e32 v181, v2, v9
	v_dual_mul_f32 v2, v2, v10 :: v_dual_fmac_f32 v183, v4, v11
	s_delay_alu instid0(VALU_DEP_1) | instskip(SKIP_1) | instid1(VALU_DEP_1)
	v_fma_f32 v182, v1, v9, -v2
	v_mul_f32_e32 v1, v4, v12
	v_fma_f32 v184, v3, v11, -v1
	s_clause 0x1
	scratch_load_b128 v[1:4], off, off offset:304
	scratch_load_b128 v[9:12], off, off offset:320
	s_wait_loadcnt_dscnt 0x100
	v_mul_f32_e32 v185, v5, v2
	v_dual_mul_f32 v2, v6, v2 :: v_dual_mul_f32 v187, v7, v4
	s_delay_alu instid0(VALU_DEP_1) | instskip(NEXT) | instid1(VALU_DEP_3)
	v_fma_f32 v186, v5, v1, -v2
	v_fmac_f32_e32 v185, v6, v1
	v_mul_f32_e32 v1, v8, v4
	s_delay_alu instid0(VALU_DEP_4) | instskip(NEXT) | instid1(VALU_DEP_2)
	v_fmac_f32_e32 v187, v8, v3
	v_fma_f32 v188, v7, v3, -v1
	ds_load_b128 v[1:4], v21 offset:816
	ds_load_b128 v[5:8], v21 offset:832
	s_wait_loadcnt_dscnt 0x1
	v_mul_f32_e32 v189, v1, v10
	v_mul_f32_e32 v191, v3, v12
	s_delay_alu instid0(VALU_DEP_1) | instskip(NEXT) | instid1(VALU_DEP_3)
	v_fmac_f32_e32 v191, v4, v11
	v_fmac_f32_e32 v189, v2, v9
	v_mul_f32_e32 v2, v2, v10
	s_delay_alu instid0(VALU_DEP_1) | instskip(SKIP_1) | instid1(VALU_DEP_1)
	v_fma_f32 v190, v1, v9, -v2
	v_mul_f32_e32 v1, v4, v12
	v_fma_f32 v192, v3, v11, -v1
	s_clause 0x1
	scratch_load_b128 v[1:4], off, off offset:336
	scratch_load_b128 v[9:12], off, off offset:352
	s_wait_loadcnt_dscnt 0x100
	v_mul_f32_e32 v193, v5, v2
	v_dual_mul_f32 v2, v6, v2 :: v_dual_mul_f32 v195, v7, v4
	s_delay_alu instid0(VALU_DEP_2) | instskip(NEXT) | instid1(VALU_DEP_2)
	v_fmac_f32_e32 v193, v6, v1
	v_fma_f32 v194, v5, v1, -v2
	v_mul_f32_e32 v1, v8, v4
	s_delay_alu instid0(VALU_DEP_4) | instskip(NEXT) | instid1(VALU_DEP_2)
	v_fmac_f32_e32 v195, v8, v3
	v_fma_f32 v196, v7, v3, -v1
	ds_load_b128 v[1:4], v21 offset:848
	ds_load_b128 v[5:8], v21 offset:864
	s_wait_loadcnt_dscnt 0x1
	v_mul_f32_e32 v197, v1, v10
	v_mul_f32_e32 v199, v3, v12
	s_delay_alu instid0(VALU_DEP_2) | instskip(NEXT) | instid1(VALU_DEP_2)
	v_fmac_f32_e32 v197, v2, v9
	v_dual_mul_f32 v2, v2, v10 :: v_dual_fmac_f32 v199, v4, v11
	s_delay_alu instid0(VALU_DEP_1) | instskip(SKIP_1) | instid1(VALU_DEP_1)
	v_fma_f32 v198, v1, v9, -v2
	v_mul_f32_e32 v1, v4, v12
	v_fma_f32 v200, v3, v11, -v1
	s_clause 0x1
	scratch_load_b128 v[1:4], off, off offset:368
	scratch_load_b128 v[9:12], off, off offset:384
	s_wait_loadcnt_dscnt 0x100
	v_mul_f32_e32 v201, v5, v2
	v_dual_mul_f32 v2, v6, v2 :: v_dual_mul_f32 v203, v7, v4
	s_delay_alu instid0(VALU_DEP_2) | instskip(NEXT) | instid1(VALU_DEP_2)
	v_fmac_f32_e32 v201, v6, v1
	v_fma_f32 v202, v5, v1, -v2
	v_mul_f32_e32 v1, v8, v4
	s_delay_alu instid0(VALU_DEP_4) | instskip(NEXT) | instid1(VALU_DEP_2)
	v_fmac_f32_e32 v203, v8, v3
	v_fma_f32 v204, v7, v3, -v1
	ds_load_b128 v[1:4], v21 offset:880
	ds_load_b128 v[5:8], v21 offset:896
	s_wait_loadcnt_dscnt 0x1
	v_mul_f32_e32 v205, v1, v10
	v_mul_f32_e32 v207, v3, v12
	s_delay_alu instid0(VALU_DEP_2) | instskip(NEXT) | instid1(VALU_DEP_2)
	v_fmac_f32_e32 v205, v2, v9
	v_dual_mul_f32 v2, v2, v10 :: v_dual_fmac_f32 v207, v4, v11
	s_delay_alu instid0(VALU_DEP_1) | instskip(SKIP_1) | instid1(VALU_DEP_1)
	v_fma_f32 v206, v1, v9, -v2
	v_mul_f32_e32 v1, v4, v12
	v_fma_f32 v208, v3, v11, -v1
	s_clause 0x1
	scratch_load_b128 v[1:4], off, off offset:400
	scratch_load_b128 v[9:12], off, off offset:416
	s_wait_loadcnt_dscnt 0x100
	v_mul_f32_e32 v209, v5, v2
	v_mul_f32_e32 v2, v6, v2
	s_delay_alu instid0(VALU_DEP_1) | instskip(SKIP_1) | instid1(VALU_DEP_1)
	v_fma_f32 v210, v5, v1, -v2
	v_add_f32_e32 v2, 0, v157
	v_add_f32_e32 v2, v2, v158
	s_delay_alu instid0(VALU_DEP_1) | instskip(NEXT) | instid1(VALU_DEP_1)
	v_add_f32_e32 v2, v2, v24
	v_add_f32_e32 v2, v2, v25
	s_delay_alu instid0(VALU_DEP_1) | instskip(NEXT) | instid1(VALU_DEP_1)
	;; [unrolled: 3-line block ×8, first 2 shown]
	v_add_f32_e32 v2, v2, v173
	v_add_f32_e32 v2, v2, v175
	v_fmac_f32_e32 v209, v6, v1
	s_delay_alu instid0(VALU_DEP_2) | instskip(NEXT) | instid1(VALU_DEP_1)
	v_dual_mul_f32 v211, v7, v4 :: v_dual_add_f32 v2, v2, v177
	v_dual_mul_f32 v1, v8, v4 :: v_dual_add_f32 v2, v2, v179
	s_delay_alu instid0(VALU_DEP_1) | instskip(SKIP_1) | instid1(VALU_DEP_3)
	v_fma_f32 v212, v7, v3, -v1
	v_add_f32_e32 v1, 0, v22
	v_dual_fmac_f32 v211, v8, v3 :: v_dual_add_f32 v2, v2, v181
	s_delay_alu instid0(VALU_DEP_2) | instskip(NEXT) | instid1(VALU_DEP_2)
	v_add_f32_e32 v1, v1, v23
	v_add_f32_e32 v5, v2, v183
	s_delay_alu instid0(VALU_DEP_2) | instskip(NEXT) | instid1(VALU_DEP_1)
	v_add_f32_e32 v1, v1, v26
	v_add_f32_e32 v1, v1, v27
	s_delay_alu instid0(VALU_DEP_1) | instskip(NEXT) | instid1(VALU_DEP_1)
	v_add_f32_e32 v1, v1, v28
	v_add_f32_e32 v1, v1, v29
	s_delay_alu instid0(VALU_DEP_1) | instskip(NEXT) | instid1(VALU_DEP_1)
	;; [unrolled: 3-line block ×9, first 2 shown]
	v_add_f32_e32 v1, v1, v182
	v_add_f32_e32 v1, v1, v184
	s_delay_alu instid0(VALU_DEP_1)
	v_add_f32_e32 v6, v1, v186
	v_add_f32_e32 v13, v5, v185
	ds_load_b128 v[1:4], v21 offset:912
	v_add_f32_e32 v14, v6, v188
	scratch_load_b128 v[5:8], off, off offset:432
	v_dual_add_f32 v13, v13, v187 :: v_dual_add_f32 v14, v14, v190
	s_delay_alu instid0(VALU_DEP_1) | instskip(NEXT) | instid1(VALU_DEP_1)
	v_add_f32_e32 v13, v13, v189
	v_dual_add_f32 v17, v14, v192 :: v_dual_add_f32 v18, v13, v191
	ds_load_b128 v[13:16], v21 offset:928
	v_add_f32_e32 v17, v17, v194
	s_wait_loadcnt_dscnt 0x101
	v_mul_f32_e32 v25, v1, v10
	v_mul_f32_e32 v10, v2, v10
	;; [unrolled: 1-line block ×4, first 2 shown]
	v_add_f32_e32 v18, v18, v193
	v_fmac_f32_e32 v25, v2, v9
	v_fma_f32 v27, v1, v9, -v10
	v_fmac_f32_e32 v26, v4, v11
	v_fma_f32 v28, v3, v11, -v12
	scratch_load_b128 v[1:4], off, off offset:448
	v_add_f32_e32 v17, v17, v196
	scratch_load_b128 v[9:12], off, off offset:464
	v_dual_add_f32 v18, v18, v195 :: v_dual_add_f32 v17, v17, v198
	s_delay_alu instid0(VALU_DEP_1) | instskip(SKIP_2) | instid1(VALU_DEP_1)
	v_dual_add_f32 v22, v18, v197 :: v_dual_add_f32 v23, v17, v200
	scratch_load_b128 v[17:20], off, off offset:480
	v_dual_add_f32 v22, v22, v199 :: v_dual_add_f32 v23, v23, v202
	v_dual_add_f32 v22, v22, v201 :: v_dual_add_f32 v23, v23, v204
	s_wait_loadcnt_dscnt 0x300
	v_mul_f32_e32 v29, v13, v6
	v_mul_f32_e32 v6, v14, v6
	;; [unrolled: 1-line block ×3, first 2 shown]
	s_delay_alu instid0(VALU_DEP_3) | instskip(NEXT) | instid1(VALU_DEP_3)
	v_dual_mul_f32 v8, v16, v8 :: v_dual_fmac_f32 v29, v14, v5
	v_fma_f32 v157, v13, v5, -v6
	v_dual_add_f32 v13, v22, v203 :: v_dual_add_f32 v22, v23, v206
	s_delay_alu instid0(VALU_DEP_4) | instskip(NEXT) | instid1(VALU_DEP_4)
	v_fmac_f32_e32 v32, v16, v7
	v_fma_f32 v158, v15, v7, -v8
	ds_load_b128 v[5:8], v21 offset:944
	v_dual_add_f32 v23, v13, v205 :: v_dual_add_f32 v160, v22, v208
	ds_load_b128 v[13:16], v21 offset:960
	v_dual_add_f32 v161, v23, v207 :: v_dual_add_f32 v160, v160, v210
	;; [unrolled: 2-line block ×3, first 2 shown]
	s_delay_alu instid0(VALU_DEP_1) | instskip(SKIP_1) | instid1(VALU_DEP_2)
	v_add_f32_e32 v161, v161, v211
	s_wait_loadcnt_dscnt 0x202
	v_dual_add_f32 v27, v160, v27 :: v_dual_mul_f32 v162, v5, v2
	s_delay_alu instid0(VALU_DEP_2) | instskip(NEXT) | instid1(VALU_DEP_2)
	v_add_f32_e32 v25, v161, v25
	v_dual_add_f32 v27, v27, v28 :: v_dual_mul_f32 v2, v6, v2
	v_mul_f32_e32 v160, v7, v4
	s_delay_alu instid0(VALU_DEP_3) | instskip(NEXT) | instid1(VALU_DEP_3)
	v_dual_mul_f32 v4, v8, v4 :: v_dual_add_f32 v25, v25, v26
	v_add_f32_e32 v27, v27, v157
	s_delay_alu instid0(VALU_DEP_4)
	v_fma_f32 v2, v5, v1, -v2
	s_wait_loadcnt_dscnt 0x101
	v_dual_fmac_f32 v162, v6, v1 :: v_dual_mul_f32 v161, v13, v10
	v_add_f32_e32 v25, v25, v29
	v_add_f32_e32 v1, v27, v158
	v_mul_f32_e32 v6, v14, v10
	v_fmac_f32_e32 v160, v8, v3
	v_fma_f32 v3, v7, v3, -v4
	v_add_f32_e32 v5, v25, v32
	v_add_f32_e32 v1, v1, v2
	v_mul_f32_e32 v163, v15, v12
	v_dual_mul_f32 v4, v16, v12 :: v_dual_fmac_f32 v161, v14, v9
	s_delay_alu instid0(VALU_DEP_4)
	v_add_f32_e32 v2, v5, v162
	v_fma_f32 v5, v13, v9, -v6
	v_add_f32_e32 v1, v1, v3
	s_wait_loadcnt_dscnt 0x0
	v_mul_f32_e32 v26, v21, v18
	v_mul_f32_e32 v3, v22, v18
	v_dual_add_f32 v2, v2, v160 :: v_dual_fmac_f32 v163, v16, v11
	v_fma_f32 v4, v15, v11, -v4
	v_dual_add_f32 v1, v1, v5 :: v_dual_mul_f32 v28, v23, v20
	s_delay_alu instid0(VALU_DEP_3) | instskip(SKIP_2) | instid1(VALU_DEP_3)
	v_dual_add_f32 v2, v2, v161 :: v_dual_mul_f32 v5, v24, v20
	v_fmac_f32_e32 v26, v22, v17
	v_fma_f32 v3, v21, v17, -v3
	v_dual_add_f32 v1, v1, v4 :: v_dual_add_f32 v2, v2, v163
	v_fmac_f32_e32 v28, v24, v19
	v_fma_f32 v4, v23, v19, -v5
	s_delay_alu instid0(VALU_DEP_3) | instskip(NEXT) | instid1(VALU_DEP_1)
	v_dual_add_f32 v1, v1, v3 :: v_dual_add_f32 v2, v2, v26
	v_add_f32_e32 v1, v1, v4
	s_delay_alu instid0(VALU_DEP_2) | instskip(NEXT) | instid1(VALU_DEP_1)
	v_add_f32_e32 v2, v2, v28
	v_dual_sub_f32 v1, v30, v1 :: v_dual_sub_f32 v2, v31, v2
	scratch_store_b64 off, v[1:2], off offset:120
	v_cmpx_lt_u32_e32 14, v0
	s_cbranch_execz .LBB125_357
; %bb.356:
	scratch_load_b64 v[1:2], off, off offset:112
	v_mov_b32_e32 v3, 0
	s_delay_alu instid0(VALU_DEP_1)
	v_mov_b32_e32 v4, v3
	scratch_store_b64 off, v[3:4], off offset:112
	s_wait_loadcnt 0x0
	ds_store_b64 v159, v[1:2]
.LBB125_357:
	s_wait_alu 0xfffe
	s_or_b32 exec_lo, exec_lo, s0
	s_wait_storecnt_dscnt 0x0
	s_barrier_signal -1
	s_barrier_wait -1
	global_inv scope:SCOPE_SE
	s_clause 0x4
	scratch_load_b128 v[5:8], off, off offset:120
	scratch_load_b128 v[1:4], off, off offset:136
	;; [unrolled: 1-line block ×5, first 2 shown]
	v_mov_b32_e32 v21, 0
	ds_load_2addr_b64 v[22:25], v21 offset0:77 offset1:78
	ds_load_2addr_b64 v[26:29], v21 offset0:79 offset1:80
	;; [unrolled: 1-line block ×3, first 2 shown]
	scratch_load_b64 v[30:31], off, off offset:112
	s_mov_b32 s0, exec_lo
	s_wait_loadcnt_dscnt 0x502
	v_mul_f32_e32 v32, v23, v6
	v_dual_mul_f32 v157, v22, v6 :: v_dual_mul_f32 v158, v24, v8
	v_mul_f32_e32 v6, v25, v8
	s_wait_loadcnt_dscnt 0x300
	v_mul_f32_e32 v164, v162, v12
	v_fma_f32 v22, v22, v5, -v32
	v_dual_fmac_f32 v157, v23, v5 :: v_dual_fmac_f32 v158, v25, v7
	v_mul_f32_e32 v25, v28, v4
	v_fma_f32 v23, v24, v7, -v6
	ds_load_2addr_b64 v[5:8], v21 offset0:83 offset1:84
	v_mul_f32_e32 v24, v26, v2
	v_mul_f32_e32 v4, v29, v4
	;; [unrolled: 1-line block ×5, first 2 shown]
	v_dual_mul_f32 v2, v27, v2 :: v_dual_fmac_f32 v25, v29, v3
	v_fmac_f32_e32 v24, v27, v1
	v_fma_f32 v27, v28, v3, -v4
	v_fmac_f32_e32 v32, v161, v9
	v_fma_f32 v28, v160, v9, -v10
	;; [unrolled: 2-line block ×3, first 2 shown]
	ds_load_2addr_b64 v[9:12], v21 offset0:85 offset1:86
	s_wait_loadcnt_dscnt 0x201
	v_dual_mul_f32 v161, v7, v16 :: v_dual_mul_f32 v160, v5, v14
	v_mul_f32_e32 v14, v6, v14
	v_mul_f32_e32 v16, v8, v16
	s_delay_alu instid0(VALU_DEP_3)
	v_fmac_f32_e32 v161, v8, v15
	v_fma_f32 v26, v26, v1, -v2
	scratch_load_b128 v[1:4], off, off offset:200
	v_fmac_f32_e32 v160, v6, v13
	v_fma_f32 v13, v5, v13, -v14
	v_fma_f32 v14, v7, v15, -v16
	ds_load_2addr_b64 v[5:8], v21 offset0:87 offset1:88
	s_wait_loadcnt_dscnt 0x201
	v_mul_f32_e32 v15, v9, v18
	v_mul_f32_e32 v16, v10, v18
	;; [unrolled: 1-line block ×3, first 2 shown]
	s_delay_alu instid0(VALU_DEP_3) | instskip(NEXT) | instid1(VALU_DEP_3)
	v_dual_mul_f32 v20, v12, v20 :: v_dual_fmac_f32 v15, v10, v17
	v_fma_f32 v16, v9, v17, -v16
	s_delay_alu instid0(VALU_DEP_3) | instskip(NEXT) | instid1(VALU_DEP_3)
	v_fmac_f32_e32 v18, v12, v19
	v_fma_f32 v17, v11, v19, -v20
	scratch_load_b128 v[9:12], off, off offset:216
	s_wait_loadcnt_dscnt 0x100
	v_mul_f32_e32 v19, v5, v2
	v_mul_f32_e32 v2, v6, v2
	;; [unrolled: 1-line block ×3, first 2 shown]
	s_delay_alu instid0(VALU_DEP_3) | instskip(NEXT) | instid1(VALU_DEP_3)
	v_dual_mul_f32 v4, v8, v4 :: v_dual_fmac_f32 v19, v6, v1
	v_fma_f32 v162, v5, v1, -v2
	s_delay_alu instid0(VALU_DEP_3) | instskip(NEXT) | instid1(VALU_DEP_3)
	v_fmac_f32_e32 v20, v8, v3
	v_fma_f32 v163, v7, v3, -v4
	ds_load_2addr_b64 v[1:4], v21 offset0:89 offset1:90
	ds_load_2addr_b64 v[5:8], v21 offset0:91 offset1:92
	s_wait_loadcnt_dscnt 0x1
	v_mul_f32_e32 v165, v1, v10
	v_mul_f32_e32 v10, v2, v10
	s_delay_alu instid0(VALU_DEP_2) | instskip(NEXT) | instid1(VALU_DEP_2)
	v_dual_mul_f32 v166, v3, v12 :: v_dual_fmac_f32 v165, v2, v9
	v_fma_f32 v167, v1, v9, -v10
	v_mul_f32_e32 v1, v4, v12
	s_delay_alu instid0(VALU_DEP_3) | instskip(NEXT) | instid1(VALU_DEP_2)
	v_fmac_f32_e32 v166, v4, v11
	v_fma_f32 v168, v3, v11, -v1
	s_clause 0x1
	scratch_load_b128 v[1:4], off, off offset:232
	scratch_load_b128 v[9:12], off, off offset:248
	s_wait_loadcnt_dscnt 0x100
	v_mul_f32_e32 v169, v5, v2
	v_dual_mul_f32 v2, v6, v2 :: v_dual_mul_f32 v171, v7, v4
	s_delay_alu instid0(VALU_DEP_2) | instskip(NEXT) | instid1(VALU_DEP_2)
	v_fmac_f32_e32 v169, v6, v1
	v_fma_f32 v170, v5, v1, -v2
	v_mul_f32_e32 v1, v8, v4
	s_delay_alu instid0(VALU_DEP_4) | instskip(NEXT) | instid1(VALU_DEP_2)
	v_fmac_f32_e32 v171, v8, v3
	v_fma_f32 v172, v7, v3, -v1
	ds_load_2addr_b64 v[1:4], v21 offset0:93 offset1:94
	ds_load_2addr_b64 v[5:8], v21 offset0:95 offset1:96
	s_wait_loadcnt_dscnt 0x1
	v_mul_f32_e32 v173, v1, v10
	v_mul_f32_e32 v175, v3, v12
	s_delay_alu instid0(VALU_DEP_2) | instskip(NEXT) | instid1(VALU_DEP_2)
	v_fmac_f32_e32 v173, v2, v9
	v_dual_mul_f32 v2, v2, v10 :: v_dual_fmac_f32 v175, v4, v11
	s_delay_alu instid0(VALU_DEP_1) | instskip(SKIP_1) | instid1(VALU_DEP_1)
	v_fma_f32 v174, v1, v9, -v2
	v_mul_f32_e32 v1, v4, v12
	v_fma_f32 v176, v3, v11, -v1
	s_clause 0x1
	scratch_load_b128 v[1:4], off, off offset:264
	scratch_load_b128 v[9:12], off, off offset:280
	s_wait_loadcnt_dscnt 0x100
	v_mul_f32_e32 v177, v5, v2
	v_dual_mul_f32 v2, v6, v2 :: v_dual_mul_f32 v179, v7, v4
	s_delay_alu instid0(VALU_DEP_2) | instskip(NEXT) | instid1(VALU_DEP_2)
	v_fmac_f32_e32 v177, v6, v1
	v_fma_f32 v178, v5, v1, -v2
	v_mul_f32_e32 v1, v8, v4
	s_delay_alu instid0(VALU_DEP_4) | instskip(NEXT) | instid1(VALU_DEP_2)
	v_fmac_f32_e32 v179, v8, v3
	v_fma_f32 v180, v7, v3, -v1
	ds_load_2addr_b64 v[1:4], v21 offset0:97 offset1:98
	ds_load_2addr_b64 v[5:8], v21 offset0:99 offset1:100
	s_wait_loadcnt_dscnt 0x1
	v_mul_f32_e32 v181, v1, v10
	v_mul_f32_e32 v183, v3, v12
	s_delay_alu instid0(VALU_DEP_2) | instskip(NEXT) | instid1(VALU_DEP_2)
	v_fmac_f32_e32 v181, v2, v9
	v_dual_mul_f32 v2, v2, v10 :: v_dual_fmac_f32 v183, v4, v11
	s_delay_alu instid0(VALU_DEP_1) | instskip(SKIP_1) | instid1(VALU_DEP_1)
	v_fma_f32 v182, v1, v9, -v2
	v_mul_f32_e32 v1, v4, v12
	;; [unrolled: 25-line block ×5, first 2 shown]
	v_fma_f32 v208, v3, v11, -v1
	s_clause 0x1
	scratch_load_b128 v[1:4], off, off offset:392
	scratch_load_b128 v[9:12], off, off offset:408
	s_wait_loadcnt_dscnt 0x100
	v_mul_f32_e32 v209, v5, v2
	v_mul_f32_e32 v2, v6, v2
	s_delay_alu instid0(VALU_DEP_1) | instskip(SKIP_1) | instid1(VALU_DEP_1)
	v_fma_f32 v210, v5, v1, -v2
	v_add_f32_e32 v2, 0, v157
	v_add_f32_e32 v2, v2, v158
	s_delay_alu instid0(VALU_DEP_1) | instskip(NEXT) | instid1(VALU_DEP_1)
	v_add_f32_e32 v2, v2, v24
	v_add_f32_e32 v2, v2, v25
	s_delay_alu instid0(VALU_DEP_1) | instskip(NEXT) | instid1(VALU_DEP_1)
	v_add_f32_e32 v2, v2, v32
	v_add_f32_e32 v2, v2, v164
	s_delay_alu instid0(VALU_DEP_1) | instskip(NEXT) | instid1(VALU_DEP_1)
	v_add_f32_e32 v2, v2, v160
	v_add_f32_e32 v2, v2, v161
	s_delay_alu instid0(VALU_DEP_1) | instskip(NEXT) | instid1(VALU_DEP_1)
	v_add_f32_e32 v2, v2, v15
	v_add_f32_e32 v2, v2, v18
	s_delay_alu instid0(VALU_DEP_1) | instskip(NEXT) | instid1(VALU_DEP_1)
	v_add_f32_e32 v2, v2, v19
	v_add_f32_e32 v2, v2, v20
	s_delay_alu instid0(VALU_DEP_1) | instskip(NEXT) | instid1(VALU_DEP_1)
	v_add_f32_e32 v2, v2, v165
	v_add_f32_e32 v2, v2, v166
	s_delay_alu instid0(VALU_DEP_1) | instskip(NEXT) | instid1(VALU_DEP_1)
	v_add_f32_e32 v2, v2, v169
	v_add_f32_e32 v2, v2, v171
	s_delay_alu instid0(VALU_DEP_1) | instskip(NEXT) | instid1(VALU_DEP_1)
	v_add_f32_e32 v2, v2, v173
	v_add_f32_e32 v2, v2, v175
	v_fmac_f32_e32 v209, v6, v1
	s_delay_alu instid0(VALU_DEP_2) | instskip(NEXT) | instid1(VALU_DEP_1)
	v_dual_mul_f32 v211, v7, v4 :: v_dual_add_f32 v2, v2, v177
	v_dual_mul_f32 v1, v8, v4 :: v_dual_add_f32 v2, v2, v179
	s_delay_alu instid0(VALU_DEP_1) | instskip(SKIP_1) | instid1(VALU_DEP_1)
	v_fma_f32 v212, v7, v3, -v1
	v_add_f32_e32 v1, 0, v22
	v_add_f32_e32 v1, v1, v23
	s_delay_alu instid0(VALU_DEP_1) | instskip(NEXT) | instid1(VALU_DEP_1)
	v_add_f32_e32 v1, v1, v26
	v_add_f32_e32 v1, v1, v27
	scratch_load_b64 v[26:27], off, off offset:488
	v_add_f32_e32 v1, v1, v28
	s_delay_alu instid0(VALU_DEP_1) | instskip(NEXT) | instid1(VALU_DEP_1)
	v_add_f32_e32 v1, v1, v29
	v_add_f32_e32 v1, v1, v13
	s_delay_alu instid0(VALU_DEP_1) | instskip(NEXT) | instid1(VALU_DEP_1)
	v_add_f32_e32 v1, v1, v14
	;; [unrolled: 3-line block ×9, first 2 shown]
	v_dual_add_f32 v6, v1, v186 :: v_dual_fmac_f32 v211, v8, v3
	v_add_f32_e32 v2, v2, v181
	s_delay_alu instid0(VALU_DEP_2) | instskip(NEXT) | instid1(VALU_DEP_2)
	v_add_f32_e32 v14, v6, v188
	v_add_f32_e32 v5, v2, v183
	scratch_load_b128 v[1:4], off, off offset:424
	v_dual_add_f32 v14, v14, v190 :: v_dual_add_f32 v13, v5, v185
	ds_load_2addr_b64 v[5:8], v21 offset0:113 offset1:114
	v_add_f32_e32 v17, v14, v192
	v_add_f32_e32 v13, v13, v187
	s_delay_alu instid0(VALU_DEP_1) | instskip(NEXT) | instid1(VALU_DEP_1)
	v_add_f32_e32 v13, v13, v189
	v_add_f32_e32 v18, v13, v191
	ds_load_2addr_b64 v[13:16], v21 offset0:115 offset1:116
	s_wait_loadcnt_dscnt 0x201
	v_mul_f32_e32 v157, v7, v12
	v_mul_f32_e32 v12, v8, v12
	v_add_f32_e32 v18, v18, v193
	v_mul_f32_e32 v32, v5, v10
	s_delay_alu instid0(VALU_DEP_4) | instskip(NEXT) | instid1(VALU_DEP_4)
	v_dual_mul_f32 v10, v6, v10 :: v_dual_fmac_f32 v157, v8, v11
	v_fma_f32 v160, v7, v11, -v12
	s_delay_alu instid0(VALU_DEP_4) | instskip(NEXT) | instid1(VALU_DEP_4)
	v_add_f32_e32 v18, v18, v195
	v_fmac_f32_e32 v32, v6, v9
	s_delay_alu instid0(VALU_DEP_4)
	v_fma_f32 v158, v5, v9, -v10
	s_clause 0x1
	scratch_load_b128 v[5:8], off, off offset:440
	scratch_load_b128 v[9:12], off, off offset:456
	s_wait_loadcnt_dscnt 0x200
	v_mul_f32_e32 v162, v15, v4
	v_add_f32_e32 v22, v18, v197
	v_dual_mul_f32 v4, v16, v4 :: v_dual_mul_f32 v161, v13, v2
	v_mul_f32_e32 v2, v14, v2
	s_delay_alu instid0(VALU_DEP_4) | instskip(NEXT) | instid1(VALU_DEP_4)
	v_fmac_f32_e32 v162, v16, v3
	v_add_f32_e32 v22, v22, v199
	s_delay_alu instid0(VALU_DEP_4) | instskip(SKIP_4) | instid1(VALU_DEP_1)
	v_fma_f32 v164, v15, v3, -v4
	v_fmac_f32_e32 v161, v14, v1
	v_fma_f32 v163, v13, v1, -v2
	ds_load_2addr_b64 v[1:4], v21 offset0:117 offset1:118
	v_add_f32_e32 v22, v22, v201
	v_add_f32_e32 v22, v22, v203
	s_delay_alu instid0(VALU_DEP_1) | instskip(NEXT) | instid1(VALU_DEP_1)
	v_add_f32_e32 v13, v22, v205
	v_add_f32_e32 v22, v13, v207
	;; [unrolled: 1-line block ×3, first 2 shown]
	s_delay_alu instid0(VALU_DEP_1) | instskip(NEXT) | instid1(VALU_DEP_1)
	v_add_f32_e32 v17, v17, v196
	v_add_f32_e32 v17, v17, v198
	s_delay_alu instid0(VALU_DEP_1) | instskip(SKIP_2) | instid1(VALU_DEP_1)
	v_add_f32_e32 v23, v17, v200
	scratch_load_b128 v[17:20], off, off offset:472
	v_add_f32_e32 v23, v23, v202
	v_add_f32_e32 v23, v23, v204
	s_delay_alu instid0(VALU_DEP_1) | instskip(NEXT) | instid1(VALU_DEP_1)
	v_add_f32_e32 v23, v23, v206
	v_dual_add_f32 v14, v23, v208 :: v_dual_add_f32 v29, v22, v209
	ds_load_2addr_b64 v[22:25], v21 offset0:121 offset1:122
	v_add_f32_e32 v28, v14, v210
	ds_load_2addr_b64 v[13:16], v21 offset0:119 offset1:120
	v_dual_add_f32 v166, v29, v211 :: v_dual_add_f32 v165, v28, v212
	ds_load_b64 v[28:29], v21 offset:984
	v_add_f32_e32 v32, v166, v32
	v_add_f32_e32 v158, v165, v158
	s_wait_loadcnt_dscnt 0x203
	v_mul_f32_e32 v165, v1, v6
	v_mul_f32_e32 v6, v2, v6
	s_delay_alu instid0(VALU_DEP_3) | instskip(NEXT) | instid1(VALU_DEP_3)
	v_add_f32_e32 v158, v158, v160
	v_fmac_f32_e32 v165, v2, v5
	s_delay_alu instid0(VALU_DEP_3) | instskip(NEXT) | instid1(VALU_DEP_3)
	v_fma_f32 v1, v1, v5, -v6
	v_add_f32_e32 v158, v158, v163
	s_wait_loadcnt_dscnt 0x101
	v_mul_f32_e32 v160, v13, v10
	v_dual_add_f32 v32, v32, v157 :: v_dual_mul_f32 v157, v3, v8
	v_mul_f32_e32 v8, v4, v8
	v_add_f32_e32 v158, v158, v164
	v_mul_f32_e32 v5, v16, v12
	s_delay_alu instid0(VALU_DEP_4) | instskip(SKIP_3) | instid1(VALU_DEP_4)
	v_add_f32_e32 v32, v32, v161
	v_fmac_f32_e32 v157, v4, v7
	v_fma_f32 v2, v3, v7, -v8
	v_mul_f32_e32 v3, v14, v10
	v_dual_add_f32 v1, v158, v1 :: v_dual_add_f32 v32, v32, v162
	v_dual_mul_f32 v161, v15, v12 :: v_dual_fmac_f32 v160, v14, v9
	s_delay_alu instid0(VALU_DEP_3) | instskip(NEXT) | instid1(VALU_DEP_3)
	v_fma_f32 v3, v13, v9, -v3
	v_dual_add_f32 v1, v1, v2 :: v_dual_add_f32 v4, v32, v165
	s_delay_alu instid0(VALU_DEP_3) | instskip(SKIP_4) | instid1(VALU_DEP_2)
	v_fmac_f32_e32 v161, v16, v11
	v_fma_f32 v5, v15, v11, -v5
	s_wait_dscnt 0x0
	v_mul_f32_e32 v162, v28, v27
	v_dual_add_f32 v1, v1, v3 :: v_dual_add_f32 v2, v4, v157
	v_fmac_f32_e32 v162, v29, v26
	s_delay_alu instid0(VALU_DEP_2) | instskip(NEXT) | instid1(VALU_DEP_1)
	v_dual_add_f32 v1, v1, v5 :: v_dual_add_f32 v2, v2, v160
	v_dual_mul_f32 v5, v29, v27 :: v_dual_add_f32 v2, v2, v161
	s_wait_loadcnt 0x0
	v_mul_f32_e32 v163, v22, v18
	v_mul_f32_e32 v4, v23, v18
	;; [unrolled: 1-line block ×4, first 2 shown]
	s_delay_alu instid0(VALU_DEP_4) | instskip(NEXT) | instid1(VALU_DEP_4)
	v_fmac_f32_e32 v163, v23, v17
	v_fma_f32 v4, v22, v17, -v4
	s_delay_alu instid0(VALU_DEP_4) | instskip(NEXT) | instid1(VALU_DEP_4)
	v_fmac_f32_e32 v164, v25, v19
	v_fma_f32 v3, v24, v19, -v3
	s_delay_alu instid0(VALU_DEP_3) | instskip(SKIP_1) | instid1(VALU_DEP_2)
	v_dual_add_f32 v2, v2, v163 :: v_dual_add_f32 v1, v1, v4
	v_fma_f32 v4, v28, v26, -v5
	v_dual_add_f32 v2, v2, v164 :: v_dual_add_f32 v1, v1, v3
	s_delay_alu instid0(VALU_DEP_1) | instskip(NEXT) | instid1(VALU_DEP_1)
	v_dual_add_f32 v2, v2, v162 :: v_dual_add_f32 v1, v1, v4
	v_dual_sub_f32 v2, v31, v2 :: v_dual_sub_f32 v1, v30, v1
	scratch_store_b64 off, v[1:2], off offset:112
	v_cmpx_lt_u32_e32 13, v0
	s_cbranch_execz .LBB125_359
; %bb.358:
	scratch_load_b64 v[1:2], off, off offset:104
	v_mov_b32_e32 v22, v21
	scratch_store_b64 off, v[21:22], off offset:104
	s_wait_loadcnt 0x0
	ds_store_b64 v159, v[1:2]
.LBB125_359:
	s_wait_alu 0xfffe
	s_or_b32 exec_lo, exec_lo, s0
	s_wait_storecnt_dscnt 0x0
	s_barrier_signal -1
	s_barrier_wait -1
	global_inv scope:SCOPE_SE
	s_clause 0x4
	scratch_load_b128 v[5:8], off, off offset:112
	scratch_load_b128 v[1:4], off, off offset:128
	;; [unrolled: 1-line block ×5, first 2 shown]
	ds_load_b128 v[22:25], v21 offset:608
	ds_load_b128 v[26:29], v21 offset:624
	;; [unrolled: 1-line block ×3, first 2 shown]
	scratch_load_b64 v[30:31], off, off offset:104
	s_mov_b32 s0, exec_lo
	s_wait_loadcnt_dscnt 0x502
	v_mul_f32_e32 v32, v23, v6
	v_dual_mul_f32 v157, v22, v6 :: v_dual_mul_f32 v158, v24, v8
	v_mul_f32_e32 v6, v25, v8
	s_wait_loadcnt_dscnt 0x300
	v_mul_f32_e32 v164, v162, v12
	v_mul_f32_e32 v12, v163, v12
	v_dual_fmac_f32 v157, v23, v5 :: v_dual_fmac_f32 v158, v25, v7
	v_fma_f32 v23, v24, v7, -v6
	v_mul_f32_e32 v25, v28, v4
	v_fma_f32 v22, v22, v5, -v32
	ds_load_b128 v[5:8], v21 offset:656
	v_mul_f32_e32 v24, v26, v2
	v_mul_f32_e32 v4, v29, v4
	;; [unrolled: 1-line block ×4, first 2 shown]
	v_dual_mul_f32 v2, v27, v2 :: v_dual_fmac_f32 v25, v29, v3
	v_fmac_f32_e32 v24, v27, v1
	v_fma_f32 v27, v28, v3, -v4
	v_fmac_f32_e32 v32, v161, v9
	v_fma_f32 v28, v160, v9, -v10
	;; [unrolled: 2-line block ×3, first 2 shown]
	ds_load_b128 v[9:12], v21 offset:672
	s_wait_loadcnt_dscnt 0x201
	v_dual_mul_f32 v161, v7, v16 :: v_dual_mul_f32 v160, v5, v14
	v_mul_f32_e32 v14, v6, v14
	v_mul_f32_e32 v16, v8, v16
	s_delay_alu instid0(VALU_DEP_3)
	v_fmac_f32_e32 v161, v8, v15
	v_fma_f32 v26, v26, v1, -v2
	scratch_load_b128 v[1:4], off, off offset:192
	v_fmac_f32_e32 v160, v6, v13
	v_fma_f32 v13, v5, v13, -v14
	v_fma_f32 v14, v7, v15, -v16
	ds_load_b128 v[5:8], v21 offset:688
	s_wait_loadcnt_dscnt 0x201
	v_mul_f32_e32 v15, v9, v18
	v_mul_f32_e32 v16, v10, v18
	;; [unrolled: 1-line block ×3, first 2 shown]
	s_delay_alu instid0(VALU_DEP_3) | instskip(NEXT) | instid1(VALU_DEP_3)
	v_dual_mul_f32 v20, v12, v20 :: v_dual_fmac_f32 v15, v10, v17
	v_fma_f32 v16, v9, v17, -v16
	s_delay_alu instid0(VALU_DEP_3) | instskip(NEXT) | instid1(VALU_DEP_3)
	v_fmac_f32_e32 v18, v12, v19
	v_fma_f32 v17, v11, v19, -v20
	scratch_load_b128 v[9:12], off, off offset:208
	s_wait_loadcnt_dscnt 0x100
	v_mul_f32_e32 v19, v5, v2
	v_mul_f32_e32 v2, v6, v2
	;; [unrolled: 1-line block ×3, first 2 shown]
	s_delay_alu instid0(VALU_DEP_3) | instskip(NEXT) | instid1(VALU_DEP_3)
	v_dual_mul_f32 v4, v8, v4 :: v_dual_fmac_f32 v19, v6, v1
	v_fma_f32 v162, v5, v1, -v2
	s_delay_alu instid0(VALU_DEP_3) | instskip(NEXT) | instid1(VALU_DEP_3)
	v_fmac_f32_e32 v20, v8, v3
	v_fma_f32 v163, v7, v3, -v4
	ds_load_b128 v[1:4], v21 offset:704
	ds_load_b128 v[5:8], v21 offset:720
	s_wait_loadcnt_dscnt 0x1
	v_mul_f32_e32 v165, v1, v10
	v_mul_f32_e32 v10, v2, v10
	s_delay_alu instid0(VALU_DEP_2) | instskip(NEXT) | instid1(VALU_DEP_2)
	v_dual_mul_f32 v166, v3, v12 :: v_dual_fmac_f32 v165, v2, v9
	v_fma_f32 v167, v1, v9, -v10
	v_mul_f32_e32 v1, v4, v12
	s_delay_alu instid0(VALU_DEP_3) | instskip(NEXT) | instid1(VALU_DEP_2)
	v_fmac_f32_e32 v166, v4, v11
	v_fma_f32 v168, v3, v11, -v1
	s_clause 0x1
	scratch_load_b128 v[1:4], off, off offset:224
	scratch_load_b128 v[9:12], off, off offset:240
	s_wait_loadcnt_dscnt 0x100
	v_mul_f32_e32 v169, v5, v2
	v_dual_mul_f32 v2, v6, v2 :: v_dual_mul_f32 v171, v7, v4
	s_delay_alu instid0(VALU_DEP_2) | instskip(NEXT) | instid1(VALU_DEP_2)
	v_fmac_f32_e32 v169, v6, v1
	v_fma_f32 v170, v5, v1, -v2
	v_mul_f32_e32 v1, v8, v4
	s_delay_alu instid0(VALU_DEP_4) | instskip(NEXT) | instid1(VALU_DEP_2)
	v_fmac_f32_e32 v171, v8, v3
	v_fma_f32 v172, v7, v3, -v1
	ds_load_b128 v[1:4], v21 offset:736
	ds_load_b128 v[5:8], v21 offset:752
	s_wait_loadcnt_dscnt 0x1
	v_mul_f32_e32 v173, v1, v10
	v_mul_f32_e32 v175, v3, v12
	s_delay_alu instid0(VALU_DEP_2) | instskip(NEXT) | instid1(VALU_DEP_2)
	v_fmac_f32_e32 v173, v2, v9
	v_dual_mul_f32 v2, v2, v10 :: v_dual_fmac_f32 v175, v4, v11
	s_delay_alu instid0(VALU_DEP_1) | instskip(SKIP_1) | instid1(VALU_DEP_1)
	v_fma_f32 v174, v1, v9, -v2
	v_mul_f32_e32 v1, v4, v12
	v_fma_f32 v176, v3, v11, -v1
	s_clause 0x1
	scratch_load_b128 v[1:4], off, off offset:256
	scratch_load_b128 v[9:12], off, off offset:272
	s_wait_loadcnt_dscnt 0x100
	v_mul_f32_e32 v177, v5, v2
	v_dual_mul_f32 v2, v6, v2 :: v_dual_mul_f32 v179, v7, v4
	s_delay_alu instid0(VALU_DEP_2) | instskip(NEXT) | instid1(VALU_DEP_2)
	v_fmac_f32_e32 v177, v6, v1
	v_fma_f32 v178, v5, v1, -v2
	v_mul_f32_e32 v1, v8, v4
	s_delay_alu instid0(VALU_DEP_4) | instskip(NEXT) | instid1(VALU_DEP_2)
	v_fmac_f32_e32 v179, v8, v3
	v_fma_f32 v180, v7, v3, -v1
	ds_load_b128 v[1:4], v21 offset:768
	ds_load_b128 v[5:8], v21 offset:784
	s_wait_loadcnt_dscnt 0x1
	v_mul_f32_e32 v181, v1, v10
	v_mul_f32_e32 v183, v3, v12
	s_delay_alu instid0(VALU_DEP_2) | instskip(NEXT) | instid1(VALU_DEP_2)
	v_fmac_f32_e32 v181, v2, v9
	v_dual_mul_f32 v2, v2, v10 :: v_dual_fmac_f32 v183, v4, v11
	s_delay_alu instid0(VALU_DEP_1) | instskip(SKIP_1) | instid1(VALU_DEP_1)
	v_fma_f32 v182, v1, v9, -v2
	v_mul_f32_e32 v1, v4, v12
	;; [unrolled: 25-line block ×5, first 2 shown]
	v_fma_f32 v208, v3, v11, -v1
	s_clause 0x1
	scratch_load_b128 v[1:4], off, off offset:384
	scratch_load_b128 v[9:12], off, off offset:400
	s_wait_loadcnt_dscnt 0x100
	v_mul_f32_e32 v209, v5, v2
	v_dual_mul_f32 v2, v6, v2 :: v_dual_mul_f32 v211, v7, v4
	s_delay_alu instid0(VALU_DEP_1) | instskip(NEXT) | instid1(VALU_DEP_2)
	v_fma_f32 v210, v5, v1, -v2
	v_fmac_f32_e32 v211, v8, v3
	s_delay_alu instid0(VALU_DEP_4) | instskip(SKIP_1) | instid1(VALU_DEP_1)
	v_fmac_f32_e32 v209, v6, v1
	v_mul_f32_e32 v1, v8, v4
	v_fma_f32 v212, v7, v3, -v1
	ds_load_b128 v[1:4], v21 offset:896
	ds_load_b128 v[5:8], v21 offset:912
	s_wait_loadcnt_dscnt 0x1
	v_mul_f32_e32 v213, v1, v10
	v_mul_f32_e32 v215, v3, v12
	s_delay_alu instid0(VALU_DEP_1) | instskip(NEXT) | instid1(VALU_DEP_3)
	v_fmac_f32_e32 v215, v4, v11
	v_fmac_f32_e32 v213, v2, v9
	v_mul_f32_e32 v2, v2, v10
	s_delay_alu instid0(VALU_DEP_1) | instskip(SKIP_1) | instid1(VALU_DEP_1)
	v_fma_f32 v214, v1, v9, -v2
	v_mul_f32_e32 v1, v4, v12
	v_fma_f32 v216, v3, v11, -v1
	s_clause 0x1
	scratch_load_b128 v[1:4], off, off offset:416
	scratch_load_b128 v[9:12], off, off offset:432
	s_wait_loadcnt_dscnt 0x100
	v_mul_f32_e32 v217, v5, v2
	v_mul_f32_e32 v2, v6, v2
	s_delay_alu instid0(VALU_DEP_2) | instskip(NEXT) | instid1(VALU_DEP_2)
	v_fmac_f32_e32 v217, v6, v1
	v_fma_f32 v218, v5, v1, -v2
	v_dual_add_f32 v2, 0, v157 :: v_dual_mul_f32 v1, v8, v4
	s_delay_alu instid0(VALU_DEP_1) | instskip(NEXT) | instid1(VALU_DEP_2)
	v_add_f32_e32 v2, v2, v158
	v_fma_f32 v220, v7, v3, -v1
	s_delay_alu instid0(VALU_DEP_2) | instskip(NEXT) | instid1(VALU_DEP_1)
	v_add_f32_e32 v2, v2, v24
	v_add_f32_e32 v2, v2, v25
	s_delay_alu instid0(VALU_DEP_1) | instskip(NEXT) | instid1(VALU_DEP_1)
	v_add_f32_e32 v2, v2, v32
	v_dual_add_f32 v2, v2, v164 :: v_dual_add_f32 v1, 0, v22
	s_delay_alu instid0(VALU_DEP_1) | instskip(NEXT) | instid1(VALU_DEP_1)
	v_dual_add_f32 v2, v2, v160 :: v_dual_add_f32 v1, v1, v23
	v_dual_add_f32 v2, v2, v161 :: v_dual_add_f32 v1, v1, v26
	s_delay_alu instid0(VALU_DEP_1) | instskip(NEXT) | instid1(VALU_DEP_1)
	v_add_f32_e32 v2, v2, v15
	v_dual_add_f32 v1, v1, v27 :: v_dual_add_f32 v2, v2, v18
	s_delay_alu instid0(VALU_DEP_1) | instskip(NEXT) | instid1(VALU_DEP_1)
	v_dual_add_f32 v1, v1, v28 :: v_dual_add_f32 v2, v2, v19
	v_dual_add_f32 v1, v1, v29 :: v_dual_add_f32 v2, v2, v20
	s_delay_alu instid0(VALU_DEP_1) | instskip(NEXT) | instid1(VALU_DEP_1)
	v_add_f32_e32 v1, v1, v13
	v_dual_add_f32 v2, v2, v165 :: v_dual_add_f32 v1, v1, v14
	s_delay_alu instid0(VALU_DEP_1) | instskip(NEXT) | instid1(VALU_DEP_1)
	v_dual_add_f32 v2, v2, v166 :: v_dual_add_f32 v1, v1, v16
	v_add_f32_e32 v2, v2, v169
	s_delay_alu instid0(VALU_DEP_1) | instskip(NEXT) | instid1(VALU_DEP_1)
	v_dual_add_f32 v1, v1, v17 :: v_dual_add_f32 v2, v2, v171
	v_dual_add_f32 v1, v1, v162 :: v_dual_add_f32 v2, v2, v173
	s_delay_alu instid0(VALU_DEP_1) | instskip(NEXT) | instid1(VALU_DEP_2)
	v_add_f32_e32 v1, v1, v163
	v_add_f32_e32 v2, v2, v175
	s_delay_alu instid0(VALU_DEP_1) | instskip(NEXT) | instid1(VALU_DEP_1)
	v_dual_add_f32 v1, v1, v167 :: v_dual_add_f32 v2, v2, v177
	v_dual_add_f32 v1, v1, v168 :: v_dual_add_f32 v2, v2, v179
	s_delay_alu instid0(VALU_DEP_1) | instskip(NEXT) | instid1(VALU_DEP_1)
	v_dual_add_f32 v1, v1, v170 :: v_dual_add_f32 v2, v2, v181
	v_dual_add_f32 v1, v1, v172 :: v_dual_add_f32 v2, v2, v183
	s_delay_alu instid0(VALU_DEP_1) | instskip(NEXT) | instid1(VALU_DEP_1)
	v_add_f32_e32 v1, v1, v174
	v_add_f32_e32 v1, v1, v176
	s_delay_alu instid0(VALU_DEP_1) | instskip(NEXT) | instid1(VALU_DEP_1)
	v_add_f32_e32 v1, v1, v178
	v_add_f32_e32 v1, v1, v180
	;; [unrolled: 3-line block ×5, first 2 shown]
	v_dual_add_f32 v2, v2, v185 :: v_dual_mul_f32 v219, v7, v4
	s_delay_alu instid0(VALU_DEP_2) | instskip(NEXT) | instid1(VALU_DEP_2)
	v_add_f32_e32 v6, v6, v194
	v_add_f32_e32 v2, v2, v187
	s_delay_alu instid0(VALU_DEP_2) | instskip(NEXT) | instid1(VALU_DEP_2)
	v_add_f32_e32 v13, v6, v196
	v_add_f32_e32 v5, v2, v189
	;; [unrolled: 3-line block ×5, first 2 shown]
	v_fmac_f32_e32 v219, v8, v3
	ds_load_b128 v[1:4], v21 offset:928
	ds_load_b128 v[5:8], v21 offset:944
	v_add_f32_e32 v18, v13, v204
	s_delay_alu instid0(VALU_DEP_1) | instskip(NEXT) | instid1(VALU_DEP_1)
	v_add_f32_e32 v18, v18, v206
	v_add_f32_e32 v18, v18, v208
	s_delay_alu instid0(VALU_DEP_1)
	v_add_f32_e32 v22, v18, v210
	s_wait_loadcnt_dscnt 0x1
	v_dual_mul_f32 v25, v1, v10 :: v_dual_mul_f32 v26, v3, v12
	v_mul_f32_e32 v10, v2, v10
	v_mul_f32_e32 v12, v4, v12
	v_add_f32_e32 v14, v14, v197
	s_delay_alu instid0(VALU_DEP_4) | instskip(NEXT) | instid1(VALU_DEP_4)
	v_dual_fmac_f32 v25, v2, v9 :: v_dual_fmac_f32 v26, v4, v11
	v_fma_f32 v27, v1, v9, -v10
	s_delay_alu instid0(VALU_DEP_4) | instskip(SKIP_4) | instid1(VALU_DEP_1)
	v_fma_f32 v28, v3, v11, -v12
	s_clause 0x1
	scratch_load_b128 v[1:4], off, off offset:448
	scratch_load_b128 v[9:12], off, off offset:464
	v_add_f32_e32 v14, v14, v199
	v_add_f32_e32 v17, v14, v201
	scratch_load_b128 v[13:16], off, off offset:480
	v_add_f32_e32 v17, v17, v203
	s_delay_alu instid0(VALU_DEP_1) | instskip(NEXT) | instid1(VALU_DEP_1)
	v_add_f32_e32 v17, v17, v205
	v_add_f32_e32 v17, v17, v207
	s_delay_alu instid0(VALU_DEP_1) | instskip(SKIP_2) | instid1(VALU_DEP_1)
	v_add_f32_e32 v23, v17, v209
	ds_load_b128 v[17:20], v21 offset:960
	v_add_f32_e32 v32, v23, v211
	v_add_f32_e32 v32, v32, v213
	s_delay_alu instid0(VALU_DEP_1) | instskip(SKIP_2) | instid1(VALU_DEP_2)
	v_add_f32_e32 v32, v32, v215
	s_wait_loadcnt_dscnt 0x201
	v_mul_f32_e32 v158, v7, v4
	v_dual_add_f32 v32, v32, v217 :: v_dual_mul_f32 v157, v5, v2
	v_mul_f32_e32 v2, v6, v2
	v_mul_f32_e32 v4, v8, v4
	s_wait_loadcnt_dscnt 0x100
	v_mul_f32_e32 v160, v17, v10
	v_dual_add_f32 v32, v32, v219 :: v_dual_fmac_f32 v157, v6, v1
	v_fma_f32 v2, v5, v1, -v2
	v_mul_f32_e32 v6, v18, v10
	v_fmac_f32_e32 v158, v8, v3
	s_delay_alu instid0(VALU_DEP_4) | instskip(SKIP_3) | instid1(VALU_DEP_4)
	v_add_f32_e32 v25, v32, v25
	v_fma_f32 v3, v7, v3, -v4
	v_mul_f32_e32 v161, v19, v12
	v_mul_f32_e32 v4, v20, v12
	v_dual_fmac_f32 v160, v18, v9 :: v_dual_add_f32 v5, v25, v26
	v_add_f32_e32 v29, v22, v212
	ds_load_b128 v[21:24], v21 offset:976
	v_fmac_f32_e32 v161, v20, v11
	v_fma_f32 v4, v19, v11, -v4
	v_add_f32_e32 v29, v29, v214
	s_delay_alu instid0(VALU_DEP_1) | instskip(NEXT) | instid1(VALU_DEP_1)
	v_add_f32_e32 v29, v29, v216
	v_add_f32_e32 v29, v29, v218
	s_delay_alu instid0(VALU_DEP_1) | instskip(SKIP_2) | instid1(VALU_DEP_2)
	v_add_f32_e32 v29, v29, v220
	s_wait_loadcnt_dscnt 0x0
	v_mul_f32_e32 v162, v21, v14
	v_add_f32_e32 v27, v29, v27
	s_delay_alu instid0(VALU_DEP_2) | instskip(NEXT) | instid1(VALU_DEP_2)
	v_dual_mul_f32 v29, v23, v16 :: v_dual_fmac_f32 v162, v22, v13
	v_add_f32_e32 v1, v27, v28
	s_delay_alu instid0(VALU_DEP_2) | instskip(NEXT) | instid1(VALU_DEP_2)
	v_fmac_f32_e32 v29, v24, v15
	v_add_f32_e32 v1, v1, v2
	v_add_f32_e32 v2, v5, v157
	v_fma_f32 v5, v17, v9, -v6
	s_delay_alu instid0(VALU_DEP_2) | instskip(SKIP_1) | instid1(VALU_DEP_2)
	v_dual_add_f32 v1, v1, v3 :: v_dual_add_f32 v2, v2, v158
	v_mul_f32_e32 v3, v22, v14
	v_dual_add_f32 v1, v1, v5 :: v_dual_add_f32 v2, v2, v160
	v_mul_f32_e32 v5, v24, v16
	s_delay_alu instid0(VALU_DEP_3) | instskip(NEXT) | instid1(VALU_DEP_3)
	v_fma_f32 v3, v21, v13, -v3
	v_dual_add_f32 v1, v1, v4 :: v_dual_add_f32 v2, v2, v161
	s_delay_alu instid0(VALU_DEP_3) | instskip(NEXT) | instid1(VALU_DEP_2)
	v_fma_f32 v4, v23, v15, -v5
	v_dual_add_f32 v1, v1, v3 :: v_dual_add_f32 v2, v2, v162
	s_delay_alu instid0(VALU_DEP_1) | instskip(NEXT) | instid1(VALU_DEP_1)
	v_dual_add_f32 v1, v1, v4 :: v_dual_add_f32 v2, v2, v29
	v_dual_sub_f32 v1, v30, v1 :: v_dual_sub_f32 v2, v31, v2
	scratch_store_b64 off, v[1:2], off offset:104
	v_cmpx_lt_u32_e32 12, v0
	s_cbranch_execz .LBB125_361
; %bb.360:
	scratch_load_b64 v[1:2], off, off offset:96
	v_mov_b32_e32 v3, 0
	s_delay_alu instid0(VALU_DEP_1)
	v_mov_b32_e32 v4, v3
	scratch_store_b64 off, v[3:4], off offset:96
	s_wait_loadcnt 0x0
	ds_store_b64 v159, v[1:2]
.LBB125_361:
	s_wait_alu 0xfffe
	s_or_b32 exec_lo, exec_lo, s0
	s_wait_storecnt_dscnt 0x0
	s_barrier_signal -1
	s_barrier_wait -1
	global_inv scope:SCOPE_SE
	s_clause 0x4
	scratch_load_b128 v[5:8], off, off offset:104
	scratch_load_b128 v[1:4], off, off offset:120
	;; [unrolled: 1-line block ×5, first 2 shown]
	v_mov_b32_e32 v25, 0
	ds_load_2addr_b64 v[21:24], v25 offset0:75 offset1:76
	ds_load_2addr_b64 v[26:29], v25 offset0:77 offset1:78
	;; [unrolled: 1-line block ×3, first 2 shown]
	scratch_load_b64 v[30:31], off, off offset:96
	s_mov_b32 s0, exec_lo
	s_wait_loadcnt_dscnt 0x502
	v_mul_f32_e32 v32, v22, v6
	v_dual_mul_f32 v157, v21, v6 :: v_dual_mul_f32 v158, v23, v8
	v_mul_f32_e32 v6, v24, v8
	s_wait_loadcnt_dscnt 0x300
	v_mul_f32_e32 v164, v162, v12
	v_fma_f32 v21, v21, v5, -v32
	v_dual_fmac_f32 v157, v22, v5 :: v_dual_fmac_f32 v158, v24, v7
	v_fma_f32 v22, v23, v7, -v6
	ds_load_2addr_b64 v[5:8], v25 offset0:81 offset1:82
	v_dual_mul_f32 v23, v26, v2 :: v_dual_mul_f32 v24, v28, v4
	v_mul_f32_e32 v4, v29, v4
	v_mul_f32_e32 v32, v160, v10
	;; [unrolled: 1-line block ×5, first 2 shown]
	v_dual_fmac_f32 v23, v27, v1 :: v_dual_fmac_f32 v24, v29, v3
	v_fma_f32 v27, v28, v3, -v4
	v_fmac_f32_e32 v32, v161, v9
	v_fma_f32 v28, v160, v9, -v10
	v_fmac_f32_e32 v164, v163, v11
	v_fma_f32 v29, v162, v11, -v12
	ds_load_2addr_b64 v[9:12], v25 offset0:83 offset1:84
	s_wait_loadcnt_dscnt 0x201
	v_dual_mul_f32 v161, v7, v16 :: v_dual_mul_f32 v160, v5, v14
	v_mul_f32_e32 v14, v6, v14
	v_mul_f32_e32 v16, v8, v16
	s_delay_alu instid0(VALU_DEP_3)
	v_fmac_f32_e32 v161, v8, v15
	v_fma_f32 v26, v26, v1, -v2
	scratch_load_b128 v[1:4], off, off offset:184
	v_fmac_f32_e32 v160, v6, v13
	v_fma_f32 v13, v5, v13, -v14
	v_fma_f32 v14, v7, v15, -v16
	ds_load_2addr_b64 v[5:8], v25 offset0:85 offset1:86
	s_wait_loadcnt_dscnt 0x201
	v_mul_f32_e32 v15, v9, v18
	v_mul_f32_e32 v16, v10, v18
	;; [unrolled: 1-line block ×3, first 2 shown]
	s_delay_alu instid0(VALU_DEP_3) | instskip(NEXT) | instid1(VALU_DEP_3)
	v_dual_mul_f32 v20, v12, v20 :: v_dual_fmac_f32 v15, v10, v17
	v_fma_f32 v16, v9, v17, -v16
	s_delay_alu instid0(VALU_DEP_3) | instskip(NEXT) | instid1(VALU_DEP_3)
	v_fmac_f32_e32 v18, v12, v19
	v_fma_f32 v17, v11, v19, -v20
	scratch_load_b128 v[9:12], off, off offset:200
	s_wait_loadcnt_dscnt 0x100
	v_mul_f32_e32 v19, v5, v2
	v_mul_f32_e32 v2, v6, v2
	;; [unrolled: 1-line block ×3, first 2 shown]
	s_delay_alu instid0(VALU_DEP_3) | instskip(NEXT) | instid1(VALU_DEP_3)
	v_dual_mul_f32 v4, v8, v4 :: v_dual_fmac_f32 v19, v6, v1
	v_fma_f32 v162, v5, v1, -v2
	s_delay_alu instid0(VALU_DEP_3) | instskip(NEXT) | instid1(VALU_DEP_3)
	v_fmac_f32_e32 v20, v8, v3
	v_fma_f32 v163, v7, v3, -v4
	ds_load_2addr_b64 v[1:4], v25 offset0:87 offset1:88
	ds_load_2addr_b64 v[5:8], v25 offset0:89 offset1:90
	s_wait_loadcnt_dscnt 0x1
	v_mul_f32_e32 v165, v1, v10
	v_mul_f32_e32 v10, v2, v10
	s_delay_alu instid0(VALU_DEP_2) | instskip(NEXT) | instid1(VALU_DEP_2)
	v_dual_mul_f32 v166, v3, v12 :: v_dual_fmac_f32 v165, v2, v9
	v_fma_f32 v167, v1, v9, -v10
	v_mul_f32_e32 v1, v4, v12
	s_delay_alu instid0(VALU_DEP_3) | instskip(NEXT) | instid1(VALU_DEP_2)
	v_fmac_f32_e32 v166, v4, v11
	v_fma_f32 v168, v3, v11, -v1
	s_clause 0x1
	scratch_load_b128 v[1:4], off, off offset:216
	scratch_load_b128 v[9:12], off, off offset:232
	s_wait_loadcnt_dscnt 0x100
	v_mul_f32_e32 v169, v5, v2
	v_dual_mul_f32 v2, v6, v2 :: v_dual_mul_f32 v171, v7, v4
	s_delay_alu instid0(VALU_DEP_2) | instskip(NEXT) | instid1(VALU_DEP_2)
	v_fmac_f32_e32 v169, v6, v1
	v_fma_f32 v170, v5, v1, -v2
	v_mul_f32_e32 v1, v8, v4
	s_delay_alu instid0(VALU_DEP_4) | instskip(NEXT) | instid1(VALU_DEP_2)
	v_fmac_f32_e32 v171, v8, v3
	v_fma_f32 v172, v7, v3, -v1
	ds_load_2addr_b64 v[1:4], v25 offset0:91 offset1:92
	ds_load_2addr_b64 v[5:8], v25 offset0:93 offset1:94
	s_wait_loadcnt_dscnt 0x1
	v_mul_f32_e32 v173, v1, v10
	v_mul_f32_e32 v175, v3, v12
	s_delay_alu instid0(VALU_DEP_2) | instskip(NEXT) | instid1(VALU_DEP_2)
	v_fmac_f32_e32 v173, v2, v9
	v_dual_mul_f32 v2, v2, v10 :: v_dual_fmac_f32 v175, v4, v11
	s_delay_alu instid0(VALU_DEP_1) | instskip(SKIP_1) | instid1(VALU_DEP_1)
	v_fma_f32 v174, v1, v9, -v2
	v_mul_f32_e32 v1, v4, v12
	v_fma_f32 v176, v3, v11, -v1
	s_clause 0x1
	scratch_load_b128 v[1:4], off, off offset:248
	scratch_load_b128 v[9:12], off, off offset:264
	s_wait_loadcnt_dscnt 0x100
	v_mul_f32_e32 v177, v5, v2
	v_dual_mul_f32 v2, v6, v2 :: v_dual_mul_f32 v179, v7, v4
	s_delay_alu instid0(VALU_DEP_2) | instskip(NEXT) | instid1(VALU_DEP_2)
	v_fmac_f32_e32 v177, v6, v1
	v_fma_f32 v178, v5, v1, -v2
	v_mul_f32_e32 v1, v8, v4
	s_delay_alu instid0(VALU_DEP_4) | instskip(NEXT) | instid1(VALU_DEP_2)
	v_fmac_f32_e32 v179, v8, v3
	v_fma_f32 v180, v7, v3, -v1
	ds_load_2addr_b64 v[1:4], v25 offset0:95 offset1:96
	ds_load_2addr_b64 v[5:8], v25 offset0:97 offset1:98
	s_wait_loadcnt_dscnt 0x1
	v_mul_f32_e32 v181, v1, v10
	v_mul_f32_e32 v183, v3, v12
	s_delay_alu instid0(VALU_DEP_2) | instskip(NEXT) | instid1(VALU_DEP_2)
	v_fmac_f32_e32 v181, v2, v9
	v_dual_mul_f32 v2, v2, v10 :: v_dual_fmac_f32 v183, v4, v11
	s_delay_alu instid0(VALU_DEP_1) | instskip(SKIP_1) | instid1(VALU_DEP_1)
	v_fma_f32 v182, v1, v9, -v2
	v_mul_f32_e32 v1, v4, v12
	;; [unrolled: 25-line block ×6, first 2 shown]
	v_fma_f32 v216, v3, v11, -v1
	s_clause 0x1
	scratch_load_b128 v[1:4], off, off offset:408
	scratch_load_b128 v[9:12], off, off offset:424
	s_wait_loadcnt_dscnt 0x100
	v_mul_f32_e32 v217, v5, v2
	v_mul_f32_e32 v2, v6, v2
	s_delay_alu instid0(VALU_DEP_2) | instskip(NEXT) | instid1(VALU_DEP_2)
	v_fmac_f32_e32 v217, v6, v1
	v_fma_f32 v218, v5, v1, -v2
	v_dual_add_f32 v2, 0, v157 :: v_dual_mul_f32 v1, v8, v4
	s_delay_alu instid0(VALU_DEP_1) | instskip(NEXT) | instid1(VALU_DEP_2)
	v_add_f32_e32 v2, v2, v158
	v_fma_f32 v220, v7, v3, -v1
	s_delay_alu instid0(VALU_DEP_2) | instskip(NEXT) | instid1(VALU_DEP_1)
	v_add_f32_e32 v2, v2, v23
	v_add_f32_e32 v2, v2, v24
	s_delay_alu instid0(VALU_DEP_1) | instskip(NEXT) | instid1(VALU_DEP_1)
	v_add_f32_e32 v2, v2, v32
	v_dual_add_f32 v2, v2, v164 :: v_dual_add_f32 v1, 0, v21
	s_delay_alu instid0(VALU_DEP_1) | instskip(NEXT) | instid1(VALU_DEP_1)
	v_dual_add_f32 v2, v2, v160 :: v_dual_add_f32 v1, v1, v22
	v_dual_add_f32 v2, v2, v161 :: v_dual_add_f32 v1, v1, v26
	s_delay_alu instid0(VALU_DEP_1) | instskip(NEXT) | instid1(VALU_DEP_2)
	v_add_f32_e32 v2, v2, v15
	v_add_f32_e32 v1, v1, v27
	scratch_load_b64 v[26:27], off, off offset:488
	v_dual_add_f32 v2, v2, v18 :: v_dual_add_f32 v1, v1, v28
	s_delay_alu instid0(VALU_DEP_1) | instskip(NEXT) | instid1(VALU_DEP_1)
	v_dual_add_f32 v2, v2, v19 :: v_dual_add_f32 v1, v1, v29
	v_dual_add_f32 v2, v2, v20 :: v_dual_add_f32 v1, v1, v13
	s_delay_alu instid0(VALU_DEP_1) | instskip(NEXT) | instid1(VALU_DEP_1)
	v_dual_add_f32 v2, v2, v165 :: v_dual_add_f32 v1, v1, v14
	v_dual_add_f32 v2, v2, v166 :: v_dual_add_f32 v1, v1, v16
	s_delay_alu instid0(VALU_DEP_1) | instskip(NEXT) | instid1(VALU_DEP_1)
	v_add_f32_e32 v2, v2, v169
	v_dual_add_f32 v1, v1, v17 :: v_dual_add_f32 v2, v2, v171
	s_delay_alu instid0(VALU_DEP_1) | instskip(NEXT) | instid1(VALU_DEP_1)
	v_dual_add_f32 v1, v1, v162 :: v_dual_add_f32 v2, v2, v173
	v_add_f32_e32 v1, v1, v163
	s_delay_alu instid0(VALU_DEP_2) | instskip(NEXT) | instid1(VALU_DEP_1)
	v_add_f32_e32 v2, v2, v175
	v_dual_add_f32 v1, v1, v167 :: v_dual_add_f32 v2, v2, v177
	s_delay_alu instid0(VALU_DEP_1) | instskip(NEXT) | instid1(VALU_DEP_1)
	v_dual_add_f32 v1, v1, v168 :: v_dual_add_f32 v2, v2, v179
	v_add_f32_e32 v1, v1, v170
	s_delay_alu instid0(VALU_DEP_1) | instskip(NEXT) | instid1(VALU_DEP_1)
	v_add_f32_e32 v1, v1, v172
	v_add_f32_e32 v1, v1, v174
	s_delay_alu instid0(VALU_DEP_1) | instskip(NEXT) | instid1(VALU_DEP_1)
	v_add_f32_e32 v1, v1, v176
	;; [unrolled: 3-line block ×5, first 2 shown]
	v_add_f32_e32 v1, v1, v190
	s_delay_alu instid0(VALU_DEP_1) | instskip(SKIP_1) | instid1(VALU_DEP_2)
	v_add_f32_e32 v6, v1, v192
	v_dual_add_f32 v2, v2, v181 :: v_dual_mul_f32 v219, v7, v4
	v_add_f32_e32 v6, v6, v194
	s_delay_alu instid0(VALU_DEP_2) | instskip(NEXT) | instid1(VALU_DEP_3)
	v_add_f32_e32 v2, v2, v183
	v_fmac_f32_e32 v219, v8, v3
	s_delay_alu instid0(VALU_DEP_3) | instskip(NEXT) | instid1(VALU_DEP_1)
	v_add_f32_e32 v13, v6, v196
	v_dual_add_f32 v2, v2, v185 :: v_dual_add_f32 v13, v13, v198
	s_delay_alu instid0(VALU_DEP_1) | instskip(NEXT) | instid1(VALU_DEP_1)
	v_dual_add_f32 v2, v2, v187 :: v_dual_add_f32 v13, v13, v200
	v_add_f32_e32 v5, v2, v189
	ds_load_2addr_b64 v[1:4], v25 offset0:115 offset1:116
	v_add_f32_e32 v13, v13, v202
	v_add_f32_e32 v5, v5, v191
	s_delay_alu instid0(VALU_DEP_2) | instskip(NEXT) | instid1(VALU_DEP_1)
	v_add_f32_e32 v18, v13, v204
	v_dual_add_f32 v5, v5, v193 :: v_dual_add_f32 v18, v18, v206
	s_delay_alu instid0(VALU_DEP_1)
	v_add_f32_e32 v14, v5, v195
	ds_load_2addr_b64 v[5:8], v25 offset0:117 offset1:118
	v_add_f32_e32 v18, v18, v208
	v_add_f32_e32 v14, v14, v197
	s_wait_loadcnt_dscnt 0x101
	v_mul_f32_e32 v32, v1, v10
	v_dual_mul_f32 v10, v2, v10 :: v_dual_mul_f32 v157, v3, v12
	v_mul_f32_e32 v12, v4, v12
	v_add_f32_e32 v14, v14, v199
	s_delay_alu instid0(VALU_DEP_4) | instskip(NEXT) | instid1(VALU_DEP_4)
	v_fmac_f32_e32 v32, v2, v9
	v_fma_f32 v158, v1, v9, -v10
	v_fmac_f32_e32 v157, v4, v11
	v_fma_f32 v160, v3, v11, -v12
	s_clause 0x1
	scratch_load_b128 v[1:4], off, off offset:440
	scratch_load_b128 v[9:12], off, off offset:456
	v_add_f32_e32 v17, v14, v201
	scratch_load_b128 v[13:16], off, off offset:472
	v_dual_add_f32 v18, v18, v210 :: v_dual_add_f32 v17, v17, v203
	s_delay_alu instid0(VALU_DEP_1) | instskip(NEXT) | instid1(VALU_DEP_1)
	v_add_f32_e32 v18, v18, v212
	v_add_f32_e32 v28, v18, v214
	s_delay_alu instid0(VALU_DEP_1) | instskip(NEXT) | instid1(VALU_DEP_1)
	v_add_f32_e32 v161, v28, v216
	v_add_f32_e32 v161, v161, v218
	;; [unrolled: 3-line block ×3, first 2 shown]
	s_delay_alu instid0(VALU_DEP_1) | instskip(SKIP_4) | instid1(VALU_DEP_3)
	v_add_f32_e32 v158, v158, v160
	s_wait_loadcnt_dscnt 0x200
	v_dual_mul_f32 v164, v7, v4 :: v_dual_add_f32 v17, v17, v205
	v_dual_mul_f32 v4, v8, v4 :: v_dual_mul_f32 v163, v5, v2
	v_mul_f32_e32 v2, v6, v2
	v_fmac_f32_e32 v164, v8, v3
	s_delay_alu instid0(VALU_DEP_4) | instskip(NEXT) | instid1(VALU_DEP_4)
	v_add_f32_e32 v17, v17, v207
	v_fmac_f32_e32 v163, v6, v1
	s_delay_alu instid0(VALU_DEP_4) | instskip(SKIP_1) | instid1(VALU_DEP_2)
	v_fma_f32 v2, v5, v1, -v2
	v_fma_f32 v1, v7, v3, -v4
	v_dual_add_f32 v17, v17, v209 :: v_dual_add_f32 v2, v158, v2
	s_delay_alu instid0(VALU_DEP_1)
	v_add_f32_e32 v21, v17, v211
	ds_load_2addr_b64 v[17:20], v25 offset0:119 offset1:120
	v_add_f32_e32 v1, v2, v1
	v_add_f32_e32 v29, v21, v213
	ds_load_2addr_b64 v[21:24], v25 offset0:121 offset1:122
	v_add_f32_e32 v162, v29, v215
	ds_load_b64 v[28:29], v25 offset:984
	v_add_f32_e32 v162, v162, v217
	s_wait_loadcnt_dscnt 0x102
	s_delay_alu instid0(VALU_DEP_1) | instskip(SKIP_2) | instid1(VALU_DEP_3)
	v_dual_add_f32 v162, v162, v219 :: v_dual_mul_f32 v161, v17, v10
	v_mul_f32_e32 v3, v18, v10
	v_mul_f32_e32 v5, v20, v12
	v_add_f32_e32 v32, v162, v32
	s_delay_alu instid0(VALU_DEP_4) | instskip(NEXT) | instid1(VALU_DEP_4)
	v_dual_mul_f32 v162, v19, v12 :: v_dual_fmac_f32 v161, v18, v9
	v_fma_f32 v3, v17, v9, -v3
	s_wait_loadcnt_dscnt 0x1
	s_delay_alu instid0(VALU_DEP_3) | instskip(NEXT) | instid1(VALU_DEP_3)
	v_dual_mul_f32 v165, v21, v14 :: v_dual_add_f32 v32, v32, v157
	v_fmac_f32_e32 v162, v20, v11
	v_fma_f32 v5, v19, v11, -v5
	v_dual_add_f32 v1, v1, v3 :: v_dual_mul_f32 v160, v23, v16
	s_delay_alu instid0(VALU_DEP_4) | instskip(SKIP_2) | instid1(VALU_DEP_4)
	v_add_f32_e32 v4, v32, v163
	v_mul_f32_e32 v3, v24, v16
	v_fmac_f32_e32 v165, v22, v13
	v_add_f32_e32 v1, v1, v5
	s_wait_dscnt 0x0
	v_mul_f32_e32 v157, v28, v27
	v_add_f32_e32 v2, v4, v164
	v_dual_mul_f32 v4, v22, v14 :: v_dual_mul_f32 v5, v29, v27
	v_fmac_f32_e32 v160, v24, v15
	v_fma_f32 v3, v23, v15, -v3
	s_delay_alu instid0(VALU_DEP_4) | instskip(NEXT) | instid1(VALU_DEP_4)
	v_add_f32_e32 v2, v2, v161
	v_fma_f32 v4, v21, v13, -v4
	v_fmac_f32_e32 v157, v29, v26
	s_delay_alu instid0(VALU_DEP_2) | instskip(SKIP_1) | instid1(VALU_DEP_2)
	v_dual_add_f32 v2, v2, v162 :: v_dual_add_f32 v1, v1, v4
	v_fma_f32 v4, v28, v26, -v5
	v_dual_add_f32 v2, v2, v165 :: v_dual_add_f32 v1, v1, v3
	s_delay_alu instid0(VALU_DEP_1) | instskip(NEXT) | instid1(VALU_DEP_1)
	v_add_f32_e32 v2, v2, v160
	v_dual_add_f32 v1, v1, v4 :: v_dual_add_f32 v2, v2, v157
	s_delay_alu instid0(VALU_DEP_1)
	v_dual_sub_f32 v1, v30, v1 :: v_dual_sub_f32 v2, v31, v2
	scratch_store_b64 off, v[1:2], off offset:96
	v_cmpx_lt_u32_e32 11, v0
	s_cbranch_execz .LBB125_363
; %bb.362:
	scratch_load_b64 v[1:2], off, off offset:88
	v_mov_b32_e32 v26, v25
	scratch_store_b64 off, v[25:26], off offset:88
	s_wait_loadcnt 0x0
	ds_store_b64 v159, v[1:2]
.LBB125_363:
	s_wait_alu 0xfffe
	s_or_b32 exec_lo, exec_lo, s0
	s_wait_storecnt_dscnt 0x0
	s_barrier_signal -1
	s_barrier_wait -1
	global_inv scope:SCOPE_SE
	s_clause 0x4
	scratch_load_b128 v[5:8], off, off offset:96
	scratch_load_b128 v[1:4], off, off offset:112
	;; [unrolled: 1-line block ×5, first 2 shown]
	ds_load_b128 v[21:24], v25 offset:592
	ds_load_b128 v[26:29], v25 offset:608
	;; [unrolled: 1-line block ×3, first 2 shown]
	scratch_load_b64 v[30:31], off, off offset:88
	s_mov_b32 s0, exec_lo
	s_wait_loadcnt_dscnt 0x502
	v_dual_mul_f32 v32, v21, v6 :: v_dual_mul_f32 v157, v23, v8
	v_mul_f32_e32 v6, v22, v6
	v_mul_f32_e32 v8, v24, v8
	s_wait_loadcnt_dscnt 0x300
	v_mul_f32_e32 v158, v160, v10
	v_dual_fmac_f32 v32, v22, v5 :: v_dual_fmac_f32 v157, v24, v7
	v_fma_f32 v21, v21, v5, -v6
	v_fma_f32 v22, v23, v7, -v8
	ds_load_b128 v[5:8], v25 offset:640
	v_dual_mul_f32 v23, v26, v2 :: v_dual_mul_f32 v24, v28, v4
	v_mul_f32_e32 v4, v29, v4
	v_mul_f32_e32 v10, v161, v10
	;; [unrolled: 1-line block ×5, first 2 shown]
	v_dual_fmac_f32 v23, v27, v1 :: v_dual_fmac_f32 v24, v29, v3
	v_fma_f32 v27, v28, v3, -v4
	v_fmac_f32_e32 v158, v161, v9
	v_fma_f32 v28, v160, v9, -v10
	v_fmac_f32_e32 v164, v163, v11
	v_fma_f32 v29, v162, v11, -v12
	ds_load_b128 v[9:12], v25 offset:656
	s_wait_loadcnt_dscnt 0x201
	v_dual_mul_f32 v161, v7, v16 :: v_dual_mul_f32 v160, v5, v14
	v_mul_f32_e32 v14, v6, v14
	v_mul_f32_e32 v16, v8, v16
	s_delay_alu instid0(VALU_DEP_3)
	v_fmac_f32_e32 v161, v8, v15
	v_fma_f32 v26, v26, v1, -v2
	scratch_load_b128 v[1:4], off, off offset:176
	v_fmac_f32_e32 v160, v6, v13
	v_fma_f32 v13, v5, v13, -v14
	v_fma_f32 v14, v7, v15, -v16
	ds_load_b128 v[5:8], v25 offset:672
	s_wait_loadcnt_dscnt 0x201
	v_mul_f32_e32 v15, v9, v18
	v_mul_f32_e32 v16, v10, v18
	;; [unrolled: 1-line block ×3, first 2 shown]
	s_delay_alu instid0(VALU_DEP_3) | instskip(NEXT) | instid1(VALU_DEP_3)
	v_dual_mul_f32 v20, v12, v20 :: v_dual_fmac_f32 v15, v10, v17
	v_fma_f32 v16, v9, v17, -v16
	s_delay_alu instid0(VALU_DEP_3) | instskip(NEXT) | instid1(VALU_DEP_3)
	v_fmac_f32_e32 v18, v12, v19
	v_fma_f32 v17, v11, v19, -v20
	scratch_load_b128 v[9:12], off, off offset:192
	s_wait_loadcnt_dscnt 0x100
	v_mul_f32_e32 v19, v5, v2
	v_mul_f32_e32 v2, v6, v2
	;; [unrolled: 1-line block ×3, first 2 shown]
	s_delay_alu instid0(VALU_DEP_3) | instskip(NEXT) | instid1(VALU_DEP_3)
	v_dual_mul_f32 v4, v8, v4 :: v_dual_fmac_f32 v19, v6, v1
	v_fma_f32 v162, v5, v1, -v2
	s_delay_alu instid0(VALU_DEP_3) | instskip(NEXT) | instid1(VALU_DEP_3)
	v_fmac_f32_e32 v20, v8, v3
	v_fma_f32 v163, v7, v3, -v4
	ds_load_b128 v[1:4], v25 offset:688
	ds_load_b128 v[5:8], v25 offset:704
	s_wait_loadcnt_dscnt 0x1
	v_mul_f32_e32 v165, v1, v10
	v_mul_f32_e32 v10, v2, v10
	s_delay_alu instid0(VALU_DEP_2) | instskip(NEXT) | instid1(VALU_DEP_2)
	v_dual_mul_f32 v166, v3, v12 :: v_dual_fmac_f32 v165, v2, v9
	v_fma_f32 v167, v1, v9, -v10
	v_mul_f32_e32 v1, v4, v12
	s_delay_alu instid0(VALU_DEP_3) | instskip(NEXT) | instid1(VALU_DEP_2)
	v_fmac_f32_e32 v166, v4, v11
	v_fma_f32 v168, v3, v11, -v1
	s_clause 0x1
	scratch_load_b128 v[1:4], off, off offset:208
	scratch_load_b128 v[9:12], off, off offset:224
	s_wait_loadcnt_dscnt 0x100
	v_mul_f32_e32 v169, v5, v2
	v_dual_mul_f32 v2, v6, v2 :: v_dual_mul_f32 v171, v7, v4
	s_delay_alu instid0(VALU_DEP_2) | instskip(NEXT) | instid1(VALU_DEP_2)
	v_fmac_f32_e32 v169, v6, v1
	v_fma_f32 v170, v5, v1, -v2
	v_mul_f32_e32 v1, v8, v4
	s_delay_alu instid0(VALU_DEP_4) | instskip(NEXT) | instid1(VALU_DEP_2)
	v_fmac_f32_e32 v171, v8, v3
	v_fma_f32 v172, v7, v3, -v1
	ds_load_b128 v[1:4], v25 offset:720
	ds_load_b128 v[5:8], v25 offset:736
	s_wait_loadcnt_dscnt 0x1
	v_mul_f32_e32 v173, v1, v10
	v_mul_f32_e32 v175, v3, v12
	s_delay_alu instid0(VALU_DEP_2) | instskip(NEXT) | instid1(VALU_DEP_2)
	v_fmac_f32_e32 v173, v2, v9
	v_dual_mul_f32 v2, v2, v10 :: v_dual_fmac_f32 v175, v4, v11
	s_delay_alu instid0(VALU_DEP_1) | instskip(SKIP_1) | instid1(VALU_DEP_1)
	v_fma_f32 v174, v1, v9, -v2
	v_mul_f32_e32 v1, v4, v12
	v_fma_f32 v176, v3, v11, -v1
	s_clause 0x1
	scratch_load_b128 v[1:4], off, off offset:240
	scratch_load_b128 v[9:12], off, off offset:256
	s_wait_loadcnt_dscnt 0x100
	v_mul_f32_e32 v177, v5, v2
	v_dual_mul_f32 v2, v6, v2 :: v_dual_mul_f32 v179, v7, v4
	s_delay_alu instid0(VALU_DEP_2) | instskip(NEXT) | instid1(VALU_DEP_2)
	v_fmac_f32_e32 v177, v6, v1
	v_fma_f32 v178, v5, v1, -v2
	v_mul_f32_e32 v1, v8, v4
	s_delay_alu instid0(VALU_DEP_4) | instskip(NEXT) | instid1(VALU_DEP_2)
	v_fmac_f32_e32 v179, v8, v3
	v_fma_f32 v180, v7, v3, -v1
	ds_load_b128 v[1:4], v25 offset:752
	ds_load_b128 v[5:8], v25 offset:768
	s_wait_loadcnt_dscnt 0x1
	v_mul_f32_e32 v181, v1, v10
	v_mul_f32_e32 v183, v3, v12
	s_delay_alu instid0(VALU_DEP_2) | instskip(NEXT) | instid1(VALU_DEP_2)
	v_fmac_f32_e32 v181, v2, v9
	v_dual_mul_f32 v2, v2, v10 :: v_dual_fmac_f32 v183, v4, v11
	s_delay_alu instid0(VALU_DEP_1) | instskip(SKIP_1) | instid1(VALU_DEP_1)
	v_fma_f32 v182, v1, v9, -v2
	v_mul_f32_e32 v1, v4, v12
	;; [unrolled: 25-line block ×6, first 2 shown]
	v_fma_f32 v216, v3, v11, -v1
	s_clause 0x1
	scratch_load_b128 v[1:4], off, off offset:400
	scratch_load_b128 v[9:12], off, off offset:416
	s_wait_loadcnt_dscnt 0x100
	v_mul_f32_e32 v217, v5, v2
	v_mul_f32_e32 v2, v6, v2
	s_delay_alu instid0(VALU_DEP_2) | instskip(NEXT) | instid1(VALU_DEP_2)
	v_fmac_f32_e32 v217, v6, v1
	v_fma_f32 v218, v5, v1, -v2
	v_add_f32_e32 v2, 0, v32
	s_delay_alu instid0(VALU_DEP_1) | instskip(NEXT) | instid1(VALU_DEP_1)
	v_dual_mul_f32 v1, v8, v4 :: v_dual_add_f32 v2, v2, v157
	v_fma_f32 v220, v7, v3, -v1
	s_delay_alu instid0(VALU_DEP_2) | instskip(NEXT) | instid1(VALU_DEP_1)
	v_dual_add_f32 v1, 0, v21 :: v_dual_add_f32 v2, v2, v23
	v_dual_add_f32 v1, v1, v22 :: v_dual_add_f32 v2, v2, v24
	s_delay_alu instid0(VALU_DEP_1) | instskip(NEXT) | instid1(VALU_DEP_1)
	v_add_f32_e32 v1, v1, v26
	v_dual_add_f32 v2, v2, v158 :: v_dual_add_f32 v1, v1, v27
	s_delay_alu instid0(VALU_DEP_1) | instskip(NEXT) | instid1(VALU_DEP_1)
	v_add_f32_e32 v2, v2, v164
	v_add_f32_e32 v2, v2, v160
	s_delay_alu instid0(VALU_DEP_1) | instskip(NEXT) | instid1(VALU_DEP_1)
	v_add_f32_e32 v2, v2, v161
	v_add_f32_e32 v2, v2, v15
	s_delay_alu instid0(VALU_DEP_1) | instskip(NEXT) | instid1(VALU_DEP_1)
	v_dual_add_f32 v2, v2, v18 :: v_dual_add_f32 v1, v1, v28
	v_dual_add_f32 v2, v2, v19 :: v_dual_add_f32 v1, v1, v29
	s_delay_alu instid0(VALU_DEP_1) | instskip(NEXT) | instid1(VALU_DEP_1)
	v_dual_add_f32 v2, v2, v20 :: v_dual_add_f32 v1, v1, v13
	v_dual_add_f32 v2, v2, v165 :: v_dual_add_f32 v1, v1, v14
	s_delay_alu instid0(VALU_DEP_1) | instskip(NEXT) | instid1(VALU_DEP_1)
	v_dual_add_f32 v2, v2, v166 :: v_dual_add_f32 v1, v1, v16
	v_add_f32_e32 v2, v2, v169
	s_delay_alu instid0(VALU_DEP_1) | instskip(NEXT) | instid1(VALU_DEP_1)
	v_dual_add_f32 v1, v1, v17 :: v_dual_add_f32 v2, v2, v171
	v_dual_add_f32 v1, v1, v162 :: v_dual_add_f32 v2, v2, v173
	s_delay_alu instid0(VALU_DEP_1) | instskip(NEXT) | instid1(VALU_DEP_2)
	v_add_f32_e32 v1, v1, v163
	v_add_f32_e32 v2, v2, v175
	s_delay_alu instid0(VALU_DEP_1) | instskip(NEXT) | instid1(VALU_DEP_1)
	v_dual_add_f32 v1, v1, v167 :: v_dual_add_f32 v2, v2, v177
	v_dual_add_f32 v1, v1, v168 :: v_dual_add_f32 v2, v2, v179
	s_delay_alu instid0(VALU_DEP_1) | instskip(NEXT) | instid1(VALU_DEP_1)
	v_dual_add_f32 v1, v1, v170 :: v_dual_add_f32 v2, v2, v181
	v_dual_add_f32 v1, v1, v172 :: v_dual_add_f32 v2, v2, v183
	s_delay_alu instid0(VALU_DEP_1) | instskip(NEXT) | instid1(VALU_DEP_1)
	v_add_f32_e32 v1, v1, v174
	v_add_f32_e32 v1, v1, v176
	s_delay_alu instid0(VALU_DEP_1) | instskip(NEXT) | instid1(VALU_DEP_1)
	v_add_f32_e32 v1, v1, v178
	v_add_f32_e32 v1, v1, v180
	;; [unrolled: 3-line block ×5, first 2 shown]
	s_delay_alu instid0(VALU_DEP_1) | instskip(SKIP_1) | instid1(VALU_DEP_2)
	v_add_f32_e32 v6, v1, v194
	v_add_f32_e32 v2, v2, v185
	;; [unrolled: 1-line block ×3, first 2 shown]
	s_delay_alu instid0(VALU_DEP_2) | instskip(NEXT) | instid1(VALU_DEP_2)
	v_dual_add_f32 v2, v2, v187 :: v_dual_mul_f32 v219, v7, v4
	v_add_f32_e32 v14, v14, v198
	s_delay_alu instid0(VALU_DEP_2) | instskip(NEXT) | instid1(VALU_DEP_2)
	v_dual_add_f32 v2, v2, v189 :: v_dual_fmac_f32 v219, v8, v3
	v_add_f32_e32 v17, v14, v200
	s_delay_alu instid0(VALU_DEP_2)
	v_add_f32_e32 v5, v2, v191
	ds_load_b128 v[1:4], v25 offset:912
	v_add_f32_e32 v17, v17, v202
	v_add_f32_e32 v13, v5, v193
	scratch_load_b128 v[5:8], off, off offset:432
	v_add_f32_e32 v17, v17, v204
	v_add_f32_e32 v13, v13, v195
	s_delay_alu instid0(VALU_DEP_2) | instskip(NEXT) | instid1(VALU_DEP_2)
	v_add_f32_e32 v17, v17, v206
	v_add_f32_e32 v13, v13, v197
	s_delay_alu instid0(VALU_DEP_2) | instskip(NEXT) | instid1(VALU_DEP_2)
	v_add_f32_e32 v22, v17, v208
	v_add_f32_e32 v18, v13, v199
	ds_load_b128 v[13:16], v25 offset:928
	s_wait_loadcnt_dscnt 0x101
	v_mul_f32_e32 v26, v1, v10
	v_dual_mul_f32 v10, v2, v10 :: v_dual_mul_f32 v27, v3, v12
	v_mul_f32_e32 v12, v4, v12
	v_add_f32_e32 v18, v18, v201
	s_delay_alu instid0(VALU_DEP_4) | instskip(NEXT) | instid1(VALU_DEP_4)
	v_fmac_f32_e32 v26, v2, v9
	v_fma_f32 v28, v1, v9, -v10
	v_fmac_f32_e32 v27, v4, v11
	v_fma_f32 v29, v3, v11, -v12
	s_clause 0x1
	scratch_load_b128 v[1:4], off, off offset:448
	scratch_load_b128 v[9:12], off, off offset:464
	v_add_f32_e32 v18, v18, v203
	v_add_f32_e32 v22, v22, v210
	s_delay_alu instid0(VALU_DEP_1) | instskip(SKIP_1) | instid1(VALU_DEP_3)
	v_add_f32_e32 v22, v22, v212
	s_wait_loadcnt_dscnt 0x200
	v_dual_mul_f32 v32, v13, v6 :: v_dual_add_f32 v21, v18, v205
	scratch_load_b128 v[17:20], off, off offset:480
	v_dual_mul_f32 v6, v14, v6 :: v_dual_mul_f32 v157, v15, v8
	v_dual_mul_f32 v8, v16, v8 :: v_dual_add_f32 v21, v21, v207
	v_fmac_f32_e32 v32, v14, v5
	s_delay_alu instid0(VALU_DEP_3) | instskip(NEXT) | instid1(VALU_DEP_4)
	v_fma_f32 v158, v13, v5, -v6
	v_fmac_f32_e32 v157, v16, v7
	s_delay_alu instid0(VALU_DEP_4) | instskip(SKIP_3) | instid1(VALU_DEP_1)
	v_fma_f32 v160, v15, v7, -v8
	v_add_f32_e32 v21, v21, v209
	ds_load_b128 v[5:8], v25 offset:944
	v_add_f32_e32 v13, v21, v211
	v_dual_add_f32 v21, v22, v214 :: v_dual_add_f32 v22, v13, v213
	s_delay_alu instid0(VALU_DEP_1)
	v_add_f32_e32 v161, v21, v216
	ds_load_b128 v[13:16], v25 offset:960
	v_add_f32_e32 v162, v22, v215
	ds_load_b128 v[21:24], v25 offset:976
	v_add_f32_e32 v25, v161, v218
	s_wait_loadcnt_dscnt 0x202
	v_dual_add_f32 v161, v162, v217 :: v_dual_mul_f32 v162, v5, v2
	s_delay_alu instid0(VALU_DEP_2) | instskip(NEXT) | instid1(VALU_DEP_2)
	v_dual_add_f32 v25, v25, v220 :: v_dual_mul_f32 v2, v6, v2
	v_dual_add_f32 v161, v161, v219 :: v_dual_fmac_f32 v162, v6, v1
	s_delay_alu instid0(VALU_DEP_2) | instskip(SKIP_2) | instid1(VALU_DEP_4)
	v_add_f32_e32 v25, v25, v28
	v_mul_f32_e32 v28, v7, v4
	v_mul_f32_e32 v4, v8, v4
	v_add_f32_e32 v26, v161, v26
	v_fma_f32 v2, v5, v1, -v2
	v_add_f32_e32 v25, v25, v29
	s_wait_loadcnt_dscnt 0x101
	v_mul_f32_e32 v161, v13, v10
	v_mul_f32_e32 v6, v14, v10
	v_add_f32_e32 v26, v26, v27
	v_dual_fmac_f32 v28, v8, v3 :: v_dual_add_f32 v25, v25, v158
	v_fma_f32 v3, v7, v3, -v4
	v_mul_f32_e32 v163, v15, v12
	s_delay_alu instid0(VALU_DEP_4)
	v_add_f32_e32 v26, v26, v32
	v_mul_f32_e32 v4, v16, v12
	v_add_f32_e32 v1, v25, v160
	v_fmac_f32_e32 v161, v14, v9
	v_fmac_f32_e32 v163, v16, v11
	v_add_f32_e32 v5, v26, v157
	v_fma_f32 v4, v15, v11, -v4
	v_add_f32_e32 v1, v1, v2
	s_delay_alu instid0(VALU_DEP_3) | instskip(SKIP_1) | instid1(VALU_DEP_2)
	v_add_f32_e32 v2, v5, v162
	v_fma_f32 v5, v13, v9, -v6
	v_dual_add_f32 v1, v1, v3 :: v_dual_add_f32 v2, v2, v28
	s_delay_alu instid0(VALU_DEP_1) | instskip(NEXT) | instid1(VALU_DEP_1)
	v_add_f32_e32 v1, v1, v5
	v_dual_add_f32 v2, v2, v161 :: v_dual_add_f32 v1, v1, v4
	s_wait_loadcnt_dscnt 0x0
	s_delay_alu instid0(VALU_DEP_1) | instskip(SKIP_3) | instid1(VALU_DEP_4)
	v_dual_add_f32 v2, v2, v163 :: v_dual_mul_f32 v27, v21, v18
	v_mul_f32_e32 v3, v22, v18
	v_mul_f32_e32 v29, v23, v20
	;; [unrolled: 1-line block ×3, first 2 shown]
	v_fmac_f32_e32 v27, v22, v17
	s_delay_alu instid0(VALU_DEP_4) | instskip(NEXT) | instid1(VALU_DEP_4)
	v_fma_f32 v3, v21, v17, -v3
	v_fmac_f32_e32 v29, v24, v19
	s_delay_alu instid0(VALU_DEP_4) | instskip(NEXT) | instid1(VALU_DEP_4)
	v_fma_f32 v4, v23, v19, -v5
	v_add_f32_e32 v2, v2, v27
	s_delay_alu instid0(VALU_DEP_1) | instskip(NEXT) | instid1(VALU_DEP_1)
	v_dual_add_f32 v1, v1, v3 :: v_dual_add_f32 v2, v2, v29
	v_dual_add_f32 v1, v1, v4 :: v_dual_sub_f32 v2, v31, v2
	s_delay_alu instid0(VALU_DEP_1)
	v_sub_f32_e32 v1, v30, v1
	scratch_store_b64 off, v[1:2], off offset:88
	v_cmpx_lt_u32_e32 10, v0
	s_cbranch_execz .LBB125_365
; %bb.364:
	scratch_load_b64 v[1:2], off, off offset:80
	v_mov_b32_e32 v3, 0
	s_delay_alu instid0(VALU_DEP_1)
	v_mov_b32_e32 v4, v3
	scratch_store_b64 off, v[3:4], off offset:80
	s_wait_loadcnt 0x0
	ds_store_b64 v159, v[1:2]
.LBB125_365:
	s_wait_alu 0xfffe
	s_or_b32 exec_lo, exec_lo, s0
	s_wait_storecnt_dscnt 0x0
	s_barrier_signal -1
	s_barrier_wait -1
	global_inv scope:SCOPE_SE
	s_clause 0x4
	scratch_load_b128 v[5:8], off, off offset:88
	scratch_load_b128 v[1:4], off, off offset:104
	;; [unrolled: 1-line block ×5, first 2 shown]
	v_mov_b32_e32 v25, 0
	ds_load_2addr_b64 v[21:24], v25 offset0:73 offset1:74
	ds_load_2addr_b64 v[26:29], v25 offset0:75 offset1:76
	;; [unrolled: 1-line block ×3, first 2 shown]
	scratch_load_b64 v[30:31], off, off offset:80
	s_mov_b32 s0, exec_lo
	s_wait_loadcnt_dscnt 0x502
	v_dual_mul_f32 v32, v21, v6 :: v_dual_mul_f32 v157, v23, v8
	v_mul_f32_e32 v6, v22, v6
	v_mul_f32_e32 v8, v24, v8
	s_wait_loadcnt_dscnt 0x300
	v_mul_f32_e32 v164, v162, v12
	v_dual_fmac_f32 v32, v22, v5 :: v_dual_fmac_f32 v157, v24, v7
	v_fma_f32 v21, v21, v5, -v6
	v_fma_f32 v22, v23, v7, -v8
	ds_load_2addr_b64 v[5:8], v25 offset0:79 offset1:80
	v_dual_mul_f32 v23, v26, v2 :: v_dual_mul_f32 v24, v28, v4
	v_mul_f32_e32 v4, v29, v4
	v_mul_f32_e32 v158, v160, v10
	;; [unrolled: 1-line block ×5, first 2 shown]
	v_dual_fmac_f32 v23, v27, v1 :: v_dual_fmac_f32 v24, v29, v3
	v_fma_f32 v27, v28, v3, -v4
	v_fmac_f32_e32 v158, v161, v9
	v_fma_f32 v28, v160, v9, -v10
	v_fmac_f32_e32 v164, v163, v11
	v_fma_f32 v29, v162, v11, -v12
	ds_load_2addr_b64 v[9:12], v25 offset0:81 offset1:82
	s_wait_loadcnt_dscnt 0x201
	v_dual_mul_f32 v161, v7, v16 :: v_dual_mul_f32 v160, v5, v14
	v_mul_f32_e32 v14, v6, v14
	v_mul_f32_e32 v16, v8, v16
	s_delay_alu instid0(VALU_DEP_3)
	v_fmac_f32_e32 v161, v8, v15
	v_fma_f32 v26, v26, v1, -v2
	scratch_load_b128 v[1:4], off, off offset:168
	v_fmac_f32_e32 v160, v6, v13
	v_fma_f32 v13, v5, v13, -v14
	v_fma_f32 v14, v7, v15, -v16
	ds_load_2addr_b64 v[5:8], v25 offset0:83 offset1:84
	s_wait_loadcnt_dscnt 0x201
	v_mul_f32_e32 v15, v9, v18
	v_mul_f32_e32 v16, v10, v18
	;; [unrolled: 1-line block ×3, first 2 shown]
	s_delay_alu instid0(VALU_DEP_3) | instskip(NEXT) | instid1(VALU_DEP_3)
	v_dual_mul_f32 v20, v12, v20 :: v_dual_fmac_f32 v15, v10, v17
	v_fma_f32 v16, v9, v17, -v16
	s_delay_alu instid0(VALU_DEP_3) | instskip(NEXT) | instid1(VALU_DEP_3)
	v_fmac_f32_e32 v18, v12, v19
	v_fma_f32 v17, v11, v19, -v20
	scratch_load_b128 v[9:12], off, off offset:184
	s_wait_loadcnt_dscnt 0x100
	v_mul_f32_e32 v19, v5, v2
	v_mul_f32_e32 v2, v6, v2
	;; [unrolled: 1-line block ×3, first 2 shown]
	s_delay_alu instid0(VALU_DEP_3) | instskip(NEXT) | instid1(VALU_DEP_3)
	v_dual_mul_f32 v4, v8, v4 :: v_dual_fmac_f32 v19, v6, v1
	v_fma_f32 v162, v5, v1, -v2
	s_delay_alu instid0(VALU_DEP_3) | instskip(NEXT) | instid1(VALU_DEP_3)
	v_fmac_f32_e32 v20, v8, v3
	v_fma_f32 v163, v7, v3, -v4
	ds_load_2addr_b64 v[1:4], v25 offset0:85 offset1:86
	ds_load_2addr_b64 v[5:8], v25 offset0:87 offset1:88
	s_wait_loadcnt_dscnt 0x1
	v_mul_f32_e32 v165, v1, v10
	v_mul_f32_e32 v10, v2, v10
	s_delay_alu instid0(VALU_DEP_2) | instskip(NEXT) | instid1(VALU_DEP_2)
	v_dual_mul_f32 v166, v3, v12 :: v_dual_fmac_f32 v165, v2, v9
	v_fma_f32 v167, v1, v9, -v10
	v_mul_f32_e32 v1, v4, v12
	s_delay_alu instid0(VALU_DEP_3) | instskip(NEXT) | instid1(VALU_DEP_2)
	v_fmac_f32_e32 v166, v4, v11
	v_fma_f32 v168, v3, v11, -v1
	s_clause 0x1
	scratch_load_b128 v[1:4], off, off offset:200
	scratch_load_b128 v[9:12], off, off offset:216
	s_wait_loadcnt_dscnt 0x100
	v_mul_f32_e32 v169, v5, v2
	v_dual_mul_f32 v2, v6, v2 :: v_dual_mul_f32 v171, v7, v4
	s_delay_alu instid0(VALU_DEP_2) | instskip(NEXT) | instid1(VALU_DEP_2)
	v_fmac_f32_e32 v169, v6, v1
	v_fma_f32 v170, v5, v1, -v2
	v_mul_f32_e32 v1, v8, v4
	s_delay_alu instid0(VALU_DEP_4) | instskip(NEXT) | instid1(VALU_DEP_2)
	v_fmac_f32_e32 v171, v8, v3
	v_fma_f32 v172, v7, v3, -v1
	ds_load_2addr_b64 v[1:4], v25 offset0:89 offset1:90
	ds_load_2addr_b64 v[5:8], v25 offset0:91 offset1:92
	s_wait_loadcnt_dscnt 0x1
	v_mul_f32_e32 v173, v1, v10
	v_mul_f32_e32 v175, v3, v12
	s_delay_alu instid0(VALU_DEP_2) | instskip(NEXT) | instid1(VALU_DEP_2)
	v_fmac_f32_e32 v173, v2, v9
	v_dual_mul_f32 v2, v2, v10 :: v_dual_fmac_f32 v175, v4, v11
	s_delay_alu instid0(VALU_DEP_1) | instskip(SKIP_1) | instid1(VALU_DEP_1)
	v_fma_f32 v174, v1, v9, -v2
	v_mul_f32_e32 v1, v4, v12
	v_fma_f32 v176, v3, v11, -v1
	s_clause 0x1
	scratch_load_b128 v[1:4], off, off offset:232
	scratch_load_b128 v[9:12], off, off offset:248
	s_wait_loadcnt_dscnt 0x100
	v_mul_f32_e32 v177, v5, v2
	v_dual_mul_f32 v2, v6, v2 :: v_dual_mul_f32 v179, v7, v4
	s_delay_alu instid0(VALU_DEP_2) | instskip(NEXT) | instid1(VALU_DEP_2)
	v_fmac_f32_e32 v177, v6, v1
	v_fma_f32 v178, v5, v1, -v2
	v_mul_f32_e32 v1, v8, v4
	s_delay_alu instid0(VALU_DEP_4) | instskip(NEXT) | instid1(VALU_DEP_2)
	v_fmac_f32_e32 v179, v8, v3
	v_fma_f32 v180, v7, v3, -v1
	ds_load_2addr_b64 v[1:4], v25 offset0:93 offset1:94
	ds_load_2addr_b64 v[5:8], v25 offset0:95 offset1:96
	s_wait_loadcnt_dscnt 0x1
	v_mul_f32_e32 v181, v1, v10
	v_mul_f32_e32 v183, v3, v12
	s_delay_alu instid0(VALU_DEP_2) | instskip(NEXT) | instid1(VALU_DEP_2)
	v_fmac_f32_e32 v181, v2, v9
	v_dual_mul_f32 v2, v2, v10 :: v_dual_fmac_f32 v183, v4, v11
	s_delay_alu instid0(VALU_DEP_1) | instskip(SKIP_1) | instid1(VALU_DEP_1)
	v_fma_f32 v182, v1, v9, -v2
	v_mul_f32_e32 v1, v4, v12
	;; [unrolled: 25-line block ×6, first 2 shown]
	v_fma_f32 v216, v3, v11, -v1
	s_clause 0x1
	scratch_load_b128 v[1:4], off, off offset:392
	scratch_load_b128 v[9:12], off, off offset:408
	s_wait_loadcnt_dscnt 0x100
	v_mul_f32_e32 v217, v5, v2
	v_dual_mul_f32 v2, v6, v2 :: v_dual_mul_f32 v219, v7, v4
	s_delay_alu instid0(VALU_DEP_1) | instskip(NEXT) | instid1(VALU_DEP_2)
	v_fma_f32 v218, v5, v1, -v2
	v_dual_add_f32 v2, 0, v32 :: v_dual_fmac_f32 v219, v8, v3
	s_delay_alu instid0(VALU_DEP_4) | instskip(NEXT) | instid1(VALU_DEP_2)
	v_fmac_f32_e32 v217, v6, v1
	v_dual_mul_f32 v1, v8, v4 :: v_dual_add_f32 v2, v2, v157
	s_delay_alu instid0(VALU_DEP_1) | instskip(NEXT) | instid1(VALU_DEP_2)
	v_fma_f32 v220, v7, v3, -v1
	v_add_f32_e32 v2, v2, v23
	s_delay_alu instid0(VALU_DEP_1) | instskip(NEXT) | instid1(VALU_DEP_1)
	v_add_f32_e32 v2, v2, v24
	v_add_f32_e32 v2, v2, v158
	s_delay_alu instid0(VALU_DEP_1) | instskip(NEXT) | instid1(VALU_DEP_1)
	v_add_f32_e32 v2, v2, v164
	;; [unrolled: 3-line block ×4, first 2 shown]
	v_add_f32_e32 v2, v2, v19
	s_delay_alu instid0(VALU_DEP_1) | instskip(NEXT) | instid1(VALU_DEP_1)
	v_dual_add_f32 v2, v2, v20 :: v_dual_add_f32 v1, 0, v21
	v_dual_add_f32 v2, v2, v165 :: v_dual_add_f32 v1, v1, v22
	s_delay_alu instid0(VALU_DEP_1) | instskip(NEXT) | instid1(VALU_DEP_1)
	v_add_f32_e32 v2, v2, v166
	v_dual_add_f32 v1, v1, v26 :: v_dual_add_f32 v2, v2, v169
	s_delay_alu instid0(VALU_DEP_1) | instskip(SKIP_2) | instid1(VALU_DEP_1)
	v_add_f32_e32 v1, v1, v27
	scratch_load_b64 v[26:27], off, off offset:488
	v_dual_add_f32 v2, v2, v171 :: v_dual_add_f32 v1, v1, v28
	v_add_f32_e32 v2, v2, v173
	s_delay_alu instid0(VALU_DEP_1) | instskip(NEXT) | instid1(VALU_DEP_1)
	v_dual_add_f32 v1, v1, v29 :: v_dual_add_f32 v2, v2, v175
	v_add_f32_e32 v1, v1, v13
	s_delay_alu instid0(VALU_DEP_1) | instskip(NEXT) | instid1(VALU_DEP_1)
	v_dual_add_f32 v2, v2, v177 :: v_dual_add_f32 v1, v1, v14
	v_dual_add_f32 v2, v2, v179 :: v_dual_add_f32 v1, v1, v16
	s_delay_alu instid0(VALU_DEP_1) | instskip(NEXT) | instid1(VALU_DEP_1)
	v_add_f32_e32 v2, v2, v181
	v_dual_add_f32 v1, v1, v17 :: v_dual_add_f32 v2, v2, v183
	s_delay_alu instid0(VALU_DEP_1) | instskip(NEXT) | instid1(VALU_DEP_1)
	v_add_f32_e32 v1, v1, v162
	v_add_f32_e32 v1, v1, v163
	s_delay_alu instid0(VALU_DEP_1) | instskip(NEXT) | instid1(VALU_DEP_1)
	v_add_f32_e32 v1, v1, v167
	v_add_f32_e32 v1, v1, v168
	;; [unrolled: 3-line block ×8, first 2 shown]
	s_delay_alu instid0(VALU_DEP_1) | instskip(SKIP_1) | instid1(VALU_DEP_2)
	v_add_f32_e32 v6, v1, v194
	v_add_f32_e32 v2, v2, v185
	;; [unrolled: 1-line block ×3, first 2 shown]
	s_delay_alu instid0(VALU_DEP_2) | instskip(NEXT) | instid1(VALU_DEP_2)
	v_add_f32_e32 v2, v2, v187
	v_add_f32_e32 v14, v14, v198
	s_delay_alu instid0(VALU_DEP_2) | instskip(NEXT) | instid1(VALU_DEP_2)
	v_add_f32_e32 v2, v2, v189
	v_add_f32_e32 v17, v14, v200
	s_delay_alu instid0(VALU_DEP_2)
	v_add_f32_e32 v5, v2, v191
	scratch_load_b128 v[1:4], off, off offset:424
	v_add_f32_e32 v17, v17, v202
	v_add_f32_e32 v13, v5, v193
	ds_load_2addr_b64 v[5:8], v25 offset0:113 offset1:114
	v_add_f32_e32 v17, v17, v204
	v_add_f32_e32 v13, v13, v195
	s_delay_alu instid0(VALU_DEP_2) | instskip(NEXT) | instid1(VALU_DEP_2)
	v_add_f32_e32 v17, v17, v206
	v_add_f32_e32 v13, v13, v197
	s_delay_alu instid0(VALU_DEP_2) | instskip(NEXT) | instid1(VALU_DEP_2)
	v_add_f32_e32 v22, v17, v208
	v_add_f32_e32 v18, v13, v199
	ds_load_2addr_b64 v[13:16], v25 offset0:115 offset1:116
	v_add_f32_e32 v22, v22, v210
	v_add_f32_e32 v18, v18, v201
	s_wait_loadcnt_dscnt 0x201
	v_mul_f32_e32 v32, v5, v10
	v_dual_mul_f32 v10, v6, v10 :: v_dual_mul_f32 v157, v7, v12
	v_mul_f32_e32 v12, v8, v12
	v_add_f32_e32 v18, v18, v203
	s_delay_alu instid0(VALU_DEP_4) | instskip(NEXT) | instid1(VALU_DEP_4)
	v_fmac_f32_e32 v32, v6, v9
	v_fma_f32 v158, v5, v9, -v10
	v_fmac_f32_e32 v157, v8, v11
	v_fma_f32 v160, v7, v11, -v12
	s_clause 0x1
	scratch_load_b128 v[5:8], off, off offset:440
	scratch_load_b128 v[9:12], off, off offset:456
	v_add_f32_e32 v22, v22, v212
	s_delay_alu instid0(VALU_DEP_1)
	v_add_f32_e32 v22, v22, v214
	s_wait_loadcnt_dscnt 0x200
	v_dual_mul_f32 v162, v15, v4 :: v_dual_add_f32 v21, v18, v205
	scratch_load_b128 v[17:20], off, off offset:472
	v_dual_mul_f32 v4, v16, v4 :: v_dual_mul_f32 v161, v13, v2
	v_dual_mul_f32 v2, v14, v2 :: v_dual_add_f32 v21, v21, v207
	v_fmac_f32_e32 v162, v16, v3
	s_delay_alu instid0(VALU_DEP_3) | instskip(NEXT) | instid1(VALU_DEP_4)
	v_fma_f32 v164, v15, v3, -v4
	v_fmac_f32_e32 v161, v14, v1
	s_delay_alu instid0(VALU_DEP_4) | instskip(SKIP_3) | instid1(VALU_DEP_1)
	v_fma_f32 v163, v13, v1, -v2
	v_dual_add_f32 v21, v21, v209 :: v_dual_add_f32 v14, v22, v216
	ds_load_2addr_b64 v[1:4], v25 offset0:117 offset1:118
	v_dual_add_f32 v21, v21, v211 :: v_dual_add_f32 v28, v14, v218
	v_add_f32_e32 v13, v21, v213
	s_delay_alu instid0(VALU_DEP_2) | instskip(NEXT) | instid1(VALU_DEP_2)
	v_add_f32_e32 v165, v28, v220
	v_add_f32_e32 v21, v13, v215
	ds_load_2addr_b64 v[13:16], v25 offset0:119 offset1:120
	v_add_f32_e32 v158, v165, v158
	v_add_f32_e32 v29, v21, v217
	ds_load_2addr_b64 v[21:24], v25 offset0:121 offset1:122
	s_wait_loadcnt_dscnt 0x202
	v_dual_add_f32 v158, v158, v160 :: v_dual_mul_f32 v165, v1, v6
	v_mul_f32_e32 v6, v2, v6
	v_add_f32_e32 v166, v29, v219
	ds_load_b64 v[28:29], v25 offset:984
	v_add_f32_e32 v158, v158, v163
	v_fmac_f32_e32 v165, v2, v5
	v_fma_f32 v1, v1, v5, -v6
	v_add_f32_e32 v32, v166, v32
	s_delay_alu instid0(VALU_DEP_4) | instskip(NEXT) | instid1(VALU_DEP_2)
	v_add_f32_e32 v158, v158, v164
	v_dual_add_f32 v32, v32, v157 :: v_dual_mul_f32 v157, v3, v8
	v_mul_f32_e32 v8, v4, v8
	s_wait_loadcnt_dscnt 0x102
	s_delay_alu instid0(VALU_DEP_3) | instskip(NEXT) | instid1(VALU_DEP_3)
	v_dual_mul_f32 v160, v13, v10 :: v_dual_add_f32 v1, v158, v1
	v_add_f32_e32 v32, v32, v161
	v_fmac_f32_e32 v157, v4, v7
	v_fma_f32 v2, v3, v7, -v8
	v_mul_f32_e32 v3, v14, v10
	s_delay_alu instid0(VALU_DEP_4) | instskip(SKIP_1) | instid1(VALU_DEP_3)
	v_dual_mul_f32 v161, v15, v12 :: v_dual_add_f32 v32, v32, v162
	v_dual_mul_f32 v5, v16, v12 :: v_dual_fmac_f32 v160, v14, v9
	v_fma_f32 v3, v13, v9, -v3
	s_delay_alu instid0(VALU_DEP_3) | instskip(NEXT) | instid1(VALU_DEP_4)
	v_dual_add_f32 v1, v1, v2 :: v_dual_add_f32 v4, v32, v165
	v_fmac_f32_e32 v161, v16, v11
	s_delay_alu instid0(VALU_DEP_4) | instskip(SKIP_3) | instid1(VALU_DEP_2)
	v_fma_f32 v5, v15, v11, -v5
	s_wait_dscnt 0x0
	v_mul_f32_e32 v162, v28, v27
	v_dual_add_f32 v1, v1, v3 :: v_dual_add_f32 v2, v4, v157
	v_fmac_f32_e32 v162, v29, v26
	s_delay_alu instid0(VALU_DEP_2) | instskip(NEXT) | instid1(VALU_DEP_1)
	v_dual_add_f32 v1, v1, v5 :: v_dual_add_f32 v2, v2, v160
	v_dual_mul_f32 v5, v29, v27 :: v_dual_add_f32 v2, v2, v161
	s_wait_loadcnt 0x0
	v_mul_f32_e32 v163, v21, v18
	v_mul_f32_e32 v4, v22, v18
	;; [unrolled: 1-line block ×4, first 2 shown]
	s_delay_alu instid0(VALU_DEP_4) | instskip(NEXT) | instid1(VALU_DEP_4)
	v_fmac_f32_e32 v163, v22, v17
	v_fma_f32 v4, v21, v17, -v4
	s_delay_alu instid0(VALU_DEP_4) | instskip(NEXT) | instid1(VALU_DEP_4)
	v_fmac_f32_e32 v164, v24, v19
	v_fma_f32 v3, v23, v19, -v3
	s_delay_alu instid0(VALU_DEP_3) | instskip(SKIP_1) | instid1(VALU_DEP_2)
	v_dual_add_f32 v2, v2, v163 :: v_dual_add_f32 v1, v1, v4
	v_fma_f32 v4, v28, v26, -v5
	v_dual_add_f32 v2, v2, v164 :: v_dual_add_f32 v1, v1, v3
	s_delay_alu instid0(VALU_DEP_1) | instskip(NEXT) | instid1(VALU_DEP_1)
	v_dual_add_f32 v2, v2, v162 :: v_dual_add_f32 v1, v1, v4
	v_dual_sub_f32 v2, v31, v2 :: v_dual_sub_f32 v1, v30, v1
	scratch_store_b64 off, v[1:2], off offset:80
	v_cmpx_lt_u32_e32 9, v0
	s_cbranch_execz .LBB125_367
; %bb.366:
	scratch_load_b64 v[1:2], off, off offset:72
	v_mov_b32_e32 v26, v25
	scratch_store_b64 off, v[25:26], off offset:72
	s_wait_loadcnt 0x0
	ds_store_b64 v159, v[1:2]
.LBB125_367:
	s_wait_alu 0xfffe
	s_or_b32 exec_lo, exec_lo, s0
	s_wait_storecnt_dscnt 0x0
	s_barrier_signal -1
	s_barrier_wait -1
	global_inv scope:SCOPE_SE
	s_clause 0x4
	scratch_load_b128 v[5:8], off, off offset:80
	scratch_load_b128 v[1:4], off, off offset:96
	;; [unrolled: 1-line block ×5, first 2 shown]
	ds_load_b128 v[21:24], v25 offset:576
	ds_load_b128 v[26:29], v25 offset:592
	;; [unrolled: 1-line block ×3, first 2 shown]
	scratch_load_b64 v[30:31], off, off offset:72
	s_mov_b32 s0, exec_lo
	s_wait_loadcnt_dscnt 0x502
	v_dual_mul_f32 v32, v21, v6 :: v_dual_mul_f32 v157, v23, v8
	v_mul_f32_e32 v6, v22, v6
	v_mul_f32_e32 v8, v24, v8
	s_wait_loadcnt_dscnt 0x300
	v_mul_f32_e32 v158, v160, v10
	v_dual_fmac_f32 v32, v22, v5 :: v_dual_fmac_f32 v157, v24, v7
	v_fma_f32 v21, v21, v5, -v6
	v_fma_f32 v22, v23, v7, -v8
	ds_load_b128 v[5:8], v25 offset:624
	v_dual_mul_f32 v23, v26, v2 :: v_dual_mul_f32 v24, v28, v4
	v_mul_f32_e32 v4, v29, v4
	v_mul_f32_e32 v10, v161, v10
	;; [unrolled: 1-line block ×5, first 2 shown]
	v_dual_fmac_f32 v23, v27, v1 :: v_dual_fmac_f32 v24, v29, v3
	v_fma_f32 v27, v28, v3, -v4
	v_fmac_f32_e32 v158, v161, v9
	v_fma_f32 v28, v160, v9, -v10
	v_fmac_f32_e32 v164, v163, v11
	v_fma_f32 v29, v162, v11, -v12
	ds_load_b128 v[9:12], v25 offset:640
	s_wait_loadcnt_dscnt 0x201
	v_dual_mul_f32 v161, v7, v16 :: v_dual_mul_f32 v160, v5, v14
	v_mul_f32_e32 v14, v6, v14
	v_mul_f32_e32 v16, v8, v16
	s_delay_alu instid0(VALU_DEP_3)
	v_fmac_f32_e32 v161, v8, v15
	v_fma_f32 v26, v26, v1, -v2
	scratch_load_b128 v[1:4], off, off offset:160
	v_fmac_f32_e32 v160, v6, v13
	v_fma_f32 v13, v5, v13, -v14
	v_fma_f32 v14, v7, v15, -v16
	ds_load_b128 v[5:8], v25 offset:656
	s_wait_loadcnt_dscnt 0x201
	v_mul_f32_e32 v15, v9, v18
	v_mul_f32_e32 v16, v10, v18
	;; [unrolled: 1-line block ×3, first 2 shown]
	s_delay_alu instid0(VALU_DEP_3) | instskip(NEXT) | instid1(VALU_DEP_3)
	v_dual_mul_f32 v20, v12, v20 :: v_dual_fmac_f32 v15, v10, v17
	v_fma_f32 v16, v9, v17, -v16
	s_delay_alu instid0(VALU_DEP_3) | instskip(NEXT) | instid1(VALU_DEP_3)
	v_fmac_f32_e32 v18, v12, v19
	v_fma_f32 v17, v11, v19, -v20
	scratch_load_b128 v[9:12], off, off offset:176
	s_wait_loadcnt_dscnt 0x100
	v_mul_f32_e32 v19, v5, v2
	v_mul_f32_e32 v2, v6, v2
	;; [unrolled: 1-line block ×3, first 2 shown]
	s_delay_alu instid0(VALU_DEP_3) | instskip(NEXT) | instid1(VALU_DEP_3)
	v_dual_mul_f32 v4, v8, v4 :: v_dual_fmac_f32 v19, v6, v1
	v_fma_f32 v162, v5, v1, -v2
	s_delay_alu instid0(VALU_DEP_3) | instskip(NEXT) | instid1(VALU_DEP_3)
	v_fmac_f32_e32 v20, v8, v3
	v_fma_f32 v163, v7, v3, -v4
	ds_load_b128 v[1:4], v25 offset:672
	ds_load_b128 v[5:8], v25 offset:688
	s_wait_loadcnt_dscnt 0x1
	v_mul_f32_e32 v165, v1, v10
	v_mul_f32_e32 v10, v2, v10
	s_delay_alu instid0(VALU_DEP_2) | instskip(NEXT) | instid1(VALU_DEP_2)
	v_dual_mul_f32 v166, v3, v12 :: v_dual_fmac_f32 v165, v2, v9
	v_fma_f32 v167, v1, v9, -v10
	v_mul_f32_e32 v1, v4, v12
	s_delay_alu instid0(VALU_DEP_3) | instskip(NEXT) | instid1(VALU_DEP_2)
	v_fmac_f32_e32 v166, v4, v11
	v_fma_f32 v168, v3, v11, -v1
	s_clause 0x1
	scratch_load_b128 v[1:4], off, off offset:192
	scratch_load_b128 v[9:12], off, off offset:208
	s_wait_loadcnt_dscnt 0x100
	v_mul_f32_e32 v169, v5, v2
	v_dual_mul_f32 v2, v6, v2 :: v_dual_mul_f32 v171, v7, v4
	s_delay_alu instid0(VALU_DEP_2) | instskip(NEXT) | instid1(VALU_DEP_2)
	v_fmac_f32_e32 v169, v6, v1
	v_fma_f32 v170, v5, v1, -v2
	v_mul_f32_e32 v1, v8, v4
	s_delay_alu instid0(VALU_DEP_4) | instskip(NEXT) | instid1(VALU_DEP_2)
	v_fmac_f32_e32 v171, v8, v3
	v_fma_f32 v172, v7, v3, -v1
	ds_load_b128 v[1:4], v25 offset:704
	ds_load_b128 v[5:8], v25 offset:720
	s_wait_loadcnt_dscnt 0x1
	v_mul_f32_e32 v173, v1, v10
	v_mul_f32_e32 v175, v3, v12
	s_delay_alu instid0(VALU_DEP_2) | instskip(NEXT) | instid1(VALU_DEP_2)
	v_fmac_f32_e32 v173, v2, v9
	v_dual_mul_f32 v2, v2, v10 :: v_dual_fmac_f32 v175, v4, v11
	s_delay_alu instid0(VALU_DEP_1) | instskip(SKIP_1) | instid1(VALU_DEP_1)
	v_fma_f32 v174, v1, v9, -v2
	v_mul_f32_e32 v1, v4, v12
	v_fma_f32 v176, v3, v11, -v1
	s_clause 0x1
	scratch_load_b128 v[1:4], off, off offset:224
	scratch_load_b128 v[9:12], off, off offset:240
	s_wait_loadcnt_dscnt 0x100
	v_mul_f32_e32 v177, v5, v2
	v_dual_mul_f32 v2, v6, v2 :: v_dual_mul_f32 v179, v7, v4
	s_delay_alu instid0(VALU_DEP_2) | instskip(NEXT) | instid1(VALU_DEP_2)
	v_fmac_f32_e32 v177, v6, v1
	v_fma_f32 v178, v5, v1, -v2
	v_mul_f32_e32 v1, v8, v4
	s_delay_alu instid0(VALU_DEP_4) | instskip(NEXT) | instid1(VALU_DEP_2)
	v_fmac_f32_e32 v179, v8, v3
	v_fma_f32 v180, v7, v3, -v1
	ds_load_b128 v[1:4], v25 offset:736
	ds_load_b128 v[5:8], v25 offset:752
	s_wait_loadcnt_dscnt 0x1
	v_mul_f32_e32 v181, v1, v10
	v_mul_f32_e32 v183, v3, v12
	s_delay_alu instid0(VALU_DEP_2) | instskip(NEXT) | instid1(VALU_DEP_2)
	v_fmac_f32_e32 v181, v2, v9
	v_dual_mul_f32 v2, v2, v10 :: v_dual_fmac_f32 v183, v4, v11
	s_delay_alu instid0(VALU_DEP_1) | instskip(SKIP_1) | instid1(VALU_DEP_1)
	v_fma_f32 v182, v1, v9, -v2
	v_mul_f32_e32 v1, v4, v12
	;; [unrolled: 25-line block ×7, first 2 shown]
	v_fma_f32 v224, v3, v11, -v1
	s_clause 0x1
	scratch_load_b128 v[1:4], off, off offset:416
	scratch_load_b128 v[9:12], off, off offset:432
	s_wait_loadcnt_dscnt 0x100
	v_mul_f32_e32 v225, v5, v2
	v_dual_mul_f32 v2, v6, v2 :: v_dual_mul_f32 v227, v7, v4
	s_delay_alu instid0(VALU_DEP_2) | instskip(NEXT) | instid1(VALU_DEP_2)
	v_fmac_f32_e32 v225, v6, v1
	v_fma_f32 v226, v5, v1, -v2
	s_delay_alu instid0(VALU_DEP_3) | instskip(NEXT) | instid1(VALU_DEP_1)
	v_dual_add_f32 v2, 0, v32 :: v_dual_fmac_f32 v227, v8, v3
	v_add_f32_e32 v2, v2, v157
	s_delay_alu instid0(VALU_DEP_1) | instskip(NEXT) | instid1(VALU_DEP_1)
	v_add_f32_e32 v2, v2, v23
	v_add_f32_e32 v2, v2, v24
	s_delay_alu instid0(VALU_DEP_1) | instskip(NEXT) | instid1(VALU_DEP_1)
	v_add_f32_e32 v2, v2, v158
	;; [unrolled: 3-line block ×5, first 2 shown]
	v_add_f32_e32 v2, v2, v20
	s_delay_alu instid0(VALU_DEP_1) | instskip(NEXT) | instid1(VALU_DEP_1)
	v_dual_mul_f32 v1, v8, v4 :: v_dual_add_f32 v2, v2, v165
	v_fma_f32 v228, v7, v3, -v1
	s_delay_alu instid0(VALU_DEP_2) | instskip(NEXT) | instid1(VALU_DEP_1)
	v_dual_add_f32 v1, 0, v21 :: v_dual_add_f32 v2, v2, v166
	v_dual_add_f32 v1, v1, v22 :: v_dual_add_f32 v2, v2, v169
	s_delay_alu instid0(VALU_DEP_1) | instskip(NEXT) | instid1(VALU_DEP_1)
	v_dual_add_f32 v1, v1, v26 :: v_dual_add_f32 v2, v2, v171
	v_dual_add_f32 v1, v1, v27 :: v_dual_add_f32 v2, v2, v173
	s_delay_alu instid0(VALU_DEP_1) | instskip(NEXT) | instid1(VALU_DEP_1)
	v_dual_add_f32 v1, v1, v28 :: v_dual_add_f32 v2, v2, v175
	v_add_f32_e32 v1, v1, v29
	s_delay_alu instid0(VALU_DEP_2) | instskip(NEXT) | instid1(VALU_DEP_1)
	v_add_f32_e32 v2, v2, v177
	v_dual_add_f32 v1, v1, v13 :: v_dual_add_f32 v2, v2, v179
	s_delay_alu instid0(VALU_DEP_1) | instskip(NEXT) | instid1(VALU_DEP_1)
	v_dual_add_f32 v1, v1, v14 :: v_dual_add_f32 v2, v2, v181
	v_dual_add_f32 v1, v1, v16 :: v_dual_add_f32 v2, v2, v183
	s_delay_alu instid0(VALU_DEP_1) | instskip(NEXT) | instid1(VALU_DEP_1)
	v_add_f32_e32 v1, v1, v17
	v_add_f32_e32 v1, v1, v162
	s_delay_alu instid0(VALU_DEP_1) | instskip(NEXT) | instid1(VALU_DEP_1)
	v_add_f32_e32 v1, v1, v163
	v_add_f32_e32 v1, v1, v167
	;; [unrolled: 3-line block ×10, first 2 shown]
	s_delay_alu instid0(VALU_DEP_1) | instskip(SKIP_1) | instid1(VALU_DEP_2)
	v_add_f32_e32 v6, v1, v200
	v_add_f32_e32 v2, v2, v185
	;; [unrolled: 1-line block ×3, first 2 shown]
	s_delay_alu instid0(VALU_DEP_2) | instskip(NEXT) | instid1(VALU_DEP_2)
	v_add_f32_e32 v2, v2, v187
	v_add_f32_e32 v13, v6, v204
	s_delay_alu instid0(VALU_DEP_1) | instskip(NEXT) | instid1(VALU_DEP_1)
	v_dual_add_f32 v2, v2, v189 :: v_dual_add_f32 v13, v13, v206
	v_dual_add_f32 v2, v2, v191 :: v_dual_add_f32 v13, v13, v208
	s_delay_alu instid0(VALU_DEP_1) | instskip(NEXT) | instid1(VALU_DEP_1)
	v_dual_add_f32 v2, v2, v193 :: v_dual_add_f32 v13, v13, v210
	v_add_f32_e32 v2, v2, v195
	s_delay_alu instid0(VALU_DEP_1) | instskip(SKIP_2) | instid1(VALU_DEP_1)
	v_dual_add_f32 v18, v13, v212 :: v_dual_add_f32 v5, v2, v197
	ds_load_b128 v[1:4], v25 offset:928
	v_dual_add_f32 v18, v18, v214 :: v_dual_add_f32 v5, v5, v199
	v_dual_add_f32 v18, v18, v216 :: v_dual_add_f32 v5, v5, v201
	s_delay_alu instid0(VALU_DEP_1)
	v_dual_add_f32 v21, v18, v218 :: v_dual_add_f32 v14, v5, v203
	ds_load_b128 v[5:8], v25 offset:944
	v_add_f32_e32 v32, v21, v220
	v_add_f32_e32 v14, v14, v205
	s_wait_loadcnt_dscnt 0x1
	v_dual_mul_f32 v26, v1, v10 :: v_dual_mul_f32 v27, v3, v12
	v_mul_f32_e32 v10, v2, v10
	v_mul_f32_e32 v12, v4, v12
	v_add_f32_e32 v14, v14, v207
	s_delay_alu instid0(VALU_DEP_4) | instskip(NEXT) | instid1(VALU_DEP_4)
	v_dual_fmac_f32 v26, v2, v9 :: v_dual_fmac_f32 v27, v4, v11
	v_fma_f32 v28, v1, v9, -v10
	s_delay_alu instid0(VALU_DEP_4)
	v_fma_f32 v29, v3, v11, -v12
	s_clause 0x1
	scratch_load_b128 v[1:4], off, off offset:448
	scratch_load_b128 v[9:12], off, off offset:464
	v_add_f32_e32 v17, v14, v209
	scratch_load_b128 v[13:16], off, off offset:480
	s_wait_loadcnt_dscnt 0x200
	v_dual_add_f32 v17, v17, v211 :: v_dual_mul_f32 v158, v7, v4
	s_delay_alu instid0(VALU_DEP_1) | instskip(NEXT) | instid1(VALU_DEP_2)
	v_dual_add_f32 v17, v17, v213 :: v_dual_mul_f32 v4, v8, v4
	v_fmac_f32_e32 v158, v8, v3
	s_delay_alu instid0(VALU_DEP_2) | instskip(NEXT) | instid1(VALU_DEP_3)
	v_add_f32_e32 v17, v17, v215
	v_fma_f32 v3, v7, v3, -v4
	s_delay_alu instid0(VALU_DEP_2)
	v_add_f32_e32 v22, v17, v217
	ds_load_b128 v[17:20], v25 offset:960
	v_add_f32_e32 v157, v22, v219
	ds_load_b128 v[21:24], v25 offset:976
	v_dual_add_f32 v25, v32, v222 :: v_dual_add_f32 v32, v157, v221
	v_mul_f32_e32 v157, v5, v2
	s_delay_alu instid0(VALU_DEP_2) | instskip(NEXT) | instid1(VALU_DEP_2)
	v_dual_add_f32 v25, v25, v224 :: v_dual_mul_f32 v2, v6, v2
	v_dual_add_f32 v32, v32, v223 :: v_dual_fmac_f32 v157, v6, v1
	s_delay_alu instid0(VALU_DEP_2) | instskip(NEXT) | instid1(VALU_DEP_3)
	v_add_f32_e32 v25, v25, v226
	v_fma_f32 v2, v5, v1, -v2
	s_wait_loadcnt_dscnt 0x101
	v_mul_f32_e32 v160, v17, v10
	s_delay_alu instid0(VALU_DEP_3)
	v_dual_add_f32 v25, v25, v228 :: v_dual_mul_f32 v6, v18, v10
	v_mul_f32_e32 v161, v19, v12
	v_mul_f32_e32 v4, v20, v12
	s_wait_loadcnt_dscnt 0x0
	v_mul_f32_e32 v162, v21, v14
	v_dual_add_f32 v32, v32, v225 :: v_dual_add_f32 v25, v25, v28
	v_dual_fmac_f32 v160, v18, v9 :: v_dual_fmac_f32 v161, v20, v11
	v_fma_f32 v4, v19, v11, -v4
	s_delay_alu instid0(VALU_DEP_3) | instskip(SKIP_2) | instid1(VALU_DEP_3)
	v_dual_add_f32 v32, v32, v227 :: v_dual_add_f32 v1, v25, v29
	v_mul_f32_e32 v28, v23, v16
	v_fmac_f32_e32 v162, v22, v13
	v_add_f32_e32 v26, v32, v26
	s_delay_alu instid0(VALU_DEP_3) | instskip(NEXT) | instid1(VALU_DEP_2)
	v_dual_add_f32 v1, v1, v2 :: v_dual_fmac_f32 v28, v24, v15
	v_add_f32_e32 v5, v26, v27
	s_delay_alu instid0(VALU_DEP_2) | instskip(NEXT) | instid1(VALU_DEP_2)
	v_add_f32_e32 v1, v1, v3
	v_dual_mul_f32 v3, v22, v14 :: v_dual_add_f32 v2, v5, v157
	v_fma_f32 v5, v17, v9, -v6
	s_delay_alu instid0(VALU_DEP_2) | instskip(NEXT) | instid1(VALU_DEP_2)
	v_fma_f32 v3, v21, v13, -v3
	v_dual_add_f32 v2, v2, v158 :: v_dual_add_f32 v1, v1, v5
	v_mul_f32_e32 v5, v24, v16
	s_delay_alu instid0(VALU_DEP_2) | instskip(NEXT) | instid1(VALU_DEP_3)
	v_add_f32_e32 v2, v2, v160
	v_add_f32_e32 v1, v1, v4
	s_delay_alu instid0(VALU_DEP_3) | instskip(NEXT) | instid1(VALU_DEP_2)
	v_fma_f32 v4, v23, v15, -v5
	v_dual_add_f32 v2, v2, v161 :: v_dual_add_f32 v1, v1, v3
	s_delay_alu instid0(VALU_DEP_1) | instskip(NEXT) | instid1(VALU_DEP_1)
	v_dual_add_f32 v2, v2, v162 :: v_dual_add_f32 v1, v1, v4
	v_add_f32_e32 v2, v2, v28
	s_delay_alu instid0(VALU_DEP_1)
	v_dual_sub_f32 v1, v30, v1 :: v_dual_sub_f32 v2, v31, v2
	scratch_store_b64 off, v[1:2], off offset:72
	v_cmpx_lt_u32_e32 8, v0
	s_cbranch_execz .LBB125_369
; %bb.368:
	scratch_load_b64 v[1:2], off, off offset:64
	v_mov_b32_e32 v3, 0
	s_delay_alu instid0(VALU_DEP_1)
	v_mov_b32_e32 v4, v3
	scratch_store_b64 off, v[3:4], off offset:64
	s_wait_loadcnt 0x0
	ds_store_b64 v159, v[1:2]
.LBB125_369:
	s_wait_alu 0xfffe
	s_or_b32 exec_lo, exec_lo, s0
	s_wait_storecnt_dscnt 0x0
	s_barrier_signal -1
	s_barrier_wait -1
	global_inv scope:SCOPE_SE
	s_clause 0x4
	scratch_load_b128 v[5:8], off, off offset:72
	scratch_load_b128 v[1:4], off, off offset:88
	;; [unrolled: 1-line block ×5, first 2 shown]
	v_mov_b32_e32 v25, 0
	ds_load_2addr_b64 v[21:24], v25 offset0:71 offset1:72
	ds_load_2addr_b64 v[26:29], v25 offset0:73 offset1:74
	;; [unrolled: 1-line block ×3, first 2 shown]
	scratch_load_b64 v[30:31], off, off offset:64
	s_mov_b32 s0, exec_lo
	s_wait_loadcnt_dscnt 0x502
	v_dual_mul_f32 v32, v21, v6 :: v_dual_mul_f32 v157, v23, v8
	v_mul_f32_e32 v6, v22, v6
	v_mul_f32_e32 v8, v24, v8
	s_wait_loadcnt_dscnt 0x300
	v_mul_f32_e32 v164, v162, v12
	v_dual_fmac_f32 v32, v22, v5 :: v_dual_fmac_f32 v157, v24, v7
	v_fma_f32 v21, v21, v5, -v6
	v_fma_f32 v22, v23, v7, -v8
	ds_load_2addr_b64 v[5:8], v25 offset0:77 offset1:78
	v_dual_mul_f32 v23, v26, v2 :: v_dual_mul_f32 v24, v28, v4
	v_mul_f32_e32 v4, v29, v4
	v_mul_f32_e32 v158, v160, v10
	;; [unrolled: 1-line block ×5, first 2 shown]
	v_dual_fmac_f32 v23, v27, v1 :: v_dual_fmac_f32 v24, v29, v3
	v_fma_f32 v27, v28, v3, -v4
	v_fmac_f32_e32 v158, v161, v9
	v_fmac_f32_e32 v164, v163, v11
	v_fma_f32 v28, v160, v9, -v10
	v_fma_f32 v29, v162, v11, -v12
	ds_load_2addr_b64 v[9:12], v25 offset0:79 offset1:80
	s_wait_loadcnt_dscnt 0x201
	v_dual_mul_f32 v161, v7, v16 :: v_dual_mul_f32 v160, v5, v14
	v_mul_f32_e32 v14, v6, v14
	v_mul_f32_e32 v16, v8, v16
	s_delay_alu instid0(VALU_DEP_3)
	v_fmac_f32_e32 v161, v8, v15
	v_fma_f32 v26, v26, v1, -v2
	scratch_load_b128 v[1:4], off, off offset:152
	v_fmac_f32_e32 v160, v6, v13
	v_fma_f32 v13, v5, v13, -v14
	v_fma_f32 v14, v7, v15, -v16
	ds_load_2addr_b64 v[5:8], v25 offset0:81 offset1:82
	s_wait_loadcnt_dscnt 0x201
	v_mul_f32_e32 v15, v9, v18
	v_mul_f32_e32 v16, v10, v18
	;; [unrolled: 1-line block ×3, first 2 shown]
	s_delay_alu instid0(VALU_DEP_3) | instskip(NEXT) | instid1(VALU_DEP_3)
	v_dual_mul_f32 v20, v12, v20 :: v_dual_fmac_f32 v15, v10, v17
	v_fma_f32 v16, v9, v17, -v16
	s_delay_alu instid0(VALU_DEP_3) | instskip(NEXT) | instid1(VALU_DEP_3)
	v_fmac_f32_e32 v18, v12, v19
	v_fma_f32 v17, v11, v19, -v20
	scratch_load_b128 v[9:12], off, off offset:168
	s_wait_loadcnt_dscnt 0x100
	v_mul_f32_e32 v19, v5, v2
	v_mul_f32_e32 v2, v6, v2
	;; [unrolled: 1-line block ×3, first 2 shown]
	s_delay_alu instid0(VALU_DEP_3) | instskip(NEXT) | instid1(VALU_DEP_3)
	v_dual_mul_f32 v4, v8, v4 :: v_dual_fmac_f32 v19, v6, v1
	v_fma_f32 v162, v5, v1, -v2
	s_delay_alu instid0(VALU_DEP_3) | instskip(NEXT) | instid1(VALU_DEP_3)
	v_fmac_f32_e32 v20, v8, v3
	v_fma_f32 v163, v7, v3, -v4
	ds_load_2addr_b64 v[1:4], v25 offset0:83 offset1:84
	ds_load_2addr_b64 v[5:8], v25 offset0:85 offset1:86
	s_wait_loadcnt_dscnt 0x1
	v_mul_f32_e32 v165, v1, v10
	v_mul_f32_e32 v10, v2, v10
	s_delay_alu instid0(VALU_DEP_2) | instskip(NEXT) | instid1(VALU_DEP_2)
	v_dual_mul_f32 v166, v3, v12 :: v_dual_fmac_f32 v165, v2, v9
	v_fma_f32 v167, v1, v9, -v10
	v_mul_f32_e32 v1, v4, v12
	s_delay_alu instid0(VALU_DEP_3) | instskip(NEXT) | instid1(VALU_DEP_2)
	v_fmac_f32_e32 v166, v4, v11
	v_fma_f32 v168, v3, v11, -v1
	s_clause 0x1
	scratch_load_b128 v[1:4], off, off offset:184
	scratch_load_b128 v[9:12], off, off offset:200
	s_wait_loadcnt_dscnt 0x100
	v_mul_f32_e32 v169, v5, v2
	v_dual_mul_f32 v2, v6, v2 :: v_dual_mul_f32 v171, v7, v4
	s_delay_alu instid0(VALU_DEP_2) | instskip(NEXT) | instid1(VALU_DEP_2)
	v_fmac_f32_e32 v169, v6, v1
	v_fma_f32 v170, v5, v1, -v2
	v_mul_f32_e32 v1, v8, v4
	s_delay_alu instid0(VALU_DEP_4) | instskip(NEXT) | instid1(VALU_DEP_2)
	v_fmac_f32_e32 v171, v8, v3
	v_fma_f32 v172, v7, v3, -v1
	ds_load_2addr_b64 v[1:4], v25 offset0:87 offset1:88
	ds_load_2addr_b64 v[5:8], v25 offset0:89 offset1:90
	s_wait_loadcnt_dscnt 0x1
	v_mul_f32_e32 v173, v1, v10
	v_mul_f32_e32 v175, v3, v12
	s_delay_alu instid0(VALU_DEP_2) | instskip(NEXT) | instid1(VALU_DEP_2)
	v_fmac_f32_e32 v173, v2, v9
	v_dual_mul_f32 v2, v2, v10 :: v_dual_fmac_f32 v175, v4, v11
	s_delay_alu instid0(VALU_DEP_1) | instskip(SKIP_1) | instid1(VALU_DEP_1)
	v_fma_f32 v174, v1, v9, -v2
	v_mul_f32_e32 v1, v4, v12
	v_fma_f32 v176, v3, v11, -v1
	s_clause 0x1
	scratch_load_b128 v[1:4], off, off offset:216
	scratch_load_b128 v[9:12], off, off offset:232
	s_wait_loadcnt_dscnt 0x100
	v_mul_f32_e32 v177, v5, v2
	v_dual_mul_f32 v2, v6, v2 :: v_dual_mul_f32 v179, v7, v4
	s_delay_alu instid0(VALU_DEP_2) | instskip(NEXT) | instid1(VALU_DEP_2)
	v_fmac_f32_e32 v177, v6, v1
	v_fma_f32 v178, v5, v1, -v2
	v_mul_f32_e32 v1, v8, v4
	s_delay_alu instid0(VALU_DEP_4) | instskip(NEXT) | instid1(VALU_DEP_2)
	v_fmac_f32_e32 v179, v8, v3
	v_fma_f32 v180, v7, v3, -v1
	ds_load_2addr_b64 v[1:4], v25 offset0:91 offset1:92
	ds_load_2addr_b64 v[5:8], v25 offset0:93 offset1:94
	s_wait_loadcnt_dscnt 0x1
	v_mul_f32_e32 v181, v1, v10
	v_mul_f32_e32 v183, v3, v12
	s_delay_alu instid0(VALU_DEP_2) | instskip(NEXT) | instid1(VALU_DEP_2)
	v_fmac_f32_e32 v181, v2, v9
	v_dual_mul_f32 v2, v2, v10 :: v_dual_fmac_f32 v183, v4, v11
	s_delay_alu instid0(VALU_DEP_1) | instskip(SKIP_1) | instid1(VALU_DEP_1)
	v_fma_f32 v182, v1, v9, -v2
	v_mul_f32_e32 v1, v4, v12
	;; [unrolled: 25-line block ×7, first 2 shown]
	v_fma_f32 v224, v3, v11, -v1
	s_clause 0x1
	scratch_load_b128 v[1:4], off, off offset:408
	scratch_load_b128 v[9:12], off, off offset:424
	s_wait_loadcnt_dscnt 0x100
	v_mul_f32_e32 v225, v5, v2
	v_dual_mul_f32 v2, v6, v2 :: v_dual_mul_f32 v227, v7, v4
	s_delay_alu instid0(VALU_DEP_2) | instskip(NEXT) | instid1(VALU_DEP_2)
	v_fmac_f32_e32 v225, v6, v1
	v_fma_f32 v226, v5, v1, -v2
	v_add_f32_e32 v2, 0, v32
	s_delay_alu instid0(VALU_DEP_1) | instskip(NEXT) | instid1(VALU_DEP_1)
	v_add_f32_e32 v2, v2, v157
	v_add_f32_e32 v2, v2, v23
	s_delay_alu instid0(VALU_DEP_1) | instskip(NEXT) | instid1(VALU_DEP_1)
	v_add_f32_e32 v2, v2, v24
	v_add_f32_e32 v2, v2, v158
	s_delay_alu instid0(VALU_DEP_1) | instskip(NEXT) | instid1(VALU_DEP_1)
	v_add_f32_e32 v2, v2, v164
	v_add_f32_e32 v2, v2, v160
	s_delay_alu instid0(VALU_DEP_1) | instskip(NEXT) | instid1(VALU_DEP_1)
	v_add_f32_e32 v2, v2, v161
	v_add_f32_e32 v2, v2, v15
	s_delay_alu instid0(VALU_DEP_1) | instskip(NEXT) | instid1(VALU_DEP_1)
	v_add_f32_e32 v2, v2, v18
	v_add_f32_e32 v2, v2, v19
	s_delay_alu instid0(VALU_DEP_1) | instskip(NEXT) | instid1(VALU_DEP_1)
	v_add_f32_e32 v2, v2, v20
	v_dual_mul_f32 v1, v8, v4 :: v_dual_add_f32 v2, v2, v165
	s_delay_alu instid0(VALU_DEP_1) | instskip(NEXT) | instid1(VALU_DEP_2)
	v_fma_f32 v228, v7, v3, -v1
	v_dual_add_f32 v1, 0, v21 :: v_dual_add_f32 v2, v2, v166
	s_delay_alu instid0(VALU_DEP_1) | instskip(NEXT) | instid1(VALU_DEP_1)
	v_dual_add_f32 v1, v1, v22 :: v_dual_add_f32 v2, v2, v169
	v_dual_add_f32 v1, v1, v26 :: v_dual_add_f32 v2, v2, v171
	s_delay_alu instid0(VALU_DEP_1) | instskip(SKIP_2) | instid1(VALU_DEP_1)
	v_add_f32_e32 v1, v1, v27
	scratch_load_b64 v[26:27], off, off offset:488
	v_dual_add_f32 v2, v2, v173 :: v_dual_add_f32 v1, v1, v28
	v_dual_add_f32 v2, v2, v175 :: v_dual_add_f32 v1, v1, v29
	s_delay_alu instid0(VALU_DEP_1) | instskip(NEXT) | instid1(VALU_DEP_1)
	v_add_f32_e32 v2, v2, v177
	v_dual_add_f32 v1, v1, v13 :: v_dual_add_f32 v2, v2, v179
	s_delay_alu instid0(VALU_DEP_1) | instskip(NEXT) | instid1(VALU_DEP_1)
	v_dual_add_f32 v1, v1, v14 :: v_dual_add_f32 v2, v2, v181
	v_dual_add_f32 v1, v1, v16 :: v_dual_add_f32 v2, v2, v183
	s_delay_alu instid0(VALU_DEP_1) | instskip(NEXT) | instid1(VALU_DEP_1)
	v_add_f32_e32 v1, v1, v17
	v_add_f32_e32 v1, v1, v162
	s_delay_alu instid0(VALU_DEP_1) | instskip(NEXT) | instid1(VALU_DEP_1)
	v_add_f32_e32 v1, v1, v163
	v_add_f32_e32 v1, v1, v167
	;; [unrolled: 3-line block ×10, first 2 shown]
	s_delay_alu instid0(VALU_DEP_1) | instskip(SKIP_1) | instid1(VALU_DEP_2)
	v_add_f32_e32 v6, v1, v200
	v_add_f32_e32 v2, v2, v185
	v_add_f32_e32 v6, v6, v202
	s_delay_alu instid0(VALU_DEP_2) | instskip(NEXT) | instid1(VALU_DEP_2)
	v_add_f32_e32 v2, v2, v187
	v_add_f32_e32 v13, v6, v204
	s_delay_alu instid0(VALU_DEP_1) | instskip(NEXT) | instid1(VALU_DEP_1)
	v_dual_add_f32 v2, v2, v189 :: v_dual_add_f32 v13, v13, v206
	v_dual_add_f32 v2, v2, v191 :: v_dual_add_f32 v13, v13, v208
	s_delay_alu instid0(VALU_DEP_1) | instskip(NEXT) | instid1(VALU_DEP_1)
	v_dual_add_f32 v2, v2, v193 :: v_dual_add_f32 v13, v13, v210
	v_add_f32_e32 v2, v2, v195
	s_delay_alu instid0(VALU_DEP_2) | instskip(NEXT) | instid1(VALU_DEP_2)
	v_dual_add_f32 v18, v13, v212 :: v_dual_fmac_f32 v227, v8, v3
	v_add_f32_e32 v5, v2, v197
	ds_load_2addr_b64 v[1:4], v25 offset0:115 offset1:116
	v_dual_add_f32 v18, v18, v214 :: v_dual_add_f32 v5, v5, v199
	s_delay_alu instid0(VALU_DEP_1) | instskip(NEXT) | instid1(VALU_DEP_1)
	v_dual_add_f32 v18, v18, v216 :: v_dual_add_f32 v5, v5, v201
	v_add_f32_e32 v18, v18, v218
	s_delay_alu instid0(VALU_DEP_2)
	v_add_f32_e32 v14, v5, v203
	ds_load_2addr_b64 v[5:8], v25 offset0:117 offset1:118
	v_add_f32_e32 v18, v18, v220
	v_add_f32_e32 v14, v14, v205
	s_wait_loadcnt_dscnt 0x101
	v_mul_f32_e32 v32, v1, v10
	v_dual_mul_f32 v10, v2, v10 :: v_dual_mul_f32 v157, v3, v12
	v_mul_f32_e32 v12, v4, v12
	v_add_f32_e32 v14, v14, v207
	s_delay_alu instid0(VALU_DEP_4) | instskip(NEXT) | instid1(VALU_DEP_4)
	v_fmac_f32_e32 v32, v2, v9
	v_fma_f32 v158, v1, v9, -v10
	v_fmac_f32_e32 v157, v4, v11
	v_fma_f32 v160, v3, v11, -v12
	s_clause 0x1
	scratch_load_b128 v[1:4], off, off offset:440
	scratch_load_b128 v[9:12], off, off offset:456
	v_add_f32_e32 v28, v18, v222
	s_delay_alu instid0(VALU_DEP_1) | instskip(NEXT) | instid1(VALU_DEP_1)
	v_add_f32_e32 v161, v28, v224
	v_add_f32_e32 v161, v161, v226
	s_delay_alu instid0(VALU_DEP_1) | instskip(NEXT) | instid1(VALU_DEP_1)
	v_add_f32_e32 v161, v161, v228
	v_add_f32_e32 v158, v161, v158
	s_delay_alu instid0(VALU_DEP_1)
	v_add_f32_e32 v158, v158, v160
	s_wait_loadcnt_dscnt 0x100
	v_dual_mul_f32 v164, v7, v4 :: v_dual_add_f32 v17, v14, v209
	scratch_load_b128 v[13:16], off, off offset:472
	v_dual_mul_f32 v4, v8, v4 :: v_dual_mul_f32 v163, v5, v2
	v_dual_mul_f32 v2, v6, v2 :: v_dual_add_f32 v17, v17, v211
	s_delay_alu instid0(VALU_DEP_2) | instskip(NEXT) | instid1(VALU_DEP_2)
	v_dual_fmac_f32 v164, v8, v3 :: v_dual_fmac_f32 v163, v6, v1
	v_fma_f32 v2, v5, v1, -v2
	s_delay_alu instid0(VALU_DEP_3) | instskip(SKIP_1) | instid1(VALU_DEP_2)
	v_add_f32_e32 v17, v17, v213
	v_fma_f32 v1, v7, v3, -v4
	v_dual_add_f32 v2, v158, v2 :: v_dual_add_f32 v17, v17, v215
	s_delay_alu instid0(VALU_DEP_1) | instskip(NEXT) | instid1(VALU_DEP_2)
	v_add_f32_e32 v1, v2, v1
	v_add_f32_e32 v17, v17, v217
	s_delay_alu instid0(VALU_DEP_1)
	v_add_f32_e32 v21, v17, v219
	ds_load_2addr_b64 v[17:20], v25 offset0:119 offset1:120
	v_add_f32_e32 v29, v21, v221
	ds_load_2addr_b64 v[21:24], v25 offset0:121 offset1:122
	v_add_f32_e32 v162, v29, v223
	ds_load_b64 v[28:29], v25 offset:984
	s_wait_loadcnt_dscnt 0x102
	v_mul_f32_e32 v161, v17, v10
	v_mul_f32_e32 v3, v18, v10
	;; [unrolled: 1-line block ×3, first 2 shown]
	s_delay_alu instid0(VALU_DEP_3) | instskip(NEXT) | instid1(VALU_DEP_3)
	v_fmac_f32_e32 v161, v18, v9
	v_fma_f32 v3, v17, v9, -v3
	s_delay_alu instid0(VALU_DEP_3) | instskip(NEXT) | instid1(VALU_DEP_2)
	v_fma_f32 v5, v19, v11, -v5
	v_add_f32_e32 v1, v1, v3
	s_delay_alu instid0(VALU_DEP_1) | instskip(SKIP_4) | instid1(VALU_DEP_3)
	v_add_f32_e32 v1, v1, v5
	s_wait_loadcnt_dscnt 0x0
	v_dual_mul_f32 v5, v29, v27 :: v_dual_mul_f32 v160, v23, v16
	v_dual_add_f32 v162, v162, v225 :: v_dual_mul_f32 v165, v21, v14
	v_mul_f32_e32 v3, v24, v16
	v_fmac_f32_e32 v160, v24, v15
	s_delay_alu instid0(VALU_DEP_3) | instskip(NEXT) | instid1(VALU_DEP_4)
	v_add_f32_e32 v162, v162, v227
	v_fmac_f32_e32 v165, v22, v13
	s_delay_alu instid0(VALU_DEP_4) | instskip(NEXT) | instid1(VALU_DEP_3)
	v_fma_f32 v3, v23, v15, -v3
	v_add_f32_e32 v32, v162, v32
	v_mul_f32_e32 v162, v19, v12
	s_delay_alu instid0(VALU_DEP_2) | instskip(NEXT) | instid1(VALU_DEP_2)
	v_add_f32_e32 v32, v32, v157
	v_fmac_f32_e32 v162, v20, v11
	v_mul_f32_e32 v157, v28, v27
	s_delay_alu instid0(VALU_DEP_1) | instskip(NEXT) | instid1(VALU_DEP_1)
	v_dual_add_f32 v4, v32, v163 :: v_dual_fmac_f32 v157, v29, v26
	v_add_f32_e32 v2, v4, v164
	v_mul_f32_e32 v4, v22, v14
	s_delay_alu instid0(VALU_DEP_2) | instskip(NEXT) | instid1(VALU_DEP_2)
	v_add_f32_e32 v2, v2, v161
	v_fma_f32 v4, v21, v13, -v4
	s_delay_alu instid0(VALU_DEP_1) | instskip(SKIP_1) | instid1(VALU_DEP_2)
	v_dual_add_f32 v2, v2, v162 :: v_dual_add_f32 v1, v1, v4
	v_fma_f32 v4, v28, v26, -v5
	v_dual_add_f32 v2, v2, v165 :: v_dual_add_f32 v1, v1, v3
	s_delay_alu instid0(VALU_DEP_1) | instskip(NEXT) | instid1(VALU_DEP_1)
	v_add_f32_e32 v2, v2, v160
	v_dual_add_f32 v1, v1, v4 :: v_dual_add_f32 v2, v2, v157
	s_delay_alu instid0(VALU_DEP_1)
	v_dual_sub_f32 v1, v30, v1 :: v_dual_sub_f32 v2, v31, v2
	scratch_store_b64 off, v[1:2], off offset:64
	v_cmpx_lt_u32_e32 7, v0
	s_cbranch_execz .LBB125_371
; %bb.370:
	scratch_load_b64 v[1:2], off, off offset:56
	v_mov_b32_e32 v26, v25
	scratch_store_b64 off, v[25:26], off offset:56
	s_wait_loadcnt 0x0
	ds_store_b64 v159, v[1:2]
.LBB125_371:
	s_wait_alu 0xfffe
	s_or_b32 exec_lo, exec_lo, s0
	s_wait_storecnt_dscnt 0x0
	s_barrier_signal -1
	s_barrier_wait -1
	global_inv scope:SCOPE_SE
	s_clause 0x4
	scratch_load_b128 v[5:8], off, off offset:64
	scratch_load_b128 v[1:4], off, off offset:80
	;; [unrolled: 1-line block ×5, first 2 shown]
	ds_load_b128 v[21:24], v25 offset:560
	ds_load_b128 v[26:29], v25 offset:576
	;; [unrolled: 1-line block ×3, first 2 shown]
	scratch_load_b64 v[30:31], off, off offset:56
	s_mov_b32 s0, exec_lo
	s_wait_loadcnt_dscnt 0x502
	v_dual_mul_f32 v32, v21, v6 :: v_dual_mul_f32 v157, v23, v8
	v_mul_f32_e32 v6, v22, v6
	v_mul_f32_e32 v8, v24, v8
	s_wait_loadcnt_dscnt 0x300
	v_mul_f32_e32 v158, v160, v10
	v_dual_fmac_f32 v32, v22, v5 :: v_dual_fmac_f32 v157, v24, v7
	v_fma_f32 v21, v21, v5, -v6
	v_fma_f32 v22, v23, v7, -v8
	ds_load_b128 v[5:8], v25 offset:608
	v_dual_mul_f32 v23, v26, v2 :: v_dual_mul_f32 v24, v28, v4
	v_mul_f32_e32 v4, v29, v4
	v_mul_f32_e32 v164, v162, v12
	;; [unrolled: 1-line block ×5, first 2 shown]
	v_dual_fmac_f32 v23, v27, v1 :: v_dual_fmac_f32 v24, v29, v3
	v_fma_f32 v27, v28, v3, -v4
	v_fmac_f32_e32 v158, v161, v9
	v_fmac_f32_e32 v164, v163, v11
	v_fma_f32 v28, v160, v9, -v10
	v_fma_f32 v29, v162, v11, -v12
	ds_load_b128 v[9:12], v25 offset:624
	s_wait_loadcnt_dscnt 0x201
	v_dual_mul_f32 v161, v7, v16 :: v_dual_mul_f32 v160, v5, v14
	v_mul_f32_e32 v14, v6, v14
	v_mul_f32_e32 v16, v8, v16
	s_delay_alu instid0(VALU_DEP_3)
	v_fmac_f32_e32 v161, v8, v15
	v_fma_f32 v26, v26, v1, -v2
	scratch_load_b128 v[1:4], off, off offset:144
	v_fmac_f32_e32 v160, v6, v13
	v_fma_f32 v13, v5, v13, -v14
	v_fma_f32 v14, v7, v15, -v16
	ds_load_b128 v[5:8], v25 offset:640
	s_wait_loadcnt_dscnt 0x201
	v_mul_f32_e32 v15, v9, v18
	v_mul_f32_e32 v16, v10, v18
	;; [unrolled: 1-line block ×3, first 2 shown]
	s_delay_alu instid0(VALU_DEP_3) | instskip(NEXT) | instid1(VALU_DEP_3)
	v_dual_mul_f32 v20, v12, v20 :: v_dual_fmac_f32 v15, v10, v17
	v_fma_f32 v16, v9, v17, -v16
	s_delay_alu instid0(VALU_DEP_3) | instskip(NEXT) | instid1(VALU_DEP_3)
	v_fmac_f32_e32 v18, v12, v19
	v_fma_f32 v17, v11, v19, -v20
	scratch_load_b128 v[9:12], off, off offset:160
	s_wait_loadcnt_dscnt 0x100
	v_mul_f32_e32 v19, v5, v2
	v_mul_f32_e32 v2, v6, v2
	;; [unrolled: 1-line block ×3, first 2 shown]
	s_delay_alu instid0(VALU_DEP_3) | instskip(NEXT) | instid1(VALU_DEP_3)
	v_dual_mul_f32 v4, v8, v4 :: v_dual_fmac_f32 v19, v6, v1
	v_fma_f32 v162, v5, v1, -v2
	s_delay_alu instid0(VALU_DEP_3) | instskip(NEXT) | instid1(VALU_DEP_3)
	v_fmac_f32_e32 v20, v8, v3
	v_fma_f32 v163, v7, v3, -v4
	ds_load_b128 v[1:4], v25 offset:656
	ds_load_b128 v[5:8], v25 offset:672
	s_wait_loadcnt_dscnt 0x1
	v_mul_f32_e32 v165, v1, v10
	v_mul_f32_e32 v10, v2, v10
	s_delay_alu instid0(VALU_DEP_2) | instskip(NEXT) | instid1(VALU_DEP_2)
	v_dual_mul_f32 v166, v3, v12 :: v_dual_fmac_f32 v165, v2, v9
	v_fma_f32 v167, v1, v9, -v10
	v_mul_f32_e32 v1, v4, v12
	s_delay_alu instid0(VALU_DEP_3) | instskip(NEXT) | instid1(VALU_DEP_2)
	v_fmac_f32_e32 v166, v4, v11
	v_fma_f32 v168, v3, v11, -v1
	s_clause 0x1
	scratch_load_b128 v[1:4], off, off offset:176
	scratch_load_b128 v[9:12], off, off offset:192
	s_wait_loadcnt_dscnt 0x100
	v_mul_f32_e32 v169, v5, v2
	v_dual_mul_f32 v2, v6, v2 :: v_dual_mul_f32 v171, v7, v4
	s_delay_alu instid0(VALU_DEP_2) | instskip(NEXT) | instid1(VALU_DEP_2)
	v_fmac_f32_e32 v169, v6, v1
	v_fma_f32 v170, v5, v1, -v2
	v_mul_f32_e32 v1, v8, v4
	s_delay_alu instid0(VALU_DEP_4) | instskip(NEXT) | instid1(VALU_DEP_2)
	v_fmac_f32_e32 v171, v8, v3
	v_fma_f32 v172, v7, v3, -v1
	ds_load_b128 v[1:4], v25 offset:688
	ds_load_b128 v[5:8], v25 offset:704
	s_wait_loadcnt_dscnt 0x1
	v_mul_f32_e32 v173, v1, v10
	v_mul_f32_e32 v175, v3, v12
	s_delay_alu instid0(VALU_DEP_2) | instskip(NEXT) | instid1(VALU_DEP_2)
	v_fmac_f32_e32 v173, v2, v9
	v_dual_mul_f32 v2, v2, v10 :: v_dual_fmac_f32 v175, v4, v11
	s_delay_alu instid0(VALU_DEP_1) | instskip(SKIP_1) | instid1(VALU_DEP_1)
	v_fma_f32 v174, v1, v9, -v2
	v_mul_f32_e32 v1, v4, v12
	v_fma_f32 v176, v3, v11, -v1
	s_clause 0x1
	scratch_load_b128 v[1:4], off, off offset:208
	scratch_load_b128 v[9:12], off, off offset:224
	s_wait_loadcnt_dscnt 0x100
	v_mul_f32_e32 v177, v5, v2
	v_dual_mul_f32 v2, v6, v2 :: v_dual_mul_f32 v179, v7, v4
	s_delay_alu instid0(VALU_DEP_2) | instskip(NEXT) | instid1(VALU_DEP_2)
	v_fmac_f32_e32 v177, v6, v1
	v_fma_f32 v178, v5, v1, -v2
	v_mul_f32_e32 v1, v8, v4
	s_delay_alu instid0(VALU_DEP_4) | instskip(NEXT) | instid1(VALU_DEP_2)
	v_fmac_f32_e32 v179, v8, v3
	v_fma_f32 v180, v7, v3, -v1
	ds_load_b128 v[1:4], v25 offset:720
	ds_load_b128 v[5:8], v25 offset:736
	s_wait_loadcnt_dscnt 0x1
	v_mul_f32_e32 v181, v1, v10
	v_mul_f32_e32 v183, v3, v12
	s_delay_alu instid0(VALU_DEP_2) | instskip(NEXT) | instid1(VALU_DEP_2)
	v_fmac_f32_e32 v181, v2, v9
	v_dual_mul_f32 v2, v2, v10 :: v_dual_fmac_f32 v183, v4, v11
	s_delay_alu instid0(VALU_DEP_1) | instskip(SKIP_1) | instid1(VALU_DEP_1)
	v_fma_f32 v182, v1, v9, -v2
	v_mul_f32_e32 v1, v4, v12
	;; [unrolled: 25-line block ×7, first 2 shown]
	v_fma_f32 v224, v3, v11, -v1
	s_clause 0x1
	scratch_load_b128 v[1:4], off, off offset:400
	scratch_load_b128 v[9:12], off, off offset:416
	s_wait_loadcnt_dscnt 0x100
	v_mul_f32_e32 v225, v5, v2
	v_mul_f32_e32 v2, v6, v2
	s_delay_alu instid0(VALU_DEP_2) | instskip(NEXT) | instid1(VALU_DEP_2)
	v_fmac_f32_e32 v225, v6, v1
	v_fma_f32 v226, v5, v1, -v2
	v_add_f32_e32 v2, 0, v32
	s_delay_alu instid0(VALU_DEP_1) | instskip(NEXT) | instid1(VALU_DEP_1)
	v_dual_mul_f32 v1, v8, v4 :: v_dual_add_f32 v2, v2, v157
	v_fma_f32 v228, v7, v3, -v1
	s_delay_alu instid0(VALU_DEP_2) | instskip(NEXT) | instid1(VALU_DEP_1)
	v_add_f32_e32 v2, v2, v23
	v_add_f32_e32 v2, v2, v24
	s_delay_alu instid0(VALU_DEP_1) | instskip(NEXT) | instid1(VALU_DEP_1)
	v_add_f32_e32 v2, v2, v158
	v_add_f32_e32 v2, v2, v164
	s_delay_alu instid0(VALU_DEP_1) | instskip(NEXT) | instid1(VALU_DEP_1)
	;; [unrolled: 3-line block ×7, first 2 shown]
	v_add_f32_e32 v2, v2, v173
	v_dual_add_f32 v1, 0, v21 :: v_dual_add_f32 v2, v2, v175
	s_delay_alu instid0(VALU_DEP_1) | instskip(NEXT) | instid1(VALU_DEP_1)
	v_dual_add_f32 v1, v1, v22 :: v_dual_add_f32 v2, v2, v177
	v_dual_add_f32 v1, v1, v26 :: v_dual_add_f32 v2, v2, v179
	s_delay_alu instid0(VALU_DEP_1) | instskip(NEXT) | instid1(VALU_DEP_1)
	v_dual_add_f32 v1, v1, v27 :: v_dual_add_f32 v2, v2, v181
	v_dual_add_f32 v1, v1, v28 :: v_dual_add_f32 v2, v2, v183
	s_delay_alu instid0(VALU_DEP_1) | instskip(NEXT) | instid1(VALU_DEP_1)
	v_add_f32_e32 v1, v1, v29
	v_add_f32_e32 v1, v1, v13
	s_delay_alu instid0(VALU_DEP_1) | instskip(NEXT) | instid1(VALU_DEP_1)
	v_add_f32_e32 v1, v1, v14
	v_add_f32_e32 v1, v1, v16
	;; [unrolled: 3-line block ×13, first 2 shown]
	v_add_f32_e32 v2, v2, v185
	s_delay_alu instid0(VALU_DEP_2) | instskip(NEXT) | instid1(VALU_DEP_2)
	v_add_f32_e32 v14, v6, v204
	v_dual_add_f32 v2, v2, v187 :: v_dual_mul_f32 v227, v7, v4
	s_delay_alu instid0(VALU_DEP_2) | instskip(NEXT) | instid1(VALU_DEP_2)
	v_add_f32_e32 v14, v14, v206
	v_dual_add_f32 v2, v2, v189 :: v_dual_fmac_f32 v227, v8, v3
	s_delay_alu instid0(VALU_DEP_2) | instskip(NEXT) | instid1(VALU_DEP_1)
	v_add_f32_e32 v17, v14, v208
	v_dual_add_f32 v2, v2, v191 :: v_dual_add_f32 v17, v17, v210
	s_delay_alu instid0(VALU_DEP_1) | instskip(NEXT) | instid1(VALU_DEP_1)
	v_dual_add_f32 v2, v2, v193 :: v_dual_add_f32 v17, v17, v212
	v_dual_add_f32 v2, v2, v195 :: v_dual_add_f32 v17, v17, v214
	s_delay_alu instid0(VALU_DEP_1) | instskip(NEXT) | instid1(VALU_DEP_1)
	v_add_f32_e32 v2, v2, v197
	v_dual_add_f32 v22, v17, v216 :: v_dual_add_f32 v5, v2, v199
	ds_load_b128 v[1:4], v25 offset:912
	v_dual_add_f32 v22, v22, v218 :: v_dual_add_f32 v13, v5, v201
	scratch_load_b128 v[5:8], off, off offset:432
	v_dual_add_f32 v22, v22, v220 :: v_dual_add_f32 v13, v13, v203
	s_delay_alu instid0(VALU_DEP_1) | instskip(NEXT) | instid1(VALU_DEP_1)
	v_add_f32_e32 v13, v13, v205
	v_add_f32_e32 v18, v13, v207
	ds_load_b128 v[13:16], v25 offset:928
	s_wait_loadcnt_dscnt 0x101
	v_mul_f32_e32 v26, v1, v10
	v_dual_mul_f32 v10, v2, v10 :: v_dual_mul_f32 v27, v3, v12
	v_mul_f32_e32 v12, v4, v12
	s_delay_alu instid0(VALU_DEP_3) | instskip(NEXT) | instid1(VALU_DEP_3)
	v_fmac_f32_e32 v26, v2, v9
	v_fma_f32 v28, v1, v9, -v10
	s_delay_alu instid0(VALU_DEP_4) | instskip(NEXT) | instid1(VALU_DEP_4)
	v_fmac_f32_e32 v27, v4, v11
	v_fma_f32 v29, v3, v11, -v12
	s_clause 0x1
	scratch_load_b128 v[1:4], off, off offset:448
	scratch_load_b128 v[9:12], off, off offset:464
	s_wait_loadcnt_dscnt 0x200
	v_mul_f32_e32 v157, v15, v8
	v_mul_f32_e32 v8, v16, v8
	v_add_f32_e32 v18, v18, v209
	v_mul_f32_e32 v32, v13, v6
	s_delay_alu instid0(VALU_DEP_4) | instskip(NEXT) | instid1(VALU_DEP_4)
	v_dual_mul_f32 v6, v14, v6 :: v_dual_fmac_f32 v157, v16, v7
	v_fma_f32 v160, v15, v7, -v8
	s_delay_alu instid0(VALU_DEP_4) | instskip(NEXT) | instid1(VALU_DEP_4)
	v_add_f32_e32 v18, v18, v211
	v_fmac_f32_e32 v32, v14, v5
	s_delay_alu instid0(VALU_DEP_4) | instskip(SKIP_4) | instid1(VALU_DEP_1)
	v_fma_f32 v158, v13, v5, -v6
	ds_load_b128 v[5:8], v25 offset:944
	v_add_f32_e32 v21, v18, v213
	scratch_load_b128 v[17:20], off, off offset:480
	v_add_f32_e32 v21, v21, v215
	v_add_f32_e32 v21, v21, v217
	s_delay_alu instid0(VALU_DEP_1) | instskip(NEXT) | instid1(VALU_DEP_1)
	v_add_f32_e32 v13, v21, v219
	v_dual_add_f32 v21, v22, v222 :: v_dual_add_f32 v22, v13, v221
	s_delay_alu instid0(VALU_DEP_1) | instskip(SKIP_4) | instid1(VALU_DEP_1)
	v_add_f32_e32 v161, v21, v224
	ds_load_b128 v[13:16], v25 offset:960
	v_add_f32_e32 v162, v22, v223
	ds_load_b128 v[21:24], v25 offset:976
	v_add_f32_e32 v25, v161, v226
	v_add_f32_e32 v25, v25, v228
	s_delay_alu instid0(VALU_DEP_1)
	v_add_f32_e32 v25, v25, v28
	s_wait_loadcnt_dscnt 0x202
	v_mul_f32_e32 v28, v7, v4
	v_dual_mul_f32 v4, v8, v4 :: v_dual_add_f32 v161, v162, v225
	v_mul_f32_e32 v162, v5, v2
	v_dual_add_f32 v25, v25, v29 :: v_dual_mul_f32 v2, v6, v2
	s_delay_alu instid0(VALU_DEP_4) | instskip(NEXT) | instid1(VALU_DEP_3)
	v_fmac_f32_e32 v28, v8, v3
	v_dual_add_f32 v161, v161, v227 :: v_dual_fmac_f32 v162, v6, v1
	s_delay_alu instid0(VALU_DEP_3) | instskip(NEXT) | instid1(VALU_DEP_4)
	v_add_f32_e32 v25, v25, v158
	v_fma_f32 v2, v5, v1, -v2
	s_wait_loadcnt_dscnt 0x101
	v_mul_f32_e32 v6, v14, v10
	v_add_f32_e32 v26, v161, v26
	v_mul_f32_e32 v161, v13, v10
	v_add_f32_e32 v1, v25, v160
	v_fma_f32 v3, v7, v3, -v4
	s_delay_alu instid0(VALU_DEP_4) | instskip(NEXT) | instid1(VALU_DEP_3)
	v_dual_mul_f32 v163, v15, v12 :: v_dual_add_f32 v26, v26, v27
	v_dual_mul_f32 v4, v16, v12 :: v_dual_add_f32 v1, v1, v2
	v_fmac_f32_e32 v161, v14, v9
	s_delay_alu instid0(VALU_DEP_3) | instskip(NEXT) | instid1(VALU_DEP_3)
	v_dual_fmac_f32 v163, v16, v11 :: v_dual_add_f32 v26, v26, v32
	v_fma_f32 v4, v15, v11, -v4
	s_delay_alu instid0(VALU_DEP_4) | instskip(NEXT) | instid1(VALU_DEP_3)
	v_add_f32_e32 v1, v1, v3
	v_add_f32_e32 v5, v26, v157
	s_delay_alu instid0(VALU_DEP_1) | instskip(SKIP_1) | instid1(VALU_DEP_1)
	v_add_f32_e32 v2, v5, v162
	v_fma_f32 v5, v13, v9, -v6
	v_dual_add_f32 v2, v2, v28 :: v_dual_add_f32 v1, v1, v5
	s_delay_alu instid0(VALU_DEP_1) | instskip(SKIP_1) | instid1(VALU_DEP_1)
	v_dual_add_f32 v2, v2, v161 :: v_dual_add_f32 v1, v1, v4
	s_wait_loadcnt_dscnt 0x0
	v_dual_add_f32 v2, v2, v163 :: v_dual_mul_f32 v27, v21, v18
	v_mul_f32_e32 v3, v22, v18
	v_mul_f32_e32 v29, v23, v20
	;; [unrolled: 1-line block ×3, first 2 shown]
	s_delay_alu instid0(VALU_DEP_4) | instskip(NEXT) | instid1(VALU_DEP_4)
	v_fmac_f32_e32 v27, v22, v17
	v_fma_f32 v3, v21, v17, -v3
	s_delay_alu instid0(VALU_DEP_4) | instskip(NEXT) | instid1(VALU_DEP_4)
	v_fmac_f32_e32 v29, v24, v19
	v_fma_f32 v4, v23, v19, -v5
	s_delay_alu instid0(VALU_DEP_4) | instskip(NEXT) | instid1(VALU_DEP_1)
	v_add_f32_e32 v2, v2, v27
	v_dual_add_f32 v1, v1, v3 :: v_dual_add_f32 v2, v2, v29
	s_delay_alu instid0(VALU_DEP_1) | instskip(NEXT) | instid1(VALU_DEP_1)
	v_dual_add_f32 v1, v1, v4 :: v_dual_sub_f32 v2, v31, v2
	v_sub_f32_e32 v1, v30, v1
	scratch_store_b64 off, v[1:2], off offset:56
	v_cmpx_lt_u32_e32 6, v0
	s_cbranch_execz .LBB125_373
; %bb.372:
	scratch_load_b64 v[1:2], off, off offset:48
	v_mov_b32_e32 v3, 0
	s_delay_alu instid0(VALU_DEP_1)
	v_mov_b32_e32 v4, v3
	scratch_store_b64 off, v[3:4], off offset:48
	s_wait_loadcnt 0x0
	ds_store_b64 v159, v[1:2]
.LBB125_373:
	s_wait_alu 0xfffe
	s_or_b32 exec_lo, exec_lo, s0
	s_wait_storecnt_dscnt 0x0
	s_barrier_signal -1
	s_barrier_wait -1
	global_inv scope:SCOPE_SE
	s_clause 0x4
	scratch_load_b128 v[5:8], off, off offset:56
	scratch_load_b128 v[1:4], off, off offset:72
	;; [unrolled: 1-line block ×5, first 2 shown]
	v_mov_b32_e32 v29, 0
	ds_load_2addr_b64 v[21:24], v29 offset0:69 offset1:70
	ds_load_2addr_b64 v[25:28], v29 offset0:71 offset1:72
	;; [unrolled: 1-line block ×3, first 2 shown]
	scratch_load_b64 v[30:31], off, off offset:48
	s_mov_b32 s0, exec_lo
	s_wait_loadcnt_dscnt 0x502
	v_dual_mul_f32 v32, v21, v6 :: v_dual_mul_f32 v157, v23, v8
	v_mul_f32_e32 v6, v22, v6
	v_mul_f32_e32 v8, v24, v8
	s_wait_loadcnt_dscnt 0x300
	v_mul_f32_e32 v158, v160, v10
	v_dual_fmac_f32 v32, v22, v5 :: v_dual_fmac_f32 v157, v24, v7
	v_fma_f32 v21, v21, v5, -v6
	v_fma_f32 v22, v23, v7, -v8
	ds_load_2addr_b64 v[5:8], v29 offset0:75 offset1:76
	v_dual_mul_f32 v23, v25, v2 :: v_dual_mul_f32 v24, v27, v4
	v_mul_f32_e32 v4, v28, v4
	v_mul_f32_e32 v164, v162, v12
	;; [unrolled: 1-line block ×5, first 2 shown]
	v_dual_fmac_f32 v23, v26, v1 :: v_dual_fmac_f32 v24, v28, v3
	v_fma_f32 v26, v27, v3, -v4
	v_fmac_f32_e32 v158, v161, v9
	v_fmac_f32_e32 v164, v163, v11
	v_fma_f32 v27, v160, v9, -v10
	v_fma_f32 v28, v162, v11, -v12
	ds_load_2addr_b64 v[9:12], v29 offset0:77 offset1:78
	s_wait_loadcnt_dscnt 0x201
	v_mul_f32_e32 v161, v7, v16
	v_fma_f32 v25, v25, v1, -v2
	scratch_load_b128 v[1:4], off, off offset:136
	v_mul_f32_e32 v160, v5, v14
	v_mul_f32_e32 v14, v6, v14
	;; [unrolled: 1-line block ×3, first 2 shown]
	s_delay_alu instid0(VALU_DEP_3) | instskip(NEXT) | instid1(VALU_DEP_3)
	v_dual_fmac_f32 v161, v8, v15 :: v_dual_fmac_f32 v160, v6, v13
	v_fma_f32 v13, v5, v13, -v14
	s_delay_alu instid0(VALU_DEP_3)
	v_fma_f32 v14, v7, v15, -v16
	ds_load_2addr_b64 v[5:8], v29 offset0:79 offset1:80
	s_wait_loadcnt_dscnt 0x201
	v_mul_f32_e32 v15, v9, v18
	v_mul_f32_e32 v16, v10, v18
	;; [unrolled: 1-line block ×3, first 2 shown]
	s_delay_alu instid0(VALU_DEP_3) | instskip(NEXT) | instid1(VALU_DEP_3)
	v_dual_mul_f32 v20, v12, v20 :: v_dual_fmac_f32 v15, v10, v17
	v_fma_f32 v16, v9, v17, -v16
	s_delay_alu instid0(VALU_DEP_3) | instskip(NEXT) | instid1(VALU_DEP_3)
	v_fmac_f32_e32 v18, v12, v19
	v_fma_f32 v17, v11, v19, -v20
	scratch_load_b128 v[9:12], off, off offset:152
	s_wait_loadcnt_dscnt 0x100
	v_mul_f32_e32 v19, v5, v2
	v_mul_f32_e32 v2, v6, v2
	;; [unrolled: 1-line block ×3, first 2 shown]
	s_delay_alu instid0(VALU_DEP_3) | instskip(NEXT) | instid1(VALU_DEP_3)
	v_dual_mul_f32 v4, v8, v4 :: v_dual_fmac_f32 v19, v6, v1
	v_fma_f32 v162, v5, v1, -v2
	s_delay_alu instid0(VALU_DEP_3) | instskip(NEXT) | instid1(VALU_DEP_3)
	v_fmac_f32_e32 v20, v8, v3
	v_fma_f32 v163, v7, v3, -v4
	ds_load_2addr_b64 v[1:4], v29 offset0:81 offset1:82
	ds_load_2addr_b64 v[5:8], v29 offset0:83 offset1:84
	s_wait_loadcnt_dscnt 0x1
	v_mul_f32_e32 v165, v1, v10
	v_mul_f32_e32 v10, v2, v10
	s_delay_alu instid0(VALU_DEP_2) | instskip(NEXT) | instid1(VALU_DEP_2)
	v_dual_mul_f32 v166, v3, v12 :: v_dual_fmac_f32 v165, v2, v9
	v_fma_f32 v167, v1, v9, -v10
	v_mul_f32_e32 v1, v4, v12
	s_delay_alu instid0(VALU_DEP_3) | instskip(NEXT) | instid1(VALU_DEP_2)
	v_fmac_f32_e32 v166, v4, v11
	v_fma_f32 v168, v3, v11, -v1
	s_clause 0x1
	scratch_load_b128 v[1:4], off, off offset:168
	scratch_load_b128 v[9:12], off, off offset:184
	s_wait_loadcnt_dscnt 0x100
	v_mul_f32_e32 v169, v5, v2
	v_dual_mul_f32 v2, v6, v2 :: v_dual_mul_f32 v171, v7, v4
	s_delay_alu instid0(VALU_DEP_2) | instskip(NEXT) | instid1(VALU_DEP_2)
	v_fmac_f32_e32 v169, v6, v1
	v_fma_f32 v170, v5, v1, -v2
	v_mul_f32_e32 v1, v8, v4
	s_delay_alu instid0(VALU_DEP_4) | instskip(NEXT) | instid1(VALU_DEP_2)
	v_fmac_f32_e32 v171, v8, v3
	v_fma_f32 v172, v7, v3, -v1
	ds_load_2addr_b64 v[1:4], v29 offset0:85 offset1:86
	ds_load_2addr_b64 v[5:8], v29 offset0:87 offset1:88
	s_wait_loadcnt_dscnt 0x1
	v_mul_f32_e32 v173, v1, v10
	v_mul_f32_e32 v175, v3, v12
	s_delay_alu instid0(VALU_DEP_2) | instskip(NEXT) | instid1(VALU_DEP_2)
	v_fmac_f32_e32 v173, v2, v9
	v_dual_mul_f32 v2, v2, v10 :: v_dual_fmac_f32 v175, v4, v11
	s_delay_alu instid0(VALU_DEP_1) | instskip(SKIP_1) | instid1(VALU_DEP_1)
	v_fma_f32 v174, v1, v9, -v2
	v_mul_f32_e32 v1, v4, v12
	v_fma_f32 v176, v3, v11, -v1
	s_clause 0x1
	scratch_load_b128 v[1:4], off, off offset:200
	scratch_load_b128 v[9:12], off, off offset:216
	s_wait_loadcnt_dscnt 0x100
	v_mul_f32_e32 v177, v5, v2
	v_dual_mul_f32 v2, v6, v2 :: v_dual_mul_f32 v179, v7, v4
	s_delay_alu instid0(VALU_DEP_2) | instskip(NEXT) | instid1(VALU_DEP_2)
	v_fmac_f32_e32 v177, v6, v1
	v_fma_f32 v178, v5, v1, -v2
	v_mul_f32_e32 v1, v8, v4
	s_delay_alu instid0(VALU_DEP_4) | instskip(NEXT) | instid1(VALU_DEP_2)
	v_fmac_f32_e32 v179, v8, v3
	v_fma_f32 v180, v7, v3, -v1
	ds_load_2addr_b64 v[1:4], v29 offset0:89 offset1:90
	ds_load_2addr_b64 v[5:8], v29 offset0:91 offset1:92
	s_wait_loadcnt_dscnt 0x1
	v_mul_f32_e32 v181, v1, v10
	v_mul_f32_e32 v183, v3, v12
	s_delay_alu instid0(VALU_DEP_2) | instskip(NEXT) | instid1(VALU_DEP_2)
	v_fmac_f32_e32 v181, v2, v9
	v_dual_mul_f32 v2, v2, v10 :: v_dual_fmac_f32 v183, v4, v11
	s_delay_alu instid0(VALU_DEP_1) | instskip(SKIP_1) | instid1(VALU_DEP_1)
	v_fma_f32 v182, v1, v9, -v2
	v_mul_f32_e32 v1, v4, v12
	;; [unrolled: 25-line block ×7, first 2 shown]
	v_fma_f32 v224, v3, v11, -v1
	s_clause 0x1
	scratch_load_b128 v[1:4], off, off offset:392
	scratch_load_b128 v[9:12], off, off offset:408
	s_wait_loadcnt_dscnt 0x100
	v_mul_f32_e32 v225, v5, v2
	v_dual_mul_f32 v2, v6, v2 :: v_dual_mul_f32 v227, v7, v4
	s_delay_alu instid0(VALU_DEP_2) | instskip(NEXT) | instid1(VALU_DEP_2)
	v_fmac_f32_e32 v225, v6, v1
	v_fma_f32 v226, v5, v1, -v2
	v_add_f32_e32 v2, 0, v32
	s_delay_alu instid0(VALU_DEP_1) | instskip(NEXT) | instid1(VALU_DEP_1)
	v_dual_mul_f32 v1, v8, v4 :: v_dual_add_f32 v2, v2, v157
	v_fma_f32 v228, v7, v3, -v1
	s_delay_alu instid0(VALU_DEP_2) | instskip(NEXT) | instid1(VALU_DEP_1)
	v_add_f32_e32 v2, v2, v23
	v_add_f32_e32 v2, v2, v24
	s_delay_alu instid0(VALU_DEP_1) | instskip(NEXT) | instid1(VALU_DEP_1)
	v_add_f32_e32 v2, v2, v158
	v_add_f32_e32 v2, v2, v164
	s_delay_alu instid0(VALU_DEP_1) | instskip(NEXT) | instid1(VALU_DEP_1)
	;; [unrolled: 3-line block ×7, first 2 shown]
	v_add_f32_e32 v2, v2, v173
	v_dual_add_f32 v1, 0, v21 :: v_dual_add_f32 v2, v2, v175
	s_delay_alu instid0(VALU_DEP_1) | instskip(NEXT) | instid1(VALU_DEP_1)
	v_dual_add_f32 v1, v1, v22 :: v_dual_add_f32 v2, v2, v177
	v_dual_add_f32 v1, v1, v25 :: v_dual_add_f32 v2, v2, v179
	s_delay_alu instid0(VALU_DEP_1) | instskip(SKIP_2) | instid1(VALU_DEP_1)
	v_add_f32_e32 v1, v1, v26
	scratch_load_b64 v[25:26], off, off offset:488
	v_dual_add_f32 v2, v2, v181 :: v_dual_add_f32 v1, v1, v27
	v_dual_add_f32 v2, v2, v183 :: v_dual_add_f32 v1, v1, v28
	s_delay_alu instid0(VALU_DEP_1) | instskip(NEXT) | instid1(VALU_DEP_1)
	v_add_f32_e32 v1, v1, v13
	v_add_f32_e32 v1, v1, v14
	s_delay_alu instid0(VALU_DEP_1) | instskip(NEXT) | instid1(VALU_DEP_1)
	v_add_f32_e32 v1, v1, v16
	v_add_f32_e32 v1, v1, v17
	;; [unrolled: 3-line block ×12, first 2 shown]
	s_delay_alu instid0(VALU_DEP_1) | instskip(SKIP_1) | instid1(VALU_DEP_2)
	v_add_f32_e32 v6, v1, v202
	v_add_f32_e32 v2, v2, v185
	;; [unrolled: 1-line block ×3, first 2 shown]
	s_delay_alu instid0(VALU_DEP_2) | instskip(NEXT) | instid1(VALU_DEP_2)
	v_add_f32_e32 v2, v2, v187
	v_add_f32_e32 v14, v14, v206
	s_delay_alu instid0(VALU_DEP_2) | instskip(NEXT) | instid1(VALU_DEP_2)
	v_add_f32_e32 v2, v2, v189
	v_add_f32_e32 v17, v14, v208
	s_delay_alu instid0(VALU_DEP_1) | instskip(NEXT) | instid1(VALU_DEP_1)
	v_dual_add_f32 v2, v2, v191 :: v_dual_add_f32 v17, v17, v210
	v_dual_add_f32 v2, v2, v193 :: v_dual_add_f32 v17, v17, v212
	s_delay_alu instid0(VALU_DEP_1) | instskip(NEXT) | instid1(VALU_DEP_1)
	v_dual_add_f32 v2, v2, v195 :: v_dual_add_f32 v17, v17, v214
	v_add_f32_e32 v2, v2, v197
	s_delay_alu instid0(VALU_DEP_1) | instskip(NEXT) | instid1(VALU_DEP_1)
	v_dual_add_f32 v22, v17, v216 :: v_dual_add_f32 v5, v2, v199
	v_dual_add_f32 v22, v22, v218 :: v_dual_add_f32 v13, v5, v201
	s_delay_alu instid0(VALU_DEP_1) | instskip(NEXT) | instid1(VALU_DEP_1)
	v_dual_add_f32 v22, v22, v220 :: v_dual_add_f32 v13, v13, v203
	v_dual_add_f32 v22, v22, v222 :: v_dual_add_f32 v13, v13, v205
	s_delay_alu instid0(VALU_DEP_1)
	v_add_f32_e32 v18, v13, v207
	v_fmac_f32_e32 v227, v8, v3
	scratch_load_b128 v[1:4], off, off offset:424
	ds_load_2addr_b64 v[5:8], v29 offset0:113 offset1:114
	ds_load_2addr_b64 v[13:16], v29 offset0:115 offset1:116
	s_wait_loadcnt_dscnt 0x201
	v_mul_f32_e32 v32, v5, v10
	v_dual_mul_f32 v10, v6, v10 :: v_dual_mul_f32 v157, v7, v12
	v_mul_f32_e32 v12, v8, v12
	s_delay_alu instid0(VALU_DEP_3) | instskip(NEXT) | instid1(VALU_DEP_3)
	v_fmac_f32_e32 v32, v6, v9
	v_fma_f32 v158, v5, v9, -v10
	s_delay_alu instid0(VALU_DEP_4) | instskip(NEXT) | instid1(VALU_DEP_4)
	v_fmac_f32_e32 v157, v8, v11
	v_fma_f32 v160, v7, v11, -v12
	s_clause 0x1
	scratch_load_b128 v[5:8], off, off offset:440
	scratch_load_b128 v[9:12], off, off offset:456
	s_wait_loadcnt_dscnt 0x200
	v_mul_f32_e32 v162, v15, v4
	v_mul_f32_e32 v4, v16, v4
	v_dual_add_f32 v18, v18, v209 :: v_dual_mul_f32 v161, v13, v2
	v_mul_f32_e32 v2, v14, v2
	s_delay_alu instid0(VALU_DEP_4) | instskip(NEXT) | instid1(VALU_DEP_4)
	v_fmac_f32_e32 v162, v16, v3
	v_fma_f32 v164, v15, v3, -v4
	s_delay_alu instid0(VALU_DEP_4)
	v_add_f32_e32 v18, v18, v211
	v_fmac_f32_e32 v161, v14, v1
	v_add_f32_e32 v14, v22, v224
	v_fma_f32 v163, v13, v1, -v2
	ds_load_2addr_b64 v[1:4], v29 offset0:117 offset1:118
	v_add_f32_e32 v21, v18, v213
	scratch_load_b128 v[17:20], off, off offset:472
	v_add_f32_e32 v27, v14, v226
	v_add_f32_e32 v21, v21, v215
	s_delay_alu instid0(VALU_DEP_2) | instskip(NEXT) | instid1(VALU_DEP_2)
	v_add_f32_e32 v165, v27, v228
	v_add_f32_e32 v21, v21, v217
	s_delay_alu instid0(VALU_DEP_2) | instskip(NEXT) | instid1(VALU_DEP_1)
	v_add_f32_e32 v158, v165, v158
	v_dual_add_f32 v21, v21, v219 :: v_dual_add_f32 v158, v158, v160
	s_delay_alu instid0(VALU_DEP_1) | instskip(NEXT) | instid1(VALU_DEP_1)
	v_dual_add_f32 v13, v21, v221 :: v_dual_add_f32 v158, v158, v163
	v_add_f32_e32 v21, v13, v223
	ds_load_2addr_b64 v[13:16], v29 offset0:119 offset1:120
	s_wait_loadcnt_dscnt 0x201
	v_mul_f32_e32 v165, v1, v6
	v_mul_f32_e32 v6, v2, v6
	v_add_f32_e32 v158, v158, v164
	v_add_f32_e32 v28, v21, v225
	ds_load_2addr_b64 v[21:24], v29 offset0:121 offset1:122
	v_fmac_f32_e32 v165, v2, v5
	v_fma_f32 v1, v1, v5, -v6
	v_add_f32_e32 v166, v28, v227
	ds_load_b64 v[27:28], v29 offset:984
	v_add_f32_e32 v1, v158, v1
	v_add_f32_e32 v32, v166, v32
	s_delay_alu instid0(VALU_DEP_1) | instskip(SKIP_3) | instid1(VALU_DEP_3)
	v_dual_add_f32 v32, v32, v157 :: v_dual_mul_f32 v157, v3, v8
	v_mul_f32_e32 v8, v4, v8
	s_wait_loadcnt_dscnt 0x102
	v_dual_mul_f32 v160, v13, v10 :: v_dual_mul_f32 v5, v16, v12
	v_add_f32_e32 v32, v32, v161
	v_fmac_f32_e32 v157, v4, v7
	v_fma_f32 v2, v3, v7, -v8
	v_mul_f32_e32 v3, v14, v10
	s_delay_alu instid0(VALU_DEP_4) | instskip(NEXT) | instid1(VALU_DEP_3)
	v_dual_mul_f32 v161, v15, v12 :: v_dual_add_f32 v32, v32, v162
	v_dual_fmac_f32 v160, v14, v9 :: v_dual_add_f32 v1, v1, v2
	s_delay_alu instid0(VALU_DEP_3) | instskip(NEXT) | instid1(VALU_DEP_3)
	v_fma_f32 v3, v13, v9, -v3
	v_fmac_f32_e32 v161, v16, v11
	s_delay_alu instid0(VALU_DEP_4) | instskip(SKIP_3) | instid1(VALU_DEP_3)
	v_add_f32_e32 v4, v32, v165
	v_fma_f32 v5, v15, v11, -v5
	s_wait_dscnt 0x0
	v_dual_mul_f32 v162, v27, v26 :: v_dual_add_f32 v1, v1, v3
	v_add_f32_e32 v2, v4, v157
	s_delay_alu instid0(VALU_DEP_2) | instskip(NEXT) | instid1(VALU_DEP_3)
	v_fmac_f32_e32 v162, v28, v25
	v_add_f32_e32 v1, v1, v5
	s_delay_alu instid0(VALU_DEP_3) | instskip(SKIP_1) | instid1(VALU_DEP_1)
	v_dual_mul_f32 v5, v28, v26 :: v_dual_add_f32 v2, v2, v160
	s_wait_loadcnt 0x0
	v_dual_add_f32 v2, v2, v161 :: v_dual_mul_f32 v163, v21, v18
	v_mul_f32_e32 v4, v22, v18
	v_mul_f32_e32 v164, v23, v20
	;; [unrolled: 1-line block ×3, first 2 shown]
	s_delay_alu instid0(VALU_DEP_4) | instskip(NEXT) | instid1(VALU_DEP_4)
	v_fmac_f32_e32 v163, v22, v17
	v_fma_f32 v4, v21, v17, -v4
	s_delay_alu instid0(VALU_DEP_4) | instskip(NEXT) | instid1(VALU_DEP_4)
	v_fmac_f32_e32 v164, v24, v19
	v_fma_f32 v3, v23, v19, -v3
	s_delay_alu instid0(VALU_DEP_3) | instskip(SKIP_1) | instid1(VALU_DEP_2)
	v_dual_add_f32 v2, v2, v163 :: v_dual_add_f32 v1, v1, v4
	v_fma_f32 v4, v27, v25, -v5
	v_dual_add_f32 v2, v2, v164 :: v_dual_add_f32 v1, v1, v3
	s_delay_alu instid0(VALU_DEP_1) | instskip(NEXT) | instid1(VALU_DEP_1)
	v_dual_add_f32 v2, v2, v162 :: v_dual_add_f32 v1, v1, v4
	v_dual_sub_f32 v2, v31, v2 :: v_dual_sub_f32 v1, v30, v1
	scratch_store_b64 off, v[1:2], off offset:48
	v_cmpx_lt_u32_e32 5, v0
	s_cbranch_execz .LBB125_375
; %bb.374:
	scratch_load_b64 v[1:2], off, off offset:40
	v_mov_b32_e32 v30, v29
	scratch_store_b64 off, v[29:30], off offset:40
	s_wait_loadcnt 0x0
	ds_store_b64 v159, v[1:2]
.LBB125_375:
	s_wait_alu 0xfffe
	s_or_b32 exec_lo, exec_lo, s0
	s_wait_storecnt_dscnt 0x0
	s_barrier_signal -1
	s_barrier_wait -1
	global_inv scope:SCOPE_SE
	s_clause 0x4
	scratch_load_b128 v[5:8], off, off offset:48
	scratch_load_b128 v[1:4], off, off offset:64
	;; [unrolled: 1-line block ×5, first 2 shown]
	ds_load_b128 v[21:24], v29 offset:544
	ds_load_b128 v[25:28], v29 offset:560
	;; [unrolled: 1-line block ×3, first 2 shown]
	scratch_load_b64 v[30:31], off, off offset:40
	s_mov_b32 s0, exec_lo
	s_wait_loadcnt_dscnt 0x502
	v_dual_mul_f32 v32, v21, v6 :: v_dual_mul_f32 v157, v23, v8
	v_mul_f32_e32 v6, v22, v6
	v_mul_f32_e32 v8, v24, v8
	s_wait_loadcnt_dscnt 0x300
	v_mul_f32_e32 v158, v160, v10
	v_dual_fmac_f32 v32, v22, v5 :: v_dual_fmac_f32 v157, v24, v7
	v_fma_f32 v21, v21, v5, -v6
	v_fma_f32 v22, v23, v7, -v8
	ds_load_b128 v[5:8], v29 offset:592
	v_dual_mul_f32 v23, v25, v2 :: v_dual_mul_f32 v24, v27, v4
	v_mul_f32_e32 v4, v28, v4
	v_mul_f32_e32 v164, v162, v12
	;; [unrolled: 1-line block ×5, first 2 shown]
	v_dual_fmac_f32 v23, v26, v1 :: v_dual_fmac_f32 v24, v28, v3
	v_fma_f32 v26, v27, v3, -v4
	v_fmac_f32_e32 v158, v161, v9
	v_fmac_f32_e32 v164, v163, v11
	v_fma_f32 v27, v160, v9, -v10
	v_fma_f32 v28, v162, v11, -v12
	ds_load_b128 v[9:12], v29 offset:608
	s_wait_loadcnt_dscnt 0x201
	v_dual_mul_f32 v161, v7, v16 :: v_dual_mul_f32 v160, v5, v14
	v_mul_f32_e32 v14, v6, v14
	v_mul_f32_e32 v16, v8, v16
	s_delay_alu instid0(VALU_DEP_3)
	v_fmac_f32_e32 v161, v8, v15
	v_fma_f32 v25, v25, v1, -v2
	scratch_load_b128 v[1:4], off, off offset:128
	v_fmac_f32_e32 v160, v6, v13
	v_fma_f32 v13, v5, v13, -v14
	v_fma_f32 v14, v7, v15, -v16
	ds_load_b128 v[5:8], v29 offset:624
	s_wait_loadcnt_dscnt 0x201
	v_mul_f32_e32 v15, v9, v18
	v_mul_f32_e32 v16, v10, v18
	;; [unrolled: 1-line block ×3, first 2 shown]
	s_delay_alu instid0(VALU_DEP_3) | instskip(NEXT) | instid1(VALU_DEP_3)
	v_dual_mul_f32 v20, v12, v20 :: v_dual_fmac_f32 v15, v10, v17
	v_fma_f32 v16, v9, v17, -v16
	s_delay_alu instid0(VALU_DEP_3) | instskip(NEXT) | instid1(VALU_DEP_3)
	v_fmac_f32_e32 v18, v12, v19
	v_fma_f32 v17, v11, v19, -v20
	scratch_load_b128 v[9:12], off, off offset:144
	s_wait_loadcnt_dscnt 0x100
	v_mul_f32_e32 v19, v5, v2
	v_mul_f32_e32 v2, v6, v2
	;; [unrolled: 1-line block ×3, first 2 shown]
	s_delay_alu instid0(VALU_DEP_3) | instskip(NEXT) | instid1(VALU_DEP_3)
	v_dual_mul_f32 v4, v8, v4 :: v_dual_fmac_f32 v19, v6, v1
	v_fma_f32 v162, v5, v1, -v2
	s_delay_alu instid0(VALU_DEP_3) | instskip(NEXT) | instid1(VALU_DEP_3)
	v_fmac_f32_e32 v20, v8, v3
	v_fma_f32 v163, v7, v3, -v4
	ds_load_b128 v[1:4], v29 offset:640
	ds_load_b128 v[5:8], v29 offset:656
	s_wait_loadcnt_dscnt 0x1
	v_mul_f32_e32 v165, v1, v10
	v_mul_f32_e32 v10, v2, v10
	s_delay_alu instid0(VALU_DEP_2) | instskip(NEXT) | instid1(VALU_DEP_2)
	v_dual_mul_f32 v166, v3, v12 :: v_dual_fmac_f32 v165, v2, v9
	v_fma_f32 v167, v1, v9, -v10
	v_mul_f32_e32 v1, v4, v12
	s_delay_alu instid0(VALU_DEP_3) | instskip(NEXT) | instid1(VALU_DEP_2)
	v_fmac_f32_e32 v166, v4, v11
	v_fma_f32 v168, v3, v11, -v1
	s_clause 0x1
	scratch_load_b128 v[1:4], off, off offset:160
	scratch_load_b128 v[9:12], off, off offset:176
	s_wait_loadcnt_dscnt 0x100
	v_mul_f32_e32 v169, v5, v2
	v_dual_mul_f32 v2, v6, v2 :: v_dual_mul_f32 v171, v7, v4
	s_delay_alu instid0(VALU_DEP_2) | instskip(NEXT) | instid1(VALU_DEP_2)
	v_fmac_f32_e32 v169, v6, v1
	v_fma_f32 v170, v5, v1, -v2
	v_mul_f32_e32 v1, v8, v4
	s_delay_alu instid0(VALU_DEP_4) | instskip(NEXT) | instid1(VALU_DEP_2)
	v_fmac_f32_e32 v171, v8, v3
	v_fma_f32 v172, v7, v3, -v1
	ds_load_b128 v[1:4], v29 offset:672
	ds_load_b128 v[5:8], v29 offset:688
	s_wait_loadcnt_dscnt 0x1
	v_mul_f32_e32 v173, v1, v10
	v_mul_f32_e32 v175, v3, v12
	s_delay_alu instid0(VALU_DEP_2) | instskip(NEXT) | instid1(VALU_DEP_2)
	v_fmac_f32_e32 v173, v2, v9
	v_dual_mul_f32 v2, v2, v10 :: v_dual_fmac_f32 v175, v4, v11
	s_delay_alu instid0(VALU_DEP_1) | instskip(SKIP_1) | instid1(VALU_DEP_1)
	v_fma_f32 v174, v1, v9, -v2
	v_mul_f32_e32 v1, v4, v12
	v_fma_f32 v176, v3, v11, -v1
	s_clause 0x1
	scratch_load_b128 v[1:4], off, off offset:192
	scratch_load_b128 v[9:12], off, off offset:208
	s_wait_loadcnt_dscnt 0x100
	v_mul_f32_e32 v177, v5, v2
	v_dual_mul_f32 v2, v6, v2 :: v_dual_mul_f32 v179, v7, v4
	s_delay_alu instid0(VALU_DEP_2) | instskip(NEXT) | instid1(VALU_DEP_2)
	v_fmac_f32_e32 v177, v6, v1
	v_fma_f32 v178, v5, v1, -v2
	v_mul_f32_e32 v1, v8, v4
	s_delay_alu instid0(VALU_DEP_4) | instskip(NEXT) | instid1(VALU_DEP_2)
	v_fmac_f32_e32 v179, v8, v3
	v_fma_f32 v180, v7, v3, -v1
	ds_load_b128 v[1:4], v29 offset:704
	ds_load_b128 v[5:8], v29 offset:720
	s_wait_loadcnt_dscnt 0x1
	v_mul_f32_e32 v181, v1, v10
	v_mul_f32_e32 v183, v3, v12
	s_delay_alu instid0(VALU_DEP_2) | instskip(NEXT) | instid1(VALU_DEP_2)
	v_fmac_f32_e32 v181, v2, v9
	v_dual_mul_f32 v2, v2, v10 :: v_dual_fmac_f32 v183, v4, v11
	s_delay_alu instid0(VALU_DEP_1) | instskip(SKIP_1) | instid1(VALU_DEP_1)
	v_fma_f32 v182, v1, v9, -v2
	v_mul_f32_e32 v1, v4, v12
	;; [unrolled: 25-line block ×8, first 2 shown]
	v_fma_f32 v232, v3, v11, -v1
	s_clause 0x1
	scratch_load_b128 v[1:4], off, off offset:416
	scratch_load_b128 v[9:12], off, off offset:432
	s_wait_loadcnt_dscnt 0x100
	v_mul_f32_e32 v233, v5, v2
	v_mul_f32_e32 v2, v6, v2
	s_delay_alu instid0(VALU_DEP_2) | instskip(NEXT) | instid1(VALU_DEP_2)
	v_fmac_f32_e32 v233, v6, v1
	v_fma_f32 v234, v5, v1, -v2
	v_mul_f32_e32 v1, v8, v4
	v_add_f32_e32 v2, 0, v32
	s_delay_alu instid0(VALU_DEP_2) | instskip(SKIP_1) | instid1(VALU_DEP_1)
	v_fma_f32 v236, v7, v3, -v1
	v_add_f32_e32 v1, 0, v21
	v_dual_add_f32 v2, v2, v157 :: v_dual_add_f32 v1, v1, v22
	s_delay_alu instid0(VALU_DEP_1) | instskip(NEXT) | instid1(VALU_DEP_1)
	v_dual_add_f32 v2, v2, v23 :: v_dual_add_f32 v1, v1, v25
	v_dual_add_f32 v2, v2, v24 :: v_dual_add_f32 v1, v1, v26
	s_delay_alu instid0(VALU_DEP_1) | instskip(NEXT) | instid1(VALU_DEP_1)
	v_dual_add_f32 v2, v2, v158 :: v_dual_add_f32 v1, v1, v27
	v_add_f32_e32 v2, v2, v164
	s_delay_alu instid0(VALU_DEP_2) | instskip(NEXT) | instid1(VALU_DEP_1)
	v_add_f32_e32 v1, v1, v28
	v_dual_add_f32 v2, v2, v160 :: v_dual_add_f32 v1, v1, v13
	s_delay_alu instid0(VALU_DEP_1) | instskip(NEXT) | instid1(VALU_DEP_1)
	v_dual_add_f32 v2, v2, v161 :: v_dual_add_f32 v1, v1, v14
	v_dual_add_f32 v2, v2, v15 :: v_dual_add_f32 v1, v1, v16
	s_delay_alu instid0(VALU_DEP_1) | instskip(NEXT) | instid1(VALU_DEP_1)
	v_dual_add_f32 v2, v2, v18 :: v_dual_add_f32 v1, v1, v17
	;; [unrolled: 3-line block ×8, first 2 shown]
	v_add_f32_e32 v1, v1, v186
	s_delay_alu instid0(VALU_DEP_1) | instskip(NEXT) | instid1(VALU_DEP_1)
	v_add_f32_e32 v1, v1, v188
	v_add_f32_e32 v1, v1, v190
	s_delay_alu instid0(VALU_DEP_1) | instskip(NEXT) | instid1(VALU_DEP_1)
	v_add_f32_e32 v1, v1, v192
	;; [unrolled: 3-line block ×5, first 2 shown]
	v_add_f32_e32 v1, v1, v206
	s_delay_alu instid0(VALU_DEP_1) | instskip(SKIP_1) | instid1(VALU_DEP_2)
	v_add_f32_e32 v6, v1, v208
	v_add_f32_e32 v2, v2, v185
	v_add_f32_e32 v6, v6, v210
	s_delay_alu instid0(VALU_DEP_2) | instskip(NEXT) | instid1(VALU_DEP_2)
	v_add_f32_e32 v2, v2, v187
	v_add_f32_e32 v13, v6, v212
	s_delay_alu instid0(VALU_DEP_1) | instskip(NEXT) | instid1(VALU_DEP_1)
	v_dual_add_f32 v2, v2, v189 :: v_dual_add_f32 v13, v13, v214
	v_dual_add_f32 v2, v2, v191 :: v_dual_add_f32 v13, v13, v216
	s_delay_alu instid0(VALU_DEP_1) | instskip(NEXT) | instid1(VALU_DEP_1)
	v_dual_add_f32 v2, v2, v193 :: v_dual_add_f32 v13, v13, v218
	v_add_f32_e32 v2, v2, v195
	s_delay_alu instid0(VALU_DEP_2) | instskip(NEXT) | instid1(VALU_DEP_2)
	v_add_f32_e32 v18, v13, v220
	v_dual_add_f32 v2, v2, v197 :: v_dual_mul_f32 v235, v7, v4
	s_delay_alu instid0(VALU_DEP_2) | instskip(NEXT) | instid1(VALU_DEP_2)
	v_add_f32_e32 v18, v18, v222
	v_add_f32_e32 v2, v2, v199
	s_delay_alu instid0(VALU_DEP_2) | instskip(NEXT) | instid1(VALU_DEP_2)
	v_dual_fmac_f32 v235, v8, v3 :: v_dual_add_f32 v18, v18, v224
	v_add_f32_e32 v2, v2, v201
	s_delay_alu instid0(VALU_DEP_2) | instskip(NEXT) | instid1(VALU_DEP_2)
	v_add_f32_e32 v21, v18, v226
	v_add_f32_e32 v2, v2, v203
	s_delay_alu instid0(VALU_DEP_1) | instskip(SKIP_2) | instid1(VALU_DEP_1)
	v_dual_add_f32 v32, v21, v228 :: v_dual_add_f32 v5, v2, v205
	ds_load_b128 v[1:4], v29 offset:928
	v_add_f32_e32 v5, v5, v207
	v_add_f32_e32 v5, v5, v209
	s_delay_alu instid0(VALU_DEP_1)
	v_add_f32_e32 v14, v5, v211
	ds_load_b128 v[5:8], v29 offset:944
	s_wait_loadcnt_dscnt 0x1
	v_dual_add_f32 v14, v14, v213 :: v_dual_mul_f32 v25, v1, v10
	v_mul_f32_e32 v26, v3, v12
	v_mul_f32_e32 v10, v2, v10
	;; [unrolled: 1-line block ×3, first 2 shown]
	s_delay_alu instid0(VALU_DEP_4) | instskip(NEXT) | instid1(VALU_DEP_4)
	v_add_f32_e32 v14, v14, v215
	v_dual_fmac_f32 v25, v2, v9 :: v_dual_fmac_f32 v26, v4, v11
	s_delay_alu instid0(VALU_DEP_4) | instskip(NEXT) | instid1(VALU_DEP_4)
	v_fma_f32 v27, v1, v9, -v10
	v_fma_f32 v28, v3, v11, -v12
	s_clause 0x1
	scratch_load_b128 v[1:4], off, off offset:448
	scratch_load_b128 v[9:12], off, off offset:464
	s_wait_loadcnt_dscnt 0x100
	v_dual_mul_f32 v158, v7, v4 :: v_dual_add_f32 v17, v14, v217
	scratch_load_b128 v[13:16], off, off offset:480
	v_mul_f32_e32 v4, v8, v4
	v_fmac_f32_e32 v158, v8, v3
	v_add_f32_e32 v17, v17, v219
	s_delay_alu instid0(VALU_DEP_3) | instskip(NEXT) | instid1(VALU_DEP_2)
	v_fma_f32 v3, v7, v3, -v4
	v_add_f32_e32 v17, v17, v221
	s_delay_alu instid0(VALU_DEP_1) | instskip(NEXT) | instid1(VALU_DEP_1)
	v_add_f32_e32 v17, v17, v223
	v_add_f32_e32 v22, v17, v225
	ds_load_b128 v[17:20], v29 offset:960
	v_add_f32_e32 v157, v22, v227
	ds_load_b128 v[21:24], v29 offset:976
	v_add_f32_e32 v29, v32, v230
	s_delay_alu instid0(VALU_DEP_1) | instskip(NEXT) | instid1(VALU_DEP_1)
	v_add_f32_e32 v29, v29, v232
	v_add_f32_e32 v29, v29, v234
	s_wait_loadcnt_dscnt 0x101
	v_mul_f32_e32 v160, v17, v10
	s_delay_alu instid0(VALU_DEP_2) | instskip(SKIP_2) | instid1(VALU_DEP_3)
	v_add_f32_e32 v29, v29, v236
	v_mul_f32_e32 v161, v19, v12
	v_mul_f32_e32 v4, v20, v12
	v_dual_fmac_f32 v160, v18, v9 :: v_dual_add_f32 v27, v29, v27
	s_delay_alu instid0(VALU_DEP_3) | instskip(NEXT) | instid1(VALU_DEP_3)
	v_fmac_f32_e32 v161, v20, v11
	v_fma_f32 v4, v19, v11, -v4
	s_wait_loadcnt_dscnt 0x0
	v_mul_f32_e32 v162, v21, v14
	v_add_f32_e32 v32, v157, v229
	v_mul_f32_e32 v157, v5, v2
	v_dual_mul_f32 v2, v6, v2 :: v_dual_mul_f32 v29, v23, v16
	s_delay_alu instid0(VALU_DEP_4) | instskip(NEXT) | instid1(VALU_DEP_3)
	v_fmac_f32_e32 v162, v22, v13
	v_dual_add_f32 v32, v32, v231 :: v_dual_fmac_f32 v157, v6, v1
	s_delay_alu instid0(VALU_DEP_3) | instskip(SKIP_1) | instid1(VALU_DEP_3)
	v_fma_f32 v2, v5, v1, -v2
	v_dual_add_f32 v1, v27, v28 :: v_dual_mul_f32 v6, v18, v10
	v_add_f32_e32 v32, v32, v233
	v_fmac_f32_e32 v29, v24, v15
	s_delay_alu instid0(VALU_DEP_2) | instskip(NEXT) | instid1(VALU_DEP_1)
	v_dual_add_f32 v1, v1, v2 :: v_dual_add_f32 v32, v32, v235
	v_add_f32_e32 v1, v1, v3
	v_mul_f32_e32 v3, v22, v14
	s_delay_alu instid0(VALU_DEP_3) | instskip(NEXT) | instid1(VALU_DEP_2)
	v_add_f32_e32 v25, v32, v25
	v_fma_f32 v3, v21, v13, -v3
	s_delay_alu instid0(VALU_DEP_2) | instskip(NEXT) | instid1(VALU_DEP_1)
	v_add_f32_e32 v5, v25, v26
	v_add_f32_e32 v2, v5, v157
	v_fma_f32 v5, v17, v9, -v6
	s_delay_alu instid0(VALU_DEP_1) | instskip(SKIP_1) | instid1(VALU_DEP_2)
	v_dual_add_f32 v2, v2, v158 :: v_dual_add_f32 v1, v1, v5
	v_mul_f32_e32 v5, v24, v16
	v_add_f32_e32 v2, v2, v160
	s_delay_alu instid0(VALU_DEP_3) | instskip(NEXT) | instid1(VALU_DEP_3)
	v_add_f32_e32 v1, v1, v4
	v_fma_f32 v4, v23, v15, -v5
	s_delay_alu instid0(VALU_DEP_2) | instskip(NEXT) | instid1(VALU_DEP_1)
	v_dual_add_f32 v2, v2, v161 :: v_dual_add_f32 v1, v1, v3
	v_dual_add_f32 v2, v2, v162 :: v_dual_add_f32 v1, v1, v4
	s_delay_alu instid0(VALU_DEP_1) | instskip(NEXT) | instid1(VALU_DEP_1)
	v_add_f32_e32 v2, v2, v29
	v_dual_sub_f32 v1, v30, v1 :: v_dual_sub_f32 v2, v31, v2
	scratch_store_b64 off, v[1:2], off offset:40
	v_cmpx_lt_u32_e32 4, v0
	s_cbranch_execz .LBB125_377
; %bb.376:
	scratch_load_b64 v[1:2], off, off offset:32
	v_mov_b32_e32 v3, 0
	s_delay_alu instid0(VALU_DEP_1)
	v_mov_b32_e32 v4, v3
	scratch_store_b64 off, v[3:4], off offset:32
	s_wait_loadcnt 0x0
	ds_store_b64 v159, v[1:2]
.LBB125_377:
	s_wait_alu 0xfffe
	s_or_b32 exec_lo, exec_lo, s0
	s_wait_storecnt_dscnt 0x0
	s_barrier_signal -1
	s_barrier_wait -1
	global_inv scope:SCOPE_SE
	s_clause 0x4
	scratch_load_b128 v[5:8], off, off offset:40
	scratch_load_b128 v[1:4], off, off offset:56
	;; [unrolled: 1-line block ×5, first 2 shown]
	v_mov_b32_e32 v157, 0
	ds_load_2addr_b64 v[21:24], v157 offset0:67 offset1:68
	ds_load_2addr_b64 v[25:28], v157 offset0:69 offset1:70
	;; [unrolled: 1-line block ×3, first 2 shown]
	scratch_load_b64 v[160:161], off, off offset:32
	s_mov_b32 s0, exec_lo
	s_wait_loadcnt_dscnt 0x502
	v_mul_f32_e32 v158, v21, v6
	v_mul_f32_e32 v162, v23, v8
	;; [unrolled: 1-line block ×3, first 2 shown]
	s_wait_loadcnt_dscnt 0x300
	v_dual_mul_f32 v8, v24, v8 :: v_dual_mul_f32 v163, v29, v10
	v_fmac_f32_e32 v158, v22, v5
	v_mul_f32_e32 v164, v31, v12
	v_fma_f32 v21, v21, v5, -v6
	s_delay_alu instid0(VALU_DEP_4)
	v_fma_f32 v22, v23, v7, -v8
	v_dual_mul_f32 v23, v25, v2 :: v_dual_fmac_f32 v162, v24, v7
	ds_load_2addr_b64 v[5:8], v157 offset0:73 offset1:74
	v_dual_mul_f32 v24, v27, v4 :: v_dual_fmac_f32 v163, v30, v9
	v_mul_f32_e32 v2, v26, v2
	v_mul_f32_e32 v4, v28, v4
	;; [unrolled: 1-line block ×3, first 2 shown]
	s_delay_alu instid0(VALU_DEP_4) | instskip(NEXT) | instid1(VALU_DEP_4)
	v_dual_fmac_f32 v23, v26, v1 :: v_dual_fmac_f32 v24, v28, v3
	v_fma_f32 v25, v25, v1, -v2
	s_delay_alu instid0(VALU_DEP_4) | instskip(SKIP_4) | instid1(VALU_DEP_3)
	v_fma_f32 v26, v27, v3, -v4
	scratch_load_b128 v[1:4], off, off offset:120
	v_mul_f32_e32 v12, v32, v12
	v_fmac_f32_e32 v164, v32, v11
	v_fma_f32 v27, v29, v9, -v10
	v_fma_f32 v28, v31, v11, -v12
	ds_load_2addr_b64 v[9:12], v157 offset0:75 offset1:76
	s_wait_loadcnt_dscnt 0x301
	v_dual_mul_f32 v29, v5, v14 :: v_dual_mul_f32 v30, v7, v16
	v_mul_f32_e32 v14, v6, v14
	s_delay_alu instid0(VALU_DEP_2) | instskip(NEXT) | instid1(VALU_DEP_3)
	v_dual_mul_f32 v16, v8, v16 :: v_dual_fmac_f32 v29, v6, v13
	v_fmac_f32_e32 v30, v8, v15
	s_delay_alu instid0(VALU_DEP_3) | instskip(NEXT) | instid1(VALU_DEP_3)
	v_fma_f32 v13, v5, v13, -v14
	v_fma_f32 v14, v7, v15, -v16
	ds_load_2addr_b64 v[5:8], v157 offset0:77 offset1:78
	s_wait_loadcnt_dscnt 0x201
	v_dual_mul_f32 v15, v9, v18 :: v_dual_mul_f32 v16, v11, v20
	v_mul_f32_e32 v18, v10, v18
	s_delay_alu instid0(VALU_DEP_2) | instskip(NEXT) | instid1(VALU_DEP_3)
	v_dual_mul_f32 v20, v12, v20 :: v_dual_fmac_f32 v15, v10, v17
	v_fmac_f32_e32 v16, v12, v19
	s_delay_alu instid0(VALU_DEP_3) | instskip(NEXT) | instid1(VALU_DEP_3)
	v_fma_f32 v17, v9, v17, -v18
	v_fma_f32 v18, v11, v19, -v20
	scratch_load_b128 v[9:12], off, off offset:136
	s_wait_loadcnt_dscnt 0x100
	v_mul_f32_e32 v19, v5, v2
	v_mul_f32_e32 v2, v6, v2
	;; [unrolled: 1-line block ×3, first 2 shown]
	s_delay_alu instid0(VALU_DEP_3) | instskip(NEXT) | instid1(VALU_DEP_3)
	v_dual_mul_f32 v4, v8, v4 :: v_dual_fmac_f32 v19, v6, v1
	v_fma_f32 v31, v5, v1, -v2
	s_delay_alu instid0(VALU_DEP_3) | instskip(NEXT) | instid1(VALU_DEP_3)
	v_fmac_f32_e32 v20, v8, v3
	v_fma_f32 v32, v7, v3, -v4
	ds_load_2addr_b64 v[1:4], v157 offset0:79 offset1:80
	ds_load_2addr_b64 v[5:8], v157 offset0:81 offset1:82
	s_wait_loadcnt_dscnt 0x1
	v_mul_f32_e32 v165, v1, v10
	v_mul_f32_e32 v10, v2, v10
	s_delay_alu instid0(VALU_DEP_2) | instskip(NEXT) | instid1(VALU_DEP_2)
	v_dual_mul_f32 v166, v3, v12 :: v_dual_fmac_f32 v165, v2, v9
	v_fma_f32 v167, v1, v9, -v10
	v_mul_f32_e32 v1, v4, v12
	s_delay_alu instid0(VALU_DEP_3) | instskip(NEXT) | instid1(VALU_DEP_2)
	v_fmac_f32_e32 v166, v4, v11
	v_fma_f32 v168, v3, v11, -v1
	s_clause 0x1
	scratch_load_b128 v[1:4], off, off offset:152
	scratch_load_b128 v[9:12], off, off offset:168
	s_wait_loadcnt_dscnt 0x100
	v_mul_f32_e32 v169, v5, v2
	v_dual_mul_f32 v2, v6, v2 :: v_dual_mul_f32 v171, v7, v4
	s_delay_alu instid0(VALU_DEP_2) | instskip(NEXT) | instid1(VALU_DEP_2)
	v_fmac_f32_e32 v169, v6, v1
	v_fma_f32 v170, v5, v1, -v2
	v_mul_f32_e32 v1, v8, v4
	s_delay_alu instid0(VALU_DEP_4) | instskip(NEXT) | instid1(VALU_DEP_2)
	v_fmac_f32_e32 v171, v8, v3
	v_fma_f32 v172, v7, v3, -v1
	ds_load_2addr_b64 v[1:4], v157 offset0:83 offset1:84
	ds_load_2addr_b64 v[5:8], v157 offset0:85 offset1:86
	s_wait_loadcnt_dscnt 0x1
	v_mul_f32_e32 v173, v1, v10
	v_mul_f32_e32 v175, v3, v12
	s_delay_alu instid0(VALU_DEP_2) | instskip(NEXT) | instid1(VALU_DEP_2)
	v_fmac_f32_e32 v173, v2, v9
	v_dual_mul_f32 v2, v2, v10 :: v_dual_fmac_f32 v175, v4, v11
	s_delay_alu instid0(VALU_DEP_1) | instskip(SKIP_1) | instid1(VALU_DEP_1)
	v_fma_f32 v174, v1, v9, -v2
	v_mul_f32_e32 v1, v4, v12
	v_fma_f32 v176, v3, v11, -v1
	s_clause 0x1
	scratch_load_b128 v[1:4], off, off offset:184
	scratch_load_b128 v[9:12], off, off offset:200
	s_wait_loadcnt_dscnt 0x100
	v_mul_f32_e32 v177, v5, v2
	v_dual_mul_f32 v2, v6, v2 :: v_dual_mul_f32 v179, v7, v4
	s_delay_alu instid0(VALU_DEP_2) | instskip(NEXT) | instid1(VALU_DEP_2)
	v_fmac_f32_e32 v177, v6, v1
	v_fma_f32 v178, v5, v1, -v2
	v_mul_f32_e32 v1, v8, v4
	s_delay_alu instid0(VALU_DEP_4) | instskip(NEXT) | instid1(VALU_DEP_2)
	v_fmac_f32_e32 v179, v8, v3
	v_fma_f32 v180, v7, v3, -v1
	ds_load_2addr_b64 v[1:4], v157 offset0:87 offset1:88
	ds_load_2addr_b64 v[5:8], v157 offset0:89 offset1:90
	s_wait_loadcnt_dscnt 0x1
	v_mul_f32_e32 v181, v1, v10
	v_mul_f32_e32 v183, v3, v12
	s_delay_alu instid0(VALU_DEP_2) | instskip(NEXT) | instid1(VALU_DEP_2)
	v_fmac_f32_e32 v181, v2, v9
	v_dual_mul_f32 v2, v2, v10 :: v_dual_fmac_f32 v183, v4, v11
	s_delay_alu instid0(VALU_DEP_1) | instskip(SKIP_1) | instid1(VALU_DEP_1)
	v_fma_f32 v182, v1, v9, -v2
	v_mul_f32_e32 v1, v4, v12
	;; [unrolled: 25-line block ×8, first 2 shown]
	v_fma_f32 v232, v3, v11, -v1
	s_clause 0x1
	scratch_load_b128 v[1:4], off, off offset:408
	scratch_load_b128 v[9:12], off, off offset:424
	s_wait_loadcnt_dscnt 0x100
	v_mul_f32_e32 v233, v5, v2
	v_mul_f32_e32 v2, v6, v2
	s_delay_alu instid0(VALU_DEP_2) | instskip(NEXT) | instid1(VALU_DEP_2)
	v_fmac_f32_e32 v233, v6, v1
	v_fma_f32 v234, v5, v1, -v2
	v_dual_mul_f32 v1, v8, v4 :: v_dual_add_f32 v2, 0, v158
	s_delay_alu instid0(VALU_DEP_1) | instskip(NEXT) | instid1(VALU_DEP_2)
	v_fma_f32 v236, v7, v3, -v1
	v_dual_add_f32 v1, 0, v21 :: v_dual_add_f32 v2, v2, v162
	s_delay_alu instid0(VALU_DEP_1) | instskip(NEXT) | instid1(VALU_DEP_1)
	v_dual_add_f32 v1, v1, v22 :: v_dual_add_f32 v2, v2, v23
	v_dual_add_f32 v1, v1, v25 :: v_dual_add_f32 v2, v2, v24
	s_delay_alu instid0(VALU_DEP_1) | instskip(SKIP_2) | instid1(VALU_DEP_1)
	v_dual_add_f32 v1, v1, v26 :: v_dual_add_f32 v2, v2, v163
	scratch_load_b64 v[25:26], off, off offset:488
	v_dual_add_f32 v1, v1, v27 :: v_dual_add_f32 v2, v2, v164
	v_dual_add_f32 v1, v1, v28 :: v_dual_add_f32 v2, v2, v29
	s_delay_alu instid0(VALU_DEP_1) | instskip(NEXT) | instid1(VALU_DEP_1)
	v_dual_add_f32 v1, v1, v13 :: v_dual_add_f32 v2, v2, v30
	v_dual_add_f32 v1, v1, v14 :: v_dual_add_f32 v2, v2, v15
	s_delay_alu instid0(VALU_DEP_1) | instskip(NEXT) | instid1(VALU_DEP_1)
	;; [unrolled: 3-line block ×8, first 2 shown]
	v_dual_add_f32 v1, v1, v182 :: v_dual_add_f32 v2, v2, v183
	v_add_f32_e32 v1, v1, v184
	s_delay_alu instid0(VALU_DEP_1) | instskip(NEXT) | instid1(VALU_DEP_1)
	v_add_f32_e32 v1, v1, v186
	v_add_f32_e32 v1, v1, v188
	s_delay_alu instid0(VALU_DEP_1) | instskip(NEXT) | instid1(VALU_DEP_1)
	v_add_f32_e32 v1, v1, v190
	;; [unrolled: 3-line block ×6, first 2 shown]
	v_add_f32_e32 v6, v1, v208
	v_add_f32_e32 v2, v2, v185
	s_delay_alu instid0(VALU_DEP_2) | instskip(NEXT) | instid1(VALU_DEP_2)
	v_add_f32_e32 v6, v6, v210
	v_add_f32_e32 v2, v2, v187
	s_delay_alu instid0(VALU_DEP_2) | instskip(NEXT) | instid1(VALU_DEP_1)
	v_add_f32_e32 v13, v6, v212
	v_dual_add_f32 v2, v2, v189 :: v_dual_add_f32 v13, v13, v214
	s_delay_alu instid0(VALU_DEP_1) | instskip(NEXT) | instid1(VALU_DEP_1)
	v_dual_add_f32 v2, v2, v191 :: v_dual_add_f32 v13, v13, v216
	v_dual_add_f32 v2, v2, v193 :: v_dual_add_f32 v13, v13, v218
	s_delay_alu instid0(VALU_DEP_1) | instskip(NEXT) | instid1(VALU_DEP_2)
	v_add_f32_e32 v2, v2, v195
	v_add_f32_e32 v18, v13, v220
	s_delay_alu instid0(VALU_DEP_2) | instskip(NEXT) | instid1(VALU_DEP_2)
	v_dual_add_f32 v2, v2, v197 :: v_dual_mul_f32 v235, v7, v4
	v_add_f32_e32 v18, v18, v222
	s_delay_alu instid0(VALU_DEP_2) | instskip(NEXT) | instid1(VALU_DEP_2)
	v_add_f32_e32 v2, v2, v199
	v_add_f32_e32 v18, v18, v224
	s_delay_alu instid0(VALU_DEP_2) | instskip(NEXT) | instid1(VALU_DEP_2)
	v_dual_add_f32 v2, v2, v201 :: v_dual_fmac_f32 v235, v8, v3
	v_add_f32_e32 v18, v18, v226
	s_delay_alu instid0(VALU_DEP_2) | instskip(NEXT) | instid1(VALU_DEP_2)
	v_add_f32_e32 v2, v2, v203
	v_add_f32_e32 v18, v18, v228
	s_delay_alu instid0(VALU_DEP_2) | instskip(SKIP_2) | instid1(VALU_DEP_1)
	v_add_f32_e32 v5, v2, v205
	ds_load_2addr_b64 v[1:4], v157 offset0:115 offset1:116
	v_add_f32_e32 v27, v18, v230
	v_dual_add_f32 v5, v5, v207 :: v_dual_add_f32 v158, v27, v232
	s_delay_alu instid0(VALU_DEP_1) | instskip(NEXT) | instid1(VALU_DEP_1)
	v_dual_add_f32 v5, v5, v209 :: v_dual_add_f32 v158, v158, v234
	v_add_f32_e32 v14, v5, v211
	ds_load_2addr_b64 v[5:8], v157 offset0:117 offset1:118
	v_add_f32_e32 v158, v158, v236
	s_wait_loadcnt_dscnt 0x101
	v_dual_add_f32 v14, v14, v213 :: v_dual_mul_f32 v29, v1, v10
	v_mul_f32_e32 v10, v2, v10
	v_mul_f32_e32 v30, v3, v12
	;; [unrolled: 1-line block ×3, first 2 shown]
	s_delay_alu instid0(VALU_DEP_4)
	v_add_f32_e32 v14, v14, v215
	v_fmac_f32_e32 v29, v2, v9
	v_fma_f32 v31, v1, v9, -v10
	v_fmac_f32_e32 v30, v4, v11
	v_fma_f32 v32, v3, v11, -v12
	s_clause 0x1
	scratch_load_b128 v[1:4], off, off offset:440
	scratch_load_b128 v[9:12], off, off offset:456
	v_add_f32_e32 v31, v158, v31
	s_delay_alu instid0(VALU_DEP_1)
	v_add_f32_e32 v31, v31, v32
	s_wait_loadcnt_dscnt 0x100
	v_dual_mul_f32 v164, v7, v4 :: v_dual_add_f32 v17, v14, v217
	scratch_load_b128 v[13:16], off, off offset:472
	v_dual_mul_f32 v4, v8, v4 :: v_dual_mul_f32 v163, v5, v2
	v_dual_mul_f32 v2, v6, v2 :: v_dual_add_f32 v17, v17, v219
	s_delay_alu instid0(VALU_DEP_2) | instskip(NEXT) | instid1(VALU_DEP_2)
	v_dual_fmac_f32 v164, v8, v3 :: v_dual_fmac_f32 v163, v6, v1
	v_fma_f32 v2, v5, v1, -v2
	s_delay_alu instid0(VALU_DEP_3) | instskip(SKIP_1) | instid1(VALU_DEP_2)
	v_add_f32_e32 v17, v17, v221
	v_fma_f32 v1, v7, v3, -v4
	v_dual_add_f32 v2, v31, v2 :: v_dual_add_f32 v17, v17, v223
	s_delay_alu instid0(VALU_DEP_1) | instskip(NEXT) | instid1(VALU_DEP_2)
	v_add_f32_e32 v1, v2, v1
	v_add_f32_e32 v17, v17, v225
	s_delay_alu instid0(VALU_DEP_1)
	v_add_f32_e32 v21, v17, v227
	ds_load_2addr_b64 v[17:20], v157 offset0:119 offset1:120
	v_add_f32_e32 v28, v21, v229
	ds_load_2addr_b64 v[21:24], v157 offset0:121 offset1:122
	v_add_f32_e32 v162, v28, v231
	ds_load_b64 v[27:28], v157 offset:984
	s_wait_loadcnt_dscnt 0x102
	v_mul_f32_e32 v158, v17, v10
	v_mul_f32_e32 v3, v18, v10
	s_delay_alu instid0(VALU_DEP_2) | instskip(NEXT) | instid1(VALU_DEP_2)
	v_dual_mul_f32 v5, v20, v12 :: v_dual_fmac_f32 v158, v18, v9
	v_fma_f32 v3, v17, v9, -v3
	s_delay_alu instid0(VALU_DEP_2) | instskip(NEXT) | instid1(VALU_DEP_2)
	v_fma_f32 v5, v19, v11, -v5
	v_add_f32_e32 v1, v1, v3
	s_delay_alu instid0(VALU_DEP_1) | instskip(SKIP_4) | instid1(VALU_DEP_3)
	v_add_f32_e32 v1, v1, v5
	s_wait_loadcnt_dscnt 0x0
	v_dual_mul_f32 v5, v28, v26 :: v_dual_mul_f32 v32, v23, v16
	v_dual_add_f32 v162, v162, v233 :: v_dual_mul_f32 v165, v21, v14
	v_mul_f32_e32 v3, v24, v16
	v_fmac_f32_e32 v32, v24, v15
	s_delay_alu instid0(VALU_DEP_3) | instskip(NEXT) | instid1(VALU_DEP_4)
	v_add_f32_e32 v162, v162, v235
	v_fmac_f32_e32 v165, v22, v13
	s_delay_alu instid0(VALU_DEP_4) | instskip(NEXT) | instid1(VALU_DEP_3)
	v_fma_f32 v3, v23, v15, -v3
	v_dual_add_f32 v29, v162, v29 :: v_dual_mul_f32 v162, v19, v12
	s_delay_alu instid0(VALU_DEP_1) | instskip(SKIP_1) | instid1(VALU_DEP_2)
	v_dual_add_f32 v29, v29, v30 :: v_dual_fmac_f32 v162, v20, v11
	v_mul_f32_e32 v30, v27, v26
	v_add_f32_e32 v4, v29, v163
	s_delay_alu instid0(VALU_DEP_2) | instskip(NEXT) | instid1(VALU_DEP_2)
	v_fmac_f32_e32 v30, v28, v25
	v_add_f32_e32 v2, v4, v164
	v_mul_f32_e32 v4, v22, v14
	s_delay_alu instid0(VALU_DEP_2) | instskip(NEXT) | instid1(VALU_DEP_2)
	v_add_f32_e32 v2, v2, v158
	v_fma_f32 v4, v21, v13, -v4
	s_delay_alu instid0(VALU_DEP_1) | instskip(SKIP_1) | instid1(VALU_DEP_2)
	v_dual_add_f32 v2, v2, v162 :: v_dual_add_f32 v1, v1, v4
	v_fma_f32 v4, v27, v25, -v5
	v_dual_add_f32 v2, v2, v165 :: v_dual_add_f32 v1, v1, v3
	s_delay_alu instid0(VALU_DEP_1) | instskip(NEXT) | instid1(VALU_DEP_1)
	v_add_f32_e32 v2, v2, v32
	v_dual_add_f32 v1, v1, v4 :: v_dual_add_f32 v2, v2, v30
	s_delay_alu instid0(VALU_DEP_1)
	v_dual_sub_f32 v1, v160, v1 :: v_dual_sub_f32 v2, v161, v2
	scratch_store_b64 off, v[1:2], off offset:32
	v_cmpx_lt_u32_e32 3, v0
	s_cbranch_execz .LBB125_379
; %bb.378:
	scratch_load_b64 v[1:2], off, off offset:24
	v_mov_b32_e32 v158, v157
	scratch_store_b64 off, v[157:158], off offset:24
	s_wait_loadcnt 0x0
	ds_store_b64 v159, v[1:2]
.LBB125_379:
	s_wait_alu 0xfffe
	s_or_b32 exec_lo, exec_lo, s0
	s_wait_storecnt_dscnt 0x0
	s_barrier_signal -1
	s_barrier_wait -1
	global_inv scope:SCOPE_SE
	s_clause 0x4
	scratch_load_b128 v[5:8], off, off offset:32
	scratch_load_b128 v[1:4], off, off offset:48
	;; [unrolled: 1-line block ×5, first 2 shown]
	ds_load_b128 v[21:24], v157 offset:528
	ds_load_b128 v[25:28], v157 offset:544
	;; [unrolled: 1-line block ×3, first 2 shown]
	scratch_load_b64 v[160:161], off, off offset:24
	s_mov_b32 s0, exec_lo
	s_wait_loadcnt_dscnt 0x502
	v_mul_f32_e32 v158, v21, v6
	v_mul_f32_e32 v162, v23, v8
	;; [unrolled: 1-line block ×3, first 2 shown]
	s_wait_loadcnt_dscnt 0x300
	v_dual_mul_f32 v8, v24, v8 :: v_dual_mul_f32 v163, v29, v10
	v_fmac_f32_e32 v158, v22, v5
	v_mul_f32_e32 v164, v31, v12
	v_fma_f32 v21, v21, v5, -v6
	s_delay_alu instid0(VALU_DEP_4)
	v_fma_f32 v22, v23, v7, -v8
	v_dual_mul_f32 v23, v25, v2 :: v_dual_fmac_f32 v162, v24, v7
	v_fmac_f32_e32 v163, v30, v9
	ds_load_b128 v[5:8], v157 offset:576
	v_mul_f32_e32 v24, v27, v4
	v_mul_f32_e32 v2, v26, v2
	;; [unrolled: 1-line block ×4, first 2 shown]
	s_delay_alu instid0(VALU_DEP_4) | instskip(NEXT) | instid1(VALU_DEP_4)
	v_dual_fmac_f32 v23, v26, v1 :: v_dual_fmac_f32 v24, v28, v3
	v_fma_f32 v25, v25, v1, -v2
	s_delay_alu instid0(VALU_DEP_4) | instskip(SKIP_4) | instid1(VALU_DEP_3)
	v_fma_f32 v26, v27, v3, -v4
	scratch_load_b128 v[1:4], off, off offset:112
	v_mul_f32_e32 v12, v32, v12
	v_fmac_f32_e32 v164, v32, v11
	v_fma_f32 v27, v29, v9, -v10
	v_fma_f32 v28, v31, v11, -v12
	ds_load_b128 v[9:12], v157 offset:592
	s_wait_loadcnt_dscnt 0x301
	v_dual_mul_f32 v29, v5, v14 :: v_dual_mul_f32 v30, v7, v16
	v_mul_f32_e32 v14, v6, v14
	s_delay_alu instid0(VALU_DEP_2) | instskip(NEXT) | instid1(VALU_DEP_3)
	v_dual_mul_f32 v16, v8, v16 :: v_dual_fmac_f32 v29, v6, v13
	v_fmac_f32_e32 v30, v8, v15
	s_delay_alu instid0(VALU_DEP_3) | instskip(NEXT) | instid1(VALU_DEP_3)
	v_fma_f32 v13, v5, v13, -v14
	v_fma_f32 v14, v7, v15, -v16
	ds_load_b128 v[5:8], v157 offset:608
	s_wait_loadcnt_dscnt 0x201
	v_dual_mul_f32 v15, v9, v18 :: v_dual_mul_f32 v16, v11, v20
	v_mul_f32_e32 v18, v10, v18
	s_delay_alu instid0(VALU_DEP_2) | instskip(NEXT) | instid1(VALU_DEP_3)
	v_dual_mul_f32 v20, v12, v20 :: v_dual_fmac_f32 v15, v10, v17
	v_fmac_f32_e32 v16, v12, v19
	s_delay_alu instid0(VALU_DEP_3) | instskip(NEXT) | instid1(VALU_DEP_3)
	v_fma_f32 v17, v9, v17, -v18
	v_fma_f32 v18, v11, v19, -v20
	scratch_load_b128 v[9:12], off, off offset:128
	s_wait_loadcnt_dscnt 0x100
	v_mul_f32_e32 v19, v5, v2
	v_mul_f32_e32 v2, v6, v2
	;; [unrolled: 1-line block ×3, first 2 shown]
	s_delay_alu instid0(VALU_DEP_3) | instskip(NEXT) | instid1(VALU_DEP_3)
	v_dual_mul_f32 v4, v8, v4 :: v_dual_fmac_f32 v19, v6, v1
	v_fma_f32 v31, v5, v1, -v2
	s_delay_alu instid0(VALU_DEP_3) | instskip(NEXT) | instid1(VALU_DEP_3)
	v_fmac_f32_e32 v20, v8, v3
	v_fma_f32 v32, v7, v3, -v4
	ds_load_b128 v[1:4], v157 offset:624
	ds_load_b128 v[5:8], v157 offset:640
	s_wait_loadcnt_dscnt 0x1
	v_mul_f32_e32 v165, v1, v10
	v_mul_f32_e32 v10, v2, v10
	s_delay_alu instid0(VALU_DEP_2) | instskip(NEXT) | instid1(VALU_DEP_2)
	v_dual_mul_f32 v166, v3, v12 :: v_dual_fmac_f32 v165, v2, v9
	v_fma_f32 v167, v1, v9, -v10
	v_mul_f32_e32 v1, v4, v12
	s_delay_alu instid0(VALU_DEP_3) | instskip(NEXT) | instid1(VALU_DEP_2)
	v_fmac_f32_e32 v166, v4, v11
	v_fma_f32 v168, v3, v11, -v1
	s_clause 0x1
	scratch_load_b128 v[1:4], off, off offset:144
	scratch_load_b128 v[9:12], off, off offset:160
	s_wait_loadcnt_dscnt 0x100
	v_mul_f32_e32 v169, v5, v2
	v_dual_mul_f32 v2, v6, v2 :: v_dual_mul_f32 v171, v7, v4
	s_delay_alu instid0(VALU_DEP_2) | instskip(NEXT) | instid1(VALU_DEP_2)
	v_fmac_f32_e32 v169, v6, v1
	v_fma_f32 v170, v5, v1, -v2
	v_mul_f32_e32 v1, v8, v4
	s_delay_alu instid0(VALU_DEP_4) | instskip(NEXT) | instid1(VALU_DEP_2)
	v_fmac_f32_e32 v171, v8, v3
	v_fma_f32 v172, v7, v3, -v1
	ds_load_b128 v[1:4], v157 offset:656
	ds_load_b128 v[5:8], v157 offset:672
	s_wait_loadcnt_dscnt 0x1
	v_mul_f32_e32 v173, v1, v10
	v_mul_f32_e32 v175, v3, v12
	s_delay_alu instid0(VALU_DEP_2) | instskip(NEXT) | instid1(VALU_DEP_2)
	v_fmac_f32_e32 v173, v2, v9
	v_dual_mul_f32 v2, v2, v10 :: v_dual_fmac_f32 v175, v4, v11
	s_delay_alu instid0(VALU_DEP_1) | instskip(SKIP_1) | instid1(VALU_DEP_1)
	v_fma_f32 v174, v1, v9, -v2
	v_mul_f32_e32 v1, v4, v12
	v_fma_f32 v176, v3, v11, -v1
	s_clause 0x1
	scratch_load_b128 v[1:4], off, off offset:176
	scratch_load_b128 v[9:12], off, off offset:192
	s_wait_loadcnt_dscnt 0x100
	v_mul_f32_e32 v177, v5, v2
	v_dual_mul_f32 v2, v6, v2 :: v_dual_mul_f32 v179, v7, v4
	s_delay_alu instid0(VALU_DEP_2) | instskip(NEXT) | instid1(VALU_DEP_2)
	v_fmac_f32_e32 v177, v6, v1
	v_fma_f32 v178, v5, v1, -v2
	v_mul_f32_e32 v1, v8, v4
	s_delay_alu instid0(VALU_DEP_4) | instskip(NEXT) | instid1(VALU_DEP_2)
	v_fmac_f32_e32 v179, v8, v3
	v_fma_f32 v180, v7, v3, -v1
	ds_load_b128 v[1:4], v157 offset:688
	ds_load_b128 v[5:8], v157 offset:704
	s_wait_loadcnt_dscnt 0x1
	v_mul_f32_e32 v181, v1, v10
	v_mul_f32_e32 v183, v3, v12
	s_delay_alu instid0(VALU_DEP_2) | instskip(NEXT) | instid1(VALU_DEP_2)
	v_fmac_f32_e32 v181, v2, v9
	v_dual_mul_f32 v2, v2, v10 :: v_dual_fmac_f32 v183, v4, v11
	s_delay_alu instid0(VALU_DEP_1) | instskip(SKIP_1) | instid1(VALU_DEP_1)
	v_fma_f32 v182, v1, v9, -v2
	v_mul_f32_e32 v1, v4, v12
	;; [unrolled: 25-line block ×8, first 2 shown]
	v_fma_f32 v232, v3, v11, -v1
	s_clause 0x1
	scratch_load_b128 v[1:4], off, off offset:400
	scratch_load_b128 v[9:12], off, off offset:416
	s_wait_loadcnt_dscnt 0x100
	v_mul_f32_e32 v233, v5, v2
	v_mul_f32_e32 v2, v6, v2
	s_delay_alu instid0(VALU_DEP_2) | instskip(NEXT) | instid1(VALU_DEP_2)
	v_fmac_f32_e32 v233, v6, v1
	v_fma_f32 v234, v5, v1, -v2
	v_dual_mul_f32 v1, v8, v4 :: v_dual_add_f32 v2, 0, v158
	s_delay_alu instid0(VALU_DEP_1) | instskip(NEXT) | instid1(VALU_DEP_2)
	v_fma_f32 v236, v7, v3, -v1
	v_dual_add_f32 v1, 0, v21 :: v_dual_add_f32 v2, v2, v162
	s_delay_alu instid0(VALU_DEP_1) | instskip(NEXT) | instid1(VALU_DEP_1)
	v_dual_add_f32 v1, v1, v22 :: v_dual_add_f32 v2, v2, v23
	v_dual_add_f32 v1, v1, v25 :: v_dual_add_f32 v2, v2, v24
	s_delay_alu instid0(VALU_DEP_1) | instskip(NEXT) | instid1(VALU_DEP_1)
	v_dual_add_f32 v1, v1, v26 :: v_dual_add_f32 v2, v2, v163
	;; [unrolled: 3-line block ×10, first 2 shown]
	v_dual_add_f32 v1, v1, v182 :: v_dual_add_f32 v2, v2, v183
	s_delay_alu instid0(VALU_DEP_1) | instskip(SKIP_1) | instid1(VALU_DEP_2)
	v_dual_add_f32 v1, v1, v184 :: v_dual_add_f32 v2, v2, v185
	v_mul_f32_e32 v235, v7, v4
	v_dual_add_f32 v1, v1, v186 :: v_dual_add_f32 v2, v2, v187
	s_delay_alu instid0(VALU_DEP_1) | instskip(NEXT) | instid1(VALU_DEP_1)
	v_add_f32_e32 v1, v1, v188
	v_add_f32_e32 v1, v1, v190
	s_delay_alu instid0(VALU_DEP_1) | instskip(NEXT) | instid1(VALU_DEP_1)
	v_add_f32_e32 v1, v1, v192
	v_add_f32_e32 v1, v1, v194
	;; [unrolled: 3-line block ×6, first 2 shown]
	v_add_f32_e32 v2, v2, v189
	s_delay_alu instid0(VALU_DEP_2) | instskip(NEXT) | instid1(VALU_DEP_2)
	v_add_f32_e32 v14, v6, v212
	v_add_f32_e32 v2, v2, v191
	s_delay_alu instid0(VALU_DEP_2) | instskip(NEXT) | instid1(VALU_DEP_2)
	v_add_f32_e32 v14, v14, v214
	v_add_f32_e32 v2, v2, v193
	s_delay_alu instid0(VALU_DEP_2) | instskip(NEXT) | instid1(VALU_DEP_1)
	v_add_f32_e32 v17, v14, v216
	v_dual_add_f32 v2, v2, v195 :: v_dual_add_f32 v17, v17, v218
	s_delay_alu instid0(VALU_DEP_1) | instskip(NEXT) | instid1(VALU_DEP_1)
	v_dual_add_f32 v2, v2, v197 :: v_dual_add_f32 v17, v17, v220
	v_dual_add_f32 v2, v2, v199 :: v_dual_add_f32 v17, v17, v222
	s_delay_alu instid0(VALU_DEP_1) | instskip(NEXT) | instid1(VALU_DEP_2)
	v_add_f32_e32 v2, v2, v201
	v_add_f32_e32 v22, v17, v224
	s_delay_alu instid0(VALU_DEP_2) | instskip(NEXT) | instid1(VALU_DEP_2)
	v_add_f32_e32 v2, v2, v203
	v_dual_fmac_f32 v235, v8, v3 :: v_dual_add_f32 v22, v22, v226
	s_delay_alu instid0(VALU_DEP_2) | instskip(NEXT) | instid1(VALU_DEP_2)
	v_add_f32_e32 v2, v2, v205
	v_add_f32_e32 v22, v22, v228
	s_delay_alu instid0(VALU_DEP_2) | instskip(SKIP_4) | instid1(VALU_DEP_1)
	v_add_f32_e32 v5, v2, v207
	ds_load_b128 v[1:4], v157 offset:912
	v_add_f32_e32 v13, v5, v209
	scratch_load_b128 v[5:8], off, off offset:432
	v_add_f32_e32 v13, v13, v211
	v_add_f32_e32 v13, v13, v213
	s_delay_alu instid0(VALU_DEP_1)
	v_add_f32_e32 v18, v13, v215
	ds_load_b128 v[13:16], v157 offset:928
	s_wait_loadcnt_dscnt 0x101
	v_mul_f32_e32 v25, v1, v10
	v_mul_f32_e32 v10, v2, v10
	;; [unrolled: 1-line block ×3, first 2 shown]
	s_delay_alu instid0(VALU_DEP_3) | instskip(NEXT) | instid1(VALU_DEP_3)
	v_dual_mul_f32 v12, v4, v12 :: v_dual_fmac_f32 v25, v2, v9
	v_fma_f32 v27, v1, v9, -v10
	s_delay_alu instid0(VALU_DEP_3) | instskip(NEXT) | instid1(VALU_DEP_3)
	v_fmac_f32_e32 v26, v4, v11
	v_fma_f32 v28, v3, v11, -v12
	s_clause 0x1
	scratch_load_b128 v[1:4], off, off offset:448
	scratch_load_b128 v[9:12], off, off offset:464
	s_wait_loadcnt_dscnt 0x200
	v_mul_f32_e32 v30, v15, v8
	v_mul_f32_e32 v8, v16, v8
	v_dual_add_f32 v18, v18, v217 :: v_dual_mul_f32 v29, v13, v6
	v_mul_f32_e32 v6, v14, v6
	s_delay_alu instid0(VALU_DEP_4) | instskip(NEXT) | instid1(VALU_DEP_4)
	v_fmac_f32_e32 v30, v16, v7
	v_fma_f32 v32, v15, v7, -v8
	s_delay_alu instid0(VALU_DEP_4)
	v_add_f32_e32 v18, v18, v219
	v_fmac_f32_e32 v29, v14, v5
	v_fma_f32 v31, v13, v5, -v6
	ds_load_b128 v[5:8], v157 offset:944
	v_add_f32_e32 v21, v18, v221
	scratch_load_b128 v[17:20], off, off offset:480
	v_add_f32_e32 v21, v21, v223
	s_delay_alu instid0(VALU_DEP_1) | instskip(NEXT) | instid1(VALU_DEP_1)
	v_add_f32_e32 v21, v21, v225
	v_add_f32_e32 v13, v21, v227
	s_delay_alu instid0(VALU_DEP_1) | instskip(NEXT) | instid1(VALU_DEP_1)
	v_dual_add_f32 v21, v22, v230 :: v_dual_add_f32 v22, v13, v229
	v_add_f32_e32 v158, v21, v232
	ds_load_b128 v[13:16], v157 offset:960
	v_add_f32_e32 v162, v22, v231
	ds_load_b128 v[21:24], v157 offset:976
	v_add_f32_e32 v157, v158, v234
	v_add_f32_e32 v158, v162, v233
	s_wait_loadcnt_dscnt 0x202
	v_mul_f32_e32 v162, v5, v2
	s_delay_alu instid0(VALU_DEP_3) | instskip(NEXT) | instid1(VALU_DEP_3)
	v_dual_add_f32 v157, v157, v236 :: v_dual_mul_f32 v2, v6, v2
	v_add_f32_e32 v158, v158, v235
	s_delay_alu instid0(VALU_DEP_2) | instskip(SKIP_1) | instid1(VALU_DEP_3)
	v_dual_fmac_f32 v162, v6, v1 :: v_dual_add_f32 v27, v157, v27
	v_mul_f32_e32 v157, v7, v4
	v_dual_mul_f32 v4, v8, v4 :: v_dual_add_f32 v25, v158, v25
	v_fma_f32 v2, v5, v1, -v2
	s_wait_loadcnt_dscnt 0x101
	v_dual_add_f32 v27, v27, v28 :: v_dual_mul_f32 v158, v13, v10
	v_mul_f32_e32 v6, v14, v10
	v_add_f32_e32 v25, v25, v26
	v_fmac_f32_e32 v157, v8, v3
	s_delay_alu instid0(VALU_DEP_4) | instskip(SKIP_3) | instid1(VALU_DEP_4)
	v_add_f32_e32 v27, v27, v31
	v_fma_f32 v3, v7, v3, -v4
	v_mul_f32_e32 v163, v15, v12
	v_dual_add_f32 v25, v25, v29 :: v_dual_mul_f32 v4, v16, v12
	v_dual_add_f32 v1, v27, v32 :: v_dual_fmac_f32 v158, v14, v9
	s_delay_alu instid0(VALU_DEP_3) | instskip(NEXT) | instid1(VALU_DEP_3)
	v_fmac_f32_e32 v163, v16, v11
	v_add_f32_e32 v5, v25, v30
	s_delay_alu instid0(VALU_DEP_4) | instskip(NEXT) | instid1(VALU_DEP_4)
	v_fma_f32 v4, v15, v11, -v4
	v_add_f32_e32 v1, v1, v2
	s_delay_alu instid0(VALU_DEP_3) | instskip(SKIP_1) | instid1(VALU_DEP_2)
	v_add_f32_e32 v2, v5, v162
	v_fma_f32 v5, v13, v9, -v6
	v_dual_add_f32 v1, v1, v3 :: v_dual_add_f32 v2, v2, v157
	s_delay_alu instid0(VALU_DEP_1) | instskip(NEXT) | instid1(VALU_DEP_1)
	v_dual_add_f32 v1, v1, v5 :: v_dual_add_f32 v2, v2, v158
	v_dual_add_f32 v1, v1, v4 :: v_dual_add_f32 v2, v2, v163
	s_wait_loadcnt_dscnt 0x0
	v_mul_f32_e32 v26, v21, v18
	v_dual_mul_f32 v3, v22, v18 :: v_dual_mul_f32 v28, v23, v20
	s_delay_alu instid0(VALU_DEP_2) | instskip(NEXT) | instid1(VALU_DEP_2)
	v_dual_mul_f32 v5, v24, v20 :: v_dual_fmac_f32 v26, v22, v17
	v_fma_f32 v3, v21, v17, -v3
	s_delay_alu instid0(VALU_DEP_3) | instskip(NEXT) | instid1(VALU_DEP_3)
	v_fmac_f32_e32 v28, v24, v19
	v_fma_f32 v4, v23, v19, -v5
	s_delay_alu instid0(VALU_DEP_3) | instskip(NEXT) | instid1(VALU_DEP_1)
	v_dual_add_f32 v2, v2, v26 :: v_dual_add_f32 v1, v1, v3
	v_add_f32_e32 v2, v2, v28
	s_delay_alu instid0(VALU_DEP_2) | instskip(NEXT) | instid1(VALU_DEP_1)
	v_add_f32_e32 v1, v1, v4
	v_dual_sub_f32 v2, v161, v2 :: v_dual_sub_f32 v1, v160, v1
	scratch_store_b64 off, v[1:2], off offset:24
	v_cmpx_lt_u32_e32 2, v0
	s_cbranch_execz .LBB125_381
; %bb.380:
	scratch_load_b64 v[1:2], off, off offset:16
	v_mov_b32_e32 v3, 0
	s_delay_alu instid0(VALU_DEP_1)
	v_mov_b32_e32 v4, v3
	scratch_store_b64 off, v[3:4], off offset:16
	s_wait_loadcnt 0x0
	ds_store_b64 v159, v[1:2]
.LBB125_381:
	s_wait_alu 0xfffe
	s_or_b32 exec_lo, exec_lo, s0
	s_wait_storecnt_dscnt 0x0
	s_barrier_signal -1
	s_barrier_wait -1
	global_inv scope:SCOPE_SE
	s_clause 0x4
	scratch_load_b128 v[5:8], off, off offset:24
	scratch_load_b128 v[1:4], off, off offset:40
	;; [unrolled: 1-line block ×5, first 2 shown]
	v_mov_b32_e32 v157, 0
	ds_load_2addr_b64 v[21:24], v157 offset0:65 offset1:66
	ds_load_2addr_b64 v[25:28], v157 offset0:67 offset1:68
	;; [unrolled: 1-line block ×3, first 2 shown]
	scratch_load_b64 v[160:161], off, off offset:16
	s_mov_b32 s0, exec_lo
	s_wait_loadcnt_dscnt 0x502
	v_mul_f32_e32 v158, v21, v6
	v_mul_f32_e32 v162, v23, v8
	;; [unrolled: 1-line block ×3, first 2 shown]
	s_wait_loadcnt_dscnt 0x300
	v_dual_mul_f32 v8, v24, v8 :: v_dual_mul_f32 v163, v29, v10
	v_fmac_f32_e32 v158, v22, v5
	v_mul_f32_e32 v164, v31, v12
	v_fma_f32 v21, v21, v5, -v6
	s_delay_alu instid0(VALU_DEP_4)
	v_fma_f32 v22, v23, v7, -v8
	v_dual_mul_f32 v23, v25, v2 :: v_dual_fmac_f32 v162, v24, v7
	ds_load_2addr_b64 v[5:8], v157 offset0:71 offset1:72
	v_dual_mul_f32 v24, v27, v4 :: v_dual_fmac_f32 v163, v30, v9
	v_mul_f32_e32 v2, v26, v2
	v_mul_f32_e32 v4, v28, v4
	;; [unrolled: 1-line block ×3, first 2 shown]
	s_delay_alu instid0(VALU_DEP_4) | instskip(NEXT) | instid1(VALU_DEP_4)
	v_dual_fmac_f32 v23, v26, v1 :: v_dual_fmac_f32 v24, v28, v3
	v_fma_f32 v25, v25, v1, -v2
	s_delay_alu instid0(VALU_DEP_4) | instskip(SKIP_4) | instid1(VALU_DEP_3)
	v_fma_f32 v26, v27, v3, -v4
	scratch_load_b128 v[1:4], off, off offset:104
	v_mul_f32_e32 v12, v32, v12
	v_fmac_f32_e32 v164, v32, v11
	v_fma_f32 v27, v29, v9, -v10
	v_fma_f32 v28, v31, v11, -v12
	ds_load_2addr_b64 v[9:12], v157 offset0:73 offset1:74
	s_wait_loadcnt_dscnt 0x301
	v_dual_mul_f32 v29, v5, v14 :: v_dual_mul_f32 v30, v7, v16
	v_mul_f32_e32 v14, v6, v14
	s_delay_alu instid0(VALU_DEP_2) | instskip(NEXT) | instid1(VALU_DEP_3)
	v_dual_mul_f32 v16, v8, v16 :: v_dual_fmac_f32 v29, v6, v13
	v_fmac_f32_e32 v30, v8, v15
	s_delay_alu instid0(VALU_DEP_3) | instskip(NEXT) | instid1(VALU_DEP_3)
	v_fma_f32 v13, v5, v13, -v14
	v_fma_f32 v14, v7, v15, -v16
	ds_load_2addr_b64 v[5:8], v157 offset0:75 offset1:76
	s_wait_loadcnt_dscnt 0x201
	v_dual_mul_f32 v15, v9, v18 :: v_dual_mul_f32 v16, v11, v20
	v_mul_f32_e32 v18, v10, v18
	s_delay_alu instid0(VALU_DEP_2) | instskip(NEXT) | instid1(VALU_DEP_3)
	v_dual_mul_f32 v20, v12, v20 :: v_dual_fmac_f32 v15, v10, v17
	v_fmac_f32_e32 v16, v12, v19
	s_delay_alu instid0(VALU_DEP_3) | instskip(NEXT) | instid1(VALU_DEP_3)
	v_fma_f32 v17, v9, v17, -v18
	v_fma_f32 v18, v11, v19, -v20
	scratch_load_b128 v[9:12], off, off offset:120
	s_wait_loadcnt_dscnt 0x100
	v_dual_mul_f32 v19, v5, v2 :: v_dual_mul_f32 v20, v7, v4
	v_mul_f32_e32 v2, v6, v2
	s_delay_alu instid0(VALU_DEP_2) | instskip(NEXT) | instid1(VALU_DEP_3)
	v_dual_mul_f32 v4, v8, v4 :: v_dual_fmac_f32 v19, v6, v1
	v_fmac_f32_e32 v20, v8, v3
	s_delay_alu instid0(VALU_DEP_3) | instskip(NEXT) | instid1(VALU_DEP_3)
	v_fma_f32 v31, v5, v1, -v2
	v_fma_f32 v32, v7, v3, -v4
	ds_load_2addr_b64 v[1:4], v157 offset0:77 offset1:78
	ds_load_2addr_b64 v[5:8], v157 offset0:79 offset1:80
	s_wait_loadcnt_dscnt 0x1
	v_mul_f32_e32 v165, v1, v10
	v_mul_f32_e32 v10, v2, v10
	s_delay_alu instid0(VALU_DEP_2) | instskip(NEXT) | instid1(VALU_DEP_2)
	v_dual_mul_f32 v166, v3, v12 :: v_dual_fmac_f32 v165, v2, v9
	v_fma_f32 v167, v1, v9, -v10
	v_mul_f32_e32 v1, v4, v12
	s_delay_alu instid0(VALU_DEP_3) | instskip(NEXT) | instid1(VALU_DEP_2)
	v_fmac_f32_e32 v166, v4, v11
	v_fma_f32 v168, v3, v11, -v1
	s_clause 0x1
	scratch_load_b128 v[1:4], off, off offset:136
	scratch_load_b128 v[9:12], off, off offset:152
	s_wait_loadcnt_dscnt 0x100
	v_mul_f32_e32 v169, v5, v2
	v_dual_mul_f32 v2, v6, v2 :: v_dual_mul_f32 v171, v7, v4
	s_delay_alu instid0(VALU_DEP_2) | instskip(NEXT) | instid1(VALU_DEP_2)
	v_fmac_f32_e32 v169, v6, v1
	v_fma_f32 v170, v5, v1, -v2
	v_mul_f32_e32 v1, v8, v4
	s_delay_alu instid0(VALU_DEP_4) | instskip(NEXT) | instid1(VALU_DEP_2)
	v_fmac_f32_e32 v171, v8, v3
	v_fma_f32 v172, v7, v3, -v1
	ds_load_2addr_b64 v[1:4], v157 offset0:81 offset1:82
	ds_load_2addr_b64 v[5:8], v157 offset0:83 offset1:84
	s_wait_loadcnt_dscnt 0x1
	v_mul_f32_e32 v173, v1, v10
	v_mul_f32_e32 v175, v3, v12
	s_delay_alu instid0(VALU_DEP_2) | instskip(NEXT) | instid1(VALU_DEP_2)
	v_fmac_f32_e32 v173, v2, v9
	v_dual_mul_f32 v2, v2, v10 :: v_dual_fmac_f32 v175, v4, v11
	s_delay_alu instid0(VALU_DEP_1) | instskip(SKIP_1) | instid1(VALU_DEP_1)
	v_fma_f32 v174, v1, v9, -v2
	v_mul_f32_e32 v1, v4, v12
	v_fma_f32 v176, v3, v11, -v1
	s_clause 0x1
	scratch_load_b128 v[1:4], off, off offset:168
	scratch_load_b128 v[9:12], off, off offset:184
	s_wait_loadcnt_dscnt 0x100
	v_mul_f32_e32 v177, v5, v2
	v_dual_mul_f32 v2, v6, v2 :: v_dual_mul_f32 v179, v7, v4
	s_delay_alu instid0(VALU_DEP_2) | instskip(NEXT) | instid1(VALU_DEP_2)
	v_fmac_f32_e32 v177, v6, v1
	v_fma_f32 v178, v5, v1, -v2
	v_mul_f32_e32 v1, v8, v4
	s_delay_alu instid0(VALU_DEP_4) | instskip(NEXT) | instid1(VALU_DEP_2)
	v_fmac_f32_e32 v179, v8, v3
	v_fma_f32 v180, v7, v3, -v1
	ds_load_2addr_b64 v[1:4], v157 offset0:85 offset1:86
	ds_load_2addr_b64 v[5:8], v157 offset0:87 offset1:88
	s_wait_loadcnt_dscnt 0x1
	v_mul_f32_e32 v181, v1, v10
	v_mul_f32_e32 v183, v3, v12
	s_delay_alu instid0(VALU_DEP_2) | instskip(NEXT) | instid1(VALU_DEP_2)
	v_fmac_f32_e32 v181, v2, v9
	v_dual_mul_f32 v2, v2, v10 :: v_dual_fmac_f32 v183, v4, v11
	s_delay_alu instid0(VALU_DEP_1) | instskip(SKIP_1) | instid1(VALU_DEP_1)
	v_fma_f32 v182, v1, v9, -v2
	v_mul_f32_e32 v1, v4, v12
	;; [unrolled: 25-line block ×8, first 2 shown]
	v_fma_f32 v232, v3, v11, -v1
	s_clause 0x1
	scratch_load_b128 v[1:4], off, off offset:392
	scratch_load_b128 v[9:12], off, off offset:408
	s_wait_loadcnt_dscnt 0x100
	v_mul_f32_e32 v233, v5, v2
	v_mul_f32_e32 v2, v6, v2
	s_delay_alu instid0(VALU_DEP_2) | instskip(NEXT) | instid1(VALU_DEP_2)
	v_fmac_f32_e32 v233, v6, v1
	v_fma_f32 v234, v5, v1, -v2
	v_dual_mul_f32 v1, v8, v4 :: v_dual_add_f32 v2, 0, v158
	s_delay_alu instid0(VALU_DEP_1) | instskip(NEXT) | instid1(VALU_DEP_2)
	v_fma_f32 v236, v7, v3, -v1
	v_dual_add_f32 v1, 0, v21 :: v_dual_add_f32 v2, v2, v162
	s_delay_alu instid0(VALU_DEP_1) | instskip(NEXT) | instid1(VALU_DEP_1)
	v_dual_add_f32 v1, v1, v22 :: v_dual_add_f32 v2, v2, v23
	v_dual_add_f32 v1, v1, v25 :: v_dual_add_f32 v2, v2, v24
	s_delay_alu instid0(VALU_DEP_1) | instskip(SKIP_2) | instid1(VALU_DEP_1)
	v_add_f32_e32 v1, v1, v26
	scratch_load_b64 v[25:26], off, off offset:488
	v_add_f32_e32 v2, v2, v163
	v_dual_add_f32 v1, v1, v27 :: v_dual_add_f32 v2, v2, v164
	s_delay_alu instid0(VALU_DEP_1) | instskip(NEXT) | instid1(VALU_DEP_1)
	v_dual_add_f32 v1, v1, v28 :: v_dual_add_f32 v2, v2, v29
	v_dual_add_f32 v1, v1, v13 :: v_dual_add_f32 v2, v2, v30
	s_delay_alu instid0(VALU_DEP_1) | instskip(NEXT) | instid1(VALU_DEP_1)
	v_dual_add_f32 v1, v1, v14 :: v_dual_add_f32 v2, v2, v15
	;; [unrolled: 3-line block ×8, first 2 shown]
	v_dual_add_f32 v1, v1, v182 :: v_dual_add_f32 v2, v2, v183
	s_delay_alu instid0(VALU_DEP_1) | instskip(NEXT) | instid1(VALU_DEP_1)
	v_add_f32_e32 v1, v1, v184
	v_add_f32_e32 v1, v1, v186
	s_delay_alu instid0(VALU_DEP_1) | instskip(NEXT) | instid1(VALU_DEP_1)
	v_add_f32_e32 v1, v1, v188
	v_add_f32_e32 v1, v1, v190
	;; [unrolled: 3-line block ×7, first 2 shown]
	v_dual_add_f32 v2, v2, v185 :: v_dual_mul_f32 v235, v7, v4
	s_delay_alu instid0(VALU_DEP_2) | instskip(NEXT) | instid1(VALU_DEP_2)
	v_add_f32_e32 v14, v6, v212
	v_add_f32_e32 v2, v2, v187
	s_delay_alu instid0(VALU_DEP_2) | instskip(NEXT) | instid1(VALU_DEP_2)
	v_add_f32_e32 v14, v14, v214
	v_add_f32_e32 v2, v2, v189
	s_delay_alu instid0(VALU_DEP_2) | instskip(NEXT) | instid1(VALU_DEP_1)
	v_add_f32_e32 v17, v14, v216
	v_dual_add_f32 v2, v2, v191 :: v_dual_add_f32 v17, v17, v218
	s_delay_alu instid0(VALU_DEP_1) | instskip(NEXT) | instid1(VALU_DEP_1)
	v_dual_add_f32 v2, v2, v193 :: v_dual_add_f32 v17, v17, v220
	v_dual_add_f32 v2, v2, v195 :: v_dual_add_f32 v17, v17, v222
	s_delay_alu instid0(VALU_DEP_1) | instskip(NEXT) | instid1(VALU_DEP_2)
	v_add_f32_e32 v2, v2, v197
	v_add_f32_e32 v22, v17, v224
	s_delay_alu instid0(VALU_DEP_2) | instskip(NEXT) | instid1(VALU_DEP_2)
	v_add_f32_e32 v2, v2, v199
	v_dual_fmac_f32 v235, v8, v3 :: v_dual_add_f32 v22, v22, v226
	s_delay_alu instid0(VALU_DEP_2) | instskip(NEXT) | instid1(VALU_DEP_2)
	v_add_f32_e32 v2, v2, v201
	v_add_f32_e32 v22, v22, v228
	s_delay_alu instid0(VALU_DEP_2) | instskip(NEXT) | instid1(VALU_DEP_2)
	v_add_f32_e32 v2, v2, v203
	v_add_f32_e32 v22, v22, v230
	s_delay_alu instid0(VALU_DEP_2) | instskip(NEXT) | instid1(VALU_DEP_1)
	v_add_f32_e32 v2, v2, v205
	v_add_f32_e32 v5, v2, v207
	scratch_load_b128 v[1:4], off, off offset:424
	v_add_f32_e32 v13, v5, v209
	ds_load_2addr_b64 v[5:8], v157 offset0:113 offset1:114
	v_add_f32_e32 v13, v13, v211
	s_delay_alu instid0(VALU_DEP_1) | instskip(NEXT) | instid1(VALU_DEP_1)
	v_add_f32_e32 v13, v13, v213
	v_add_f32_e32 v18, v13, v215
	ds_load_2addr_b64 v[13:16], v157 offset0:115 offset1:116
	s_wait_loadcnt_dscnt 0x201
	v_mul_f32_e32 v29, v5, v10
	v_mul_f32_e32 v10, v6, v10
	v_mul_f32_e32 v30, v7, v12
	s_delay_alu instid0(VALU_DEP_3) | instskip(NEXT) | instid1(VALU_DEP_3)
	v_dual_mul_f32 v12, v8, v12 :: v_dual_fmac_f32 v29, v6, v9
	v_fma_f32 v31, v5, v9, -v10
	s_delay_alu instid0(VALU_DEP_3) | instskip(NEXT) | instid1(VALU_DEP_3)
	v_fmac_f32_e32 v30, v8, v11
	v_fma_f32 v32, v7, v11, -v12
	s_clause 0x1
	scratch_load_b128 v[5:8], off, off offset:440
	scratch_load_b128 v[9:12], off, off offset:456
	s_wait_loadcnt_dscnt 0x200
	v_mul_f32_e32 v162, v15, v4
	v_mul_f32_e32 v4, v16, v4
	v_add_f32_e32 v18, v18, v217
	v_mul_f32_e32 v158, v13, v2
	v_mul_f32_e32 v2, v14, v2
	v_fmac_f32_e32 v162, v16, v3
	v_fma_f32 v164, v15, v3, -v4
	v_add_f32_e32 v18, v18, v219
	v_fmac_f32_e32 v158, v14, v1
	v_fma_f32 v163, v13, v1, -v2
	v_add_f32_e32 v14, v22, v232
	ds_load_2addr_b64 v[1:4], v157 offset0:117 offset1:118
	v_add_f32_e32 v21, v18, v221
	scratch_load_b128 v[17:20], off, off offset:472
	v_add_f32_e32 v21, v21, v223
	s_delay_alu instid0(VALU_DEP_1) | instskip(NEXT) | instid1(VALU_DEP_1)
	v_add_f32_e32 v21, v21, v225
	v_add_f32_e32 v21, v21, v227
	s_delay_alu instid0(VALU_DEP_1) | instskip(NEXT) | instid1(VALU_DEP_1)
	v_add_f32_e32 v13, v21, v229
	v_add_f32_e32 v21, v13, v231
	s_delay_alu instid0(VALU_DEP_1) | instskip(SKIP_2) | instid1(VALU_DEP_1)
	v_add_f32_e32 v28, v21, v233
	ds_load_2addr_b64 v[21:24], v157 offset0:121 offset1:122
	v_add_f32_e32 v166, v28, v235
	v_add_f32_e32 v29, v166, v29
	s_delay_alu instid0(VALU_DEP_1) | instskip(NEXT) | instid1(VALU_DEP_1)
	v_add_f32_e32 v29, v29, v30
	v_add_f32_e32 v29, v29, v158
	s_delay_alu instid0(VALU_DEP_1)
	v_add_f32_e32 v29, v29, v162
	v_add_f32_e32 v27, v14, v234
	ds_load_2addr_b64 v[13:16], v157 offset0:119 offset1:120
	s_wait_loadcnt_dscnt 0x202
	v_mul_f32_e32 v30, v3, v8
	v_mul_f32_e32 v8, v4, v8
	v_add_f32_e32 v165, v27, v236
	ds_load_b64 v[27:28], v157 offset:984
	v_fmac_f32_e32 v30, v4, v7
	v_add_f32_e32 v31, v165, v31
	v_mul_f32_e32 v165, v1, v6
	s_delay_alu instid0(VALU_DEP_2) | instskip(NEXT) | instid1(VALU_DEP_2)
	v_dual_mul_f32 v6, v2, v6 :: v_dual_add_f32 v31, v31, v32
	v_fmac_f32_e32 v165, v2, v5
	s_delay_alu instid0(VALU_DEP_2)
	v_fma_f32 v1, v1, v5, -v6
	v_fma_f32 v2, v3, v7, -v8
	s_wait_loadcnt_dscnt 0x101
	v_dual_add_f32 v31, v31, v163 :: v_dual_mul_f32 v32, v13, v10
	v_dual_mul_f32 v3, v14, v10 :: v_dual_add_f32 v4, v29, v165
	v_mul_f32_e32 v158, v15, v12
	s_delay_alu instid0(VALU_DEP_3) | instskip(NEXT) | instid1(VALU_DEP_4)
	v_add_f32_e32 v31, v31, v164
	v_dual_mul_f32 v5, v16, v12 :: v_dual_fmac_f32 v32, v14, v9
	s_delay_alu instid0(VALU_DEP_4) | instskip(NEXT) | instid1(VALU_DEP_3)
	v_fma_f32 v3, v13, v9, -v3
	v_dual_fmac_f32 v158, v16, v11 :: v_dual_add_f32 v1, v31, v1
	s_delay_alu instid0(VALU_DEP_3) | instskip(SKIP_2) | instid1(VALU_DEP_3)
	v_fma_f32 v5, v15, v11, -v5
	s_wait_dscnt 0x0
	v_mul_f32_e32 v162, v27, v26
	v_add_f32_e32 v1, v1, v2
	v_add_f32_e32 v2, v4, v30
	s_delay_alu instid0(VALU_DEP_2) | instskip(NEXT) | instid1(VALU_DEP_1)
	v_dual_fmac_f32 v162, v28, v25 :: v_dual_add_f32 v1, v1, v3
	v_dual_add_f32 v2, v2, v32 :: v_dual_add_f32 v1, v1, v5
	s_delay_alu instid0(VALU_DEP_1)
	v_add_f32_e32 v2, v2, v158
	v_mul_f32_e32 v5, v28, v26
	s_wait_loadcnt 0x0
	v_mul_f32_e32 v163, v21, v18
	v_mul_f32_e32 v4, v22, v18
	v_mul_f32_e32 v164, v23, v20
	v_mul_f32_e32 v3, v24, v20
	s_delay_alu instid0(VALU_DEP_4) | instskip(NEXT) | instid1(VALU_DEP_4)
	v_fmac_f32_e32 v163, v22, v17
	v_fma_f32 v4, v21, v17, -v4
	s_delay_alu instid0(VALU_DEP_4) | instskip(NEXT) | instid1(VALU_DEP_4)
	v_fmac_f32_e32 v164, v24, v19
	v_fma_f32 v3, v23, v19, -v3
	s_delay_alu instid0(VALU_DEP_3) | instskip(SKIP_1) | instid1(VALU_DEP_2)
	v_dual_add_f32 v2, v2, v163 :: v_dual_add_f32 v1, v1, v4
	v_fma_f32 v4, v27, v25, -v5
	v_dual_add_f32 v2, v2, v164 :: v_dual_add_f32 v1, v1, v3
	s_delay_alu instid0(VALU_DEP_1) | instskip(NEXT) | instid1(VALU_DEP_1)
	v_dual_add_f32 v2, v2, v162 :: v_dual_add_f32 v1, v1, v4
	v_dual_sub_f32 v2, v161, v2 :: v_dual_sub_f32 v1, v160, v1
	scratch_store_b64 off, v[1:2], off offset:16
	v_cmpx_lt_u32_e32 1, v0
	s_cbranch_execz .LBB125_383
; %bb.382:
	scratch_load_b64 v[1:2], off, off offset:8
	v_mov_b32_e32 v158, v157
	scratch_store_b64 off, v[157:158], off offset:8
	s_wait_loadcnt 0x0
	ds_store_b64 v159, v[1:2]
.LBB125_383:
	s_wait_alu 0xfffe
	s_or_b32 exec_lo, exec_lo, s0
	s_wait_storecnt_dscnt 0x0
	s_barrier_signal -1
	s_barrier_wait -1
	global_inv scope:SCOPE_SE
	s_clause 0x4
	scratch_load_b128 v[5:8], off, off offset:16
	scratch_load_b128 v[1:4], off, off offset:32
	;; [unrolled: 1-line block ×5, first 2 shown]
	ds_load_b128 v[21:24], v157 offset:512
	ds_load_b128 v[25:28], v157 offset:528
	;; [unrolled: 1-line block ×3, first 2 shown]
	scratch_load_b64 v[160:161], off, off offset:8
	s_mov_b32 s0, exec_lo
	s_wait_loadcnt_dscnt 0x502
	v_mul_f32_e32 v158, v21, v6
	v_mul_f32_e32 v162, v23, v8
	;; [unrolled: 1-line block ×3, first 2 shown]
	s_wait_loadcnt_dscnt 0x300
	v_dual_mul_f32 v8, v24, v8 :: v_dual_mul_f32 v163, v29, v10
	v_fmac_f32_e32 v158, v22, v5
	v_mul_f32_e32 v164, v31, v12
	v_fma_f32 v21, v21, v5, -v6
	s_delay_alu instid0(VALU_DEP_4)
	v_fma_f32 v22, v23, v7, -v8
	v_dual_mul_f32 v23, v25, v2 :: v_dual_fmac_f32 v162, v24, v7
	v_fmac_f32_e32 v163, v30, v9
	ds_load_b128 v[5:8], v157 offset:560
	v_mul_f32_e32 v24, v27, v4
	v_mul_f32_e32 v2, v26, v2
	;; [unrolled: 1-line block ×4, first 2 shown]
	s_delay_alu instid0(VALU_DEP_4) | instskip(NEXT) | instid1(VALU_DEP_4)
	v_dual_fmac_f32 v23, v26, v1 :: v_dual_fmac_f32 v24, v28, v3
	v_fma_f32 v25, v25, v1, -v2
	s_delay_alu instid0(VALU_DEP_4) | instskip(SKIP_4) | instid1(VALU_DEP_3)
	v_fma_f32 v26, v27, v3, -v4
	scratch_load_b128 v[1:4], off, off offset:96
	v_mul_f32_e32 v12, v32, v12
	v_fmac_f32_e32 v164, v32, v11
	v_fma_f32 v27, v29, v9, -v10
	v_fma_f32 v28, v31, v11, -v12
	ds_load_b128 v[9:12], v157 offset:576
	s_wait_loadcnt_dscnt 0x301
	v_dual_mul_f32 v29, v5, v14 :: v_dual_mul_f32 v30, v7, v16
	v_mul_f32_e32 v14, v6, v14
	s_delay_alu instid0(VALU_DEP_2) | instskip(NEXT) | instid1(VALU_DEP_3)
	v_dual_mul_f32 v16, v8, v16 :: v_dual_fmac_f32 v29, v6, v13
	v_fmac_f32_e32 v30, v8, v15
	s_delay_alu instid0(VALU_DEP_3) | instskip(NEXT) | instid1(VALU_DEP_3)
	v_fma_f32 v13, v5, v13, -v14
	v_fma_f32 v14, v7, v15, -v16
	ds_load_b128 v[5:8], v157 offset:592
	s_wait_loadcnt_dscnt 0x201
	v_dual_mul_f32 v15, v9, v18 :: v_dual_mul_f32 v16, v11, v20
	v_mul_f32_e32 v18, v10, v18
	s_delay_alu instid0(VALU_DEP_2) | instskip(NEXT) | instid1(VALU_DEP_3)
	v_dual_mul_f32 v20, v12, v20 :: v_dual_fmac_f32 v15, v10, v17
	v_fmac_f32_e32 v16, v12, v19
	s_delay_alu instid0(VALU_DEP_3) | instskip(NEXT) | instid1(VALU_DEP_3)
	v_fma_f32 v17, v9, v17, -v18
	v_fma_f32 v18, v11, v19, -v20
	scratch_load_b128 v[9:12], off, off offset:112
	s_wait_loadcnt_dscnt 0x100
	v_dual_mul_f32 v19, v5, v2 :: v_dual_mul_f32 v20, v7, v4
	v_mul_f32_e32 v2, v6, v2
	s_delay_alu instid0(VALU_DEP_2) | instskip(NEXT) | instid1(VALU_DEP_3)
	v_dual_mul_f32 v4, v8, v4 :: v_dual_fmac_f32 v19, v6, v1
	v_fmac_f32_e32 v20, v8, v3
	s_delay_alu instid0(VALU_DEP_3) | instskip(NEXT) | instid1(VALU_DEP_3)
	v_fma_f32 v31, v5, v1, -v2
	v_fma_f32 v32, v7, v3, -v4
	ds_load_b128 v[1:4], v157 offset:608
	ds_load_b128 v[5:8], v157 offset:624
	s_wait_loadcnt_dscnt 0x1
	v_mul_f32_e32 v165, v1, v10
	v_mul_f32_e32 v10, v2, v10
	s_delay_alu instid0(VALU_DEP_2) | instskip(NEXT) | instid1(VALU_DEP_2)
	v_dual_mul_f32 v166, v3, v12 :: v_dual_fmac_f32 v165, v2, v9
	v_fma_f32 v167, v1, v9, -v10
	v_mul_f32_e32 v1, v4, v12
	s_delay_alu instid0(VALU_DEP_3) | instskip(NEXT) | instid1(VALU_DEP_2)
	v_fmac_f32_e32 v166, v4, v11
	v_fma_f32 v168, v3, v11, -v1
	s_clause 0x1
	scratch_load_b128 v[1:4], off, off offset:128
	scratch_load_b128 v[9:12], off, off offset:144
	s_wait_loadcnt_dscnt 0x100
	v_mul_f32_e32 v169, v5, v2
	v_dual_mul_f32 v2, v6, v2 :: v_dual_mul_f32 v171, v7, v4
	s_delay_alu instid0(VALU_DEP_2) | instskip(NEXT) | instid1(VALU_DEP_2)
	v_fmac_f32_e32 v169, v6, v1
	v_fma_f32 v170, v5, v1, -v2
	v_mul_f32_e32 v1, v8, v4
	s_delay_alu instid0(VALU_DEP_4) | instskip(NEXT) | instid1(VALU_DEP_2)
	v_fmac_f32_e32 v171, v8, v3
	v_fma_f32 v172, v7, v3, -v1
	ds_load_b128 v[1:4], v157 offset:640
	ds_load_b128 v[5:8], v157 offset:656
	s_wait_loadcnt_dscnt 0x1
	v_mul_f32_e32 v173, v1, v10
	v_mul_f32_e32 v175, v3, v12
	s_delay_alu instid0(VALU_DEP_2) | instskip(NEXT) | instid1(VALU_DEP_2)
	v_fmac_f32_e32 v173, v2, v9
	v_dual_mul_f32 v2, v2, v10 :: v_dual_fmac_f32 v175, v4, v11
	s_delay_alu instid0(VALU_DEP_1) | instskip(SKIP_1) | instid1(VALU_DEP_1)
	v_fma_f32 v174, v1, v9, -v2
	v_mul_f32_e32 v1, v4, v12
	v_fma_f32 v176, v3, v11, -v1
	s_clause 0x1
	scratch_load_b128 v[1:4], off, off offset:160
	scratch_load_b128 v[9:12], off, off offset:176
	s_wait_loadcnt_dscnt 0x100
	v_mul_f32_e32 v177, v5, v2
	v_dual_mul_f32 v2, v6, v2 :: v_dual_mul_f32 v179, v7, v4
	s_delay_alu instid0(VALU_DEP_2) | instskip(NEXT) | instid1(VALU_DEP_2)
	v_fmac_f32_e32 v177, v6, v1
	v_fma_f32 v178, v5, v1, -v2
	v_mul_f32_e32 v1, v8, v4
	s_delay_alu instid0(VALU_DEP_4) | instskip(NEXT) | instid1(VALU_DEP_2)
	v_fmac_f32_e32 v179, v8, v3
	v_fma_f32 v180, v7, v3, -v1
	ds_load_b128 v[1:4], v157 offset:672
	ds_load_b128 v[5:8], v157 offset:688
	s_wait_loadcnt_dscnt 0x1
	v_mul_f32_e32 v181, v1, v10
	v_mul_f32_e32 v183, v3, v12
	s_delay_alu instid0(VALU_DEP_2) | instskip(NEXT) | instid1(VALU_DEP_2)
	v_fmac_f32_e32 v181, v2, v9
	v_dual_mul_f32 v2, v2, v10 :: v_dual_fmac_f32 v183, v4, v11
	s_delay_alu instid0(VALU_DEP_1) | instskip(SKIP_1) | instid1(VALU_DEP_1)
	v_fma_f32 v182, v1, v9, -v2
	v_mul_f32_e32 v1, v4, v12
	;; [unrolled: 25-line block ×9, first 2 shown]
	v_fma_f32 v240, v3, v11, -v1
	s_clause 0x1
	scratch_load_b128 v[1:4], off, off offset:416
	scratch_load_b128 v[9:12], off, off offset:432
	s_wait_loadcnt_dscnt 0x100
	v_mul_f32_e32 v241, v5, v2
	v_mul_f32_e32 v2, v6, v2
	s_delay_alu instid0(VALU_DEP_2) | instskip(NEXT) | instid1(VALU_DEP_2)
	v_fmac_f32_e32 v241, v6, v1
	v_fma_f32 v242, v5, v1, -v2
	v_dual_mul_f32 v1, v8, v4 :: v_dual_add_f32 v2, 0, v158
	s_delay_alu instid0(VALU_DEP_1) | instskip(NEXT) | instid1(VALU_DEP_2)
	v_fma_f32 v244, v7, v3, -v1
	v_dual_add_f32 v1, 0, v21 :: v_dual_add_f32 v2, v2, v162
	s_delay_alu instid0(VALU_DEP_1) | instskip(NEXT) | instid1(VALU_DEP_1)
	v_dual_add_f32 v1, v1, v22 :: v_dual_add_f32 v2, v2, v23
	v_dual_add_f32 v1, v1, v25 :: v_dual_add_f32 v2, v2, v24
	s_delay_alu instid0(VALU_DEP_1) | instskip(NEXT) | instid1(VALU_DEP_1)
	v_dual_add_f32 v1, v1, v26 :: v_dual_add_f32 v2, v2, v163
	v_dual_add_f32 v1, v1, v27 :: v_dual_add_f32 v2, v2, v164
	s_delay_alu instid0(VALU_DEP_1) | instskip(NEXT) | instid1(VALU_DEP_1)
	v_dual_add_f32 v1, v1, v28 :: v_dual_add_f32 v2, v2, v29
	v_dual_add_f32 v1, v1, v13 :: v_dual_add_f32 v2, v2, v30
	s_delay_alu instid0(VALU_DEP_1) | instskip(NEXT) | instid1(VALU_DEP_1)
	v_dual_add_f32 v1, v1, v14 :: v_dual_add_f32 v2, v2, v15
	v_dual_add_f32 v1, v1, v17 :: v_dual_add_f32 v2, v2, v16
	s_delay_alu instid0(VALU_DEP_1) | instskip(NEXT) | instid1(VALU_DEP_1)
	v_dual_add_f32 v1, v1, v18 :: v_dual_add_f32 v2, v2, v19
	v_dual_add_f32 v1, v1, v31 :: v_dual_add_f32 v2, v2, v20
	s_delay_alu instid0(VALU_DEP_1) | instskip(NEXT) | instid1(VALU_DEP_1)
	v_dual_add_f32 v1, v1, v32 :: v_dual_add_f32 v2, v2, v165
	v_dual_add_f32 v1, v1, v167 :: v_dual_add_f32 v2, v2, v166
	s_delay_alu instid0(VALU_DEP_1) | instskip(NEXT) | instid1(VALU_DEP_1)
	v_dual_add_f32 v1, v1, v168 :: v_dual_add_f32 v2, v2, v169
	v_dual_add_f32 v1, v1, v170 :: v_dual_add_f32 v2, v2, v171
	s_delay_alu instid0(VALU_DEP_1) | instskip(NEXT) | instid1(VALU_DEP_1)
	v_dual_add_f32 v1, v1, v172 :: v_dual_add_f32 v2, v2, v173
	v_dual_add_f32 v1, v1, v174 :: v_dual_add_f32 v2, v2, v175
	s_delay_alu instid0(VALU_DEP_1) | instskip(NEXT) | instid1(VALU_DEP_1)
	v_dual_add_f32 v1, v1, v176 :: v_dual_add_f32 v2, v2, v177
	v_dual_add_f32 v1, v1, v178 :: v_dual_add_f32 v2, v2, v179
	s_delay_alu instid0(VALU_DEP_1) | instskip(NEXT) | instid1(VALU_DEP_1)
	v_dual_add_f32 v1, v1, v180 :: v_dual_add_f32 v2, v2, v181
	v_dual_add_f32 v1, v1, v182 :: v_dual_add_f32 v2, v2, v183
	s_delay_alu instid0(VALU_DEP_1) | instskip(NEXT) | instid1(VALU_DEP_1)
	v_dual_add_f32 v1, v1, v184 :: v_dual_add_f32 v2, v2, v185
	v_dual_add_f32 v1, v1, v186 :: v_dual_add_f32 v2, v2, v187
	s_delay_alu instid0(VALU_DEP_1) | instskip(NEXT) | instid1(VALU_DEP_1)
	v_add_f32_e32 v1, v1, v188
	v_add_f32_e32 v1, v1, v190
	s_delay_alu instid0(VALU_DEP_1) | instskip(NEXT) | instid1(VALU_DEP_1)
	v_add_f32_e32 v1, v1, v192
	v_add_f32_e32 v1, v1, v194
	;; [unrolled: 3-line block ×7, first 2 shown]
	s_delay_alu instid0(VALU_DEP_1) | instskip(SKIP_1) | instid1(VALU_DEP_2)
	v_add_f32_e32 v6, v1, v216
	v_add_f32_e32 v2, v2, v189
	v_add_f32_e32 v6, v6, v218
	s_delay_alu instid0(VALU_DEP_2) | instskip(NEXT) | instid1(VALU_DEP_2)
	v_dual_add_f32 v2, v2, v191 :: v_dual_mul_f32 v243, v7, v4
	v_add_f32_e32 v13, v6, v220
	s_delay_alu instid0(VALU_DEP_2) | instskip(NEXT) | instid1(VALU_DEP_1)
	v_dual_add_f32 v2, v2, v193 :: v_dual_fmac_f32 v243, v8, v3
	v_dual_add_f32 v13, v13, v222 :: v_dual_add_f32 v2, v2, v195
	s_delay_alu instid0(VALU_DEP_1) | instskip(NEXT) | instid1(VALU_DEP_1)
	v_dual_add_f32 v13, v13, v224 :: v_dual_add_f32 v2, v2, v197
	v_dual_add_f32 v13, v13, v226 :: v_dual_add_f32 v2, v2, v199
	s_delay_alu instid0(VALU_DEP_1) | instskip(NEXT) | instid1(VALU_DEP_2)
	v_add_f32_e32 v18, v13, v228
	v_add_f32_e32 v2, v2, v201
	s_delay_alu instid0(VALU_DEP_2) | instskip(NEXT) | instid1(VALU_DEP_2)
	v_add_f32_e32 v18, v18, v230
	v_add_f32_e32 v2, v2, v203
	s_delay_alu instid0(VALU_DEP_2) | instskip(NEXT) | instid1(VALU_DEP_2)
	v_add_f32_e32 v18, v18, v232
	v_add_f32_e32 v2, v2, v205
	s_delay_alu instid0(VALU_DEP_2) | instskip(NEXT) | instid1(VALU_DEP_1)
	v_add_f32_e32 v21, v18, v234
	v_dual_add_f32 v2, v2, v207 :: v_dual_add_f32 v29, v21, v236
	s_delay_alu instid0(VALU_DEP_1) | instskip(NEXT) | instid1(VALU_DEP_1)
	v_dual_add_f32 v2, v2, v209 :: v_dual_add_f32 v29, v29, v238
	v_dual_add_f32 v2, v2, v211 :: v_dual_add_f32 v29, v29, v240
	s_delay_alu instid0(VALU_DEP_1) | instskip(SKIP_3) | instid1(VALU_DEP_2)
	v_add_f32_e32 v5, v2, v213
	ds_load_b128 v[1:4], v157 offset:928
	v_add_f32_e32 v29, v29, v242
	v_add_f32_e32 v5, v5, v215
	;; [unrolled: 1-line block ×3, first 2 shown]
	s_delay_alu instid0(VALU_DEP_2) | instskip(NEXT) | instid1(VALU_DEP_1)
	v_add_f32_e32 v5, v5, v217
	v_add_f32_e32 v14, v5, v219
	ds_load_b128 v[5:8], v157 offset:944
	s_wait_loadcnt_dscnt 0x1
	v_dual_add_f32 v14, v14, v221 :: v_dual_mul_f32 v25, v1, v10
	v_mul_f32_e32 v26, v3, v12
	v_mul_f32_e32 v10, v2, v10
	;; [unrolled: 1-line block ×3, first 2 shown]
	s_delay_alu instid0(VALU_DEP_4) | instskip(NEXT) | instid1(VALU_DEP_4)
	v_add_f32_e32 v14, v14, v223
	v_dual_fmac_f32 v25, v2, v9 :: v_dual_fmac_f32 v26, v4, v11
	s_delay_alu instid0(VALU_DEP_4) | instskip(NEXT) | instid1(VALU_DEP_4)
	v_fma_f32 v27, v1, v9, -v10
	v_fma_f32 v28, v3, v11, -v12
	s_clause 0x1
	scratch_load_b128 v[1:4], off, off offset:448
	scratch_load_b128 v[9:12], off, off offset:464
	s_wait_loadcnt_dscnt 0x100
	v_dual_add_f32 v27, v29, v27 :: v_dual_mul_f32 v32, v7, v4
	v_dual_mul_f32 v4, v8, v4 :: v_dual_add_f32 v17, v14, v225
	scratch_load_b128 v[13:16], off, off offset:480
	v_dual_mul_f32 v31, v5, v2 :: v_dual_fmac_f32 v32, v8, v3
	v_fma_f32 v3, v7, v3, -v4
	v_dual_add_f32 v17, v17, v227 :: v_dual_mul_f32 v2, v6, v2
	s_delay_alu instid0(VALU_DEP_3) | instskip(NEXT) | instid1(VALU_DEP_2)
	v_fmac_f32_e32 v31, v6, v1
	v_add_f32_e32 v17, v17, v229
	s_delay_alu instid0(VALU_DEP_3) | instskip(SKIP_1) | instid1(VALU_DEP_3)
	v_fma_f32 v2, v5, v1, -v2
	v_add_f32_e32 v1, v27, v28
	v_add_f32_e32 v17, v17, v231
	s_delay_alu instid0(VALU_DEP_2) | instskip(NEXT) | instid1(VALU_DEP_2)
	v_add_f32_e32 v1, v1, v2
	v_add_f32_e32 v22, v17, v233
	ds_load_b128 v[17:20], v157 offset:960
	v_add_f32_e32 v1, v1, v3
	v_add_f32_e32 v30, v22, v235
	ds_load_b128 v[21:24], v157 offset:976
	s_wait_loadcnt_dscnt 0x101
	v_mul_f32_e32 v4, v20, v12
	v_add_f32_e32 v30, v30, v237
	v_dual_mul_f32 v158, v19, v12 :: v_dual_mul_f32 v157, v17, v10
	v_mul_f32_e32 v6, v18, v10
	s_delay_alu instid0(VALU_DEP_4) | instskip(NEXT) | instid1(VALU_DEP_4)
	v_fma_f32 v4, v19, v11, -v4
	v_add_f32_e32 v30, v30, v239
	s_delay_alu instid0(VALU_DEP_4) | instskip(NEXT) | instid1(VALU_DEP_2)
	v_dual_fmac_f32 v158, v20, v11 :: v_dual_fmac_f32 v157, v18, v9
	v_add_f32_e32 v30, v30, v241
	s_delay_alu instid0(VALU_DEP_1) | instskip(NEXT) | instid1(VALU_DEP_1)
	v_add_f32_e32 v30, v30, v243
	v_add_f32_e32 v25, v30, v25
	s_delay_alu instid0(VALU_DEP_1) | instskip(NEXT) | instid1(VALU_DEP_1)
	v_add_f32_e32 v5, v25, v26
	v_add_f32_e32 v2, v5, v31
	v_fma_f32 v5, v17, v9, -v6
	s_delay_alu instid0(VALU_DEP_1) | instskip(NEXT) | instid1(VALU_DEP_1)
	v_dual_add_f32 v2, v2, v32 :: v_dual_add_f32 v1, v1, v5
	v_dual_add_f32 v2, v2, v157 :: v_dual_add_f32 v1, v1, v4
	s_delay_alu instid0(VALU_DEP_1) | instskip(SKIP_4) | instid1(VALU_DEP_3)
	v_add_f32_e32 v2, v2, v158
	s_wait_loadcnt_dscnt 0x0
	v_mul_f32_e32 v162, v21, v14
	v_mul_f32_e32 v3, v22, v14
	;; [unrolled: 1-line block ×3, first 2 shown]
	v_dual_mul_f32 v5, v24, v16 :: v_dual_fmac_f32 v162, v22, v13
	s_delay_alu instid0(VALU_DEP_3) | instskip(NEXT) | instid1(VALU_DEP_3)
	v_fma_f32 v3, v21, v13, -v3
	v_fmac_f32_e32 v29, v24, v15
	s_delay_alu instid0(VALU_DEP_3) | instskip(NEXT) | instid1(VALU_DEP_3)
	v_fma_f32 v4, v23, v15, -v5
	v_dual_add_f32 v2, v2, v162 :: v_dual_add_f32 v1, v1, v3
	s_delay_alu instid0(VALU_DEP_1) | instskip(NEXT) | instid1(VALU_DEP_1)
	v_dual_add_f32 v2, v2, v29 :: v_dual_add_f32 v1, v1, v4
	v_dual_sub_f32 v2, v161, v2 :: v_dual_sub_f32 v1, v160, v1
	scratch_store_b64 off, v[1:2], off offset:8
	v_cmpx_ne_u32_e32 0, v0
	s_cbranch_execz .LBB125_385
; %bb.384:
	scratch_load_b64 v[0:1], off, off
	v_mov_b32_e32 v2, 0
	s_delay_alu instid0(VALU_DEP_1)
	v_mov_b32_e32 v3, v2
	scratch_store_b64 off, v[2:3], off
	s_wait_loadcnt 0x0
	ds_store_b64 v159, v[0:1]
.LBB125_385:
	s_wait_alu 0xfffe
	s_or_b32 exec_lo, exec_lo, s0
	s_wait_storecnt_dscnt 0x0
	s_barrier_signal -1
	s_barrier_wait -1
	global_inv scope:SCOPE_SE
	s_clause 0x6
	scratch_load_b128 v[0:3], off, off offset:8
	scratch_load_b128 v[4:7], off, off offset:24
	;; [unrolled: 1-line block ×7, first 2 shown]
	v_mov_b32_e32 v32, 0
	scratch_load_b64 v[161:162], off, off
	s_and_b32 vcc_lo, exec_lo, s12
	ds_load_2addr_b64 v[28:31], v32 offset0:63 offset1:64
	ds_load_2addr_b64 v[157:160], v32 offset0:65 offset1:66
	s_wait_loadcnt_dscnt 0x701
	v_dual_mul_f32 v163, v28, v1 :: v_dual_mul_f32 v164, v30, v3
	v_mul_f32_e32 v1, v29, v1
	v_mul_f32_e32 v3, v31, v3
	s_delay_alu instid0(VALU_DEP_3) | instskip(NEXT) | instid1(VALU_DEP_3)
	v_dual_fmac_f32 v163, v29, v0 :: v_dual_fmac_f32 v164, v31, v2
	v_fma_f32 v28, v28, v0, -v1
	s_delay_alu instid0(VALU_DEP_3) | instskip(SKIP_4) | instid1(VALU_DEP_2)
	v_fma_f32 v29, v30, v2, -v3
	ds_load_2addr_b64 v[0:3], v32 offset0:67 offset1:68
	s_wait_loadcnt_dscnt 0x601
	v_dual_mul_f32 v30, v157, v5 :: v_dual_mul_f32 v31, v159, v7
	v_mul_f32_e32 v5, v158, v5
	v_dual_mul_f32 v7, v160, v7 :: v_dual_fmac_f32 v30, v158, v4
	s_delay_alu instid0(VALU_DEP_3) | instskip(NEXT) | instid1(VALU_DEP_3)
	v_fmac_f32_e32 v31, v160, v6
	v_fma_f32 v157, v157, v4, -v5
	s_delay_alu instid0(VALU_DEP_3) | instskip(SKIP_4) | instid1(VALU_DEP_2)
	v_fma_f32 v158, v159, v6, -v7
	ds_load_2addr_b64 v[4:7], v32 offset0:69 offset1:70
	s_wait_loadcnt_dscnt 0x501
	v_dual_mul_f32 v159, v0, v9 :: v_dual_mul_f32 v160, v2, v11
	v_mul_f32_e32 v11, v3, v11
	v_fmac_f32_e32 v160, v3, v10
	s_delay_alu instid0(VALU_DEP_2) | instskip(SKIP_2) | instid1(VALU_DEP_1)
	v_fma_f32 v166, v2, v10, -v11
	s_wait_loadcnt_dscnt 0x400
	v_dual_mul_f32 v168, v6, v15 :: v_dual_mul_f32 v9, v1, v9
	v_dual_fmac_f32 v159, v1, v8 :: v_dual_fmac_f32 v168, v7, v14
	s_delay_alu instid0(VALU_DEP_2) | instskip(SKIP_3) | instid1(VALU_DEP_2)
	v_fma_f32 v165, v0, v8, -v9
	ds_load_2addr_b64 v[0:3], v32 offset0:71 offset1:72
	v_mul_f32_e32 v167, v4, v13
	v_dual_mul_f32 v8, v5, v13 :: v_dual_mul_f32 v9, v7, v15
	v_fmac_f32_e32 v167, v5, v12
	s_delay_alu instid0(VALU_DEP_2) | instskip(NEXT) | instid1(VALU_DEP_3)
	v_fma_f32 v12, v4, v12, -v8
	v_fma_f32 v13, v6, v14, -v9
	ds_load_2addr_b64 v[4:7], v32 offset0:73 offset1:74
	s_wait_loadcnt_dscnt 0x301
	v_dual_mul_f32 v14, v0, v17 :: v_dual_mul_f32 v15, v2, v19
	v_dual_mul_f32 v8, v1, v17 :: v_dual_mul_f32 v9, v3, v19
	s_delay_alu instid0(VALU_DEP_2) | instskip(NEXT) | instid1(VALU_DEP_2)
	v_fmac_f32_e32 v14, v1, v16
	v_fma_f32 v16, v0, v16, -v8
	s_delay_alu instid0(VALU_DEP_3) | instskip(SKIP_4) | instid1(VALU_DEP_1)
	v_fma_f32 v17, v2, v18, -v9
	s_wait_loadcnt_dscnt 0x200
	v_dual_mul_f32 v8, v5, v21 :: v_dual_fmac_f32 v15, v3, v18
	ds_load_2addr_b64 v[0:3], v32 offset0:75 offset1:76
	v_dual_mul_f32 v18, v4, v21 :: v_dual_mul_f32 v19, v6, v23
	v_dual_mul_f32 v9, v7, v23 :: v_dual_fmac_f32 v18, v5, v20
	s_delay_alu instid0(VALU_DEP_2) | instskip(SKIP_1) | instid1(VALU_DEP_3)
	v_fmac_f32_e32 v19, v7, v22
	v_fma_f32 v20, v4, v20, -v8
	v_fma_f32 v21, v6, v22, -v9
	ds_load_2addr_b64 v[4:7], v32 offset0:77 offset1:78
	s_wait_loadcnt_dscnt 0x101
	v_mul_f32_e32 v8, v1, v25
	v_dual_mul_f32 v22, v0, v25 :: v_dual_mul_f32 v23, v2, v27
	v_mul_f32_e32 v9, v3, v27
	s_delay_alu instid0(VALU_DEP_3) | instskip(NEXT) | instid1(VALU_DEP_3)
	v_fma_f32 v25, v0, v24, -v8
	v_dual_fmac_f32 v22, v1, v24 :: v_dual_fmac_f32 v23, v3, v26
	s_delay_alu instid0(VALU_DEP_3)
	v_fma_f32 v24, v2, v26, -v9
	s_clause 0x1
	scratch_load_b128 v[0:3], off, off offset:120
	scratch_load_b128 v[8:11], off, off offset:136
	s_wait_loadcnt_dscnt 0x100
	v_mul_f32_e32 v26, v4, v1
	v_mul_f32_e32 v1, v5, v1
	s_delay_alu instid0(VALU_DEP_2) | instskip(NEXT) | instid1(VALU_DEP_2)
	v_dual_mul_f32 v169, v6, v3 :: v_dual_fmac_f32 v26, v5, v0
	v_fma_f32 v27, v4, v0, -v1
	v_mul_f32_e32 v0, v7, v3
	s_delay_alu instid0(VALU_DEP_3) | instskip(NEXT) | instid1(VALU_DEP_2)
	v_fmac_f32_e32 v169, v7, v2
	v_fma_f32 v170, v6, v2, -v0
	ds_load_2addr_b64 v[0:3], v32 offset0:79 offset1:80
	ds_load_2addr_b64 v[4:7], v32 offset0:81 offset1:82
	s_wait_loadcnt_dscnt 0x1
	v_mul_f32_e32 v171, v0, v9
	v_mul_f32_e32 v173, v2, v11
	s_delay_alu instid0(VALU_DEP_2) | instskip(SKIP_1) | instid1(VALU_DEP_3)
	v_fmac_f32_e32 v171, v1, v8
	v_mul_f32_e32 v1, v1, v9
	v_fmac_f32_e32 v173, v3, v10
	s_delay_alu instid0(VALU_DEP_2) | instskip(SKIP_1) | instid1(VALU_DEP_1)
	v_fma_f32 v172, v0, v8, -v1
	v_mul_f32_e32 v0, v3, v11
	v_fma_f32 v174, v2, v10, -v0
	s_clause 0x1
	scratch_load_b128 v[0:3], off, off offset:152
	scratch_load_b128 v[8:11], off, off offset:168
	s_wait_loadcnt_dscnt 0x100
	v_mul_f32_e32 v175, v4, v1
	v_mul_f32_e32 v1, v5, v1
	v_mul_f32_e32 v177, v6, v3
	s_delay_alu instid0(VALU_DEP_3) | instskip(NEXT) | instid1(VALU_DEP_3)
	v_fmac_f32_e32 v175, v5, v0
	v_fma_f32 v176, v4, v0, -v1
	v_mul_f32_e32 v0, v7, v3
	s_delay_alu instid0(VALU_DEP_4) | instskip(NEXT) | instid1(VALU_DEP_2)
	v_fmac_f32_e32 v177, v7, v2
	v_fma_f32 v178, v6, v2, -v0
	ds_load_2addr_b64 v[0:3], v32 offset0:83 offset1:84
	ds_load_2addr_b64 v[4:7], v32 offset0:85 offset1:86
	s_wait_loadcnt_dscnt 0x1
	v_mul_f32_e32 v179, v0, v9
	v_mul_f32_e32 v181, v2, v11
	s_delay_alu instid0(VALU_DEP_2) | instskip(SKIP_1) | instid1(VALU_DEP_3)
	v_fmac_f32_e32 v179, v1, v8
	v_mul_f32_e32 v1, v1, v9
	v_fmac_f32_e32 v181, v3, v10
	s_delay_alu instid0(VALU_DEP_2) | instskip(SKIP_1) | instid1(VALU_DEP_1)
	v_fma_f32 v180, v0, v8, -v1
	v_mul_f32_e32 v0, v3, v11
	v_fma_f32 v182, v2, v10, -v0
	s_clause 0x1
	scratch_load_b128 v[0:3], off, off offset:184
	scratch_load_b128 v[8:11], off, off offset:200
	s_wait_loadcnt_dscnt 0x100
	v_mul_f32_e32 v183, v4, v1
	v_mul_f32_e32 v1, v5, v1
	v_mul_f32_e32 v185, v6, v3
	s_delay_alu instid0(VALU_DEP_3) | instskip(NEXT) | instid1(VALU_DEP_3)
	v_fmac_f32_e32 v183, v5, v0
	v_fma_f32 v184, v4, v0, -v1
	v_mul_f32_e32 v0, v7, v3
	s_delay_alu instid0(VALU_DEP_4) | instskip(NEXT) | instid1(VALU_DEP_2)
	;; [unrolled: 27-line block ×8, first 2 shown]
	v_fmac_f32_e32 v233, v7, v2
	v_fma_f32 v234, v6, v2, -v0
	ds_load_2addr_b64 v[0:3], v32 offset0:111 offset1:112
	ds_load_2addr_b64 v[4:7], v32 offset0:113 offset1:114
	s_wait_loadcnt_dscnt 0x1
	v_mul_f32_e32 v235, v0, v9
	v_mul_f32_e32 v237, v2, v11
	s_delay_alu instid0(VALU_DEP_2) | instskip(SKIP_1) | instid1(VALU_DEP_3)
	v_fmac_f32_e32 v235, v1, v8
	v_mul_f32_e32 v1, v1, v9
	v_fmac_f32_e32 v237, v3, v10
	s_delay_alu instid0(VALU_DEP_2) | instskip(SKIP_1) | instid1(VALU_DEP_1)
	v_fma_f32 v236, v0, v8, -v1
	v_mul_f32_e32 v0, v3, v11
	v_fma_f32 v238, v2, v10, -v0
	s_clause 0x1
	scratch_load_b128 v[0:3], off, off offset:408
	scratch_load_b128 v[8:11], off, off offset:424
	s_wait_loadcnt_dscnt 0x100
	v_mul_f32_e32 v239, v4, v1
	v_mul_f32_e32 v1, v5, v1
	v_mul_f32_e32 v241, v6, v3
	s_delay_alu instid0(VALU_DEP_3) | instskip(NEXT) | instid1(VALU_DEP_3)
	v_fmac_f32_e32 v239, v5, v0
	v_fma_f32 v240, v4, v0, -v1
	v_mul_f32_e32 v0, v7, v3
	v_add_f32_e32 v1, 0, v163
	v_fmac_f32_e32 v241, v7, v2
	s_delay_alu instid0(VALU_DEP_3) | instskip(SKIP_1) | instid1(VALU_DEP_1)
	v_fma_f32 v242, v6, v2, -v0
	v_add_f32_e32 v0, 0, v28
	v_dual_add_f32 v1, v1, v164 :: v_dual_add_f32 v0, v0, v29
	s_delay_alu instid0(VALU_DEP_1) | instskip(NEXT) | instid1(VALU_DEP_1)
	v_dual_add_f32 v1, v1, v30 :: v_dual_add_f32 v0, v0, v157
	v_dual_add_f32 v1, v1, v31 :: v_dual_add_f32 v0, v0, v158
	s_delay_alu instid0(VALU_DEP_1) | instskip(NEXT) | instid1(VALU_DEP_1)
	v_dual_add_f32 v1, v1, v159 :: v_dual_add_f32 v0, v0, v165
	;; [unrolled: 3-line block ×6, first 2 shown]
	v_dual_add_f32 v1, v1, v23 :: v_dual_add_f32 v0, v0, v24
	s_delay_alu instid0(VALU_DEP_1) | instskip(SKIP_2) | instid1(VALU_DEP_1)
	v_add_f32_e32 v1, v1, v26
	scratch_load_b64 v[24:25], off, off offset:488
	v_dual_add_f32 v0, v0, v27 :: v_dual_add_f32 v1, v1, v169
	v_dual_add_f32 v0, v0, v170 :: v_dual_add_f32 v1, v1, v171
	s_delay_alu instid0(VALU_DEP_1) | instskip(NEXT) | instid1(VALU_DEP_1)
	v_dual_add_f32 v0, v0, v172 :: v_dual_add_f32 v1, v1, v173
	v_dual_add_f32 v0, v0, v174 :: v_dual_add_f32 v1, v1, v175
	s_delay_alu instid0(VALU_DEP_1) | instskip(NEXT) | instid1(VALU_DEP_1)
	;; [unrolled: 3-line block ×9, first 2 shown]
	v_dual_add_f32 v0, v0, v204 :: v_dual_add_f32 v1, v1, v205
	v_dual_add_f32 v0, v0, v206 :: v_dual_add_f32 v1, v1, v207
	s_delay_alu instid0(VALU_DEP_1) | instskip(NEXT) | instid1(VALU_DEP_2)
	v_add_f32_e32 v0, v0, v208
	v_add_f32_e32 v4, v1, v209
	s_delay_alu instid0(VALU_DEP_2) | instskip(NEXT) | instid1(VALU_DEP_2)
	v_add_f32_e32 v0, v0, v210
	v_add_f32_e32 v4, v4, v211
	s_delay_alu instid0(VALU_DEP_2) | instskip(SKIP_2) | instid1(VALU_DEP_1)
	v_add_f32_e32 v5, v0, v212
	ds_load_2addr_b64 v[0:3], v32 offset0:115 offset1:116
	v_dual_add_f32 v4, v4, v213 :: v_dual_add_f32 v5, v5, v214
	v_dual_add_f32 v13, v4, v215 :: v_dual_add_f32 v12, v5, v216
	ds_load_2addr_b64 v[4:7], v32 offset0:117 offset1:118
	v_add_f32_e32 v12, v12, v218
	s_delay_alu instid0(VALU_DEP_1)
	v_add_f32_e32 v12, v12, v220
	s_wait_loadcnt_dscnt 0x101
	v_mul_f32_e32 v28, v0, v9
	v_mul_f32_e32 v9, v1, v9
	;; [unrolled: 1-line block ×4, first 2 shown]
	v_add_f32_e32 v13, v13, v217
	v_fmac_f32_e32 v28, v1, v8
	v_fma_f32 v30, v0, v8, -v9
	v_fmac_f32_e32 v29, v3, v10
	v_fma_f32 v31, v2, v10, -v11
	s_clause 0x1
	scratch_load_b128 v[0:3], off, off offset:440
	scratch_load_b128 v[8:11], off, off offset:456
	v_dual_add_f32 v12, v12, v222 :: v_dual_add_f32 v13, v13, v219
	s_delay_alu instid0(VALU_DEP_1) | instskip(SKIP_2) | instid1(VALU_DEP_1)
	v_dual_add_f32 v17, v12, v224 :: v_dual_add_f32 v16, v13, v221
	scratch_load_b128 v[12:15], off, off offset:472
	v_dual_add_f32 v17, v17, v226 :: v_dual_add_f32 v16, v16, v223
	v_dual_add_f32 v17, v17, v228 :: v_dual_add_f32 v16, v16, v225
	s_delay_alu instid0(VALU_DEP_1) | instskip(NEXT) | instid1(VALU_DEP_1)
	v_dual_add_f32 v17, v17, v230 :: v_dual_add_f32 v16, v16, v227
	v_dual_add_f32 v17, v17, v232 :: v_dual_add_f32 v16, v16, v229
	s_delay_alu instid0(VALU_DEP_1) | instskip(NEXT) | instid1(VALU_DEP_2)
	v_add_f32_e32 v26, v17, v234
	v_add_f32_e32 v20, v16, v231
	ds_load_2addr_b64 v[16:19], v32 offset0:119 offset1:120
	v_add_f32_e32 v157, v26, v236
	v_add_f32_e32 v27, v20, v233
	ds_load_2addr_b64 v[20:23], v32 offset0:121 offset1:122
	v_dual_add_f32 v157, v157, v238 :: v_dual_add_f32 v158, v27, v235
	ds_load_b64 v[26:27], v32 offset:984
	v_dual_add_f32 v157, v157, v240 :: v_dual_add_f32 v158, v158, v237
	s_delay_alu instid0(VALU_DEP_1) | instskip(NEXT) | instid1(VALU_DEP_1)
	v_dual_add_f32 v157, v157, v242 :: v_dual_add_f32 v158, v158, v239
	v_add_f32_e32 v30, v157, v30
	s_delay_alu instid0(VALU_DEP_2) | instskip(NEXT) | instid1(VALU_DEP_1)
	v_add_f32_e32 v158, v158, v241
	v_add_f32_e32 v28, v158, v28
	s_wait_loadcnt_dscnt 0x300
	v_mul_f32_e32 v158, v26, v25
	s_wait_loadcnt 0x2
	s_delay_alu instid0(VALU_DEP_1)
	v_dual_fmac_f32 v158, v27, v24 :: v_dual_mul_f32 v159, v4, v1
	v_dual_mul_f32 v1, v5, v1 :: v_dual_mul_f32 v160, v6, v3
	v_mul_f32_e32 v3, v7, v3
	s_wait_loadcnt 0x1
	v_mul_f32_e32 v163, v16, v9
	v_fmac_f32_e32 v159, v5, v0
	v_fma_f32 v0, v4, v0, -v1
	v_dual_add_f32 v1, v30, v31 :: v_dual_add_f32 v4, v28, v29
	v_dual_mul_f32 v5, v17, v9 :: v_dual_fmac_f32 v160, v7, v2
	v_fma_f32 v2, v6, v2, -v3
	s_delay_alu instid0(VALU_DEP_3)
	v_dual_add_f32 v0, v1, v0 :: v_dual_add_f32 v1, v4, v159
	v_mul_f32_e32 v164, v18, v11
	v_mul_f32_e32 v3, v19, v11
	v_fmac_f32_e32 v163, v17, v8
	v_fma_f32 v4, v16, v8, -v5
	v_dual_add_f32 v0, v0, v2 :: v_dual_add_f32 v1, v1, v160
	s_wait_loadcnt 0x0
	v_mul_f32_e32 v165, v20, v13
	v_mul_f32_e32 v2, v21, v13
	v_fmac_f32_e32 v164, v19, v10
	v_fma_f32 v3, v18, v10, -v3
	v_dual_add_f32 v0, v0, v4 :: v_dual_add_f32 v1, v1, v163
	v_mul_f32_e32 v157, v22, v15
	v_dual_mul_f32 v4, v23, v15 :: v_dual_fmac_f32 v165, v21, v12
	v_fma_f32 v2, v20, v12, -v2
	s_delay_alu instid0(VALU_DEP_4) | instskip(SKIP_3) | instid1(VALU_DEP_4)
	v_dual_add_f32 v0, v0, v3 :: v_dual_add_f32 v1, v1, v164
	v_mul_f32_e32 v3, v27, v25
	v_fmac_f32_e32 v157, v23, v14
	v_fma_f32 v4, v22, v14, -v4
	v_dual_add_f32 v0, v0, v2 :: v_dual_add_f32 v1, v1, v165
	s_delay_alu instid0(VALU_DEP_4) | instskip(NEXT) | instid1(VALU_DEP_2)
	v_fma_f32 v2, v26, v24, -v3
	v_dual_add_f32 v0, v0, v4 :: v_dual_add_f32 v1, v1, v157
	s_delay_alu instid0(VALU_DEP_1) | instskip(NEXT) | instid1(VALU_DEP_2)
	v_add_f32_e32 v0, v0, v2
	v_add_f32_e32 v1, v1, v158
	s_delay_alu instid0(VALU_DEP_1)
	v_dual_sub_f32 v0, v161, v0 :: v_dual_sub_f32 v1, v162, v1
	scratch_store_b64 off, v[0:1], off
	s_wait_alu 0xfffe
	s_cbranch_vccz .LBB125_508
; %bb.386:
	global_load_b32 v0, v32, s[2:3] offset:240
	s_wait_loadcnt 0x0
	v_cmp_ne_u32_e32 vcc_lo, 61, v0
	s_cbranch_vccz .LBB125_388
; %bb.387:
	v_lshlrev_b32_e32 v0, 3, v0
	s_delay_alu instid0(VALU_DEP_1)
	v_mov_b32_e32 v4, v0
	scratch_load_b64 v[0:1], v4, off offset:-8
	scratch_load_b64 v[2:3], off, off offset:480
	s_wait_loadcnt 0x1
	scratch_store_b64 off, v[0:1], off offset:480
	s_wait_loadcnt 0x0
	scratch_store_b64 v4, v[2:3], off offset:-8
.LBB125_388:
	v_mov_b32_e32 v0, 0
	global_load_b32 v1, v0, s[2:3] offset:236
	s_wait_loadcnt 0x0
	v_cmp_eq_u32_e32 vcc_lo, 60, v1
	s_cbranch_vccnz .LBB125_390
; %bb.389:
	v_lshlrev_b32_e32 v1, 3, v1
	s_delay_alu instid0(VALU_DEP_1)
	v_mov_b32_e32 v5, v1
	scratch_load_b64 v[1:2], v5, off offset:-8
	scratch_load_b64 v[3:4], off, off offset:472
	s_wait_loadcnt 0x1
	scratch_store_b64 off, v[1:2], off offset:472
	s_wait_loadcnt 0x0
	scratch_store_b64 v5, v[3:4], off offset:-8
.LBB125_390:
	global_load_b32 v0, v0, s[2:3] offset:232
	s_wait_loadcnt 0x0
	v_cmp_eq_u32_e32 vcc_lo, 59, v0
	s_cbranch_vccnz .LBB125_392
; %bb.391:
	v_lshlrev_b32_e32 v0, 3, v0
	s_delay_alu instid0(VALU_DEP_1)
	v_mov_b32_e32 v4, v0
	scratch_load_b64 v[0:1], v4, off offset:-8
	scratch_load_b64 v[2:3], off, off offset:464
	s_wait_loadcnt 0x1
	scratch_store_b64 off, v[0:1], off offset:464
	s_wait_loadcnt 0x0
	scratch_store_b64 v4, v[2:3], off offset:-8
.LBB125_392:
	v_mov_b32_e32 v0, 0
	global_load_b32 v1, v0, s[2:3] offset:228
	s_wait_loadcnt 0x0
	v_cmp_eq_u32_e32 vcc_lo, 58, v1
	s_cbranch_vccnz .LBB125_394
; %bb.393:
	v_lshlrev_b32_e32 v1, 3, v1
	s_delay_alu instid0(VALU_DEP_1)
	v_mov_b32_e32 v5, v1
	scratch_load_b64 v[1:2], v5, off offset:-8
	scratch_load_b64 v[3:4], off, off offset:456
	s_wait_loadcnt 0x1
	scratch_store_b64 off, v[1:2], off offset:456
	s_wait_loadcnt 0x0
	scratch_store_b64 v5, v[3:4], off offset:-8
.LBB125_394:
	global_load_b32 v0, v0, s[2:3] offset:224
	s_wait_loadcnt 0x0
	v_cmp_eq_u32_e32 vcc_lo, 57, v0
	s_cbranch_vccnz .LBB125_396
; %bb.395:
	v_lshlrev_b32_e32 v0, 3, v0
	s_delay_alu instid0(VALU_DEP_1)
	v_mov_b32_e32 v4, v0
	scratch_load_b64 v[0:1], v4, off offset:-8
	scratch_load_b64 v[2:3], off, off offset:448
	s_wait_loadcnt 0x1
	scratch_store_b64 off, v[0:1], off offset:448
	s_wait_loadcnt 0x0
	scratch_store_b64 v4, v[2:3], off offset:-8
.LBB125_396:
	;; [unrolled: 31-line block ×29, first 2 shown]
	v_mov_b32_e32 v0, 0
	global_load_b32 v1, v0, s[2:3] offset:4
	s_wait_loadcnt 0x0
	v_cmp_eq_u32_e32 vcc_lo, 2, v1
	s_cbranch_vccnz .LBB125_506
; %bb.505:
	v_lshlrev_b32_e32 v1, 3, v1
	s_delay_alu instid0(VALU_DEP_1)
	v_mov_b32_e32 v5, v1
	scratch_load_b64 v[1:2], v5, off offset:-8
	scratch_load_b64 v[3:4], off, off offset:8
	s_wait_loadcnt 0x1
	scratch_store_b64 off, v[1:2], off offset:8
	s_wait_loadcnt 0x0
	scratch_store_b64 v5, v[3:4], off offset:-8
.LBB125_506:
	global_load_b32 v0, v0, s[2:3]
	s_wait_loadcnt 0x0
	v_cmp_eq_u32_e32 vcc_lo, 1, v0
	s_cbranch_vccnz .LBB125_508
; %bb.507:
	v_lshlrev_b32_e32 v0, 3, v0
	s_delay_alu instid0(VALU_DEP_1)
	v_mov_b32_e32 v4, v0
	scratch_load_b64 v[0:1], v4, off offset:-8
	scratch_load_b64 v[2:3], off, off
	s_wait_loadcnt 0x1
	scratch_store_b64 off, v[0:1], off
	s_wait_loadcnt 0x0
	scratch_store_b64 v4, v[2:3], off offset:-8
.LBB125_508:
	scratch_load_b64 v[0:1], off, off
	s_wait_loadcnt 0x0
	flat_store_b64 v[33:34], v[0:1]
	scratch_load_b64 v[0:1], off, off offset:8
	s_wait_loadcnt 0x0
	flat_store_b64 v[35:36], v[0:1]
	scratch_load_b64 v[0:1], off, off offset:16
	;; [unrolled: 3-line block ×61, first 2 shown]
	s_wait_loadcnt 0x0
	flat_store_b64 v[155:156], v[0:1]
	s_nop 0
	s_sendmsg sendmsg(MSG_DEALLOC_VGPRS)
	s_endpgm
	.section	.rodata,"a",@progbits
	.p2align	6, 0x0
	.amdhsa_kernel _ZN9rocsolver6v33100L18getri_kernel_smallILi62E19rocblas_complex_numIfEPKPS3_EEvT1_iilPiilS8_bb
		.amdhsa_group_segment_fixed_size 996
		.amdhsa_private_segment_fixed_size 512
		.amdhsa_kernarg_size 60
		.amdhsa_user_sgpr_count 2
		.amdhsa_user_sgpr_dispatch_ptr 0
		.amdhsa_user_sgpr_queue_ptr 0
		.amdhsa_user_sgpr_kernarg_segment_ptr 1
		.amdhsa_user_sgpr_dispatch_id 0
		.amdhsa_user_sgpr_private_segment_size 0
		.amdhsa_wavefront_size32 1
		.amdhsa_uses_dynamic_stack 0
		.amdhsa_enable_private_segment 1
		.amdhsa_system_sgpr_workgroup_id_x 1
		.amdhsa_system_sgpr_workgroup_id_y 0
		.amdhsa_system_sgpr_workgroup_id_z 0
		.amdhsa_system_sgpr_workgroup_info 0
		.amdhsa_system_vgpr_workitem_id 0
		.amdhsa_next_free_vgpr 254
		.amdhsa_next_free_sgpr 19
		.amdhsa_reserve_vcc 1
		.amdhsa_float_round_mode_32 0
		.amdhsa_float_round_mode_16_64 0
		.amdhsa_float_denorm_mode_32 3
		.amdhsa_float_denorm_mode_16_64 3
		.amdhsa_fp16_overflow 0
		.amdhsa_workgroup_processor_mode 1
		.amdhsa_memory_ordered 1
		.amdhsa_forward_progress 1
		.amdhsa_inst_pref_size 255
		.amdhsa_round_robin_scheduling 0
		.amdhsa_exception_fp_ieee_invalid_op 0
		.amdhsa_exception_fp_denorm_src 0
		.amdhsa_exception_fp_ieee_div_zero 0
		.amdhsa_exception_fp_ieee_overflow 0
		.amdhsa_exception_fp_ieee_underflow 0
		.amdhsa_exception_fp_ieee_inexact 0
		.amdhsa_exception_int_div_zero 0
	.end_amdhsa_kernel
	.section	.text._ZN9rocsolver6v33100L18getri_kernel_smallILi62E19rocblas_complex_numIfEPKPS3_EEvT1_iilPiilS8_bb,"axG",@progbits,_ZN9rocsolver6v33100L18getri_kernel_smallILi62E19rocblas_complex_numIfEPKPS3_EEvT1_iilPiilS8_bb,comdat
.Lfunc_end125:
	.size	_ZN9rocsolver6v33100L18getri_kernel_smallILi62E19rocblas_complex_numIfEPKPS3_EEvT1_iilPiilS8_bb, .Lfunc_end125-_ZN9rocsolver6v33100L18getri_kernel_smallILi62E19rocblas_complex_numIfEPKPS3_EEvT1_iilPiilS8_bb
                                        ; -- End function
	.set _ZN9rocsolver6v33100L18getri_kernel_smallILi62E19rocblas_complex_numIfEPKPS3_EEvT1_iilPiilS8_bb.num_vgpr, 254
	.set _ZN9rocsolver6v33100L18getri_kernel_smallILi62E19rocblas_complex_numIfEPKPS3_EEvT1_iilPiilS8_bb.num_agpr, 0
	.set _ZN9rocsolver6v33100L18getri_kernel_smallILi62E19rocblas_complex_numIfEPKPS3_EEvT1_iilPiilS8_bb.numbered_sgpr, 19
	.set _ZN9rocsolver6v33100L18getri_kernel_smallILi62E19rocblas_complex_numIfEPKPS3_EEvT1_iilPiilS8_bb.num_named_barrier, 0
	.set _ZN9rocsolver6v33100L18getri_kernel_smallILi62E19rocblas_complex_numIfEPKPS3_EEvT1_iilPiilS8_bb.private_seg_size, 512
	.set _ZN9rocsolver6v33100L18getri_kernel_smallILi62E19rocblas_complex_numIfEPKPS3_EEvT1_iilPiilS8_bb.uses_vcc, 1
	.set _ZN9rocsolver6v33100L18getri_kernel_smallILi62E19rocblas_complex_numIfEPKPS3_EEvT1_iilPiilS8_bb.uses_flat_scratch, 1
	.set _ZN9rocsolver6v33100L18getri_kernel_smallILi62E19rocblas_complex_numIfEPKPS3_EEvT1_iilPiilS8_bb.has_dyn_sized_stack, 0
	.set _ZN9rocsolver6v33100L18getri_kernel_smallILi62E19rocblas_complex_numIfEPKPS3_EEvT1_iilPiilS8_bb.has_recursion, 0
	.set _ZN9rocsolver6v33100L18getri_kernel_smallILi62E19rocblas_complex_numIfEPKPS3_EEvT1_iilPiilS8_bb.has_indirect_call, 0
	.section	.AMDGPU.csdata,"",@progbits
; Kernel info:
; codeLenInByte = 124580
; TotalNumSgprs: 21
; NumVgprs: 254
; ScratchSize: 512
; MemoryBound: 0
; FloatMode: 240
; IeeeMode: 1
; LDSByteSize: 996 bytes/workgroup (compile time only)
; SGPRBlocks: 0
; VGPRBlocks: 31
; NumSGPRsForWavesPerEU: 21
; NumVGPRsForWavesPerEU: 254
; Occupancy: 5
; WaveLimiterHint : 1
; COMPUTE_PGM_RSRC2:SCRATCH_EN: 1
; COMPUTE_PGM_RSRC2:USER_SGPR: 2
; COMPUTE_PGM_RSRC2:TRAP_HANDLER: 0
; COMPUTE_PGM_RSRC2:TGID_X_EN: 1
; COMPUTE_PGM_RSRC2:TGID_Y_EN: 0
; COMPUTE_PGM_RSRC2:TGID_Z_EN: 0
; COMPUTE_PGM_RSRC2:TIDIG_COMP_CNT: 0
	.section	.text._ZN9rocsolver6v33100L18getri_kernel_smallILi63E19rocblas_complex_numIfEPKPS3_EEvT1_iilPiilS8_bb,"axG",@progbits,_ZN9rocsolver6v33100L18getri_kernel_smallILi63E19rocblas_complex_numIfEPKPS3_EEvT1_iilPiilS8_bb,comdat
	.globl	_ZN9rocsolver6v33100L18getri_kernel_smallILi63E19rocblas_complex_numIfEPKPS3_EEvT1_iilPiilS8_bb ; -- Begin function _ZN9rocsolver6v33100L18getri_kernel_smallILi63E19rocblas_complex_numIfEPKPS3_EEvT1_iilPiilS8_bb
	.p2align	8
	.type	_ZN9rocsolver6v33100L18getri_kernel_smallILi63E19rocblas_complex_numIfEPKPS3_EEvT1_iilPiilS8_bb,@function
_ZN9rocsolver6v33100L18getri_kernel_smallILi63E19rocblas_complex_numIfEPKPS3_EEvT1_iilPiilS8_bb: ; @_ZN9rocsolver6v33100L18getri_kernel_smallILi63E19rocblas_complex_numIfEPKPS3_EEvT1_iilPiilS8_bb
; %bb.0:
	s_mov_b32 s2, exec_lo
	v_cmpx_gt_u32_e32 63, v0
	s_cbranch_execz .LBB126_266
; %bb.1:
	s_clause 0x1
	s_load_b32 s13, s[0:1], 0x38
	s_load_b64 s[2:3], s[0:1], 0x0
	s_mov_b32 s8, ttmp9
	s_load_b128 s[4:7], s[0:1], 0x28
	s_wait_kmcnt 0x0
	s_bitcmp1_b32 s13, 8
	s_cselect_b32 s12, -1, 0
	s_ashr_i32 s9, ttmp9, 31
	s_delay_alu instid0(SALU_CYCLE_1) | instskip(NEXT) | instid1(SALU_CYCLE_1)
	s_lshl_b64 s[10:11], s[8:9], 3
	s_add_nc_u64 s[2:3], s[2:3], s[10:11]
	s_load_b64 s[10:11], s[2:3], 0x0
	s_bfe_u32 s2, s13, 0x10008
	s_delay_alu instid0(SALU_CYCLE_1)
	s_cmp_eq_u32 s2, 0
                                        ; implicit-def: $sgpr2_sgpr3
	s_cbranch_scc1 .LBB126_3
; %bb.2:
	s_load_b96 s[16:18], s[0:1], 0x18
	s_mul_u64 s[2:3], s[4:5], s[8:9]
	s_delay_alu instid0(SALU_CYCLE_1)
	s_lshl_b64 s[2:3], s[2:3], 2
	s_wait_kmcnt 0x0
	s_ashr_i32 s5, s18, 31
	s_mov_b32 s4, s18
	s_add_nc_u64 s[2:3], s[16:17], s[2:3]
	s_lshl_b64 s[4:5], s[4:5], 2
	s_delay_alu instid0(SALU_CYCLE_1)
	s_add_nc_u64 s[2:3], s[2:3], s[4:5]
.LBB126_3:
	s_clause 0x1
	s_load_b64 s[4:5], s[0:1], 0x8
	s_load_b32 s13, s[0:1], 0x38
	v_lshlrev_b32_e32 v7, 3, v0
	s_wait_kmcnt 0x0
	s_ashr_i32 s1, s4, 31
	s_mov_b32 s0, s4
	v_add3_u32 v3, s5, s5, v0
	s_lshl_b64 s[0:1], s[0:1], 3
	s_delay_alu instid0(SALU_CYCLE_1)
	s_add_nc_u64 s[0:1], s[10:11], s[0:1]
	s_ashr_i32 s11, s5, 31
	v_add_co_u32 v33, s4, s0, v7
	s_wait_alu 0xf1ff
	v_add_co_ci_u32_e64 v34, null, s1, 0, s4
	s_mov_b32 s10, s5
	v_ashrrev_i32_e32 v4, 31, v3
	s_lshl_b64 s[10:11], s[10:11], 3
	flat_load_b64 v[1:2], v[33:34]
	v_add_co_u32 v35, vcc_lo, v33, s10
	s_delay_alu instid0(VALU_DEP_1) | instskip(SKIP_3) | instid1(VALU_DEP_2)
	v_add_co_ci_u32_e64 v36, null, s11, v34, vcc_lo
	v_lshlrev_b64_e32 v[4:5], 3, v[3:4]
	v_add_nc_u32_e32 v3, s5, v3
	s_bitcmp0_b32 s13, 0
	v_add_co_u32 v37, vcc_lo, s0, v4
	s_wait_alu 0xfffd
	s_delay_alu instid0(VALU_DEP_3) | instskip(SKIP_1) | instid1(VALU_DEP_1)
	v_add_co_ci_u32_e64 v38, null, s1, v5, vcc_lo
	v_ashrrev_i32_e32 v4, 31, v3
	v_lshlrev_b64_e32 v[4:5], 3, v[3:4]
	v_add_nc_u32_e32 v3, s5, v3
	s_delay_alu instid0(VALU_DEP_2) | instskip(SKIP_1) | instid1(VALU_DEP_3)
	v_add_co_u32 v39, vcc_lo, s0, v4
	s_wait_alu 0xfffd
	v_add_co_ci_u32_e64 v40, null, s1, v5, vcc_lo
	s_delay_alu instid0(VALU_DEP_3) | instskip(NEXT) | instid1(VALU_DEP_1)
	v_ashrrev_i32_e32 v4, 31, v3
	v_lshlrev_b64_e32 v[4:5], 3, v[3:4]
	v_add_nc_u32_e32 v3, s5, v3
	s_delay_alu instid0(VALU_DEP_2) | instskip(SKIP_1) | instid1(VALU_DEP_3)
	v_add_co_u32 v41, vcc_lo, s0, v4
	s_wait_alu 0xfffd
	v_add_co_ci_u32_e64 v42, null, s1, v5, vcc_lo
	s_delay_alu instid0(VALU_DEP_3) | instskip(NEXT) | instid1(VALU_DEP_1)
	;; [unrolled: 8-line block ×20, first 2 shown]
	v_ashrrev_i32_e32 v4, 31, v3
	v_lshlrev_b64_e32 v[4:5], 3, v[3:4]
	s_wait_loadcnt_dscnt 0x0
	scratch_store_b64 off, v[1:2], off
	flat_load_b64 v[1:2], v[35:36]
	v_add_nc_u32_e32 v3, s5, v3
	v_add_co_u32 v79, vcc_lo, s0, v4
	s_wait_alu 0xfffd
	v_add_co_ci_u32_e64 v80, null, s1, v5, vcc_lo
	s_delay_alu instid0(VALU_DEP_3) | instskip(NEXT) | instid1(VALU_DEP_1)
	v_ashrrev_i32_e32 v4, 31, v3
	v_lshlrev_b64_e32 v[4:5], 3, v[3:4]
	v_add_nc_u32_e32 v3, s5, v3
	s_delay_alu instid0(VALU_DEP_2) | instskip(SKIP_1) | instid1(VALU_DEP_3)
	v_add_co_u32 v81, vcc_lo, s0, v4
	s_wait_alu 0xfffd
	v_add_co_ci_u32_e64 v82, null, s1, v5, vcc_lo
	s_delay_alu instid0(VALU_DEP_3) | instskip(NEXT) | instid1(VALU_DEP_1)
	v_ashrrev_i32_e32 v4, 31, v3
	v_lshlrev_b64_e32 v[4:5], 3, v[3:4]
	v_add_nc_u32_e32 v3, s5, v3
	s_delay_alu instid0(VALU_DEP_2) | instskip(SKIP_1) | instid1(VALU_DEP_3)
	;; [unrolled: 8-line block ×20, first 2 shown]
	v_add_co_u32 v119, vcc_lo, s0, v4
	s_wait_alu 0xfffd
	v_add_co_ci_u32_e64 v120, null, s1, v5, vcc_lo
	s_delay_alu instid0(VALU_DEP_3) | instskip(NEXT) | instid1(VALU_DEP_1)
	v_ashrrev_i32_e32 v4, 31, v3
	v_lshlrev_b64_e32 v[4:5], 3, v[3:4]
	v_add_nc_u32_e32 v3, s5, v3
	s_delay_alu instid0(VALU_DEP_2)
	v_add_co_u32 v121, vcc_lo, s0, v4
	s_wait_loadcnt_dscnt 0x0
	scratch_store_b64 off, v[1:2], off offset:8
	flat_load_b64 v[1:2], v[37:38]
	s_wait_alu 0xfffd
	v_add_co_ci_u32_e64 v122, null, s1, v5, vcc_lo
	v_ashrrev_i32_e32 v4, 31, v3
	s_delay_alu instid0(VALU_DEP_1) | instskip(SKIP_1) | instid1(VALU_DEP_2)
	v_lshlrev_b64_e32 v[4:5], 3, v[3:4]
	v_add_nc_u32_e32 v3, s5, v3
	v_add_co_u32 v123, vcc_lo, s0, v4
	s_wait_alu 0xfffd
	s_delay_alu instid0(VALU_DEP_3) | instskip(NEXT) | instid1(VALU_DEP_3)
	v_add_co_ci_u32_e64 v124, null, s1, v5, vcc_lo
	v_ashrrev_i32_e32 v4, 31, v3
	s_delay_alu instid0(VALU_DEP_1) | instskip(SKIP_1) | instid1(VALU_DEP_2)
	v_lshlrev_b64_e32 v[4:5], 3, v[3:4]
	v_add_nc_u32_e32 v3, s5, v3
	v_add_co_u32 v125, vcc_lo, s0, v4
	s_wait_alu 0xfffd
	s_delay_alu instid0(VALU_DEP_3) | instskip(NEXT) | instid1(VALU_DEP_3)
	;; [unrolled: 8-line block ×17, first 2 shown]
	v_add_co_ci_u32_e64 v156, null, s1, v5, vcc_lo
	v_ashrrev_i32_e32 v4, 31, v3
	s_delay_alu instid0(VALU_DEP_1) | instskip(NEXT) | instid1(VALU_DEP_1)
	v_lshlrev_b64_e32 v[3:4], 3, v[3:4]
	v_add_co_u32 v157, vcc_lo, s0, v3
	s_wait_alu 0xfffd
	s_delay_alu instid0(VALU_DEP_2)
	v_add_co_ci_u32_e64 v158, null, s1, v4, vcc_lo
	s_mov_b32 s1, -1
	s_wait_loadcnt_dscnt 0x0
	scratch_store_b64 off, v[1:2], off offset:16
	flat_load_b64 v[1:2], v[39:40]
	s_wait_loadcnt_dscnt 0x0
	scratch_store_b64 off, v[1:2], off offset:24
	flat_load_b64 v[1:2], v[41:42]
	;; [unrolled: 3-line block ×60, first 2 shown]
	s_wait_loadcnt_dscnt 0x0
	scratch_store_b64 off, v[1:2], off offset:496
	s_cbranch_scc1 .LBB126_264
; %bb.4:
	v_cmp_eq_u32_e64 s0, 0, v0
	s_and_saveexec_b32 s1, s0
; %bb.5:
	v_mov_b32_e32 v1, 0
	ds_store_b32 v1, v1 offset:504
; %bb.6:
	s_wait_alu 0xfffe
	s_or_b32 exec_lo, exec_lo, s1
	s_wait_storecnt_dscnt 0x0
	s_barrier_signal -1
	s_barrier_wait -1
	global_inv scope:SCOPE_SE
	scratch_load_b64 v[1:2], v7, off
	s_wait_loadcnt 0x0
	v_cmp_eq_f32_e32 vcc_lo, 0, v1
	v_cmp_eq_f32_e64 s1, 0, v2
	s_and_b32 s1, vcc_lo, s1
	s_wait_alu 0xfffe
	s_and_saveexec_b32 s4, s1
	s_cbranch_execz .LBB126_10
; %bb.7:
	v_mov_b32_e32 v1, 0
	s_mov_b32 s5, 0
	ds_load_b32 v2, v1 offset:504
	s_wait_dscnt 0x0
	v_readfirstlane_b32 s1, v2
	v_add_nc_u32_e32 v2, 1, v0
	s_cmp_eq_u32 s1, 0
	s_delay_alu instid0(VALU_DEP_1)
	v_cmp_gt_i32_e32 vcc_lo, s1, v2
	s_cselect_b32 s10, -1, 0
	s_wait_alu 0xfffe
	s_or_b32 s10, s10, vcc_lo
	s_wait_alu 0xfffe
	s_and_b32 exec_lo, exec_lo, s10
	s_cbranch_execz .LBB126_10
; %bb.8:
	v_mov_b32_e32 v3, s1
.LBB126_9:                              ; =>This Inner Loop Header: Depth=1
	ds_cmpstore_rtn_b32 v3, v1, v2, v3 offset:504
	s_wait_dscnt 0x0
	v_cmp_ne_u32_e32 vcc_lo, 0, v3
	v_cmp_le_i32_e64 s1, v3, v2
	s_and_b32 s1, vcc_lo, s1
	s_wait_alu 0xfffe
	s_and_b32 s1, exec_lo, s1
	s_wait_alu 0xfffe
	s_or_b32 s5, s1, s5
	s_wait_alu 0xfffe
	s_and_not1_b32 exec_lo, exec_lo, s5
	s_cbranch_execnz .LBB126_9
.LBB126_10:
	s_wait_alu 0xfffe
	s_or_b32 exec_lo, exec_lo, s4
	v_mov_b32_e32 v1, 0
	s_barrier_signal -1
	s_barrier_wait -1
	global_inv scope:SCOPE_SE
	ds_load_b32 v2, v1 offset:504
	s_and_saveexec_b32 s1, s0
	s_cbranch_execz .LBB126_12
; %bb.11:
	s_lshl_b64 s[4:5], s[8:9], 2
	s_wait_alu 0xfffe
	s_add_nc_u64 s[4:5], s[6:7], s[4:5]
	s_wait_dscnt 0x0
	global_store_b32 v1, v2, s[4:5]
.LBB126_12:
	s_wait_alu 0xfffe
	s_or_b32 exec_lo, exec_lo, s1
	s_wait_dscnt 0x0
	v_cmp_ne_u32_e32 vcc_lo, 0, v2
	s_mov_b32 s1, 0
	s_cbranch_vccnz .LBB126_264
; %bb.13:
	v_mov_b32_e32 v8, v7
                                        ; implicit-def: $vgpr3
                                        ; implicit-def: $vgpr5
	scratch_load_b64 v[1:2], v8, off
	s_wait_loadcnt 0x0
	v_cmp_ngt_f32_e64 s1, |v1|, |v2|
	s_wait_alu 0xfffe
	s_and_saveexec_b32 s4, s1
	s_wait_alu 0xfffe
	s_xor_b32 s1, exec_lo, s4
	s_cbranch_execz .LBB126_15
; %bb.14:
	v_div_scale_f32 v3, null, v2, v2, v1
	v_div_scale_f32 v6, vcc_lo, v1, v2, v1
	s_delay_alu instid0(VALU_DEP_2) | instskip(NEXT) | instid1(TRANS32_DEP_1)
	v_rcp_f32_e32 v4, v3
	v_fma_f32 v5, -v3, v4, 1.0
	s_delay_alu instid0(VALU_DEP_1) | instskip(NEXT) | instid1(VALU_DEP_1)
	v_fmac_f32_e32 v4, v5, v4
	v_mul_f32_e32 v5, v6, v4
	s_delay_alu instid0(VALU_DEP_1) | instskip(NEXT) | instid1(VALU_DEP_1)
	v_fma_f32 v9, -v3, v5, v6
	v_fmac_f32_e32 v5, v9, v4
	s_delay_alu instid0(VALU_DEP_1) | instskip(SKIP_1) | instid1(VALU_DEP_1)
	v_fma_f32 v3, -v3, v5, v6
	s_wait_alu 0xfffd
	v_div_fmas_f32 v3, v3, v4, v5
	s_delay_alu instid0(VALU_DEP_1) | instskip(NEXT) | instid1(VALU_DEP_1)
	v_div_fixup_f32 v3, v3, v2, v1
	v_fmac_f32_e32 v2, v1, v3
	s_delay_alu instid0(VALU_DEP_1) | instskip(NEXT) | instid1(VALU_DEP_1)
	v_div_scale_f32 v1, null, v2, v2, 1.0
	v_rcp_f32_e32 v4, v1
	s_delay_alu instid0(TRANS32_DEP_1) | instskip(NEXT) | instid1(VALU_DEP_1)
	v_fma_f32 v5, -v1, v4, 1.0
	v_fmac_f32_e32 v4, v5, v4
	v_div_scale_f32 v5, vcc_lo, 1.0, v2, 1.0
	s_delay_alu instid0(VALU_DEP_1) | instskip(NEXT) | instid1(VALU_DEP_1)
	v_mul_f32_e32 v6, v5, v4
	v_fma_f32 v9, -v1, v6, v5
	s_delay_alu instid0(VALU_DEP_1) | instskip(NEXT) | instid1(VALU_DEP_1)
	v_fmac_f32_e32 v6, v9, v4
	v_fma_f32 v1, -v1, v6, v5
	s_wait_alu 0xfffd
	s_delay_alu instid0(VALU_DEP_1) | instskip(NEXT) | instid1(VALU_DEP_1)
	v_div_fmas_f32 v1, v1, v4, v6
	v_div_fixup_f32 v1, v1, v2, 1.0
	s_delay_alu instid0(VALU_DEP_1) | instskip(SKIP_1) | instid1(VALU_DEP_2)
	v_mul_f32_e32 v3, v3, v1
	v_xor_b32_e32 v4, 0x80000000, v1
                                        ; implicit-def: $vgpr1_vgpr2
	v_xor_b32_e32 v5, 0x80000000, v3
.LBB126_15:
	s_wait_alu 0xfffe
	s_and_not1_saveexec_b32 s1, s1
	s_cbranch_execz .LBB126_17
; %bb.16:
	v_div_scale_f32 v3, null, v1, v1, v2
	v_div_scale_f32 v6, vcc_lo, v2, v1, v2
	s_delay_alu instid0(VALU_DEP_2) | instskip(NEXT) | instid1(TRANS32_DEP_1)
	v_rcp_f32_e32 v4, v3
	v_fma_f32 v5, -v3, v4, 1.0
	s_delay_alu instid0(VALU_DEP_1) | instskip(NEXT) | instid1(VALU_DEP_1)
	v_fmac_f32_e32 v4, v5, v4
	v_mul_f32_e32 v5, v6, v4
	s_delay_alu instid0(VALU_DEP_1) | instskip(NEXT) | instid1(VALU_DEP_1)
	v_fma_f32 v9, -v3, v5, v6
	v_fmac_f32_e32 v5, v9, v4
	s_delay_alu instid0(VALU_DEP_1) | instskip(SKIP_1) | instid1(VALU_DEP_1)
	v_fma_f32 v3, -v3, v5, v6
	s_wait_alu 0xfffd
	v_div_fmas_f32 v3, v3, v4, v5
	s_delay_alu instid0(VALU_DEP_1) | instskip(NEXT) | instid1(VALU_DEP_1)
	v_div_fixup_f32 v4, v3, v1, v2
	v_fmac_f32_e32 v1, v2, v4
	s_delay_alu instid0(VALU_DEP_1) | instskip(SKIP_1) | instid1(VALU_DEP_2)
	v_div_scale_f32 v2, null, v1, v1, 1.0
	v_div_scale_f32 v6, vcc_lo, 1.0, v1, 1.0
	v_rcp_f32_e32 v3, v2
	s_delay_alu instid0(TRANS32_DEP_1) | instskip(NEXT) | instid1(VALU_DEP_1)
	v_fma_f32 v5, -v2, v3, 1.0
	v_fmac_f32_e32 v3, v5, v3
	s_delay_alu instid0(VALU_DEP_1) | instskip(NEXT) | instid1(VALU_DEP_1)
	v_mul_f32_e32 v5, v6, v3
	v_fma_f32 v9, -v2, v5, v6
	s_delay_alu instid0(VALU_DEP_1) | instskip(NEXT) | instid1(VALU_DEP_1)
	v_fmac_f32_e32 v5, v9, v3
	v_fma_f32 v2, -v2, v5, v6
	s_wait_alu 0xfffd
	s_delay_alu instid0(VALU_DEP_1) | instskip(NEXT) | instid1(VALU_DEP_1)
	v_div_fmas_f32 v2, v2, v3, v5
	v_div_fixup_f32 v3, v2, v1, 1.0
	s_delay_alu instid0(VALU_DEP_1)
	v_xor_b32_e32 v5, 0x80000000, v3
	v_mul_f32_e64 v4, v4, -v3
.LBB126_17:
	s_wait_alu 0xfffe
	s_or_b32 exec_lo, exec_lo, s1
	scratch_store_b64 v8, v[3:4], off
	scratch_load_b64 v[2:3], off, off offset:8
	v_xor_b32_e32 v6, 0x80000000, v4
	v_or_b32_e32 v1, 0x200, v7
	s_wait_loadcnt 0x0
	ds_store_2addr_stride64_b64 v7, v[5:6], v[2:3] offset1:1
	s_wait_storecnt_dscnt 0x0
	s_barrier_signal -1
	s_barrier_wait -1
	global_inv scope:SCOPE_SE
	s_and_saveexec_b32 s1, s0
	s_cbranch_execz .LBB126_19
; %bb.18:
	scratch_load_b64 v[2:3], v8, off
	ds_load_b64 v[4:5], v1
	v_mov_b32_e32 v6, 0
	ds_load_b64 v[9:10], v6 offset:8
	s_wait_loadcnt_dscnt 0x1
	v_mul_f32_e32 v6, v4, v3
	v_mul_f32_e32 v3, v5, v3
	s_delay_alu instid0(VALU_DEP_2) | instskip(NEXT) | instid1(VALU_DEP_2)
	v_fmac_f32_e32 v6, v5, v2
	v_fma_f32 v2, v4, v2, -v3
	s_delay_alu instid0(VALU_DEP_2) | instskip(NEXT) | instid1(VALU_DEP_2)
	v_add_f32_e32 v4, 0, v6
	v_add_f32_e32 v2, 0, v2
	s_wait_dscnt 0x0
	s_delay_alu instid0(VALU_DEP_2) | instskip(NEXT) | instid1(VALU_DEP_2)
	v_mul_f32_e32 v5, v4, v10
	v_mul_f32_e32 v3, v2, v10
	s_delay_alu instid0(VALU_DEP_2) | instskip(NEXT) | instid1(VALU_DEP_2)
	v_fma_f32 v2, v2, v9, -v5
	v_fmac_f32_e32 v3, v4, v9
	scratch_store_b64 off, v[2:3], off offset:8
.LBB126_19:
	s_wait_alu 0xfffe
	s_or_b32 exec_lo, exec_lo, s1
	s_wait_loadcnt 0x0
	s_wait_storecnt 0x0
	s_barrier_signal -1
	s_barrier_wait -1
	global_inv scope:SCOPE_SE
	scratch_load_b64 v[2:3], off, off offset:16
	s_mov_b32 s1, exec_lo
	s_wait_loadcnt 0x0
	ds_store_b64 v1, v[2:3]
	s_wait_dscnt 0x0
	s_barrier_signal -1
	s_barrier_wait -1
	global_inv scope:SCOPE_SE
	v_cmpx_gt_u32_e32 2, v0
	s_cbranch_execz .LBB126_23
; %bb.20:
	scratch_load_b64 v[2:3], v8, off
	ds_load_b64 v[4:5], v1
	s_wait_loadcnt_dscnt 0x0
	v_mul_f32_e32 v6, v5, v3
	v_mul_f32_e32 v9, v4, v3
	s_delay_alu instid0(VALU_DEP_2) | instskip(NEXT) | instid1(VALU_DEP_2)
	v_fma_f32 v3, v4, v2, -v6
	v_fmac_f32_e32 v9, v5, v2
	s_delay_alu instid0(VALU_DEP_1)
	v_dual_add_f32 v3, 0, v3 :: v_dual_add_f32 v2, 0, v9
	s_and_saveexec_b32 s4, s0
	s_cbranch_execz .LBB126_22
; %bb.21:
	scratch_load_b64 v[4:5], off, off offset:8
	v_mov_b32_e32 v6, 0
	ds_load_b64 v[9:10], v6 offset:520
	s_wait_loadcnt_dscnt 0x0
	v_mul_f32_e32 v6, v9, v5
	v_mul_f32_e32 v5, v10, v5
	s_delay_alu instid0(VALU_DEP_2) | instskip(NEXT) | instid1(VALU_DEP_2)
	v_fmac_f32_e32 v6, v10, v4
	v_fma_f32 v4, v9, v4, -v5
	s_delay_alu instid0(VALU_DEP_1)
	v_dual_add_f32 v2, v2, v6 :: v_dual_add_f32 v3, v3, v4
.LBB126_22:
	s_wait_alu 0xfffe
	s_or_b32 exec_lo, exec_lo, s4
	v_mov_b32_e32 v4, 0
	ds_load_b64 v[4:5], v4 offset:16
	s_wait_dscnt 0x0
	v_mul_f32_e32 v9, v2, v5
	v_mul_f32_e32 v6, v3, v5
	s_delay_alu instid0(VALU_DEP_2) | instskip(NEXT) | instid1(VALU_DEP_2)
	v_fma_f32 v5, v3, v4, -v9
	v_fmac_f32_e32 v6, v2, v4
	scratch_store_b64 off, v[5:6], off offset:16
.LBB126_23:
	s_wait_alu 0xfffe
	s_or_b32 exec_lo, exec_lo, s1
	s_wait_loadcnt 0x0
	s_wait_storecnt 0x0
	s_barrier_signal -1
	s_barrier_wait -1
	global_inv scope:SCOPE_SE
	scratch_load_b64 v[3:4], off, off offset:24
	v_add_nc_u32_e32 v2, -1, v0
	s_mov_b32 s0, exec_lo
	s_wait_loadcnt 0x0
	ds_store_b64 v1, v[3:4]
	s_wait_dscnt 0x0
	s_barrier_signal -1
	s_barrier_wait -1
	global_inv scope:SCOPE_SE
	v_cmpx_gt_u32_e32 3, v0
	s_cbranch_execz .LBB126_27
; %bb.24:
	v_dual_mov_b32 v3, 0 :: v_dual_add_nc_u32 v4, -1, v0
	v_or_b32_e32 v5, 0x200, v7
	v_dual_mov_b32 v6, v7 :: v_dual_mov_b32 v9, 0
	s_mov_b32 s1, 0
.LBB126_25:                             ; =>This Inner Loop Header: Depth=1
	scratch_load_b64 v[10:11], v6, off
	ds_load_b64 v[12:13], v5
	v_add_nc_u32_e32 v4, 1, v4
	v_add_nc_u32_e32 v5, 8, v5
	s_delay_alu instid0(VALU_DEP_2)
	v_cmp_lt_u32_e32 vcc_lo, 1, v4
	s_wait_alu 0xfffe
	s_or_b32 s1, vcc_lo, s1
	s_wait_loadcnt_dscnt 0x0
	v_mul_f32_e32 v14, v13, v11
	v_mul_f32_e32 v11, v12, v11
	s_delay_alu instid0(VALU_DEP_2) | instskip(NEXT) | instid1(VALU_DEP_2)
	v_fma_f32 v12, v12, v10, -v14
	v_fmac_f32_e32 v11, v13, v10
	s_delay_alu instid0(VALU_DEP_2) | instskip(NEXT) | instid1(VALU_DEP_2)
	v_dual_add_f32 v9, v9, v12 :: v_dual_add_nc_u32 v6, 8, v6
	v_add_f32_e32 v3, v3, v11
	s_wait_alu 0xfffe
	s_and_not1_b32 exec_lo, exec_lo, s1
	s_cbranch_execnz .LBB126_25
; %bb.26:
	s_or_b32 exec_lo, exec_lo, s1
	v_mov_b32_e32 v4, 0
	ds_load_b64 v[4:5], v4 offset:24
	s_wait_dscnt 0x0
	v_mul_f32_e32 v10, v3, v5
	v_mul_f32_e32 v6, v9, v5
	s_delay_alu instid0(VALU_DEP_2) | instskip(NEXT) | instid1(VALU_DEP_2)
	v_fma_f32 v5, v9, v4, -v10
	v_fmac_f32_e32 v6, v3, v4
	scratch_store_b64 off, v[5:6], off offset:24
.LBB126_27:
	s_wait_alu 0xfffe
	s_or_b32 exec_lo, exec_lo, s0
	s_wait_loadcnt 0x0
	s_wait_storecnt 0x0
	s_barrier_signal -1
	s_barrier_wait -1
	global_inv scope:SCOPE_SE
	scratch_load_b64 v[3:4], off, off offset:32
	s_mov_b32 s0, exec_lo
	s_wait_loadcnt 0x0
	ds_store_b64 v1, v[3:4]
	s_wait_dscnt 0x0
	s_barrier_signal -1
	s_barrier_wait -1
	global_inv scope:SCOPE_SE
	v_cmpx_gt_u32_e32 4, v0
	s_cbranch_execz .LBB126_31
; %bb.28:
	v_dual_mov_b32 v3, 0 :: v_dual_add_nc_u32 v4, -1, v0
	v_or_b32_e32 v5, 0x200, v7
	v_dual_mov_b32 v6, v7 :: v_dual_mov_b32 v9, 0
	s_mov_b32 s1, 0
.LBB126_29:                             ; =>This Inner Loop Header: Depth=1
	scratch_load_b64 v[10:11], v6, off
	ds_load_b64 v[12:13], v5
	v_add_nc_u32_e32 v4, 1, v4
	v_add_nc_u32_e32 v5, 8, v5
	s_delay_alu instid0(VALU_DEP_2)
	v_cmp_lt_u32_e32 vcc_lo, 2, v4
	s_wait_alu 0xfffe
	s_or_b32 s1, vcc_lo, s1
	s_wait_loadcnt_dscnt 0x0
	v_mul_f32_e32 v14, v13, v11
	v_mul_f32_e32 v11, v12, v11
	s_delay_alu instid0(VALU_DEP_2) | instskip(NEXT) | instid1(VALU_DEP_2)
	v_fma_f32 v12, v12, v10, -v14
	v_fmac_f32_e32 v11, v13, v10
	s_delay_alu instid0(VALU_DEP_2) | instskip(NEXT) | instid1(VALU_DEP_2)
	v_dual_add_f32 v9, v9, v12 :: v_dual_add_nc_u32 v6, 8, v6
	v_add_f32_e32 v3, v3, v11
	s_wait_alu 0xfffe
	s_and_not1_b32 exec_lo, exec_lo, s1
	s_cbranch_execnz .LBB126_29
; %bb.30:
	s_or_b32 exec_lo, exec_lo, s1
	v_mov_b32_e32 v4, 0
	ds_load_b64 v[4:5], v4 offset:32
	s_wait_dscnt 0x0
	v_mul_f32_e32 v10, v3, v5
	v_mul_f32_e32 v6, v9, v5
	s_delay_alu instid0(VALU_DEP_2) | instskip(NEXT) | instid1(VALU_DEP_2)
	v_fma_f32 v5, v9, v4, -v10
	v_fmac_f32_e32 v6, v3, v4
	scratch_store_b64 off, v[5:6], off offset:32
.LBB126_31:
	s_wait_alu 0xfffe
	s_or_b32 exec_lo, exec_lo, s0
	s_wait_loadcnt 0x0
	s_wait_storecnt 0x0
	s_barrier_signal -1
	s_barrier_wait -1
	global_inv scope:SCOPE_SE
	scratch_load_b64 v[3:4], off, off offset:40
	s_mov_b32 s0, exec_lo
	s_wait_loadcnt 0x0
	ds_store_b64 v1, v[3:4]
	s_wait_dscnt 0x0
	s_barrier_signal -1
	s_barrier_wait -1
	global_inv scope:SCOPE_SE
	v_cmpx_gt_u32_e32 5, v0
	s_cbranch_execz .LBB126_35
; %bb.32:
	v_dual_mov_b32 v3, 0 :: v_dual_add_nc_u32 v4, -1, v0
	v_or_b32_e32 v5, 0x200, v7
	v_dual_mov_b32 v6, v7 :: v_dual_mov_b32 v9, 0
	s_mov_b32 s1, 0
.LBB126_33:                             ; =>This Inner Loop Header: Depth=1
	scratch_load_b64 v[10:11], v6, off
	ds_load_b64 v[12:13], v5
	v_add_nc_u32_e32 v4, 1, v4
	v_add_nc_u32_e32 v5, 8, v5
	s_delay_alu instid0(VALU_DEP_2)
	v_cmp_lt_u32_e32 vcc_lo, 3, v4
	s_wait_alu 0xfffe
	s_or_b32 s1, vcc_lo, s1
	s_wait_loadcnt_dscnt 0x0
	v_mul_f32_e32 v14, v13, v11
	v_mul_f32_e32 v11, v12, v11
	s_delay_alu instid0(VALU_DEP_2) | instskip(NEXT) | instid1(VALU_DEP_2)
	v_fma_f32 v12, v12, v10, -v14
	v_fmac_f32_e32 v11, v13, v10
	s_delay_alu instid0(VALU_DEP_2) | instskip(NEXT) | instid1(VALU_DEP_2)
	v_dual_add_f32 v9, v9, v12 :: v_dual_add_nc_u32 v6, 8, v6
	v_add_f32_e32 v3, v3, v11
	s_wait_alu 0xfffe
	s_and_not1_b32 exec_lo, exec_lo, s1
	s_cbranch_execnz .LBB126_33
; %bb.34:
	s_or_b32 exec_lo, exec_lo, s1
	v_mov_b32_e32 v4, 0
	ds_load_b64 v[4:5], v4 offset:40
	s_wait_dscnt 0x0
	v_mul_f32_e32 v10, v3, v5
	v_mul_f32_e32 v6, v9, v5
	s_delay_alu instid0(VALU_DEP_2) | instskip(NEXT) | instid1(VALU_DEP_2)
	v_fma_f32 v5, v9, v4, -v10
	v_fmac_f32_e32 v6, v3, v4
	scratch_store_b64 off, v[5:6], off offset:40
.LBB126_35:
	s_wait_alu 0xfffe
	s_or_b32 exec_lo, exec_lo, s0
	s_wait_loadcnt 0x0
	s_wait_storecnt 0x0
	s_barrier_signal -1
	s_barrier_wait -1
	global_inv scope:SCOPE_SE
	scratch_load_b64 v[3:4], off, off offset:48
	s_mov_b32 s0, exec_lo
	s_wait_loadcnt 0x0
	ds_store_b64 v1, v[3:4]
	s_wait_dscnt 0x0
	s_barrier_signal -1
	s_barrier_wait -1
	global_inv scope:SCOPE_SE
	v_cmpx_gt_u32_e32 6, v0
	s_cbranch_execz .LBB126_39
; %bb.36:
	v_dual_mov_b32 v3, 0 :: v_dual_add_nc_u32 v4, -1, v0
	v_or_b32_e32 v5, 0x200, v7
	v_dual_mov_b32 v6, v7 :: v_dual_mov_b32 v9, 0
	s_mov_b32 s1, 0
.LBB126_37:                             ; =>This Inner Loop Header: Depth=1
	scratch_load_b64 v[10:11], v6, off
	ds_load_b64 v[12:13], v5
	v_add_nc_u32_e32 v4, 1, v4
	v_add_nc_u32_e32 v5, 8, v5
	s_delay_alu instid0(VALU_DEP_2)
	v_cmp_lt_u32_e32 vcc_lo, 4, v4
	s_wait_alu 0xfffe
	s_or_b32 s1, vcc_lo, s1
	s_wait_loadcnt_dscnt 0x0
	v_mul_f32_e32 v14, v13, v11
	v_mul_f32_e32 v11, v12, v11
	s_delay_alu instid0(VALU_DEP_2) | instskip(NEXT) | instid1(VALU_DEP_2)
	v_fma_f32 v12, v12, v10, -v14
	v_fmac_f32_e32 v11, v13, v10
	s_delay_alu instid0(VALU_DEP_2) | instskip(NEXT) | instid1(VALU_DEP_2)
	v_dual_add_f32 v9, v9, v12 :: v_dual_add_nc_u32 v6, 8, v6
	v_add_f32_e32 v3, v3, v11
	s_wait_alu 0xfffe
	s_and_not1_b32 exec_lo, exec_lo, s1
	s_cbranch_execnz .LBB126_37
; %bb.38:
	s_or_b32 exec_lo, exec_lo, s1
	v_mov_b32_e32 v4, 0
	ds_load_b64 v[4:5], v4 offset:48
	s_wait_dscnt 0x0
	v_mul_f32_e32 v10, v3, v5
	v_mul_f32_e32 v6, v9, v5
	s_delay_alu instid0(VALU_DEP_2) | instskip(NEXT) | instid1(VALU_DEP_2)
	v_fma_f32 v5, v9, v4, -v10
	v_fmac_f32_e32 v6, v3, v4
	scratch_store_b64 off, v[5:6], off offset:48
.LBB126_39:
	s_wait_alu 0xfffe
	s_or_b32 exec_lo, exec_lo, s0
	s_wait_loadcnt 0x0
	s_wait_storecnt 0x0
	s_barrier_signal -1
	s_barrier_wait -1
	global_inv scope:SCOPE_SE
	scratch_load_b64 v[3:4], off, off offset:56
	s_mov_b32 s0, exec_lo
	s_wait_loadcnt 0x0
	ds_store_b64 v1, v[3:4]
	s_wait_dscnt 0x0
	s_barrier_signal -1
	s_barrier_wait -1
	global_inv scope:SCOPE_SE
	v_cmpx_gt_u32_e32 7, v0
	s_cbranch_execz .LBB126_43
; %bb.40:
	v_dual_mov_b32 v3, 0 :: v_dual_add_nc_u32 v4, -1, v0
	v_or_b32_e32 v5, 0x200, v7
	v_dual_mov_b32 v6, v7 :: v_dual_mov_b32 v9, 0
	s_mov_b32 s1, 0
.LBB126_41:                             ; =>This Inner Loop Header: Depth=1
	scratch_load_b64 v[10:11], v6, off
	ds_load_b64 v[12:13], v5
	v_add_nc_u32_e32 v4, 1, v4
	v_add_nc_u32_e32 v5, 8, v5
	s_delay_alu instid0(VALU_DEP_2)
	v_cmp_lt_u32_e32 vcc_lo, 5, v4
	s_wait_alu 0xfffe
	s_or_b32 s1, vcc_lo, s1
	s_wait_loadcnt_dscnt 0x0
	v_mul_f32_e32 v14, v13, v11
	v_mul_f32_e32 v11, v12, v11
	s_delay_alu instid0(VALU_DEP_2) | instskip(NEXT) | instid1(VALU_DEP_2)
	v_fma_f32 v12, v12, v10, -v14
	v_fmac_f32_e32 v11, v13, v10
	s_delay_alu instid0(VALU_DEP_2) | instskip(NEXT) | instid1(VALU_DEP_2)
	v_dual_add_f32 v9, v9, v12 :: v_dual_add_nc_u32 v6, 8, v6
	v_add_f32_e32 v3, v3, v11
	s_wait_alu 0xfffe
	s_and_not1_b32 exec_lo, exec_lo, s1
	s_cbranch_execnz .LBB126_41
; %bb.42:
	s_or_b32 exec_lo, exec_lo, s1
	v_mov_b32_e32 v4, 0
	ds_load_b64 v[4:5], v4 offset:56
	s_wait_dscnt 0x0
	v_mul_f32_e32 v10, v3, v5
	v_mul_f32_e32 v6, v9, v5
	s_delay_alu instid0(VALU_DEP_2) | instskip(NEXT) | instid1(VALU_DEP_2)
	v_fma_f32 v5, v9, v4, -v10
	v_fmac_f32_e32 v6, v3, v4
	scratch_store_b64 off, v[5:6], off offset:56
.LBB126_43:
	s_wait_alu 0xfffe
	s_or_b32 exec_lo, exec_lo, s0
	s_wait_loadcnt 0x0
	s_wait_storecnt 0x0
	s_barrier_signal -1
	s_barrier_wait -1
	global_inv scope:SCOPE_SE
	scratch_load_b64 v[3:4], off, off offset:64
	s_mov_b32 s0, exec_lo
	s_wait_loadcnt 0x0
	ds_store_b64 v1, v[3:4]
	s_wait_dscnt 0x0
	s_barrier_signal -1
	s_barrier_wait -1
	global_inv scope:SCOPE_SE
	v_cmpx_gt_u32_e32 8, v0
	s_cbranch_execz .LBB126_47
; %bb.44:
	v_dual_mov_b32 v3, 0 :: v_dual_add_nc_u32 v4, -1, v0
	v_or_b32_e32 v5, 0x200, v7
	v_dual_mov_b32 v6, v7 :: v_dual_mov_b32 v9, 0
	s_mov_b32 s1, 0
.LBB126_45:                             ; =>This Inner Loop Header: Depth=1
	scratch_load_b64 v[10:11], v6, off
	ds_load_b64 v[12:13], v5
	v_add_nc_u32_e32 v4, 1, v4
	v_add_nc_u32_e32 v5, 8, v5
	s_delay_alu instid0(VALU_DEP_2)
	v_cmp_lt_u32_e32 vcc_lo, 6, v4
	s_wait_alu 0xfffe
	s_or_b32 s1, vcc_lo, s1
	s_wait_loadcnt_dscnt 0x0
	v_mul_f32_e32 v14, v13, v11
	v_mul_f32_e32 v11, v12, v11
	s_delay_alu instid0(VALU_DEP_2) | instskip(NEXT) | instid1(VALU_DEP_2)
	v_fma_f32 v12, v12, v10, -v14
	v_fmac_f32_e32 v11, v13, v10
	s_delay_alu instid0(VALU_DEP_2) | instskip(NEXT) | instid1(VALU_DEP_2)
	v_dual_add_f32 v9, v9, v12 :: v_dual_add_nc_u32 v6, 8, v6
	v_add_f32_e32 v3, v3, v11
	s_wait_alu 0xfffe
	s_and_not1_b32 exec_lo, exec_lo, s1
	s_cbranch_execnz .LBB126_45
; %bb.46:
	s_or_b32 exec_lo, exec_lo, s1
	v_mov_b32_e32 v4, 0
	ds_load_b64 v[4:5], v4 offset:64
	s_wait_dscnt 0x0
	v_mul_f32_e32 v10, v3, v5
	v_mul_f32_e32 v6, v9, v5
	s_delay_alu instid0(VALU_DEP_2) | instskip(NEXT) | instid1(VALU_DEP_2)
	v_fma_f32 v5, v9, v4, -v10
	v_fmac_f32_e32 v6, v3, v4
	scratch_store_b64 off, v[5:6], off offset:64
.LBB126_47:
	s_wait_alu 0xfffe
	s_or_b32 exec_lo, exec_lo, s0
	s_wait_loadcnt 0x0
	s_wait_storecnt 0x0
	s_barrier_signal -1
	s_barrier_wait -1
	global_inv scope:SCOPE_SE
	scratch_load_b64 v[3:4], off, off offset:72
	s_mov_b32 s0, exec_lo
	s_wait_loadcnt 0x0
	ds_store_b64 v1, v[3:4]
	s_wait_dscnt 0x0
	s_barrier_signal -1
	s_barrier_wait -1
	global_inv scope:SCOPE_SE
	v_cmpx_gt_u32_e32 9, v0
	s_cbranch_execz .LBB126_51
; %bb.48:
	v_dual_mov_b32 v3, 0 :: v_dual_add_nc_u32 v4, -1, v0
	v_or_b32_e32 v5, 0x200, v7
	v_dual_mov_b32 v6, v7 :: v_dual_mov_b32 v9, 0
	s_mov_b32 s1, 0
.LBB126_49:                             ; =>This Inner Loop Header: Depth=1
	scratch_load_b64 v[10:11], v6, off
	ds_load_b64 v[12:13], v5
	v_add_nc_u32_e32 v4, 1, v4
	v_add_nc_u32_e32 v5, 8, v5
	s_delay_alu instid0(VALU_DEP_2)
	v_cmp_lt_u32_e32 vcc_lo, 7, v4
	s_wait_alu 0xfffe
	s_or_b32 s1, vcc_lo, s1
	s_wait_loadcnt_dscnt 0x0
	v_mul_f32_e32 v14, v13, v11
	v_mul_f32_e32 v11, v12, v11
	s_delay_alu instid0(VALU_DEP_2) | instskip(NEXT) | instid1(VALU_DEP_2)
	v_fma_f32 v12, v12, v10, -v14
	v_fmac_f32_e32 v11, v13, v10
	s_delay_alu instid0(VALU_DEP_2) | instskip(NEXT) | instid1(VALU_DEP_2)
	v_dual_add_f32 v9, v9, v12 :: v_dual_add_nc_u32 v6, 8, v6
	v_add_f32_e32 v3, v3, v11
	s_wait_alu 0xfffe
	s_and_not1_b32 exec_lo, exec_lo, s1
	s_cbranch_execnz .LBB126_49
; %bb.50:
	s_or_b32 exec_lo, exec_lo, s1
	v_mov_b32_e32 v4, 0
	ds_load_b64 v[4:5], v4 offset:72
	s_wait_dscnt 0x0
	v_mul_f32_e32 v10, v3, v5
	v_mul_f32_e32 v6, v9, v5
	s_delay_alu instid0(VALU_DEP_2) | instskip(NEXT) | instid1(VALU_DEP_2)
	v_fma_f32 v5, v9, v4, -v10
	v_fmac_f32_e32 v6, v3, v4
	scratch_store_b64 off, v[5:6], off offset:72
.LBB126_51:
	s_wait_alu 0xfffe
	s_or_b32 exec_lo, exec_lo, s0
	s_wait_loadcnt 0x0
	s_wait_storecnt 0x0
	s_barrier_signal -1
	s_barrier_wait -1
	global_inv scope:SCOPE_SE
	scratch_load_b64 v[3:4], off, off offset:80
	s_mov_b32 s0, exec_lo
	s_wait_loadcnt 0x0
	ds_store_b64 v1, v[3:4]
	s_wait_dscnt 0x0
	s_barrier_signal -1
	s_barrier_wait -1
	global_inv scope:SCOPE_SE
	v_cmpx_gt_u32_e32 10, v0
	s_cbranch_execz .LBB126_55
; %bb.52:
	v_dual_mov_b32 v3, 0 :: v_dual_add_nc_u32 v4, -1, v0
	v_or_b32_e32 v5, 0x200, v7
	v_dual_mov_b32 v6, v7 :: v_dual_mov_b32 v9, 0
	s_mov_b32 s1, 0
.LBB126_53:                             ; =>This Inner Loop Header: Depth=1
	scratch_load_b64 v[10:11], v6, off
	ds_load_b64 v[12:13], v5
	v_add_nc_u32_e32 v4, 1, v4
	v_add_nc_u32_e32 v5, 8, v5
	s_delay_alu instid0(VALU_DEP_2)
	v_cmp_lt_u32_e32 vcc_lo, 8, v4
	s_wait_alu 0xfffe
	s_or_b32 s1, vcc_lo, s1
	s_wait_loadcnt_dscnt 0x0
	v_mul_f32_e32 v14, v13, v11
	v_mul_f32_e32 v11, v12, v11
	s_delay_alu instid0(VALU_DEP_2) | instskip(NEXT) | instid1(VALU_DEP_2)
	v_fma_f32 v12, v12, v10, -v14
	v_fmac_f32_e32 v11, v13, v10
	s_delay_alu instid0(VALU_DEP_2) | instskip(NEXT) | instid1(VALU_DEP_2)
	v_dual_add_f32 v9, v9, v12 :: v_dual_add_nc_u32 v6, 8, v6
	v_add_f32_e32 v3, v3, v11
	s_wait_alu 0xfffe
	s_and_not1_b32 exec_lo, exec_lo, s1
	s_cbranch_execnz .LBB126_53
; %bb.54:
	s_or_b32 exec_lo, exec_lo, s1
	v_mov_b32_e32 v4, 0
	ds_load_b64 v[4:5], v4 offset:80
	s_wait_dscnt 0x0
	v_mul_f32_e32 v10, v3, v5
	v_mul_f32_e32 v6, v9, v5
	s_delay_alu instid0(VALU_DEP_2) | instskip(NEXT) | instid1(VALU_DEP_2)
	v_fma_f32 v5, v9, v4, -v10
	v_fmac_f32_e32 v6, v3, v4
	scratch_store_b64 off, v[5:6], off offset:80
.LBB126_55:
	s_wait_alu 0xfffe
	s_or_b32 exec_lo, exec_lo, s0
	s_wait_loadcnt 0x0
	s_wait_storecnt 0x0
	s_barrier_signal -1
	s_barrier_wait -1
	global_inv scope:SCOPE_SE
	scratch_load_b64 v[3:4], off, off offset:88
	s_mov_b32 s0, exec_lo
	s_wait_loadcnt 0x0
	ds_store_b64 v1, v[3:4]
	s_wait_dscnt 0x0
	s_barrier_signal -1
	s_barrier_wait -1
	global_inv scope:SCOPE_SE
	v_cmpx_gt_u32_e32 11, v0
	s_cbranch_execz .LBB126_59
; %bb.56:
	v_dual_mov_b32 v3, 0 :: v_dual_add_nc_u32 v4, -1, v0
	v_or_b32_e32 v5, 0x200, v7
	v_dual_mov_b32 v6, v7 :: v_dual_mov_b32 v9, 0
	s_mov_b32 s1, 0
.LBB126_57:                             ; =>This Inner Loop Header: Depth=1
	scratch_load_b64 v[10:11], v6, off
	ds_load_b64 v[12:13], v5
	v_add_nc_u32_e32 v4, 1, v4
	v_add_nc_u32_e32 v5, 8, v5
	s_delay_alu instid0(VALU_DEP_2)
	v_cmp_lt_u32_e32 vcc_lo, 9, v4
	s_wait_alu 0xfffe
	s_or_b32 s1, vcc_lo, s1
	s_wait_loadcnt_dscnt 0x0
	v_mul_f32_e32 v14, v13, v11
	v_mul_f32_e32 v11, v12, v11
	s_delay_alu instid0(VALU_DEP_2) | instskip(NEXT) | instid1(VALU_DEP_2)
	v_fma_f32 v12, v12, v10, -v14
	v_fmac_f32_e32 v11, v13, v10
	s_delay_alu instid0(VALU_DEP_2) | instskip(NEXT) | instid1(VALU_DEP_2)
	v_dual_add_f32 v9, v9, v12 :: v_dual_add_nc_u32 v6, 8, v6
	v_add_f32_e32 v3, v3, v11
	s_wait_alu 0xfffe
	s_and_not1_b32 exec_lo, exec_lo, s1
	s_cbranch_execnz .LBB126_57
; %bb.58:
	s_or_b32 exec_lo, exec_lo, s1
	v_mov_b32_e32 v4, 0
	ds_load_b64 v[4:5], v4 offset:88
	s_wait_dscnt 0x0
	v_mul_f32_e32 v10, v3, v5
	v_mul_f32_e32 v6, v9, v5
	s_delay_alu instid0(VALU_DEP_2) | instskip(NEXT) | instid1(VALU_DEP_2)
	v_fma_f32 v5, v9, v4, -v10
	v_fmac_f32_e32 v6, v3, v4
	scratch_store_b64 off, v[5:6], off offset:88
.LBB126_59:
	s_wait_alu 0xfffe
	s_or_b32 exec_lo, exec_lo, s0
	s_wait_loadcnt 0x0
	s_wait_storecnt 0x0
	s_barrier_signal -1
	s_barrier_wait -1
	global_inv scope:SCOPE_SE
	scratch_load_b64 v[3:4], off, off offset:96
	s_mov_b32 s0, exec_lo
	s_wait_loadcnt 0x0
	ds_store_b64 v1, v[3:4]
	s_wait_dscnt 0x0
	s_barrier_signal -1
	s_barrier_wait -1
	global_inv scope:SCOPE_SE
	v_cmpx_gt_u32_e32 12, v0
	s_cbranch_execz .LBB126_63
; %bb.60:
	v_dual_mov_b32 v3, 0 :: v_dual_add_nc_u32 v4, -1, v0
	v_or_b32_e32 v5, 0x200, v7
	v_dual_mov_b32 v6, v7 :: v_dual_mov_b32 v9, 0
	s_mov_b32 s1, 0
.LBB126_61:                             ; =>This Inner Loop Header: Depth=1
	scratch_load_b64 v[10:11], v6, off
	ds_load_b64 v[12:13], v5
	v_add_nc_u32_e32 v4, 1, v4
	v_add_nc_u32_e32 v5, 8, v5
	s_delay_alu instid0(VALU_DEP_2)
	v_cmp_lt_u32_e32 vcc_lo, 10, v4
	s_wait_alu 0xfffe
	s_or_b32 s1, vcc_lo, s1
	s_wait_loadcnt_dscnt 0x0
	v_mul_f32_e32 v14, v13, v11
	v_mul_f32_e32 v11, v12, v11
	s_delay_alu instid0(VALU_DEP_2) | instskip(NEXT) | instid1(VALU_DEP_2)
	v_fma_f32 v12, v12, v10, -v14
	v_fmac_f32_e32 v11, v13, v10
	s_delay_alu instid0(VALU_DEP_2) | instskip(NEXT) | instid1(VALU_DEP_2)
	v_dual_add_f32 v9, v9, v12 :: v_dual_add_nc_u32 v6, 8, v6
	v_add_f32_e32 v3, v3, v11
	s_wait_alu 0xfffe
	s_and_not1_b32 exec_lo, exec_lo, s1
	s_cbranch_execnz .LBB126_61
; %bb.62:
	s_or_b32 exec_lo, exec_lo, s1
	v_mov_b32_e32 v4, 0
	ds_load_b64 v[4:5], v4 offset:96
	s_wait_dscnt 0x0
	v_mul_f32_e32 v10, v3, v5
	v_mul_f32_e32 v6, v9, v5
	s_delay_alu instid0(VALU_DEP_2) | instskip(NEXT) | instid1(VALU_DEP_2)
	v_fma_f32 v5, v9, v4, -v10
	v_fmac_f32_e32 v6, v3, v4
	scratch_store_b64 off, v[5:6], off offset:96
.LBB126_63:
	s_wait_alu 0xfffe
	s_or_b32 exec_lo, exec_lo, s0
	s_wait_loadcnt 0x0
	s_wait_storecnt 0x0
	s_barrier_signal -1
	s_barrier_wait -1
	global_inv scope:SCOPE_SE
	scratch_load_b64 v[3:4], off, off offset:104
	s_mov_b32 s0, exec_lo
	s_wait_loadcnt 0x0
	ds_store_b64 v1, v[3:4]
	s_wait_dscnt 0x0
	s_barrier_signal -1
	s_barrier_wait -1
	global_inv scope:SCOPE_SE
	v_cmpx_gt_u32_e32 13, v0
	s_cbranch_execz .LBB126_67
; %bb.64:
	v_dual_mov_b32 v3, 0 :: v_dual_add_nc_u32 v4, -1, v0
	v_or_b32_e32 v5, 0x200, v7
	v_dual_mov_b32 v6, v7 :: v_dual_mov_b32 v9, 0
	s_mov_b32 s1, 0
.LBB126_65:                             ; =>This Inner Loop Header: Depth=1
	scratch_load_b64 v[10:11], v6, off
	ds_load_b64 v[12:13], v5
	v_add_nc_u32_e32 v4, 1, v4
	v_add_nc_u32_e32 v5, 8, v5
	s_delay_alu instid0(VALU_DEP_2)
	v_cmp_lt_u32_e32 vcc_lo, 11, v4
	s_wait_alu 0xfffe
	s_or_b32 s1, vcc_lo, s1
	s_wait_loadcnt_dscnt 0x0
	v_mul_f32_e32 v14, v13, v11
	v_mul_f32_e32 v11, v12, v11
	s_delay_alu instid0(VALU_DEP_2) | instskip(NEXT) | instid1(VALU_DEP_2)
	v_fma_f32 v12, v12, v10, -v14
	v_fmac_f32_e32 v11, v13, v10
	s_delay_alu instid0(VALU_DEP_2) | instskip(NEXT) | instid1(VALU_DEP_2)
	v_dual_add_f32 v9, v9, v12 :: v_dual_add_nc_u32 v6, 8, v6
	v_add_f32_e32 v3, v3, v11
	s_wait_alu 0xfffe
	s_and_not1_b32 exec_lo, exec_lo, s1
	s_cbranch_execnz .LBB126_65
; %bb.66:
	s_or_b32 exec_lo, exec_lo, s1
	v_mov_b32_e32 v4, 0
	ds_load_b64 v[4:5], v4 offset:104
	s_wait_dscnt 0x0
	v_mul_f32_e32 v10, v3, v5
	v_mul_f32_e32 v6, v9, v5
	s_delay_alu instid0(VALU_DEP_2) | instskip(NEXT) | instid1(VALU_DEP_2)
	v_fma_f32 v5, v9, v4, -v10
	v_fmac_f32_e32 v6, v3, v4
	scratch_store_b64 off, v[5:6], off offset:104
.LBB126_67:
	s_wait_alu 0xfffe
	s_or_b32 exec_lo, exec_lo, s0
	s_wait_loadcnt 0x0
	s_wait_storecnt 0x0
	s_barrier_signal -1
	s_barrier_wait -1
	global_inv scope:SCOPE_SE
	scratch_load_b64 v[3:4], off, off offset:112
	s_mov_b32 s0, exec_lo
	s_wait_loadcnt 0x0
	ds_store_b64 v1, v[3:4]
	s_wait_dscnt 0x0
	s_barrier_signal -1
	s_barrier_wait -1
	global_inv scope:SCOPE_SE
	v_cmpx_gt_u32_e32 14, v0
	s_cbranch_execz .LBB126_71
; %bb.68:
	v_dual_mov_b32 v3, 0 :: v_dual_add_nc_u32 v4, -1, v0
	v_or_b32_e32 v5, 0x200, v7
	v_dual_mov_b32 v6, v7 :: v_dual_mov_b32 v9, 0
	s_mov_b32 s1, 0
.LBB126_69:                             ; =>This Inner Loop Header: Depth=1
	scratch_load_b64 v[10:11], v6, off
	ds_load_b64 v[12:13], v5
	v_add_nc_u32_e32 v4, 1, v4
	v_add_nc_u32_e32 v5, 8, v5
	s_delay_alu instid0(VALU_DEP_2)
	v_cmp_lt_u32_e32 vcc_lo, 12, v4
	s_wait_alu 0xfffe
	s_or_b32 s1, vcc_lo, s1
	s_wait_loadcnt_dscnt 0x0
	v_mul_f32_e32 v14, v13, v11
	v_mul_f32_e32 v11, v12, v11
	s_delay_alu instid0(VALU_DEP_2) | instskip(NEXT) | instid1(VALU_DEP_2)
	v_fma_f32 v12, v12, v10, -v14
	v_fmac_f32_e32 v11, v13, v10
	s_delay_alu instid0(VALU_DEP_2) | instskip(NEXT) | instid1(VALU_DEP_2)
	v_dual_add_f32 v9, v9, v12 :: v_dual_add_nc_u32 v6, 8, v6
	v_add_f32_e32 v3, v3, v11
	s_wait_alu 0xfffe
	s_and_not1_b32 exec_lo, exec_lo, s1
	s_cbranch_execnz .LBB126_69
; %bb.70:
	s_or_b32 exec_lo, exec_lo, s1
	v_mov_b32_e32 v4, 0
	ds_load_b64 v[4:5], v4 offset:112
	s_wait_dscnt 0x0
	v_mul_f32_e32 v10, v3, v5
	v_mul_f32_e32 v6, v9, v5
	s_delay_alu instid0(VALU_DEP_2) | instskip(NEXT) | instid1(VALU_DEP_2)
	v_fma_f32 v5, v9, v4, -v10
	v_fmac_f32_e32 v6, v3, v4
	scratch_store_b64 off, v[5:6], off offset:112
.LBB126_71:
	s_wait_alu 0xfffe
	s_or_b32 exec_lo, exec_lo, s0
	s_wait_loadcnt 0x0
	s_wait_storecnt 0x0
	s_barrier_signal -1
	s_barrier_wait -1
	global_inv scope:SCOPE_SE
	scratch_load_b64 v[3:4], off, off offset:120
	s_mov_b32 s0, exec_lo
	s_wait_loadcnt 0x0
	ds_store_b64 v1, v[3:4]
	s_wait_dscnt 0x0
	s_barrier_signal -1
	s_barrier_wait -1
	global_inv scope:SCOPE_SE
	v_cmpx_gt_u32_e32 15, v0
	s_cbranch_execz .LBB126_75
; %bb.72:
	v_dual_mov_b32 v3, 0 :: v_dual_add_nc_u32 v4, -1, v0
	v_or_b32_e32 v5, 0x200, v7
	v_dual_mov_b32 v6, v7 :: v_dual_mov_b32 v9, 0
	s_mov_b32 s1, 0
.LBB126_73:                             ; =>This Inner Loop Header: Depth=1
	scratch_load_b64 v[10:11], v6, off
	ds_load_b64 v[12:13], v5
	v_add_nc_u32_e32 v4, 1, v4
	v_add_nc_u32_e32 v5, 8, v5
	s_delay_alu instid0(VALU_DEP_2)
	v_cmp_lt_u32_e32 vcc_lo, 13, v4
	s_wait_alu 0xfffe
	s_or_b32 s1, vcc_lo, s1
	s_wait_loadcnt_dscnt 0x0
	v_mul_f32_e32 v14, v13, v11
	v_mul_f32_e32 v11, v12, v11
	s_delay_alu instid0(VALU_DEP_2) | instskip(NEXT) | instid1(VALU_DEP_2)
	v_fma_f32 v12, v12, v10, -v14
	v_fmac_f32_e32 v11, v13, v10
	s_delay_alu instid0(VALU_DEP_2) | instskip(NEXT) | instid1(VALU_DEP_2)
	v_dual_add_f32 v9, v9, v12 :: v_dual_add_nc_u32 v6, 8, v6
	v_add_f32_e32 v3, v3, v11
	s_wait_alu 0xfffe
	s_and_not1_b32 exec_lo, exec_lo, s1
	s_cbranch_execnz .LBB126_73
; %bb.74:
	s_or_b32 exec_lo, exec_lo, s1
	v_mov_b32_e32 v4, 0
	ds_load_b64 v[4:5], v4 offset:120
	s_wait_dscnt 0x0
	v_mul_f32_e32 v10, v3, v5
	v_mul_f32_e32 v6, v9, v5
	s_delay_alu instid0(VALU_DEP_2) | instskip(NEXT) | instid1(VALU_DEP_2)
	v_fma_f32 v5, v9, v4, -v10
	v_fmac_f32_e32 v6, v3, v4
	scratch_store_b64 off, v[5:6], off offset:120
.LBB126_75:
	s_wait_alu 0xfffe
	s_or_b32 exec_lo, exec_lo, s0
	s_wait_loadcnt 0x0
	s_wait_storecnt 0x0
	s_barrier_signal -1
	s_barrier_wait -1
	global_inv scope:SCOPE_SE
	scratch_load_b64 v[3:4], off, off offset:128
	s_mov_b32 s0, exec_lo
	s_wait_loadcnt 0x0
	ds_store_b64 v1, v[3:4]
	s_wait_dscnt 0x0
	s_barrier_signal -1
	s_barrier_wait -1
	global_inv scope:SCOPE_SE
	v_cmpx_gt_u32_e32 16, v0
	s_cbranch_execz .LBB126_79
; %bb.76:
	v_dual_mov_b32 v3, 0 :: v_dual_add_nc_u32 v4, -1, v0
	v_or_b32_e32 v5, 0x200, v7
	v_dual_mov_b32 v6, v7 :: v_dual_mov_b32 v9, 0
	s_mov_b32 s1, 0
.LBB126_77:                             ; =>This Inner Loop Header: Depth=1
	scratch_load_b64 v[10:11], v6, off
	ds_load_b64 v[12:13], v5
	v_add_nc_u32_e32 v4, 1, v4
	v_add_nc_u32_e32 v5, 8, v5
	s_delay_alu instid0(VALU_DEP_2)
	v_cmp_lt_u32_e32 vcc_lo, 14, v4
	s_wait_alu 0xfffe
	s_or_b32 s1, vcc_lo, s1
	s_wait_loadcnt_dscnt 0x0
	v_mul_f32_e32 v14, v13, v11
	v_mul_f32_e32 v11, v12, v11
	s_delay_alu instid0(VALU_DEP_2) | instskip(NEXT) | instid1(VALU_DEP_2)
	v_fma_f32 v12, v12, v10, -v14
	v_fmac_f32_e32 v11, v13, v10
	s_delay_alu instid0(VALU_DEP_2) | instskip(NEXT) | instid1(VALU_DEP_2)
	v_dual_add_f32 v9, v9, v12 :: v_dual_add_nc_u32 v6, 8, v6
	v_add_f32_e32 v3, v3, v11
	s_wait_alu 0xfffe
	s_and_not1_b32 exec_lo, exec_lo, s1
	s_cbranch_execnz .LBB126_77
; %bb.78:
	s_or_b32 exec_lo, exec_lo, s1
	v_mov_b32_e32 v4, 0
	ds_load_b64 v[4:5], v4 offset:128
	s_wait_dscnt 0x0
	v_mul_f32_e32 v10, v3, v5
	v_mul_f32_e32 v6, v9, v5
	s_delay_alu instid0(VALU_DEP_2) | instskip(NEXT) | instid1(VALU_DEP_2)
	v_fma_f32 v5, v9, v4, -v10
	v_fmac_f32_e32 v6, v3, v4
	scratch_store_b64 off, v[5:6], off offset:128
.LBB126_79:
	s_wait_alu 0xfffe
	s_or_b32 exec_lo, exec_lo, s0
	s_wait_loadcnt 0x0
	s_wait_storecnt 0x0
	s_barrier_signal -1
	s_barrier_wait -1
	global_inv scope:SCOPE_SE
	scratch_load_b64 v[3:4], off, off offset:136
	s_mov_b32 s0, exec_lo
	s_wait_loadcnt 0x0
	ds_store_b64 v1, v[3:4]
	s_wait_dscnt 0x0
	s_barrier_signal -1
	s_barrier_wait -1
	global_inv scope:SCOPE_SE
	v_cmpx_gt_u32_e32 17, v0
	s_cbranch_execz .LBB126_83
; %bb.80:
	v_dual_mov_b32 v3, 0 :: v_dual_add_nc_u32 v4, -1, v0
	v_or_b32_e32 v5, 0x200, v7
	v_dual_mov_b32 v6, v7 :: v_dual_mov_b32 v9, 0
	s_mov_b32 s1, 0
.LBB126_81:                             ; =>This Inner Loop Header: Depth=1
	scratch_load_b64 v[10:11], v6, off
	ds_load_b64 v[12:13], v5
	v_add_nc_u32_e32 v4, 1, v4
	v_add_nc_u32_e32 v5, 8, v5
	s_delay_alu instid0(VALU_DEP_2)
	v_cmp_lt_u32_e32 vcc_lo, 15, v4
	s_wait_alu 0xfffe
	s_or_b32 s1, vcc_lo, s1
	s_wait_loadcnt_dscnt 0x0
	v_mul_f32_e32 v14, v13, v11
	v_mul_f32_e32 v11, v12, v11
	s_delay_alu instid0(VALU_DEP_2) | instskip(NEXT) | instid1(VALU_DEP_2)
	v_fma_f32 v12, v12, v10, -v14
	v_fmac_f32_e32 v11, v13, v10
	s_delay_alu instid0(VALU_DEP_2) | instskip(NEXT) | instid1(VALU_DEP_2)
	v_dual_add_f32 v9, v9, v12 :: v_dual_add_nc_u32 v6, 8, v6
	v_add_f32_e32 v3, v3, v11
	s_wait_alu 0xfffe
	s_and_not1_b32 exec_lo, exec_lo, s1
	s_cbranch_execnz .LBB126_81
; %bb.82:
	s_or_b32 exec_lo, exec_lo, s1
	v_mov_b32_e32 v4, 0
	ds_load_b64 v[4:5], v4 offset:136
	s_wait_dscnt 0x0
	v_mul_f32_e32 v10, v3, v5
	v_mul_f32_e32 v6, v9, v5
	s_delay_alu instid0(VALU_DEP_2) | instskip(NEXT) | instid1(VALU_DEP_2)
	v_fma_f32 v5, v9, v4, -v10
	v_fmac_f32_e32 v6, v3, v4
	scratch_store_b64 off, v[5:6], off offset:136
.LBB126_83:
	s_wait_alu 0xfffe
	s_or_b32 exec_lo, exec_lo, s0
	s_wait_loadcnt 0x0
	s_wait_storecnt 0x0
	s_barrier_signal -1
	s_barrier_wait -1
	global_inv scope:SCOPE_SE
	scratch_load_b64 v[3:4], off, off offset:144
	s_mov_b32 s0, exec_lo
	s_wait_loadcnt 0x0
	ds_store_b64 v1, v[3:4]
	s_wait_dscnt 0x0
	s_barrier_signal -1
	s_barrier_wait -1
	global_inv scope:SCOPE_SE
	v_cmpx_gt_u32_e32 18, v0
	s_cbranch_execz .LBB126_87
; %bb.84:
	v_dual_mov_b32 v3, 0 :: v_dual_add_nc_u32 v4, -1, v0
	v_or_b32_e32 v5, 0x200, v7
	v_dual_mov_b32 v6, v7 :: v_dual_mov_b32 v9, 0
	s_mov_b32 s1, 0
.LBB126_85:                             ; =>This Inner Loop Header: Depth=1
	scratch_load_b64 v[10:11], v6, off
	ds_load_b64 v[12:13], v5
	v_add_nc_u32_e32 v4, 1, v4
	v_add_nc_u32_e32 v5, 8, v5
	s_delay_alu instid0(VALU_DEP_2)
	v_cmp_lt_u32_e32 vcc_lo, 16, v4
	s_wait_alu 0xfffe
	s_or_b32 s1, vcc_lo, s1
	s_wait_loadcnt_dscnt 0x0
	v_mul_f32_e32 v14, v13, v11
	v_mul_f32_e32 v11, v12, v11
	s_delay_alu instid0(VALU_DEP_2) | instskip(NEXT) | instid1(VALU_DEP_2)
	v_fma_f32 v12, v12, v10, -v14
	v_fmac_f32_e32 v11, v13, v10
	s_delay_alu instid0(VALU_DEP_2) | instskip(NEXT) | instid1(VALU_DEP_2)
	v_dual_add_f32 v9, v9, v12 :: v_dual_add_nc_u32 v6, 8, v6
	v_add_f32_e32 v3, v3, v11
	s_wait_alu 0xfffe
	s_and_not1_b32 exec_lo, exec_lo, s1
	s_cbranch_execnz .LBB126_85
; %bb.86:
	s_or_b32 exec_lo, exec_lo, s1
	v_mov_b32_e32 v4, 0
	ds_load_b64 v[4:5], v4 offset:144
	s_wait_dscnt 0x0
	v_mul_f32_e32 v10, v3, v5
	v_mul_f32_e32 v6, v9, v5
	s_delay_alu instid0(VALU_DEP_2) | instskip(NEXT) | instid1(VALU_DEP_2)
	v_fma_f32 v5, v9, v4, -v10
	v_fmac_f32_e32 v6, v3, v4
	scratch_store_b64 off, v[5:6], off offset:144
.LBB126_87:
	s_wait_alu 0xfffe
	s_or_b32 exec_lo, exec_lo, s0
	s_wait_loadcnt 0x0
	s_wait_storecnt 0x0
	s_barrier_signal -1
	s_barrier_wait -1
	global_inv scope:SCOPE_SE
	scratch_load_b64 v[3:4], off, off offset:152
	s_mov_b32 s0, exec_lo
	s_wait_loadcnt 0x0
	ds_store_b64 v1, v[3:4]
	s_wait_dscnt 0x0
	s_barrier_signal -1
	s_barrier_wait -1
	global_inv scope:SCOPE_SE
	v_cmpx_gt_u32_e32 19, v0
	s_cbranch_execz .LBB126_91
; %bb.88:
	v_dual_mov_b32 v3, 0 :: v_dual_add_nc_u32 v4, -1, v0
	v_or_b32_e32 v5, 0x200, v7
	v_dual_mov_b32 v6, v7 :: v_dual_mov_b32 v9, 0
	s_mov_b32 s1, 0
.LBB126_89:                             ; =>This Inner Loop Header: Depth=1
	scratch_load_b64 v[10:11], v6, off
	ds_load_b64 v[12:13], v5
	v_add_nc_u32_e32 v4, 1, v4
	v_add_nc_u32_e32 v5, 8, v5
	s_delay_alu instid0(VALU_DEP_2)
	v_cmp_lt_u32_e32 vcc_lo, 17, v4
	s_wait_alu 0xfffe
	s_or_b32 s1, vcc_lo, s1
	s_wait_loadcnt_dscnt 0x0
	v_mul_f32_e32 v14, v13, v11
	v_mul_f32_e32 v11, v12, v11
	s_delay_alu instid0(VALU_DEP_2) | instskip(NEXT) | instid1(VALU_DEP_2)
	v_fma_f32 v12, v12, v10, -v14
	v_fmac_f32_e32 v11, v13, v10
	s_delay_alu instid0(VALU_DEP_2) | instskip(NEXT) | instid1(VALU_DEP_2)
	v_dual_add_f32 v9, v9, v12 :: v_dual_add_nc_u32 v6, 8, v6
	v_add_f32_e32 v3, v3, v11
	s_wait_alu 0xfffe
	s_and_not1_b32 exec_lo, exec_lo, s1
	s_cbranch_execnz .LBB126_89
; %bb.90:
	s_or_b32 exec_lo, exec_lo, s1
	v_mov_b32_e32 v4, 0
	ds_load_b64 v[4:5], v4 offset:152
	s_wait_dscnt 0x0
	v_mul_f32_e32 v10, v3, v5
	v_mul_f32_e32 v6, v9, v5
	s_delay_alu instid0(VALU_DEP_2) | instskip(NEXT) | instid1(VALU_DEP_2)
	v_fma_f32 v5, v9, v4, -v10
	v_fmac_f32_e32 v6, v3, v4
	scratch_store_b64 off, v[5:6], off offset:152
.LBB126_91:
	s_wait_alu 0xfffe
	s_or_b32 exec_lo, exec_lo, s0
	s_wait_loadcnt 0x0
	s_wait_storecnt 0x0
	s_barrier_signal -1
	s_barrier_wait -1
	global_inv scope:SCOPE_SE
	scratch_load_b64 v[3:4], off, off offset:160
	s_mov_b32 s0, exec_lo
	s_wait_loadcnt 0x0
	ds_store_b64 v1, v[3:4]
	s_wait_dscnt 0x0
	s_barrier_signal -1
	s_barrier_wait -1
	global_inv scope:SCOPE_SE
	v_cmpx_gt_u32_e32 20, v0
	s_cbranch_execz .LBB126_95
; %bb.92:
	v_dual_mov_b32 v3, 0 :: v_dual_add_nc_u32 v4, -1, v0
	v_or_b32_e32 v5, 0x200, v7
	v_dual_mov_b32 v6, v7 :: v_dual_mov_b32 v9, 0
	s_mov_b32 s1, 0
.LBB126_93:                             ; =>This Inner Loop Header: Depth=1
	scratch_load_b64 v[10:11], v6, off
	ds_load_b64 v[12:13], v5
	v_add_nc_u32_e32 v4, 1, v4
	v_add_nc_u32_e32 v5, 8, v5
	s_delay_alu instid0(VALU_DEP_2)
	v_cmp_lt_u32_e32 vcc_lo, 18, v4
	s_wait_alu 0xfffe
	s_or_b32 s1, vcc_lo, s1
	s_wait_loadcnt_dscnt 0x0
	v_mul_f32_e32 v14, v13, v11
	v_mul_f32_e32 v11, v12, v11
	s_delay_alu instid0(VALU_DEP_2) | instskip(NEXT) | instid1(VALU_DEP_2)
	v_fma_f32 v12, v12, v10, -v14
	v_fmac_f32_e32 v11, v13, v10
	s_delay_alu instid0(VALU_DEP_2) | instskip(NEXT) | instid1(VALU_DEP_2)
	v_dual_add_f32 v9, v9, v12 :: v_dual_add_nc_u32 v6, 8, v6
	v_add_f32_e32 v3, v3, v11
	s_wait_alu 0xfffe
	s_and_not1_b32 exec_lo, exec_lo, s1
	s_cbranch_execnz .LBB126_93
; %bb.94:
	s_or_b32 exec_lo, exec_lo, s1
	v_mov_b32_e32 v4, 0
	ds_load_b64 v[4:5], v4 offset:160
	s_wait_dscnt 0x0
	v_mul_f32_e32 v10, v3, v5
	v_mul_f32_e32 v6, v9, v5
	s_delay_alu instid0(VALU_DEP_2) | instskip(NEXT) | instid1(VALU_DEP_2)
	v_fma_f32 v5, v9, v4, -v10
	v_fmac_f32_e32 v6, v3, v4
	scratch_store_b64 off, v[5:6], off offset:160
.LBB126_95:
	s_wait_alu 0xfffe
	s_or_b32 exec_lo, exec_lo, s0
	s_wait_loadcnt 0x0
	s_wait_storecnt 0x0
	s_barrier_signal -1
	s_barrier_wait -1
	global_inv scope:SCOPE_SE
	scratch_load_b64 v[3:4], off, off offset:168
	s_mov_b32 s0, exec_lo
	s_wait_loadcnt 0x0
	ds_store_b64 v1, v[3:4]
	s_wait_dscnt 0x0
	s_barrier_signal -1
	s_barrier_wait -1
	global_inv scope:SCOPE_SE
	v_cmpx_gt_u32_e32 21, v0
	s_cbranch_execz .LBB126_99
; %bb.96:
	v_dual_mov_b32 v3, 0 :: v_dual_add_nc_u32 v4, -1, v0
	v_or_b32_e32 v5, 0x200, v7
	v_dual_mov_b32 v6, v7 :: v_dual_mov_b32 v9, 0
	s_mov_b32 s1, 0
.LBB126_97:                             ; =>This Inner Loop Header: Depth=1
	scratch_load_b64 v[10:11], v6, off
	ds_load_b64 v[12:13], v5
	v_add_nc_u32_e32 v4, 1, v4
	v_add_nc_u32_e32 v5, 8, v5
	s_delay_alu instid0(VALU_DEP_2)
	v_cmp_lt_u32_e32 vcc_lo, 19, v4
	s_wait_alu 0xfffe
	s_or_b32 s1, vcc_lo, s1
	s_wait_loadcnt_dscnt 0x0
	v_mul_f32_e32 v14, v13, v11
	v_mul_f32_e32 v11, v12, v11
	s_delay_alu instid0(VALU_DEP_2) | instskip(NEXT) | instid1(VALU_DEP_2)
	v_fma_f32 v12, v12, v10, -v14
	v_fmac_f32_e32 v11, v13, v10
	s_delay_alu instid0(VALU_DEP_2) | instskip(NEXT) | instid1(VALU_DEP_2)
	v_dual_add_f32 v9, v9, v12 :: v_dual_add_nc_u32 v6, 8, v6
	v_add_f32_e32 v3, v3, v11
	s_wait_alu 0xfffe
	s_and_not1_b32 exec_lo, exec_lo, s1
	s_cbranch_execnz .LBB126_97
; %bb.98:
	s_or_b32 exec_lo, exec_lo, s1
	v_mov_b32_e32 v4, 0
	ds_load_b64 v[4:5], v4 offset:168
	s_wait_dscnt 0x0
	v_mul_f32_e32 v10, v3, v5
	v_mul_f32_e32 v6, v9, v5
	s_delay_alu instid0(VALU_DEP_2) | instskip(NEXT) | instid1(VALU_DEP_2)
	v_fma_f32 v5, v9, v4, -v10
	v_fmac_f32_e32 v6, v3, v4
	scratch_store_b64 off, v[5:6], off offset:168
.LBB126_99:
	s_wait_alu 0xfffe
	s_or_b32 exec_lo, exec_lo, s0
	s_wait_loadcnt 0x0
	s_wait_storecnt 0x0
	s_barrier_signal -1
	s_barrier_wait -1
	global_inv scope:SCOPE_SE
	scratch_load_b64 v[3:4], off, off offset:176
	s_mov_b32 s0, exec_lo
	s_wait_loadcnt 0x0
	ds_store_b64 v1, v[3:4]
	s_wait_dscnt 0x0
	s_barrier_signal -1
	s_barrier_wait -1
	global_inv scope:SCOPE_SE
	v_cmpx_gt_u32_e32 22, v0
	s_cbranch_execz .LBB126_103
; %bb.100:
	v_dual_mov_b32 v3, 0 :: v_dual_add_nc_u32 v4, -1, v0
	v_or_b32_e32 v5, 0x200, v7
	v_dual_mov_b32 v6, v7 :: v_dual_mov_b32 v9, 0
	s_mov_b32 s1, 0
.LBB126_101:                            ; =>This Inner Loop Header: Depth=1
	scratch_load_b64 v[10:11], v6, off
	ds_load_b64 v[12:13], v5
	v_add_nc_u32_e32 v4, 1, v4
	v_add_nc_u32_e32 v5, 8, v5
	s_delay_alu instid0(VALU_DEP_2)
	v_cmp_lt_u32_e32 vcc_lo, 20, v4
	s_wait_alu 0xfffe
	s_or_b32 s1, vcc_lo, s1
	s_wait_loadcnt_dscnt 0x0
	v_mul_f32_e32 v14, v13, v11
	v_mul_f32_e32 v11, v12, v11
	s_delay_alu instid0(VALU_DEP_2) | instskip(NEXT) | instid1(VALU_DEP_2)
	v_fma_f32 v12, v12, v10, -v14
	v_fmac_f32_e32 v11, v13, v10
	s_delay_alu instid0(VALU_DEP_2) | instskip(NEXT) | instid1(VALU_DEP_2)
	v_dual_add_f32 v9, v9, v12 :: v_dual_add_nc_u32 v6, 8, v6
	v_add_f32_e32 v3, v3, v11
	s_wait_alu 0xfffe
	s_and_not1_b32 exec_lo, exec_lo, s1
	s_cbranch_execnz .LBB126_101
; %bb.102:
	s_or_b32 exec_lo, exec_lo, s1
	v_mov_b32_e32 v4, 0
	ds_load_b64 v[4:5], v4 offset:176
	s_wait_dscnt 0x0
	v_mul_f32_e32 v10, v3, v5
	v_mul_f32_e32 v6, v9, v5
	s_delay_alu instid0(VALU_DEP_2) | instskip(NEXT) | instid1(VALU_DEP_2)
	v_fma_f32 v5, v9, v4, -v10
	v_fmac_f32_e32 v6, v3, v4
	scratch_store_b64 off, v[5:6], off offset:176
.LBB126_103:
	s_wait_alu 0xfffe
	s_or_b32 exec_lo, exec_lo, s0
	s_wait_loadcnt 0x0
	s_wait_storecnt 0x0
	s_barrier_signal -1
	s_barrier_wait -1
	global_inv scope:SCOPE_SE
	scratch_load_b64 v[3:4], off, off offset:184
	s_mov_b32 s0, exec_lo
	s_wait_loadcnt 0x0
	ds_store_b64 v1, v[3:4]
	s_wait_dscnt 0x0
	s_barrier_signal -1
	s_barrier_wait -1
	global_inv scope:SCOPE_SE
	v_cmpx_gt_u32_e32 23, v0
	s_cbranch_execz .LBB126_107
; %bb.104:
	v_dual_mov_b32 v3, 0 :: v_dual_add_nc_u32 v4, -1, v0
	v_or_b32_e32 v5, 0x200, v7
	v_dual_mov_b32 v6, v7 :: v_dual_mov_b32 v9, 0
	s_mov_b32 s1, 0
.LBB126_105:                            ; =>This Inner Loop Header: Depth=1
	scratch_load_b64 v[10:11], v6, off
	ds_load_b64 v[12:13], v5
	v_add_nc_u32_e32 v4, 1, v4
	v_add_nc_u32_e32 v5, 8, v5
	s_delay_alu instid0(VALU_DEP_2)
	v_cmp_lt_u32_e32 vcc_lo, 21, v4
	s_wait_alu 0xfffe
	s_or_b32 s1, vcc_lo, s1
	s_wait_loadcnt_dscnt 0x0
	v_mul_f32_e32 v14, v13, v11
	v_mul_f32_e32 v11, v12, v11
	s_delay_alu instid0(VALU_DEP_2) | instskip(NEXT) | instid1(VALU_DEP_2)
	v_fma_f32 v12, v12, v10, -v14
	v_fmac_f32_e32 v11, v13, v10
	s_delay_alu instid0(VALU_DEP_2) | instskip(NEXT) | instid1(VALU_DEP_2)
	v_dual_add_f32 v9, v9, v12 :: v_dual_add_nc_u32 v6, 8, v6
	v_add_f32_e32 v3, v3, v11
	s_wait_alu 0xfffe
	s_and_not1_b32 exec_lo, exec_lo, s1
	s_cbranch_execnz .LBB126_105
; %bb.106:
	s_or_b32 exec_lo, exec_lo, s1
	v_mov_b32_e32 v4, 0
	ds_load_b64 v[4:5], v4 offset:184
	s_wait_dscnt 0x0
	v_mul_f32_e32 v10, v3, v5
	v_mul_f32_e32 v6, v9, v5
	s_delay_alu instid0(VALU_DEP_2) | instskip(NEXT) | instid1(VALU_DEP_2)
	v_fma_f32 v5, v9, v4, -v10
	v_fmac_f32_e32 v6, v3, v4
	scratch_store_b64 off, v[5:6], off offset:184
.LBB126_107:
	s_wait_alu 0xfffe
	s_or_b32 exec_lo, exec_lo, s0
	s_wait_loadcnt 0x0
	s_wait_storecnt 0x0
	s_barrier_signal -1
	s_barrier_wait -1
	global_inv scope:SCOPE_SE
	scratch_load_b64 v[3:4], off, off offset:192
	;; [unrolled: 55-line block ×39, first 2 shown]
	s_mov_b32 s0, exec_lo
	s_wait_loadcnt 0x0
	ds_store_b64 v1, v[3:4]
	s_wait_dscnt 0x0
	s_barrier_signal -1
	s_barrier_wait -1
	global_inv scope:SCOPE_SE
	v_cmpx_gt_u32_e32 61, v0
	s_cbranch_execz .LBB126_259
; %bb.256:
	v_dual_mov_b32 v3, 0 :: v_dual_add_nc_u32 v4, -1, v0
	v_or_b32_e32 v5, 0x200, v7
	v_dual_mov_b32 v6, v7 :: v_dual_mov_b32 v7, 0
	s_mov_b32 s1, 0
.LBB126_257:                            ; =>This Inner Loop Header: Depth=1
	scratch_load_b64 v[9:10], v6, off
	ds_load_b64 v[11:12], v5
	v_add_nc_u32_e32 v6, 8, v6
	v_add_nc_u32_e32 v4, 1, v4
	;; [unrolled: 1-line block ×3, first 2 shown]
	s_delay_alu instid0(VALU_DEP_2)
	v_cmp_lt_u32_e32 vcc_lo, 59, v4
	s_wait_alu 0xfffe
	s_or_b32 s1, vcc_lo, s1
	s_wait_loadcnt_dscnt 0x0
	v_mul_f32_e32 v13, v12, v10
	v_mul_f32_e32 v10, v11, v10
	s_delay_alu instid0(VALU_DEP_2) | instskip(NEXT) | instid1(VALU_DEP_1)
	v_fma_f32 v11, v11, v9, -v13
	v_dual_fmac_f32 v10, v12, v9 :: v_dual_add_f32 v7, v7, v11
	s_delay_alu instid0(VALU_DEP_1)
	v_add_f32_e32 v3, v3, v10
	s_wait_alu 0xfffe
	s_and_not1_b32 exec_lo, exec_lo, s1
	s_cbranch_execnz .LBB126_257
; %bb.258:
	s_or_b32 exec_lo, exec_lo, s1
	v_mov_b32_e32 v4, 0
	ds_load_b64 v[4:5], v4 offset:488
	s_wait_dscnt 0x0
	v_mul_f32_e32 v9, v3, v5
	v_mul_f32_e32 v6, v7, v5
	s_delay_alu instid0(VALU_DEP_2) | instskip(NEXT) | instid1(VALU_DEP_2)
	v_fma_f32 v5, v7, v4, -v9
	v_fmac_f32_e32 v6, v3, v4
	scratch_store_b64 off, v[5:6], off offset:488
.LBB126_259:
	s_wait_alu 0xfffe
	s_or_b32 exec_lo, exec_lo, s0
	s_wait_loadcnt 0x0
	s_wait_storecnt 0x0
	s_barrier_signal -1
	s_barrier_wait -1
	global_inv scope:SCOPE_SE
	scratch_load_b64 v[3:4], off, off offset:496
	s_mov_b32 s0, exec_lo
	s_wait_loadcnt 0x0
	ds_store_b64 v1, v[3:4]
	s_wait_dscnt 0x0
	s_barrier_signal -1
	s_barrier_wait -1
	global_inv scope:SCOPE_SE
	v_cmpx_ne_u32_e32 62, v0
	s_cbranch_execz .LBB126_263
; %bb.260:
	v_dual_mov_b32 v3, 0 :: v_dual_mov_b32 v4, 0
	s_mov_b32 s1, 0
.LBB126_261:                            ; =>This Inner Loop Header: Depth=1
	scratch_load_b64 v[5:6], v8, off
	ds_load_b64 v[9:10], v1
	v_add_nc_u32_e32 v2, 1, v2
	v_add_nc_u32_e32 v1, 8, v1
	;; [unrolled: 1-line block ×3, first 2 shown]
	s_delay_alu instid0(VALU_DEP_3)
	v_cmp_lt_u32_e32 vcc_lo, 60, v2
	s_wait_alu 0xfffe
	s_or_b32 s1, vcc_lo, s1
	s_wait_loadcnt_dscnt 0x0
	v_mul_f32_e32 v7, v10, v6
	v_mul_f32_e32 v6, v9, v6
	s_delay_alu instid0(VALU_DEP_2) | instskip(NEXT) | instid1(VALU_DEP_2)
	v_fma_f32 v7, v9, v5, -v7
	v_fmac_f32_e32 v6, v10, v5
	s_delay_alu instid0(VALU_DEP_1)
	v_dual_add_f32 v4, v4, v7 :: v_dual_add_f32 v3, v3, v6
	s_wait_alu 0xfffe
	s_and_not1_b32 exec_lo, exec_lo, s1
	s_cbranch_execnz .LBB126_261
; %bb.262:
	s_or_b32 exec_lo, exec_lo, s1
	v_mov_b32_e32 v1, 0
	ds_load_b64 v[1:2], v1 offset:496
	s_wait_dscnt 0x0
	v_mul_f32_e32 v6, v3, v2
	v_mul_f32_e32 v5, v4, v2
	s_delay_alu instid0(VALU_DEP_2) | instskip(NEXT) | instid1(VALU_DEP_2)
	v_fma_f32 v4, v4, v1, -v6
	v_fmac_f32_e32 v5, v3, v1
	scratch_store_b64 off, v[4:5], off offset:496
.LBB126_263:
	s_wait_alu 0xfffe
	s_or_b32 exec_lo, exec_lo, s0
	s_mov_b32 s1, -1
	s_wait_loadcnt 0x0
	s_wait_storecnt 0x0
	s_barrier_signal -1
	s_barrier_wait -1
	global_inv scope:SCOPE_SE
.LBB126_264:
	s_wait_alu 0xfffe
	s_and_b32 vcc_lo, exec_lo, s1
	s_wait_alu 0xfffe
	s_cbranch_vccz .LBB126_266
; %bb.265:
	v_mov_b32_e32 v1, 0
	s_lshl_b64 s[0:1], s[8:9], 2
	s_wait_alu 0xfffe
	s_add_nc_u64 s[0:1], s[6:7], s[0:1]
	global_load_b32 v1, v1, s[0:1]
	s_wait_loadcnt 0x0
	v_cmp_ne_u32_e32 vcc_lo, 0, v1
	s_cbranch_vccz .LBB126_267
.LBB126_266:
	s_nop 0
	s_sendmsg sendmsg(MSG_DEALLOC_VGPRS)
	s_endpgm
.LBB126_267:
	v_lshl_or_b32 v161, v0, 3, 0x200
	s_mov_b32 s0, exec_lo
	v_cmpx_eq_u32_e32 62, v0
	s_cbranch_execz .LBB126_269
; %bb.268:
	scratch_load_b64 v[1:2], off, off offset:488
	v_mov_b32_e32 v3, 0
	s_delay_alu instid0(VALU_DEP_1)
	v_mov_b32_e32 v4, v3
	scratch_store_b64 off, v[3:4], off offset:488
	s_wait_loadcnt 0x0
	ds_store_b64 v161, v[1:2]
.LBB126_269:
	s_wait_alu 0xfffe
	s_or_b32 exec_lo, exec_lo, s0
	s_wait_storecnt_dscnt 0x0
	s_barrier_signal -1
	s_barrier_wait -1
	global_inv scope:SCOPE_SE
	s_clause 0x1
	scratch_load_b64 v[2:3], off, off offset:496
	scratch_load_b64 v[4:5], off, off offset:488
	v_mov_b32_e32 v1, 0
	s_mov_b32 s0, exec_lo
	ds_load_b64 v[6:7], v1 offset:1008
	s_wait_loadcnt_dscnt 0x100
	v_mul_f32_e32 v8, v7, v3
	v_mul_f32_e32 v3, v6, v3
	s_delay_alu instid0(VALU_DEP_2) | instskip(NEXT) | instid1(VALU_DEP_2)
	v_fma_f32 v6, v6, v2, -v8
	v_fmac_f32_e32 v3, v7, v2
	s_delay_alu instid0(VALU_DEP_1) | instskip(SKIP_1) | instid1(VALU_DEP_1)
	v_dual_add_f32 v2, 0, v6 :: v_dual_add_f32 v3, 0, v3
	s_wait_loadcnt 0x0
	v_dual_sub_f32 v2, v4, v2 :: v_dual_sub_f32 v3, v5, v3
	scratch_store_b64 off, v[2:3], off offset:488
	v_cmpx_lt_u32_e32 60, v0
	s_cbranch_execz .LBB126_271
; %bb.270:
	scratch_load_b64 v[3:4], off, off offset:480
	v_mov_b32_e32 v2, v1
	scratch_store_b64 off, v[1:2], off offset:480
	s_wait_loadcnt 0x0
	ds_store_b64 v161, v[3:4]
.LBB126_271:
	s_wait_alu 0xfffe
	s_or_b32 exec_lo, exec_lo, s0
	s_wait_storecnt_dscnt 0x0
	s_barrier_signal -1
	s_barrier_wait -1
	global_inv scope:SCOPE_SE
	s_clause 0x1
	scratch_load_b128 v[2:5], off, off offset:488
	scratch_load_b64 v[10:11], off, off offset:480
	ds_load_2addr_b64 v[6:9], v1 offset0:125 offset1:126
	s_mov_b32 s0, exec_lo
	s_wait_loadcnt_dscnt 0x100
	v_dual_mul_f32 v1, v7, v3 :: v_dual_mul_f32 v12, v8, v5
	v_mul_f32_e32 v3, v6, v3
	s_delay_alu instid0(VALU_DEP_2) | instskip(NEXT) | instid1(VALU_DEP_2)
	v_fma_f32 v1, v6, v2, -v1
	v_dual_fmac_f32 v12, v9, v4 :: v_dual_fmac_f32 v3, v7, v2
	s_delay_alu instid0(VALU_DEP_2) | instskip(NEXT) | instid1(VALU_DEP_2)
	v_add_f32_e32 v1, 0, v1
	v_add_f32_e32 v3, 0, v3
	v_mul_f32_e32 v5, v9, v5
	s_delay_alu instid0(VALU_DEP_1) | instskip(NEXT) | instid1(VALU_DEP_1)
	v_fma_f32 v2, v8, v4, -v5
	v_dual_add_f32 v1, v1, v2 :: v_dual_add_f32 v2, v3, v12
	s_wait_loadcnt 0x0
	s_delay_alu instid0(VALU_DEP_1)
	v_dual_sub_f32 v1, v10, v1 :: v_dual_sub_f32 v2, v11, v2
	scratch_store_b64 off, v[1:2], off offset:480
	v_cmpx_lt_u32_e32 59, v0
	s_cbranch_execz .LBB126_273
; %bb.272:
	scratch_load_b64 v[1:2], off, off offset:472
	v_mov_b32_e32 v3, 0
	s_delay_alu instid0(VALU_DEP_1)
	v_mov_b32_e32 v4, v3
	scratch_store_b64 off, v[3:4], off offset:472
	s_wait_loadcnt 0x0
	ds_store_b64 v161, v[1:2]
.LBB126_273:
	s_wait_alu 0xfffe
	s_or_b32 exec_lo, exec_lo, s0
	s_wait_storecnt_dscnt 0x0
	s_barrier_signal -1
	s_barrier_wait -1
	global_inv scope:SCOPE_SE
	s_clause 0x2
	scratch_load_b128 v[2:5], off, off offset:480
	scratch_load_b64 v[10:11], off, off offset:496
	scratch_load_b64 v[12:13], off, off offset:472
	v_mov_b32_e32 v1, 0
	ds_load_b128 v[6:9], v1 offset:992
	ds_load_b64 v[14:15], v1 offset:1008
	s_mov_b32 s0, exec_lo
	s_wait_loadcnt_dscnt 0x201
	v_dual_mul_f32 v16, v7, v3 :: v_dual_mul_f32 v17, v8, v5
	s_wait_loadcnt_dscnt 0x100
	v_mul_f32_e32 v18, v14, v11
	v_mul_f32_e32 v3, v6, v3
	;; [unrolled: 1-line block ×3, first 2 shown]
	v_fma_f32 v6, v6, v2, -v16
	s_delay_alu instid0(VALU_DEP_4) | instskip(NEXT) | instid1(VALU_DEP_4)
	v_fmac_f32_e32 v18, v15, v10
	v_fmac_f32_e32 v3, v7, v2
	v_mul_f32_e32 v2, v15, v11
	s_delay_alu instid0(VALU_DEP_1) | instskip(SKIP_3) | instid1(VALU_DEP_1)
	v_fma_f32 v2, v14, v10, -v2
	v_fmac_f32_e32 v17, v9, v4
	v_fma_f32 v4, v8, v4, -v5
	v_add_f32_e32 v5, 0, v6
	v_add_f32_e32 v4, v5, v4
	s_delay_alu instid0(VALU_DEP_1) | instskip(SKIP_1) | instid1(VALU_DEP_1)
	v_dual_add_f32 v2, v4, v2 :: v_dual_add_f32 v3, 0, v3
	s_wait_loadcnt 0x0
	v_dual_sub_f32 v2, v12, v2 :: v_dual_add_f32 v3, v3, v17
	s_delay_alu instid0(VALU_DEP_1) | instskip(NEXT) | instid1(VALU_DEP_1)
	v_add_f32_e32 v3, v3, v18
	v_sub_f32_e32 v3, v13, v3
	scratch_store_b64 off, v[2:3], off offset:472
	v_cmpx_lt_u32_e32 58, v0
	s_cbranch_execz .LBB126_275
; %bb.274:
	scratch_load_b64 v[3:4], off, off offset:464
	v_mov_b32_e32 v2, v1
	scratch_store_b64 off, v[1:2], off offset:464
	s_wait_loadcnt 0x0
	ds_store_b64 v161, v[3:4]
.LBB126_275:
	s_wait_alu 0xfffe
	s_or_b32 exec_lo, exec_lo, s0
	s_wait_storecnt_dscnt 0x0
	s_barrier_signal -1
	s_barrier_wait -1
	global_inv scope:SCOPE_SE
	s_clause 0x2
	scratch_load_b128 v[2:5], off, off offset:472
	scratch_load_b128 v[6:9], off, off offset:488
	scratch_load_b64 v[18:19], off, off offset:464
	ds_load_2addr_b64 v[10:13], v1 offset0:123 offset1:124
	ds_load_2addr_b64 v[14:17], v1 offset0:125 offset1:126
	s_mov_b32 s0, exec_lo
	s_wait_loadcnt_dscnt 0x201
	v_dual_mul_f32 v1, v10, v3 :: v_dual_mul_f32 v20, v12, v5
	s_wait_loadcnt_dscnt 0x100
	v_dual_mul_f32 v3, v11, v3 :: v_dual_mul_f32 v22, v16, v9
	v_mul_f32_e32 v5, v13, v5
	s_delay_alu instid0(VALU_DEP_3) | instskip(NEXT) | instid1(VALU_DEP_3)
	v_dual_mul_f32 v21, v14, v7 :: v_dual_fmac_f32 v20, v13, v4
	v_fma_f32 v3, v10, v2, -v3
	s_delay_alu instid0(VALU_DEP_4) | instskip(SKIP_2) | instid1(VALU_DEP_4)
	v_dual_fmac_f32 v1, v11, v2 :: v_dual_fmac_f32 v22, v17, v8
	v_mul_f32_e32 v2, v15, v7
	v_fma_f32 v4, v12, v4, -v5
	v_add_f32_e32 v3, 0, v3
	v_fmac_f32_e32 v21, v15, v6
	s_delay_alu instid0(VALU_DEP_4) | instskip(NEXT) | instid1(VALU_DEP_3)
	v_fma_f32 v2, v14, v6, -v2
	v_add_f32_e32 v3, v3, v4
	s_delay_alu instid0(VALU_DEP_1) | instskip(NEXT) | instid1(VALU_DEP_1)
	v_dual_add_f32 v1, 0, v1 :: v_dual_add_f32 v2, v3, v2
	v_add_f32_e32 v1, v1, v20
	s_delay_alu instid0(VALU_DEP_1) | instskip(NEXT) | instid1(VALU_DEP_1)
	v_add_f32_e32 v1, v1, v21
	v_add_f32_e32 v3, v1, v22
	v_mul_f32_e32 v5, v17, v9
	s_delay_alu instid0(VALU_DEP_1) | instskip(NEXT) | instid1(VALU_DEP_1)
	v_fma_f32 v4, v16, v8, -v5
	v_add_f32_e32 v2, v2, v4
	s_wait_loadcnt 0x0
	s_delay_alu instid0(VALU_DEP_1)
	v_dual_sub_f32 v1, v18, v2 :: v_dual_sub_f32 v2, v19, v3
	scratch_store_b64 off, v[1:2], off offset:464
	v_cmpx_lt_u32_e32 57, v0
	s_cbranch_execz .LBB126_277
; %bb.276:
	scratch_load_b64 v[1:2], off, off offset:456
	v_mov_b32_e32 v3, 0
	s_delay_alu instid0(VALU_DEP_1)
	v_mov_b32_e32 v4, v3
	scratch_store_b64 off, v[3:4], off offset:456
	s_wait_loadcnt 0x0
	ds_store_b64 v161, v[1:2]
.LBB126_277:
	s_wait_alu 0xfffe
	s_or_b32 exec_lo, exec_lo, s0
	s_wait_storecnt_dscnt 0x0
	s_barrier_signal -1
	s_barrier_wait -1
	global_inv scope:SCOPE_SE
	s_clause 0x3
	scratch_load_b128 v[2:5], off, off offset:464
	scratch_load_b128 v[6:9], off, off offset:480
	scratch_load_b64 v[18:19], off, off offset:496
	scratch_load_b64 v[20:21], off, off offset:456
	v_mov_b32_e32 v1, 0
	ds_load_b128 v[10:13], v1 offset:976
	ds_load_b128 v[14:17], v1 offset:992
	ds_load_b64 v[22:23], v1 offset:1008
	s_mov_b32 s0, exec_lo
	s_wait_loadcnt_dscnt 0x302
	v_dual_mul_f32 v24, v10, v3 :: v_dual_mul_f32 v25, v12, v5
	s_wait_loadcnt_dscnt 0x201
	v_dual_mul_f32 v26, v14, v7 :: v_dual_mul_f32 v5, v13, v5
	;; [unrolled: 2-line block ×3, first 2 shown]
	v_dual_fmac_f32 v24, v11, v2 :: v_dual_fmac_f32 v25, v13, v4
	s_delay_alu instid0(VALU_DEP_3) | instskip(SKIP_1) | instid1(VALU_DEP_3)
	v_fmac_f32_e32 v26, v15, v6
	v_fma_f32 v4, v12, v4, -v5
	v_dual_fmac_f32 v28, v23, v18 :: v_dual_add_f32 v5, 0, v24
	v_mul_f32_e32 v3, v11, v3
	s_delay_alu instid0(VALU_DEP_1) | instskip(SKIP_1) | instid1(VALU_DEP_2)
	v_fma_f32 v3, v10, v2, -v3
	v_dual_mul_f32 v2, v15, v7 :: v_dual_mul_f32 v7, v17, v9
	v_add_f32_e32 v3, 0, v3
	s_delay_alu instid0(VALU_DEP_2) | instskip(NEXT) | instid1(VALU_DEP_3)
	v_fma_f32 v2, v14, v6, -v2
	v_fma_f32 v6, v16, v8, -v7
	s_delay_alu instid0(VALU_DEP_3) | instskip(NEXT) | instid1(VALU_DEP_1)
	v_add_f32_e32 v3, v3, v4
	v_add_f32_e32 v2, v3, v2
	;; [unrolled: 1-line block ×3, first 2 shown]
	s_delay_alu instid0(VALU_DEP_2) | instskip(NEXT) | instid1(VALU_DEP_2)
	v_dual_add_f32 v2, v2, v6 :: v_dual_mul_f32 v5, v23, v19
	v_add_f32_e32 v3, v4, v26
	s_delay_alu instid0(VALU_DEP_2) | instskip(NEXT) | instid1(VALU_DEP_1)
	v_fma_f32 v4, v22, v18, -v5
	v_add_f32_e32 v2, v2, v4
	s_wait_loadcnt 0x0
	s_delay_alu instid0(VALU_DEP_1) | instskip(NEXT) | instid1(VALU_DEP_1)
	v_dual_fmac_f32 v27, v17, v8 :: v_dual_sub_f32 v2, v20, v2
	v_add_f32_e32 v3, v3, v27
	s_delay_alu instid0(VALU_DEP_1) | instskip(NEXT) | instid1(VALU_DEP_1)
	v_add_f32_e32 v3, v3, v28
	v_sub_f32_e32 v3, v21, v3
	scratch_store_b64 off, v[2:3], off offset:456
	v_cmpx_lt_u32_e32 56, v0
	s_cbranch_execz .LBB126_279
; %bb.278:
	scratch_load_b64 v[3:4], off, off offset:448
	v_mov_b32_e32 v2, v1
	scratch_store_b64 off, v[1:2], off offset:448
	s_wait_loadcnt 0x0
	ds_store_b64 v161, v[3:4]
.LBB126_279:
	s_wait_alu 0xfffe
	s_or_b32 exec_lo, exec_lo, s0
	s_wait_storecnt_dscnt 0x0
	s_barrier_signal -1
	s_barrier_wait -1
	global_inv scope:SCOPE_SE
	s_clause 0x3
	scratch_load_b128 v[2:5], off, off offset:456
	scratch_load_b128 v[6:9], off, off offset:472
	;; [unrolled: 1-line block ×3, first 2 shown]
	scratch_load_b64 v[26:27], off, off offset:448
	ds_load_2addr_b64 v[14:17], v1 offset0:121 offset1:122
	ds_load_2addr_b64 v[18:21], v1 offset0:123 offset1:124
	;; [unrolled: 1-line block ×3, first 2 shown]
	s_mov_b32 s0, exec_lo
	s_wait_loadcnt_dscnt 0x302
	v_dual_mul_f32 v1, v14, v3 :: v_dual_mul_f32 v28, v16, v5
	s_wait_loadcnt_dscnt 0x100
	v_dual_mul_f32 v3, v15, v3 :: v_dual_mul_f32 v32, v24, v13
	v_dual_mul_f32 v29, v18, v7 :: v_dual_mul_f32 v30, v20, v9
	v_mul_f32_e32 v5, v17, v5
	s_delay_alu instid0(VALU_DEP_3)
	v_fma_f32 v3, v14, v2, -v3
	v_fmac_f32_e32 v1, v15, v2
	v_mul_f32_e32 v2, v19, v7
	v_dual_mul_f32 v31, v22, v11 :: v_dual_fmac_f32 v28, v17, v4
	v_fma_f32 v4, v16, v4, -v5
	v_fmac_f32_e32 v30, v21, v8
	s_delay_alu instid0(VALU_DEP_4) | instskip(SKIP_4) | instid1(VALU_DEP_4)
	v_fma_f32 v2, v18, v6, -v2
	v_mul_f32_e32 v5, v21, v9
	v_add_f32_e32 v1, 0, v1
	v_dual_fmac_f32 v29, v19, v6 :: v_dual_fmac_f32 v32, v25, v12
	v_fmac_f32_e32 v31, v23, v10
	v_fma_f32 v5, v20, v8, -v5
	v_add_f32_e32 v3, 0, v3
	s_delay_alu instid0(VALU_DEP_1) | instskip(SKIP_1) | instid1(VALU_DEP_2)
	v_add_f32_e32 v3, v3, v4
	v_mul_f32_e32 v4, v23, v11
	v_add_f32_e32 v2, v3, v2
	s_delay_alu instid0(VALU_DEP_2) | instskip(NEXT) | instid1(VALU_DEP_2)
	v_fma_f32 v4, v22, v10, -v4
	v_add_f32_e32 v2, v2, v5
	s_delay_alu instid0(VALU_DEP_1) | instskip(NEXT) | instid1(VALU_DEP_1)
	v_dual_mul_f32 v3, v25, v13 :: v_dual_add_f32 v2, v2, v4
	v_fma_f32 v3, v24, v12, -v3
	s_delay_alu instid0(VALU_DEP_1) | instskip(NEXT) | instid1(VALU_DEP_1)
	v_dual_add_f32 v1, v1, v28 :: v_dual_add_f32 v2, v2, v3
	v_add_f32_e32 v1, v1, v29
	s_delay_alu instid0(VALU_DEP_1) | instskip(NEXT) | instid1(VALU_DEP_1)
	v_add_f32_e32 v1, v1, v30
	v_add_f32_e32 v1, v1, v31
	s_delay_alu instid0(VALU_DEP_1) | instskip(SKIP_1) | instid1(VALU_DEP_1)
	v_add_f32_e32 v3, v1, v32
	s_wait_loadcnt 0x0
	v_dual_sub_f32 v1, v26, v2 :: v_dual_sub_f32 v2, v27, v3
	scratch_store_b64 off, v[1:2], off offset:448
	v_cmpx_lt_u32_e32 55, v0
	s_cbranch_execz .LBB126_281
; %bb.280:
	scratch_load_b64 v[1:2], off, off offset:440
	v_mov_b32_e32 v3, 0
	s_delay_alu instid0(VALU_DEP_1)
	v_mov_b32_e32 v4, v3
	scratch_store_b64 off, v[3:4], off offset:440
	s_wait_loadcnt 0x0
	ds_store_b64 v161, v[1:2]
.LBB126_281:
	s_wait_alu 0xfffe
	s_or_b32 exec_lo, exec_lo, s0
	s_wait_storecnt_dscnt 0x0
	s_barrier_signal -1
	s_barrier_wait -1
	global_inv scope:SCOPE_SE
	s_clause 0x4
	scratch_load_b128 v[2:5], off, off offset:448
	scratch_load_b128 v[6:9], off, off offset:464
	;; [unrolled: 1-line block ×3, first 2 shown]
	scratch_load_b64 v[26:27], off, off offset:496
	scratch_load_b64 v[28:29], off, off offset:440
	v_mov_b32_e32 v1, 0
	ds_load_b128 v[14:17], v1 offset:960
	ds_load_b128 v[18:21], v1 offset:976
	;; [unrolled: 1-line block ×3, first 2 shown]
	ds_load_b64 v[30:31], v1 offset:1008
	s_mov_b32 s0, exec_lo
	s_wait_loadcnt_dscnt 0x403
	v_mul_f32_e32 v32, v14, v3
	s_wait_loadcnt_dscnt 0x302
	v_dual_mul_f32 v162, v20, v9 :: v_dual_mul_f32 v3, v15, v3
	v_dual_mul_f32 v159, v16, v5 :: v_dual_mul_f32 v160, v18, v7
	v_mul_f32_e32 v5, v17, v5
	s_wait_loadcnt_dscnt 0x100
	v_dual_mul_f32 v165, v30, v27 :: v_dual_fmac_f32 v32, v15, v2
	v_fma_f32 v3, v14, v2, -v3
	v_dual_mul_f32 v2, v19, v7 :: v_dual_fmac_f32 v159, v17, v4
	v_fmac_f32_e32 v160, v19, v6
	v_fma_f32 v4, v16, v4, -v5
	s_delay_alu instid0(VALU_DEP_4) | instskip(NEXT) | instid1(VALU_DEP_4)
	v_dual_add_f32 v3, 0, v3 :: v_dual_fmac_f32 v162, v21, v8
	v_fma_f32 v2, v18, v6, -v2
	v_dual_mul_f32 v163, v22, v11 :: v_dual_mul_f32 v164, v24, v13
	s_delay_alu instid0(VALU_DEP_3) | instskip(SKIP_1) | instid1(VALU_DEP_3)
	v_add_f32_e32 v3, v3, v4
	v_add_f32_e32 v5, 0, v32
	v_dual_fmac_f32 v163, v23, v10 :: v_dual_fmac_f32 v164, v25, v12
	s_delay_alu instid0(VALU_DEP_3) | instskip(NEXT) | instid1(VALU_DEP_3)
	v_dual_add_f32 v2, v3, v2 :: v_dual_mul_f32 v7, v21, v9
	v_add_f32_e32 v4, v5, v159
	v_mul_f32_e32 v5, v23, v11
	s_delay_alu instid0(VALU_DEP_3) | instskip(NEXT) | instid1(VALU_DEP_3)
	v_fma_f32 v6, v20, v8, -v7
	v_dual_add_f32 v3, v4, v160 :: v_dual_mul_f32 v4, v25, v13
	s_delay_alu instid0(VALU_DEP_3) | instskip(NEXT) | instid1(VALU_DEP_3)
	v_fma_f32 v5, v22, v10, -v5
	v_add_f32_e32 v2, v2, v6
	v_mul_f32_e32 v6, v31, v27
	s_delay_alu instid0(VALU_DEP_4) | instskip(SKIP_1) | instid1(VALU_DEP_4)
	v_add_f32_e32 v3, v3, v162
	v_fma_f32 v4, v24, v12, -v4
	v_add_f32_e32 v2, v2, v5
	s_delay_alu instid0(VALU_DEP_4) | instskip(NEXT) | instid1(VALU_DEP_2)
	v_fma_f32 v5, v30, v26, -v6
	v_dual_add_f32 v3, v3, v163 :: v_dual_add_f32 v2, v2, v4
	s_delay_alu instid0(VALU_DEP_1) | instskip(SKIP_1) | instid1(VALU_DEP_1)
	v_dual_fmac_f32 v165, v31, v26 :: v_dual_add_f32 v2, v2, v5
	s_wait_loadcnt 0x0
	v_dual_add_f32 v3, v3, v164 :: v_dual_sub_f32 v2, v28, v2
	s_delay_alu instid0(VALU_DEP_1) | instskip(NEXT) | instid1(VALU_DEP_1)
	v_add_f32_e32 v3, v3, v165
	v_sub_f32_e32 v3, v29, v3
	scratch_store_b64 off, v[2:3], off offset:440
	v_cmpx_lt_u32_e32 54, v0
	s_cbranch_execz .LBB126_283
; %bb.282:
	scratch_load_b64 v[3:4], off, off offset:432
	v_mov_b32_e32 v2, v1
	scratch_store_b64 off, v[1:2], off offset:432
	s_wait_loadcnt 0x0
	ds_store_b64 v161, v[3:4]
.LBB126_283:
	s_wait_alu 0xfffe
	s_or_b32 exec_lo, exec_lo, s0
	s_wait_storecnt_dscnt 0x0
	s_barrier_signal -1
	s_barrier_wait -1
	global_inv scope:SCOPE_SE
	s_clause 0x4
	scratch_load_b128 v[2:5], off, off offset:440
	scratch_load_b128 v[6:9], off, off offset:456
	;; [unrolled: 1-line block ×4, first 2 shown]
	scratch_load_b64 v[30:31], off, off offset:432
	ds_load_2addr_b64 v[18:21], v1 offset0:119 offset1:120
	ds_load_2addr_b64 v[22:25], v1 offset0:121 offset1:122
	;; [unrolled: 1-line block ×4, first 2 shown]
	s_mov_b32 s0, exec_lo
	s_wait_loadcnt_dscnt 0x403
	v_dual_mul_f32 v1, v18, v3 :: v_dual_mul_f32 v32, v20, v5
	v_mul_f32_e32 v3, v19, v3
	v_mul_f32_e32 v5, v21, v5
	s_wait_loadcnt_dscnt 0x302
	v_dual_mul_f32 v159, v22, v7 :: v_dual_mul_f32 v160, v24, v9
	v_fmac_f32_e32 v32, v21, v4
	v_fma_f32 v3, v18, v2, -v3
	s_wait_loadcnt_dscnt 0x201
	v_dual_mul_f32 v166, v26, v11 :: v_dual_mul_f32 v167, v28, v13
	v_dual_fmac_f32 v1, v19, v2 :: v_dual_fmac_f32 v160, v25, v8
	v_mul_f32_e32 v2, v23, v7
	v_fma_f32 v4, v20, v4, -v5
	s_delay_alu instid0(VALU_DEP_4) | instskip(NEXT) | instid1(VALU_DEP_4)
	v_dual_add_f32 v3, 0, v3 :: v_dual_fmac_f32 v166, v27, v10
	v_add_f32_e32 v1, 0, v1
	s_delay_alu instid0(VALU_DEP_4) | instskip(SKIP_4) | instid1(VALU_DEP_3)
	v_fma_f32 v2, v22, v6, -v2
	s_wait_loadcnt_dscnt 0x100
	v_dual_mul_f32 v168, v162, v15 :: v_dual_mul_f32 v169, v164, v17
	v_add_f32_e32 v3, v3, v4
	v_dual_mul_f32 v5, v25, v9 :: v_dual_mul_f32 v4, v27, v11
	v_dual_add_f32 v1, v1, v32 :: v_dual_fmac_f32 v168, v163, v14
	s_delay_alu instid0(VALU_DEP_3) | instskip(NEXT) | instid1(VALU_DEP_3)
	v_add_f32_e32 v2, v3, v2
	v_fma_f32 v5, v24, v8, -v5
	v_fmac_f32_e32 v159, v23, v6
	v_mul_f32_e32 v3, v29, v13
	v_fma_f32 v4, v26, v10, -v4
	s_delay_alu instid0(VALU_DEP_4) | instskip(NEXT) | instid1(VALU_DEP_4)
	v_dual_fmac_f32 v169, v165, v16 :: v_dual_add_f32 v2, v2, v5
	v_add_f32_e32 v1, v1, v159
	v_mul_f32_e32 v5, v163, v15
	v_fma_f32 v3, v28, v12, -v3
	s_delay_alu instid0(VALU_DEP_4) | instskip(NEXT) | instid1(VALU_DEP_4)
	v_add_f32_e32 v2, v2, v4
	v_add_f32_e32 v1, v1, v160
	v_mul_f32_e32 v4, v165, v17
	v_fma_f32 v5, v162, v14, -v5
	s_delay_alu instid0(VALU_DEP_4) | instskip(NEXT) | instid1(VALU_DEP_3)
	v_dual_add_f32 v2, v2, v3 :: v_dual_fmac_f32 v167, v29, v12
	v_fma_f32 v3, v164, v16, -v4
	s_delay_alu instid0(VALU_DEP_2) | instskip(NEXT) | instid1(VALU_DEP_1)
	v_dual_add_f32 v2, v2, v5 :: v_dual_add_f32 v1, v1, v166
	v_add_f32_e32 v2, v2, v3
	s_delay_alu instid0(VALU_DEP_2) | instskip(NEXT) | instid1(VALU_DEP_1)
	v_add_f32_e32 v1, v1, v167
	v_add_f32_e32 v1, v1, v168
	s_delay_alu instid0(VALU_DEP_1) | instskip(SKIP_1) | instid1(VALU_DEP_1)
	v_add_f32_e32 v3, v1, v169
	s_wait_loadcnt 0x0
	v_dual_sub_f32 v1, v30, v2 :: v_dual_sub_f32 v2, v31, v3
	scratch_store_b64 off, v[1:2], off offset:432
	v_cmpx_lt_u32_e32 53, v0
	s_cbranch_execz .LBB126_285
; %bb.284:
	scratch_load_b64 v[1:2], off, off offset:424
	v_mov_b32_e32 v3, 0
	s_delay_alu instid0(VALU_DEP_1)
	v_mov_b32_e32 v4, v3
	scratch_store_b64 off, v[3:4], off offset:424
	s_wait_loadcnt 0x0
	ds_store_b64 v161, v[1:2]
.LBB126_285:
	s_wait_alu 0xfffe
	s_or_b32 exec_lo, exec_lo, s0
	s_wait_storecnt_dscnt 0x0
	s_barrier_signal -1
	s_barrier_wait -1
	global_inv scope:SCOPE_SE
	s_clause 0x5
	scratch_load_b128 v[2:5], off, off offset:432
	scratch_load_b128 v[6:9], off, off offset:448
	;; [unrolled: 1-line block ×4, first 2 shown]
	scratch_load_b64 v[30:31], off, off offset:496
	scratch_load_b64 v[159:160], off, off offset:424
	v_mov_b32_e32 v1, 0
	ds_load_b128 v[18:21], v1 offset:944
	ds_load_b128 v[22:25], v1 offset:960
	;; [unrolled: 1-line block ×4, first 2 shown]
	ds_load_b64 v[166:167], v1 offset:1008
	s_mov_b32 s0, exec_lo
	s_wait_loadcnt_dscnt 0x504
	v_mul_f32_e32 v32, v18, v3
	s_wait_loadcnt_dscnt 0x302
	v_dual_mul_f32 v3, v19, v3 :: v_dual_mul_f32 v172, v28, v13
	v_dual_mul_f32 v168, v20, v5 :: v_dual_mul_f32 v169, v22, v7
	v_mul_f32_e32 v5, v21, v5
	s_delay_alu instid0(VALU_DEP_3) | instskip(SKIP_3) | instid1(VALU_DEP_3)
	v_fma_f32 v3, v18, v2, -v3
	s_wait_loadcnt_dscnt 0x100
	v_dual_mul_f32 v175, v166, v31 :: v_dual_fmac_f32 v32, v19, v2
	v_mul_f32_e32 v2, v23, v7
	v_dual_fmac_f32 v168, v21, v4 :: v_dual_add_f32 v3, 0, v3
	v_fma_f32 v4, v20, v4, -v5
	v_dual_mul_f32 v170, v24, v9 :: v_dual_mul_f32 v171, v26, v11
	s_delay_alu instid0(VALU_DEP_4) | instskip(SKIP_1) | instid1(VALU_DEP_4)
	v_fma_f32 v2, v22, v6, -v2
	v_dual_mul_f32 v173, v162, v15 :: v_dual_mul_f32 v174, v164, v17
	v_add_f32_e32 v3, v3, v4
	v_add_f32_e32 v5, 0, v32
	v_dual_fmac_f32 v170, v25, v8 :: v_dual_fmac_f32 v171, v27, v10
	v_fmac_f32_e32 v172, v29, v12
	s_delay_alu instid0(VALU_DEP_4) | instskip(NEXT) | instid1(VALU_DEP_4)
	v_dual_add_f32 v2, v3, v2 :: v_dual_mul_f32 v7, v25, v9
	v_dual_fmac_f32 v169, v23, v6 :: v_dual_add_f32 v4, v5, v168
	v_mul_f32_e32 v5, v27, v11
	v_dual_fmac_f32 v173, v163, v14 :: v_dual_fmac_f32 v174, v165, v16
	s_delay_alu instid0(VALU_DEP_4) | instskip(NEXT) | instid1(VALU_DEP_4)
	v_fma_f32 v6, v24, v8, -v7
	v_add_f32_e32 v3, v4, v169
	v_mul_f32_e32 v4, v29, v13
	v_fma_f32 v5, v26, v10, -v5
	s_delay_alu instid0(VALU_DEP_4) | instskip(SKIP_3) | instid1(VALU_DEP_4)
	v_add_f32_e32 v2, v2, v6
	v_mul_f32_e32 v6, v163, v15
	v_add_f32_e32 v3, v3, v170
	v_fma_f32 v4, v28, v12, -v4
	v_add_f32_e32 v2, v2, v5
	v_mul_f32_e32 v5, v165, v17
	s_delay_alu instid0(VALU_DEP_4) | instskip(SKIP_1) | instid1(VALU_DEP_4)
	v_add_f32_e32 v3, v3, v171
	v_fma_f32 v6, v162, v14, -v6
	v_add_f32_e32 v2, v2, v4
	v_mul_f32_e32 v4, v167, v31
	s_delay_alu instid0(VALU_DEP_4) | instskip(SKIP_1) | instid1(VALU_DEP_4)
	v_add_f32_e32 v3, v3, v172
	v_fma_f32 v5, v164, v16, -v5
	v_add_f32_e32 v2, v2, v6
	v_fmac_f32_e32 v175, v167, v30
	v_fma_f32 v4, v166, v30, -v4
	s_delay_alu instid0(VALU_DEP_3) | instskip(NEXT) | instid1(VALU_DEP_1)
	v_add_f32_e32 v2, v2, v5
	v_dual_add_f32 v3, v3, v173 :: v_dual_add_f32 v2, v2, v4
	s_delay_alu instid0(VALU_DEP_1) | instskip(NEXT) | instid1(VALU_DEP_1)
	v_add_f32_e32 v3, v3, v174
	v_add_f32_e32 v3, v3, v175
	s_wait_loadcnt 0x0
	s_delay_alu instid0(VALU_DEP_1)
	v_dual_sub_f32 v2, v159, v2 :: v_dual_sub_f32 v3, v160, v3
	scratch_store_b64 off, v[2:3], off offset:424
	v_cmpx_lt_u32_e32 52, v0
	s_cbranch_execz .LBB126_287
; %bb.286:
	scratch_load_b64 v[3:4], off, off offset:416
	v_mov_b32_e32 v2, v1
	scratch_store_b64 off, v[1:2], off offset:416
	s_wait_loadcnt 0x0
	ds_store_b64 v161, v[3:4]
.LBB126_287:
	s_wait_alu 0xfffe
	s_or_b32 exec_lo, exec_lo, s0
	s_wait_storecnt_dscnt 0x0
	s_barrier_signal -1
	s_barrier_wait -1
	global_inv scope:SCOPE_SE
	s_clause 0x5
	scratch_load_b128 v[2:5], off, off offset:424
	scratch_load_b128 v[6:9], off, off offset:440
	;; [unrolled: 1-line block ×5, first 2 shown]
	scratch_load_b64 v[30:31], off, off offset:416
	ds_load_2addr_b64 v[22:25], v1 offset0:117 offset1:118
	ds_load_2addr_b64 v[26:29], v1 offset0:119 offset1:120
	;; [unrolled: 1-line block ×5, first 2 shown]
	s_mov_b32 s0, exec_lo
	s_wait_loadcnt_dscnt 0x504
	v_dual_mul_f32 v1, v22, v3 :: v_dual_mul_f32 v32, v24, v5
	v_mul_f32_e32 v3, v23, v3
	v_mul_f32_e32 v5, v25, v5
	s_wait_loadcnt_dscnt 0x403
	v_dual_mul_f32 v159, v26, v7 :: v_dual_mul_f32 v160, v28, v9
	v_fmac_f32_e32 v32, v25, v4
	v_fma_f32 v3, v22, v2, -v3
	s_wait_loadcnt_dscnt 0x302
	v_dual_mul_f32 v174, v162, v11 :: v_dual_mul_f32 v175, v164, v13
	v_dual_fmac_f32 v1, v23, v2 :: v_dual_fmac_f32 v160, v29, v8
	v_mul_f32_e32 v2, v27, v7
	v_fma_f32 v4, v24, v4, -v5
	s_delay_alu instid0(VALU_DEP_4) | instskip(NEXT) | instid1(VALU_DEP_4)
	v_dual_add_f32 v3, 0, v3 :: v_dual_fmac_f32 v174, v163, v10
	v_add_f32_e32 v1, 0, v1
	s_delay_alu instid0(VALU_DEP_4) | instskip(SKIP_4) | instid1(VALU_DEP_3)
	v_fma_f32 v2, v26, v6, -v2
	s_wait_loadcnt_dscnt 0x201
	v_dual_mul_f32 v176, v166, v15 :: v_dual_mul_f32 v177, v168, v17
	v_add_f32_e32 v3, v3, v4
	v_dual_mul_f32 v5, v29, v9 :: v_dual_mul_f32 v4, v163, v11
	v_dual_add_f32 v1, v1, v32 :: v_dual_fmac_f32 v176, v167, v14
	s_delay_alu instid0(VALU_DEP_3) | instskip(NEXT) | instid1(VALU_DEP_3)
	v_add_f32_e32 v2, v3, v2
	v_fma_f32 v5, v28, v8, -v5
	v_fmac_f32_e32 v159, v27, v6
	v_fma_f32 v4, v162, v10, -v4
	s_wait_loadcnt_dscnt 0x100
	v_dual_mul_f32 v178, v170, v19 :: v_dual_mul_f32 v179, v172, v21
	s_delay_alu instid0(VALU_DEP_3) | instskip(NEXT) | instid1(VALU_DEP_2)
	v_dual_add_f32 v2, v2, v5 :: v_dual_add_f32 v1, v1, v159
	v_dual_mul_f32 v3, v165, v13 :: v_dual_fmac_f32 v178, v171, v18
	v_fmac_f32_e32 v177, v169, v16
	s_delay_alu instid0(VALU_DEP_3) | instskip(SKIP_1) | instid1(VALU_DEP_4)
	v_add_f32_e32 v2, v2, v4
	v_mul_f32_e32 v4, v169, v17
	v_fma_f32 v3, v164, v12, -v3
	v_add_f32_e32 v1, v1, v160
	v_fmac_f32_e32 v179, v173, v20
	s_delay_alu instid0(VALU_DEP_4) | instskip(SKIP_3) | instid1(VALU_DEP_3)
	v_fma_f32 v4, v168, v16, -v4
	v_mul_f32_e32 v5, v167, v15
	v_add_f32_e32 v2, v2, v3
	v_mul_f32_e32 v3, v171, v19
	v_fma_f32 v5, v166, v14, -v5
	v_fmac_f32_e32 v175, v165, v12
	s_delay_alu instid0(VALU_DEP_3) | instskip(NEXT) | instid1(VALU_DEP_3)
	v_fma_f32 v3, v170, v18, -v3
	v_add_f32_e32 v2, v2, v5
	s_delay_alu instid0(VALU_DEP_1) | instskip(SKIP_1) | instid1(VALU_DEP_2)
	v_dual_mul_f32 v5, v173, v21 :: v_dual_add_f32 v2, v2, v4
	v_add_f32_e32 v1, v1, v174
	v_fma_f32 v4, v172, v20, -v5
	s_delay_alu instid0(VALU_DEP_3) | instskip(NEXT) | instid1(VALU_DEP_1)
	v_add_f32_e32 v2, v2, v3
	v_dual_add_f32 v1, v1, v175 :: v_dual_add_f32 v2, v2, v4
	s_delay_alu instid0(VALU_DEP_1) | instskip(NEXT) | instid1(VALU_DEP_1)
	v_add_f32_e32 v1, v1, v176
	v_add_f32_e32 v1, v1, v177
	s_delay_alu instid0(VALU_DEP_1) | instskip(NEXT) | instid1(VALU_DEP_1)
	v_add_f32_e32 v1, v1, v178
	v_add_f32_e32 v3, v1, v179
	s_wait_loadcnt 0x0
	s_delay_alu instid0(VALU_DEP_1)
	v_dual_sub_f32 v1, v30, v2 :: v_dual_sub_f32 v2, v31, v3
	scratch_store_b64 off, v[1:2], off offset:416
	v_cmpx_lt_u32_e32 51, v0
	s_cbranch_execz .LBB126_289
; %bb.288:
	scratch_load_b64 v[1:2], off, off offset:408
	v_mov_b32_e32 v3, 0
	s_delay_alu instid0(VALU_DEP_1)
	v_mov_b32_e32 v4, v3
	scratch_store_b64 off, v[3:4], off offset:408
	s_wait_loadcnt 0x0
	ds_store_b64 v161, v[1:2]
.LBB126_289:
	s_wait_alu 0xfffe
	s_or_b32 exec_lo, exec_lo, s0
	s_wait_storecnt_dscnt 0x0
	s_barrier_signal -1
	s_barrier_wait -1
	global_inv scope:SCOPE_SE
	s_clause 0x6
	scratch_load_b128 v[2:5], off, off offset:416
	scratch_load_b128 v[6:9], off, off offset:432
	scratch_load_b128 v[10:13], off, off offset:448
	scratch_load_b128 v[14:17], off, off offset:464
	scratch_load_b128 v[18:21], off, off offset:480
	scratch_load_b64 v[30:31], off, off offset:496
	scratch_load_b64 v[159:160], off, off offset:408
	v_mov_b32_e32 v1, 0
	ds_load_b128 v[22:25], v1 offset:928
	ds_load_b128 v[26:29], v1 offset:944
	;; [unrolled: 1-line block ×5, first 2 shown]
	ds_load_b64 v[174:175], v1 offset:1008
	s_mov_b32 s0, exec_lo
	s_wait_loadcnt_dscnt 0x605
	v_mul_f32_e32 v32, v22, v3
	v_dual_mul_f32 v3, v23, v3 :: v_dual_mul_f32 v176, v24, v5
	s_wait_loadcnt_dscnt 0x302
	v_dual_mul_f32 v177, v26, v7 :: v_dual_mul_f32 v182, v168, v17
	v_mul_f32_e32 v5, v25, v5
	s_delay_alu instid0(VALU_DEP_3) | instskip(SKIP_3) | instid1(VALU_DEP_3)
	v_fma_f32 v3, v22, v2, -v3
	s_wait_loadcnt_dscnt 0x100
	v_dual_mul_f32 v185, v174, v31 :: v_dual_fmac_f32 v32, v23, v2
	v_mul_f32_e32 v2, v27, v7
	v_dual_fmac_f32 v176, v25, v4 :: v_dual_add_f32 v3, 0, v3
	v_fma_f32 v4, v24, v4, -v5
	v_dual_mul_f32 v178, v28, v9 :: v_dual_mul_f32 v179, v162, v11
	s_delay_alu instid0(VALU_DEP_4) | instskip(SKIP_1) | instid1(VALU_DEP_4)
	v_fma_f32 v2, v26, v6, -v2
	v_dual_mul_f32 v180, v164, v13 :: v_dual_mul_f32 v181, v166, v15
	v_add_f32_e32 v3, v3, v4
	v_add_f32_e32 v5, 0, v32
	v_dual_fmac_f32 v178, v29, v8 :: v_dual_fmac_f32 v179, v163, v10
	s_delay_alu instid0(VALU_DEP_4) | instskip(NEXT) | instid1(VALU_DEP_4)
	v_fmac_f32_e32 v180, v165, v12
	v_dual_add_f32 v2, v3, v2 :: v_dual_mul_f32 v7, v29, v9
	s_delay_alu instid0(VALU_DEP_4) | instskip(SKIP_2) | instid1(VALU_DEP_4)
	v_dual_fmac_f32 v177, v27, v6 :: v_dual_add_f32 v4, v5, v176
	v_mul_f32_e32 v5, v163, v11
	v_dual_fmac_f32 v181, v167, v14 :: v_dual_fmac_f32 v182, v169, v16
	v_fma_f32 v6, v28, v8, -v7
	s_delay_alu instid0(VALU_DEP_4)
	v_add_f32_e32 v3, v4, v177
	v_mul_f32_e32 v4, v165, v13
	v_fma_f32 v5, v162, v10, -v5
	v_dual_mul_f32 v183, v170, v19 :: v_dual_mul_f32 v184, v172, v21
	v_add_f32_e32 v2, v2, v6
	v_mul_f32_e32 v6, v167, v15
	v_add_f32_e32 v3, v3, v178
	v_fma_f32 v4, v164, v12, -v4
	s_delay_alu instid0(VALU_DEP_4) | instskip(SKIP_1) | instid1(VALU_DEP_4)
	v_dual_fmac_f32 v183, v171, v18 :: v_dual_add_f32 v2, v2, v5
	v_mul_f32_e32 v5, v169, v17
	v_add_f32_e32 v3, v3, v179
	v_fma_f32 v6, v166, v14, -v6
	v_fmac_f32_e32 v184, v173, v20
	v_add_f32_e32 v2, v2, v4
	v_mul_f32_e32 v4, v171, v19
	v_add_f32_e32 v3, v3, v180
	v_fma_f32 v5, v168, v16, -v5
	s_delay_alu instid0(VALU_DEP_4) | instskip(SKIP_1) | instid1(VALU_DEP_4)
	v_add_f32_e32 v2, v2, v6
	v_mul_f32_e32 v6, v173, v21
	v_add_f32_e32 v3, v3, v181
	v_fma_f32 v4, v170, v18, -v4
	s_delay_alu instid0(VALU_DEP_4) | instskip(NEXT) | instid1(VALU_DEP_4)
	v_add_f32_e32 v2, v2, v5
	v_fma_f32 v6, v172, v20, -v6
	s_delay_alu instid0(VALU_DEP_4) | instskip(NEXT) | instid1(VALU_DEP_3)
	v_add_f32_e32 v3, v3, v182
	v_dual_mul_f32 v5, v175, v31 :: v_dual_add_f32 v2, v2, v4
	s_delay_alu instid0(VALU_DEP_2) | instskip(NEXT) | instid1(VALU_DEP_2)
	v_add_f32_e32 v3, v3, v183
	v_fma_f32 v4, v174, v30, -v5
	s_delay_alu instid0(VALU_DEP_3) | instskip(SKIP_1) | instid1(VALU_DEP_4)
	v_add_f32_e32 v2, v2, v6
	v_fmac_f32_e32 v185, v175, v30
	v_add_f32_e32 v3, v3, v184
	s_delay_alu instid0(VALU_DEP_1) | instskip(SKIP_1) | instid1(VALU_DEP_1)
	v_dual_add_f32 v2, v2, v4 :: v_dual_add_f32 v3, v3, v185
	s_wait_loadcnt 0x0
	v_dual_sub_f32 v2, v159, v2 :: v_dual_sub_f32 v3, v160, v3
	scratch_store_b64 off, v[2:3], off offset:408
	v_cmpx_lt_u32_e32 50, v0
	s_cbranch_execz .LBB126_291
; %bb.290:
	scratch_load_b64 v[3:4], off, off offset:400
	v_mov_b32_e32 v2, v1
	scratch_store_b64 off, v[1:2], off offset:400
	s_wait_loadcnt 0x0
	ds_store_b64 v161, v[3:4]
.LBB126_291:
	s_wait_alu 0xfffe
	s_or_b32 exec_lo, exec_lo, s0
	s_wait_storecnt_dscnt 0x0
	s_barrier_signal -1
	s_barrier_wait -1
	global_inv scope:SCOPE_SE
	s_clause 0x6
	scratch_load_b128 v[2:5], off, off offset:408
	scratch_load_b128 v[6:9], off, off offset:424
	;; [unrolled: 1-line block ×6, first 2 shown]
	scratch_load_b64 v[30:31], off, off offset:400
	ds_load_2addr_b64 v[26:29], v1 offset0:115 offset1:116
	ds_load_2addr_b64 v[162:165], v1 offset0:117 offset1:118
	;; [unrolled: 1-line block ×6, first 2 shown]
	s_mov_b32 s0, exec_lo
	s_wait_loadcnt_dscnt 0x605
	v_dual_mul_f32 v1, v26, v3 :: v_dual_mul_f32 v32, v28, v5
	v_mul_f32_e32 v3, v27, v3
	v_mul_f32_e32 v5, v29, v5
	s_wait_loadcnt_dscnt 0x504
	v_dual_mul_f32 v159, v162, v7 :: v_dual_mul_f32 v160, v164, v9
	v_fmac_f32_e32 v32, v29, v4
	v_fma_f32 v3, v26, v2, -v3
	s_wait_loadcnt_dscnt 0x403
	v_dual_mul_f32 v182, v166, v11 :: v_dual_mul_f32 v183, v168, v13
	v_dual_fmac_f32 v1, v27, v2 :: v_dual_fmac_f32 v160, v165, v8
	v_mul_f32_e32 v2, v163, v7
	v_fma_f32 v4, v28, v4, -v5
	s_delay_alu instid0(VALU_DEP_4) | instskip(NEXT) | instid1(VALU_DEP_4)
	v_dual_add_f32 v3, 0, v3 :: v_dual_fmac_f32 v182, v167, v10
	v_add_f32_e32 v1, 0, v1
	s_delay_alu instid0(VALU_DEP_4) | instskip(SKIP_4) | instid1(VALU_DEP_3)
	v_fma_f32 v2, v162, v6, -v2
	s_wait_loadcnt_dscnt 0x302
	v_dual_mul_f32 v184, v170, v15 :: v_dual_mul_f32 v185, v172, v17
	v_add_f32_e32 v3, v3, v4
	v_dual_mul_f32 v5, v165, v9 :: v_dual_mul_f32 v4, v167, v11
	v_dual_add_f32 v1, v1, v32 :: v_dual_fmac_f32 v184, v171, v14
	s_delay_alu instid0(VALU_DEP_3) | instskip(NEXT) | instid1(VALU_DEP_3)
	v_add_f32_e32 v2, v3, v2
	v_fma_f32 v5, v164, v8, -v5
	v_fmac_f32_e32 v159, v163, v6
	v_fma_f32 v4, v166, v10, -v4
	s_wait_loadcnt_dscnt 0x201
	v_dual_mul_f32 v186, v174, v19 :: v_dual_mul_f32 v187, v176, v21
	s_delay_alu instid0(VALU_DEP_3) | instskip(NEXT) | instid1(VALU_DEP_2)
	v_dual_add_f32 v2, v2, v5 :: v_dual_add_f32 v1, v1, v159
	v_dual_mul_f32 v3, v169, v13 :: v_dual_fmac_f32 v186, v175, v18
	s_wait_loadcnt_dscnt 0x100
	v_dual_mul_f32 v188, v178, v23 :: v_dual_mul_f32 v189, v180, v25
	s_delay_alu instid0(VALU_DEP_3)
	v_add_f32_e32 v2, v2, v4
	v_mul_f32_e32 v4, v173, v17
	v_fma_f32 v3, v168, v12, -v3
	v_add_f32_e32 v1, v1, v160
	v_fmac_f32_e32 v187, v177, v20
	v_fmac_f32_e32 v189, v181, v24
	v_fma_f32 v4, v172, v16, -v4
	v_mul_f32_e32 v5, v171, v15
	v_dual_add_f32 v2, v2, v3 :: v_dual_add_f32 v1, v1, v182
	v_fmac_f32_e32 v188, v179, v22
	s_delay_alu instid0(VALU_DEP_3) | instskip(NEXT) | instid1(VALU_DEP_1)
	v_fma_f32 v5, v170, v14, -v5
	v_dual_fmac_f32 v183, v169, v12 :: v_dual_add_f32 v2, v2, v5
	s_delay_alu instid0(VALU_DEP_1) | instskip(SKIP_1) | instid1(VALU_DEP_3)
	v_add_f32_e32 v2, v2, v4
	v_mul_f32_e32 v4, v179, v23
	v_add_f32_e32 v1, v1, v183
	s_delay_alu instid0(VALU_DEP_2) | instskip(SKIP_1) | instid1(VALU_DEP_1)
	v_fma_f32 v4, v178, v22, -v4
	v_mul_f32_e32 v5, v177, v21
	v_fma_f32 v5, v176, v20, -v5
	v_mul_f32_e32 v3, v175, v19
	s_delay_alu instid0(VALU_DEP_1) | instskip(NEXT) | instid1(VALU_DEP_1)
	v_fma_f32 v3, v174, v18, -v3
	v_dual_fmac_f32 v185, v173, v16 :: v_dual_add_f32 v2, v2, v3
	v_mul_f32_e32 v3, v181, v25
	s_delay_alu instid0(VALU_DEP_2) | instskip(NEXT) | instid1(VALU_DEP_2)
	v_add_f32_e32 v2, v2, v5
	v_fma_f32 v3, v180, v24, -v3
	s_delay_alu instid0(VALU_DEP_2) | instskip(NEXT) | instid1(VALU_DEP_1)
	v_add_f32_e32 v2, v2, v4
	v_dual_add_f32 v1, v1, v184 :: v_dual_add_f32 v2, v2, v3
	s_delay_alu instid0(VALU_DEP_1) | instskip(NEXT) | instid1(VALU_DEP_1)
	v_add_f32_e32 v1, v1, v185
	v_add_f32_e32 v1, v1, v186
	s_delay_alu instid0(VALU_DEP_1) | instskip(NEXT) | instid1(VALU_DEP_1)
	v_add_f32_e32 v1, v1, v187
	v_add_f32_e32 v1, v1, v188
	s_delay_alu instid0(VALU_DEP_1) | instskip(SKIP_1) | instid1(VALU_DEP_1)
	v_add_f32_e32 v3, v1, v189
	s_wait_loadcnt 0x0
	v_dual_sub_f32 v1, v30, v2 :: v_dual_sub_f32 v2, v31, v3
	scratch_store_b64 off, v[1:2], off offset:400
	v_cmpx_lt_u32_e32 49, v0
	s_cbranch_execz .LBB126_293
; %bb.292:
	scratch_load_b64 v[1:2], off, off offset:392
	v_mov_b32_e32 v3, 0
	s_delay_alu instid0(VALU_DEP_1)
	v_mov_b32_e32 v4, v3
	scratch_store_b64 off, v[3:4], off offset:392
	s_wait_loadcnt 0x0
	ds_store_b64 v161, v[1:2]
.LBB126_293:
	s_wait_alu 0xfffe
	s_or_b32 exec_lo, exec_lo, s0
	s_wait_storecnt_dscnt 0x0
	s_barrier_signal -1
	s_barrier_wait -1
	global_inv scope:SCOPE_SE
	s_clause 0x7
	scratch_load_b128 v[2:5], off, off offset:400
	scratch_load_b128 v[6:9], off, off offset:416
	;; [unrolled: 1-line block ×6, first 2 shown]
	scratch_load_b64 v[30:31], off, off offset:496
	scratch_load_b64 v[159:160], off, off offset:392
	v_mov_b32_e32 v1, 0
	ds_load_b128 v[26:29], v1 offset:912
	ds_load_b128 v[162:165], v1 offset:928
	;; [unrolled: 1-line block ×6, first 2 shown]
	ds_load_b64 v[182:183], v1 offset:1008
	s_mov_b32 s0, exec_lo
	s_wait_loadcnt_dscnt 0x706
	v_mul_f32_e32 v32, v26, v3
	v_dual_mul_f32 v3, v27, v3 :: v_dual_mul_f32 v184, v28, v5
	s_wait_loadcnt_dscnt 0x302
	v_dual_mul_f32 v185, v162, v7 :: v_dual_mul_f32 v192, v176, v21
	v_mul_f32_e32 v5, v29, v5
	s_delay_alu instid0(VALU_DEP_3) | instskip(SKIP_3) | instid1(VALU_DEP_3)
	v_fma_f32 v3, v26, v2, -v3
	s_wait_loadcnt_dscnt 0x100
	v_dual_mul_f32 v195, v182, v31 :: v_dual_fmac_f32 v32, v27, v2
	v_mul_f32_e32 v2, v163, v7
	v_dual_fmac_f32 v184, v29, v4 :: v_dual_add_f32 v3, 0, v3
	v_fma_f32 v4, v28, v4, -v5
	v_dual_mul_f32 v186, v164, v9 :: v_dual_mul_f32 v187, v166, v11
	s_delay_alu instid0(VALU_DEP_4) | instskip(SKIP_1) | instid1(VALU_DEP_4)
	v_fma_f32 v2, v162, v6, -v2
	v_dual_mul_f32 v188, v168, v13 :: v_dual_mul_f32 v189, v170, v15
	v_add_f32_e32 v3, v3, v4
	v_add_f32_e32 v5, 0, v32
	v_dual_fmac_f32 v186, v165, v8 :: v_dual_fmac_f32 v187, v167, v10
	s_delay_alu instid0(VALU_DEP_4) | instskip(NEXT) | instid1(VALU_DEP_4)
	v_fmac_f32_e32 v188, v169, v12
	v_dual_add_f32 v2, v3, v2 :: v_dual_mul_f32 v7, v165, v9
	s_delay_alu instid0(VALU_DEP_4) | instskip(SKIP_2) | instid1(VALU_DEP_4)
	v_dual_fmac_f32 v185, v163, v6 :: v_dual_add_f32 v4, v5, v184
	v_dual_mul_f32 v5, v167, v11 :: v_dual_mul_f32 v190, v172, v17
	v_mul_f32_e32 v191, v174, v19
	v_fma_f32 v6, v164, v8, -v7
	s_delay_alu instid0(VALU_DEP_4)
	v_add_f32_e32 v3, v4, v185
	v_mul_f32_e32 v4, v169, v13
	v_fma_f32 v5, v166, v10, -v5
	v_dual_fmac_f32 v189, v171, v14 :: v_dual_fmac_f32 v190, v173, v16
	v_add_f32_e32 v2, v2, v6
	v_mul_f32_e32 v6, v171, v15
	v_add_f32_e32 v3, v3, v186
	v_fma_f32 v4, v168, v12, -v4
	v_dual_mul_f32 v193, v178, v23 :: v_dual_mul_f32 v194, v180, v25
	s_delay_alu instid0(VALU_DEP_3) | instskip(SKIP_2) | instid1(VALU_DEP_3)
	v_dual_add_f32 v2, v2, v5 :: v_dual_add_f32 v3, v3, v187
	v_mul_f32_e32 v5, v173, v17
	v_fma_f32 v6, v170, v14, -v6
	v_dual_fmac_f32 v191, v175, v18 :: v_dual_add_f32 v2, v2, v4
	s_delay_alu instid0(VALU_DEP_4) | instskip(SKIP_3) | instid1(VALU_DEP_4)
	v_add_f32_e32 v3, v3, v188
	v_mul_f32_e32 v4, v175, v19
	v_fma_f32 v5, v172, v16, -v5
	v_fmac_f32_e32 v192, v177, v20
	v_dual_add_f32 v2, v2, v6 :: v_dual_add_f32 v3, v3, v189
	v_mul_f32_e32 v6, v177, v21
	v_fma_f32 v4, v174, v18, -v4
	v_dual_fmac_f32 v193, v179, v22 :: v_dual_fmac_f32 v194, v181, v24
	s_delay_alu instid0(VALU_DEP_4) | instskip(SKIP_2) | instid1(VALU_DEP_3)
	v_dual_add_f32 v2, v2, v5 :: v_dual_add_f32 v3, v3, v190
	v_mul_f32_e32 v5, v179, v23
	v_fma_f32 v6, v176, v20, -v6
	v_dual_fmac_f32 v195, v183, v30 :: v_dual_add_f32 v2, v2, v4
	s_delay_alu instid0(VALU_DEP_4) | instskip(NEXT) | instid1(VALU_DEP_4)
	v_dual_add_f32 v3, v3, v191 :: v_dual_mul_f32 v4, v181, v25
	v_fma_f32 v5, v178, v22, -v5
	s_delay_alu instid0(VALU_DEP_2) | instskip(SKIP_1) | instid1(VALU_DEP_4)
	v_dual_add_f32 v2, v2, v6 :: v_dual_add_f32 v3, v3, v192
	v_mul_f32_e32 v6, v183, v31
	v_fma_f32 v4, v180, v24, -v4
	s_delay_alu instid0(VALU_DEP_3) | instskip(NEXT) | instid1(VALU_DEP_4)
	v_add_f32_e32 v2, v2, v5
	v_add_f32_e32 v3, v3, v193
	s_delay_alu instid0(VALU_DEP_4) | instskip(NEXT) | instid1(VALU_DEP_2)
	v_fma_f32 v5, v182, v30, -v6
	v_dual_add_f32 v2, v2, v4 :: v_dual_add_f32 v3, v3, v194
	s_delay_alu instid0(VALU_DEP_1) | instskip(SKIP_1) | instid1(VALU_DEP_1)
	v_dual_add_f32 v2, v2, v5 :: v_dual_add_f32 v3, v3, v195
	s_wait_loadcnt 0x0
	v_dual_sub_f32 v2, v159, v2 :: v_dual_sub_f32 v3, v160, v3
	scratch_store_b64 off, v[2:3], off offset:392
	v_cmpx_lt_u32_e32 48, v0
	s_cbranch_execz .LBB126_295
; %bb.294:
	scratch_load_b64 v[3:4], off, off offset:384
	v_mov_b32_e32 v2, v1
	scratch_store_b64 off, v[1:2], off offset:384
	s_wait_loadcnt 0x0
	ds_store_b64 v161, v[3:4]
.LBB126_295:
	s_wait_alu 0xfffe
	s_or_b32 exec_lo, exec_lo, s0
	s_wait_storecnt_dscnt 0x0
	s_barrier_signal -1
	s_barrier_wait -1
	global_inv scope:SCOPE_SE
	s_clause 0x7
	scratch_load_b128 v[2:5], off, off offset:392
	scratch_load_b128 v[6:9], off, off offset:408
	;; [unrolled: 1-line block ×7, first 2 shown]
	scratch_load_b64 v[30:31], off, off offset:384
	ds_load_2addr_b64 v[162:165], v1 offset0:113 offset1:114
	ds_load_2addr_b64 v[166:169], v1 offset0:115 offset1:116
	;; [unrolled: 1-line block ×7, first 2 shown]
	s_mov_b32 s0, exec_lo
	s_wait_loadcnt_dscnt 0x706
	v_dual_mul_f32 v1, v162, v3 :: v_dual_mul_f32 v32, v164, v5
	v_mul_f32_e32 v3, v163, v3
	v_mul_f32_e32 v5, v165, v5
	s_wait_loadcnt_dscnt 0x605
	v_dual_mul_f32 v159, v166, v7 :: v_dual_mul_f32 v160, v168, v9
	v_fmac_f32_e32 v32, v165, v4
	v_fma_f32 v3, v162, v2, -v3
	s_wait_loadcnt_dscnt 0x504
	v_dual_mul_f32 v190, v170, v11 :: v_dual_mul_f32 v191, v172, v13
	v_dual_fmac_f32 v1, v163, v2 :: v_dual_fmac_f32 v160, v169, v8
	v_mul_f32_e32 v2, v167, v7
	v_fma_f32 v4, v164, v4, -v5
	s_delay_alu instid0(VALU_DEP_4) | instskip(NEXT) | instid1(VALU_DEP_4)
	v_dual_add_f32 v3, 0, v3 :: v_dual_fmac_f32 v190, v171, v10
	v_add_f32_e32 v1, 0, v1
	s_delay_alu instid0(VALU_DEP_4) | instskip(SKIP_4) | instid1(VALU_DEP_3)
	v_fma_f32 v2, v166, v6, -v2
	s_wait_loadcnt_dscnt 0x403
	v_dual_mul_f32 v192, v174, v15 :: v_dual_mul_f32 v193, v176, v17
	v_add_f32_e32 v3, v3, v4
	v_dual_mul_f32 v5, v169, v9 :: v_dual_mul_f32 v4, v171, v11
	v_dual_add_f32 v1, v1, v32 :: v_dual_fmac_f32 v192, v175, v14
	s_delay_alu instid0(VALU_DEP_3) | instskip(NEXT) | instid1(VALU_DEP_3)
	v_add_f32_e32 v2, v3, v2
	v_fma_f32 v5, v168, v8, -v5
	v_fmac_f32_e32 v159, v167, v6
	v_fma_f32 v4, v170, v10, -v4
	s_wait_loadcnt_dscnt 0x302
	v_dual_mul_f32 v194, v178, v19 :: v_dual_mul_f32 v195, v180, v21
	s_delay_alu instid0(VALU_DEP_3) | instskip(NEXT) | instid1(VALU_DEP_2)
	v_dual_add_f32 v2, v2, v5 :: v_dual_add_f32 v1, v1, v159
	v_dual_mul_f32 v3, v173, v13 :: v_dual_fmac_f32 v194, v179, v18
	s_wait_loadcnt_dscnt 0x201
	v_dual_mul_f32 v196, v182, v23 :: v_dual_mul_f32 v197, v184, v25
	s_delay_alu instid0(VALU_DEP_3)
	v_add_f32_e32 v2, v2, v4
	v_mul_f32_e32 v4, v177, v17
	v_fma_f32 v3, v172, v12, -v3
	s_wait_loadcnt_dscnt 0x100
	v_dual_add_f32 v1, v1, v160 :: v_dual_mul_f32 v198, v186, v27
	v_mul_f32_e32 v199, v188, v29
	v_fma_f32 v4, v176, v16, -v4
	v_mul_f32_e32 v5, v175, v15
	s_delay_alu instid0(VALU_DEP_4) | instskip(SKIP_1) | instid1(VALU_DEP_3)
	v_dual_add_f32 v2, v2, v3 :: v_dual_add_f32 v1, v1, v190
	v_dual_fmac_f32 v196, v183, v22 :: v_dual_fmac_f32 v197, v185, v24
	v_fma_f32 v5, v174, v14, -v5
	v_dual_fmac_f32 v191, v173, v12 :: v_dual_fmac_f32 v198, v187, v26
	s_delay_alu instid0(VALU_DEP_2) | instskip(NEXT) | instid1(VALU_DEP_1)
	v_dual_fmac_f32 v199, v189, v28 :: v_dual_add_f32 v2, v2, v5
	v_add_f32_e32 v2, v2, v4
	v_mul_f32_e32 v4, v183, v23
	s_delay_alu instid0(VALU_DEP_4) | instskip(NEXT) | instid1(VALU_DEP_2)
	v_add_f32_e32 v1, v1, v191
	v_fma_f32 v4, v182, v22, -v4
	v_mul_f32_e32 v5, v181, v21
	s_delay_alu instid0(VALU_DEP_3) | instskip(NEXT) | instid1(VALU_DEP_2)
	v_add_f32_e32 v1, v1, v192
	v_fma_f32 v5, v180, v20, -v5
	v_mul_f32_e32 v3, v179, v19
	s_delay_alu instid0(VALU_DEP_1) | instskip(NEXT) | instid1(VALU_DEP_1)
	v_fma_f32 v3, v178, v18, -v3
	v_dual_fmac_f32 v193, v177, v16 :: v_dual_add_f32 v2, v2, v3
	v_mul_f32_e32 v3, v185, v25
	s_delay_alu instid0(VALU_DEP_2) | instskip(NEXT) | instid1(VALU_DEP_2)
	v_dual_add_f32 v2, v2, v5 :: v_dual_mul_f32 v5, v187, v27
	v_fma_f32 v3, v184, v24, -v3
	s_delay_alu instid0(VALU_DEP_2) | instskip(SKIP_1) | instid1(VALU_DEP_4)
	v_dual_add_f32 v2, v2, v4 :: v_dual_add_f32 v1, v1, v193
	v_mul_f32_e32 v4, v189, v29
	v_fma_f32 v5, v186, v26, -v5
	s_delay_alu instid0(VALU_DEP_3) | instskip(NEXT) | instid1(VALU_DEP_3)
	v_dual_add_f32 v2, v2, v3 :: v_dual_fmac_f32 v195, v181, v20
	v_fma_f32 v3, v188, v28, -v4
	s_delay_alu instid0(VALU_DEP_2) | instskip(NEXT) | instid1(VALU_DEP_1)
	v_dual_add_f32 v2, v2, v5 :: v_dual_add_f32 v1, v1, v194
	v_add_f32_e32 v2, v2, v3
	s_delay_alu instid0(VALU_DEP_2) | instskip(NEXT) | instid1(VALU_DEP_1)
	v_add_f32_e32 v1, v1, v195
	v_add_f32_e32 v1, v1, v196
	s_delay_alu instid0(VALU_DEP_1) | instskip(NEXT) | instid1(VALU_DEP_1)
	v_add_f32_e32 v1, v1, v197
	v_add_f32_e32 v1, v1, v198
	s_delay_alu instid0(VALU_DEP_1) | instskip(SKIP_1) | instid1(VALU_DEP_1)
	v_add_f32_e32 v3, v1, v199
	s_wait_loadcnt 0x0
	v_dual_sub_f32 v1, v30, v2 :: v_dual_sub_f32 v2, v31, v3
	scratch_store_b64 off, v[1:2], off offset:384
	v_cmpx_lt_u32_e32 47, v0
	s_cbranch_execz .LBB126_297
; %bb.296:
	scratch_load_b64 v[1:2], off, off offset:376
	v_mov_b32_e32 v3, 0
	s_delay_alu instid0(VALU_DEP_1)
	v_mov_b32_e32 v4, v3
	scratch_store_b64 off, v[3:4], off offset:376
	s_wait_loadcnt 0x0
	ds_store_b64 v161, v[1:2]
.LBB126_297:
	s_wait_alu 0xfffe
	s_or_b32 exec_lo, exec_lo, s0
	s_wait_storecnt_dscnt 0x0
	s_barrier_signal -1
	s_barrier_wait -1
	global_inv scope:SCOPE_SE
	s_clause 0x8
	scratch_load_b128 v[2:5], off, off offset:384
	scratch_load_b128 v[6:9], off, off offset:400
	;; [unrolled: 1-line block ×7, first 2 shown]
	scratch_load_b64 v[30:31], off, off offset:496
	scratch_load_b64 v[159:160], off, off offset:376
	v_mov_b32_e32 v1, 0
	ds_load_b128 v[162:165], v1 offset:896
	ds_load_b128 v[166:169], v1 offset:912
	;; [unrolled: 1-line block ×7, first 2 shown]
	ds_load_b64 v[190:191], v1 offset:1008
	s_mov_b32 s0, exec_lo
	s_wait_loadcnt_dscnt 0x807
	v_mul_f32_e32 v32, v162, v3
	v_dual_mul_f32 v3, v163, v3 :: v_dual_mul_f32 v192, v164, v5
	s_wait_loadcnt_dscnt 0x706
	v_mul_f32_e32 v193, v166, v7
	v_mul_f32_e32 v5, v165, v5
	s_wait_loadcnt_dscnt 0x302
	v_mul_f32_e32 v202, v184, v25
	v_fma_f32 v3, v162, v2, -v3
	s_wait_loadcnt_dscnt 0x100
	v_dual_mul_f32 v205, v190, v31 :: v_dual_fmac_f32 v32, v163, v2
	v_mul_f32_e32 v2, v167, v7
	s_delay_alu instid0(VALU_DEP_3) | instskip(SKIP_2) | instid1(VALU_DEP_4)
	v_dual_fmac_f32 v192, v165, v4 :: v_dual_add_f32 v3, 0, v3
	v_fma_f32 v4, v164, v4, -v5
	v_dual_mul_f32 v194, v168, v9 :: v_dual_mul_f32 v195, v170, v11
	v_fma_f32 v2, v166, v6, -v2
	v_dual_mul_f32 v196, v172, v13 :: v_dual_mul_f32 v197, v174, v15
	s_delay_alu instid0(VALU_DEP_4) | instskip(SKIP_1) | instid1(VALU_DEP_3)
	v_add_f32_e32 v3, v3, v4
	v_add_f32_e32 v5, 0, v32
	v_dual_fmac_f32 v195, v171, v10 :: v_dual_fmac_f32 v196, v173, v12
	v_fmac_f32_e32 v194, v169, v8
	s_delay_alu instid0(VALU_DEP_4) | instskip(NEXT) | instid1(VALU_DEP_4)
	v_dual_add_f32 v2, v3, v2 :: v_dual_mul_f32 v7, v169, v9
	v_dual_fmac_f32 v193, v167, v6 :: v_dual_add_f32 v4, v5, v192
	v_dual_mul_f32 v5, v171, v11 :: v_dual_mul_f32 v198, v176, v17
	v_mul_f32_e32 v199, v178, v19
	s_delay_alu instid0(VALU_DEP_4) | instskip(NEXT) | instid1(VALU_DEP_4)
	v_fma_f32 v6, v168, v8, -v7
	v_add_f32_e32 v3, v4, v193
	v_mul_f32_e32 v4, v173, v13
	v_fma_f32 v5, v170, v10, -v5
	v_dual_fmac_f32 v197, v175, v14 :: v_dual_fmac_f32 v198, v177, v16
	v_add_f32_e32 v2, v2, v6
	v_mul_f32_e32 v6, v175, v15
	v_add_f32_e32 v3, v3, v194
	v_fma_f32 v4, v172, v12, -v4
	v_dual_mul_f32 v200, v180, v21 :: v_dual_mul_f32 v201, v182, v23
	s_delay_alu instid0(VALU_DEP_3) | instskip(SKIP_2) | instid1(VALU_DEP_3)
	v_dual_add_f32 v2, v2, v5 :: v_dual_add_f32 v3, v3, v195
	v_mul_f32_e32 v5, v177, v17
	v_fma_f32 v6, v174, v14, -v6
	v_dual_fmac_f32 v199, v179, v18 :: v_dual_add_f32 v2, v2, v4
	s_delay_alu instid0(VALU_DEP_4) | instskip(SKIP_3) | instid1(VALU_DEP_4)
	v_add_f32_e32 v3, v3, v196
	v_mul_f32_e32 v4, v179, v19
	v_fma_f32 v5, v176, v16, -v5
	v_fmac_f32_e32 v200, v181, v20
	v_dual_add_f32 v2, v2, v6 :: v_dual_add_f32 v3, v3, v197
	v_mul_f32_e32 v6, v181, v21
	v_fma_f32 v4, v178, v18, -v4
	v_dual_mul_f32 v203, v186, v27 :: v_dual_mul_f32 v204, v188, v29
	s_delay_alu instid0(VALU_DEP_4) | instskip(SKIP_3) | instid1(VALU_DEP_4)
	v_dual_add_f32 v2, v2, v5 :: v_dual_add_f32 v3, v3, v198
	v_mul_f32_e32 v5, v183, v23
	v_fma_f32 v6, v180, v20, -v6
	v_dual_fmac_f32 v201, v183, v22 :: v_dual_fmac_f32 v202, v185, v24
	v_dual_add_f32 v2, v2, v4 :: v_dual_add_f32 v3, v3, v199
	v_mul_f32_e32 v4, v185, v25
	v_fma_f32 v5, v182, v22, -v5
	v_fmac_f32_e32 v203, v187, v26
	s_delay_alu instid0(VALU_DEP_4) | instskip(SKIP_3) | instid1(VALU_DEP_4)
	v_dual_add_f32 v2, v2, v6 :: v_dual_add_f32 v3, v3, v200
	v_mul_f32_e32 v6, v187, v27
	v_fma_f32 v4, v184, v24, -v4
	v_fmac_f32_e32 v204, v189, v28
	v_add_f32_e32 v2, v2, v5
	v_add_f32_e32 v3, v3, v201
	v_mul_f32_e32 v5, v189, v29
	v_fma_f32 v6, v186, v26, -v6
	s_delay_alu instid0(VALU_DEP_3) | instskip(SKIP_1) | instid1(VALU_DEP_4)
	v_dual_add_f32 v2, v2, v4 :: v_dual_add_f32 v3, v3, v202
	v_mul_f32_e32 v4, v191, v31
	v_fma_f32 v5, v188, v28, -v5
	s_delay_alu instid0(VALU_DEP_3) | instskip(SKIP_1) | instid1(VALU_DEP_4)
	v_dual_add_f32 v2, v2, v6 :: v_dual_add_f32 v3, v3, v203
	v_fmac_f32_e32 v205, v191, v30
	v_fma_f32 v4, v190, v30, -v4
	s_delay_alu instid0(VALU_DEP_3) | instskip(NEXT) | instid1(VALU_DEP_1)
	v_dual_add_f32 v2, v2, v5 :: v_dual_add_f32 v3, v3, v204
	v_dual_add_f32 v2, v2, v4 :: v_dual_add_f32 v3, v3, v205
	s_wait_loadcnt 0x0
	s_delay_alu instid0(VALU_DEP_1)
	v_dual_sub_f32 v2, v159, v2 :: v_dual_sub_f32 v3, v160, v3
	scratch_store_b64 off, v[2:3], off offset:376
	v_cmpx_lt_u32_e32 46, v0
	s_cbranch_execz .LBB126_299
; %bb.298:
	scratch_load_b64 v[3:4], off, off offset:368
	v_mov_b32_e32 v2, v1
	scratch_store_b64 off, v[1:2], off offset:368
	s_wait_loadcnt 0x0
	ds_store_b64 v161, v[3:4]
.LBB126_299:
	s_wait_alu 0xfffe
	s_or_b32 exec_lo, exec_lo, s0
	s_wait_storecnt_dscnt 0x0
	s_barrier_signal -1
	s_barrier_wait -1
	global_inv scope:SCOPE_SE
	s_clause 0x8
	scratch_load_b128 v[2:5], off, off offset:376
	scratch_load_b128 v[6:9], off, off offset:392
	;; [unrolled: 1-line block ×8, first 2 shown]
	scratch_load_b64 v[30:31], off, off offset:368
	ds_load_2addr_b64 v[166:169], v1 offset0:111 offset1:112
	ds_load_2addr_b64 v[170:173], v1 offset0:113 offset1:114
	;; [unrolled: 1-line block ×8, first 2 shown]
	s_mov_b32 s0, exec_lo
	s_wait_loadcnt_dscnt 0x807
	v_dual_mul_f32 v1, v166, v3 :: v_dual_mul_f32 v32, v168, v5
	v_mul_f32_e32 v3, v167, v3
	v_mul_f32_e32 v5, v169, v5
	s_wait_loadcnt_dscnt 0x706
	v_dual_mul_f32 v159, v170, v7 :: v_dual_mul_f32 v160, v172, v9
	v_fmac_f32_e32 v32, v169, v4
	v_fma_f32 v3, v166, v2, -v3
	s_wait_loadcnt_dscnt 0x605
	v_dual_mul_f32 v198, v174, v11 :: v_dual_mul_f32 v199, v176, v13
	v_dual_fmac_f32 v1, v167, v2 :: v_dual_fmac_f32 v160, v173, v8
	v_mul_f32_e32 v2, v171, v7
	v_fma_f32 v4, v168, v4, -v5
	s_delay_alu instid0(VALU_DEP_4) | instskip(NEXT) | instid1(VALU_DEP_4)
	v_dual_add_f32 v3, 0, v3 :: v_dual_fmac_f32 v198, v175, v10
	v_add_f32_e32 v1, 0, v1
	s_delay_alu instid0(VALU_DEP_4) | instskip(SKIP_4) | instid1(VALU_DEP_3)
	v_fma_f32 v2, v170, v6, -v2
	s_wait_loadcnt_dscnt 0x504
	v_dual_mul_f32 v200, v178, v15 :: v_dual_mul_f32 v201, v180, v17
	v_add_f32_e32 v3, v3, v4
	v_dual_mul_f32 v5, v173, v9 :: v_dual_mul_f32 v4, v175, v11
	v_dual_add_f32 v1, v1, v32 :: v_dual_fmac_f32 v200, v179, v14
	s_delay_alu instid0(VALU_DEP_3) | instskip(NEXT) | instid1(VALU_DEP_3)
	v_add_f32_e32 v2, v3, v2
	v_fma_f32 v5, v172, v8, -v5
	v_fmac_f32_e32 v159, v171, v6
	v_fma_f32 v4, v174, v10, -v4
	s_wait_loadcnt_dscnt 0x403
	v_dual_mul_f32 v202, v182, v19 :: v_dual_mul_f32 v203, v184, v21
	s_delay_alu instid0(VALU_DEP_3) | instskip(NEXT) | instid1(VALU_DEP_2)
	v_dual_add_f32 v2, v2, v5 :: v_dual_add_f32 v1, v1, v159
	v_dual_mul_f32 v3, v177, v13 :: v_dual_fmac_f32 v202, v183, v18
	s_wait_loadcnt_dscnt 0x302
	v_dual_mul_f32 v204, v186, v23 :: v_dual_mul_f32 v205, v188, v25
	s_delay_alu instid0(VALU_DEP_3)
	v_add_f32_e32 v2, v2, v4
	v_mul_f32_e32 v4, v181, v17
	v_fma_f32 v3, v176, v12, -v3
	s_wait_loadcnt_dscnt 0x100
	v_dual_add_f32 v1, v1, v160 :: v_dual_mul_f32 v208, v194, v163
	v_mul_f32_e32 v209, v196, v165
	v_fma_f32 v4, v180, v16, -v4
	v_mul_f32_e32 v5, v179, v15
	s_delay_alu instid0(VALU_DEP_4) | instskip(SKIP_1) | instid1(VALU_DEP_3)
	v_dual_add_f32 v2, v2, v3 :: v_dual_add_f32 v1, v1, v198
	v_dual_mul_f32 v206, v190, v27 :: v_dual_mul_f32 v207, v192, v29
	v_fma_f32 v5, v178, v14, -v5
	v_dual_fmac_f32 v199, v177, v12 :: v_dual_fmac_f32 v204, v187, v22
	s_delay_alu instid0(VALU_DEP_3) | instskip(NEXT) | instid1(VALU_DEP_3)
	v_dual_fmac_f32 v206, v191, v26 :: v_dual_fmac_f32 v207, v193, v28
	v_dual_add_f32 v2, v2, v5 :: v_dual_fmac_f32 v209, v197, v164
	v_fmac_f32_e32 v208, v195, v162
	s_delay_alu instid0(VALU_DEP_2) | instskip(SKIP_2) | instid1(VALU_DEP_2)
	v_add_f32_e32 v2, v2, v4
	v_mul_f32_e32 v4, v187, v23
	v_add_f32_e32 v1, v1, v199
	v_fma_f32 v4, v186, v22, -v4
	v_mul_f32_e32 v5, v185, v21
	s_delay_alu instid0(VALU_DEP_3) | instskip(NEXT) | instid1(VALU_DEP_2)
	v_add_f32_e32 v1, v1, v200
	v_fma_f32 v5, v184, v20, -v5
	v_mul_f32_e32 v3, v183, v19
	s_delay_alu instid0(VALU_DEP_1) | instskip(NEXT) | instid1(VALU_DEP_1)
	v_fma_f32 v3, v182, v18, -v3
	v_dual_fmac_f32 v201, v181, v16 :: v_dual_add_f32 v2, v2, v3
	v_mul_f32_e32 v3, v189, v25
	s_delay_alu instid0(VALU_DEP_2) | instskip(NEXT) | instid1(VALU_DEP_2)
	v_dual_add_f32 v2, v2, v5 :: v_dual_mul_f32 v5, v191, v27
	v_fma_f32 v3, v188, v24, -v3
	s_delay_alu instid0(VALU_DEP_2) | instskip(SKIP_1) | instid1(VALU_DEP_4)
	v_dual_add_f32 v2, v2, v4 :: v_dual_add_f32 v1, v1, v201
	v_mul_f32_e32 v4, v193, v29
	v_fma_f32 v5, v190, v26, -v5
	s_delay_alu instid0(VALU_DEP_3) | instskip(SKIP_1) | instid1(VALU_DEP_4)
	v_dual_add_f32 v2, v2, v3 :: v_dual_fmac_f32 v203, v185, v20
	v_mul_f32_e32 v3, v195, v163
	v_fma_f32 v4, v192, v28, -v4
	s_delay_alu instid0(VALU_DEP_3) | instskip(SKIP_1) | instid1(VALU_DEP_4)
	v_dual_add_f32 v2, v2, v5 :: v_dual_add_f32 v1, v1, v202
	v_mul_f32_e32 v5, v197, v165
	v_fma_f32 v3, v194, v162, -v3
	s_delay_alu instid0(VALU_DEP_3) | instskip(SKIP_1) | instid1(VALU_DEP_4)
	v_add_f32_e32 v2, v2, v4
	v_fmac_f32_e32 v205, v189, v24
	v_fma_f32 v4, v196, v164, -v5
	s_delay_alu instid0(VALU_DEP_3) | instskip(NEXT) | instid1(VALU_DEP_1)
	v_add_f32_e32 v2, v2, v3
	v_dual_add_f32 v1, v1, v203 :: v_dual_add_f32 v2, v2, v4
	s_delay_alu instid0(VALU_DEP_1) | instskip(NEXT) | instid1(VALU_DEP_1)
	v_add_f32_e32 v1, v1, v204
	v_add_f32_e32 v1, v1, v205
	s_delay_alu instid0(VALU_DEP_1) | instskip(NEXT) | instid1(VALU_DEP_1)
	v_add_f32_e32 v1, v1, v206
	v_add_f32_e32 v1, v1, v207
	;; [unrolled: 3-line block ×3, first 2 shown]
	s_wait_loadcnt 0x0
	s_delay_alu instid0(VALU_DEP_1)
	v_dual_sub_f32 v1, v30, v2 :: v_dual_sub_f32 v2, v31, v3
	scratch_store_b64 off, v[1:2], off offset:368
	v_cmpx_lt_u32_e32 45, v0
	s_cbranch_execz .LBB126_301
; %bb.300:
	scratch_load_b64 v[1:2], off, off offset:360
	v_mov_b32_e32 v3, 0
	s_delay_alu instid0(VALU_DEP_1)
	v_mov_b32_e32 v4, v3
	scratch_store_b64 off, v[3:4], off offset:360
	s_wait_loadcnt 0x0
	ds_store_b64 v161, v[1:2]
.LBB126_301:
	s_wait_alu 0xfffe
	s_or_b32 exec_lo, exec_lo, s0
	s_wait_storecnt_dscnt 0x0
	s_barrier_signal -1
	s_barrier_wait -1
	global_inv scope:SCOPE_SE
	s_clause 0x9
	scratch_load_b128 v[2:5], off, off offset:368
	scratch_load_b128 v[6:9], off, off offset:384
	;; [unrolled: 1-line block ×8, first 2 shown]
	scratch_load_b64 v[30:31], off, off offset:496
	scratch_load_b64 v[159:160], off, off offset:360
	v_mov_b32_e32 v1, 0
	ds_load_b128 v[166:169], v1 offset:880
	ds_load_b128 v[170:173], v1 offset:896
	;; [unrolled: 1-line block ×8, first 2 shown]
	ds_load_b64 v[198:199], v1 offset:1008
	s_mov_b32 s0, exec_lo
	s_wait_loadcnt_dscnt 0x908
	v_mul_f32_e32 v32, v166, v3
	s_wait_loadcnt_dscnt 0x807
	v_dual_mul_f32 v200, v168, v5 :: v_dual_mul_f32 v201, v170, v7
	v_mul_f32_e32 v3, v167, v3
	s_delay_alu instid0(VALU_DEP_3)
	v_dual_mul_f32 v5, v169, v5 :: v_dual_fmac_f32 v32, v167, v2
	s_wait_loadcnt_dscnt 0x302
	v_mul_f32_e32 v212, v192, v29
	v_dual_mul_f32 v202, v172, v9 :: v_dual_mul_f32 v203, v174, v11
	v_fma_f32 v3, v166, v2, -v3
	s_wait_loadcnt_dscnt 0x100
	v_mul_f32_e32 v215, v198, v31
	v_mul_f32_e32 v2, v171, v7
	v_fmac_f32_e32 v200, v169, v4
	v_fma_f32 v4, v168, v4, -v5
	v_dual_add_f32 v3, 0, v3 :: v_dual_mul_f32 v204, v176, v13
	v_mul_f32_e32 v205, v178, v15
	v_fma_f32 v2, v170, v6, -v2
	v_fmac_f32_e32 v203, v175, v10
	s_delay_alu instid0(VALU_DEP_4)
	v_add_f32_e32 v3, v3, v4
	v_add_f32_e32 v5, 0, v32
	v_fmac_f32_e32 v204, v177, v12
	v_fmac_f32_e32 v202, v173, v8
	v_dual_mul_f32 v206, v180, v17 :: v_dual_mul_f32 v207, v182, v19
	v_dual_add_f32 v2, v3, v2 :: v_dual_mul_f32 v7, v173, v9
	v_dual_fmac_f32 v201, v171, v6 :: v_dual_add_f32 v4, v5, v200
	v_mul_f32_e32 v5, v175, v11
	s_delay_alu instid0(VALU_DEP_4) | instskip(NEXT) | instid1(VALU_DEP_4)
	v_dual_fmac_f32 v205, v179, v14 :: v_dual_fmac_f32 v206, v181, v16
	v_fma_f32 v6, v172, v8, -v7
	s_delay_alu instid0(VALU_DEP_4)
	v_add_f32_e32 v3, v4, v201
	v_mul_f32_e32 v4, v177, v13
	v_fma_f32 v5, v174, v10, -v5
	v_dual_mul_f32 v208, v184, v21 :: v_dual_mul_f32 v209, v186, v23
	v_add_f32_e32 v2, v2, v6
	v_mul_f32_e32 v6, v179, v15
	v_add_f32_e32 v3, v3, v202
	v_fma_f32 v4, v176, v12, -v4
	v_dual_mul_f32 v210, v188, v25 :: v_dual_mul_f32 v211, v190, v27
	s_delay_alu instid0(VALU_DEP_3) | instskip(SKIP_2) | instid1(VALU_DEP_3)
	v_dual_add_f32 v2, v2, v5 :: v_dual_add_f32 v3, v3, v203
	v_mul_f32_e32 v5, v181, v17
	v_fma_f32 v6, v178, v14, -v6
	v_dual_fmac_f32 v207, v183, v18 :: v_dual_add_f32 v2, v2, v4
	s_delay_alu instid0(VALU_DEP_4) | instskip(SKIP_3) | instid1(VALU_DEP_4)
	v_add_f32_e32 v3, v3, v204
	v_mul_f32_e32 v4, v183, v19
	v_fma_f32 v5, v180, v16, -v5
	v_fmac_f32_e32 v208, v185, v20
	v_dual_add_f32 v2, v2, v6 :: v_dual_add_f32 v3, v3, v205
	v_mul_f32_e32 v6, v185, v21
	v_fma_f32 v4, v182, v18, -v4
	v_dual_fmac_f32 v209, v187, v22 :: v_dual_fmac_f32 v210, v189, v24
	s_delay_alu instid0(VALU_DEP_4) | instskip(SKIP_3) | instid1(VALU_DEP_4)
	v_dual_add_f32 v2, v2, v5 :: v_dual_add_f32 v3, v3, v206
	v_mul_f32_e32 v5, v187, v23
	v_fma_f32 v6, v184, v20, -v6
	v_dual_mul_f32 v213, v194, v163 :: v_dual_mul_f32 v214, v196, v165
	v_dual_add_f32 v2, v2, v4 :: v_dual_add_f32 v3, v3, v207
	v_mul_f32_e32 v4, v189, v25
	v_fma_f32 v5, v186, v22, -v5
	v_fmac_f32_e32 v211, v191, v26
	s_delay_alu instid0(VALU_DEP_4) | instskip(SKIP_3) | instid1(VALU_DEP_4)
	v_dual_add_f32 v2, v2, v6 :: v_dual_add_f32 v3, v3, v208
	v_mul_f32_e32 v6, v191, v27
	v_fma_f32 v4, v188, v24, -v4
	v_fmac_f32_e32 v212, v193, v28
	v_add_f32_e32 v2, v2, v5
	v_add_f32_e32 v3, v3, v209
	v_mul_f32_e32 v5, v193, v29
	v_fma_f32 v6, v190, v26, -v6
	s_delay_alu instid0(VALU_DEP_4) | instskip(NEXT) | instid1(VALU_DEP_4)
	v_dual_fmac_f32 v213, v195, v162 :: v_dual_add_f32 v2, v2, v4
	v_add_f32_e32 v3, v3, v210
	v_mul_f32_e32 v4, v195, v163
	v_fma_f32 v5, v192, v28, -v5
	v_fmac_f32_e32 v214, v197, v164
	s_delay_alu instid0(VALU_DEP_4) | instskip(SKIP_2) | instid1(VALU_DEP_3)
	v_dual_add_f32 v2, v2, v6 :: v_dual_add_f32 v3, v3, v211
	v_mul_f32_e32 v6, v197, v165
	v_fma_f32 v4, v194, v162, -v4
	v_dual_add_f32 v2, v2, v5 :: v_dual_add_f32 v3, v3, v212
	v_mul_f32_e32 v5, v199, v31
	s_delay_alu instid0(VALU_DEP_4) | instskip(NEXT) | instid1(VALU_DEP_3)
	v_fma_f32 v6, v196, v164, -v6
	v_dual_add_f32 v2, v2, v4 :: v_dual_add_f32 v3, v3, v213
	s_delay_alu instid0(VALU_DEP_3) | instskip(NEXT) | instid1(VALU_DEP_2)
	v_fma_f32 v4, v198, v30, -v5
	v_add_f32_e32 v3, v3, v214
	s_delay_alu instid0(VALU_DEP_3) | instskip(NEXT) | instid1(VALU_DEP_1)
	v_add_f32_e32 v2, v2, v6
	v_dual_fmac_f32 v215, v199, v30 :: v_dual_add_f32 v2, v2, v4
	s_delay_alu instid0(VALU_DEP_1) | instskip(SKIP_1) | instid1(VALU_DEP_1)
	v_add_f32_e32 v3, v3, v215
	s_wait_loadcnt 0x0
	v_dual_sub_f32 v2, v159, v2 :: v_dual_sub_f32 v3, v160, v3
	scratch_store_b64 off, v[2:3], off offset:360
	v_cmpx_lt_u32_e32 44, v0
	s_cbranch_execz .LBB126_303
; %bb.302:
	scratch_load_b64 v[3:4], off, off offset:352
	v_mov_b32_e32 v2, v1
	scratch_store_b64 off, v[1:2], off offset:352
	s_wait_loadcnt 0x0
	ds_store_b64 v161, v[3:4]
.LBB126_303:
	s_wait_alu 0xfffe
	s_or_b32 exec_lo, exec_lo, s0
	s_wait_storecnt_dscnt 0x0
	s_barrier_signal -1
	s_barrier_wait -1
	global_inv scope:SCOPE_SE
	s_clause 0x9
	scratch_load_b128 v[2:5], off, off offset:360
	scratch_load_b128 v[6:9], off, off offset:376
	;; [unrolled: 1-line block ×9, first 2 shown]
	scratch_load_b64 v[30:31], off, off offset:352
	ds_load_2addr_b64 v[170:173], v1 offset0:109 offset1:110
	ds_load_2addr_b64 v[174:177], v1 offset0:111 offset1:112
	;; [unrolled: 1-line block ×9, first 2 shown]
	s_mov_b32 s0, exec_lo
	s_wait_loadcnt_dscnt 0x908
	v_dual_mul_f32 v1, v170, v3 :: v_dual_mul_f32 v32, v172, v5
	v_mul_f32_e32 v3, v171, v3
	v_mul_f32_e32 v5, v173, v5
	s_wait_loadcnt_dscnt 0x807
	v_dual_mul_f32 v159, v174, v7 :: v_dual_mul_f32 v160, v176, v9
	v_fmac_f32_e32 v32, v173, v4
	v_fma_f32 v3, v170, v2, -v3
	s_wait_loadcnt_dscnt 0x706
	v_dual_mul_f32 v206, v178, v11 :: v_dual_mul_f32 v207, v180, v13
	v_dual_fmac_f32 v1, v171, v2 :: v_dual_fmac_f32 v160, v177, v8
	v_mul_f32_e32 v2, v175, v7
	v_fma_f32 v4, v172, v4, -v5
	s_delay_alu instid0(VALU_DEP_4) | instskip(NEXT) | instid1(VALU_DEP_4)
	v_dual_add_f32 v3, 0, v3 :: v_dual_fmac_f32 v206, v179, v10
	v_add_f32_e32 v1, 0, v1
	s_delay_alu instid0(VALU_DEP_4) | instskip(SKIP_4) | instid1(VALU_DEP_3)
	v_fma_f32 v2, v174, v6, -v2
	s_wait_loadcnt_dscnt 0x605
	v_dual_mul_f32 v208, v182, v15 :: v_dual_mul_f32 v209, v184, v17
	v_add_f32_e32 v3, v3, v4
	v_dual_mul_f32 v5, v177, v9 :: v_dual_mul_f32 v4, v179, v11
	v_dual_add_f32 v1, v1, v32 :: v_dual_fmac_f32 v208, v183, v14
	s_delay_alu instid0(VALU_DEP_3) | instskip(NEXT) | instid1(VALU_DEP_3)
	v_add_f32_e32 v2, v3, v2
	v_fma_f32 v5, v176, v8, -v5
	v_fmac_f32_e32 v159, v175, v6
	v_fma_f32 v4, v178, v10, -v4
	s_wait_loadcnt_dscnt 0x504
	v_dual_mul_f32 v210, v186, v19 :: v_dual_mul_f32 v211, v188, v21
	s_delay_alu instid0(VALU_DEP_3) | instskip(NEXT) | instid1(VALU_DEP_2)
	v_dual_add_f32 v2, v2, v5 :: v_dual_add_f32 v1, v1, v159
	v_dual_mul_f32 v3, v181, v13 :: v_dual_fmac_f32 v210, v187, v18
	s_wait_loadcnt_dscnt 0x403
	v_dual_mul_f32 v212, v190, v23 :: v_dual_mul_f32 v213, v192, v25
	s_delay_alu instid0(VALU_DEP_3)
	v_add_f32_e32 v2, v2, v4
	v_mul_f32_e32 v4, v185, v17
	v_fma_f32 v3, v180, v12, -v3
	s_wait_loadcnt_dscnt 0x201
	v_dual_add_f32 v1, v1, v160 :: v_dual_mul_f32 v216, v198, v163
	v_mul_f32_e32 v217, v200, v165
	v_fma_f32 v4, v184, v16, -v4
	v_mul_f32_e32 v5, v183, v15
	s_delay_alu instid0(VALU_DEP_4) | instskip(SKIP_1) | instid1(VALU_DEP_3)
	v_dual_add_f32 v2, v2, v3 :: v_dual_add_f32 v1, v1, v206
	v_dual_mul_f32 v214, v194, v27 :: v_dual_mul_f32 v215, v196, v29
	v_fma_f32 v5, v182, v14, -v5
	v_dual_fmac_f32 v207, v181, v12 :: v_dual_fmac_f32 v212, v191, v22
	s_delay_alu instid0(VALU_DEP_3) | instskip(SKIP_4) | instid1(VALU_DEP_3)
	v_fmac_f32_e32 v214, v195, v26
	s_wait_loadcnt_dscnt 0x100
	v_dual_mul_f32 v218, v202, v167 :: v_dual_mul_f32 v219, v204, v169
	v_dual_add_f32 v2, v2, v5 :: v_dual_fmac_f32 v213, v193, v24
	v_dual_fmac_f32 v217, v201, v164 :: v_dual_fmac_f32 v216, v199, v162
	v_fmac_f32_e32 v219, v205, v168
	s_delay_alu instid0(VALU_DEP_3) | instskip(SKIP_2) | instid1(VALU_DEP_2)
	v_add_f32_e32 v2, v2, v4
	v_mul_f32_e32 v4, v191, v23
	v_dual_add_f32 v1, v1, v207 :: v_dual_fmac_f32 v218, v203, v166
	v_fma_f32 v4, v190, v22, -v4
	v_mul_f32_e32 v5, v189, v21
	s_delay_alu instid0(VALU_DEP_3) | instskip(NEXT) | instid1(VALU_DEP_2)
	v_add_f32_e32 v1, v1, v208
	v_fma_f32 v5, v188, v20, -v5
	v_mul_f32_e32 v3, v187, v19
	s_delay_alu instid0(VALU_DEP_1) | instskip(NEXT) | instid1(VALU_DEP_1)
	v_fma_f32 v3, v186, v18, -v3
	v_dual_fmac_f32 v209, v185, v16 :: v_dual_add_f32 v2, v2, v3
	v_mul_f32_e32 v3, v193, v25
	s_delay_alu instid0(VALU_DEP_2) | instskip(NEXT) | instid1(VALU_DEP_2)
	v_dual_add_f32 v2, v2, v5 :: v_dual_mul_f32 v5, v195, v27
	v_fma_f32 v3, v192, v24, -v3
	s_delay_alu instid0(VALU_DEP_2) | instskip(SKIP_1) | instid1(VALU_DEP_4)
	v_dual_add_f32 v2, v2, v4 :: v_dual_add_f32 v1, v1, v209
	v_mul_f32_e32 v4, v197, v29
	v_fma_f32 v5, v194, v26, -v5
	s_delay_alu instid0(VALU_DEP_3) | instskip(NEXT) | instid1(VALU_DEP_3)
	v_dual_add_f32 v2, v2, v3 :: v_dual_fmac_f32 v211, v189, v20
	v_fma_f32 v4, v196, v28, -v4
	s_delay_alu instid0(VALU_DEP_2) | instskip(SKIP_1) | instid1(VALU_DEP_2)
	v_add_f32_e32 v2, v2, v5
	v_mul_f32_e32 v5, v201, v165
	v_dual_add_f32 v1, v1, v210 :: v_dual_add_f32 v2, v2, v4
	s_delay_alu instid0(VALU_DEP_2) | instskip(SKIP_1) | instid1(VALU_DEP_3)
	v_fma_f32 v5, v200, v164, -v5
	v_mul_f32_e32 v3, v199, v163
	v_add_f32_e32 v1, v1, v211
	v_mul_f32_e32 v4, v203, v167
	s_delay_alu instid0(VALU_DEP_3) | instskip(NEXT) | instid1(VALU_DEP_3)
	v_fma_f32 v3, v198, v162, -v3
	v_add_f32_e32 v1, v1, v212
	s_delay_alu instid0(VALU_DEP_3) | instskip(NEXT) | instid1(VALU_DEP_3)
	v_fma_f32 v4, v202, v166, -v4
	v_dual_add_f32 v2, v2, v3 :: v_dual_mul_f32 v3, v205, v169
	s_delay_alu instid0(VALU_DEP_1) | instskip(NEXT) | instid1(VALU_DEP_4)
	v_add_f32_e32 v2, v2, v5
	v_add_f32_e32 v1, v1, v213
	s_delay_alu instid0(VALU_DEP_3) | instskip(NEXT) | instid1(VALU_DEP_3)
	v_fma_f32 v3, v204, v168, -v3
	v_add_f32_e32 v2, v2, v4
	v_fmac_f32_e32 v215, v197, v28
	s_delay_alu instid0(VALU_DEP_2) | instskip(NEXT) | instid1(VALU_DEP_1)
	v_dual_add_f32 v1, v1, v214 :: v_dual_add_f32 v2, v2, v3
	v_add_f32_e32 v1, v1, v215
	s_delay_alu instid0(VALU_DEP_1) | instskip(NEXT) | instid1(VALU_DEP_1)
	v_add_f32_e32 v1, v1, v216
	v_add_f32_e32 v1, v1, v217
	s_delay_alu instid0(VALU_DEP_1) | instskip(NEXT) | instid1(VALU_DEP_1)
	v_add_f32_e32 v1, v1, v218
	v_add_f32_e32 v3, v1, v219
	s_wait_loadcnt 0x0
	s_delay_alu instid0(VALU_DEP_1)
	v_dual_sub_f32 v1, v30, v2 :: v_dual_sub_f32 v2, v31, v3
	scratch_store_b64 off, v[1:2], off offset:352
	v_cmpx_lt_u32_e32 43, v0
	s_cbranch_execz .LBB126_305
; %bb.304:
	scratch_load_b64 v[1:2], off, off offset:344
	v_mov_b32_e32 v3, 0
	s_delay_alu instid0(VALU_DEP_1)
	v_mov_b32_e32 v4, v3
	scratch_store_b64 off, v[3:4], off offset:344
	s_wait_loadcnt 0x0
	ds_store_b64 v161, v[1:2]
.LBB126_305:
	s_wait_alu 0xfffe
	s_or_b32 exec_lo, exec_lo, s0
	s_wait_storecnt_dscnt 0x0
	s_barrier_signal -1
	s_barrier_wait -1
	global_inv scope:SCOPE_SE
	s_clause 0xa
	scratch_load_b128 v[2:5], off, off offset:352
	scratch_load_b128 v[6:9], off, off offset:368
	;; [unrolled: 1-line block ×9, first 2 shown]
	scratch_load_b64 v[30:31], off, off offset:496
	scratch_load_b64 v[159:160], off, off offset:344
	v_mov_b32_e32 v1, 0
	ds_load_b128 v[170:173], v1 offset:864
	ds_load_b128 v[174:177], v1 offset:880
	;; [unrolled: 1-line block ×9, first 2 shown]
	ds_load_b64 v[206:207], v1 offset:1008
	s_mov_b32 s0, exec_lo
	s_wait_loadcnt_dscnt 0xa09
	v_mul_f32_e32 v32, v170, v3
	s_wait_loadcnt_dscnt 0x908
	v_dual_mul_f32 v208, v172, v5 :: v_dual_mul_f32 v209, v174, v7
	v_mul_f32_e32 v3, v171, v3
	s_delay_alu instid0(VALU_DEP_3)
	v_dual_mul_f32 v5, v173, v5 :: v_dual_fmac_f32 v32, v171, v2
	s_wait_loadcnt_dscnt 0x807
	v_dual_mul_f32 v210, v176, v9 :: v_dual_mul_f32 v211, v178, v11
	s_wait_loadcnt_dscnt 0x302
	v_mul_f32_e32 v222, v200, v165
	v_fma_f32 v3, v170, v2, -v3
	s_wait_loadcnt_dscnt 0x100
	v_mul_f32_e32 v225, v206, v31
	v_mul_f32_e32 v2, v175, v7
	v_fmac_f32_e32 v208, v173, v4
	v_fma_f32 v4, v172, v4, -v5
	v_dual_add_f32 v3, 0, v3 :: v_dual_mul_f32 v212, v180, v13
	v_mul_f32_e32 v213, v182, v15
	v_fma_f32 v2, v174, v6, -v2
	v_fmac_f32_e32 v211, v179, v10
	s_delay_alu instid0(VALU_DEP_4) | instskip(SKIP_3) | instid1(VALU_DEP_4)
	v_add_f32_e32 v3, v3, v4
	v_add_f32_e32 v5, 0, v32
	v_fmac_f32_e32 v212, v181, v12
	v_dual_mul_f32 v214, v184, v17 :: v_dual_mul_f32 v215, v186, v19
	v_dual_add_f32 v2, v3, v2 :: v_dual_mul_f32 v7, v177, v9
	s_delay_alu instid0(VALU_DEP_4) | instskip(SKIP_1) | instid1(VALU_DEP_3)
	v_dual_fmac_f32 v209, v175, v6 :: v_dual_add_f32 v4, v5, v208
	v_dual_mul_f32 v5, v179, v11 :: v_dual_fmac_f32 v210, v177, v8
	v_fma_f32 v6, v176, v8, -v7
	v_dual_fmac_f32 v213, v183, v14 :: v_dual_fmac_f32 v214, v185, v16
	s_delay_alu instid0(VALU_DEP_4)
	v_add_f32_e32 v3, v4, v209
	v_mul_f32_e32 v4, v181, v13
	v_fma_f32 v5, v178, v10, -v5
	v_add_f32_e32 v2, v2, v6
	v_mul_f32_e32 v6, v183, v15
	v_add_f32_e32 v3, v3, v210
	v_fma_f32 v4, v180, v12, -v4
	v_dual_mul_f32 v216, v188, v21 :: v_dual_mul_f32 v217, v190, v23
	s_delay_alu instid0(VALU_DEP_3) | instskip(SKIP_3) | instid1(VALU_DEP_4)
	v_dual_add_f32 v2, v2, v5 :: v_dual_add_f32 v3, v3, v211
	v_mul_f32_e32 v5, v185, v17
	v_fma_f32 v6, v182, v14, -v6
	v_dual_mul_f32 v218, v192, v25 :: v_dual_mul_f32 v219, v194, v27
	v_add_f32_e32 v2, v2, v4
	v_add_f32_e32 v3, v3, v212
	v_mul_f32_e32 v4, v187, v19
	v_fma_f32 v5, v184, v16, -v5
	v_fmac_f32_e32 v215, v187, v18
	s_delay_alu instid0(VALU_DEP_4) | instskip(SKIP_3) | instid1(VALU_DEP_4)
	v_dual_add_f32 v2, v2, v6 :: v_dual_add_f32 v3, v3, v213
	v_fmac_f32_e32 v216, v189, v20
	v_mul_f32_e32 v6, v189, v21
	v_fma_f32 v4, v186, v18, -v4
	v_dual_add_f32 v2, v2, v5 :: v_dual_add_f32 v3, v3, v214
	v_mul_f32_e32 v5, v191, v23
	s_delay_alu instid0(VALU_DEP_4) | instskip(SKIP_1) | instid1(VALU_DEP_4)
	v_fma_f32 v6, v188, v20, -v6
	v_dual_fmac_f32 v217, v191, v22 :: v_dual_fmac_f32 v218, v193, v24
	v_dual_add_f32 v2, v2, v4 :: v_dual_add_f32 v3, v3, v215
	v_mul_f32_e32 v4, v193, v25
	v_fma_f32 v5, v190, v22, -v5
	v_fmac_f32_e32 v219, v195, v26
	s_delay_alu instid0(VALU_DEP_4) | instskip(SKIP_3) | instid1(VALU_DEP_4)
	v_dual_add_f32 v2, v2, v6 :: v_dual_add_f32 v3, v3, v216
	v_mul_f32_e32 v6, v195, v27
	v_fma_f32 v4, v192, v24, -v4
	v_dual_mul_f32 v220, v196, v29 :: v_dual_mul_f32 v221, v198, v163
	v_add_f32_e32 v2, v2, v5
	v_add_f32_e32 v3, v3, v217
	v_mul_f32_e32 v5, v197, v29
	v_fma_f32 v6, v194, v26, -v6
	v_fmac_f32_e32 v220, v197, v28
	s_delay_alu instid0(VALU_DEP_4) | instskip(SKIP_3) | instid1(VALU_DEP_4)
	v_dual_add_f32 v2, v2, v4 :: v_dual_add_f32 v3, v3, v218
	v_mul_f32_e32 v4, v199, v163
	v_fma_f32 v5, v196, v28, -v5
	v_fmac_f32_e32 v221, v199, v162
	v_dual_add_f32 v2, v2, v6 :: v_dual_add_f32 v3, v3, v219
	v_mul_f32_e32 v6, v201, v165
	v_fma_f32 v4, v198, v162, -v4
	v_dual_mul_f32 v223, v202, v167 :: v_dual_mul_f32 v224, v204, v169
	s_delay_alu instid0(VALU_DEP_4) | instskip(SKIP_2) | instid1(VALU_DEP_3)
	v_dual_add_f32 v2, v2, v5 :: v_dual_add_f32 v3, v3, v220
	v_dual_mul_f32 v5, v203, v167 :: v_dual_fmac_f32 v222, v201, v164
	v_fma_f32 v6, v200, v164, -v6
	v_dual_add_f32 v2, v2, v4 :: v_dual_add_f32 v3, v3, v221
	v_dual_mul_f32 v4, v205, v169 :: v_dual_fmac_f32 v223, v203, v166
	s_delay_alu instid0(VALU_DEP_4) | instskip(NEXT) | instid1(VALU_DEP_3)
	v_fma_f32 v5, v202, v166, -v5
	v_dual_fmac_f32 v224, v205, v168 :: v_dual_add_f32 v3, v3, v222
	s_delay_alu instid0(VALU_DEP_4) | instskip(SKIP_3) | instid1(VALU_DEP_4)
	v_add_f32_e32 v2, v2, v6
	v_mul_f32_e32 v6, v207, v31
	v_fma_f32 v4, v204, v168, -v4
	v_fmac_f32_e32 v225, v207, v30
	v_dual_add_f32 v3, v3, v223 :: v_dual_add_f32 v2, v2, v5
	s_delay_alu instid0(VALU_DEP_4) | instskip(NEXT) | instid1(VALU_DEP_2)
	v_fma_f32 v5, v206, v30, -v6
	v_add_f32_e32 v3, v3, v224
	s_delay_alu instid0(VALU_DEP_1) | instskip(SKIP_1) | instid1(VALU_DEP_1)
	v_dual_add_f32 v2, v2, v4 :: v_dual_add_f32 v3, v3, v225
	s_wait_loadcnt 0x0
	v_dual_add_f32 v2, v2, v5 :: v_dual_sub_f32 v3, v160, v3
	s_delay_alu instid0(VALU_DEP_1)
	v_sub_f32_e32 v2, v159, v2
	scratch_store_b64 off, v[2:3], off offset:344
	v_cmpx_lt_u32_e32 42, v0
	s_cbranch_execz .LBB126_307
; %bb.306:
	scratch_load_b64 v[3:4], off, off offset:336
	v_mov_b32_e32 v2, v1
	scratch_store_b64 off, v[1:2], off offset:336
	s_wait_loadcnt 0x0
	ds_store_b64 v161, v[3:4]
.LBB126_307:
	s_wait_alu 0xfffe
	s_or_b32 exec_lo, exec_lo, s0
	s_wait_storecnt_dscnt 0x0
	s_barrier_signal -1
	s_barrier_wait -1
	global_inv scope:SCOPE_SE
	s_clause 0xa
	scratch_load_b128 v[2:5], off, off offset:344
	scratch_load_b128 v[6:9], off, off offset:360
	;; [unrolled: 1-line block ×10, first 2 shown]
	scratch_load_b64 v[30:31], off, off offset:336
	ds_load_2addr_b64 v[174:177], v1 offset0:107 offset1:108
	ds_load_2addr_b64 v[178:181], v1 offset0:109 offset1:110
	;; [unrolled: 1-line block ×10, first 2 shown]
	s_mov_b32 s0, exec_lo
	s_wait_loadcnt_dscnt 0xa09
	v_dual_mul_f32 v1, v174, v3 :: v_dual_mul_f32 v32, v176, v5
	v_mul_f32_e32 v3, v175, v3
	v_mul_f32_e32 v5, v177, v5
	s_wait_loadcnt_dscnt 0x908
	v_dual_mul_f32 v159, v178, v7 :: v_dual_mul_f32 v160, v180, v9
	v_fmac_f32_e32 v32, v177, v4
	v_fma_f32 v3, v174, v2, -v3
	s_wait_loadcnt_dscnt 0x807
	v_dual_mul_f32 v214, v182, v11 :: v_dual_mul_f32 v215, v184, v13
	v_dual_fmac_f32 v1, v175, v2 :: v_dual_fmac_f32 v160, v181, v8
	v_mul_f32_e32 v2, v179, v7
	v_fma_f32 v4, v176, v4, -v5
	s_delay_alu instid0(VALU_DEP_4) | instskip(NEXT) | instid1(VALU_DEP_4)
	v_dual_add_f32 v3, 0, v3 :: v_dual_fmac_f32 v214, v183, v10
	v_add_f32_e32 v1, 0, v1
	s_delay_alu instid0(VALU_DEP_4) | instskip(SKIP_4) | instid1(VALU_DEP_3)
	v_fma_f32 v2, v178, v6, -v2
	s_wait_loadcnt_dscnt 0x706
	v_dual_mul_f32 v216, v186, v15 :: v_dual_mul_f32 v217, v188, v17
	v_add_f32_e32 v3, v3, v4
	v_dual_mul_f32 v5, v181, v9 :: v_dual_mul_f32 v4, v183, v11
	v_dual_add_f32 v1, v1, v32 :: v_dual_fmac_f32 v216, v187, v14
	s_delay_alu instid0(VALU_DEP_3) | instskip(NEXT) | instid1(VALU_DEP_3)
	v_add_f32_e32 v2, v3, v2
	v_fma_f32 v5, v180, v8, -v5
	v_fmac_f32_e32 v159, v179, v6
	v_fma_f32 v4, v182, v10, -v4
	s_wait_loadcnt_dscnt 0x605
	v_dual_mul_f32 v218, v190, v19 :: v_dual_mul_f32 v219, v192, v21
	s_delay_alu instid0(VALU_DEP_3) | instskip(NEXT) | instid1(VALU_DEP_2)
	v_dual_add_f32 v2, v2, v5 :: v_dual_add_f32 v1, v1, v159
	v_dual_mul_f32 v3, v185, v13 :: v_dual_fmac_f32 v218, v191, v18
	s_wait_loadcnt_dscnt 0x504
	v_dual_mul_f32 v220, v194, v23 :: v_dual_mul_f32 v221, v196, v25
	s_delay_alu instid0(VALU_DEP_3)
	v_add_f32_e32 v2, v2, v4
	v_mul_f32_e32 v4, v189, v17
	v_fma_f32 v3, v184, v12, -v3
	s_wait_loadcnt_dscnt 0x302
	v_dual_add_f32 v1, v1, v160 :: v_dual_mul_f32 v224, v202, v163
	v_mul_f32_e32 v225, v204, v165
	v_fma_f32 v4, v188, v16, -v4
	v_mul_f32_e32 v5, v187, v15
	s_delay_alu instid0(VALU_DEP_4) | instskip(SKIP_1) | instid1(VALU_DEP_3)
	v_dual_add_f32 v2, v2, v3 :: v_dual_add_f32 v1, v1, v214
	v_dual_mul_f32 v222, v198, v27 :: v_dual_mul_f32 v223, v200, v29
	v_fma_f32 v5, v186, v14, -v5
	v_dual_fmac_f32 v215, v185, v12 :: v_dual_fmac_f32 v220, v195, v22
	s_delay_alu instid0(VALU_DEP_3)
	v_fmac_f32_e32 v222, v199, v26
	s_wait_loadcnt_dscnt 0x201
	v_dual_mul_f32 v226, v206, v167 :: v_dual_mul_f32 v227, v208, v169
	v_dual_add_f32 v2, v2, v5 :: v_dual_fmac_f32 v221, v197, v24
	s_wait_loadcnt_dscnt 0x100
	v_dual_mul_f32 v228, v210, v171 :: v_dual_mul_f32 v229, v212, v173
	v_fmac_f32_e32 v223, v201, v28
	s_delay_alu instid0(VALU_DEP_3) | instskip(SKIP_1) | instid1(VALU_DEP_4)
	v_add_f32_e32 v2, v2, v4
	v_mul_f32_e32 v4, v195, v23
	v_dual_add_f32 v1, v1, v215 :: v_dual_fmac_f32 v228, v211, v170
	v_fmac_f32_e32 v225, v205, v164
	v_fmac_f32_e32 v227, v209, v168
	s_delay_alu instid0(VALU_DEP_4) | instskip(SKIP_3) | instid1(VALU_DEP_3)
	v_fma_f32 v4, v194, v22, -v4
	v_mul_f32_e32 v5, v193, v21
	v_dual_add_f32 v1, v1, v216 :: v_dual_fmac_f32 v224, v203, v162
	v_dual_fmac_f32 v229, v213, v172 :: v_dual_fmac_f32 v226, v207, v166
	v_fma_f32 v5, v192, v20, -v5
	v_mul_f32_e32 v3, v191, v19
	s_delay_alu instid0(VALU_DEP_1) | instskip(NEXT) | instid1(VALU_DEP_1)
	v_fma_f32 v3, v190, v18, -v3
	v_dual_fmac_f32 v217, v189, v16 :: v_dual_add_f32 v2, v2, v3
	v_mul_f32_e32 v3, v197, v25
	s_delay_alu instid0(VALU_DEP_2) | instskip(NEXT) | instid1(VALU_DEP_2)
	v_dual_add_f32 v2, v2, v5 :: v_dual_mul_f32 v5, v199, v27
	v_fma_f32 v3, v196, v24, -v3
	s_delay_alu instid0(VALU_DEP_2) | instskip(SKIP_1) | instid1(VALU_DEP_4)
	v_dual_add_f32 v2, v2, v4 :: v_dual_add_f32 v1, v1, v217
	v_mul_f32_e32 v4, v201, v29
	v_fma_f32 v5, v198, v26, -v5
	s_delay_alu instid0(VALU_DEP_3) | instskip(NEXT) | instid1(VALU_DEP_3)
	v_dual_add_f32 v2, v2, v3 :: v_dual_fmac_f32 v219, v193, v20
	v_fma_f32 v4, v200, v28, -v4
	s_delay_alu instid0(VALU_DEP_2) | instskip(SKIP_1) | instid1(VALU_DEP_2)
	v_add_f32_e32 v2, v2, v5
	v_mul_f32_e32 v5, v205, v165
	v_dual_add_f32 v1, v1, v218 :: v_dual_add_f32 v2, v2, v4
	s_delay_alu instid0(VALU_DEP_2) | instskip(SKIP_1) | instid1(VALU_DEP_3)
	v_fma_f32 v5, v204, v164, -v5
	v_mul_f32_e32 v3, v203, v163
	v_add_f32_e32 v1, v1, v219
	v_mul_f32_e32 v4, v207, v167
	s_delay_alu instid0(VALU_DEP_3) | instskip(NEXT) | instid1(VALU_DEP_3)
	v_fma_f32 v3, v202, v162, -v3
	v_add_f32_e32 v1, v1, v220
	s_delay_alu instid0(VALU_DEP_3) | instskip(NEXT) | instid1(VALU_DEP_3)
	v_fma_f32 v4, v206, v166, -v4
	v_dual_add_f32 v2, v2, v3 :: v_dual_mul_f32 v3, v209, v169
	s_delay_alu instid0(VALU_DEP_1) | instskip(NEXT) | instid1(VALU_DEP_4)
	v_add_f32_e32 v2, v2, v5
	v_add_f32_e32 v1, v1, v221
	v_mul_f32_e32 v5, v211, v171
	s_delay_alu instid0(VALU_DEP_4) | instskip(NEXT) | instid1(VALU_DEP_3)
	v_fma_f32 v3, v208, v168, -v3
	v_dual_add_f32 v2, v2, v4 :: v_dual_add_f32 v1, v1, v222
	v_mul_f32_e32 v4, v213, v173
	s_delay_alu instid0(VALU_DEP_4) | instskip(NEXT) | instid1(VALU_DEP_3)
	v_fma_f32 v5, v210, v170, -v5
	v_add_f32_e32 v2, v2, v3
	s_delay_alu instid0(VALU_DEP_4) | instskip(NEXT) | instid1(VALU_DEP_4)
	v_add_f32_e32 v1, v1, v223
	v_fma_f32 v3, v212, v172, -v4
	s_delay_alu instid0(VALU_DEP_2) | instskip(NEXT) | instid1(VALU_DEP_1)
	v_dual_add_f32 v2, v2, v5 :: v_dual_add_f32 v1, v1, v224
	v_dual_add_f32 v2, v2, v3 :: v_dual_add_f32 v1, v1, v225
	s_delay_alu instid0(VALU_DEP_1) | instskip(NEXT) | instid1(VALU_DEP_1)
	v_add_f32_e32 v1, v1, v226
	v_add_f32_e32 v1, v1, v227
	s_delay_alu instid0(VALU_DEP_1) | instskip(NEXT) | instid1(VALU_DEP_1)
	v_add_f32_e32 v1, v1, v228
	v_add_f32_e32 v3, v1, v229
	s_wait_loadcnt 0x0
	s_delay_alu instid0(VALU_DEP_1)
	v_dual_sub_f32 v1, v30, v2 :: v_dual_sub_f32 v2, v31, v3
	scratch_store_b64 off, v[1:2], off offset:336
	v_cmpx_lt_u32_e32 41, v0
	s_cbranch_execz .LBB126_309
; %bb.308:
	scratch_load_b64 v[1:2], off, off offset:328
	v_mov_b32_e32 v3, 0
	s_delay_alu instid0(VALU_DEP_1)
	v_mov_b32_e32 v4, v3
	scratch_store_b64 off, v[3:4], off offset:328
	s_wait_loadcnt 0x0
	ds_store_b64 v161, v[1:2]
.LBB126_309:
	s_wait_alu 0xfffe
	s_or_b32 exec_lo, exec_lo, s0
	s_wait_storecnt_dscnt 0x0
	s_barrier_signal -1
	s_barrier_wait -1
	global_inv scope:SCOPE_SE
	s_clause 0xb
	scratch_load_b128 v[2:5], off, off offset:336
	scratch_load_b128 v[6:9], off, off offset:352
	;; [unrolled: 1-line block ×10, first 2 shown]
	scratch_load_b64 v[30:31], off, off offset:496
	scratch_load_b64 v[159:160], off, off offset:328
	v_mov_b32_e32 v1, 0
	ds_load_b128 v[174:177], v1 offset:848
	ds_load_b128 v[178:181], v1 offset:864
	;; [unrolled: 1-line block ×10, first 2 shown]
	ds_load_b64 v[214:215], v1 offset:1008
	s_mov_b32 s0, exec_lo
	s_wait_loadcnt_dscnt 0xb0a
	v_mul_f32_e32 v32, v174, v3
	s_wait_loadcnt_dscnt 0xa09
	v_dual_mul_f32 v216, v176, v5 :: v_dual_mul_f32 v217, v178, v7
	v_mul_f32_e32 v5, v177, v5
	v_dual_mul_f32 v3, v175, v3 :: v_dual_mul_f32 v218, v180, v9
	s_wait_loadcnt_dscnt 0x908
	v_dual_mul_f32 v219, v182, v11 :: v_dual_fmac_f32 v32, v175, v2
	s_wait_loadcnt_dscnt 0x302
	v_mul_f32_e32 v232, v208, v169
	v_fma_f32 v3, v174, v2, -v3
	s_wait_loadcnt_dscnt 0x100
	v_mul_f32_e32 v235, v214, v31
	v_mul_f32_e32 v2, v179, v7
	v_fmac_f32_e32 v216, v177, v4
	v_fma_f32 v4, v176, v4, -v5
	v_dual_add_f32 v3, 0, v3 :: v_dual_mul_f32 v220, v184, v13
	v_mul_f32_e32 v221, v186, v15
	v_fma_f32 v2, v178, v6, -v2
	v_fmac_f32_e32 v219, v183, v10
	s_delay_alu instid0(VALU_DEP_4) | instskip(SKIP_3) | instid1(VALU_DEP_4)
	v_add_f32_e32 v3, v3, v4
	v_add_f32_e32 v5, 0, v32
	v_fmac_f32_e32 v220, v185, v12
	v_dual_mul_f32 v222, v188, v17 :: v_dual_mul_f32 v223, v190, v19
	v_dual_add_f32 v2, v3, v2 :: v_dual_mul_f32 v7, v181, v9
	s_delay_alu instid0(VALU_DEP_4) | instskip(SKIP_1) | instid1(VALU_DEP_3)
	v_dual_fmac_f32 v217, v179, v6 :: v_dual_add_f32 v4, v5, v216
	v_dual_mul_f32 v5, v183, v11 :: v_dual_fmac_f32 v218, v181, v8
	v_fma_f32 v6, v180, v8, -v7
	v_dual_fmac_f32 v221, v187, v14 :: v_dual_fmac_f32 v222, v189, v16
	s_delay_alu instid0(VALU_DEP_4)
	v_add_f32_e32 v3, v4, v217
	v_mul_f32_e32 v4, v185, v13
	v_fma_f32 v5, v182, v10, -v5
	v_add_f32_e32 v2, v2, v6
	v_mul_f32_e32 v6, v187, v15
	v_add_f32_e32 v3, v3, v218
	v_fma_f32 v4, v184, v12, -v4
	v_dual_mul_f32 v224, v192, v21 :: v_dual_mul_f32 v225, v194, v23
	s_delay_alu instid0(VALU_DEP_3) | instskip(SKIP_3) | instid1(VALU_DEP_4)
	v_dual_add_f32 v2, v2, v5 :: v_dual_add_f32 v3, v3, v219
	v_mul_f32_e32 v5, v189, v17
	v_fma_f32 v6, v186, v14, -v6
	v_dual_mul_f32 v226, v196, v25 :: v_dual_mul_f32 v227, v198, v27
	v_add_f32_e32 v2, v2, v4
	v_add_f32_e32 v3, v3, v220
	v_mul_f32_e32 v4, v191, v19
	v_fma_f32 v5, v188, v16, -v5
	v_fmac_f32_e32 v223, v191, v18
	s_delay_alu instid0(VALU_DEP_4) | instskip(SKIP_3) | instid1(VALU_DEP_4)
	v_dual_add_f32 v2, v2, v6 :: v_dual_add_f32 v3, v3, v221
	v_fmac_f32_e32 v224, v193, v20
	v_mul_f32_e32 v6, v193, v21
	v_fma_f32 v4, v190, v18, -v4
	v_dual_add_f32 v2, v2, v5 :: v_dual_add_f32 v3, v3, v222
	v_mul_f32_e32 v5, v195, v23
	s_delay_alu instid0(VALU_DEP_4) | instskip(SKIP_1) | instid1(VALU_DEP_4)
	v_fma_f32 v6, v192, v20, -v6
	v_dual_fmac_f32 v225, v195, v22 :: v_dual_fmac_f32 v226, v197, v24
	v_dual_add_f32 v2, v2, v4 :: v_dual_add_f32 v3, v3, v223
	v_mul_f32_e32 v4, v197, v25
	v_fma_f32 v5, v194, v22, -v5
	v_dual_mul_f32 v228, v200, v29 :: v_dual_mul_f32 v229, v202, v163
	s_delay_alu instid0(VALU_DEP_4) | instskip(SKIP_2) | instid1(VALU_DEP_3)
	v_dual_add_f32 v2, v2, v6 :: v_dual_add_f32 v3, v3, v224
	v_mul_f32_e32 v6, v199, v27
	v_fma_f32 v4, v196, v24, -v4
	v_dual_fmac_f32 v227, v199, v26 :: v_dual_add_f32 v2, v2, v5
	s_delay_alu instid0(VALU_DEP_4) | instskip(SKIP_3) | instid1(VALU_DEP_4)
	v_add_f32_e32 v3, v3, v225
	v_mul_f32_e32 v5, v201, v29
	v_fma_f32 v6, v198, v26, -v6
	v_fmac_f32_e32 v228, v201, v28
	v_dual_add_f32 v2, v2, v4 :: v_dual_add_f32 v3, v3, v226
	v_mul_f32_e32 v4, v203, v163
	v_fma_f32 v5, v200, v28, -v5
	v_dual_mul_f32 v230, v204, v165 :: v_dual_mul_f32 v231, v206, v167
	s_delay_alu instid0(VALU_DEP_4) | instskip(SKIP_2) | instid1(VALU_DEP_3)
	v_dual_add_f32 v2, v2, v6 :: v_dual_add_f32 v3, v3, v227
	v_dual_mul_f32 v6, v205, v165 :: v_dual_fmac_f32 v229, v203, v162
	v_fma_f32 v4, v202, v162, -v4
	v_dual_add_f32 v2, v2, v5 :: v_dual_add_f32 v3, v3, v228
	v_dual_mul_f32 v5, v207, v167 :: v_dual_fmac_f32 v230, v205, v164
	s_delay_alu instid0(VALU_DEP_4) | instskip(NEXT) | instid1(VALU_DEP_3)
	v_fma_f32 v6, v204, v164, -v6
	v_dual_add_f32 v2, v2, v4 :: v_dual_add_f32 v3, v3, v229
	v_dual_mul_f32 v4, v209, v169 :: v_dual_fmac_f32 v231, v207, v166
	s_delay_alu instid0(VALU_DEP_4) | instskip(NEXT) | instid1(VALU_DEP_3)
	v_fma_f32 v5, v206, v166, -v5
	v_dual_fmac_f32 v232, v209, v168 :: v_dual_add_f32 v3, v3, v230
	s_delay_alu instid0(VALU_DEP_4) | instskip(SKIP_3) | instid1(VALU_DEP_4)
	v_add_f32_e32 v2, v2, v6
	v_dual_mul_f32 v233, v210, v171 :: v_dual_mul_f32 v234, v212, v173
	v_mul_f32_e32 v6, v211, v171
	v_fma_f32 v4, v208, v168, -v4
	v_dual_add_f32 v3, v3, v231 :: v_dual_add_f32 v2, v2, v5
	s_delay_alu instid0(VALU_DEP_4) | instskip(SKIP_2) | instid1(VALU_DEP_4)
	v_fmac_f32_e32 v233, v211, v170
	v_mul_f32_e32 v5, v213, v173
	v_fma_f32 v6, v210, v170, -v6
	v_add_f32_e32 v3, v3, v232
	v_add_f32_e32 v2, v2, v4
	v_mul_f32_e32 v4, v215, v31
	v_dual_fmac_f32 v234, v213, v172 :: v_dual_fmac_f32 v235, v215, v30
	v_fma_f32 v5, v212, v172, -v5
	s_delay_alu instid0(VALU_DEP_4) | instskip(NEXT) | instid1(VALU_DEP_4)
	v_dual_add_f32 v3, v3, v233 :: v_dual_add_f32 v2, v2, v6
	v_fma_f32 v4, v214, v30, -v4
	s_delay_alu instid0(VALU_DEP_2) | instskip(NEXT) | instid1(VALU_DEP_1)
	v_dual_add_f32 v3, v3, v234 :: v_dual_add_f32 v2, v2, v5
	v_dual_add_f32 v3, v3, v235 :: v_dual_add_f32 v2, v2, v4
	s_wait_loadcnt 0x0
	s_delay_alu instid0(VALU_DEP_1)
	v_dual_sub_f32 v3, v160, v3 :: v_dual_sub_f32 v2, v159, v2
	scratch_store_b64 off, v[2:3], off offset:328
	v_cmpx_lt_u32_e32 40, v0
	s_cbranch_execz .LBB126_311
; %bb.310:
	scratch_load_b64 v[3:4], off, off offset:320
	v_mov_b32_e32 v2, v1
	scratch_store_b64 off, v[1:2], off offset:320
	s_wait_loadcnt 0x0
	ds_store_b64 v161, v[3:4]
.LBB126_311:
	s_wait_alu 0xfffe
	s_or_b32 exec_lo, exec_lo, s0
	s_wait_storecnt_dscnt 0x0
	s_barrier_signal -1
	s_barrier_wait -1
	global_inv scope:SCOPE_SE
	s_clause 0xb
	scratch_load_b128 v[2:5], off, off offset:328
	scratch_load_b128 v[6:9], off, off offset:344
	scratch_load_b128 v[10:13], off, off offset:360
	scratch_load_b128 v[14:17], off, off offset:376
	scratch_load_b128 v[18:21], off, off offset:392
	scratch_load_b128 v[22:25], off, off offset:408
	scratch_load_b128 v[26:29], off, off offset:424
	scratch_load_b128 v[162:165], off, off offset:440
	scratch_load_b128 v[166:169], off, off offset:456
	scratch_load_b128 v[170:173], off, off offset:472
	scratch_load_b128 v[174:177], off, off offset:488
	scratch_load_b64 v[30:31], off, off offset:320
	ds_load_2addr_b64 v[178:181], v1 offset0:105 offset1:106
	ds_load_2addr_b64 v[182:185], v1 offset0:107 offset1:108
	;; [unrolled: 1-line block ×11, first 2 shown]
	s_mov_b32 s0, exec_lo
	s_wait_loadcnt_dscnt 0xb0a
	v_dual_mul_f32 v1, v178, v3 :: v_dual_mul_f32 v32, v180, v5
	v_mul_f32_e32 v3, v179, v3
	v_mul_f32_e32 v5, v181, v5
	s_wait_loadcnt_dscnt 0xa09
	v_dual_mul_f32 v159, v182, v7 :: v_dual_mul_f32 v160, v184, v9
	v_fmac_f32_e32 v32, v181, v4
	v_fma_f32 v3, v178, v2, -v3
	s_wait_loadcnt_dscnt 0x908
	v_dual_mul_f32 v222, v186, v11 :: v_dual_mul_f32 v223, v188, v13
	v_dual_fmac_f32 v1, v179, v2 :: v_dual_fmac_f32 v160, v185, v8
	v_mul_f32_e32 v2, v183, v7
	v_fma_f32 v4, v180, v4, -v5
	s_delay_alu instid0(VALU_DEP_4) | instskip(NEXT) | instid1(VALU_DEP_4)
	v_dual_add_f32 v3, 0, v3 :: v_dual_fmac_f32 v222, v187, v10
	v_add_f32_e32 v1, 0, v1
	s_delay_alu instid0(VALU_DEP_4) | instskip(SKIP_4) | instid1(VALU_DEP_3)
	v_fma_f32 v2, v182, v6, -v2
	s_wait_loadcnt_dscnt 0x807
	v_dual_mul_f32 v224, v190, v15 :: v_dual_mul_f32 v225, v192, v17
	v_add_f32_e32 v3, v3, v4
	v_dual_mul_f32 v5, v185, v9 :: v_dual_mul_f32 v4, v187, v11
	v_dual_add_f32 v1, v1, v32 :: v_dual_fmac_f32 v224, v191, v14
	s_delay_alu instid0(VALU_DEP_3) | instskip(NEXT) | instid1(VALU_DEP_3)
	v_add_f32_e32 v2, v3, v2
	v_fma_f32 v5, v184, v8, -v5
	v_fmac_f32_e32 v159, v183, v6
	v_fma_f32 v4, v186, v10, -v4
	s_wait_loadcnt_dscnt 0x706
	v_dual_mul_f32 v226, v194, v19 :: v_dual_mul_f32 v227, v196, v21
	s_delay_alu instid0(VALU_DEP_3) | instskip(NEXT) | instid1(VALU_DEP_2)
	v_dual_add_f32 v2, v2, v5 :: v_dual_add_f32 v1, v1, v159
	v_dual_mul_f32 v3, v189, v13 :: v_dual_fmac_f32 v226, v195, v18
	s_wait_loadcnt_dscnt 0x605
	v_dual_mul_f32 v228, v198, v23 :: v_dual_mul_f32 v229, v200, v25
	s_delay_alu instid0(VALU_DEP_3)
	v_add_f32_e32 v2, v2, v4
	v_mul_f32_e32 v4, v193, v17
	v_fma_f32 v3, v188, v12, -v3
	s_wait_loadcnt_dscnt 0x403
	v_dual_add_f32 v1, v1, v160 :: v_dual_mul_f32 v232, v206, v163
	v_mul_f32_e32 v233, v208, v165
	v_fma_f32 v4, v192, v16, -v4
	v_mul_f32_e32 v5, v191, v15
	s_delay_alu instid0(VALU_DEP_4) | instskip(SKIP_1) | instid1(VALU_DEP_3)
	v_dual_add_f32 v2, v2, v3 :: v_dual_add_f32 v1, v1, v222
	v_dual_mul_f32 v230, v202, v27 :: v_dual_mul_f32 v231, v204, v29
	v_fma_f32 v5, v190, v14, -v5
	v_dual_fmac_f32 v223, v189, v12 :: v_dual_fmac_f32 v228, v199, v22
	s_delay_alu instid0(VALU_DEP_3)
	v_fmac_f32_e32 v230, v203, v26
	s_wait_loadcnt_dscnt 0x100
	v_dual_mul_f32 v238, v218, v175 :: v_dual_mul_f32 v239, v220, v177
	v_add_f32_e32 v2, v2, v5
	v_dual_mul_f32 v234, v210, v167 :: v_dual_mul_f32 v235, v212, v169
	v_dual_fmac_f32 v229, v201, v24 :: v_dual_mul_f32 v236, v214, v171
	s_delay_alu instid0(VALU_DEP_3) | instskip(SKIP_2) | instid1(VALU_DEP_4)
	v_dual_mul_f32 v237, v216, v173 :: v_dual_add_f32 v2, v2, v4
	v_mul_f32_e32 v4, v199, v23
	v_add_f32_e32 v1, v1, v223
	v_dual_fmac_f32 v231, v205, v28 :: v_dual_fmac_f32 v236, v215, v170
	v_fmac_f32_e32 v232, v207, v162
	s_delay_alu instid0(VALU_DEP_4)
	v_fma_f32 v4, v198, v22, -v4
	v_mul_f32_e32 v5, v197, v21
	v_add_f32_e32 v1, v1, v224
	v_fmac_f32_e32 v235, v213, v168
	v_fmac_f32_e32 v237, v217, v172
	;; [unrolled: 1-line block ×3, first 2 shown]
	v_fma_f32 v5, v196, v20, -v5
	v_mul_f32_e32 v3, v195, v19
	v_fmac_f32_e32 v238, v219, v174
	v_fmac_f32_e32 v234, v211, v166
	s_delay_alu instid0(VALU_DEP_3) | instskip(NEXT) | instid1(VALU_DEP_1)
	v_fma_f32 v3, v194, v18, -v3
	v_dual_fmac_f32 v225, v193, v16 :: v_dual_add_f32 v2, v2, v3
	v_mul_f32_e32 v3, v201, v25
	s_delay_alu instid0(VALU_DEP_2) | instskip(NEXT) | instid1(VALU_DEP_2)
	v_dual_add_f32 v2, v2, v5 :: v_dual_mul_f32 v5, v203, v27
	v_fma_f32 v3, v200, v24, -v3
	s_delay_alu instid0(VALU_DEP_2) | instskip(SKIP_1) | instid1(VALU_DEP_4)
	v_dual_add_f32 v2, v2, v4 :: v_dual_add_f32 v1, v1, v225
	v_mul_f32_e32 v4, v205, v29
	v_fma_f32 v5, v202, v26, -v5
	s_delay_alu instid0(VALU_DEP_3) | instskip(NEXT) | instid1(VALU_DEP_3)
	v_dual_add_f32 v2, v2, v3 :: v_dual_fmac_f32 v227, v197, v20
	v_fma_f32 v4, v204, v28, -v4
	s_delay_alu instid0(VALU_DEP_2) | instskip(SKIP_1) | instid1(VALU_DEP_2)
	v_add_f32_e32 v2, v2, v5
	v_mul_f32_e32 v5, v209, v165
	v_dual_add_f32 v1, v1, v226 :: v_dual_add_f32 v2, v2, v4
	s_delay_alu instid0(VALU_DEP_2) | instskip(SKIP_1) | instid1(VALU_DEP_3)
	v_fma_f32 v5, v208, v164, -v5
	v_mul_f32_e32 v3, v207, v163
	v_add_f32_e32 v1, v1, v227
	v_mul_f32_e32 v4, v211, v167
	s_delay_alu instid0(VALU_DEP_3) | instskip(NEXT) | instid1(VALU_DEP_3)
	v_fma_f32 v3, v206, v162, -v3
	v_add_f32_e32 v1, v1, v228
	s_delay_alu instid0(VALU_DEP_3) | instskip(NEXT) | instid1(VALU_DEP_3)
	v_fma_f32 v4, v210, v166, -v4
	v_add_f32_e32 v2, v2, v3
	s_delay_alu instid0(VALU_DEP_1) | instskip(NEXT) | instid1(VALU_DEP_4)
	v_add_f32_e32 v2, v2, v5
	v_add_f32_e32 v1, v1, v229
	s_delay_alu instid0(VALU_DEP_2) | instskip(SKIP_1) | instid1(VALU_DEP_2)
	v_dual_mul_f32 v5, v215, v171 :: v_dual_add_f32 v2, v2, v4
	v_mul_f32_e32 v4, v217, v173
	v_fma_f32 v5, v214, v170, -v5
	s_delay_alu instid0(VALU_DEP_2) | instskip(SKIP_1) | instid1(VALU_DEP_1)
	v_fma_f32 v4, v216, v172, -v4
	v_mul_f32_e32 v3, v213, v169
	v_fma_f32 v3, v212, v168, -v3
	s_delay_alu instid0(VALU_DEP_1) | instskip(NEXT) | instid1(VALU_DEP_1)
	v_dual_add_f32 v1, v1, v230 :: v_dual_add_f32 v2, v2, v3
	v_add_f32_e32 v1, v1, v231
	s_delay_alu instid0(VALU_DEP_2) | instskip(NEXT) | instid1(VALU_DEP_2)
	v_dual_mul_f32 v3, v219, v175 :: v_dual_add_f32 v2, v2, v5
	v_add_f32_e32 v1, v1, v232
	v_mul_f32_e32 v5, v221, v177
	s_delay_alu instid0(VALU_DEP_3) | instskip(NEXT) | instid1(VALU_DEP_4)
	v_fma_f32 v3, v218, v174, -v3
	v_add_f32_e32 v2, v2, v4
	v_fmac_f32_e32 v233, v209, v164
	s_delay_alu instid0(VALU_DEP_4) | instskip(NEXT) | instid1(VALU_DEP_2)
	v_fma_f32 v4, v220, v176, -v5
	v_dual_add_f32 v2, v2, v3 :: v_dual_add_f32 v1, v1, v233
	s_delay_alu instid0(VALU_DEP_1) | instskip(NEXT) | instid1(VALU_DEP_1)
	v_dual_add_f32 v2, v2, v4 :: v_dual_add_f32 v1, v1, v234
	v_add_f32_e32 v1, v1, v235
	s_delay_alu instid0(VALU_DEP_1) | instskip(NEXT) | instid1(VALU_DEP_1)
	v_add_f32_e32 v1, v1, v236
	v_add_f32_e32 v1, v1, v237
	s_delay_alu instid0(VALU_DEP_1) | instskip(NEXT) | instid1(VALU_DEP_1)
	v_add_f32_e32 v1, v1, v238
	v_add_f32_e32 v3, v1, v239
	s_wait_loadcnt 0x0
	s_delay_alu instid0(VALU_DEP_1)
	v_dual_sub_f32 v1, v30, v2 :: v_dual_sub_f32 v2, v31, v3
	scratch_store_b64 off, v[1:2], off offset:320
	v_cmpx_lt_u32_e32 39, v0
	s_cbranch_execz .LBB126_313
; %bb.312:
	scratch_load_b64 v[1:2], off, off offset:312
	v_mov_b32_e32 v3, 0
	s_delay_alu instid0(VALU_DEP_1)
	v_mov_b32_e32 v4, v3
	scratch_store_b64 off, v[3:4], off offset:312
	s_wait_loadcnt 0x0
	ds_store_b64 v161, v[1:2]
.LBB126_313:
	s_wait_alu 0xfffe
	s_or_b32 exec_lo, exec_lo, s0
	s_wait_storecnt_dscnt 0x0
	s_barrier_signal -1
	s_barrier_wait -1
	global_inv scope:SCOPE_SE
	s_clause 0xc
	scratch_load_b128 v[2:5], off, off offset:320
	scratch_load_b128 v[6:9], off, off offset:336
	;; [unrolled: 1-line block ×11, first 2 shown]
	scratch_load_b64 v[30:31], off, off offset:496
	scratch_load_b64 v[159:160], off, off offset:312
	v_mov_b32_e32 v1, 0
	ds_load_b128 v[178:181], v1 offset:832
	ds_load_b128 v[182:185], v1 offset:848
	ds_load_b128 v[186:189], v1 offset:864
	ds_load_b128 v[190:193], v1 offset:880
	ds_load_b128 v[194:197], v1 offset:896
	ds_load_b128 v[198:201], v1 offset:912
	ds_load_b128 v[202:205], v1 offset:928
	ds_load_b128 v[206:209], v1 offset:944
	ds_load_b128 v[210:213], v1 offset:960
	ds_load_b128 v[214:217], v1 offset:976
	ds_load_b128 v[218:221], v1 offset:992
	ds_load_b64 v[222:223], v1 offset:1008
	s_mov_b32 s0, exec_lo
	s_wait_loadcnt_dscnt 0xc0b
	v_mul_f32_e32 v32, v178, v3
	s_wait_loadcnt_dscnt 0xb0a
	v_dual_mul_f32 v224, v180, v5 :: v_dual_mul_f32 v225, v182, v7
	v_mul_f32_e32 v5, v181, v5
	s_wait_loadcnt_dscnt 0xa09
	v_dual_mul_f32 v226, v184, v9 :: v_dual_mul_f32 v227, v186, v11
	v_mul_f32_e32 v3, v179, v3
	v_fmac_f32_e32 v32, v179, v2
	s_wait_loadcnt_dscnt 0x908
	v_dual_mul_f32 v228, v188, v13 :: v_dual_mul_f32 v229, v190, v15
	s_wait_loadcnt_dscnt 0x302
	v_mul_f32_e32 v242, v216, v173
	v_fma_f32 v3, v178, v2, -v3
	s_wait_loadcnt_dscnt 0x100
	v_mul_f32_e32 v245, v222, v31
	v_mul_f32_e32 v2, v183, v7
	v_fmac_f32_e32 v224, v181, v4
	v_fma_f32 v4, v180, v4, -v5
	v_add_f32_e32 v3, 0, v3
	v_dual_fmac_f32 v227, v187, v10 :: v_dual_fmac_f32 v228, v189, v12
	v_fma_f32 v2, v182, v6, -v2
	v_dual_mul_f32 v230, v192, v17 :: v_dual_mul_f32 v231, v194, v19
	s_delay_alu instid0(VALU_DEP_4) | instskip(SKIP_1) | instid1(VALU_DEP_3)
	v_add_f32_e32 v3, v3, v4
	v_add_f32_e32 v5, 0, v32
	v_dual_fmac_f32 v229, v191, v14 :: v_dual_fmac_f32 v230, v193, v16
	v_fmac_f32_e32 v226, v185, v8
	s_delay_alu instid0(VALU_DEP_4) | instskip(NEXT) | instid1(VALU_DEP_4)
	v_dual_add_f32 v2, v3, v2 :: v_dual_mul_f32 v7, v185, v9
	v_dual_fmac_f32 v225, v183, v6 :: v_dual_add_f32 v4, v5, v224
	v_dual_mul_f32 v5, v187, v11 :: v_dual_mul_f32 v232, v196, v21
	v_mul_f32_e32 v233, v198, v23
	s_delay_alu instid0(VALU_DEP_4) | instskip(NEXT) | instid1(VALU_DEP_4)
	v_fma_f32 v6, v184, v8, -v7
	v_add_f32_e32 v3, v4, v225
	v_mul_f32_e32 v4, v189, v13
	v_fma_f32 v5, v186, v10, -v5
	v_dual_mul_f32 v234, v200, v25 :: v_dual_mul_f32 v235, v202, v27
	v_add_f32_e32 v2, v2, v6
	v_mul_f32_e32 v6, v191, v15
	v_add_f32_e32 v3, v3, v226
	v_fma_f32 v4, v188, v12, -v4
	v_dual_fmac_f32 v233, v199, v22 :: v_dual_fmac_f32 v234, v201, v24
	s_delay_alu instid0(VALU_DEP_3) | instskip(SKIP_2) | instid1(VALU_DEP_3)
	v_dual_add_f32 v2, v2, v5 :: v_dual_add_f32 v3, v3, v227
	v_mul_f32_e32 v5, v193, v17
	v_fma_f32 v6, v190, v14, -v6
	v_dual_fmac_f32 v231, v195, v18 :: v_dual_add_f32 v2, v2, v4
	s_delay_alu instid0(VALU_DEP_4) | instskip(SKIP_3) | instid1(VALU_DEP_4)
	v_add_f32_e32 v3, v3, v228
	v_mul_f32_e32 v4, v195, v19
	v_fma_f32 v5, v192, v16, -v5
	v_fmac_f32_e32 v232, v197, v20
	v_dual_add_f32 v2, v2, v6 :: v_dual_add_f32 v3, v3, v229
	v_mul_f32_e32 v6, v197, v21
	v_fma_f32 v4, v194, v18, -v4
	v_dual_mul_f32 v236, v204, v29 :: v_dual_mul_f32 v237, v206, v163
	s_delay_alu instid0(VALU_DEP_4) | instskip(SKIP_3) | instid1(VALU_DEP_4)
	v_dual_add_f32 v2, v2, v5 :: v_dual_add_f32 v3, v3, v230
	v_mul_f32_e32 v5, v199, v23
	v_fma_f32 v6, v196, v20, -v6
	v_dual_mul_f32 v238, v208, v165 :: v_dual_mul_f32 v239, v210, v167
	v_dual_add_f32 v2, v2, v4 :: v_dual_add_f32 v3, v3, v231
	v_mul_f32_e32 v4, v201, v25
	v_fma_f32 v5, v198, v22, -v5
	v_fmac_f32_e32 v235, v203, v26
	s_delay_alu instid0(VALU_DEP_4) | instskip(SKIP_3) | instid1(VALU_DEP_4)
	v_dual_add_f32 v2, v2, v6 :: v_dual_add_f32 v3, v3, v232
	v_mul_f32_e32 v6, v203, v27
	v_fma_f32 v4, v200, v24, -v4
	v_fmac_f32_e32 v236, v205, v28
	v_add_f32_e32 v2, v2, v5
	v_add_f32_e32 v3, v3, v233
	v_mul_f32_e32 v5, v205, v29
	v_fma_f32 v6, v202, v26, -v6
	s_delay_alu instid0(VALU_DEP_4) | instskip(NEXT) | instid1(VALU_DEP_4)
	v_dual_fmac_f32 v237, v207, v162 :: v_dual_add_f32 v2, v2, v4
	v_add_f32_e32 v3, v3, v234
	v_mul_f32_e32 v4, v207, v163
	v_fma_f32 v5, v204, v28, -v5
	v_dual_mul_f32 v240, v212, v169 :: v_dual_mul_f32 v241, v214, v171
	s_delay_alu instid0(VALU_DEP_4) | instskip(SKIP_3) | instid1(VALU_DEP_4)
	v_dual_add_f32 v2, v2, v6 :: v_dual_add_f32 v3, v3, v235
	v_mul_f32_e32 v6, v209, v165
	v_fma_f32 v4, v206, v162, -v4
	v_fmac_f32_e32 v238, v209, v164
	v_dual_add_f32 v2, v2, v5 :: v_dual_add_f32 v3, v3, v236
	v_mul_f32_e32 v5, v211, v167
	v_fma_f32 v6, v208, v164, -v6
	s_delay_alu instid0(VALU_DEP_3) | instskip(NEXT) | instid1(VALU_DEP_4)
	v_dual_fmac_f32 v239, v211, v166 :: v_dual_add_f32 v2, v2, v4
	v_add_f32_e32 v3, v3, v237
	v_mul_f32_e32 v4, v213, v169
	v_fma_f32 v5, v210, v166, -v5
	v_dual_fmac_f32 v240, v213, v168 :: v_dual_fmac_f32 v241, v215, v170
	s_delay_alu instid0(VALU_DEP_4) | instskip(SKIP_4) | instid1(VALU_DEP_4)
	v_add_f32_e32 v3, v3, v238
	v_add_f32_e32 v2, v2, v6
	v_mul_f32_e32 v6, v215, v171
	v_fma_f32 v4, v212, v168, -v4
	v_dual_mul_f32 v243, v218, v175 :: v_dual_mul_f32 v244, v220, v177
	v_dual_add_f32 v3, v3, v239 :: v_dual_add_f32 v2, v2, v5
	v_mul_f32_e32 v5, v217, v173
	v_fma_f32 v6, v214, v170, -v6
	s_delay_alu instid0(VALU_DEP_4) | instskip(NEXT) | instid1(VALU_DEP_4)
	v_dual_fmac_f32 v242, v217, v172 :: v_dual_fmac_f32 v243, v219, v174
	v_add_f32_e32 v3, v3, v240
	v_add_f32_e32 v2, v2, v4
	v_mul_f32_e32 v4, v219, v175
	v_fma_f32 v5, v216, v172, -v5
	v_fmac_f32_e32 v245, v223, v30
	s_delay_alu instid0(VALU_DEP_4) | instskip(SKIP_2) | instid1(VALU_DEP_3)
	v_dual_add_f32 v3, v3, v241 :: v_dual_add_f32 v2, v2, v6
	v_mul_f32_e32 v6, v221, v177
	v_fma_f32 v4, v218, v174, -v4
	v_dual_add_f32 v3, v3, v242 :: v_dual_add_f32 v2, v2, v5
	v_dual_mul_f32 v5, v223, v31 :: v_dual_fmac_f32 v244, v221, v176
	s_delay_alu instid0(VALU_DEP_4) | instskip(NEXT) | instid1(VALU_DEP_3)
	v_fma_f32 v6, v220, v176, -v6
	v_dual_add_f32 v3, v3, v243 :: v_dual_add_f32 v2, v2, v4
	s_delay_alu instid0(VALU_DEP_3) | instskip(NEXT) | instid1(VALU_DEP_2)
	v_fma_f32 v4, v222, v30, -v5
	v_dual_add_f32 v3, v3, v244 :: v_dual_add_f32 v2, v2, v6
	s_delay_alu instid0(VALU_DEP_1) | instskip(SKIP_1) | instid1(VALU_DEP_1)
	v_dual_add_f32 v3, v3, v245 :: v_dual_add_f32 v2, v2, v4
	s_wait_loadcnt 0x0
	v_dual_sub_f32 v3, v160, v3 :: v_dual_sub_f32 v2, v159, v2
	scratch_store_b64 off, v[2:3], off offset:312
	v_cmpx_lt_u32_e32 38, v0
	s_cbranch_execz .LBB126_315
; %bb.314:
	scratch_load_b64 v[3:4], off, off offset:304
	v_mov_b32_e32 v2, v1
	scratch_store_b64 off, v[1:2], off offset:304
	s_wait_loadcnt 0x0
	ds_store_b64 v161, v[3:4]
.LBB126_315:
	s_wait_alu 0xfffe
	s_or_b32 exec_lo, exec_lo, s0
	s_wait_storecnt_dscnt 0x0
	s_barrier_signal -1
	s_barrier_wait -1
	global_inv scope:SCOPE_SE
	s_clause 0xc
	scratch_load_b128 v[2:5], off, off offset:312
	scratch_load_b128 v[6:9], off, off offset:328
	;; [unrolled: 1-line block ×12, first 2 shown]
	scratch_load_b64 v[30:31], off, off offset:304
	ds_load_2addr_b64 v[182:185], v1 offset0:103 offset1:104
	ds_load_2addr_b64 v[186:189], v1 offset0:105 offset1:106
	;; [unrolled: 1-line block ×12, first 2 shown]
	s_mov_b32 s0, exec_lo
	s_wait_loadcnt_dscnt 0xc0b
	v_dual_mul_f32 v1, v182, v3 :: v_dual_mul_f32 v32, v184, v5
	v_mul_f32_e32 v3, v183, v3
	v_mul_f32_e32 v5, v185, v5
	s_wait_loadcnt_dscnt 0xb0a
	v_dual_mul_f32 v159, v186, v7 :: v_dual_mul_f32 v160, v188, v9
	v_fmac_f32_e32 v32, v185, v4
	v_fma_f32 v3, v182, v2, -v3
	s_wait_loadcnt_dscnt 0xa09
	v_dual_mul_f32 v230, v190, v11 :: v_dual_mul_f32 v231, v192, v13
	v_dual_fmac_f32 v1, v183, v2 :: v_dual_fmac_f32 v160, v189, v8
	v_mul_f32_e32 v2, v187, v7
	v_fma_f32 v4, v184, v4, -v5
	s_delay_alu instid0(VALU_DEP_4) | instskip(NEXT) | instid1(VALU_DEP_4)
	v_dual_add_f32 v3, 0, v3 :: v_dual_fmac_f32 v230, v191, v10
	v_add_f32_e32 v1, 0, v1
	s_delay_alu instid0(VALU_DEP_4) | instskip(SKIP_4) | instid1(VALU_DEP_3)
	v_fma_f32 v2, v186, v6, -v2
	s_wait_loadcnt_dscnt 0x908
	v_dual_mul_f32 v232, v194, v15 :: v_dual_mul_f32 v233, v196, v17
	v_add_f32_e32 v3, v3, v4
	v_dual_mul_f32 v5, v189, v9 :: v_dual_mul_f32 v4, v191, v11
	v_dual_add_f32 v1, v1, v32 :: v_dual_fmac_f32 v232, v195, v14
	s_delay_alu instid0(VALU_DEP_3) | instskip(NEXT) | instid1(VALU_DEP_3)
	v_add_f32_e32 v2, v3, v2
	v_fma_f32 v5, v188, v8, -v5
	v_fmac_f32_e32 v159, v187, v6
	v_fma_f32 v4, v190, v10, -v4
	s_wait_loadcnt_dscnt 0x807
	v_dual_mul_f32 v234, v198, v19 :: v_dual_mul_f32 v235, v200, v21
	s_delay_alu instid0(VALU_DEP_3) | instskip(NEXT) | instid1(VALU_DEP_2)
	v_dual_add_f32 v2, v2, v5 :: v_dual_add_f32 v1, v1, v159
	v_dual_mul_f32 v3, v193, v13 :: v_dual_fmac_f32 v234, v199, v18
	s_wait_loadcnt_dscnt 0x706
	v_dual_mul_f32 v236, v202, v23 :: v_dual_mul_f32 v237, v204, v25
	s_delay_alu instid0(VALU_DEP_3)
	v_add_f32_e32 v2, v2, v4
	v_mul_f32_e32 v4, v197, v17
	v_fma_f32 v3, v192, v12, -v3
	s_wait_loadcnt_dscnt 0x504
	v_dual_add_f32 v1, v1, v160 :: v_dual_mul_f32 v240, v210, v163
	v_mul_f32_e32 v241, v212, v165
	v_fma_f32 v4, v196, v16, -v4
	v_mul_f32_e32 v5, v195, v15
	s_delay_alu instid0(VALU_DEP_4) | instskip(SKIP_1) | instid1(VALU_DEP_3)
	v_dual_add_f32 v2, v2, v3 :: v_dual_add_f32 v1, v1, v230
	v_dual_mul_f32 v238, v206, v27 :: v_dual_mul_f32 v239, v208, v29
	v_fma_f32 v5, v194, v14, -v5
	v_dual_fmac_f32 v231, v193, v12 :: v_dual_fmac_f32 v236, v203, v22
	s_delay_alu instid0(VALU_DEP_3)
	v_fmac_f32_e32 v238, v207, v26
	s_wait_loadcnt_dscnt 0x201
	v_dual_mul_f32 v246, v222, v175 :: v_dual_mul_f32 v247, v224, v177
	v_add_f32_e32 v2, v2, v5
	v_dual_mul_f32 v242, v214, v167 :: v_dual_mul_f32 v243, v216, v169
	v_dual_fmac_f32 v237, v205, v24 :: v_dual_mul_f32 v244, v218, v171
	s_delay_alu instid0(VALU_DEP_3) | instskip(SKIP_2) | instid1(VALU_DEP_4)
	v_dual_mul_f32 v245, v220, v173 :: v_dual_add_f32 v2, v2, v4
	v_mul_f32_e32 v4, v203, v23
	v_add_f32_e32 v1, v1, v231
	v_dual_fmac_f32 v239, v209, v28 :: v_dual_fmac_f32 v244, v219, v170
	v_fmac_f32_e32 v240, v211, v162
	s_delay_alu instid0(VALU_DEP_4)
	v_fma_f32 v4, v202, v22, -v4
	v_mul_f32_e32 v5, v201, v21
	v_add_f32_e32 v1, v1, v232
	s_wait_loadcnt_dscnt 0x100
	v_dual_fmac_f32 v241, v213, v164 :: v_dual_mul_f32 v248, v226, v179
	v_mul_f32_e32 v249, v228, v181
	v_fma_f32 v5, v200, v20, -v5
	v_mul_f32_e32 v3, v199, v19
	v_dual_fmac_f32 v247, v225, v176 :: v_dual_fmac_f32 v246, v223, v174
	s_delay_alu instid0(VALU_DEP_4) | instskip(NEXT) | instid1(VALU_DEP_3)
	v_dual_fmac_f32 v249, v229, v180 :: v_dual_fmac_f32 v242, v215, v166
	v_fma_f32 v3, v198, v18, -v3
	v_dual_fmac_f32 v233, v197, v16 :: v_dual_fmac_f32 v248, v227, v178
	s_delay_alu instid0(VALU_DEP_2) | instskip(NEXT) | instid1(VALU_DEP_1)
	v_dual_add_f32 v2, v2, v3 :: v_dual_mul_f32 v3, v205, v25
	v_dual_add_f32 v2, v2, v5 :: v_dual_mul_f32 v5, v207, v27
	s_delay_alu instid0(VALU_DEP_2) | instskip(NEXT) | instid1(VALU_DEP_2)
	v_fma_f32 v3, v204, v24, -v3
	v_dual_add_f32 v2, v2, v4 :: v_dual_add_f32 v1, v1, v233
	v_mul_f32_e32 v4, v209, v29
	s_delay_alu instid0(VALU_DEP_4) | instskip(NEXT) | instid1(VALU_DEP_3)
	v_fma_f32 v5, v206, v26, -v5
	v_dual_add_f32 v2, v2, v3 :: v_dual_fmac_f32 v235, v201, v20
	s_delay_alu instid0(VALU_DEP_3) | instskip(NEXT) | instid1(VALU_DEP_2)
	v_fma_f32 v4, v208, v28, -v4
	v_add_f32_e32 v2, v2, v5
	v_mul_f32_e32 v5, v213, v165
	s_delay_alu instid0(VALU_DEP_2) | instskip(NEXT) | instid1(VALU_DEP_2)
	v_dual_add_f32 v1, v1, v234 :: v_dual_add_f32 v2, v2, v4
	v_fma_f32 v5, v212, v164, -v5
	v_mul_f32_e32 v3, v211, v163
	s_delay_alu instid0(VALU_DEP_3) | instskip(SKIP_1) | instid1(VALU_DEP_3)
	v_add_f32_e32 v1, v1, v235
	v_mul_f32_e32 v4, v215, v167
	v_fma_f32 v3, v210, v162, -v3
	s_delay_alu instid0(VALU_DEP_3) | instskip(NEXT) | instid1(VALU_DEP_3)
	v_add_f32_e32 v1, v1, v236
	v_fma_f32 v4, v214, v166, -v4
	s_delay_alu instid0(VALU_DEP_3) | instskip(NEXT) | instid1(VALU_DEP_1)
	v_add_f32_e32 v2, v2, v3
	v_add_f32_e32 v2, v2, v5
	s_delay_alu instid0(VALU_DEP_4) | instskip(NEXT) | instid1(VALU_DEP_2)
	v_add_f32_e32 v1, v1, v237
	v_dual_mul_f32 v5, v219, v171 :: v_dual_add_f32 v2, v2, v4
	v_mul_f32_e32 v4, v221, v173
	s_delay_alu instid0(VALU_DEP_2) | instskip(NEXT) | instid1(VALU_DEP_2)
	v_fma_f32 v5, v218, v170, -v5
	v_fma_f32 v4, v220, v172, -v4
	v_mul_f32_e32 v3, v217, v169
	s_delay_alu instid0(VALU_DEP_1) | instskip(NEXT) | instid1(VALU_DEP_1)
	v_fma_f32 v3, v216, v168, -v3
	v_dual_add_f32 v1, v1, v238 :: v_dual_add_f32 v2, v2, v3
	s_delay_alu instid0(VALU_DEP_1) | instskip(NEXT) | instid1(VALU_DEP_2)
	v_add_f32_e32 v1, v1, v239
	v_dual_mul_f32 v3, v223, v175 :: v_dual_add_f32 v2, v2, v5
	v_mul_f32_e32 v5, v225, v177
	s_delay_alu instid0(VALU_DEP_2) | instskip(NEXT) | instid1(VALU_DEP_3)
	v_fma_f32 v3, v222, v174, -v3
	v_add_f32_e32 v2, v2, v4
	v_dual_add_f32 v1, v1, v240 :: v_dual_mul_f32 v4, v227, v179
	s_delay_alu instid0(VALU_DEP_4) | instskip(NEXT) | instid1(VALU_DEP_2)
	v_fma_f32 v5, v224, v176, -v5
	v_dual_add_f32 v2, v2, v3 :: v_dual_add_f32 v1, v1, v241
	v_fmac_f32_e32 v243, v217, v168
	s_delay_alu instid0(VALU_DEP_4) | instskip(SKIP_1) | instid1(VALU_DEP_4)
	v_fma_f32 v4, v226, v178, -v4
	v_mul_f32_e32 v3, v229, v181
	v_dual_add_f32 v2, v2, v5 :: v_dual_add_f32 v1, v1, v242
	s_delay_alu instid0(VALU_DEP_2) | instskip(NEXT) | instid1(VALU_DEP_2)
	v_fma_f32 v3, v228, v180, -v3
	v_dual_add_f32 v2, v2, v4 :: v_dual_add_f32 v1, v1, v243
	s_delay_alu instid0(VALU_DEP_1) | instskip(NEXT) | instid1(VALU_DEP_2)
	v_dual_fmac_f32 v245, v221, v172 :: v_dual_add_f32 v2, v2, v3
	v_add_f32_e32 v1, v1, v244
	s_delay_alu instid0(VALU_DEP_1) | instskip(NEXT) | instid1(VALU_DEP_1)
	v_add_f32_e32 v1, v1, v245
	v_add_f32_e32 v1, v1, v246
	s_delay_alu instid0(VALU_DEP_1) | instskip(NEXT) | instid1(VALU_DEP_1)
	v_add_f32_e32 v1, v1, v247
	v_add_f32_e32 v1, v1, v248
	s_delay_alu instid0(VALU_DEP_1) | instskip(SKIP_1) | instid1(VALU_DEP_1)
	v_add_f32_e32 v3, v1, v249
	s_wait_loadcnt 0x0
	v_dual_sub_f32 v1, v30, v2 :: v_dual_sub_f32 v2, v31, v3
	scratch_store_b64 off, v[1:2], off offset:304
	v_cmpx_lt_u32_e32 37, v0
	s_cbranch_execz .LBB126_317
; %bb.316:
	scratch_load_b64 v[1:2], off, off offset:296
	v_mov_b32_e32 v3, 0
	s_delay_alu instid0(VALU_DEP_1)
	v_mov_b32_e32 v4, v3
	scratch_store_b64 off, v[3:4], off offset:296
	s_wait_loadcnt 0x0
	ds_store_b64 v161, v[1:2]
.LBB126_317:
	s_wait_alu 0xfffe
	s_or_b32 exec_lo, exec_lo, s0
	s_wait_storecnt_dscnt 0x0
	s_barrier_signal -1
	s_barrier_wait -1
	global_inv scope:SCOPE_SE
	s_clause 0x4
	scratch_load_b128 v[2:5], off, off offset:304
	scratch_load_b128 v[6:9], off, off offset:320
	;; [unrolled: 1-line block ×5, first 2 shown]
	v_mov_b32_e32 v1, 0
	ds_load_b128 v[22:25], v1 offset:816
	ds_load_b128 v[26:29], v1 offset:832
	;; [unrolled: 1-line block ×3, first 2 shown]
	scratch_load_b64 v[30:31], off, off offset:296
	s_mov_b32 s0, exec_lo
	s_wait_loadcnt_dscnt 0x502
	v_mul_f32_e32 v32, v23, v3
	v_dual_mul_f32 v159, v22, v3 :: v_dual_mul_f32 v160, v24, v5
	v_mul_f32_e32 v3, v25, v5
	s_wait_loadcnt_dscnt 0x300
	v_mul_f32_e32 v166, v164, v13
	v_fma_f32 v22, v22, v2, -v32
	v_dual_fmac_f32 v159, v23, v2 :: v_dual_fmac_f32 v160, v25, v4
	v_fma_f32 v23, v24, v4, -v3
	ds_load_b128 v[2:5], v1 offset:864
	v_mul_f32_e32 v24, v26, v7
	v_mul_f32_e32 v7, v27, v7
	v_dual_mul_f32 v25, v28, v9 :: v_dual_mul_f32 v32, v162, v11
	s_delay_alu instid0(VALU_DEP_3) | instskip(SKIP_2) | instid1(VALU_DEP_4)
	v_dual_mul_f32 v9, v29, v9 :: v_dual_fmac_f32 v24, v27, v6
	v_dual_mul_f32 v11, v163, v11 :: v_dual_fmac_f32 v166, v165, v12
	v_mul_f32_e32 v13, v165, v13
	v_dual_fmac_f32 v25, v29, v8 :: v_dual_fmac_f32 v32, v163, v10
	s_delay_alu instid0(VALU_DEP_4) | instskip(NEXT) | instid1(VALU_DEP_4)
	v_fma_f32 v27, v28, v8, -v9
	v_fma_f32 v28, v162, v10, -v11
	s_delay_alu instid0(VALU_DEP_4)
	v_fma_f32 v29, v164, v12, -v13
	ds_load_b128 v[10:13], v1 offset:880
	v_fma_f32 v26, v26, v6, -v7
	scratch_load_b128 v[6:9], off, off offset:384
	s_wait_loadcnt_dscnt 0x301
	v_mul_f32_e32 v162, v2, v15
	v_mul_f32_e32 v15, v3, v15
	v_mul_f32_e32 v163, v4, v17
	s_delay_alu instid0(VALU_DEP_3) | instskip(NEXT) | instid1(VALU_DEP_3)
	v_dual_mul_f32 v17, v5, v17 :: v_dual_fmac_f32 v162, v3, v14
	v_fma_f32 v14, v2, v14, -v15
	s_wait_loadcnt_dscnt 0x200
	s_delay_alu instid0(VALU_DEP_3) | instskip(NEXT) | instid1(VALU_DEP_3)
	v_dual_fmac_f32 v163, v5, v16 :: v_dual_mul_f32 v164, v10, v19
	v_fma_f32 v15, v4, v16, -v17
	v_dual_mul_f32 v16, v11, v19 :: v_dual_mul_f32 v19, v12, v21
	s_delay_alu instid0(VALU_DEP_3)
	v_dual_mul_f32 v17, v13, v21 :: v_dual_fmac_f32 v164, v11, v18
	ds_load_b128 v[2:5], v1 offset:896
	v_fma_f32 v18, v10, v18, -v16
	v_fmac_f32_e32 v19, v13, v20
	v_fma_f32 v20, v12, v20, -v17
	scratch_load_b128 v[10:13], off, off offset:400
	s_wait_loadcnt_dscnt 0x100
	v_mul_f32_e32 v21, v2, v7
	v_mul_f32_e32 v7, v3, v7
	;; [unrolled: 1-line block ×4, first 2 shown]
	s_delay_alu instid0(VALU_DEP_4) | instskip(NEXT) | instid1(VALU_DEP_4)
	v_fmac_f32_e32 v21, v3, v6
	v_fma_f32 v167, v2, v6, -v7
	s_delay_alu instid0(VALU_DEP_4) | instskip(NEXT) | instid1(VALU_DEP_4)
	v_fmac_f32_e32 v165, v5, v8
	v_fma_f32 v168, v4, v8, -v9
	ds_load_b128 v[2:5], v1 offset:912
	ds_load_b128 v[6:9], v1 offset:928
	s_wait_loadcnt_dscnt 0x1
	v_mul_f32_e32 v169, v2, v11
	v_dual_mul_f32 v11, v3, v11 :: v_dual_mul_f32 v170, v4, v13
	s_delay_alu instid0(VALU_DEP_2) | instskip(NEXT) | instid1(VALU_DEP_2)
	v_fmac_f32_e32 v169, v3, v10
	v_fma_f32 v171, v2, v10, -v11
	v_mul_f32_e32 v2, v5, v13
	s_delay_alu instid0(VALU_DEP_4) | instskip(NEXT) | instid1(VALU_DEP_2)
	v_fmac_f32_e32 v170, v5, v12
	v_fma_f32 v172, v4, v12, -v2
	s_clause 0x1
	scratch_load_b128 v[2:5], off, off offset:416
	scratch_load_b128 v[10:13], off, off offset:432
	s_wait_loadcnt_dscnt 0x100
	v_mul_f32_e32 v173, v6, v3
	v_mul_f32_e32 v3, v7, v3
	s_delay_alu instid0(VALU_DEP_2) | instskip(NEXT) | instid1(VALU_DEP_2)
	v_fmac_f32_e32 v173, v7, v2
	v_fma_f32 v174, v6, v2, -v3
	v_dual_mul_f32 v2, v9, v5 :: v_dual_add_f32 v7, 0, v159
	s_delay_alu instid0(VALU_DEP_1) | instskip(SKIP_1) | instid1(VALU_DEP_1)
	v_fma_f32 v176, v8, v4, -v2
	v_add_f32_e32 v2, 0, v22
	v_add_f32_e32 v6, v2, v23
	s_delay_alu instid0(VALU_DEP_1) | instskip(NEXT) | instid1(VALU_DEP_1)
	v_add_f32_e32 v6, v6, v26
	v_add_f32_e32 v16, v6, v27
	scratch_load_b64 v[26:27], off, off offset:496
	v_add_f32_e32 v16, v16, v28
	s_delay_alu instid0(VALU_DEP_1) | instskip(NEXT) | instid1(VALU_DEP_1)
	v_add_f32_e32 v16, v16, v29
	v_add_f32_e32 v14, v16, v14
	s_delay_alu instid0(VALU_DEP_1) | instskip(NEXT) | instid1(VALU_DEP_1)
	v_add_f32_e32 v23, v14, v15
	v_dual_mul_f32 v175, v8, v5 :: v_dual_add_f32 v18, v23, v18
	s_delay_alu instid0(VALU_DEP_1) | instskip(NEXT) | instid1(VALU_DEP_2)
	v_add_f32_e32 v18, v18, v20
	v_fmac_f32_e32 v175, v9, v4
	ds_load_b128 v[2:5], v1 offset:944
	v_add_f32_e32 v18, v18, v167
	s_delay_alu instid0(VALU_DEP_1) | instskip(NEXT) | instid1(VALU_DEP_1)
	v_add_f32_e32 v18, v18, v168
	v_dual_add_f32 v7, v7, v160 :: v_dual_add_f32 v28, v18, v171
	s_delay_alu instid0(VALU_DEP_1) | instskip(NEXT) | instid1(VALU_DEP_1)
	v_add_f32_e32 v7, v7, v24
	v_add_f32_e32 v17, v7, v25
	ds_load_b128 v[6:9], v1 offset:960
	s_wait_loadcnt_dscnt 0x101
	v_dual_add_f32 v17, v17, v32 :: v_dual_mul_f32 v32, v4, v13
	s_delay_alu instid0(VALU_DEP_1) | instskip(NEXT) | instid1(VALU_DEP_2)
	v_add_f32_e32 v17, v17, v166
	v_fmac_f32_e32 v32, v5, v12
	s_delay_alu instid0(VALU_DEP_2) | instskip(SKIP_4) | instid1(VALU_DEP_2)
	v_add_f32_e32 v22, v17, v162
	v_add_f32_e32 v162, v28, v172
	scratch_load_b128 v[14:17], off, off offset:480
	v_add_f32_e32 v22, v22, v163
	v_add_f32_e32 v162, v162, v174
	;; [unrolled: 1-line block ×3, first 2 shown]
	s_delay_alu instid0(VALU_DEP_2) | instskip(NEXT) | instid1(VALU_DEP_2)
	v_add_f32_e32 v162, v162, v176
	v_add_f32_e32 v19, v22, v19
	s_delay_alu instid0(VALU_DEP_1) | instskip(SKIP_2) | instid1(VALU_DEP_3)
	v_add_f32_e32 v19, v19, v21
	v_mul_f32_e32 v159, v2, v11
	v_mul_f32_e32 v11, v3, v11
	v_add_f32_e32 v22, v19, v165
	ds_load_b128 v[18:21], v1 offset:976
	v_fma_f32 v160, v2, v10, -v11
	v_mul_f32_e32 v13, v5, v13
	v_add_f32_e32 v29, v22, v169
	ds_load_b128 v[22:25], v1 offset:992
	v_dual_fmac_f32 v159, v3, v10 :: v_dual_add_f32 v160, v162, v160
	v_fma_f32 v177, v4, v12, -v13
	s_clause 0x1
	scratch_load_b128 v[2:5], off, off offset:448
	scratch_load_b128 v[10:13], off, off offset:464
	v_add_f32_e32 v160, v160, v177
	s_wait_loadcnt_dscnt 0x200
	v_mul_f32_e32 v166, v22, v15
	s_delay_alu instid0(VALU_DEP_1)
	v_fmac_f32_e32 v166, v23, v14
	s_wait_loadcnt 0x1
	v_mul_f32_e32 v164, v6, v3
	v_mul_f32_e32 v3, v7, v3
	s_wait_loadcnt 0x0
	v_dual_mul_f32 v165, v8, v5 :: v_dual_mul_f32 v162, v18, v11
	s_delay_alu instid0(VALU_DEP_3) | instskip(NEXT) | instid1(VALU_DEP_3)
	v_dual_mul_f32 v5, v9, v5 :: v_dual_fmac_f32 v164, v7, v2
	v_fma_f32 v3, v6, v2, -v3
	v_add_f32_e32 v163, v29, v170
	s_delay_alu instid0(VALU_DEP_4) | instskip(NEXT) | instid1(VALU_DEP_4)
	v_dual_fmac_f32 v165, v9, v4 :: v_dual_fmac_f32 v162, v19, v10
	v_fma_f32 v2, v8, v4, -v5
	v_mul_f32_e32 v4, v19, v11
	v_add_f32_e32 v3, v160, v3
	v_mul_f32_e32 v167, v24, v17
	ds_load_b64 v[28:29], v1 offset:1008
	v_mul_f32_e32 v6, v21, v13
	v_fma_f32 v4, v18, v10, -v4
	v_add_f32_e32 v2, v3, v2
	v_add_f32_e32 v163, v163, v173
	v_fmac_f32_e32 v167, v25, v16
	v_fma_f32 v6, v20, v12, -v6
	s_delay_alu instid0(VALU_DEP_3) | instskip(SKIP_1) | instid1(VALU_DEP_2)
	v_dual_add_f32 v2, v2, v4 :: v_dual_add_f32 v163, v163, v175
	v_mul_f32_e32 v4, v25, v17
	v_dual_add_f32 v2, v2, v6 :: v_dual_add_f32 v159, v163, v159
	s_delay_alu instid0(VALU_DEP_2) | instskip(NEXT) | instid1(VALU_DEP_2)
	v_fma_f32 v4, v24, v16, -v4
	v_dual_mul_f32 v163, v20, v13 :: v_dual_add_f32 v32, v159, v32
	s_wait_dscnt 0x0
	v_mul_f32_e32 v6, v29, v27
	s_delay_alu instid0(VALU_DEP_2) | instskip(NEXT) | instid1(VALU_DEP_3)
	v_fmac_f32_e32 v163, v21, v12
	v_add_f32_e32 v5, v32, v164
	s_delay_alu instid0(VALU_DEP_1) | instskip(SKIP_1) | instid1(VALU_DEP_1)
	v_add_f32_e32 v3, v5, v165
	v_mul_f32_e32 v5, v23, v15
	v_fma_f32 v5, v22, v14, -v5
	s_delay_alu instid0(VALU_DEP_1) | instskip(SKIP_1) | instid1(VALU_DEP_2)
	v_dual_mul_f32 v159, v28, v27 :: v_dual_add_f32 v2, v2, v5
	v_fma_f32 v5, v28, v26, -v6
	v_dual_fmac_f32 v159, v29, v26 :: v_dual_add_f32 v2, v2, v4
	s_delay_alu instid0(VALU_DEP_1) | instskip(NEXT) | instid1(VALU_DEP_1)
	v_add_f32_e32 v2, v2, v5
	v_sub_f32_e32 v2, v30, v2
	v_add_f32_e32 v3, v3, v162
	s_delay_alu instid0(VALU_DEP_1) | instskip(NEXT) | instid1(VALU_DEP_1)
	v_add_f32_e32 v3, v3, v163
	v_add_f32_e32 v3, v3, v166
	s_delay_alu instid0(VALU_DEP_1) | instskip(NEXT) | instid1(VALU_DEP_1)
	v_add_f32_e32 v3, v3, v167
	v_add_f32_e32 v3, v3, v159
	s_delay_alu instid0(VALU_DEP_1)
	v_sub_f32_e32 v3, v31, v3
	scratch_store_b64 off, v[2:3], off offset:296
	v_cmpx_lt_u32_e32 36, v0
	s_cbranch_execz .LBB126_319
; %bb.318:
	scratch_load_b64 v[3:4], off, off offset:288
	v_mov_b32_e32 v2, v1
	scratch_store_b64 off, v[1:2], off offset:288
	s_wait_loadcnt 0x0
	ds_store_b64 v161, v[3:4]
.LBB126_319:
	s_wait_alu 0xfffe
	s_or_b32 exec_lo, exec_lo, s0
	s_wait_storecnt_dscnt 0x0
	s_barrier_signal -1
	s_barrier_wait -1
	global_inv scope:SCOPE_SE
	s_clause 0x4
	scratch_load_b128 v[2:5], off, off offset:296
	scratch_load_b128 v[6:9], off, off offset:312
	;; [unrolled: 1-line block ×5, first 2 shown]
	ds_load_2addr_b64 v[22:25], v1 offset0:101 offset1:102
	ds_load_2addr_b64 v[26:29], v1 offset0:103 offset1:104
	;; [unrolled: 1-line block ×3, first 2 shown]
	scratch_load_b64 v[30:31], off, off offset:288
	s_mov_b32 s0, exec_lo
	s_wait_loadcnt_dscnt 0x502
	v_mul_f32_e32 v32, v23, v3
	v_dual_mul_f32 v159, v22, v3 :: v_dual_mul_f32 v160, v24, v5
	v_mul_f32_e32 v3, v25, v5
	s_wait_loadcnt_dscnt 0x300
	v_mul_f32_e32 v166, v164, v13
	v_fma_f32 v22, v22, v2, -v32
	v_dual_fmac_f32 v159, v23, v2 :: v_dual_fmac_f32 v160, v25, v4
	v_fma_f32 v23, v24, v4, -v3
	ds_load_2addr_b64 v[2:5], v1 offset0:107 offset1:108
	v_dual_mul_f32 v24, v26, v7 :: v_dual_mul_f32 v25, v28, v9
	v_mul_f32_e32 v7, v27, v7
	v_dual_mul_f32 v9, v29, v9 :: v_dual_mul_f32 v32, v162, v11
	v_dual_mul_f32 v11, v163, v11 :: v_dual_fmac_f32 v166, v165, v12
	s_delay_alu instid0(VALU_DEP_4) | instskip(SKIP_1) | instid1(VALU_DEP_4)
	v_dual_mul_f32 v13, v165, v13 :: v_dual_fmac_f32 v24, v27, v6
	v_fmac_f32_e32 v25, v29, v8
	v_fma_f32 v27, v28, v8, -v9
	v_fmac_f32_e32 v32, v163, v10
	v_fma_f32 v28, v162, v10, -v11
	v_fma_f32 v29, v164, v12, -v13
	ds_load_2addr_b64 v[10:13], v1 offset0:109 offset1:110
	v_fma_f32 v26, v26, v6, -v7
	scratch_load_b128 v[6:9], off, off offset:376
	s_wait_loadcnt_dscnt 0x301
	v_dual_mul_f32 v162, v2, v15 :: v_dual_mul_f32 v163, v4, v17
	v_mul_f32_e32 v15, v3, v15
	s_delay_alu instid0(VALU_DEP_2) | instskip(NEXT) | instid1(VALU_DEP_3)
	v_dual_mul_f32 v17, v5, v17 :: v_dual_fmac_f32 v162, v3, v14
	v_fmac_f32_e32 v163, v5, v16
	s_delay_alu instid0(VALU_DEP_2)
	v_fma_f32 v165, v4, v16, -v17
	s_wait_loadcnt_dscnt 0x200
	v_mul_f32_e32 v168, v12, v21
	v_fma_f32 v164, v2, v14, -v15
	v_mul_f32_e32 v167, v10, v19
	v_dual_mul_f32 v14, v11, v19 :: v_dual_mul_f32 v15, v13, v21
	ds_load_2addr_b64 v[2:5], v1 offset0:111 offset1:112
	v_dual_fmac_f32 v168, v13, v20 :: v_dual_fmac_f32 v167, v11, v18
	v_fma_f32 v18, v10, v18, -v14
	v_fma_f32 v19, v12, v20, -v15
	scratch_load_b128 v[10:13], off, off offset:392
	s_wait_loadcnt_dscnt 0x100
	v_dual_mul_f32 v170, v4, v9 :: v_dual_mul_f32 v169, v2, v7
	v_mul_f32_e32 v7, v3, v7
	v_mul_f32_e32 v9, v5, v9
	s_delay_alu instid0(VALU_DEP_3) | instskip(NEXT) | instid1(VALU_DEP_3)
	v_dual_fmac_f32 v170, v5, v8 :: v_dual_fmac_f32 v169, v3, v6
	v_fma_f32 v171, v2, v6, -v7
	s_delay_alu instid0(VALU_DEP_3)
	v_fma_f32 v172, v4, v8, -v9
	ds_load_2addr_b64 v[2:5], v1 offset0:113 offset1:114
	ds_load_2addr_b64 v[6:9], v1 offset0:115 offset1:116
	s_wait_loadcnt_dscnt 0x1
	v_mul_f32_e32 v173, v2, v11
	v_dual_mul_f32 v11, v3, v11 :: v_dual_mul_f32 v174, v4, v13
	s_delay_alu instid0(VALU_DEP_1) | instskip(NEXT) | instid1(VALU_DEP_3)
	v_fma_f32 v175, v2, v10, -v11
	v_dual_mul_f32 v2, v5, v13 :: v_dual_fmac_f32 v173, v3, v10
	s_delay_alu instid0(VALU_DEP_3) | instskip(NEXT) | instid1(VALU_DEP_2)
	v_fmac_f32_e32 v174, v5, v12
	v_fma_f32 v176, v4, v12, -v2
	s_clause 0x1
	scratch_load_b128 v[2:5], off, off offset:408
	scratch_load_b128 v[10:13], off, off offset:424
	s_wait_loadcnt_dscnt 0x100
	v_mul_f32_e32 v177, v6, v3
	v_mul_f32_e32 v3, v7, v3
	;; [unrolled: 1-line block ×3, first 2 shown]
	s_delay_alu instid0(VALU_DEP_2) | instskip(SKIP_1) | instid1(VALU_DEP_1)
	v_fma_f32 v178, v6, v2, -v3
	v_add_f32_e32 v3, 0, v159
	v_add_f32_e32 v6, v3, v160
	s_delay_alu instid0(VALU_DEP_1) | instskip(SKIP_1) | instid1(VALU_DEP_2)
	v_dual_add_f32 v14, v6, v24 :: v_dual_fmac_f32 v177, v7, v2
	v_mul_f32_e32 v2, v9, v5
	v_add_f32_e32 v14, v14, v25
	s_delay_alu instid0(VALU_DEP_2) | instskip(SKIP_1) | instid1(VALU_DEP_3)
	v_fma_f32 v180, v8, v4, -v2
	v_add_f32_e32 v2, 0, v22
	v_add_f32_e32 v14, v14, v32
	s_delay_alu instid0(VALU_DEP_2) | instskip(NEXT) | instid1(VALU_DEP_2)
	v_add_f32_e32 v2, v2, v23
	v_add_f32_e32 v21, v14, v166
	s_delay_alu instid0(VALU_DEP_2) | instskip(NEXT) | instid1(VALU_DEP_2)
	;; [unrolled: 3-line block ×3, first 2 shown]
	v_add_f32_e32 v15, v7, v27
	v_add_f32_e32 v21, v21, v163
	s_delay_alu instid0(VALU_DEP_1)
	v_dual_add_f32 v15, v15, v28 :: v_dual_add_f32 v22, v21, v167
	v_fmac_f32_e32 v179, v9, v4
	scratch_load_b128 v[6:9], off, off offset:440
	ds_load_2addr_b64 v[2:5], v1 offset0:117 offset1:118
	v_add_f32_e32 v20, v15, v29
	ds_load_2addr_b64 v[14:17], v1 offset0:119 offset1:120
	v_add_f32_e32 v22, v22, v168
	v_add_f32_e32 v20, v20, v164
	s_delay_alu instid0(VALU_DEP_2) | instskip(NEXT) | instid1(VALU_DEP_2)
	v_add_f32_e32 v22, v22, v169
	v_add_f32_e32 v20, v20, v165
	s_delay_alu instid0(VALU_DEP_1) | instskip(SKIP_4) | instid1(VALU_DEP_3)
	v_add_f32_e32 v18, v20, v18
	s_wait_loadcnt_dscnt 0x101
	v_mul_f32_e32 v26, v2, v11
	v_mul_f32_e32 v11, v3, v11
	;; [unrolled: 1-line block ×3, first 2 shown]
	v_dual_mul_f32 v13, v5, v13 :: v_dual_fmac_f32 v26, v3, v10
	s_delay_alu instid0(VALU_DEP_3) | instskip(NEXT) | instid1(VALU_DEP_3)
	v_fma_f32 v28, v2, v10, -v11
	v_fmac_f32_e32 v27, v5, v12
	s_delay_alu instid0(VALU_DEP_3)
	v_fma_f32 v29, v4, v12, -v13
	s_clause 0x1
	scratch_load_b128 v[2:5], off, off offset:456
	scratch_load_b128 v[10:13], off, off offset:472
	v_add_f32_e32 v23, v18, v19
	scratch_load_b128 v[18:21], off, off offset:488
	s_wait_loadcnt_dscnt 0x300
	v_dual_mul_f32 v32, v14, v7 :: v_dual_mul_f32 v159, v16, v9
	s_delay_alu instid0(VALU_DEP_1) | instskip(SKIP_1) | instid1(VALU_DEP_3)
	v_dual_mul_f32 v9, v17, v9 :: v_dual_fmac_f32 v32, v15, v6
	v_mul_f32_e32 v7, v15, v7
	v_fmac_f32_e32 v159, v17, v8
	s_delay_alu instid0(VALU_DEP_3) | instskip(NEXT) | instid1(VALU_DEP_3)
	v_fma_f32 v162, v16, v8, -v9
	v_fma_f32 v160, v14, v6, -v7
	ds_load_2addr_b64 v[6:9], v1 offset0:121 offset1:122
	v_dual_add_f32 v23, v23, v171 :: v_dual_add_f32 v14, v22, v170
	s_delay_alu instid0(VALU_DEP_1) | instskip(NEXT) | instid1(VALU_DEP_1)
	v_add_f32_e32 v23, v23, v172
	v_dual_add_f32 v22, v23, v175 :: v_dual_add_f32 v23, v14, v173
	ds_load_2addr_b64 v[14:17], v1 offset0:123 offset1:124
	v_dual_add_f32 v163, v22, v176 :: v_dual_add_f32 v164, v23, v174
	ds_load_2addr_b64 v[22:25], v1 offset0:125 offset1:126
	v_add_f32_e32 v1, v163, v178
	s_wait_loadcnt_dscnt 0x202
	v_dual_add_f32 v163, v164, v177 :: v_dual_mul_f32 v164, v6, v3
	v_mul_f32_e32 v3, v7, v3
	s_delay_alu instid0(VALU_DEP_2) | instskip(NEXT) | instid1(VALU_DEP_3)
	v_fmac_f32_e32 v164, v7, v2
	v_add_f32_e32 v163, v163, v179
	s_delay_alu instid0(VALU_DEP_3) | instskip(SKIP_2) | instid1(VALU_DEP_3)
	v_fma_f32 v3, v6, v2, -v3
	s_wait_loadcnt_dscnt 0x101
	v_mul_f32_e32 v6, v15, v11
	v_dual_add_f32 v26, v163, v26 :: v_dual_mul_f32 v163, v14, v11
	s_delay_alu instid0(VALU_DEP_1) | instskip(SKIP_2) | instid1(VALU_DEP_1)
	v_dual_add_f32 v26, v26, v27 :: v_dual_fmac_f32 v163, v15, v10
	s_wait_loadcnt_dscnt 0x0
	v_mul_f32_e32 v27, v22, v19
	v_dual_add_f32 v26, v26, v32 :: v_dual_fmac_f32 v27, v23, v18
	s_delay_alu instid0(VALU_DEP_1) | instskip(NEXT) | instid1(VALU_DEP_1)
	v_dual_add_f32 v2, v26, v159 :: v_dual_add_f32 v1, v1, v180
	v_dual_add_f32 v2, v2, v164 :: v_dual_mul_f32 v165, v16, v13
	s_delay_alu instid0(VALU_DEP_1) | instskip(NEXT) | instid1(VALU_DEP_3)
	v_fmac_f32_e32 v165, v17, v12
	v_dual_add_f32 v1, v1, v28 :: v_dual_mul_f32 v28, v8, v5
	v_mul_f32_e32 v5, v9, v5
	s_delay_alu instid0(VALU_DEP_2) | instskip(NEXT) | instid1(VALU_DEP_2)
	v_fmac_f32_e32 v28, v9, v4
	v_fma_f32 v4, v8, v4, -v5
	v_fma_f32 v5, v14, v10, -v6
	s_delay_alu instid0(VALU_DEP_3) | instskip(NEXT) | instid1(VALU_DEP_1)
	v_add_f32_e32 v2, v2, v28
	v_add_f32_e32 v2, v2, v163
	s_delay_alu instid0(VALU_DEP_1) | instskip(SKIP_1) | instid1(VALU_DEP_2)
	v_add_f32_e32 v2, v2, v165
	v_add_f32_e32 v1, v1, v29
	v_dual_mul_f32 v29, v24, v21 :: v_dual_add_f32 v2, v2, v27
	s_delay_alu instid0(VALU_DEP_2) | instskip(NEXT) | instid1(VALU_DEP_2)
	v_add_f32_e32 v1, v1, v160
	v_fmac_f32_e32 v29, v25, v20
	s_delay_alu instid0(VALU_DEP_1) | instskip(NEXT) | instid1(VALU_DEP_1)
	v_dual_add_f32 v1, v1, v162 :: v_dual_add_f32 v2, v2, v29
	v_add_f32_e32 v1, v1, v3
	s_delay_alu instid0(VALU_DEP_2) | instskip(NEXT) | instid1(VALU_DEP_2)
	v_dual_mul_f32 v3, v17, v13 :: v_dual_sub_f32 v2, v31, v2
	v_dual_add_f32 v1, v1, v4 :: v_dual_mul_f32 v4, v23, v19
	s_delay_alu instid0(VALU_DEP_2) | instskip(NEXT) | instid1(VALU_DEP_2)
	v_fma_f32 v3, v16, v12, -v3
	v_add_f32_e32 v1, v1, v5
	v_mul_f32_e32 v5, v25, v21
	s_delay_alu instid0(VALU_DEP_4) | instskip(NEXT) | instid1(VALU_DEP_3)
	v_fma_f32 v4, v22, v18, -v4
	v_add_f32_e32 v1, v1, v3
	s_delay_alu instid0(VALU_DEP_3) | instskip(NEXT) | instid1(VALU_DEP_2)
	v_fma_f32 v3, v24, v20, -v5
	v_add_f32_e32 v1, v1, v4
	s_delay_alu instid0(VALU_DEP_1) | instskip(NEXT) | instid1(VALU_DEP_1)
	v_add_f32_e32 v1, v1, v3
	v_sub_f32_e32 v1, v30, v1
	scratch_store_b64 off, v[1:2], off offset:288
	v_cmpx_lt_u32_e32 35, v0
	s_cbranch_execz .LBB126_321
; %bb.320:
	scratch_load_b64 v[1:2], off, off offset:280
	v_mov_b32_e32 v3, 0
	s_delay_alu instid0(VALU_DEP_1)
	v_mov_b32_e32 v4, v3
	scratch_store_b64 off, v[3:4], off offset:280
	s_wait_loadcnt 0x0
	ds_store_b64 v161, v[1:2]
.LBB126_321:
	s_wait_alu 0xfffe
	s_or_b32 exec_lo, exec_lo, s0
	s_wait_storecnt_dscnt 0x0
	s_barrier_signal -1
	s_barrier_wait -1
	global_inv scope:SCOPE_SE
	s_clause 0x4
	scratch_load_b128 v[2:5], off, off offset:288
	scratch_load_b128 v[6:9], off, off offset:304
	;; [unrolled: 1-line block ×5, first 2 shown]
	v_mov_b32_e32 v1, 0
	ds_load_b128 v[22:25], v1 offset:800
	ds_load_b128 v[26:29], v1 offset:816
	;; [unrolled: 1-line block ×3, first 2 shown]
	scratch_load_b64 v[30:31], off, off offset:280
	s_mov_b32 s0, exec_lo
	s_wait_loadcnt_dscnt 0x502
	v_mul_f32_e32 v32, v23, v3
	v_dual_mul_f32 v159, v22, v3 :: v_dual_mul_f32 v160, v24, v5
	v_mul_f32_e32 v3, v25, v5
	s_wait_loadcnt_dscnt 0x300
	v_mul_f32_e32 v166, v164, v13
	v_fma_f32 v22, v22, v2, -v32
	v_dual_fmac_f32 v159, v23, v2 :: v_dual_fmac_f32 v160, v25, v4
	v_fma_f32 v23, v24, v4, -v3
	v_mul_f32_e32 v24, v26, v7
	v_mul_f32_e32 v7, v27, v7
	v_dual_mul_f32 v25, v28, v9 :: v_dual_mul_f32 v32, v162, v11
	s_delay_alu instid0(VALU_DEP_3) | instskip(NEXT) | instid1(VALU_DEP_3)
	v_dual_mul_f32 v9, v29, v9 :: v_dual_fmac_f32 v24, v27, v6
	v_fma_f32 v26, v26, v6, -v7
	s_delay_alu instid0(VALU_DEP_3) | instskip(NEXT) | instid1(VALU_DEP_3)
	v_dual_fmac_f32 v25, v29, v8 :: v_dual_fmac_f32 v32, v163, v10
	v_fma_f32 v27, v28, v8, -v9
	scratch_load_b128 v[6:9], off, off offset:368
	ds_load_b128 v[2:5], v1 offset:848
	v_dual_mul_f32 v11, v163, v11 :: v_dual_fmac_f32 v166, v165, v12
	v_mul_f32_e32 v13, v165, v13
	s_delay_alu instid0(VALU_DEP_2) | instskip(NEXT) | instid1(VALU_DEP_2)
	v_fma_f32 v28, v162, v10, -v11
	v_fma_f32 v29, v164, v12, -v13
	ds_load_b128 v[10:13], v1 offset:864
	s_wait_loadcnt_dscnt 0x301
	v_mul_f32_e32 v162, v2, v15
	v_mul_f32_e32 v15, v3, v15
	;; [unrolled: 1-line block ×3, first 2 shown]
	s_delay_alu instid0(VALU_DEP_3) | instskip(SKIP_1) | instid1(VALU_DEP_2)
	v_dual_mul_f32 v17, v5, v17 :: v_dual_fmac_f32 v162, v3, v14
	s_wait_loadcnt_dscnt 0x200
	v_dual_fmac_f32 v163, v5, v16 :: v_dual_mul_f32 v168, v12, v21
	v_fma_f32 v164, v2, v14, -v15
	v_mul_f32_e32 v14, v11, v19
	v_fma_f32 v165, v4, v16, -v17
	ds_load_b128 v[2:5], v1 offset:880
	v_dual_mul_f32 v167, v10, v19 :: v_dual_fmac_f32 v168, v13, v20
	v_mul_f32_e32 v15, v13, v21
	s_delay_alu instid0(VALU_DEP_1) | instskip(SKIP_1) | instid1(VALU_DEP_3)
	v_fma_f32 v19, v12, v20, -v15
	s_wait_loadcnt_dscnt 0x0
	v_dual_mul_f32 v170, v4, v9 :: v_dual_fmac_f32 v167, v11, v18
	v_fma_f32 v18, v10, v18, -v14
	scratch_load_b128 v[10:13], off, off offset:384
	v_mul_f32_e32 v169, v2, v7
	v_mul_f32_e32 v7, v3, v7
	;; [unrolled: 1-line block ×3, first 2 shown]
	s_delay_alu instid0(VALU_DEP_3) | instskip(NEXT) | instid1(VALU_DEP_3)
	v_dual_fmac_f32 v170, v5, v8 :: v_dual_fmac_f32 v169, v3, v6
	v_fma_f32 v171, v2, v6, -v7
	s_delay_alu instid0(VALU_DEP_3)
	v_fma_f32 v172, v4, v8, -v9
	ds_load_b128 v[2:5], v1 offset:896
	ds_load_b128 v[6:9], v1 offset:912
	s_wait_loadcnt_dscnt 0x1
	v_mul_f32_e32 v173, v2, v11
	v_dual_mul_f32 v11, v3, v11 :: v_dual_mul_f32 v174, v4, v13
	s_delay_alu instid0(VALU_DEP_2) | instskip(NEXT) | instid1(VALU_DEP_2)
	v_fmac_f32_e32 v173, v3, v10
	v_fma_f32 v175, v2, v10, -v11
	v_mul_f32_e32 v2, v5, v13
	s_delay_alu instid0(VALU_DEP_4) | instskip(NEXT) | instid1(VALU_DEP_2)
	v_fmac_f32_e32 v174, v5, v12
	v_fma_f32 v176, v4, v12, -v2
	s_clause 0x1
	scratch_load_b128 v[2:5], off, off offset:400
	scratch_load_b128 v[10:13], off, off offset:416
	s_wait_loadcnt_dscnt 0x100
	v_mul_f32_e32 v177, v6, v3
	v_mul_f32_e32 v3, v7, v3
	;; [unrolled: 1-line block ×3, first 2 shown]
	s_delay_alu instid0(VALU_DEP_2) | instskip(SKIP_1) | instid1(VALU_DEP_1)
	v_fma_f32 v178, v6, v2, -v3
	v_add_f32_e32 v3, 0, v159
	v_add_f32_e32 v6, v3, v160
	s_delay_alu instid0(VALU_DEP_1) | instskip(NEXT) | instid1(VALU_DEP_1)
	v_add_f32_e32 v14, v6, v24
	v_dual_add_f32 v14, v14, v25 :: v_dual_fmac_f32 v177, v7, v2
	v_mul_f32_e32 v2, v9, v5
	s_delay_alu instid0(VALU_DEP_2) | instskip(NEXT) | instid1(VALU_DEP_2)
	v_add_f32_e32 v14, v14, v32
	v_fma_f32 v180, v8, v4, -v2
	v_add_f32_e32 v2, 0, v22
	s_delay_alu instid0(VALU_DEP_3) | instskip(NEXT) | instid1(VALU_DEP_1)
	v_add_f32_e32 v21, v14, v166
	v_dual_add_f32 v2, v2, v23 :: v_dual_add_f32 v21, v21, v162
	s_delay_alu instid0(VALU_DEP_1) | instskip(NEXT) | instid1(VALU_DEP_1)
	v_add_f32_e32 v21, v21, v163
	v_dual_add_f32 v7, v2, v26 :: v_dual_add_f32 v22, v21, v167
	s_delay_alu instid0(VALU_DEP_1) | instskip(SKIP_2) | instid1(VALU_DEP_1)
	v_add_f32_e32 v15, v7, v27
	scratch_load_b64 v[26:27], off, off offset:496
	v_add_f32_e32 v22, v22, v168
	v_dual_add_f32 v15, v15, v28 :: v_dual_add_f32 v22, v22, v169
	s_delay_alu instid0(VALU_DEP_1)
	v_dual_fmac_f32 v179, v9, v4 :: v_dual_add_f32 v20, v15, v29
	scratch_load_b128 v[2:5], off, off offset:432
	ds_load_b128 v[6:9], v1 offset:928
	ds_load_b128 v[14:17], v1 offset:944
	v_add_f32_e32 v22, v22, v170
	v_add_f32_e32 v20, v20, v164
	s_delay_alu instid0(VALU_DEP_1) | instskip(NEXT) | instid1(VALU_DEP_1)
	v_add_f32_e32 v20, v20, v165
	v_add_f32_e32 v18, v20, v18
	s_wait_loadcnt_dscnt 0x201
	v_mul_f32_e32 v32, v6, v11
	v_mul_f32_e32 v11, v7, v11
	;; [unrolled: 1-line block ×3, first 2 shown]
	s_delay_alu instid0(VALU_DEP_3) | instskip(NEXT) | instid1(VALU_DEP_3)
	v_dual_mul_f32 v13, v9, v13 :: v_dual_fmac_f32 v32, v7, v10
	v_fma_f32 v160, v6, v10, -v11
	s_delay_alu instid0(VALU_DEP_3) | instskip(NEXT) | instid1(VALU_DEP_3)
	v_fmac_f32_e32 v159, v9, v12
	v_fma_f32 v162, v8, v12, -v13
	s_clause 0x1
	scratch_load_b128 v[6:9], off, off offset:448
	scratch_load_b128 v[10:13], off, off offset:464
	s_wait_loadcnt_dscnt 0x200
	v_dual_mul_f32 v164, v16, v5 :: v_dual_add_f32 v23, v18, v19
	scratch_load_b128 v[18:21], off, off offset:480
	v_mul_f32_e32 v163, v14, v3
	v_dual_mul_f32 v3, v15, v3 :: v_dual_fmac_f32 v164, v17, v4
	s_delay_alu instid0(VALU_DEP_1) | instskip(SKIP_1) | instid1(VALU_DEP_1)
	v_fma_f32 v165, v14, v2, -v3
	v_add_f32_e32 v14, v22, v173
	v_add_f32_e32 v22, v14, v174
	s_delay_alu instid0(VALU_DEP_1) | instskip(NEXT) | instid1(VALU_DEP_1)
	v_add_f32_e32 v29, v22, v177
	v_dual_fmac_f32 v163, v15, v2 :: v_dual_add_f32 v168, v29, v179
	s_delay_alu instid0(VALU_DEP_1) | instskip(NEXT) | instid1(VALU_DEP_1)
	v_dual_add_f32 v23, v23, v171 :: v_dual_add_f32 v32, v168, v32
	v_add_f32_e32 v23, v23, v172
	s_delay_alu instid0(VALU_DEP_2) | instskip(NEXT) | instid1(VALU_DEP_1)
	v_dual_mul_f32 v5, v17, v5 :: v_dual_add_f32 v32, v32, v159
	v_fma_f32 v166, v16, v4, -v5
	s_delay_alu instid0(VALU_DEP_3)
	v_add_f32_e32 v23, v23, v175
	ds_load_b128 v[2:5], v1 offset:960
	v_dual_add_f32 v32, v32, v163 :: v_dual_add_f32 v15, v23, v176
	ds_load_b128 v[22:25], v1 offset:992
	v_add_f32_e32 v32, v32, v164
	v_add_f32_e32 v28, v15, v178
	ds_load_b128 v[14:17], v1 offset:976
	v_add_f32_e32 v167, v28, v180
	ds_load_b64 v[28:29], v1 offset:1008
	s_wait_loadcnt_dscnt 0x203
	v_dual_add_f32 v160, v167, v160 :: v_dual_mul_f32 v167, v2, v7
	s_delay_alu instid0(VALU_DEP_1) | instskip(NEXT) | instid1(VALU_DEP_1)
	v_dual_mul_f32 v7, v3, v7 :: v_dual_add_f32 v160, v160, v162
	v_fma_f32 v2, v2, v6, -v7
	s_delay_alu instid0(VALU_DEP_2) | instskip(SKIP_2) | instid1(VALU_DEP_2)
	v_add_f32_e32 v160, v160, v165
	s_wait_loadcnt_dscnt 0x101
	v_dual_mul_f32 v162, v14, v11 :: v_dual_mul_f32 v159, v4, v9
	v_dual_mul_f32 v9, v5, v9 :: v_dual_add_f32 v160, v160, v166
	s_wait_dscnt 0x0
	v_mul_f32_e32 v164, v28, v27
	s_delay_alu instid0(VALU_DEP_3) | instskip(NEXT) | instid1(VALU_DEP_3)
	v_fmac_f32_e32 v162, v15, v10
	v_add_f32_e32 v2, v160, v2
	s_wait_loadcnt 0x0
	s_delay_alu instid0(VALU_DEP_3) | instskip(SKIP_4) | instid1(VALU_DEP_4)
	v_dual_fmac_f32 v164, v29, v26 :: v_dual_mul_f32 v165, v22, v19
	v_dual_mul_f32 v166, v24, v21 :: v_dual_fmac_f32 v167, v3, v6
	v_mul_f32_e32 v6, v17, v13
	v_fma_f32 v3, v4, v8, -v9
	v_dual_mul_f32 v4, v15, v11 :: v_dual_mul_f32 v163, v16, v13
	v_fmac_f32_e32 v166, v25, v20
	s_delay_alu instid0(VALU_DEP_4) | instskip(NEXT) | instid1(VALU_DEP_4)
	v_fma_f32 v6, v16, v12, -v6
	v_add_f32_e32 v2, v2, v3
	s_delay_alu instid0(VALU_DEP_4) | instskip(NEXT) | instid1(VALU_DEP_1)
	v_fma_f32 v4, v14, v10, -v4
	v_dual_fmac_f32 v165, v23, v18 :: v_dual_add_f32 v2, v2, v4
	v_fmac_f32_e32 v159, v5, v8
	v_dual_add_f32 v5, v32, v167 :: v_dual_mul_f32 v4, v25, v21
	s_delay_alu instid0(VALU_DEP_3) | instskip(SKIP_1) | instid1(VALU_DEP_3)
	v_add_f32_e32 v2, v2, v6
	v_mul_f32_e32 v6, v29, v27
	v_add_f32_e32 v3, v5, v159
	v_mul_f32_e32 v5, v23, v19
	v_fma_f32 v4, v24, v20, -v4
	s_delay_alu instid0(VALU_DEP_2) | instskip(NEXT) | instid1(VALU_DEP_1)
	v_fma_f32 v5, v22, v18, -v5
	v_dual_add_f32 v2, v2, v5 :: v_dual_add_f32 v3, v3, v162
	v_fma_f32 v5, v28, v26, -v6
	s_delay_alu instid0(VALU_DEP_2) | instskip(NEXT) | instid1(VALU_DEP_1)
	v_add_f32_e32 v2, v2, v4
	v_dual_fmac_f32 v163, v17, v12 :: v_dual_add_f32 v2, v2, v5
	s_delay_alu instid0(VALU_DEP_1) | instskip(NEXT) | instid1(VALU_DEP_1)
	v_dual_add_f32 v3, v3, v163 :: v_dual_sub_f32 v2, v30, v2
	v_add_f32_e32 v3, v3, v165
	s_delay_alu instid0(VALU_DEP_1) | instskip(NEXT) | instid1(VALU_DEP_1)
	v_add_f32_e32 v3, v3, v166
	v_add_f32_e32 v3, v3, v164
	s_delay_alu instid0(VALU_DEP_1)
	v_sub_f32_e32 v3, v31, v3
	scratch_store_b64 off, v[2:3], off offset:280
	v_cmpx_lt_u32_e32 34, v0
	s_cbranch_execz .LBB126_323
; %bb.322:
	scratch_load_b64 v[3:4], off, off offset:272
	v_mov_b32_e32 v2, v1
	scratch_store_b64 off, v[1:2], off offset:272
	s_wait_loadcnt 0x0
	ds_store_b64 v161, v[3:4]
.LBB126_323:
	s_wait_alu 0xfffe
	s_or_b32 exec_lo, exec_lo, s0
	s_wait_storecnt_dscnt 0x0
	s_barrier_signal -1
	s_barrier_wait -1
	global_inv scope:SCOPE_SE
	s_clause 0x4
	scratch_load_b128 v[2:5], off, off offset:280
	scratch_load_b128 v[6:9], off, off offset:296
	;; [unrolled: 1-line block ×5, first 2 shown]
	ds_load_2addr_b64 v[22:25], v1 offset0:99 offset1:100
	ds_load_2addr_b64 v[26:29], v1 offset0:101 offset1:102
	;; [unrolled: 1-line block ×3, first 2 shown]
	scratch_load_b64 v[30:31], off, off offset:272
	s_mov_b32 s0, exec_lo
	s_wait_loadcnt_dscnt 0x502
	v_mul_f32_e32 v32, v23, v3
	v_dual_mul_f32 v159, v22, v3 :: v_dual_mul_f32 v160, v24, v5
	v_mul_f32_e32 v3, v25, v5
	s_wait_loadcnt_dscnt 0x300
	v_mul_f32_e32 v166, v164, v13
	v_fma_f32 v22, v22, v2, -v32
	v_dual_fmac_f32 v159, v23, v2 :: v_dual_fmac_f32 v160, v25, v4
	v_fma_f32 v23, v24, v4, -v3
	ds_load_2addr_b64 v[2:5], v1 offset0:105 offset1:106
	v_dual_mul_f32 v24, v26, v7 :: v_dual_mul_f32 v25, v28, v9
	v_mul_f32_e32 v7, v27, v7
	v_dual_mul_f32 v9, v29, v9 :: v_dual_mul_f32 v32, v162, v11
	v_dual_mul_f32 v11, v163, v11 :: v_dual_fmac_f32 v166, v165, v12
	s_delay_alu instid0(VALU_DEP_4) | instskip(SKIP_1) | instid1(VALU_DEP_4)
	v_dual_mul_f32 v13, v165, v13 :: v_dual_fmac_f32 v24, v27, v6
	v_fmac_f32_e32 v25, v29, v8
	v_fma_f32 v27, v28, v8, -v9
	v_fmac_f32_e32 v32, v163, v10
	v_fma_f32 v28, v162, v10, -v11
	v_fma_f32 v29, v164, v12, -v13
	ds_load_2addr_b64 v[10:13], v1 offset0:107 offset1:108
	v_fma_f32 v26, v26, v6, -v7
	scratch_load_b128 v[6:9], off, off offset:360
	s_wait_loadcnt_dscnt 0x301
	v_dual_mul_f32 v162, v2, v15 :: v_dual_mul_f32 v163, v4, v17
	v_mul_f32_e32 v15, v3, v15
	s_delay_alu instid0(VALU_DEP_2) | instskip(NEXT) | instid1(VALU_DEP_3)
	v_dual_mul_f32 v17, v5, v17 :: v_dual_fmac_f32 v162, v3, v14
	v_fmac_f32_e32 v163, v5, v16
	s_delay_alu instid0(VALU_DEP_3) | instskip(NEXT) | instid1(VALU_DEP_3)
	v_fma_f32 v14, v2, v14, -v15
	v_fma_f32 v15, v4, v16, -v17
	ds_load_2addr_b64 v[2:5], v1 offset0:109 offset1:110
	s_wait_loadcnt_dscnt 0x201
	v_mul_f32_e32 v16, v10, v19
	v_mul_f32_e32 v17, v11, v19
	;; [unrolled: 1-line block ×3, first 2 shown]
	s_delay_alu instid0(VALU_DEP_3) | instskip(NEXT) | instid1(VALU_DEP_3)
	v_dual_mul_f32 v21, v13, v21 :: v_dual_fmac_f32 v16, v11, v18
	v_fma_f32 v17, v10, v18, -v17
	s_delay_alu instid0(VALU_DEP_3) | instskip(NEXT) | instid1(VALU_DEP_3)
	v_fmac_f32_e32 v19, v13, v20
	v_fma_f32 v18, v12, v20, -v21
	scratch_load_b128 v[10:13], off, off offset:376
	s_wait_loadcnt_dscnt 0x100
	v_mul_f32_e32 v20, v2, v7
	v_mul_f32_e32 v7, v3, v7
	;; [unrolled: 1-line block ×3, first 2 shown]
	s_delay_alu instid0(VALU_DEP_3) | instskip(NEXT) | instid1(VALU_DEP_3)
	v_dual_mul_f32 v9, v5, v9 :: v_dual_fmac_f32 v20, v3, v6
	v_fma_f32 v164, v2, v6, -v7
	s_delay_alu instid0(VALU_DEP_3) | instskip(NEXT) | instid1(VALU_DEP_3)
	v_fmac_f32_e32 v21, v5, v8
	v_fma_f32 v165, v4, v8, -v9
	ds_load_2addr_b64 v[2:5], v1 offset0:111 offset1:112
	ds_load_2addr_b64 v[6:9], v1 offset0:113 offset1:114
	s_wait_loadcnt_dscnt 0x1
	v_mul_f32_e32 v167, v2, v11
	v_dual_mul_f32 v11, v3, v11 :: v_dual_mul_f32 v168, v4, v13
	s_delay_alu instid0(VALU_DEP_2) | instskip(NEXT) | instid1(VALU_DEP_2)
	v_fmac_f32_e32 v167, v3, v10
	v_fma_f32 v169, v2, v10, -v11
	v_mul_f32_e32 v2, v5, v13
	s_delay_alu instid0(VALU_DEP_4) | instskip(NEXT) | instid1(VALU_DEP_2)
	v_fmac_f32_e32 v168, v5, v12
	v_fma_f32 v170, v4, v12, -v2
	s_clause 0x1
	scratch_load_b128 v[2:5], off, off offset:392
	scratch_load_b128 v[10:13], off, off offset:408
	s_wait_loadcnt_dscnt 0x100
	v_mul_f32_e32 v171, v6, v3
	v_mul_f32_e32 v3, v7, v3
	;; [unrolled: 1-line block ×3, first 2 shown]
	s_delay_alu instid0(VALU_DEP_3) | instskip(NEXT) | instid1(VALU_DEP_3)
	v_fmac_f32_e32 v171, v7, v2
	v_fma_f32 v172, v6, v2, -v3
	v_mul_f32_e32 v2, v9, v5
	s_delay_alu instid0(VALU_DEP_4) | instskip(NEXT) | instid1(VALU_DEP_2)
	v_fmac_f32_e32 v173, v9, v4
	v_fma_f32 v174, v8, v4, -v2
	ds_load_2addr_b64 v[2:5], v1 offset0:115 offset1:116
	ds_load_2addr_b64 v[6:9], v1 offset0:117 offset1:118
	s_wait_loadcnt_dscnt 0x1
	v_mul_f32_e32 v175, v2, v11
	v_mul_f32_e32 v177, v4, v13
	s_delay_alu instid0(VALU_DEP_2) | instskip(SKIP_1) | instid1(VALU_DEP_3)
	v_fmac_f32_e32 v175, v3, v10
	v_mul_f32_e32 v3, v3, v11
	v_fmac_f32_e32 v177, v5, v12
	s_delay_alu instid0(VALU_DEP_2) | instskip(SKIP_1) | instid1(VALU_DEP_1)
	v_fma_f32 v176, v2, v10, -v3
	v_mul_f32_e32 v2, v5, v13
	v_fma_f32 v178, v4, v12, -v2
	s_clause 0x1
	scratch_load_b128 v[2:5], off, off offset:424
	scratch_load_b128 v[10:13], off, off offset:440
	s_wait_loadcnt_dscnt 0x100
	v_mul_f32_e32 v179, v6, v3
	v_mul_f32_e32 v3, v7, v3
	s_delay_alu instid0(VALU_DEP_2) | instskip(NEXT) | instid1(VALU_DEP_2)
	v_fmac_f32_e32 v179, v7, v2
	v_fma_f32 v180, v6, v2, -v3
	v_dual_mul_f32 v2, v9, v5 :: v_dual_add_f32 v3, 0, v159
	s_delay_alu instid0(VALU_DEP_1) | instskip(NEXT) | instid1(VALU_DEP_2)
	v_fma_f32 v182, v8, v4, -v2
	v_dual_add_f32 v2, 0, v22 :: v_dual_add_f32 v3, v3, v160
	s_delay_alu instid0(VALU_DEP_1) | instskip(NEXT) | instid1(VALU_DEP_1)
	v_add_f32_e32 v2, v2, v23
	v_add_f32_e32 v2, v2, v26
	s_delay_alu instid0(VALU_DEP_1) | instskip(NEXT) | instid1(VALU_DEP_1)
	v_add_f32_e32 v2, v2, v27
	v_add_f32_e32 v2, v2, v28
	;; [unrolled: 3-line block ×5, first 2 shown]
	v_add_f32_e32 v3, v3, v24
	s_delay_alu instid0(VALU_DEP_1) | instskip(NEXT) | instid1(VALU_DEP_1)
	v_add_f32_e32 v3, v3, v25
	v_add_f32_e32 v6, v3, v32
	s_delay_alu instid0(VALU_DEP_1) | instskip(NEXT) | instid1(VALU_DEP_1)
	v_add_f32_e32 v6, v6, v166
	;; [unrolled: 3-line block ×4, first 2 shown]
	v_dual_add_f32 v19, v14, v165 :: v_dual_add_f32 v18, v15, v20
	scratch_load_b128 v[14:17], off, off offset:488
	v_add_f32_e32 v19, v19, v169
	v_add_f32_e32 v18, v18, v21
	v_mul_f32_e32 v181, v8, v5
	s_delay_alu instid0(VALU_DEP_2) | instskip(NEXT) | instid1(VALU_DEP_1)
	v_dual_add_f32 v19, v19, v170 :: v_dual_add_f32 v18, v18, v167
	v_add_f32_e32 v22, v19, v172
	s_delay_alu instid0(VALU_DEP_3) | instskip(SKIP_4) | instid1(VALU_DEP_2)
	v_fmac_f32_e32 v181, v9, v4
	ds_load_2addr_b64 v[2:5], v1 offset0:119 offset1:120
	ds_load_2addr_b64 v[6:9], v1 offset0:121 offset1:122
	v_add_f32_e32 v18, v18, v168
	v_add_f32_e32 v32, v22, v174
	;; [unrolled: 1-line block ×3, first 2 shown]
	ds_load_2addr_b64 v[18:21], v1 offset0:123 offset1:124
	v_add_f32_e32 v159, v23, v173
	ds_load_2addr_b64 v[22:25], v1 offset0:125 offset1:126
	v_dual_add_f32 v1, v32, v176 :: v_dual_add_f32 v32, v159, v175
	s_wait_loadcnt_dscnt 0x103
	v_dual_mul_f32 v27, v4, v13 :: v_dual_mul_f32 v26, v2, v11
	v_mul_f32_e32 v11, v3, v11
	v_mul_f32_e32 v13, v5, v13
	s_delay_alu instid0(VALU_DEP_3) | instskip(NEXT) | instid1(VALU_DEP_4)
	v_dual_add_f32 v32, v32, v177 :: v_dual_fmac_f32 v27, v5, v12
	v_fmac_f32_e32 v26, v3, v10
	s_delay_alu instid0(VALU_DEP_4) | instskip(NEXT) | instid1(VALU_DEP_3)
	v_fma_f32 v28, v2, v10, -v11
	v_add_f32_e32 v32, v32, v179
	s_delay_alu instid0(VALU_DEP_1) | instskip(NEXT) | instid1(VALU_DEP_1)
	v_add_f32_e32 v32, v32, v181
	v_add_f32_e32 v26, v32, v26
	s_wait_loadcnt_dscnt 0x0
	v_mul_f32_e32 v164, v22, v15
	v_fma_f32 v29, v4, v12, -v13
	s_clause 0x1
	scratch_load_b128 v[2:5], off, off offset:456
	scratch_load_b128 v[10:13], off, off offset:472
	s_wait_loadcnt 0x1
	v_dual_fmac_f32 v164, v23, v14 :: v_dual_mul_f32 v159, v6, v3
	v_dual_mul_f32 v3, v7, v3 :: v_dual_mul_f32 v160, v8, v5
	s_wait_loadcnt 0x0
	v_dual_mul_f32 v162, v18, v11 :: v_dual_mul_f32 v163, v20, v13
	s_delay_alu instid0(VALU_DEP_3) | instskip(NEXT) | instid1(VALU_DEP_3)
	v_fmac_f32_e32 v159, v7, v2
	v_fma_f32 v3, v6, v2, -v3
	v_mul_f32_e32 v6, v19, v11
	v_add_f32_e32 v2, v26, v27
	v_fmac_f32_e32 v160, v9, v4
	v_dual_fmac_f32 v162, v19, v10 :: v_dual_fmac_f32 v163, v21, v12
	s_delay_alu instid0(VALU_DEP_3) | instskip(NEXT) | instid1(VALU_DEP_1)
	v_dual_mul_f32 v5, v9, v5 :: v_dual_add_f32 v2, v2, v159
	v_fma_f32 v4, v8, v4, -v5
	s_delay_alu instid0(VALU_DEP_2) | instskip(SKIP_1) | instid1(VALU_DEP_2)
	v_add_f32_e32 v2, v2, v160
	v_fma_f32 v5, v18, v10, -v6
	v_add_f32_e32 v2, v2, v162
	s_delay_alu instid0(VALU_DEP_1) | instskip(NEXT) | instid1(VALU_DEP_1)
	v_dual_add_f32 v1, v1, v178 :: v_dual_add_f32 v2, v2, v163
	v_add_f32_e32 v1, v1, v180
	s_delay_alu instid0(VALU_DEP_1) | instskip(NEXT) | instid1(VALU_DEP_1)
	v_dual_add_f32 v2, v2, v164 :: v_dual_add_f32 v1, v1, v182
	v_dual_add_f32 v1, v1, v28 :: v_dual_mul_f32 v28, v24, v17
	s_delay_alu instid0(VALU_DEP_1) | instskip(NEXT) | instid1(VALU_DEP_2)
	v_add_f32_e32 v1, v1, v29
	v_fmac_f32_e32 v28, v25, v16
	s_delay_alu instid0(VALU_DEP_2) | instskip(NEXT) | instid1(VALU_DEP_2)
	v_add_f32_e32 v1, v1, v3
	v_dual_mul_f32 v3, v21, v13 :: v_dual_add_f32 v2, v2, v28
	s_delay_alu instid0(VALU_DEP_2) | instskip(NEXT) | instid1(VALU_DEP_2)
	v_dual_add_f32 v1, v1, v4 :: v_dual_mul_f32 v4, v23, v15
	v_fma_f32 v3, v20, v12, -v3
	s_delay_alu instid0(VALU_DEP_2) | instskip(SKIP_1) | instid1(VALU_DEP_4)
	v_dual_sub_f32 v2, v31, v2 :: v_dual_add_f32 v1, v1, v5
	v_mul_f32_e32 v5, v25, v17
	v_fma_f32 v4, v22, v14, -v4
	s_delay_alu instid0(VALU_DEP_3) | instskip(NEXT) | instid1(VALU_DEP_3)
	v_add_f32_e32 v1, v1, v3
	v_fma_f32 v3, v24, v16, -v5
	s_delay_alu instid0(VALU_DEP_2) | instskip(NEXT) | instid1(VALU_DEP_1)
	v_add_f32_e32 v1, v1, v4
	v_add_f32_e32 v1, v1, v3
	s_delay_alu instid0(VALU_DEP_1)
	v_sub_f32_e32 v1, v30, v1
	scratch_store_b64 off, v[1:2], off offset:272
	v_cmpx_lt_u32_e32 33, v0
	s_cbranch_execz .LBB126_325
; %bb.324:
	scratch_load_b64 v[1:2], off, off offset:264
	v_mov_b32_e32 v3, 0
	s_delay_alu instid0(VALU_DEP_1)
	v_mov_b32_e32 v4, v3
	scratch_store_b64 off, v[3:4], off offset:264
	s_wait_loadcnt 0x0
	ds_store_b64 v161, v[1:2]
.LBB126_325:
	s_wait_alu 0xfffe
	s_or_b32 exec_lo, exec_lo, s0
	s_wait_storecnt_dscnt 0x0
	s_barrier_signal -1
	s_barrier_wait -1
	global_inv scope:SCOPE_SE
	s_clause 0x4
	scratch_load_b128 v[2:5], off, off offset:272
	scratch_load_b128 v[6:9], off, off offset:288
	;; [unrolled: 1-line block ×5, first 2 shown]
	v_mov_b32_e32 v1, 0
	ds_load_b128 v[22:25], v1 offset:784
	ds_load_b128 v[26:29], v1 offset:800
	;; [unrolled: 1-line block ×3, first 2 shown]
	scratch_load_b64 v[30:31], off, off offset:264
	s_mov_b32 s0, exec_lo
	s_wait_loadcnt_dscnt 0x502
	v_mul_f32_e32 v32, v23, v3
	v_dual_mul_f32 v159, v22, v3 :: v_dual_mul_f32 v160, v24, v5
	v_mul_f32_e32 v3, v25, v5
	s_wait_loadcnt_dscnt 0x300
	v_mul_f32_e32 v166, v164, v13
	v_fma_f32 v22, v22, v2, -v32
	v_dual_fmac_f32 v159, v23, v2 :: v_dual_fmac_f32 v160, v25, v4
	v_fma_f32 v23, v24, v4, -v3
	ds_load_b128 v[2:5], v1 offset:832
	v_mul_f32_e32 v24, v26, v7
	v_mul_f32_e32 v7, v27, v7
	v_dual_mul_f32 v25, v28, v9 :: v_dual_mul_f32 v32, v162, v11
	s_delay_alu instid0(VALU_DEP_3) | instskip(SKIP_2) | instid1(VALU_DEP_4)
	v_dual_mul_f32 v9, v29, v9 :: v_dual_fmac_f32 v24, v27, v6
	v_dual_mul_f32 v11, v163, v11 :: v_dual_fmac_f32 v166, v165, v12
	v_mul_f32_e32 v13, v165, v13
	v_dual_fmac_f32 v25, v29, v8 :: v_dual_fmac_f32 v32, v163, v10
	s_delay_alu instid0(VALU_DEP_4) | instskip(NEXT) | instid1(VALU_DEP_4)
	v_fma_f32 v27, v28, v8, -v9
	v_fma_f32 v28, v162, v10, -v11
	s_delay_alu instid0(VALU_DEP_4)
	v_fma_f32 v29, v164, v12, -v13
	ds_load_b128 v[10:13], v1 offset:848
	v_fma_f32 v26, v26, v6, -v7
	scratch_load_b128 v[6:9], off, off offset:352
	s_wait_loadcnt_dscnt 0x301
	v_mul_f32_e32 v162, v2, v15
	v_mul_f32_e32 v15, v3, v15
	;; [unrolled: 1-line block ×3, first 2 shown]
	s_delay_alu instid0(VALU_DEP_3) | instskip(NEXT) | instid1(VALU_DEP_3)
	v_dual_mul_f32 v17, v5, v17 :: v_dual_fmac_f32 v162, v3, v14
	v_fma_f32 v14, v2, v14, -v15
	s_delay_alu instid0(VALU_DEP_3) | instskip(NEXT) | instid1(VALU_DEP_3)
	v_fmac_f32_e32 v163, v5, v16
	v_fma_f32 v15, v4, v16, -v17
	ds_load_b128 v[2:5], v1 offset:864
	s_wait_loadcnt_dscnt 0x201
	v_mul_f32_e32 v16, v10, v19
	v_mul_f32_e32 v17, v11, v19
	;; [unrolled: 1-line block ×3, first 2 shown]
	s_delay_alu instid0(VALU_DEP_3) | instskip(NEXT) | instid1(VALU_DEP_3)
	v_dual_mul_f32 v21, v13, v21 :: v_dual_fmac_f32 v16, v11, v18
	v_fma_f32 v17, v10, v18, -v17
	s_delay_alu instid0(VALU_DEP_3) | instskip(NEXT) | instid1(VALU_DEP_3)
	v_fmac_f32_e32 v19, v13, v20
	v_fma_f32 v18, v12, v20, -v21
	scratch_load_b128 v[10:13], off, off offset:368
	s_wait_loadcnt_dscnt 0x100
	v_mul_f32_e32 v20, v2, v7
	v_mul_f32_e32 v7, v3, v7
	;; [unrolled: 1-line block ×3, first 2 shown]
	s_delay_alu instid0(VALU_DEP_3) | instskip(NEXT) | instid1(VALU_DEP_3)
	v_dual_mul_f32 v9, v5, v9 :: v_dual_fmac_f32 v20, v3, v6
	v_fma_f32 v164, v2, v6, -v7
	s_delay_alu instid0(VALU_DEP_3) | instskip(NEXT) | instid1(VALU_DEP_3)
	v_fmac_f32_e32 v21, v5, v8
	v_fma_f32 v165, v4, v8, -v9
	ds_load_b128 v[2:5], v1 offset:880
	ds_load_b128 v[6:9], v1 offset:896
	s_wait_loadcnt_dscnt 0x1
	v_mul_f32_e32 v167, v2, v11
	v_dual_mul_f32 v11, v3, v11 :: v_dual_mul_f32 v168, v4, v13
	s_delay_alu instid0(VALU_DEP_2) | instskip(NEXT) | instid1(VALU_DEP_2)
	v_fmac_f32_e32 v167, v3, v10
	v_fma_f32 v169, v2, v10, -v11
	v_mul_f32_e32 v2, v5, v13
	s_delay_alu instid0(VALU_DEP_4) | instskip(NEXT) | instid1(VALU_DEP_2)
	v_fmac_f32_e32 v168, v5, v12
	v_fma_f32 v170, v4, v12, -v2
	s_clause 0x1
	scratch_load_b128 v[2:5], off, off offset:384
	scratch_load_b128 v[10:13], off, off offset:400
	s_wait_loadcnt_dscnt 0x100
	v_mul_f32_e32 v171, v6, v3
	v_mul_f32_e32 v3, v7, v3
	;; [unrolled: 1-line block ×3, first 2 shown]
	s_delay_alu instid0(VALU_DEP_3) | instskip(NEXT) | instid1(VALU_DEP_3)
	v_fmac_f32_e32 v171, v7, v2
	v_fma_f32 v172, v6, v2, -v3
	v_mul_f32_e32 v2, v9, v5
	s_delay_alu instid0(VALU_DEP_4) | instskip(NEXT) | instid1(VALU_DEP_2)
	v_fmac_f32_e32 v173, v9, v4
	v_fma_f32 v174, v8, v4, -v2
	ds_load_b128 v[2:5], v1 offset:912
	ds_load_b128 v[6:9], v1 offset:928
	s_wait_loadcnt_dscnt 0x1
	v_mul_f32_e32 v175, v2, v11
	v_mul_f32_e32 v177, v4, v13
	s_delay_alu instid0(VALU_DEP_2) | instskip(SKIP_1) | instid1(VALU_DEP_3)
	v_fmac_f32_e32 v175, v3, v10
	v_mul_f32_e32 v3, v3, v11
	v_fmac_f32_e32 v177, v5, v12
	s_delay_alu instid0(VALU_DEP_2) | instskip(SKIP_1) | instid1(VALU_DEP_1)
	v_fma_f32 v176, v2, v10, -v3
	v_mul_f32_e32 v2, v5, v13
	v_fma_f32 v178, v4, v12, -v2
	s_clause 0x1
	scratch_load_b128 v[2:5], off, off offset:416
	scratch_load_b128 v[10:13], off, off offset:432
	s_wait_loadcnt_dscnt 0x100
	v_mul_f32_e32 v179, v6, v3
	v_mul_f32_e32 v3, v7, v3
	s_delay_alu instid0(VALU_DEP_2) | instskip(NEXT) | instid1(VALU_DEP_2)
	v_fmac_f32_e32 v179, v7, v2
	v_fma_f32 v180, v6, v2, -v3
	v_mul_f32_e32 v2, v9, v5
	s_delay_alu instid0(VALU_DEP_1) | instskip(SKIP_1) | instid1(VALU_DEP_1)
	v_fma_f32 v182, v8, v4, -v2
	v_add_f32_e32 v2, 0, v22
	v_add_f32_e32 v2, v2, v23
	s_delay_alu instid0(VALU_DEP_1) | instskip(NEXT) | instid1(VALU_DEP_1)
	v_add_f32_e32 v2, v2, v26
	v_add_f32_e32 v2, v2, v27
	scratch_load_b64 v[26:27], off, off offset:496
	v_add_f32_e32 v2, v2, v28
	s_delay_alu instid0(VALU_DEP_1) | instskip(NEXT) | instid1(VALU_DEP_1)
	v_add_f32_e32 v7, v2, v29
	v_add_f32_e32 v7, v7, v14
	s_delay_alu instid0(VALU_DEP_1) | instskip(NEXT) | instid1(VALU_DEP_1)
	v_add_f32_e32 v14, v7, v15
	v_dual_add_f32 v3, 0, v159 :: v_dual_add_f32 v14, v14, v17
	s_delay_alu instid0(VALU_DEP_1) | instskip(NEXT) | instid1(VALU_DEP_1)
	v_dual_add_f32 v3, v3, v160 :: v_dual_add_f32 v14, v14, v18
	v_add_f32_e32 v14, v14, v164
	s_delay_alu instid0(VALU_DEP_2) | instskip(NEXT) | instid1(VALU_DEP_1)
	v_add_f32_e32 v3, v3, v24
	v_add_f32_e32 v3, v3, v25
	s_delay_alu instid0(VALU_DEP_1) | instskip(NEXT) | instid1(VALU_DEP_1)
	v_add_f32_e32 v6, v3, v32
	v_add_f32_e32 v6, v6, v166
	s_delay_alu instid0(VALU_DEP_1) | instskip(NEXT) | instid1(VALU_DEP_1)
	;; [unrolled: 3-line block ×4, first 2 shown]
	v_dual_add_f32 v19, v14, v165 :: v_dual_add_f32 v18, v15, v20
	v_add_f32_e32 v19, v19, v169
	scratch_load_b128 v[14:17], off, off offset:480
	v_add_f32_e32 v18, v18, v21
	v_mul_f32_e32 v181, v8, v5
	s_delay_alu instid0(VALU_DEP_2) | instskip(NEXT) | instid1(VALU_DEP_1)
	v_dual_add_f32 v19, v19, v170 :: v_dual_add_f32 v18, v18, v167
	v_add_f32_e32 v19, v19, v172
	s_delay_alu instid0(VALU_DEP_2) | instskip(NEXT) | instid1(VALU_DEP_4)
	v_add_f32_e32 v18, v18, v168
	v_fmac_f32_e32 v181, v9, v4
	ds_load_b128 v[2:5], v1 offset:944
	ds_load_b128 v[6:9], v1 offset:960
	v_dual_add_f32 v19, v19, v174 :: v_dual_add_f32 v18, v18, v171
	s_delay_alu instid0(VALU_DEP_1) | instskip(NEXT) | instid1(VALU_DEP_2)
	v_add_f32_e32 v28, v19, v176
	v_add_f32_e32 v22, v18, v173
	ds_load_b128 v[18:21], v1 offset:976
	v_add_f32_e32 v29, v22, v175
	ds_load_b128 v[22:25], v1 offset:992
	v_dual_add_f32 v163, v28, v178 :: v_dual_add_f32 v164, v29, v177
	ds_load_b64 v[28:29], v1 offset:1008
	s_wait_loadcnt_dscnt 0x204
	v_mul_f32_e32 v32, v2, v11
	v_mul_f32_e32 v11, v3, v11
	v_dual_add_f32 v163, v163, v180 :: v_dual_add_f32 v164, v164, v179
	s_delay_alu instid0(VALU_DEP_3) | instskip(NEXT) | instid1(VALU_DEP_3)
	v_fmac_f32_e32 v32, v3, v10
	v_fma_f32 v160, v2, v10, -v11
	s_delay_alu instid0(VALU_DEP_3) | instskip(SKIP_2) | instid1(VALU_DEP_3)
	v_add_f32_e32 v163, v163, v182
	v_mul_f32_e32 v159, v4, v13
	v_add_f32_e32 v164, v164, v181
	v_add_f32_e32 v160, v163, v160
	s_delay_alu instid0(VALU_DEP_3) | instskip(NEXT) | instid1(VALU_DEP_3)
	v_fmac_f32_e32 v159, v5, v12
	v_dual_add_f32 v32, v164, v32 :: v_dual_mul_f32 v13, v5, v13
	s_delay_alu instid0(VALU_DEP_1) | instskip(NEXT) | instid1(VALU_DEP_2)
	v_add_f32_e32 v32, v32, v159
	v_fma_f32 v162, v4, v12, -v13
	s_clause 0x1
	scratch_load_b128 v[2:5], off, off offset:448
	scratch_load_b128 v[10:13], off, off offset:464
	s_wait_loadcnt_dscnt 0x201
	v_dual_add_f32 v160, v160, v162 :: v_dual_mul_f32 v167, v22, v15
	s_delay_alu instid0(VALU_DEP_1) | instskip(SKIP_1) | instid1(VALU_DEP_1)
	v_dual_mul_f32 v162, v24, v17 :: v_dual_fmac_f32 v167, v23, v14
	s_wait_loadcnt 0x1
	v_dual_fmac_f32 v162, v25, v16 :: v_dual_mul_f32 v165, v6, v3
	v_dual_mul_f32 v3, v7, v3 :: v_dual_mul_f32 v166, v8, v5
	v_mul_f32_e32 v5, v9, v5
	s_wait_loadcnt 0x0
	v_mul_f32_e32 v163, v18, v11
	v_fmac_f32_e32 v165, v7, v2
	v_fma_f32 v3, v6, v2, -v3
	v_fmac_f32_e32 v166, v9, v4
	v_fma_f32 v2, v8, v4, -v5
	s_delay_alu instid0(VALU_DEP_4) | instskip(NEXT) | instid1(VALU_DEP_4)
	v_dual_mul_f32 v4, v19, v11 :: v_dual_add_f32 v5, v32, v165
	v_dual_add_f32 v3, v160, v3 :: v_dual_mul_f32 v6, v21, v13
	v_mul_f32_e32 v164, v20, v13
	s_delay_alu instid0(VALU_DEP_3) | instskip(SKIP_1) | instid1(VALU_DEP_4)
	v_fma_f32 v4, v18, v10, -v4
	v_fmac_f32_e32 v163, v19, v10
	v_add_f32_e32 v2, v3, v2
	v_add_f32_e32 v3, v5, v166
	v_mul_f32_e32 v5, v23, v15
	v_fma_f32 v6, v20, v12, -v6
	v_fmac_f32_e32 v164, v21, v12
	s_delay_alu instid0(VALU_DEP_4) | instskip(SKIP_2) | instid1(VALU_DEP_3)
	v_dual_add_f32 v2, v2, v4 :: v_dual_add_f32 v3, v3, v163
	v_mul_f32_e32 v4, v25, v17
	v_fma_f32 v5, v22, v14, -v5
	v_dual_add_f32 v2, v2, v6 :: v_dual_add_f32 v3, v3, v164
	s_wait_dscnt 0x0
	v_mul_f32_e32 v6, v29, v27
	v_fma_f32 v4, v24, v16, -v4
	s_delay_alu instid0(VALU_DEP_3) | instskip(NEXT) | instid1(VALU_DEP_3)
	v_dual_add_f32 v2, v2, v5 :: v_dual_add_f32 v3, v3, v167
	v_fma_f32 v5, v28, v26, -v6
	s_delay_alu instid0(VALU_DEP_2) | instskip(NEXT) | instid1(VALU_DEP_1)
	v_dual_add_f32 v2, v2, v4 :: v_dual_mul_f32 v159, v28, v27
	v_dual_add_f32 v3, v3, v162 :: v_dual_add_f32 v2, v2, v5
	s_delay_alu instid0(VALU_DEP_2) | instskip(NEXT) | instid1(VALU_DEP_1)
	v_fmac_f32_e32 v159, v29, v26
	v_dual_sub_f32 v2, v30, v2 :: v_dual_add_f32 v3, v3, v159
	s_delay_alu instid0(VALU_DEP_1)
	v_sub_f32_e32 v3, v31, v3
	scratch_store_b64 off, v[2:3], off offset:264
	v_cmpx_lt_u32_e32 32, v0
	s_cbranch_execz .LBB126_327
; %bb.326:
	scratch_load_b64 v[3:4], off, off offset:256
	v_mov_b32_e32 v2, v1
	scratch_store_b64 off, v[1:2], off offset:256
	s_wait_loadcnt 0x0
	ds_store_b64 v161, v[3:4]
.LBB126_327:
	s_wait_alu 0xfffe
	s_or_b32 exec_lo, exec_lo, s0
	s_wait_storecnt_dscnt 0x0
	s_barrier_signal -1
	s_barrier_wait -1
	global_inv scope:SCOPE_SE
	s_clause 0x4
	scratch_load_b128 v[2:5], off, off offset:264
	scratch_load_b128 v[6:9], off, off offset:280
	;; [unrolled: 1-line block ×5, first 2 shown]
	ds_load_2addr_b64 v[22:25], v1 offset0:97 offset1:98
	ds_load_2addr_b64 v[26:29], v1 offset0:99 offset1:100
	;; [unrolled: 1-line block ×3, first 2 shown]
	scratch_load_b64 v[30:31], off, off offset:256
	s_mov_b32 s0, exec_lo
	s_wait_loadcnt_dscnt 0x502
	v_mul_f32_e32 v32, v23, v3
	v_dual_mul_f32 v159, v22, v3 :: v_dual_mul_f32 v160, v24, v5
	v_mul_f32_e32 v3, v25, v5
	s_wait_loadcnt_dscnt 0x300
	v_mul_f32_e32 v166, v164, v13
	v_fma_f32 v22, v22, v2, -v32
	v_dual_fmac_f32 v159, v23, v2 :: v_dual_fmac_f32 v160, v25, v4
	v_fma_f32 v23, v24, v4, -v3
	ds_load_2addr_b64 v[2:5], v1 offset0:103 offset1:104
	v_dual_mul_f32 v24, v26, v7 :: v_dual_mul_f32 v25, v28, v9
	v_mul_f32_e32 v7, v27, v7
	v_dual_mul_f32 v9, v29, v9 :: v_dual_mul_f32 v32, v162, v11
	v_dual_mul_f32 v11, v163, v11 :: v_dual_fmac_f32 v166, v165, v12
	s_delay_alu instid0(VALU_DEP_4) | instskip(SKIP_1) | instid1(VALU_DEP_4)
	v_dual_mul_f32 v13, v165, v13 :: v_dual_fmac_f32 v24, v27, v6
	v_fmac_f32_e32 v25, v29, v8
	v_fma_f32 v27, v28, v8, -v9
	v_fmac_f32_e32 v32, v163, v10
	v_fma_f32 v28, v162, v10, -v11
	v_fma_f32 v29, v164, v12, -v13
	ds_load_2addr_b64 v[10:13], v1 offset0:105 offset1:106
	v_fma_f32 v26, v26, v6, -v7
	scratch_load_b128 v[6:9], off, off offset:344
	s_wait_loadcnt_dscnt 0x301
	v_dual_mul_f32 v162, v2, v15 :: v_dual_mul_f32 v163, v4, v17
	v_mul_f32_e32 v15, v3, v15
	s_delay_alu instid0(VALU_DEP_2) | instskip(NEXT) | instid1(VALU_DEP_3)
	v_dual_mul_f32 v17, v5, v17 :: v_dual_fmac_f32 v162, v3, v14
	v_fmac_f32_e32 v163, v5, v16
	s_delay_alu instid0(VALU_DEP_3) | instskip(NEXT) | instid1(VALU_DEP_3)
	v_fma_f32 v14, v2, v14, -v15
	v_fma_f32 v15, v4, v16, -v17
	ds_load_2addr_b64 v[2:5], v1 offset0:107 offset1:108
	s_wait_loadcnt_dscnt 0x201
	v_mul_f32_e32 v16, v10, v19
	v_mul_f32_e32 v17, v11, v19
	;; [unrolled: 1-line block ×3, first 2 shown]
	s_delay_alu instid0(VALU_DEP_3) | instskip(NEXT) | instid1(VALU_DEP_3)
	v_dual_mul_f32 v21, v13, v21 :: v_dual_fmac_f32 v16, v11, v18
	v_fma_f32 v17, v10, v18, -v17
	s_delay_alu instid0(VALU_DEP_3) | instskip(NEXT) | instid1(VALU_DEP_3)
	v_fmac_f32_e32 v19, v13, v20
	v_fma_f32 v18, v12, v20, -v21
	scratch_load_b128 v[10:13], off, off offset:360
	s_wait_loadcnt_dscnt 0x100
	v_mul_f32_e32 v20, v2, v7
	v_mul_f32_e32 v7, v3, v7
	;; [unrolled: 1-line block ×3, first 2 shown]
	s_delay_alu instid0(VALU_DEP_3) | instskip(NEXT) | instid1(VALU_DEP_3)
	v_dual_mul_f32 v9, v5, v9 :: v_dual_fmac_f32 v20, v3, v6
	v_fma_f32 v164, v2, v6, -v7
	s_delay_alu instid0(VALU_DEP_3) | instskip(NEXT) | instid1(VALU_DEP_3)
	v_fmac_f32_e32 v21, v5, v8
	v_fma_f32 v165, v4, v8, -v9
	ds_load_2addr_b64 v[2:5], v1 offset0:109 offset1:110
	ds_load_2addr_b64 v[6:9], v1 offset0:111 offset1:112
	s_wait_loadcnt_dscnt 0x1
	v_mul_f32_e32 v167, v2, v11
	v_dual_mul_f32 v11, v3, v11 :: v_dual_mul_f32 v168, v4, v13
	s_delay_alu instid0(VALU_DEP_2) | instskip(NEXT) | instid1(VALU_DEP_2)
	v_fmac_f32_e32 v167, v3, v10
	v_fma_f32 v169, v2, v10, -v11
	v_mul_f32_e32 v2, v5, v13
	s_delay_alu instid0(VALU_DEP_4) | instskip(NEXT) | instid1(VALU_DEP_2)
	v_fmac_f32_e32 v168, v5, v12
	v_fma_f32 v170, v4, v12, -v2
	s_clause 0x1
	scratch_load_b128 v[2:5], off, off offset:376
	scratch_load_b128 v[10:13], off, off offset:392
	s_wait_loadcnt_dscnt 0x100
	v_mul_f32_e32 v171, v6, v3
	v_mul_f32_e32 v3, v7, v3
	;; [unrolled: 1-line block ×3, first 2 shown]
	s_delay_alu instid0(VALU_DEP_3) | instskip(NEXT) | instid1(VALU_DEP_3)
	v_fmac_f32_e32 v171, v7, v2
	v_fma_f32 v172, v6, v2, -v3
	v_mul_f32_e32 v2, v9, v5
	s_delay_alu instid0(VALU_DEP_4) | instskip(NEXT) | instid1(VALU_DEP_2)
	v_fmac_f32_e32 v173, v9, v4
	v_fma_f32 v174, v8, v4, -v2
	ds_load_2addr_b64 v[2:5], v1 offset0:113 offset1:114
	ds_load_2addr_b64 v[6:9], v1 offset0:115 offset1:116
	s_wait_loadcnt_dscnt 0x1
	v_mul_f32_e32 v175, v2, v11
	v_mul_f32_e32 v177, v4, v13
	s_delay_alu instid0(VALU_DEP_2) | instskip(SKIP_1) | instid1(VALU_DEP_3)
	v_fmac_f32_e32 v175, v3, v10
	v_mul_f32_e32 v3, v3, v11
	v_fmac_f32_e32 v177, v5, v12
	s_delay_alu instid0(VALU_DEP_2) | instskip(SKIP_1) | instid1(VALU_DEP_1)
	v_fma_f32 v176, v2, v10, -v3
	v_mul_f32_e32 v2, v5, v13
	v_fma_f32 v178, v4, v12, -v2
	s_clause 0x1
	scratch_load_b128 v[2:5], off, off offset:408
	scratch_load_b128 v[10:13], off, off offset:424
	s_wait_loadcnt_dscnt 0x100
	v_mul_f32_e32 v179, v6, v3
	v_mul_f32_e32 v3, v7, v3
	s_delay_alu instid0(VALU_DEP_2) | instskip(NEXT) | instid1(VALU_DEP_2)
	v_fmac_f32_e32 v179, v7, v2
	v_fma_f32 v180, v6, v2, -v3
	v_dual_mul_f32 v2, v9, v5 :: v_dual_add_f32 v3, 0, v159
	s_delay_alu instid0(VALU_DEP_1) | instskip(SKIP_1) | instid1(VALU_DEP_1)
	v_fma_f32 v182, v8, v4, -v2
	v_add_f32_e32 v2, 0, v22
	v_add_f32_e32 v2, v2, v23
	s_delay_alu instid0(VALU_DEP_1) | instskip(NEXT) | instid1(VALU_DEP_1)
	v_add_f32_e32 v2, v2, v26
	v_dual_add_f32 v2, v2, v27 :: v_dual_add_f32 v3, v3, v160
	s_delay_alu instid0(VALU_DEP_1) | instskip(NEXT) | instid1(VALU_DEP_1)
	v_add_f32_e32 v2, v2, v28
	v_dual_add_f32 v2, v2, v29 :: v_dual_add_f32 v3, v3, v24
	s_delay_alu instid0(VALU_DEP_1) | instskip(NEXT) | instid1(VALU_DEP_2)
	v_add_f32_e32 v7, v2, v14
	v_add_f32_e32 v3, v3, v25
	s_delay_alu instid0(VALU_DEP_2) | instskip(NEXT) | instid1(VALU_DEP_2)
	v_add_f32_e32 v15, v7, v15
	v_add_f32_e32 v3, v3, v32
	s_delay_alu instid0(VALU_DEP_2) | instskip(NEXT) | instid1(VALU_DEP_2)
	;; [unrolled: 3-line block ×6, first 2 shown]
	v_add_f32_e32 v18, v18, v169
	v_add_f32_e32 v19, v14, v19
	ds_load_2addr_b64 v[14:17], v1 offset0:119 offset1:120
	v_add_f32_e32 v19, v19, v20
	s_delay_alu instid0(VALU_DEP_1) | instskip(NEXT) | instid1(VALU_DEP_1)
	v_add_f32_e32 v19, v19, v21
	v_dual_mul_f32 v181, v8, v5 :: v_dual_add_f32 v22, v19, v167
	s_delay_alu instid0(VALU_DEP_1) | instskip(SKIP_3) | instid1(VALU_DEP_1)
	v_fmac_f32_e32 v181, v9, v4
	scratch_load_b128 v[6:9], off, off offset:440
	ds_load_2addr_b64 v[2:5], v1 offset0:117 offset1:118
	v_add_f32_e32 v22, v22, v168
	v_add_f32_e32 v22, v22, v171
	s_wait_loadcnt_dscnt 0x100
	v_mul_f32_e32 v26, v2, v11
	v_mul_f32_e32 v11, v3, v11
	s_delay_alu instid0(VALU_DEP_2) | instskip(SKIP_1) | instid1(VALU_DEP_3)
	v_dual_fmac_f32 v26, v3, v10 :: v_dual_mul_f32 v27, v4, v13
	v_mul_f32_e32 v13, v5, v13
	v_fma_f32 v28, v2, v10, -v11
	s_delay_alu instid0(VALU_DEP_3) | instskip(NEXT) | instid1(VALU_DEP_3)
	v_fmac_f32_e32 v27, v5, v12
	v_fma_f32 v29, v4, v12, -v13
	s_clause 0x1
	scratch_load_b128 v[2:5], off, off offset:456
	scratch_load_b128 v[10:13], off, off offset:472
	v_add_f32_e32 v23, v18, v170
	scratch_load_b128 v[18:21], off, off offset:488
	v_add_f32_e32 v23, v23, v172
	s_wait_loadcnt 0x3
	s_delay_alu instid0(VALU_DEP_1) | instskip(SKIP_1) | instid1(VALU_DEP_2)
	v_dual_add_f32 v23, v23, v174 :: v_dual_mul_f32 v32, v14, v7
	v_mul_f32_e32 v7, v15, v7
	v_fmac_f32_e32 v32, v15, v6
	s_delay_alu instid0(VALU_DEP_2) | instskip(SKIP_1) | instid1(VALU_DEP_1)
	v_fma_f32 v160, v14, v6, -v7
	v_add_f32_e32 v14, v22, v173
	v_dual_add_f32 v22, v23, v176 :: v_dual_add_f32 v23, v14, v175
	s_delay_alu instid0(VALU_DEP_1) | instskip(SKIP_3) | instid1(VALU_DEP_2)
	v_dual_add_f32 v163, v22, v178 :: v_dual_add_f32 v164, v23, v177
	ds_load_2addr_b64 v[22:25], v1 offset0:125 offset1:126
	v_mul_f32_e32 v159, v16, v9
	v_mul_f32_e32 v9, v17, v9
	v_fmac_f32_e32 v159, v17, v8
	s_delay_alu instid0(VALU_DEP_2) | instskip(SKIP_4) | instid1(VALU_DEP_2)
	v_fma_f32 v162, v16, v8, -v9
	ds_load_2addr_b64 v[6:9], v1 offset0:121 offset1:122
	ds_load_2addr_b64 v[14:17], v1 offset0:123 offset1:124
	v_add_f32_e32 v1, v163, v180
	v_add_f32_e32 v163, v164, v179
	;; [unrolled: 1-line block ×3, first 2 shown]
	s_delay_alu instid0(VALU_DEP_2) | instskip(NEXT) | instid1(VALU_DEP_1)
	v_add_f32_e32 v163, v163, v181
	v_dual_add_f32 v1, v1, v28 :: v_dual_add_f32 v26, v163, v26
	s_delay_alu instid0(VALU_DEP_1)
	v_dual_add_f32 v1, v1, v29 :: v_dual_add_f32 v26, v26, v27
	s_wait_loadcnt_dscnt 0x2
	v_mul_f32_e32 v27, v22, v19
	s_wait_dscnt 0x1
	v_mul_f32_e32 v164, v6, v3
	v_mul_f32_e32 v3, v7, v3
	v_add_f32_e32 v1, v1, v160
	v_add_f32_e32 v26, v26, v32
	v_mul_f32_e32 v28, v8, v5
	v_mul_f32_e32 v5, v9, v5
	v_fma_f32 v3, v6, v2, -v3
	v_fmac_f32_e32 v164, v7, v2
	v_dual_add_f32 v1, v1, v162 :: v_dual_add_f32 v2, v26, v159
	s_wait_dscnt 0x0
	v_mul_f32_e32 v163, v14, v11
	v_mul_f32_e32 v6, v15, v11
	v_fmac_f32_e32 v28, v9, v4
	v_fma_f32 v4, v8, v4, -v5
	v_dual_add_f32 v1, v1, v3 :: v_dual_add_f32 v2, v2, v164
	v_mul_f32_e32 v165, v16, v13
	v_mul_f32_e32 v3, v17, v13
	v_fmac_f32_e32 v163, v15, v10
	v_fma_f32 v5, v14, v10, -v6
	v_add_f32_e32 v1, v1, v4
	v_add_f32_e32 v2, v2, v28
	v_dual_mul_f32 v4, v23, v19 :: v_dual_fmac_f32 v165, v17, v12
	v_fma_f32 v3, v16, v12, -v3
	s_delay_alu instid0(VALU_DEP_3)
	v_dual_add_f32 v1, v1, v5 :: v_dual_add_f32 v2, v2, v163
	v_mul_f32_e32 v29, v24, v21
	v_mul_f32_e32 v5, v25, v21
	v_fmac_f32_e32 v27, v23, v18
	v_fma_f32 v4, v22, v18, -v4
	v_dual_add_f32 v1, v1, v3 :: v_dual_add_f32 v2, v2, v165
	v_fmac_f32_e32 v29, v25, v20
	v_fma_f32 v3, v24, v20, -v5
	s_delay_alu instid0(VALU_DEP_3) | instskip(NEXT) | instid1(VALU_DEP_1)
	v_dual_add_f32 v1, v1, v4 :: v_dual_add_f32 v2, v2, v27
	v_dual_add_f32 v1, v1, v3 :: v_dual_add_f32 v2, v2, v29
	s_delay_alu instid0(VALU_DEP_1)
	v_dual_sub_f32 v1, v30, v1 :: v_dual_sub_f32 v2, v31, v2
	scratch_store_b64 off, v[1:2], off offset:256
	v_cmpx_lt_u32_e32 31, v0
	s_cbranch_execz .LBB126_329
; %bb.328:
	scratch_load_b64 v[1:2], off, off offset:248
	v_mov_b32_e32 v3, 0
	s_delay_alu instid0(VALU_DEP_1)
	v_mov_b32_e32 v4, v3
	scratch_store_b64 off, v[3:4], off offset:248
	s_wait_loadcnt 0x0
	ds_store_b64 v161, v[1:2]
.LBB126_329:
	s_wait_alu 0xfffe
	s_or_b32 exec_lo, exec_lo, s0
	s_wait_storecnt_dscnt 0x0
	s_barrier_signal -1
	s_barrier_wait -1
	global_inv scope:SCOPE_SE
	s_clause 0x4
	scratch_load_b128 v[5:8], off, off offset:256
	scratch_load_b128 v[1:4], off, off offset:272
	;; [unrolled: 1-line block ×5, first 2 shown]
	v_mov_b32_e32 v21, 0
	ds_load_b128 v[22:25], v21 offset:768
	ds_load_b128 v[26:29], v21 offset:784
	;; [unrolled: 1-line block ×3, first 2 shown]
	scratch_load_b64 v[30:31], off, off offset:248
	s_mov_b32 s0, exec_lo
	s_wait_loadcnt_dscnt 0x502
	v_mul_f32_e32 v32, v23, v6
	v_dual_mul_f32 v159, v22, v6 :: v_dual_mul_f32 v160, v24, v8
	v_mul_f32_e32 v6, v25, v8
	s_wait_loadcnt_dscnt 0x300
	v_mul_f32_e32 v166, v164, v12
	v_fma_f32 v22, v22, v5, -v32
	v_dual_fmac_f32 v159, v23, v5 :: v_dual_fmac_f32 v160, v25, v7
	v_mul_f32_e32 v25, v28, v4
	v_fma_f32 v23, v24, v7, -v6
	ds_load_b128 v[5:8], v21 offset:816
	v_mul_f32_e32 v24, v26, v2
	v_mul_f32_e32 v4, v29, v4
	;; [unrolled: 1-line block ×5, first 2 shown]
	v_dual_mul_f32 v2, v27, v2 :: v_dual_fmac_f32 v25, v29, v3
	v_fmac_f32_e32 v24, v27, v1
	v_fma_f32 v27, v28, v3, -v4
	v_fmac_f32_e32 v32, v163, v9
	v_fma_f32 v28, v162, v9, -v10
	;; [unrolled: 2-line block ×3, first 2 shown]
	ds_load_b128 v[9:12], v21 offset:832
	s_wait_loadcnt_dscnt 0x201
	v_dual_mul_f32 v163, v7, v16 :: v_dual_mul_f32 v162, v5, v14
	v_mul_f32_e32 v14, v6, v14
	v_mul_f32_e32 v16, v8, v16
	s_delay_alu instid0(VALU_DEP_3)
	v_fmac_f32_e32 v163, v8, v15
	v_fma_f32 v26, v26, v1, -v2
	scratch_load_b128 v[1:4], off, off offset:336
	v_fmac_f32_e32 v162, v6, v13
	v_fma_f32 v13, v5, v13, -v14
	v_fma_f32 v14, v7, v15, -v16
	ds_load_b128 v[5:8], v21 offset:848
	s_wait_loadcnt_dscnt 0x201
	v_mul_f32_e32 v15, v9, v18
	v_mul_f32_e32 v16, v10, v18
	;; [unrolled: 1-line block ×3, first 2 shown]
	s_delay_alu instid0(VALU_DEP_3) | instskip(NEXT) | instid1(VALU_DEP_3)
	v_dual_mul_f32 v20, v12, v20 :: v_dual_fmac_f32 v15, v10, v17
	v_fma_f32 v16, v9, v17, -v16
	s_delay_alu instid0(VALU_DEP_3) | instskip(NEXT) | instid1(VALU_DEP_3)
	v_fmac_f32_e32 v18, v12, v19
	v_fma_f32 v17, v11, v19, -v20
	scratch_load_b128 v[9:12], off, off offset:352
	s_wait_loadcnt_dscnt 0x100
	v_mul_f32_e32 v19, v5, v2
	v_mul_f32_e32 v2, v6, v2
	;; [unrolled: 1-line block ×3, first 2 shown]
	s_delay_alu instid0(VALU_DEP_3) | instskip(NEXT) | instid1(VALU_DEP_3)
	v_dual_mul_f32 v4, v8, v4 :: v_dual_fmac_f32 v19, v6, v1
	v_fma_f32 v164, v5, v1, -v2
	s_delay_alu instid0(VALU_DEP_3) | instskip(NEXT) | instid1(VALU_DEP_3)
	v_fmac_f32_e32 v20, v8, v3
	v_fma_f32 v165, v7, v3, -v4
	ds_load_b128 v[1:4], v21 offset:864
	ds_load_b128 v[5:8], v21 offset:880
	s_wait_loadcnt_dscnt 0x1
	v_mul_f32_e32 v167, v1, v10
	v_mul_f32_e32 v10, v2, v10
	s_delay_alu instid0(VALU_DEP_2) | instskip(NEXT) | instid1(VALU_DEP_2)
	v_dual_mul_f32 v168, v3, v12 :: v_dual_fmac_f32 v167, v2, v9
	v_fma_f32 v169, v1, v9, -v10
	v_mul_f32_e32 v1, v4, v12
	s_delay_alu instid0(VALU_DEP_3) | instskip(NEXT) | instid1(VALU_DEP_2)
	v_fmac_f32_e32 v168, v4, v11
	v_fma_f32 v170, v3, v11, -v1
	s_clause 0x1
	scratch_load_b128 v[1:4], off, off offset:368
	scratch_load_b128 v[9:12], off, off offset:384
	s_wait_loadcnt_dscnt 0x100
	v_mul_f32_e32 v171, v5, v2
	v_dual_mul_f32 v2, v6, v2 :: v_dual_mul_f32 v173, v7, v4
	s_delay_alu instid0(VALU_DEP_2) | instskip(NEXT) | instid1(VALU_DEP_2)
	v_fmac_f32_e32 v171, v6, v1
	v_fma_f32 v172, v5, v1, -v2
	v_mul_f32_e32 v1, v8, v4
	s_delay_alu instid0(VALU_DEP_4) | instskip(NEXT) | instid1(VALU_DEP_2)
	v_fmac_f32_e32 v173, v8, v3
	v_fma_f32 v174, v7, v3, -v1
	ds_load_b128 v[1:4], v21 offset:896
	ds_load_b128 v[5:8], v21 offset:912
	s_wait_loadcnt_dscnt 0x1
	v_mul_f32_e32 v175, v1, v10
	v_mul_f32_e32 v177, v3, v12
	s_delay_alu instid0(VALU_DEP_2) | instskip(NEXT) | instid1(VALU_DEP_2)
	v_fmac_f32_e32 v175, v2, v9
	v_dual_mul_f32 v2, v2, v10 :: v_dual_fmac_f32 v177, v4, v11
	s_delay_alu instid0(VALU_DEP_1) | instskip(SKIP_1) | instid1(VALU_DEP_1)
	v_fma_f32 v176, v1, v9, -v2
	v_mul_f32_e32 v1, v4, v12
	v_fma_f32 v178, v3, v11, -v1
	s_clause 0x1
	scratch_load_b128 v[1:4], off, off offset:400
	scratch_load_b128 v[9:12], off, off offset:416
	s_wait_loadcnt_dscnt 0x100
	v_mul_f32_e32 v179, v5, v2
	v_dual_mul_f32 v2, v6, v2 :: v_dual_mul_f32 v181, v7, v4
	s_delay_alu instid0(VALU_DEP_2) | instskip(NEXT) | instid1(VALU_DEP_2)
	v_fmac_f32_e32 v179, v6, v1
	v_fma_f32 v180, v5, v1, -v2
	v_mul_f32_e32 v1, v8, v4
	s_delay_alu instid0(VALU_DEP_4) | instskip(NEXT) | instid1(VALU_DEP_2)
	v_fmac_f32_e32 v181, v8, v3
	v_fma_f32 v182, v7, v3, -v1
	v_add_f32_e32 v1, 0, v22
	s_delay_alu instid0(VALU_DEP_1) | instskip(NEXT) | instid1(VALU_DEP_1)
	v_add_f32_e32 v1, v1, v23
	v_dual_add_f32 v2, 0, v159 :: v_dual_add_f32 v1, v1, v26
	s_delay_alu instid0(VALU_DEP_1) | instskip(SKIP_2) | instid1(VALU_DEP_1)
	v_add_f32_e32 v1, v1, v27
	scratch_load_b64 v[26:27], off, off offset:496
	v_add_f32_e32 v1, v1, v28
	v_dual_add_f32 v2, v2, v160 :: v_dual_add_f32 v1, v1, v29
	s_delay_alu instid0(VALU_DEP_1) | instskip(NEXT) | instid1(VALU_DEP_2)
	v_add_f32_e32 v2, v2, v24
	v_add_f32_e32 v6, v1, v13
	s_delay_alu instid0(VALU_DEP_2) | instskip(NEXT) | instid1(VALU_DEP_2)
	v_add_f32_e32 v2, v2, v25
	v_add_f32_e32 v14, v6, v14
	s_delay_alu instid0(VALU_DEP_2) | instskip(NEXT) | instid1(VALU_DEP_2)
	v_add_f32_e32 v2, v2, v32
	v_add_f32_e32 v14, v14, v16
	s_delay_alu instid0(VALU_DEP_2) | instskip(SKIP_4) | instid1(VALU_DEP_1)
	v_add_f32_e32 v5, v2, v166
	scratch_load_b128 v[1:4], off, off offset:432
	v_add_f32_e32 v13, v5, v162
	ds_load_b128 v[5:8], v21 offset:928
	v_add_f32_e32 v13, v13, v163
	v_add_f32_e32 v13, v13, v15
	s_delay_alu instid0(VALU_DEP_1) | instskip(SKIP_4) | instid1(VALU_DEP_2)
	v_dual_add_f32 v17, v14, v17 :: v_dual_add_f32 v18, v13, v18
	ds_load_b128 v[13:16], v21 offset:944
	v_add_f32_e32 v17, v17, v164
	s_wait_loadcnt_dscnt 0x201
	v_dual_mul_f32 v32, v5, v10 :: v_dual_mul_f32 v159, v7, v12
	v_dual_mul_f32 v10, v6, v10 :: v_dual_add_f32 v17, v17, v165
	v_add_f32_e32 v18, v18, v19
	s_delay_alu instid0(VALU_DEP_3) | instskip(NEXT) | instid1(VALU_DEP_3)
	v_dual_fmac_f32 v32, v6, v9 :: v_dual_fmac_f32 v159, v8, v11
	v_fma_f32 v160, v5, v9, -v10
	s_delay_alu instid0(VALU_DEP_4) | instskip(NEXT) | instid1(VALU_DEP_1)
	v_dual_add_f32 v17, v17, v169 :: v_dual_mul_f32 v12, v8, v12
	v_add_f32_e32 v23, v17, v170
	s_delay_alu instid0(VALU_DEP_2) | instskip(SKIP_4) | instid1(VALU_DEP_1)
	v_fma_f32 v162, v7, v11, -v12
	s_clause 0x1
	scratch_load_b128 v[5:8], off, off offset:448
	scratch_load_b128 v[9:12], off, off offset:464
	v_add_f32_e32 v23, v23, v172
	v_dual_add_f32 v18, v18, v20 :: v_dual_add_f32 v23, v23, v174
	s_delay_alu instid0(VALU_DEP_1)
	v_add_f32_e32 v22, v18, v167
	scratch_load_b128 v[17:20], off, off offset:480
	v_add_f32_e32 v23, v23, v176
	s_wait_loadcnt_dscnt 0x300
	v_mul_f32_e32 v163, v13, v2
	v_mul_f32_e32 v2, v14, v2
	;; [unrolled: 1-line block ×3, first 2 shown]
	s_delay_alu instid0(VALU_DEP_3) | instskip(SKIP_1) | instid1(VALU_DEP_4)
	v_dual_mul_f32 v4, v16, v4 :: v_dual_fmac_f32 v163, v14, v1
	v_add_f32_e32 v14, v23, v178
	v_fma_f32 v165, v13, v1, -v2
	s_delay_alu instid0(VALU_DEP_4) | instskip(NEXT) | instid1(VALU_DEP_4)
	v_fmac_f32_e32 v164, v16, v3
	v_fma_f32 v166, v15, v3, -v4
	ds_load_b128 v[1:4], v21 offset:960
	v_add_f32_e32 v28, v14, v180
	s_delay_alu instid0(VALU_DEP_1) | instskip(NEXT) | instid1(VALU_DEP_1)
	v_dual_add_f32 v22, v22, v168 :: v_dual_add_f32 v167, v28, v182
	v_add_f32_e32 v22, v22, v171
	s_delay_alu instid0(VALU_DEP_1) | instskip(NEXT) | instid1(VALU_DEP_1)
	v_add_f32_e32 v22, v22, v173
	v_add_f32_e32 v13, v22, v175
	s_delay_alu instid0(VALU_DEP_1)
	v_add_f32_e32 v22, v13, v177
	ds_load_b128 v[13:16], v21 offset:976
	v_dual_add_f32 v160, v167, v160 :: v_dual_add_f32 v29, v22, v179
	ds_load_b128 v[22:25], v21 offset:992
	s_wait_loadcnt_dscnt 0x202
	v_mul_f32_e32 v167, v1, v6
	v_add_f32_e32 v168, v29, v181
	ds_load_b64 v[28:29], v21 offset:1008
	v_dual_fmac_f32 v167, v2, v5 :: v_dual_add_f32 v160, v160, v162
	s_delay_alu instid0(VALU_DEP_1) | instskip(SKIP_2) | instid1(VALU_DEP_2)
	v_add_f32_e32 v160, v160, v165
	s_wait_loadcnt_dscnt 0x102
	v_mul_f32_e32 v162, v13, v10
	v_add_f32_e32 v160, v160, v166
	v_mul_f32_e32 v6, v2, v6
	s_wait_loadcnt_dscnt 0x1
	v_dual_mul_f32 v165, v22, v18 :: v_dual_add_f32 v32, v168, v32
	s_delay_alu instid0(VALU_DEP_2) | instskip(NEXT) | instid1(VALU_DEP_2)
	v_fma_f32 v1, v1, v5, -v6
	v_fmac_f32_e32 v165, v23, v17
	v_mul_f32_e32 v5, v16, v12
	s_delay_alu instid0(VALU_DEP_3) | instskip(SKIP_2) | instid1(VALU_DEP_4)
	v_add_f32_e32 v1, v160, v1
	v_dual_add_f32 v32, v32, v159 :: v_dual_mul_f32 v159, v3, v8
	v_mul_f32_e32 v8, v4, v8
	v_fma_f32 v5, v15, v11, -v5
	s_delay_alu instid0(VALU_DEP_3) | instskip(NEXT) | instid1(VALU_DEP_3)
	v_fmac_f32_e32 v159, v4, v7
	v_fma_f32 v2, v3, v7, -v8
	v_mul_f32_e32 v3, v14, v10
	s_delay_alu instid0(VALU_DEP_2) | instskip(NEXT) | instid1(VALU_DEP_2)
	v_add_f32_e32 v1, v1, v2
	v_fma_f32 v3, v13, v9, -v3
	s_delay_alu instid0(VALU_DEP_1) | instskip(SKIP_2) | instid1(VALU_DEP_2)
	v_add_f32_e32 v1, v1, v3
	v_dual_add_f32 v32, v32, v163 :: v_dual_mul_f32 v3, v25, v20
	v_dual_mul_f32 v163, v15, v12 :: v_dual_fmac_f32 v162, v14, v9
	v_dual_add_f32 v1, v1, v5 :: v_dual_add_f32 v32, v32, v164
	s_wait_dscnt 0x0
	v_mul_f32_e32 v5, v29, v27
	v_fma_f32 v3, v24, v19, -v3
	v_fmac_f32_e32 v163, v16, v11
	v_add_f32_e32 v4, v32, v167
	s_delay_alu instid0(VALU_DEP_1) | instskip(SKIP_1) | instid1(VALU_DEP_1)
	v_add_f32_e32 v2, v4, v159
	v_mul_f32_e32 v4, v23, v18
	v_fma_f32 v4, v22, v17, -v4
	s_delay_alu instid0(VALU_DEP_1) | instskip(SKIP_2) | instid1(VALU_DEP_3)
	v_dual_mul_f32 v164, v28, v27 :: v_dual_add_f32 v1, v1, v4
	v_mul_f32_e32 v166, v24, v20
	v_fma_f32 v4, v28, v26, -v5
	v_fmac_f32_e32 v164, v29, v26
	s_delay_alu instid0(VALU_DEP_4) | instskip(NEXT) | instid1(VALU_DEP_4)
	v_add_f32_e32 v1, v1, v3
	v_fmac_f32_e32 v166, v25, v19
	s_delay_alu instid0(VALU_DEP_2) | instskip(NEXT) | instid1(VALU_DEP_1)
	v_dual_add_f32 v1, v1, v4 :: v_dual_add_f32 v2, v2, v162
	v_sub_f32_e32 v1, v30, v1
	s_delay_alu instid0(VALU_DEP_2) | instskip(NEXT) | instid1(VALU_DEP_1)
	v_add_f32_e32 v2, v2, v163
	v_add_f32_e32 v2, v2, v165
	s_delay_alu instid0(VALU_DEP_1) | instskip(NEXT) | instid1(VALU_DEP_1)
	v_add_f32_e32 v2, v2, v166
	v_add_f32_e32 v2, v2, v164
	s_delay_alu instid0(VALU_DEP_1)
	v_sub_f32_e32 v2, v31, v2
	scratch_store_b64 off, v[1:2], off offset:248
	v_cmpx_lt_u32_e32 30, v0
	s_cbranch_execz .LBB126_331
; %bb.330:
	scratch_load_b64 v[1:2], off, off offset:240
	v_mov_b32_e32 v22, v21
	scratch_store_b64 off, v[21:22], off offset:240
	s_wait_loadcnt 0x0
	ds_store_b64 v161, v[1:2]
.LBB126_331:
	s_wait_alu 0xfffe
	s_or_b32 exec_lo, exec_lo, s0
	s_wait_storecnt_dscnt 0x0
	s_barrier_signal -1
	s_barrier_wait -1
	global_inv scope:SCOPE_SE
	s_clause 0x4
	scratch_load_b128 v[5:8], off, off offset:248
	scratch_load_b128 v[1:4], off, off offset:264
	;; [unrolled: 1-line block ×5, first 2 shown]
	ds_load_2addr_b64 v[22:25], v21 offset0:95 offset1:96
	ds_load_2addr_b64 v[26:29], v21 offset0:97 offset1:98
	ds_load_2addr_b64 v[162:165], v21 offset0:99 offset1:100
	scratch_load_b64 v[30:31], off, off offset:240
	s_mov_b32 s0, exec_lo
	s_wait_loadcnt_dscnt 0x502
	v_mul_f32_e32 v32, v23, v6
	v_dual_mul_f32 v159, v22, v6 :: v_dual_mul_f32 v160, v24, v8
	v_mul_f32_e32 v6, v25, v8
	s_wait_loadcnt_dscnt 0x300
	v_mul_f32_e32 v166, v164, v12
	s_delay_alu instid0(VALU_DEP_3)
	v_dual_mul_f32 v12, v165, v12 :: v_dual_fmac_f32 v159, v23, v5
	v_fmac_f32_e32 v160, v25, v7
	v_fma_f32 v23, v24, v7, -v6
	v_mul_f32_e32 v25, v28, v4
	v_fma_f32 v22, v22, v5, -v32
	ds_load_2addr_b64 v[5:8], v21 offset0:101 offset1:102
	v_mul_f32_e32 v24, v26, v2
	v_mul_f32_e32 v4, v29, v4
	;; [unrolled: 1-line block ×4, first 2 shown]
	v_dual_mul_f32 v2, v27, v2 :: v_dual_fmac_f32 v25, v29, v3
	v_fmac_f32_e32 v24, v27, v1
	v_fma_f32 v27, v28, v3, -v4
	v_fmac_f32_e32 v32, v163, v9
	v_fma_f32 v28, v162, v9, -v10
	v_fmac_f32_e32 v166, v165, v11
	v_fma_f32 v29, v164, v11, -v12
	ds_load_2addr_b64 v[9:12], v21 offset0:103 offset1:104
	s_wait_loadcnt_dscnt 0x201
	v_dual_mul_f32 v163, v7, v16 :: v_dual_mul_f32 v162, v5, v14
	v_mul_f32_e32 v14, v6, v14
	v_mul_f32_e32 v16, v8, v16
	s_delay_alu instid0(VALU_DEP_3)
	v_fmac_f32_e32 v163, v8, v15
	v_fma_f32 v26, v26, v1, -v2
	scratch_load_b128 v[1:4], off, off offset:328
	v_fmac_f32_e32 v162, v6, v13
	v_fma_f32 v13, v5, v13, -v14
	v_fma_f32 v14, v7, v15, -v16
	ds_load_2addr_b64 v[5:8], v21 offset0:105 offset1:106
	s_wait_loadcnt_dscnt 0x201
	v_mul_f32_e32 v15, v9, v18
	v_mul_f32_e32 v16, v10, v18
	;; [unrolled: 1-line block ×3, first 2 shown]
	s_delay_alu instid0(VALU_DEP_3) | instskip(NEXT) | instid1(VALU_DEP_3)
	v_dual_mul_f32 v20, v12, v20 :: v_dual_fmac_f32 v15, v10, v17
	v_fma_f32 v16, v9, v17, -v16
	s_delay_alu instid0(VALU_DEP_3) | instskip(NEXT) | instid1(VALU_DEP_3)
	v_fmac_f32_e32 v18, v12, v19
	v_fma_f32 v17, v11, v19, -v20
	scratch_load_b128 v[9:12], off, off offset:344
	s_wait_loadcnt_dscnt 0x100
	v_mul_f32_e32 v19, v5, v2
	v_mul_f32_e32 v2, v6, v2
	;; [unrolled: 1-line block ×3, first 2 shown]
	s_delay_alu instid0(VALU_DEP_3) | instskip(NEXT) | instid1(VALU_DEP_3)
	v_dual_mul_f32 v4, v8, v4 :: v_dual_fmac_f32 v19, v6, v1
	v_fma_f32 v164, v5, v1, -v2
	s_delay_alu instid0(VALU_DEP_3) | instskip(NEXT) | instid1(VALU_DEP_3)
	v_fmac_f32_e32 v20, v8, v3
	v_fma_f32 v165, v7, v3, -v4
	ds_load_2addr_b64 v[1:4], v21 offset0:107 offset1:108
	ds_load_2addr_b64 v[5:8], v21 offset0:109 offset1:110
	s_wait_loadcnt_dscnt 0x1
	v_mul_f32_e32 v167, v1, v10
	v_mul_f32_e32 v10, v2, v10
	s_delay_alu instid0(VALU_DEP_2) | instskip(NEXT) | instid1(VALU_DEP_2)
	v_dual_mul_f32 v168, v3, v12 :: v_dual_fmac_f32 v167, v2, v9
	v_fma_f32 v169, v1, v9, -v10
	v_mul_f32_e32 v1, v4, v12
	s_delay_alu instid0(VALU_DEP_3) | instskip(NEXT) | instid1(VALU_DEP_2)
	v_fmac_f32_e32 v168, v4, v11
	v_fma_f32 v170, v3, v11, -v1
	s_clause 0x1
	scratch_load_b128 v[1:4], off, off offset:360
	scratch_load_b128 v[9:12], off, off offset:376
	s_wait_loadcnt_dscnt 0x100
	v_mul_f32_e32 v171, v5, v2
	v_dual_mul_f32 v2, v6, v2 :: v_dual_mul_f32 v173, v7, v4
	s_delay_alu instid0(VALU_DEP_2) | instskip(NEXT) | instid1(VALU_DEP_2)
	v_fmac_f32_e32 v171, v6, v1
	v_fma_f32 v172, v5, v1, -v2
	v_mul_f32_e32 v1, v8, v4
	s_delay_alu instid0(VALU_DEP_4) | instskip(NEXT) | instid1(VALU_DEP_2)
	v_fmac_f32_e32 v173, v8, v3
	v_fma_f32 v174, v7, v3, -v1
	ds_load_2addr_b64 v[1:4], v21 offset0:111 offset1:112
	ds_load_2addr_b64 v[5:8], v21 offset0:113 offset1:114
	s_wait_loadcnt_dscnt 0x1
	v_mul_f32_e32 v175, v1, v10
	v_mul_f32_e32 v177, v3, v12
	s_delay_alu instid0(VALU_DEP_2) | instskip(NEXT) | instid1(VALU_DEP_2)
	v_fmac_f32_e32 v175, v2, v9
	v_dual_mul_f32 v2, v2, v10 :: v_dual_fmac_f32 v177, v4, v11
	s_delay_alu instid0(VALU_DEP_1) | instskip(SKIP_1) | instid1(VALU_DEP_1)
	v_fma_f32 v176, v1, v9, -v2
	v_mul_f32_e32 v1, v4, v12
	v_fma_f32 v178, v3, v11, -v1
	s_clause 0x1
	scratch_load_b128 v[1:4], off, off offset:392
	scratch_load_b128 v[9:12], off, off offset:408
	s_wait_loadcnt_dscnt 0x100
	v_mul_f32_e32 v179, v5, v2
	v_dual_mul_f32 v2, v6, v2 :: v_dual_mul_f32 v181, v7, v4
	s_delay_alu instid0(VALU_DEP_2) | instskip(NEXT) | instid1(VALU_DEP_2)
	v_fmac_f32_e32 v179, v6, v1
	v_fma_f32 v180, v5, v1, -v2
	v_mul_f32_e32 v1, v8, v4
	s_delay_alu instid0(VALU_DEP_4) | instskip(NEXT) | instid1(VALU_DEP_2)
	v_fmac_f32_e32 v181, v8, v3
	v_fma_f32 v182, v7, v3, -v1
	ds_load_2addr_b64 v[1:4], v21 offset0:115 offset1:116
	ds_load_2addr_b64 v[5:8], v21 offset0:117 offset1:118
	s_wait_loadcnt_dscnt 0x1
	v_mul_f32_e32 v183, v1, v10
	v_mul_f32_e32 v185, v3, v12
	s_delay_alu instid0(VALU_DEP_2) | instskip(NEXT) | instid1(VALU_DEP_2)
	v_fmac_f32_e32 v183, v2, v9
	v_dual_mul_f32 v2, v2, v10 :: v_dual_fmac_f32 v185, v4, v11
	s_delay_alu instid0(VALU_DEP_1) | instskip(SKIP_1) | instid1(VALU_DEP_1)
	v_fma_f32 v184, v1, v9, -v2
	v_mul_f32_e32 v1, v4, v12
	v_fma_f32 v186, v3, v11, -v1
	s_clause 0x1
	scratch_load_b128 v[1:4], off, off offset:424
	scratch_load_b128 v[9:12], off, off offset:440
	s_wait_loadcnt_dscnt 0x100
	v_mul_f32_e32 v187, v5, v2
	v_dual_mul_f32 v2, v6, v2 :: v_dual_mul_f32 v189, v7, v4
	s_delay_alu instid0(VALU_DEP_1) | instskip(SKIP_1) | instid1(VALU_DEP_1)
	v_fma_f32 v188, v5, v1, -v2
	v_add_f32_e32 v2, 0, v159
	v_dual_fmac_f32 v189, v8, v3 :: v_dual_add_f32 v2, v2, v160
	s_delay_alu instid0(VALU_DEP_1) | instskip(NEXT) | instid1(VALU_DEP_1)
	v_add_f32_e32 v2, v2, v24
	v_add_f32_e32 v2, v2, v25
	s_delay_alu instid0(VALU_DEP_1) | instskip(NEXT) | instid1(VALU_DEP_1)
	v_add_f32_e32 v2, v2, v32
	v_add_f32_e32 v2, v2, v166
	;; [unrolled: 3-line block ×4, first 2 shown]
	s_delay_alu instid0(VALU_DEP_1) | instskip(SKIP_2) | instid1(VALU_DEP_1)
	v_add_f32_e32 v5, v5, v19
	v_fmac_f32_e32 v187, v6, v1
	v_mul_f32_e32 v1, v8, v4
	v_fma_f32 v190, v7, v3, -v1
	v_add_f32_e32 v1, 0, v22
	s_delay_alu instid0(VALU_DEP_1) | instskip(NEXT) | instid1(VALU_DEP_1)
	v_add_f32_e32 v1, v1, v23
	v_add_f32_e32 v1, v1, v26
	s_delay_alu instid0(VALU_DEP_1) | instskip(NEXT) | instid1(VALU_DEP_1)
	v_add_f32_e32 v1, v1, v27
	;; [unrolled: 3-line block ×3, first 2 shown]
	v_add_f32_e32 v1, v1, v13
	s_delay_alu instid0(VALU_DEP_1) | instskip(SKIP_1) | instid1(VALU_DEP_1)
	v_add_f32_e32 v1, v1, v14
	v_add_f32_e32 v14, v5, v20
	v_dual_add_f32 v1, v1, v16 :: v_dual_add_f32 v14, v14, v167
	s_delay_alu instid0(VALU_DEP_1) | instskip(NEXT) | instid1(VALU_DEP_2)
	v_add_f32_e32 v6, v1, v17
	v_add_f32_e32 v14, v14, v168
	ds_load_2addr_b64 v[1:4], v21 offset0:119 offset1:120
	v_add_f32_e32 v6, v6, v164
	v_add_f32_e32 v17, v14, v171
	s_delay_alu instid0(VALU_DEP_1) | instskip(NEXT) | instid1(VALU_DEP_1)
	v_add_f32_e32 v17, v17, v173
	v_add_f32_e32 v17, v17, v175
	s_delay_alu instid0(VALU_DEP_1) | instskip(NEXT) | instid1(VALU_DEP_1)
	v_add_f32_e32 v17, v17, v177
	v_add_f32_e32 v23, v17, v179
	s_delay_alu instid0(VALU_DEP_1)
	v_add_f32_e32 v32, v23, v181
	v_add_f32_e32 v13, v6, v165
	ds_load_2addr_b64 v[5:8], v21 offset0:121 offset1:122
	s_wait_loadcnt_dscnt 0x1
	v_mul_f32_e32 v26, v3, v12
	v_mul_f32_e32 v12, v4, v12
	v_dual_add_f32 v32, v32, v183 :: v_dual_add_f32 v13, v13, v169
	s_delay_alu instid0(VALU_DEP_3) | instskip(NEXT) | instid1(VALU_DEP_3)
	v_fmac_f32_e32 v26, v4, v11
	v_fma_f32 v28, v3, v11, -v12
	s_delay_alu instid0(VALU_DEP_3) | instskip(NEXT) | instid1(VALU_DEP_1)
	v_dual_add_f32 v32, v32, v185 :: v_dual_add_f32 v13, v13, v170
	v_dual_add_f32 v32, v32, v187 :: v_dual_add_f32 v13, v13, v172
	s_delay_alu instid0(VALU_DEP_1) | instskip(NEXT) | instid1(VALU_DEP_2)
	v_add_f32_e32 v32, v32, v189
	v_add_f32_e32 v18, v13, v174
	scratch_load_b128 v[13:16], off, off offset:488
	v_add_f32_e32 v18, v18, v176
	s_delay_alu instid0(VALU_DEP_1) | instskip(SKIP_2) | instid1(VALU_DEP_3)
	v_add_f32_e32 v18, v18, v178
	v_mul_f32_e32 v25, v1, v10
	v_mul_f32_e32 v10, v2, v10
	v_add_f32_e32 v22, v18, v180
	s_delay_alu instid0(VALU_DEP_3) | instskip(NEXT) | instid1(VALU_DEP_3)
	v_fmac_f32_e32 v25, v2, v9
	v_fma_f32 v27, v1, v9, -v10
	s_clause 0x1
	scratch_load_b128 v[1:4], off, off offset:456
	scratch_load_b128 v[9:12], off, off offset:472
	ds_load_2addr_b64 v[17:20], v21 offset0:123 offset1:124
	v_add_f32_e32 v29, v22, v182
	ds_load_2addr_b64 v[21:24], v21 offset0:125 offset1:126
	s_wait_loadcnt_dscnt 0x200
	v_dual_add_f32 v25, v32, v25 :: v_dual_mul_f32 v164, v21, v14
	s_delay_alu instid0(VALU_DEP_1)
	v_fmac_f32_e32 v164, v22, v13
	s_wait_loadcnt 0x1
	v_mul_f32_e32 v160, v7, v4
	v_mul_f32_e32 v4, v8, v4
	v_add_f32_e32 v29, v29, v184
	v_mul_f32_e32 v159, v5, v2
	v_mul_f32_e32 v2, v6, v2
	v_fmac_f32_e32 v160, v8, v3
	s_wait_loadcnt 0x0
	v_dual_mul_f32 v162, v17, v10 :: v_dual_mul_f32 v163, v19, v12
	v_add_f32_e32 v29, v29, v186
	v_fma_f32 v3, v7, v3, -v4
	v_dual_mul_f32 v4, v20, v12 :: v_dual_fmac_f32 v159, v6, v1
	s_delay_alu instid0(VALU_DEP_3)
	v_dual_mul_f32 v6, v18, v10 :: v_dual_add_f32 v29, v29, v188
	v_fmac_f32_e32 v162, v18, v9
	v_fma_f32 v2, v5, v1, -v2
	v_add_f32_e32 v5, v25, v26
	v_fmac_f32_e32 v163, v20, v11
	v_add_f32_e32 v29, v29, v190
	v_fma_f32 v4, v19, v11, -v4
	s_delay_alu instid0(VALU_DEP_2) | instskip(SKIP_1) | instid1(VALU_DEP_2)
	v_add_f32_e32 v27, v29, v27
	v_mul_f32_e32 v29, v23, v16
	v_add_f32_e32 v1, v27, v28
	s_delay_alu instid0(VALU_DEP_1) | instskip(SKIP_2) | instid1(VALU_DEP_2)
	v_add_f32_e32 v1, v1, v2
	v_add_f32_e32 v2, v5, v159
	v_fma_f32 v5, v17, v9, -v6
	v_dual_fmac_f32 v29, v24, v15 :: v_dual_add_f32 v2, v2, v160
	s_delay_alu instid0(VALU_DEP_1) | instskip(NEXT) | instid1(VALU_DEP_1)
	v_add_f32_e32 v2, v2, v162
	v_add_f32_e32 v2, v2, v163
	;; [unrolled: 1-line block ×3, first 2 shown]
	v_mul_f32_e32 v3, v22, v14
	s_delay_alu instid0(VALU_DEP_2) | instskip(SKIP_1) | instid1(VALU_DEP_3)
	v_dual_add_f32 v2, v2, v164 :: v_dual_add_f32 v1, v1, v5
	v_mul_f32_e32 v5, v24, v16
	v_fma_f32 v3, v21, v13, -v3
	s_delay_alu instid0(VALU_DEP_3) | instskip(NEXT) | instid1(VALU_DEP_3)
	v_dual_add_f32 v2, v2, v29 :: v_dual_add_f32 v1, v1, v4
	v_fma_f32 v4, v23, v15, -v5
	s_delay_alu instid0(VALU_DEP_2) | instskip(NEXT) | instid1(VALU_DEP_1)
	v_dual_sub_f32 v2, v31, v2 :: v_dual_add_f32 v1, v1, v3
	v_add_f32_e32 v1, v1, v4
	s_delay_alu instid0(VALU_DEP_1)
	v_sub_f32_e32 v1, v30, v1
	scratch_store_b64 off, v[1:2], off offset:240
	v_cmpx_lt_u32_e32 29, v0
	s_cbranch_execz .LBB126_333
; %bb.332:
	scratch_load_b64 v[1:2], off, off offset:232
	v_mov_b32_e32 v3, 0
	s_delay_alu instid0(VALU_DEP_1)
	v_mov_b32_e32 v4, v3
	scratch_store_b64 off, v[3:4], off offset:232
	s_wait_loadcnt 0x0
	ds_store_b64 v161, v[1:2]
.LBB126_333:
	s_wait_alu 0xfffe
	s_or_b32 exec_lo, exec_lo, s0
	s_wait_storecnt_dscnt 0x0
	s_barrier_signal -1
	s_barrier_wait -1
	global_inv scope:SCOPE_SE
	s_clause 0x4
	scratch_load_b128 v[5:8], off, off offset:240
	scratch_load_b128 v[1:4], off, off offset:256
	;; [unrolled: 1-line block ×5, first 2 shown]
	v_mov_b32_e32 v21, 0
	ds_load_b128 v[22:25], v21 offset:752
	ds_load_b128 v[26:29], v21 offset:768
	;; [unrolled: 1-line block ×3, first 2 shown]
	scratch_load_b64 v[30:31], off, off offset:232
	s_mov_b32 s0, exec_lo
	s_wait_loadcnt_dscnt 0x502
	v_mul_f32_e32 v32, v23, v6
	v_dual_mul_f32 v159, v22, v6 :: v_dual_mul_f32 v160, v24, v8
	v_mul_f32_e32 v6, v25, v8
	s_wait_loadcnt_dscnt 0x300
	v_mul_f32_e32 v166, v164, v12
	v_fma_f32 v22, v22, v5, -v32
	v_dual_fmac_f32 v159, v23, v5 :: v_dual_fmac_f32 v160, v25, v7
	v_mul_f32_e32 v25, v28, v4
	v_fma_f32 v23, v24, v7, -v6
	ds_load_b128 v[5:8], v21 offset:800
	v_mul_f32_e32 v24, v26, v2
	v_mul_f32_e32 v4, v29, v4
	v_mul_f32_e32 v32, v162, v10
	v_mul_f32_e32 v10, v163, v10
	v_mul_f32_e32 v12, v165, v12
	v_dual_mul_f32 v2, v27, v2 :: v_dual_fmac_f32 v25, v29, v3
	v_fmac_f32_e32 v24, v27, v1
	v_fma_f32 v27, v28, v3, -v4
	v_fmac_f32_e32 v32, v163, v9
	v_fma_f32 v28, v162, v9, -v10
	;; [unrolled: 2-line block ×3, first 2 shown]
	ds_load_b128 v[9:12], v21 offset:816
	s_wait_loadcnt_dscnt 0x201
	v_dual_mul_f32 v163, v7, v16 :: v_dual_mul_f32 v162, v5, v14
	v_mul_f32_e32 v14, v6, v14
	v_mul_f32_e32 v16, v8, v16
	s_delay_alu instid0(VALU_DEP_3)
	v_fmac_f32_e32 v163, v8, v15
	v_fma_f32 v26, v26, v1, -v2
	scratch_load_b128 v[1:4], off, off offset:320
	v_fmac_f32_e32 v162, v6, v13
	v_fma_f32 v13, v5, v13, -v14
	v_fma_f32 v14, v7, v15, -v16
	ds_load_b128 v[5:8], v21 offset:832
	s_wait_loadcnt_dscnt 0x201
	v_mul_f32_e32 v15, v9, v18
	v_mul_f32_e32 v16, v10, v18
	;; [unrolled: 1-line block ×3, first 2 shown]
	s_delay_alu instid0(VALU_DEP_3) | instskip(NEXT) | instid1(VALU_DEP_3)
	v_dual_mul_f32 v20, v12, v20 :: v_dual_fmac_f32 v15, v10, v17
	v_fma_f32 v16, v9, v17, -v16
	s_delay_alu instid0(VALU_DEP_3) | instskip(NEXT) | instid1(VALU_DEP_3)
	v_fmac_f32_e32 v18, v12, v19
	v_fma_f32 v17, v11, v19, -v20
	scratch_load_b128 v[9:12], off, off offset:336
	s_wait_loadcnt_dscnt 0x100
	v_mul_f32_e32 v19, v5, v2
	v_mul_f32_e32 v2, v6, v2
	;; [unrolled: 1-line block ×3, first 2 shown]
	s_delay_alu instid0(VALU_DEP_3) | instskip(NEXT) | instid1(VALU_DEP_3)
	v_dual_mul_f32 v4, v8, v4 :: v_dual_fmac_f32 v19, v6, v1
	v_fma_f32 v164, v5, v1, -v2
	s_delay_alu instid0(VALU_DEP_3) | instskip(NEXT) | instid1(VALU_DEP_3)
	v_fmac_f32_e32 v20, v8, v3
	v_fma_f32 v165, v7, v3, -v4
	ds_load_b128 v[1:4], v21 offset:848
	ds_load_b128 v[5:8], v21 offset:864
	s_wait_loadcnt_dscnt 0x1
	v_mul_f32_e32 v167, v1, v10
	v_mul_f32_e32 v10, v2, v10
	s_delay_alu instid0(VALU_DEP_2) | instskip(NEXT) | instid1(VALU_DEP_2)
	v_dual_mul_f32 v168, v3, v12 :: v_dual_fmac_f32 v167, v2, v9
	v_fma_f32 v169, v1, v9, -v10
	v_mul_f32_e32 v1, v4, v12
	s_delay_alu instid0(VALU_DEP_3) | instskip(NEXT) | instid1(VALU_DEP_2)
	v_fmac_f32_e32 v168, v4, v11
	v_fma_f32 v170, v3, v11, -v1
	s_clause 0x1
	scratch_load_b128 v[1:4], off, off offset:352
	scratch_load_b128 v[9:12], off, off offset:368
	s_wait_loadcnt_dscnt 0x100
	v_mul_f32_e32 v171, v5, v2
	v_dual_mul_f32 v2, v6, v2 :: v_dual_mul_f32 v173, v7, v4
	s_delay_alu instid0(VALU_DEP_2) | instskip(NEXT) | instid1(VALU_DEP_2)
	v_fmac_f32_e32 v171, v6, v1
	v_fma_f32 v172, v5, v1, -v2
	v_mul_f32_e32 v1, v8, v4
	s_delay_alu instid0(VALU_DEP_4) | instskip(NEXT) | instid1(VALU_DEP_2)
	v_fmac_f32_e32 v173, v8, v3
	v_fma_f32 v174, v7, v3, -v1
	ds_load_b128 v[1:4], v21 offset:880
	ds_load_b128 v[5:8], v21 offset:896
	s_wait_loadcnt_dscnt 0x1
	v_mul_f32_e32 v175, v1, v10
	v_mul_f32_e32 v177, v3, v12
	s_delay_alu instid0(VALU_DEP_2) | instskip(NEXT) | instid1(VALU_DEP_2)
	v_fmac_f32_e32 v175, v2, v9
	v_dual_mul_f32 v2, v2, v10 :: v_dual_fmac_f32 v177, v4, v11
	s_delay_alu instid0(VALU_DEP_1) | instskip(SKIP_1) | instid1(VALU_DEP_1)
	v_fma_f32 v176, v1, v9, -v2
	v_mul_f32_e32 v1, v4, v12
	v_fma_f32 v178, v3, v11, -v1
	s_clause 0x1
	scratch_load_b128 v[1:4], off, off offset:384
	scratch_load_b128 v[9:12], off, off offset:400
	s_wait_loadcnt_dscnt 0x100
	v_mul_f32_e32 v179, v5, v2
	v_dual_mul_f32 v2, v6, v2 :: v_dual_mul_f32 v181, v7, v4
	s_delay_alu instid0(VALU_DEP_2) | instskip(NEXT) | instid1(VALU_DEP_2)
	v_fmac_f32_e32 v179, v6, v1
	v_fma_f32 v180, v5, v1, -v2
	v_mul_f32_e32 v1, v8, v4
	s_delay_alu instid0(VALU_DEP_4) | instskip(NEXT) | instid1(VALU_DEP_2)
	v_fmac_f32_e32 v181, v8, v3
	v_fma_f32 v182, v7, v3, -v1
	ds_load_b128 v[1:4], v21 offset:912
	ds_load_b128 v[5:8], v21 offset:928
	s_wait_loadcnt_dscnt 0x1
	v_mul_f32_e32 v183, v1, v10
	v_mul_f32_e32 v185, v3, v12
	s_delay_alu instid0(VALU_DEP_2) | instskip(NEXT) | instid1(VALU_DEP_2)
	v_fmac_f32_e32 v183, v2, v9
	v_dual_mul_f32 v2, v2, v10 :: v_dual_fmac_f32 v185, v4, v11
	s_delay_alu instid0(VALU_DEP_1) | instskip(SKIP_1) | instid1(VALU_DEP_1)
	v_fma_f32 v184, v1, v9, -v2
	v_mul_f32_e32 v1, v4, v12
	v_fma_f32 v186, v3, v11, -v1
	s_clause 0x1
	scratch_load_b128 v[1:4], off, off offset:416
	scratch_load_b128 v[9:12], off, off offset:432
	s_wait_loadcnt_dscnt 0x100
	v_mul_f32_e32 v187, v5, v2
	v_dual_mul_f32 v2, v6, v2 :: v_dual_mul_f32 v189, v7, v4
	s_delay_alu instid0(VALU_DEP_1) | instskip(SKIP_1) | instid1(VALU_DEP_1)
	v_fma_f32 v188, v5, v1, -v2
	v_add_f32_e32 v2, 0, v159
	v_dual_add_f32 v2, v2, v160 :: v_dual_fmac_f32 v189, v8, v3
	s_delay_alu instid0(VALU_DEP_1) | instskip(NEXT) | instid1(VALU_DEP_1)
	v_add_f32_e32 v2, v2, v24
	v_add_f32_e32 v2, v2, v25
	s_delay_alu instid0(VALU_DEP_1) | instskip(NEXT) | instid1(VALU_DEP_1)
	v_add_f32_e32 v2, v2, v32
	v_add_f32_e32 v2, v2, v166
	;; [unrolled: 3-line block ×4, first 2 shown]
	s_delay_alu instid0(VALU_DEP_1) | instskip(SKIP_2) | instid1(VALU_DEP_1)
	v_add_f32_e32 v5, v5, v19
	v_fmac_f32_e32 v187, v6, v1
	v_mul_f32_e32 v1, v8, v4
	v_fma_f32 v190, v7, v3, -v1
	v_add_f32_e32 v1, 0, v22
	s_delay_alu instid0(VALU_DEP_1) | instskip(NEXT) | instid1(VALU_DEP_1)
	v_add_f32_e32 v1, v1, v23
	v_add_f32_e32 v1, v1, v26
	s_delay_alu instid0(VALU_DEP_1) | instskip(SKIP_2) | instid1(VALU_DEP_1)
	v_add_f32_e32 v1, v1, v27
	scratch_load_b64 v[26:27], off, off offset:496
	v_add_f32_e32 v1, v1, v28
	v_add_f32_e32 v1, v1, v29
	s_delay_alu instid0(VALU_DEP_1) | instskip(NEXT) | instid1(VALU_DEP_1)
	v_add_f32_e32 v1, v1, v13
	v_add_f32_e32 v1, v1, v14
	;; [unrolled: 1-line block ×3, first 2 shown]
	s_delay_alu instid0(VALU_DEP_1) | instskip(NEXT) | instid1(VALU_DEP_1)
	v_add_f32_e32 v14, v14, v167
	v_add_f32_e32 v14, v14, v168
	s_delay_alu instid0(VALU_DEP_4) | instskip(NEXT) | instid1(VALU_DEP_1)
	v_add_f32_e32 v1, v1, v16
	v_dual_add_f32 v6, v1, v17 :: v_dual_add_f32 v17, v14, v171
	ds_load_b128 v[1:4], v21 offset:944
	v_dual_add_f32 v6, v6, v164 :: v_dual_add_f32 v17, v17, v173
	s_delay_alu instid0(VALU_DEP_1) | instskip(SKIP_2) | instid1(VALU_DEP_1)
	v_add_f32_e32 v13, v6, v165
	ds_load_b128 v[5:8], v21 offset:960
	v_add_f32_e32 v17, v17, v175
	v_add_f32_e32 v17, v17, v177
	s_delay_alu instid0(VALU_DEP_1) | instskip(SKIP_3) | instid1(VALU_DEP_3)
	v_add_f32_e32 v17, v17, v179
	s_wait_loadcnt_dscnt 0x101
	v_mul_f32_e32 v32, v1, v10
	v_dual_add_f32 v13, v13, v169 :: v_dual_mul_f32 v10, v2, v10
	v_add_f32_e32 v22, v17, v181
	s_delay_alu instid0(VALU_DEP_2) | instskip(NEXT) | instid1(VALU_DEP_3)
	v_dual_fmac_f32 v32, v2, v9 :: v_dual_add_f32 v13, v13, v170
	v_fma_f32 v160, v1, v9, -v10
	s_delay_alu instid0(VALU_DEP_3) | instskip(SKIP_2) | instid1(VALU_DEP_1)
	v_add_f32_e32 v29, v22, v183
	ds_load_b128 v[22:25], v21 offset:992
	v_add_f32_e32 v164, v29, v185
	v_dual_add_f32 v13, v13, v172 :: v_dual_add_f32 v164, v164, v187
	s_delay_alu instid0(VALU_DEP_1)
	v_dual_mul_f32 v159, v3, v12 :: v_dual_add_f32 v18, v13, v174
	v_mul_f32_e32 v12, v4, v12
	scratch_load_b128 v[13:16], off, off offset:480
	v_add_f32_e32 v164, v164, v189
	v_add_f32_e32 v18, v18, v176
	v_fma_f32 v162, v3, v11, -v12
	s_delay_alu instid0(VALU_DEP_3) | instskip(NEXT) | instid1(VALU_DEP_3)
	v_add_f32_e32 v32, v164, v32
	v_add_f32_e32 v18, v18, v178
	s_delay_alu instid0(VALU_DEP_1) | instskip(SKIP_4) | instid1(VALU_DEP_1)
	v_dual_add_f32 v18, v18, v180 :: v_dual_fmac_f32 v159, v4, v11
	s_clause 0x1
	scratch_load_b128 v[1:4], off, off offset:448
	scratch_load_b128 v[9:12], off, off offset:464
	v_add_f32_e32 v18, v18, v182
	v_add_f32_e32 v28, v18, v184
	ds_load_b128 v[17:20], v21 offset:976
	v_add_f32_e32 v163, v28, v186
	ds_load_b64 v[28:29], v21 offset:1008
	v_add_f32_e32 v163, v163, v188
	s_delay_alu instid0(VALU_DEP_1) | instskip(NEXT) | instid1(VALU_DEP_1)
	v_add_f32_e32 v163, v163, v190
	v_add_f32_e32 v160, v163, v160
	s_delay_alu instid0(VALU_DEP_1) | instskip(SKIP_2) | instid1(VALU_DEP_1)
	v_add_f32_e32 v160, v160, v162
	s_wait_loadcnt_dscnt 0x202
	v_dual_mul_f32 v167, v22, v14 :: v_dual_mul_f32 v162, v24, v16
	v_fmac_f32_e32 v162, v25, v15
	s_wait_loadcnt 0x1
	v_mul_f32_e32 v165, v5, v2
	v_mul_f32_e32 v2, v6, v2
	;; [unrolled: 1-line block ×3, first 2 shown]
	s_wait_loadcnt_dscnt 0x1
	v_dual_mul_f32 v4, v8, v4 :: v_dual_mul_f32 v163, v17, v10
	v_mul_f32_e32 v164, v19, v12
	v_fma_f32 v2, v5, v1, -v2
	v_dual_add_f32 v32, v32, v159 :: v_dual_fmac_f32 v165, v6, v1
	v_fmac_f32_e32 v166, v8, v3
	v_fma_f32 v1, v7, v3, -v4
	v_mul_f32_e32 v3, v18, v10
	v_dual_add_f32 v2, v160, v2 :: v_dual_fmac_f32 v163, v18, v9
	v_fmac_f32_e32 v164, v20, v11
	s_wait_dscnt 0x0
	v_mul_f32_e32 v159, v28, v27
	v_fma_f32 v3, v17, v9, -v3
	v_add_f32_e32 v1, v2, v1
	s_delay_alu instid0(VALU_DEP_1) | instskip(NEXT) | instid1(VALU_DEP_1)
	v_dual_add_f32 v4, v32, v165 :: v_dual_add_f32 v1, v1, v3
	v_add_f32_e32 v2, v4, v166
	v_dual_mul_f32 v5, v20, v12 :: v_dual_mul_f32 v4, v23, v14
	v_mul_f32_e32 v3, v25, v16
	s_delay_alu instid0(VALU_DEP_3) | instskip(NEXT) | instid1(VALU_DEP_3)
	v_dual_fmac_f32 v159, v29, v26 :: v_dual_add_f32 v2, v2, v163
	v_fma_f32 v5, v19, v11, -v5
	v_fmac_f32_e32 v167, v23, v13
	v_fma_f32 v4, v22, v13, -v4
	v_fma_f32 v3, v24, v15, -v3
	s_delay_alu instid0(VALU_DEP_4) | instskip(NEXT) | instid1(VALU_DEP_1)
	v_dual_add_f32 v2, v2, v164 :: v_dual_add_f32 v1, v1, v5
	v_add_f32_e32 v2, v2, v167
	s_delay_alu instid0(VALU_DEP_1) | instskip(NEXT) | instid1(VALU_DEP_3)
	v_dual_mul_f32 v5, v29, v27 :: v_dual_add_f32 v2, v2, v162
	v_add_f32_e32 v1, v1, v4
	s_delay_alu instid0(VALU_DEP_2) | instskip(NEXT) | instid1(VALU_DEP_3)
	v_fma_f32 v4, v28, v26, -v5
	v_add_f32_e32 v2, v2, v159
	s_delay_alu instid0(VALU_DEP_1) | instskip(NEXT) | instid1(VALU_DEP_1)
	v_dual_add_f32 v1, v1, v3 :: v_dual_sub_f32 v2, v31, v2
	v_add_f32_e32 v1, v1, v4
	s_delay_alu instid0(VALU_DEP_1)
	v_sub_f32_e32 v1, v30, v1
	scratch_store_b64 off, v[1:2], off offset:232
	v_cmpx_lt_u32_e32 28, v0
	s_cbranch_execz .LBB126_335
; %bb.334:
	scratch_load_b64 v[1:2], off, off offset:224
	v_mov_b32_e32 v22, v21
	scratch_store_b64 off, v[21:22], off offset:224
	s_wait_loadcnt 0x0
	ds_store_b64 v161, v[1:2]
.LBB126_335:
	s_wait_alu 0xfffe
	s_or_b32 exec_lo, exec_lo, s0
	s_wait_storecnt_dscnt 0x0
	s_barrier_signal -1
	s_barrier_wait -1
	global_inv scope:SCOPE_SE
	s_clause 0x4
	scratch_load_b128 v[5:8], off, off offset:232
	scratch_load_b128 v[1:4], off, off offset:248
	;; [unrolled: 1-line block ×5, first 2 shown]
	ds_load_2addr_b64 v[22:25], v21 offset0:93 offset1:94
	ds_load_2addr_b64 v[26:29], v21 offset0:95 offset1:96
	;; [unrolled: 1-line block ×3, first 2 shown]
	scratch_load_b64 v[30:31], off, off offset:224
	s_mov_b32 s0, exec_lo
	s_wait_loadcnt_dscnt 0x502
	v_mul_f32_e32 v32, v23, v6
	v_dual_mul_f32 v159, v22, v6 :: v_dual_mul_f32 v160, v24, v8
	v_mul_f32_e32 v6, v25, v8
	s_wait_loadcnt_dscnt 0x300
	v_mul_f32_e32 v166, v164, v12
	s_delay_alu instid0(VALU_DEP_3)
	v_dual_mul_f32 v12, v165, v12 :: v_dual_fmac_f32 v159, v23, v5
	v_fmac_f32_e32 v160, v25, v7
	v_fma_f32 v23, v24, v7, -v6
	v_mul_f32_e32 v25, v28, v4
	v_fma_f32 v22, v22, v5, -v32
	ds_load_2addr_b64 v[5:8], v21 offset0:99 offset1:100
	v_mul_f32_e32 v24, v26, v2
	v_mul_f32_e32 v4, v29, v4
	;; [unrolled: 1-line block ×4, first 2 shown]
	v_dual_mul_f32 v2, v27, v2 :: v_dual_fmac_f32 v25, v29, v3
	v_fmac_f32_e32 v24, v27, v1
	v_fma_f32 v27, v28, v3, -v4
	v_fmac_f32_e32 v32, v163, v9
	v_fma_f32 v28, v162, v9, -v10
	;; [unrolled: 2-line block ×3, first 2 shown]
	ds_load_2addr_b64 v[9:12], v21 offset0:101 offset1:102
	s_wait_loadcnt_dscnt 0x201
	v_dual_mul_f32 v163, v7, v16 :: v_dual_mul_f32 v162, v5, v14
	v_mul_f32_e32 v14, v6, v14
	v_mul_f32_e32 v16, v8, v16
	s_delay_alu instid0(VALU_DEP_3)
	v_fmac_f32_e32 v163, v8, v15
	v_fma_f32 v26, v26, v1, -v2
	scratch_load_b128 v[1:4], off, off offset:312
	v_fmac_f32_e32 v162, v6, v13
	v_fma_f32 v13, v5, v13, -v14
	v_fma_f32 v14, v7, v15, -v16
	ds_load_2addr_b64 v[5:8], v21 offset0:103 offset1:104
	s_wait_loadcnt_dscnt 0x201
	v_mul_f32_e32 v15, v9, v18
	v_mul_f32_e32 v16, v10, v18
	;; [unrolled: 1-line block ×3, first 2 shown]
	s_delay_alu instid0(VALU_DEP_3) | instskip(NEXT) | instid1(VALU_DEP_3)
	v_dual_mul_f32 v20, v12, v20 :: v_dual_fmac_f32 v15, v10, v17
	v_fma_f32 v16, v9, v17, -v16
	s_delay_alu instid0(VALU_DEP_3) | instskip(NEXT) | instid1(VALU_DEP_3)
	v_fmac_f32_e32 v18, v12, v19
	v_fma_f32 v17, v11, v19, -v20
	scratch_load_b128 v[9:12], off, off offset:328
	s_wait_loadcnt_dscnt 0x100
	v_mul_f32_e32 v19, v5, v2
	v_mul_f32_e32 v2, v6, v2
	v_mul_f32_e32 v20, v7, v4
	s_delay_alu instid0(VALU_DEP_3) | instskip(NEXT) | instid1(VALU_DEP_3)
	v_dual_mul_f32 v4, v8, v4 :: v_dual_fmac_f32 v19, v6, v1
	v_fma_f32 v164, v5, v1, -v2
	s_delay_alu instid0(VALU_DEP_3) | instskip(NEXT) | instid1(VALU_DEP_3)
	v_fmac_f32_e32 v20, v8, v3
	v_fma_f32 v165, v7, v3, -v4
	ds_load_2addr_b64 v[1:4], v21 offset0:105 offset1:106
	ds_load_2addr_b64 v[5:8], v21 offset0:107 offset1:108
	s_wait_loadcnt_dscnt 0x1
	v_mul_f32_e32 v167, v1, v10
	v_mul_f32_e32 v10, v2, v10
	s_delay_alu instid0(VALU_DEP_2) | instskip(NEXT) | instid1(VALU_DEP_2)
	v_dual_mul_f32 v168, v3, v12 :: v_dual_fmac_f32 v167, v2, v9
	v_fma_f32 v169, v1, v9, -v10
	v_mul_f32_e32 v1, v4, v12
	s_delay_alu instid0(VALU_DEP_3) | instskip(NEXT) | instid1(VALU_DEP_2)
	v_fmac_f32_e32 v168, v4, v11
	v_fma_f32 v170, v3, v11, -v1
	s_clause 0x1
	scratch_load_b128 v[1:4], off, off offset:344
	scratch_load_b128 v[9:12], off, off offset:360
	s_wait_loadcnt_dscnt 0x100
	v_mul_f32_e32 v171, v5, v2
	v_dual_mul_f32 v2, v6, v2 :: v_dual_mul_f32 v173, v7, v4
	s_delay_alu instid0(VALU_DEP_2) | instskip(NEXT) | instid1(VALU_DEP_2)
	v_fmac_f32_e32 v171, v6, v1
	v_fma_f32 v172, v5, v1, -v2
	v_mul_f32_e32 v1, v8, v4
	s_delay_alu instid0(VALU_DEP_4) | instskip(NEXT) | instid1(VALU_DEP_2)
	v_fmac_f32_e32 v173, v8, v3
	v_fma_f32 v174, v7, v3, -v1
	ds_load_2addr_b64 v[1:4], v21 offset0:109 offset1:110
	ds_load_2addr_b64 v[5:8], v21 offset0:111 offset1:112
	s_wait_loadcnt_dscnt 0x1
	v_mul_f32_e32 v175, v1, v10
	v_mul_f32_e32 v177, v3, v12
	s_delay_alu instid0(VALU_DEP_2) | instskip(NEXT) | instid1(VALU_DEP_2)
	v_fmac_f32_e32 v175, v2, v9
	v_dual_mul_f32 v2, v2, v10 :: v_dual_fmac_f32 v177, v4, v11
	s_delay_alu instid0(VALU_DEP_1) | instskip(SKIP_1) | instid1(VALU_DEP_1)
	v_fma_f32 v176, v1, v9, -v2
	v_mul_f32_e32 v1, v4, v12
	v_fma_f32 v178, v3, v11, -v1
	s_clause 0x1
	scratch_load_b128 v[1:4], off, off offset:376
	scratch_load_b128 v[9:12], off, off offset:392
	s_wait_loadcnt_dscnt 0x100
	v_mul_f32_e32 v179, v5, v2
	v_dual_mul_f32 v2, v6, v2 :: v_dual_mul_f32 v181, v7, v4
	s_delay_alu instid0(VALU_DEP_2) | instskip(NEXT) | instid1(VALU_DEP_2)
	v_fmac_f32_e32 v179, v6, v1
	v_fma_f32 v180, v5, v1, -v2
	v_mul_f32_e32 v1, v8, v4
	s_delay_alu instid0(VALU_DEP_4) | instskip(NEXT) | instid1(VALU_DEP_2)
	v_fmac_f32_e32 v181, v8, v3
	v_fma_f32 v182, v7, v3, -v1
	ds_load_2addr_b64 v[1:4], v21 offset0:113 offset1:114
	ds_load_2addr_b64 v[5:8], v21 offset0:115 offset1:116
	s_wait_loadcnt_dscnt 0x1
	v_mul_f32_e32 v183, v1, v10
	v_mul_f32_e32 v185, v3, v12
	s_delay_alu instid0(VALU_DEP_2) | instskip(NEXT) | instid1(VALU_DEP_2)
	v_fmac_f32_e32 v183, v2, v9
	v_dual_mul_f32 v2, v2, v10 :: v_dual_fmac_f32 v185, v4, v11
	s_delay_alu instid0(VALU_DEP_1) | instskip(SKIP_1) | instid1(VALU_DEP_1)
	v_fma_f32 v184, v1, v9, -v2
	v_mul_f32_e32 v1, v4, v12
	v_fma_f32 v186, v3, v11, -v1
	s_clause 0x1
	scratch_load_b128 v[1:4], off, off offset:408
	scratch_load_b128 v[9:12], off, off offset:424
	s_wait_loadcnt_dscnt 0x100
	v_mul_f32_e32 v187, v5, v2
	v_dual_mul_f32 v2, v6, v2 :: v_dual_mul_f32 v189, v7, v4
	s_delay_alu instid0(VALU_DEP_1) | instskip(SKIP_1) | instid1(VALU_DEP_3)
	v_fma_f32 v188, v5, v1, -v2
	v_add_f32_e32 v2, 0, v159
	v_fmac_f32_e32 v189, v8, v3
	v_fmac_f32_e32 v187, v6, v1
	s_delay_alu instid0(VALU_DEP_3) | instskip(NEXT) | instid1(VALU_DEP_1)
	v_add_f32_e32 v2, v2, v160
	v_add_f32_e32 v2, v2, v24
	s_delay_alu instid0(VALU_DEP_1) | instskip(NEXT) | instid1(VALU_DEP_1)
	v_dual_mul_f32 v1, v8, v4 :: v_dual_add_f32 v2, v2, v25
	v_fma_f32 v190, v7, v3, -v1
	s_delay_alu instid0(VALU_DEP_2) | instskip(NEXT) | instid1(VALU_DEP_1)
	v_dual_add_f32 v1, 0, v22 :: v_dual_add_f32 v2, v2, v32
	v_dual_add_f32 v1, v1, v23 :: v_dual_add_f32 v2, v2, v166
	s_delay_alu instid0(VALU_DEP_1) | instskip(NEXT) | instid1(VALU_DEP_1)
	v_add_f32_e32 v2, v2, v162
	v_dual_add_f32 v1, v1, v26 :: v_dual_add_f32 v2, v2, v163
	s_delay_alu instid0(VALU_DEP_1) | instskip(NEXT) | instid1(VALU_DEP_1)
	v_add_f32_e32 v1, v1, v27
	v_dual_add_f32 v2, v2, v15 :: v_dual_add_f32 v1, v1, v28
	s_delay_alu instid0(VALU_DEP_1) | instskip(NEXT) | instid1(VALU_DEP_2)
	v_add_f32_e32 v5, v2, v18
	v_add_f32_e32 v1, v1, v29
	s_delay_alu instid0(VALU_DEP_1) | instskip(NEXT) | instid1(VALU_DEP_3)
	v_add_f32_e32 v1, v1, v13
	v_add_f32_e32 v13, v5, v19
	s_delay_alu instid0(VALU_DEP_1) | instskip(NEXT) | instid1(VALU_DEP_1)
	v_add_f32_e32 v13, v13, v20
	v_add_f32_e32 v13, v13, v167
	s_delay_alu instid0(VALU_DEP_1) | instskip(NEXT) | instid1(VALU_DEP_1)
	v_add_f32_e32 v18, v13, v168
	v_dual_add_f32 v18, v18, v171 :: v_dual_add_f32 v1, v1, v14
	s_delay_alu instid0(VALU_DEP_1) | instskip(NEXT) | instid1(VALU_DEP_1)
	v_dual_add_f32 v18, v18, v173 :: v_dual_add_f32 v1, v1, v16
	v_dual_add_f32 v22, v18, v175 :: v_dual_add_f32 v1, v1, v17
	s_delay_alu instid0(VALU_DEP_1) | instskip(NEXT) | instid1(VALU_DEP_2)
	v_add_f32_e32 v22, v22, v177
	v_add_f32_e32 v6, v1, v164
	ds_load_2addr_b64 v[1:4], v21 offset0:117 offset1:118
	v_add_f32_e32 v22, v22, v179
	v_add_f32_e32 v14, v6, v165
	scratch_load_b128 v[5:8], off, off offset:440
	v_add_f32_e32 v14, v14, v169
	s_delay_alu instid0(VALU_DEP_1)
	v_add_f32_e32 v17, v14, v170
	ds_load_2addr_b64 v[13:16], v21 offset0:119 offset1:120
	s_wait_loadcnt_dscnt 0x101
	v_mul_f32_e32 v25, v1, v10
	v_mul_f32_e32 v10, v2, v10
	;; [unrolled: 1-line block ×3, first 2 shown]
	s_delay_alu instid0(VALU_DEP_3) | instskip(NEXT) | instid1(VALU_DEP_3)
	v_dual_mul_f32 v12, v4, v12 :: v_dual_fmac_f32 v25, v2, v9
	v_fma_f32 v27, v1, v9, -v10
	s_delay_alu instid0(VALU_DEP_3) | instskip(NEXT) | instid1(VALU_DEP_3)
	v_fmac_f32_e32 v26, v4, v11
	v_fma_f32 v28, v3, v11, -v12
	s_clause 0x1
	scratch_load_b128 v[1:4], off, off offset:456
	scratch_load_b128 v[9:12], off, off offset:472
	s_wait_loadcnt_dscnt 0x200
	v_mul_f32_e32 v32, v15, v8
	v_add_f32_e32 v17, v17, v172
	v_mul_f32_e32 v29, v13, v6
	v_mul_f32_e32 v6, v14, v6
	;; [unrolled: 1-line block ×3, first 2 shown]
	s_delay_alu instid0(VALU_DEP_4) | instskip(NEXT) | instid1(VALU_DEP_3)
	v_dual_fmac_f32 v32, v16, v7 :: v_dual_add_f32 v17, v17, v174
	v_fma_f32 v159, v13, v5, -v6
	v_add_f32_e32 v13, v22, v181
	s_delay_alu instid0(VALU_DEP_4) | instskip(NEXT) | instid1(VALU_DEP_4)
	v_fma_f32 v160, v15, v7, -v8
	v_add_f32_e32 v17, v17, v176
	s_delay_alu instid0(VALU_DEP_1) | instskip(SKIP_2) | instid1(VALU_DEP_1)
	v_add_f32_e32 v23, v17, v178
	scratch_load_b128 v[17:20], off, off offset:488
	v_add_f32_e32 v23, v23, v180
	v_add_f32_e32 v23, v23, v182
	s_delay_alu instid0(VALU_DEP_1) | instskip(SKIP_4) | instid1(VALU_DEP_1)
	v_dual_add_f32 v22, v23, v184 :: v_dual_fmac_f32 v29, v14, v5
	ds_load_2addr_b64 v[5:8], v21 offset0:121 offset1:122
	v_add_f32_e32 v23, v13, v183
	ds_load_2addr_b64 v[13:16], v21 offset0:123 offset1:124
	v_add_f32_e32 v162, v22, v186
	v_dual_add_f32 v162, v162, v188 :: v_dual_add_f32 v163, v23, v185
	ds_load_2addr_b64 v[21:24], v21 offset0:125 offset1:126
	v_dual_add_f32 v162, v162, v190 :: v_dual_add_f32 v163, v163, v187
	s_delay_alu instid0(VALU_DEP_1) | instskip(SKIP_1) | instid1(VALU_DEP_2)
	v_add_f32_e32 v27, v162, v27
	s_wait_loadcnt_dscnt 0x202
	v_dual_add_f32 v163, v163, v189 :: v_dual_mul_f32 v164, v5, v2
	v_mul_f32_e32 v2, v6, v2
	v_mul_f32_e32 v162, v7, v4
	s_wait_loadcnt_dscnt 0x101
	v_mul_f32_e32 v165, v15, v12
	v_dual_add_f32 v25, v163, v25 :: v_dual_mul_f32 v4, v8, v4
	v_fmac_f32_e32 v164, v6, v1
	v_dual_mul_f32 v6, v14, v10 :: v_dual_add_f32 v27, v27, v28
	s_delay_alu instid0(VALU_DEP_3) | instskip(NEXT) | instid1(VALU_DEP_4)
	v_dual_fmac_f32 v162, v8, v3 :: v_dual_add_f32 v25, v25, v26
	v_fma_f32 v3, v7, v3, -v4
	v_dual_mul_f32 v4, v16, v12 :: v_dual_mul_f32 v163, v13, v10
	v_fma_f32 v2, v5, v1, -v2
	s_delay_alu instid0(VALU_DEP_4) | instskip(NEXT) | instid1(VALU_DEP_3)
	v_add_f32_e32 v25, v25, v29
	v_fma_f32 v4, v15, v11, -v4
	s_wait_loadcnt_dscnt 0x0
	v_mul_f32_e32 v26, v21, v18
	v_mul_f32_e32 v28, v23, v20
	v_add_f32_e32 v5, v25, v32
	v_fmac_f32_e32 v163, v14, v9
	s_delay_alu instid0(VALU_DEP_4) | instskip(NEXT) | instid1(VALU_DEP_4)
	v_dual_fmac_f32 v26, v22, v17 :: v_dual_add_f32 v27, v27, v159
	v_fmac_f32_e32 v28, v24, v19
	v_fmac_f32_e32 v165, v16, v11
	s_delay_alu instid0(VALU_DEP_3) | instskip(NEXT) | instid1(VALU_DEP_1)
	v_add_f32_e32 v1, v27, v160
	v_add_f32_e32 v1, v1, v2
	;; [unrolled: 1-line block ×3, first 2 shown]
	v_fma_f32 v5, v13, v9, -v6
	s_delay_alu instid0(VALU_DEP_2) | instskip(NEXT) | instid1(VALU_DEP_1)
	v_add_f32_e32 v2, v2, v162
	v_add_f32_e32 v2, v2, v163
	s_delay_alu instid0(VALU_DEP_1) | instskip(SKIP_1) | instid1(VALU_DEP_2)
	v_dual_add_f32 v2, v2, v165 :: v_dual_add_f32 v1, v1, v3
	v_mul_f32_e32 v3, v22, v18
	v_add_f32_e32 v2, v2, v26
	s_delay_alu instid0(VALU_DEP_2) | instskip(NEXT) | instid1(VALU_DEP_2)
	v_fma_f32 v3, v21, v17, -v3
	v_dual_add_f32 v2, v2, v28 :: v_dual_add_f32 v1, v1, v5
	s_delay_alu instid0(VALU_DEP_1) | instskip(NEXT) | instid1(VALU_DEP_2)
	v_dual_mul_f32 v5, v24, v20 :: v_dual_sub_f32 v2, v31, v2
	v_add_f32_e32 v1, v1, v4
	s_delay_alu instid0(VALU_DEP_2) | instskip(NEXT) | instid1(VALU_DEP_2)
	v_fma_f32 v4, v23, v19, -v5
	v_add_f32_e32 v1, v1, v3
	s_delay_alu instid0(VALU_DEP_1) | instskip(NEXT) | instid1(VALU_DEP_1)
	v_add_f32_e32 v1, v1, v4
	v_sub_f32_e32 v1, v30, v1
	scratch_store_b64 off, v[1:2], off offset:224
	v_cmpx_lt_u32_e32 27, v0
	s_cbranch_execz .LBB126_337
; %bb.336:
	scratch_load_b64 v[1:2], off, off offset:216
	v_mov_b32_e32 v3, 0
	s_delay_alu instid0(VALU_DEP_1)
	v_mov_b32_e32 v4, v3
	scratch_store_b64 off, v[3:4], off offset:216
	s_wait_loadcnt 0x0
	ds_store_b64 v161, v[1:2]
.LBB126_337:
	s_wait_alu 0xfffe
	s_or_b32 exec_lo, exec_lo, s0
	s_wait_storecnt_dscnt 0x0
	s_barrier_signal -1
	s_barrier_wait -1
	global_inv scope:SCOPE_SE
	s_clause 0x4
	scratch_load_b128 v[5:8], off, off offset:224
	scratch_load_b128 v[1:4], off, off offset:240
	;; [unrolled: 1-line block ×5, first 2 shown]
	v_mov_b32_e32 v21, 0
	ds_load_b128 v[22:25], v21 offset:736
	ds_load_b128 v[26:29], v21 offset:752
	;; [unrolled: 1-line block ×3, first 2 shown]
	scratch_load_b64 v[30:31], off, off offset:216
	s_mov_b32 s0, exec_lo
	s_wait_loadcnt_dscnt 0x502
	v_mul_f32_e32 v32, v23, v6
	v_dual_mul_f32 v159, v22, v6 :: v_dual_mul_f32 v160, v24, v8
	v_mul_f32_e32 v6, v25, v8
	s_wait_loadcnt_dscnt 0x300
	v_mul_f32_e32 v166, v164, v12
	v_fma_f32 v22, v22, v5, -v32
	v_dual_fmac_f32 v159, v23, v5 :: v_dual_fmac_f32 v160, v25, v7
	v_mul_f32_e32 v25, v28, v4
	v_fma_f32 v23, v24, v7, -v6
	ds_load_b128 v[5:8], v21 offset:784
	v_mul_f32_e32 v24, v26, v2
	v_mul_f32_e32 v4, v29, v4
	;; [unrolled: 1-line block ×5, first 2 shown]
	v_dual_mul_f32 v2, v27, v2 :: v_dual_fmac_f32 v25, v29, v3
	v_fmac_f32_e32 v24, v27, v1
	v_fma_f32 v27, v28, v3, -v4
	v_fmac_f32_e32 v32, v163, v9
	v_fma_f32 v28, v162, v9, -v10
	;; [unrolled: 2-line block ×3, first 2 shown]
	ds_load_b128 v[9:12], v21 offset:800
	s_wait_loadcnt_dscnt 0x201
	v_dual_mul_f32 v163, v7, v16 :: v_dual_mul_f32 v162, v5, v14
	v_mul_f32_e32 v14, v6, v14
	v_mul_f32_e32 v16, v8, v16
	s_delay_alu instid0(VALU_DEP_3)
	v_fmac_f32_e32 v163, v8, v15
	v_fma_f32 v26, v26, v1, -v2
	scratch_load_b128 v[1:4], off, off offset:304
	v_fmac_f32_e32 v162, v6, v13
	v_fma_f32 v13, v5, v13, -v14
	v_fma_f32 v14, v7, v15, -v16
	ds_load_b128 v[5:8], v21 offset:816
	s_wait_loadcnt_dscnt 0x201
	v_mul_f32_e32 v15, v9, v18
	v_mul_f32_e32 v16, v10, v18
	;; [unrolled: 1-line block ×3, first 2 shown]
	s_delay_alu instid0(VALU_DEP_3) | instskip(NEXT) | instid1(VALU_DEP_3)
	v_dual_mul_f32 v20, v12, v20 :: v_dual_fmac_f32 v15, v10, v17
	v_fma_f32 v16, v9, v17, -v16
	s_delay_alu instid0(VALU_DEP_3) | instskip(NEXT) | instid1(VALU_DEP_3)
	v_fmac_f32_e32 v18, v12, v19
	v_fma_f32 v17, v11, v19, -v20
	scratch_load_b128 v[9:12], off, off offset:320
	s_wait_loadcnt_dscnt 0x100
	v_mul_f32_e32 v19, v5, v2
	v_mul_f32_e32 v2, v6, v2
	v_mul_f32_e32 v20, v7, v4
	s_delay_alu instid0(VALU_DEP_3) | instskip(NEXT) | instid1(VALU_DEP_3)
	v_dual_mul_f32 v4, v8, v4 :: v_dual_fmac_f32 v19, v6, v1
	v_fma_f32 v164, v5, v1, -v2
	s_delay_alu instid0(VALU_DEP_3) | instskip(NEXT) | instid1(VALU_DEP_3)
	v_fmac_f32_e32 v20, v8, v3
	v_fma_f32 v165, v7, v3, -v4
	ds_load_b128 v[1:4], v21 offset:832
	ds_load_b128 v[5:8], v21 offset:848
	s_wait_loadcnt_dscnt 0x1
	v_mul_f32_e32 v167, v1, v10
	v_mul_f32_e32 v10, v2, v10
	s_delay_alu instid0(VALU_DEP_2) | instskip(NEXT) | instid1(VALU_DEP_2)
	v_dual_mul_f32 v168, v3, v12 :: v_dual_fmac_f32 v167, v2, v9
	v_fma_f32 v169, v1, v9, -v10
	v_mul_f32_e32 v1, v4, v12
	s_delay_alu instid0(VALU_DEP_3) | instskip(NEXT) | instid1(VALU_DEP_2)
	v_fmac_f32_e32 v168, v4, v11
	v_fma_f32 v170, v3, v11, -v1
	s_clause 0x1
	scratch_load_b128 v[1:4], off, off offset:336
	scratch_load_b128 v[9:12], off, off offset:352
	s_wait_loadcnt_dscnt 0x100
	v_mul_f32_e32 v171, v5, v2
	v_dual_mul_f32 v2, v6, v2 :: v_dual_mul_f32 v173, v7, v4
	s_delay_alu instid0(VALU_DEP_2) | instskip(NEXT) | instid1(VALU_DEP_2)
	v_fmac_f32_e32 v171, v6, v1
	v_fma_f32 v172, v5, v1, -v2
	v_mul_f32_e32 v1, v8, v4
	s_delay_alu instid0(VALU_DEP_4) | instskip(NEXT) | instid1(VALU_DEP_2)
	v_fmac_f32_e32 v173, v8, v3
	v_fma_f32 v174, v7, v3, -v1
	ds_load_b128 v[1:4], v21 offset:864
	ds_load_b128 v[5:8], v21 offset:880
	s_wait_loadcnt_dscnt 0x1
	v_mul_f32_e32 v175, v1, v10
	v_mul_f32_e32 v177, v3, v12
	s_delay_alu instid0(VALU_DEP_2) | instskip(NEXT) | instid1(VALU_DEP_2)
	v_fmac_f32_e32 v175, v2, v9
	v_dual_mul_f32 v2, v2, v10 :: v_dual_fmac_f32 v177, v4, v11
	s_delay_alu instid0(VALU_DEP_1) | instskip(SKIP_1) | instid1(VALU_DEP_1)
	v_fma_f32 v176, v1, v9, -v2
	v_mul_f32_e32 v1, v4, v12
	v_fma_f32 v178, v3, v11, -v1
	s_clause 0x1
	scratch_load_b128 v[1:4], off, off offset:368
	scratch_load_b128 v[9:12], off, off offset:384
	s_wait_loadcnt_dscnt 0x100
	v_mul_f32_e32 v179, v5, v2
	v_dual_mul_f32 v2, v6, v2 :: v_dual_mul_f32 v181, v7, v4
	s_delay_alu instid0(VALU_DEP_2) | instskip(NEXT) | instid1(VALU_DEP_2)
	v_fmac_f32_e32 v179, v6, v1
	v_fma_f32 v180, v5, v1, -v2
	v_mul_f32_e32 v1, v8, v4
	s_delay_alu instid0(VALU_DEP_4) | instskip(NEXT) | instid1(VALU_DEP_2)
	v_fmac_f32_e32 v181, v8, v3
	v_fma_f32 v182, v7, v3, -v1
	ds_load_b128 v[1:4], v21 offset:896
	ds_load_b128 v[5:8], v21 offset:912
	s_wait_loadcnt_dscnt 0x1
	v_mul_f32_e32 v183, v1, v10
	v_mul_f32_e32 v185, v3, v12
	s_delay_alu instid0(VALU_DEP_2) | instskip(NEXT) | instid1(VALU_DEP_2)
	v_fmac_f32_e32 v183, v2, v9
	v_dual_mul_f32 v2, v2, v10 :: v_dual_fmac_f32 v185, v4, v11
	s_delay_alu instid0(VALU_DEP_1) | instskip(SKIP_1) | instid1(VALU_DEP_1)
	v_fma_f32 v184, v1, v9, -v2
	v_mul_f32_e32 v1, v4, v12
	v_fma_f32 v186, v3, v11, -v1
	s_clause 0x1
	scratch_load_b128 v[1:4], off, off offset:400
	scratch_load_b128 v[9:12], off, off offset:416
	s_wait_loadcnt_dscnt 0x100
	v_mul_f32_e32 v187, v5, v2
	v_dual_mul_f32 v2, v6, v2 :: v_dual_mul_f32 v189, v7, v4
	s_delay_alu instid0(VALU_DEP_1) | instskip(SKIP_1) | instid1(VALU_DEP_1)
	v_fma_f32 v188, v5, v1, -v2
	v_add_f32_e32 v2, 0, v159
	v_dual_add_f32 v2, v2, v160 :: v_dual_fmac_f32 v189, v8, v3
	v_fmac_f32_e32 v187, v6, v1
	s_delay_alu instid0(VALU_DEP_2) | instskip(NEXT) | instid1(VALU_DEP_1)
	v_add_f32_e32 v2, v2, v24
	v_dual_mul_f32 v1, v8, v4 :: v_dual_add_f32 v2, v2, v25
	s_delay_alu instid0(VALU_DEP_1) | instskip(NEXT) | instid1(VALU_DEP_2)
	v_fma_f32 v190, v7, v3, -v1
	v_dual_add_f32 v1, 0, v22 :: v_dual_add_f32 v2, v2, v32
	s_delay_alu instid0(VALU_DEP_1) | instskip(NEXT) | instid1(VALU_DEP_1)
	v_dual_add_f32 v1, v1, v23 :: v_dual_add_f32 v2, v2, v166
	v_add_f32_e32 v2, v2, v162
	s_delay_alu instid0(VALU_DEP_1) | instskip(NEXT) | instid1(VALU_DEP_1)
	v_dual_add_f32 v1, v1, v26 :: v_dual_add_f32 v2, v2, v163
	v_add_f32_e32 v1, v1, v27
	scratch_load_b64 v[26:27], off, off offset:496
	v_dual_add_f32 v2, v2, v15 :: v_dual_add_f32 v1, v1, v28
	s_delay_alu instid0(VALU_DEP_1) | instskip(NEXT) | instid1(VALU_DEP_2)
	v_add_f32_e32 v5, v2, v18
	v_add_f32_e32 v1, v1, v29
	s_delay_alu instid0(VALU_DEP_1) | instskip(NEXT) | instid1(VALU_DEP_3)
	v_add_f32_e32 v1, v1, v13
	v_add_f32_e32 v13, v5, v19
	s_delay_alu instid0(VALU_DEP_1) | instskip(NEXT) | instid1(VALU_DEP_1)
	v_add_f32_e32 v13, v13, v20
	v_add_f32_e32 v13, v13, v167
	s_delay_alu instid0(VALU_DEP_1) | instskip(NEXT) | instid1(VALU_DEP_1)
	v_add_f32_e32 v18, v13, v168
	v_dual_add_f32 v18, v18, v171 :: v_dual_add_f32 v1, v1, v14
	s_delay_alu instid0(VALU_DEP_1) | instskip(NEXT) | instid1(VALU_DEP_1)
	v_dual_add_f32 v18, v18, v173 :: v_dual_add_f32 v1, v1, v16
	v_dual_add_f32 v22, v18, v175 :: v_dual_add_f32 v1, v1, v17
	s_delay_alu instid0(VALU_DEP_1) | instskip(NEXT) | instid1(VALU_DEP_2)
	v_add_f32_e32 v22, v22, v177
	v_add_f32_e32 v6, v1, v164
	scratch_load_b128 v[1:4], off, off offset:432
	v_add_f32_e32 v22, v22, v179
	v_add_f32_e32 v14, v6, v165
	ds_load_b128 v[5:8], v21 offset:928
	v_add_f32_e32 v22, v22, v181
	v_add_f32_e32 v14, v14, v169
	s_delay_alu instid0(VALU_DEP_1)
	v_add_f32_e32 v17, v14, v170
	ds_load_b128 v[13:16], v21 offset:944
	s_wait_loadcnt_dscnt 0x201
	v_dual_mul_f32 v32, v5, v10 :: v_dual_mul_f32 v159, v7, v12
	v_mul_f32_e32 v10, v6, v10
	v_mul_f32_e32 v12, v8, v12
	s_delay_alu instid0(VALU_DEP_3) | instskip(NEXT) | instid1(VALU_DEP_3)
	v_dual_fmac_f32 v32, v6, v9 :: v_dual_fmac_f32 v159, v8, v11
	v_fma_f32 v160, v5, v9, -v10
	s_delay_alu instid0(VALU_DEP_3)
	v_fma_f32 v162, v7, v11, -v12
	s_clause 0x1
	scratch_load_b128 v[5:8], off, off offset:448
	scratch_load_b128 v[9:12], off, off offset:464
	s_wait_loadcnt_dscnt 0x200
	v_mul_f32_e32 v164, v15, v4
	v_add_f32_e32 v17, v17, v172
	v_mul_f32_e32 v163, v13, v2
	v_mul_f32_e32 v2, v14, v2
	;; [unrolled: 1-line block ×3, first 2 shown]
	s_delay_alu instid0(VALU_DEP_4) | instskip(NEXT) | instid1(VALU_DEP_3)
	v_dual_fmac_f32 v164, v16, v3 :: v_dual_add_f32 v17, v17, v174
	v_fma_f32 v165, v13, v1, -v2
	v_add_f32_e32 v13, v22, v183
	s_delay_alu instid0(VALU_DEP_4) | instskip(NEXT) | instid1(VALU_DEP_4)
	v_fma_f32 v166, v15, v3, -v4
	v_add_f32_e32 v17, v17, v176
	s_delay_alu instid0(VALU_DEP_3) | instskip(NEXT) | instid1(VALU_DEP_2)
	v_add_f32_e32 v22, v13, v185
	v_add_f32_e32 v23, v17, v178
	scratch_load_b128 v[17:20], off, off offset:480
	v_add_f32_e32 v29, v22, v187
	s_delay_alu instid0(VALU_DEP_1) | instskip(NEXT) | instid1(VALU_DEP_1)
	v_dual_add_f32 v23, v23, v180 :: v_dual_add_f32 v168, v29, v189
	v_dual_add_f32 v23, v23, v182 :: v_dual_add_f32 v32, v168, v32
	s_delay_alu instid0(VALU_DEP_1)
	v_add_f32_e32 v23, v23, v184
	v_fmac_f32_e32 v163, v14, v1
	ds_load_b128 v[1:4], v21 offset:960
	v_add_f32_e32 v32, v32, v159
	v_add_f32_e32 v14, v23, v186
	ds_load_b128 v[22:25], v21 offset:992
	v_add_f32_e32 v28, v14, v188
	ds_load_b128 v[13:16], v21 offset:976
	v_add_f32_e32 v167, v28, v190
	ds_load_b64 v[28:29], v21 offset:1008
	s_wait_loadcnt_dscnt 0x203
	v_dual_add_f32 v160, v167, v160 :: v_dual_mul_f32 v167, v1, v6
	v_mul_f32_e32 v159, v3, v8
	v_mul_f32_e32 v8, v4, v8
	s_delay_alu instid0(VALU_DEP_3) | instskip(SKIP_3) | instid1(VALU_DEP_4)
	v_add_f32_e32 v160, v160, v162
	v_mul_f32_e32 v6, v2, v6
	v_fmac_f32_e32 v167, v2, v5
	v_fmac_f32_e32 v159, v4, v7
	v_add_f32_e32 v160, v160, v165
	s_wait_loadcnt_dscnt 0x101
	v_mul_f32_e32 v162, v13, v10
	s_delay_alu instid0(VALU_DEP_1)
	v_fmac_f32_e32 v162, v14, v9
	s_wait_loadcnt 0x0
	v_mul_f32_e32 v165, v22, v18
	v_fma_f32 v2, v3, v7, -v8
	v_dual_mul_f32 v3, v14, v10 :: v_dual_add_f32 v32, v32, v163
	v_mul_f32_e32 v163, v15, v12
	v_fma_f32 v1, v1, v5, -v6
	v_fmac_f32_e32 v165, v23, v17
	s_delay_alu instid0(VALU_DEP_4) | instskip(SKIP_4) | instid1(VALU_DEP_3)
	v_fma_f32 v3, v13, v9, -v3
	v_add_f32_e32 v160, v160, v166
	v_mul_f32_e32 v166, v24, v20
	v_fmac_f32_e32 v163, v16, v11
	v_mul_f32_e32 v5, v16, v12
	v_dual_add_f32 v1, v160, v1 :: v_dual_fmac_f32 v166, v25, v19
	s_delay_alu instid0(VALU_DEP_2) | instskip(NEXT) | instid1(VALU_DEP_2)
	v_fma_f32 v5, v15, v11, -v5
	v_add_f32_e32 v1, v1, v2
	s_delay_alu instid0(VALU_DEP_1) | instskip(SKIP_2) | instid1(VALU_DEP_2)
	v_dual_add_f32 v1, v1, v3 :: v_dual_add_f32 v32, v32, v164
	s_wait_dscnt 0x0
	v_dual_mul_f32 v164, v28, v27 :: v_dual_mul_f32 v3, v25, v20
	v_dual_add_f32 v1, v1, v5 :: v_dual_add_f32 v4, v32, v167
	s_delay_alu instid0(VALU_DEP_2) | instskip(NEXT) | instid1(VALU_DEP_3)
	v_fmac_f32_e32 v164, v29, v26
	v_fma_f32 v3, v24, v19, -v3
	s_delay_alu instid0(VALU_DEP_3) | instskip(SKIP_1) | instid1(VALU_DEP_1)
	v_add_f32_e32 v2, v4, v159
	v_mul_f32_e32 v4, v23, v18
	v_fma_f32 v4, v22, v17, -v4
	s_delay_alu instid0(VALU_DEP_1) | instskip(NEXT) | instid1(VALU_DEP_1)
	v_dual_add_f32 v1, v1, v4 :: v_dual_add_f32 v2, v2, v162
	v_add_f32_e32 v2, v2, v163
	s_delay_alu instid0(VALU_DEP_1) | instskip(NEXT) | instid1(VALU_DEP_1)
	v_dual_add_f32 v2, v2, v165 :: v_dual_mul_f32 v5, v29, v27
	v_add_f32_e32 v2, v2, v166
	s_delay_alu instid0(VALU_DEP_2) | instskip(NEXT) | instid1(VALU_DEP_2)
	v_fma_f32 v4, v28, v26, -v5
	v_dual_add_f32 v1, v1, v3 :: v_dual_add_f32 v2, v2, v164
	s_delay_alu instid0(VALU_DEP_1) | instskip(NEXT) | instid1(VALU_DEP_1)
	v_dual_add_f32 v1, v1, v4 :: v_dual_sub_f32 v2, v31, v2
	v_sub_f32_e32 v1, v30, v1
	scratch_store_b64 off, v[1:2], off offset:216
	v_cmpx_lt_u32_e32 26, v0
	s_cbranch_execz .LBB126_339
; %bb.338:
	scratch_load_b64 v[1:2], off, off offset:208
	v_mov_b32_e32 v22, v21
	scratch_store_b64 off, v[21:22], off offset:208
	s_wait_loadcnt 0x0
	ds_store_b64 v161, v[1:2]
.LBB126_339:
	s_wait_alu 0xfffe
	s_or_b32 exec_lo, exec_lo, s0
	s_wait_storecnt_dscnt 0x0
	s_barrier_signal -1
	s_barrier_wait -1
	global_inv scope:SCOPE_SE
	s_clause 0x4
	scratch_load_b128 v[5:8], off, off offset:216
	scratch_load_b128 v[1:4], off, off offset:232
	;; [unrolled: 1-line block ×5, first 2 shown]
	ds_load_2addr_b64 v[22:25], v21 offset0:91 offset1:92
	ds_load_2addr_b64 v[26:29], v21 offset0:93 offset1:94
	;; [unrolled: 1-line block ×3, first 2 shown]
	scratch_load_b64 v[30:31], off, off offset:208
	s_mov_b32 s0, exec_lo
	s_wait_loadcnt_dscnt 0x502
	v_mul_f32_e32 v32, v23, v6
	v_dual_mul_f32 v159, v22, v6 :: v_dual_mul_f32 v160, v24, v8
	v_mul_f32_e32 v6, v25, v8
	s_wait_loadcnt_dscnt 0x300
	v_mul_f32_e32 v166, v164, v12
	s_delay_alu instid0(VALU_DEP_3)
	v_dual_mul_f32 v12, v165, v12 :: v_dual_fmac_f32 v159, v23, v5
	v_fmac_f32_e32 v160, v25, v7
	v_fma_f32 v23, v24, v7, -v6
	v_mul_f32_e32 v25, v28, v4
	v_fma_f32 v22, v22, v5, -v32
	ds_load_2addr_b64 v[5:8], v21 offset0:97 offset1:98
	v_mul_f32_e32 v24, v26, v2
	v_mul_f32_e32 v4, v29, v4
	;; [unrolled: 1-line block ×4, first 2 shown]
	v_dual_mul_f32 v2, v27, v2 :: v_dual_fmac_f32 v25, v29, v3
	v_fmac_f32_e32 v24, v27, v1
	v_fma_f32 v27, v28, v3, -v4
	v_fmac_f32_e32 v32, v163, v9
	v_fma_f32 v28, v162, v9, -v10
	;; [unrolled: 2-line block ×3, first 2 shown]
	ds_load_2addr_b64 v[9:12], v21 offset0:99 offset1:100
	s_wait_loadcnt_dscnt 0x201
	v_dual_mul_f32 v163, v7, v16 :: v_dual_mul_f32 v162, v5, v14
	v_mul_f32_e32 v14, v6, v14
	v_mul_f32_e32 v16, v8, v16
	s_delay_alu instid0(VALU_DEP_3)
	v_fmac_f32_e32 v163, v8, v15
	v_fma_f32 v26, v26, v1, -v2
	scratch_load_b128 v[1:4], off, off offset:296
	v_fmac_f32_e32 v162, v6, v13
	v_fma_f32 v13, v5, v13, -v14
	v_fma_f32 v14, v7, v15, -v16
	ds_load_2addr_b64 v[5:8], v21 offset0:101 offset1:102
	s_wait_loadcnt_dscnt 0x201
	v_mul_f32_e32 v15, v9, v18
	v_mul_f32_e32 v16, v10, v18
	;; [unrolled: 1-line block ×3, first 2 shown]
	s_delay_alu instid0(VALU_DEP_3) | instskip(NEXT) | instid1(VALU_DEP_3)
	v_dual_mul_f32 v20, v12, v20 :: v_dual_fmac_f32 v15, v10, v17
	v_fma_f32 v16, v9, v17, -v16
	s_delay_alu instid0(VALU_DEP_3) | instskip(NEXT) | instid1(VALU_DEP_3)
	v_fmac_f32_e32 v18, v12, v19
	v_fma_f32 v17, v11, v19, -v20
	scratch_load_b128 v[9:12], off, off offset:312
	s_wait_loadcnt_dscnt 0x100
	v_mul_f32_e32 v19, v5, v2
	v_mul_f32_e32 v2, v6, v2
	;; [unrolled: 1-line block ×3, first 2 shown]
	s_delay_alu instid0(VALU_DEP_3) | instskip(NEXT) | instid1(VALU_DEP_3)
	v_dual_mul_f32 v4, v8, v4 :: v_dual_fmac_f32 v19, v6, v1
	v_fma_f32 v164, v5, v1, -v2
	s_delay_alu instid0(VALU_DEP_3) | instskip(NEXT) | instid1(VALU_DEP_3)
	v_fmac_f32_e32 v20, v8, v3
	v_fma_f32 v165, v7, v3, -v4
	ds_load_2addr_b64 v[1:4], v21 offset0:103 offset1:104
	ds_load_2addr_b64 v[5:8], v21 offset0:105 offset1:106
	s_wait_loadcnt_dscnt 0x1
	v_mul_f32_e32 v167, v1, v10
	v_mul_f32_e32 v10, v2, v10
	s_delay_alu instid0(VALU_DEP_2) | instskip(NEXT) | instid1(VALU_DEP_2)
	v_dual_mul_f32 v168, v3, v12 :: v_dual_fmac_f32 v167, v2, v9
	v_fma_f32 v169, v1, v9, -v10
	v_mul_f32_e32 v1, v4, v12
	s_delay_alu instid0(VALU_DEP_3) | instskip(NEXT) | instid1(VALU_DEP_2)
	v_fmac_f32_e32 v168, v4, v11
	v_fma_f32 v170, v3, v11, -v1
	s_clause 0x1
	scratch_load_b128 v[1:4], off, off offset:328
	scratch_load_b128 v[9:12], off, off offset:344
	s_wait_loadcnt_dscnt 0x100
	v_mul_f32_e32 v171, v5, v2
	v_dual_mul_f32 v2, v6, v2 :: v_dual_mul_f32 v173, v7, v4
	s_delay_alu instid0(VALU_DEP_2) | instskip(NEXT) | instid1(VALU_DEP_2)
	v_fmac_f32_e32 v171, v6, v1
	v_fma_f32 v172, v5, v1, -v2
	v_mul_f32_e32 v1, v8, v4
	s_delay_alu instid0(VALU_DEP_4) | instskip(NEXT) | instid1(VALU_DEP_2)
	v_fmac_f32_e32 v173, v8, v3
	v_fma_f32 v174, v7, v3, -v1
	ds_load_2addr_b64 v[1:4], v21 offset0:107 offset1:108
	ds_load_2addr_b64 v[5:8], v21 offset0:109 offset1:110
	s_wait_loadcnt_dscnt 0x1
	v_mul_f32_e32 v175, v1, v10
	v_mul_f32_e32 v177, v3, v12
	s_delay_alu instid0(VALU_DEP_2) | instskip(NEXT) | instid1(VALU_DEP_2)
	v_fmac_f32_e32 v175, v2, v9
	v_dual_mul_f32 v2, v2, v10 :: v_dual_fmac_f32 v177, v4, v11
	s_delay_alu instid0(VALU_DEP_1) | instskip(SKIP_1) | instid1(VALU_DEP_1)
	v_fma_f32 v176, v1, v9, -v2
	v_mul_f32_e32 v1, v4, v12
	v_fma_f32 v178, v3, v11, -v1
	s_clause 0x1
	scratch_load_b128 v[1:4], off, off offset:360
	scratch_load_b128 v[9:12], off, off offset:376
	s_wait_loadcnt_dscnt 0x100
	v_mul_f32_e32 v179, v5, v2
	v_dual_mul_f32 v2, v6, v2 :: v_dual_mul_f32 v181, v7, v4
	s_delay_alu instid0(VALU_DEP_2) | instskip(NEXT) | instid1(VALU_DEP_2)
	v_fmac_f32_e32 v179, v6, v1
	v_fma_f32 v180, v5, v1, -v2
	v_mul_f32_e32 v1, v8, v4
	s_delay_alu instid0(VALU_DEP_4) | instskip(NEXT) | instid1(VALU_DEP_2)
	v_fmac_f32_e32 v181, v8, v3
	v_fma_f32 v182, v7, v3, -v1
	ds_load_2addr_b64 v[1:4], v21 offset0:111 offset1:112
	ds_load_2addr_b64 v[5:8], v21 offset0:113 offset1:114
	s_wait_loadcnt_dscnt 0x1
	v_mul_f32_e32 v183, v1, v10
	v_mul_f32_e32 v185, v3, v12
	s_delay_alu instid0(VALU_DEP_2) | instskip(NEXT) | instid1(VALU_DEP_2)
	v_fmac_f32_e32 v183, v2, v9
	v_dual_mul_f32 v2, v2, v10 :: v_dual_fmac_f32 v185, v4, v11
	s_delay_alu instid0(VALU_DEP_1) | instskip(SKIP_1) | instid1(VALU_DEP_1)
	v_fma_f32 v184, v1, v9, -v2
	v_mul_f32_e32 v1, v4, v12
	;; [unrolled: 25-line block ×3, first 2 shown]
	v_fma_f32 v194, v3, v11, -v1
	s_clause 0x1
	scratch_load_b128 v[1:4], off, off offset:424
	scratch_load_b128 v[9:12], off, off offset:440
	s_wait_loadcnt_dscnt 0x100
	v_mul_f32_e32 v195, v5, v2
	v_mul_f32_e32 v2, v6, v2
	s_delay_alu instid0(VALU_DEP_1) | instskip(SKIP_1) | instid1(VALU_DEP_1)
	v_fma_f32 v196, v5, v1, -v2
	v_add_f32_e32 v2, 0, v159
	v_add_f32_e32 v2, v2, v160
	s_delay_alu instid0(VALU_DEP_1) | instskip(NEXT) | instid1(VALU_DEP_1)
	v_add_f32_e32 v2, v2, v24
	v_add_f32_e32 v2, v2, v25
	s_delay_alu instid0(VALU_DEP_1) | instskip(SKIP_1) | instid1(VALU_DEP_2)
	v_add_f32_e32 v2, v2, v32
	v_fmac_f32_e32 v195, v6, v1
	v_dual_add_f32 v2, v2, v166 :: v_dual_mul_f32 v197, v7, v4
	s_delay_alu instid0(VALU_DEP_1) | instskip(NEXT) | instid1(VALU_DEP_1)
	v_dual_add_f32 v2, v2, v162 :: v_dual_mul_f32 v1, v8, v4
	v_add_f32_e32 v2, v2, v163
	s_delay_alu instid0(VALU_DEP_2) | instskip(NEXT) | instid1(VALU_DEP_2)
	v_fma_f32 v198, v7, v3, -v1
	v_dual_add_f32 v1, 0, v22 :: v_dual_add_f32 v2, v2, v15
	s_delay_alu instid0(VALU_DEP_1) | instskip(NEXT) | instid1(VALU_DEP_1)
	v_dual_fmac_f32 v197, v8, v3 :: v_dual_add_f32 v2, v2, v18
	v_add_f32_e32 v2, v2, v19
	s_delay_alu instid0(VALU_DEP_1) | instskip(NEXT) | instid1(VALU_DEP_1)
	v_dual_add_f32 v1, v1, v23 :: v_dual_add_f32 v2, v2, v20
	v_add_f32_e32 v1, v1, v26
	s_delay_alu instid0(VALU_DEP_2) | instskip(NEXT) | instid1(VALU_DEP_2)
	v_add_f32_e32 v5, v2, v167
	v_add_f32_e32 v1, v1, v27
	s_delay_alu instid0(VALU_DEP_2) | instskip(NEXT) | instid1(VALU_DEP_2)
	v_add_f32_e32 v5, v5, v168
	;; [unrolled: 3-line block ×3, first 2 shown]
	v_add_f32_e32 v1, v1, v29
	s_delay_alu instid0(VALU_DEP_1) | instskip(NEXT) | instid1(VALU_DEP_1)
	v_add_f32_e32 v1, v1, v13
	v_add_f32_e32 v1, v1, v14
	s_delay_alu instid0(VALU_DEP_4) | instskip(NEXT) | instid1(VALU_DEP_1)
	v_add_f32_e32 v14, v5, v173
	v_add_f32_e32 v14, v14, v175
	s_delay_alu instid0(VALU_DEP_1) | instskip(NEXT) | instid1(VALU_DEP_1)
	v_dual_add_f32 v14, v14, v177 :: v_dual_add_f32 v1, v1, v16
	v_add_f32_e32 v1, v1, v17
	s_delay_alu instid0(VALU_DEP_2) | instskip(NEXT) | instid1(VALU_DEP_2)
	v_add_f32_e32 v17, v14, v179
	v_add_f32_e32 v1, v1, v164
	s_delay_alu instid0(VALU_DEP_1) | instskip(NEXT) | instid1(VALU_DEP_1)
	v_add_f32_e32 v1, v1, v165
	v_add_f32_e32 v1, v1, v169
	s_delay_alu instid0(VALU_DEP_1) | instskip(SKIP_2) | instid1(VALU_DEP_1)
	v_add_f32_e32 v6, v1, v170
	ds_load_2addr_b64 v[1:4], v21 offset0:119 offset1:120
	v_add_f32_e32 v6, v6, v172
	v_add_f32_e32 v13, v6, v174
	ds_load_2addr_b64 v[5:8], v21 offset0:121 offset1:122
	s_wait_loadcnt_dscnt 0x1
	v_dual_mul_f32 v25, v1, v10 :: v_dual_mul_f32 v26, v3, v12
	v_mul_f32_e32 v10, v2, v10
	s_delay_alu instid0(VALU_DEP_2) | instskip(NEXT) | instid1(VALU_DEP_3)
	v_dual_mul_f32 v12, v4, v12 :: v_dual_fmac_f32 v25, v2, v9
	v_fmac_f32_e32 v26, v4, v11
	s_delay_alu instid0(VALU_DEP_3) | instskip(NEXT) | instid1(VALU_DEP_3)
	v_fma_f32 v27, v1, v9, -v10
	v_fma_f32 v28, v3, v11, -v12
	s_clause 0x1
	scratch_load_b128 v[1:4], off, off offset:456
	scratch_load_b128 v[9:12], off, off offset:472
	v_add_f32_e32 v17, v17, v181
	s_delay_alu instid0(VALU_DEP_1) | instskip(NEXT) | instid1(VALU_DEP_1)
	v_add_f32_e32 v17, v17, v183
	v_add_f32_e32 v17, v17, v185
	s_delay_alu instid0(VALU_DEP_1) | instskip(NEXT) | instid1(VALU_DEP_1)
	v_add_f32_e32 v23, v17, v187
	;; [unrolled: 3-line block ×3, first 2 shown]
	v_add_f32_e32 v32, v32, v193
	s_delay_alu instid0(VALU_DEP_1) | instskip(NEXT) | instid1(VALU_DEP_1)
	v_dual_add_f32 v32, v32, v195 :: v_dual_add_f32 v13, v13, v176
	v_add_f32_e32 v32, v32, v197
	s_wait_loadcnt_dscnt 0x100
	s_delay_alu instid0(VALU_DEP_2) | instskip(SKIP_3) | instid1(VALU_DEP_4)
	v_dual_mul_f32 v160, v7, v4 :: v_dual_add_f32 v13, v13, v178
	v_mul_f32_e32 v159, v5, v2
	v_mul_f32_e32 v2, v6, v2
	;; [unrolled: 1-line block ×3, first 2 shown]
	v_dual_fmac_f32 v160, v8, v3 :: v_dual_add_f32 v13, v13, v180
	s_delay_alu instid0(VALU_DEP_4) | instskip(NEXT) | instid1(VALU_DEP_4)
	v_fmac_f32_e32 v159, v6, v1
	v_fma_f32 v2, v5, v1, -v2
	s_delay_alu instid0(VALU_DEP_4) | instskip(NEXT) | instid1(VALU_DEP_4)
	v_fma_f32 v3, v7, v3, -v4
	v_add_f32_e32 v18, v13, v182
	scratch_load_b128 v[13:16], off, off offset:488
	v_add_f32_e32 v18, v18, v184
	s_delay_alu instid0(VALU_DEP_1) | instskip(NEXT) | instid1(VALU_DEP_1)
	v_add_f32_e32 v18, v18, v186
	v_add_f32_e32 v22, v18, v188
	ds_load_2addr_b64 v[17:20], v21 offset0:123 offset1:124
	v_add_f32_e32 v29, v22, v190
	ds_load_2addr_b64 v[21:24], v21 offset0:125 offset1:126
	s_wait_loadcnt_dscnt 0x101
	v_dual_mul_f32 v162, v17, v10 :: v_dual_add_f32 v25, v32, v25
	v_mul_f32_e32 v6, v18, v10
	v_mul_f32_e32 v4, v20, v12
	s_delay_alu instid0(VALU_DEP_3) | instskip(NEXT) | instid1(VALU_DEP_4)
	v_dual_fmac_f32 v162, v18, v9 :: v_dual_add_f32 v29, v29, v192
	v_add_f32_e32 v5, v25, v26
	v_mul_f32_e32 v163, v19, v12
	s_delay_alu instid0(VALU_DEP_4) | instskip(SKIP_2) | instid1(VALU_DEP_1)
	v_fma_f32 v4, v19, v11, -v4
	s_wait_loadcnt_dscnt 0x0
	v_mul_f32_e32 v164, v21, v14
	v_dual_add_f32 v29, v29, v194 :: v_dual_fmac_f32 v164, v22, v13
	s_delay_alu instid0(VALU_DEP_1) | instskip(NEXT) | instid1(VALU_DEP_1)
	v_add_f32_e32 v29, v29, v196
	v_add_f32_e32 v29, v29, v198
	s_delay_alu instid0(VALU_DEP_1) | instskip(SKIP_1) | instid1(VALU_DEP_2)
	v_add_f32_e32 v27, v29, v27
	v_mul_f32_e32 v29, v23, v16
	v_add_f32_e32 v1, v27, v28
	s_delay_alu instid0(VALU_DEP_2) | instskip(NEXT) | instid1(VALU_DEP_2)
	v_fmac_f32_e32 v29, v24, v15
	v_add_f32_e32 v1, v1, v2
	v_add_f32_e32 v2, v5, v159
	v_fma_f32 v5, v17, v9, -v6
	v_fmac_f32_e32 v163, v20, v11
	s_delay_alu instid0(VALU_DEP_3) | instskip(SKIP_1) | instid1(VALU_DEP_2)
	v_dual_add_f32 v1, v1, v3 :: v_dual_add_f32 v2, v2, v160
	v_mul_f32_e32 v3, v22, v14
	v_dual_add_f32 v1, v1, v5 :: v_dual_add_f32 v2, v2, v162
	v_mul_f32_e32 v5, v24, v16
	s_delay_alu instid0(VALU_DEP_3) | instskip(NEXT) | instid1(VALU_DEP_3)
	v_fma_f32 v3, v21, v13, -v3
	v_dual_add_f32 v1, v1, v4 :: v_dual_add_f32 v2, v2, v163
	s_delay_alu instid0(VALU_DEP_3) | instskip(NEXT) | instid1(VALU_DEP_2)
	v_fma_f32 v4, v23, v15, -v5
	v_dual_add_f32 v1, v1, v3 :: v_dual_add_f32 v2, v2, v164
	s_delay_alu instid0(VALU_DEP_1) | instskip(NEXT) | instid1(VALU_DEP_1)
	v_dual_add_f32 v1, v1, v4 :: v_dual_add_f32 v2, v2, v29
	v_dual_sub_f32 v1, v30, v1 :: v_dual_sub_f32 v2, v31, v2
	scratch_store_b64 off, v[1:2], off offset:208
	v_cmpx_lt_u32_e32 25, v0
	s_cbranch_execz .LBB126_341
; %bb.340:
	scratch_load_b64 v[1:2], off, off offset:200
	v_mov_b32_e32 v3, 0
	s_delay_alu instid0(VALU_DEP_1)
	v_mov_b32_e32 v4, v3
	scratch_store_b64 off, v[3:4], off offset:200
	s_wait_loadcnt 0x0
	ds_store_b64 v161, v[1:2]
.LBB126_341:
	s_wait_alu 0xfffe
	s_or_b32 exec_lo, exec_lo, s0
	s_wait_storecnt_dscnt 0x0
	s_barrier_signal -1
	s_barrier_wait -1
	global_inv scope:SCOPE_SE
	s_clause 0x4
	scratch_load_b128 v[5:8], off, off offset:208
	scratch_load_b128 v[1:4], off, off offset:224
	;; [unrolled: 1-line block ×5, first 2 shown]
	v_mov_b32_e32 v21, 0
	ds_load_b128 v[22:25], v21 offset:720
	ds_load_b128 v[26:29], v21 offset:736
	;; [unrolled: 1-line block ×3, first 2 shown]
	scratch_load_b64 v[30:31], off, off offset:200
	s_mov_b32 s0, exec_lo
	s_wait_loadcnt_dscnt 0x502
	v_mul_f32_e32 v32, v23, v6
	v_dual_mul_f32 v159, v22, v6 :: v_dual_mul_f32 v160, v24, v8
	v_mul_f32_e32 v6, v25, v8
	s_wait_loadcnt_dscnt 0x300
	v_mul_f32_e32 v166, v164, v12
	v_fma_f32 v22, v22, v5, -v32
	v_dual_fmac_f32 v159, v23, v5 :: v_dual_fmac_f32 v160, v25, v7
	v_mul_f32_e32 v25, v28, v4
	v_fma_f32 v23, v24, v7, -v6
	ds_load_b128 v[5:8], v21 offset:768
	v_mul_f32_e32 v24, v26, v2
	v_mul_f32_e32 v4, v29, v4
	;; [unrolled: 1-line block ×5, first 2 shown]
	v_dual_mul_f32 v2, v27, v2 :: v_dual_fmac_f32 v25, v29, v3
	v_fmac_f32_e32 v24, v27, v1
	v_fma_f32 v27, v28, v3, -v4
	v_fmac_f32_e32 v32, v163, v9
	v_fma_f32 v28, v162, v9, -v10
	;; [unrolled: 2-line block ×3, first 2 shown]
	ds_load_b128 v[9:12], v21 offset:784
	s_wait_loadcnt_dscnt 0x201
	v_dual_mul_f32 v163, v7, v16 :: v_dual_mul_f32 v162, v5, v14
	v_mul_f32_e32 v14, v6, v14
	v_mul_f32_e32 v16, v8, v16
	s_delay_alu instid0(VALU_DEP_3)
	v_fmac_f32_e32 v163, v8, v15
	v_fma_f32 v26, v26, v1, -v2
	scratch_load_b128 v[1:4], off, off offset:288
	v_fmac_f32_e32 v162, v6, v13
	v_fma_f32 v13, v5, v13, -v14
	v_fma_f32 v14, v7, v15, -v16
	ds_load_b128 v[5:8], v21 offset:800
	s_wait_loadcnt_dscnt 0x201
	v_mul_f32_e32 v15, v9, v18
	v_mul_f32_e32 v16, v10, v18
	;; [unrolled: 1-line block ×3, first 2 shown]
	s_delay_alu instid0(VALU_DEP_3) | instskip(NEXT) | instid1(VALU_DEP_3)
	v_dual_mul_f32 v20, v12, v20 :: v_dual_fmac_f32 v15, v10, v17
	v_fma_f32 v16, v9, v17, -v16
	s_delay_alu instid0(VALU_DEP_3) | instskip(NEXT) | instid1(VALU_DEP_3)
	v_fmac_f32_e32 v18, v12, v19
	v_fma_f32 v17, v11, v19, -v20
	scratch_load_b128 v[9:12], off, off offset:304
	s_wait_loadcnt_dscnt 0x100
	v_mul_f32_e32 v19, v5, v2
	v_mul_f32_e32 v2, v6, v2
	;; [unrolled: 1-line block ×3, first 2 shown]
	s_delay_alu instid0(VALU_DEP_3) | instskip(NEXT) | instid1(VALU_DEP_3)
	v_dual_mul_f32 v4, v8, v4 :: v_dual_fmac_f32 v19, v6, v1
	v_fma_f32 v164, v5, v1, -v2
	s_delay_alu instid0(VALU_DEP_3) | instskip(NEXT) | instid1(VALU_DEP_3)
	v_fmac_f32_e32 v20, v8, v3
	v_fma_f32 v165, v7, v3, -v4
	ds_load_b128 v[1:4], v21 offset:816
	ds_load_b128 v[5:8], v21 offset:832
	s_wait_loadcnt_dscnt 0x1
	v_mul_f32_e32 v167, v1, v10
	v_mul_f32_e32 v10, v2, v10
	s_delay_alu instid0(VALU_DEP_2) | instskip(NEXT) | instid1(VALU_DEP_2)
	v_dual_mul_f32 v168, v3, v12 :: v_dual_fmac_f32 v167, v2, v9
	v_fma_f32 v169, v1, v9, -v10
	v_mul_f32_e32 v1, v4, v12
	s_delay_alu instid0(VALU_DEP_3) | instskip(NEXT) | instid1(VALU_DEP_2)
	v_fmac_f32_e32 v168, v4, v11
	v_fma_f32 v170, v3, v11, -v1
	s_clause 0x1
	scratch_load_b128 v[1:4], off, off offset:320
	scratch_load_b128 v[9:12], off, off offset:336
	s_wait_loadcnt_dscnt 0x100
	v_mul_f32_e32 v171, v5, v2
	v_dual_mul_f32 v2, v6, v2 :: v_dual_mul_f32 v173, v7, v4
	s_delay_alu instid0(VALU_DEP_2) | instskip(NEXT) | instid1(VALU_DEP_2)
	v_fmac_f32_e32 v171, v6, v1
	v_fma_f32 v172, v5, v1, -v2
	v_mul_f32_e32 v1, v8, v4
	s_delay_alu instid0(VALU_DEP_4) | instskip(NEXT) | instid1(VALU_DEP_2)
	v_fmac_f32_e32 v173, v8, v3
	v_fma_f32 v174, v7, v3, -v1
	ds_load_b128 v[1:4], v21 offset:848
	ds_load_b128 v[5:8], v21 offset:864
	s_wait_loadcnt_dscnt 0x1
	v_mul_f32_e32 v175, v1, v10
	v_mul_f32_e32 v177, v3, v12
	s_delay_alu instid0(VALU_DEP_2) | instskip(NEXT) | instid1(VALU_DEP_2)
	v_fmac_f32_e32 v175, v2, v9
	v_dual_mul_f32 v2, v2, v10 :: v_dual_fmac_f32 v177, v4, v11
	s_delay_alu instid0(VALU_DEP_1) | instskip(SKIP_1) | instid1(VALU_DEP_1)
	v_fma_f32 v176, v1, v9, -v2
	v_mul_f32_e32 v1, v4, v12
	v_fma_f32 v178, v3, v11, -v1
	s_clause 0x1
	scratch_load_b128 v[1:4], off, off offset:352
	scratch_load_b128 v[9:12], off, off offset:368
	s_wait_loadcnt_dscnt 0x100
	v_mul_f32_e32 v179, v5, v2
	v_dual_mul_f32 v2, v6, v2 :: v_dual_mul_f32 v181, v7, v4
	s_delay_alu instid0(VALU_DEP_2) | instskip(NEXT) | instid1(VALU_DEP_2)
	v_fmac_f32_e32 v179, v6, v1
	v_fma_f32 v180, v5, v1, -v2
	v_mul_f32_e32 v1, v8, v4
	s_delay_alu instid0(VALU_DEP_4) | instskip(NEXT) | instid1(VALU_DEP_2)
	v_fmac_f32_e32 v181, v8, v3
	v_fma_f32 v182, v7, v3, -v1
	ds_load_b128 v[1:4], v21 offset:880
	ds_load_b128 v[5:8], v21 offset:896
	s_wait_loadcnt_dscnt 0x1
	v_mul_f32_e32 v183, v1, v10
	v_mul_f32_e32 v185, v3, v12
	s_delay_alu instid0(VALU_DEP_2) | instskip(NEXT) | instid1(VALU_DEP_2)
	v_fmac_f32_e32 v183, v2, v9
	v_dual_mul_f32 v2, v2, v10 :: v_dual_fmac_f32 v185, v4, v11
	s_delay_alu instid0(VALU_DEP_1) | instskip(SKIP_1) | instid1(VALU_DEP_1)
	v_fma_f32 v184, v1, v9, -v2
	v_mul_f32_e32 v1, v4, v12
	v_fma_f32 v186, v3, v11, -v1
	s_clause 0x1
	scratch_load_b128 v[1:4], off, off offset:384
	scratch_load_b128 v[9:12], off, off offset:400
	s_wait_loadcnt_dscnt 0x100
	v_mul_f32_e32 v187, v5, v2
	v_dual_mul_f32 v2, v6, v2 :: v_dual_mul_f32 v189, v7, v4
	s_delay_alu instid0(VALU_DEP_2) | instskip(NEXT) | instid1(VALU_DEP_2)
	v_fmac_f32_e32 v187, v6, v1
	v_fma_f32 v188, v5, v1, -v2
	v_mul_f32_e32 v1, v8, v4
	s_delay_alu instid0(VALU_DEP_4) | instskip(NEXT) | instid1(VALU_DEP_2)
	v_fmac_f32_e32 v189, v8, v3
	v_fma_f32 v190, v7, v3, -v1
	ds_load_b128 v[1:4], v21 offset:912
	ds_load_b128 v[5:8], v21 offset:928
	s_wait_loadcnt_dscnt 0x1
	v_mul_f32_e32 v191, v1, v10
	v_mul_f32_e32 v193, v3, v12
	s_delay_alu instid0(VALU_DEP_2) | instskip(NEXT) | instid1(VALU_DEP_2)
	v_fmac_f32_e32 v191, v2, v9
	v_dual_mul_f32 v2, v2, v10 :: v_dual_fmac_f32 v193, v4, v11
	s_delay_alu instid0(VALU_DEP_1) | instskip(SKIP_1) | instid1(VALU_DEP_1)
	v_fma_f32 v192, v1, v9, -v2
	v_mul_f32_e32 v1, v4, v12
	v_fma_f32 v194, v3, v11, -v1
	s_clause 0x1
	scratch_load_b128 v[1:4], off, off offset:416
	scratch_load_b128 v[9:12], off, off offset:432
	s_wait_loadcnt_dscnt 0x100
	v_mul_f32_e32 v195, v5, v2
	v_mul_f32_e32 v2, v6, v2
	s_delay_alu instid0(VALU_DEP_1) | instskip(SKIP_1) | instid1(VALU_DEP_1)
	v_fma_f32 v196, v5, v1, -v2
	v_add_f32_e32 v2, 0, v159
	v_add_f32_e32 v2, v2, v160
	s_delay_alu instid0(VALU_DEP_1) | instskip(NEXT) | instid1(VALU_DEP_1)
	v_add_f32_e32 v2, v2, v24
	v_add_f32_e32 v2, v2, v25
	s_delay_alu instid0(VALU_DEP_1) | instskip(NEXT) | instid1(VALU_DEP_1)
	v_add_f32_e32 v2, v2, v32
	v_dual_add_f32 v2, v2, v166 :: v_dual_mul_f32 v197, v7, v4
	s_delay_alu instid0(VALU_DEP_1) | instskip(NEXT) | instid1(VALU_DEP_1)
	v_add_f32_e32 v2, v2, v162
	v_add_f32_e32 v2, v2, v163
	v_fmac_f32_e32 v195, v6, v1
	s_delay_alu instid0(VALU_DEP_2) | instskip(SKIP_1) | instid1(VALU_DEP_2)
	v_dual_mul_f32 v1, v8, v4 :: v_dual_add_f32 v2, v2, v15
	v_fmac_f32_e32 v197, v8, v3
	v_fma_f32 v198, v7, v3, -v1
	s_delay_alu instid0(VALU_DEP_3) | instskip(NEXT) | instid1(VALU_DEP_1)
	v_add_f32_e32 v2, v2, v18
	v_dual_add_f32 v1, 0, v22 :: v_dual_add_f32 v2, v2, v19
	s_delay_alu instid0(VALU_DEP_1) | instskip(NEXT) | instid1(VALU_DEP_1)
	v_dual_add_f32 v1, v1, v23 :: v_dual_add_f32 v2, v2, v20
	v_add_f32_e32 v1, v1, v26
	s_delay_alu instid0(VALU_DEP_2) | instskip(NEXT) | instid1(VALU_DEP_2)
	v_add_f32_e32 v5, v2, v167
	v_add_f32_e32 v1, v1, v27
	scratch_load_b64 v[26:27], off, off offset:496
	v_add_f32_e32 v5, v5, v168
	v_add_f32_e32 v1, v1, v28
	s_delay_alu instid0(VALU_DEP_2) | instskip(NEXT) | instid1(VALU_DEP_2)
	v_add_f32_e32 v5, v5, v171
	v_add_f32_e32 v1, v1, v29
	s_delay_alu instid0(VALU_DEP_1) | instskip(NEXT) | instid1(VALU_DEP_1)
	v_add_f32_e32 v1, v1, v13
	v_add_f32_e32 v1, v1, v14
	s_delay_alu instid0(VALU_DEP_4) | instskip(NEXT) | instid1(VALU_DEP_1)
	v_add_f32_e32 v14, v5, v173
	v_dual_add_f32 v14, v14, v175 :: v_dual_add_f32 v1, v1, v16
	s_delay_alu instid0(VALU_DEP_1) | instskip(NEXT) | instid1(VALU_DEP_2)
	v_add_f32_e32 v14, v14, v177
	v_add_f32_e32 v1, v1, v17
	s_delay_alu instid0(VALU_DEP_2) | instskip(NEXT) | instid1(VALU_DEP_2)
	v_add_f32_e32 v17, v14, v179
	v_add_f32_e32 v1, v1, v164
	s_delay_alu instid0(VALU_DEP_2) | instskip(NEXT) | instid1(VALU_DEP_2)
	;; [unrolled: 3-line block ×4, first 2 shown]
	v_add_f32_e32 v17, v17, v185
	v_add_f32_e32 v6, v1, v170
	ds_load_b128 v[1:4], v21 offset:944
	v_dual_add_f32 v17, v17, v187 :: v_dual_add_f32 v6, v6, v172
	s_delay_alu instid0(VALU_DEP_1)
	v_dual_add_f32 v22, v17, v189 :: v_dual_add_f32 v13, v6, v174
	ds_load_b128 v[5:8], v21 offset:960
	s_wait_loadcnt_dscnt 0x101
	v_mul_f32_e32 v32, v1, v10
	v_dual_mul_f32 v10, v2, v10 :: v_dual_mul_f32 v159, v3, v12
	v_dual_mul_f32 v12, v4, v12 :: v_dual_add_f32 v29, v22, v191
	s_delay_alu instid0(VALU_DEP_3) | instskip(NEXT) | instid1(VALU_DEP_3)
	v_fmac_f32_e32 v32, v2, v9
	v_fma_f32 v160, v1, v9, -v10
	s_delay_alu instid0(VALU_DEP_4) | instskip(NEXT) | instid1(VALU_DEP_4)
	v_fmac_f32_e32 v159, v4, v11
	v_fma_f32 v162, v3, v11, -v12
	s_clause 0x1
	scratch_load_b128 v[1:4], off, off offset:448
	scratch_load_b128 v[9:12], off, off offset:464
	v_add_f32_e32 v164, v29, v193
	v_add_f32_e32 v13, v13, v176
	ds_load_b128 v[22:25], v21 offset:992
	v_dual_add_f32 v164, v164, v195 :: v_dual_add_f32 v13, v13, v178
	s_delay_alu instid0(VALU_DEP_1) | instskip(NEXT) | instid1(VALU_DEP_1)
	v_add_f32_e32 v164, v164, v197
	v_add_f32_e32 v32, v164, v32
	s_delay_alu instid0(VALU_DEP_1) | instskip(SKIP_4) | instid1(VALU_DEP_3)
	v_add_f32_e32 v32, v32, v159
	s_wait_loadcnt_dscnt 0x101
	v_mul_f32_e32 v166, v7, v4
	v_add_f32_e32 v13, v13, v180
	v_mul_f32_e32 v4, v8, v4
	v_fmac_f32_e32 v166, v8, v3
	s_delay_alu instid0(VALU_DEP_3) | instskip(SKIP_2) | instid1(VALU_DEP_1)
	v_add_f32_e32 v18, v13, v182
	scratch_load_b128 v[13:16], off, off offset:480
	v_add_f32_e32 v18, v18, v184
	v_add_f32_e32 v18, v18, v186
	s_delay_alu instid0(VALU_DEP_1) | instskip(NEXT) | instid1(VALU_DEP_1)
	v_add_f32_e32 v18, v18, v188
	v_add_f32_e32 v18, v18, v190
	s_delay_alu instid0(VALU_DEP_1) | instskip(SKIP_4) | instid1(VALU_DEP_2)
	v_add_f32_e32 v28, v18, v192
	ds_load_b128 v[17:20], v21 offset:976
	s_wait_loadcnt_dscnt 0x100
	v_dual_mul_f32 v164, v19, v12 :: v_dual_mul_f32 v165, v5, v2
	v_mul_f32_e32 v2, v6, v2
	v_fmac_f32_e32 v164, v20, v11
	v_add_f32_e32 v163, v28, v194
	s_delay_alu instid0(VALU_DEP_4) | instskip(NEXT) | instid1(VALU_DEP_4)
	v_fmac_f32_e32 v165, v6, v1
	v_fma_f32 v2, v5, v1, -v2
	v_fma_f32 v1, v7, v3, -v4
	ds_load_b64 v[28:29], v21 offset:1008
	v_dual_add_f32 v163, v163, v196 :: v_dual_add_f32 v4, v32, v165
	v_mul_f32_e32 v3, v18, v10
	s_delay_alu instid0(VALU_DEP_2) | instskip(NEXT) | instid1(VALU_DEP_2)
	v_add_f32_e32 v163, v163, v198
	v_fma_f32 v3, v17, v9, -v3
	s_delay_alu instid0(VALU_DEP_2) | instskip(NEXT) | instid1(VALU_DEP_1)
	v_add_f32_e32 v160, v163, v160
	v_add_f32_e32 v160, v160, v162
	s_wait_dscnt 0x0
	v_mul_f32_e32 v159, v28, v27
	s_delay_alu instid0(VALU_DEP_2) | instskip(NEXT) | instid1(VALU_DEP_1)
	v_add_f32_e32 v2, v160, v2
	v_dual_add_f32 v1, v2, v1 :: v_dual_add_f32 v2, v4, v166
	s_wait_loadcnt 0x0
	v_dual_mul_f32 v162, v24, v16 :: v_dual_mul_f32 v167, v22, v14
	v_mul_f32_e32 v4, v23, v14
	v_fmac_f32_e32 v159, v29, v26
	s_delay_alu instid0(VALU_DEP_3) | instskip(SKIP_1) | instid1(VALU_DEP_4)
	v_dual_fmac_f32 v162, v25, v15 :: v_dual_fmac_f32 v167, v23, v13
	v_mul_f32_e32 v163, v17, v10
	v_fma_f32 v4, v22, v13, -v4
	s_delay_alu instid0(VALU_DEP_2) | instskip(NEXT) | instid1(VALU_DEP_1)
	v_fmac_f32_e32 v163, v18, v9
	v_dual_mul_f32 v5, v20, v12 :: v_dual_add_f32 v2, v2, v163
	s_delay_alu instid0(VALU_DEP_1) | instskip(NEXT) | instid1(VALU_DEP_2)
	v_fma_f32 v5, v19, v11, -v5
	v_add_f32_e32 v2, v2, v164
	s_delay_alu instid0(VALU_DEP_1) | instskip(NEXT) | instid1(VALU_DEP_1)
	v_add_f32_e32 v2, v2, v167
	v_dual_add_f32 v1, v1, v3 :: v_dual_add_f32 v2, v2, v162
	v_mul_f32_e32 v3, v25, v16
	s_delay_alu instid0(VALU_DEP_2) | instskip(SKIP_1) | instid1(VALU_DEP_4)
	v_add_f32_e32 v1, v1, v5
	v_mul_f32_e32 v5, v29, v27
	v_add_f32_e32 v2, v2, v159
	s_delay_alu instid0(VALU_DEP_4) | instskip(NEXT) | instid1(VALU_DEP_4)
	v_fma_f32 v3, v24, v15, -v3
	v_add_f32_e32 v1, v1, v4
	s_delay_alu instid0(VALU_DEP_4) | instskip(NEXT) | instid1(VALU_DEP_2)
	v_fma_f32 v4, v28, v26, -v5
	v_dual_sub_f32 v2, v31, v2 :: v_dual_add_f32 v1, v1, v3
	s_delay_alu instid0(VALU_DEP_1) | instskip(NEXT) | instid1(VALU_DEP_1)
	v_add_f32_e32 v1, v1, v4
	v_sub_f32_e32 v1, v30, v1
	scratch_store_b64 off, v[1:2], off offset:200
	v_cmpx_lt_u32_e32 24, v0
	s_cbranch_execz .LBB126_343
; %bb.342:
	scratch_load_b64 v[1:2], off, off offset:192
	v_mov_b32_e32 v22, v21
	scratch_store_b64 off, v[21:22], off offset:192
	s_wait_loadcnt 0x0
	ds_store_b64 v161, v[1:2]
.LBB126_343:
	s_wait_alu 0xfffe
	s_or_b32 exec_lo, exec_lo, s0
	s_wait_storecnt_dscnt 0x0
	s_barrier_signal -1
	s_barrier_wait -1
	global_inv scope:SCOPE_SE
	s_clause 0x4
	scratch_load_b128 v[5:8], off, off offset:200
	scratch_load_b128 v[1:4], off, off offset:216
	;; [unrolled: 1-line block ×5, first 2 shown]
	ds_load_2addr_b64 v[22:25], v21 offset0:89 offset1:90
	ds_load_2addr_b64 v[26:29], v21 offset0:91 offset1:92
	;; [unrolled: 1-line block ×3, first 2 shown]
	scratch_load_b64 v[30:31], off, off offset:192
	s_mov_b32 s0, exec_lo
	s_wait_loadcnt_dscnt 0x502
	v_mul_f32_e32 v32, v23, v6
	v_dual_mul_f32 v159, v22, v6 :: v_dual_mul_f32 v160, v24, v8
	v_mul_f32_e32 v6, v25, v8
	s_wait_loadcnt_dscnt 0x300
	v_mul_f32_e32 v166, v164, v12
	s_delay_alu instid0(VALU_DEP_3)
	v_dual_mul_f32 v12, v165, v12 :: v_dual_fmac_f32 v159, v23, v5
	v_fmac_f32_e32 v160, v25, v7
	v_fma_f32 v23, v24, v7, -v6
	v_mul_f32_e32 v25, v28, v4
	v_fma_f32 v22, v22, v5, -v32
	ds_load_2addr_b64 v[5:8], v21 offset0:95 offset1:96
	v_mul_f32_e32 v24, v26, v2
	v_mul_f32_e32 v4, v29, v4
	;; [unrolled: 1-line block ×4, first 2 shown]
	v_dual_mul_f32 v2, v27, v2 :: v_dual_fmac_f32 v25, v29, v3
	v_fmac_f32_e32 v24, v27, v1
	v_fma_f32 v27, v28, v3, -v4
	v_fmac_f32_e32 v32, v163, v9
	v_fma_f32 v28, v162, v9, -v10
	;; [unrolled: 2-line block ×3, first 2 shown]
	ds_load_2addr_b64 v[9:12], v21 offset0:97 offset1:98
	s_wait_loadcnt_dscnt 0x201
	v_dual_mul_f32 v163, v7, v16 :: v_dual_mul_f32 v162, v5, v14
	v_mul_f32_e32 v14, v6, v14
	v_mul_f32_e32 v16, v8, v16
	s_delay_alu instid0(VALU_DEP_3)
	v_fmac_f32_e32 v163, v8, v15
	v_fma_f32 v26, v26, v1, -v2
	scratch_load_b128 v[1:4], off, off offset:280
	v_fmac_f32_e32 v162, v6, v13
	v_fma_f32 v13, v5, v13, -v14
	v_fma_f32 v14, v7, v15, -v16
	ds_load_2addr_b64 v[5:8], v21 offset0:99 offset1:100
	s_wait_loadcnt_dscnt 0x201
	v_mul_f32_e32 v15, v9, v18
	v_mul_f32_e32 v16, v10, v18
	v_mul_f32_e32 v18, v11, v20
	s_delay_alu instid0(VALU_DEP_3) | instskip(NEXT) | instid1(VALU_DEP_3)
	v_dual_mul_f32 v20, v12, v20 :: v_dual_fmac_f32 v15, v10, v17
	v_fma_f32 v16, v9, v17, -v16
	s_delay_alu instid0(VALU_DEP_3) | instskip(NEXT) | instid1(VALU_DEP_3)
	v_fmac_f32_e32 v18, v12, v19
	v_fma_f32 v17, v11, v19, -v20
	scratch_load_b128 v[9:12], off, off offset:296
	s_wait_loadcnt_dscnt 0x100
	v_mul_f32_e32 v19, v5, v2
	v_mul_f32_e32 v2, v6, v2
	;; [unrolled: 1-line block ×3, first 2 shown]
	s_delay_alu instid0(VALU_DEP_3) | instskip(NEXT) | instid1(VALU_DEP_3)
	v_dual_mul_f32 v4, v8, v4 :: v_dual_fmac_f32 v19, v6, v1
	v_fma_f32 v164, v5, v1, -v2
	s_delay_alu instid0(VALU_DEP_3) | instskip(NEXT) | instid1(VALU_DEP_3)
	v_fmac_f32_e32 v20, v8, v3
	v_fma_f32 v165, v7, v3, -v4
	ds_load_2addr_b64 v[1:4], v21 offset0:101 offset1:102
	ds_load_2addr_b64 v[5:8], v21 offset0:103 offset1:104
	s_wait_loadcnt_dscnt 0x1
	v_mul_f32_e32 v167, v1, v10
	v_mul_f32_e32 v10, v2, v10
	s_delay_alu instid0(VALU_DEP_2) | instskip(NEXT) | instid1(VALU_DEP_2)
	v_dual_mul_f32 v168, v3, v12 :: v_dual_fmac_f32 v167, v2, v9
	v_fma_f32 v169, v1, v9, -v10
	v_mul_f32_e32 v1, v4, v12
	s_delay_alu instid0(VALU_DEP_3) | instskip(NEXT) | instid1(VALU_DEP_2)
	v_fmac_f32_e32 v168, v4, v11
	v_fma_f32 v170, v3, v11, -v1
	s_clause 0x1
	scratch_load_b128 v[1:4], off, off offset:312
	scratch_load_b128 v[9:12], off, off offset:328
	s_wait_loadcnt_dscnt 0x100
	v_mul_f32_e32 v171, v5, v2
	v_dual_mul_f32 v2, v6, v2 :: v_dual_mul_f32 v173, v7, v4
	s_delay_alu instid0(VALU_DEP_2) | instskip(NEXT) | instid1(VALU_DEP_2)
	v_fmac_f32_e32 v171, v6, v1
	v_fma_f32 v172, v5, v1, -v2
	v_mul_f32_e32 v1, v8, v4
	s_delay_alu instid0(VALU_DEP_4) | instskip(NEXT) | instid1(VALU_DEP_2)
	v_fmac_f32_e32 v173, v8, v3
	v_fma_f32 v174, v7, v3, -v1
	ds_load_2addr_b64 v[1:4], v21 offset0:105 offset1:106
	ds_load_2addr_b64 v[5:8], v21 offset0:107 offset1:108
	s_wait_loadcnt_dscnt 0x1
	v_mul_f32_e32 v175, v1, v10
	v_mul_f32_e32 v177, v3, v12
	s_delay_alu instid0(VALU_DEP_2) | instskip(NEXT) | instid1(VALU_DEP_2)
	v_fmac_f32_e32 v175, v2, v9
	v_dual_mul_f32 v2, v2, v10 :: v_dual_fmac_f32 v177, v4, v11
	s_delay_alu instid0(VALU_DEP_1) | instskip(SKIP_1) | instid1(VALU_DEP_1)
	v_fma_f32 v176, v1, v9, -v2
	v_mul_f32_e32 v1, v4, v12
	v_fma_f32 v178, v3, v11, -v1
	s_clause 0x1
	scratch_load_b128 v[1:4], off, off offset:344
	scratch_load_b128 v[9:12], off, off offset:360
	s_wait_loadcnt_dscnt 0x100
	v_mul_f32_e32 v179, v5, v2
	v_dual_mul_f32 v2, v6, v2 :: v_dual_mul_f32 v181, v7, v4
	s_delay_alu instid0(VALU_DEP_2) | instskip(NEXT) | instid1(VALU_DEP_2)
	v_fmac_f32_e32 v179, v6, v1
	v_fma_f32 v180, v5, v1, -v2
	v_mul_f32_e32 v1, v8, v4
	s_delay_alu instid0(VALU_DEP_4) | instskip(NEXT) | instid1(VALU_DEP_2)
	v_fmac_f32_e32 v181, v8, v3
	v_fma_f32 v182, v7, v3, -v1
	ds_load_2addr_b64 v[1:4], v21 offset0:109 offset1:110
	ds_load_2addr_b64 v[5:8], v21 offset0:111 offset1:112
	s_wait_loadcnt_dscnt 0x1
	v_mul_f32_e32 v183, v1, v10
	v_mul_f32_e32 v185, v3, v12
	s_delay_alu instid0(VALU_DEP_2) | instskip(NEXT) | instid1(VALU_DEP_2)
	v_fmac_f32_e32 v183, v2, v9
	v_dual_mul_f32 v2, v2, v10 :: v_dual_fmac_f32 v185, v4, v11
	s_delay_alu instid0(VALU_DEP_1) | instskip(SKIP_1) | instid1(VALU_DEP_1)
	v_fma_f32 v184, v1, v9, -v2
	v_mul_f32_e32 v1, v4, v12
	;; [unrolled: 25-line block ×3, first 2 shown]
	v_fma_f32 v194, v3, v11, -v1
	s_clause 0x1
	scratch_load_b128 v[1:4], off, off offset:408
	scratch_load_b128 v[9:12], off, off offset:424
	s_wait_loadcnt_dscnt 0x100
	v_mul_f32_e32 v195, v5, v2
	v_mul_f32_e32 v2, v6, v2
	s_delay_alu instid0(VALU_DEP_1) | instskip(SKIP_1) | instid1(VALU_DEP_1)
	v_fma_f32 v196, v5, v1, -v2
	v_add_f32_e32 v2, 0, v159
	v_add_f32_e32 v2, v2, v160
	s_delay_alu instid0(VALU_DEP_1) | instskip(NEXT) | instid1(VALU_DEP_1)
	v_add_f32_e32 v2, v2, v24
	v_add_f32_e32 v2, v2, v25
	s_delay_alu instid0(VALU_DEP_1) | instskip(SKIP_1) | instid1(VALU_DEP_2)
	v_add_f32_e32 v2, v2, v32
	v_fmac_f32_e32 v195, v6, v1
	v_dual_add_f32 v2, v2, v166 :: v_dual_mul_f32 v197, v7, v4
	s_delay_alu instid0(VALU_DEP_1) | instskip(NEXT) | instid1(VALU_DEP_1)
	v_dual_add_f32 v2, v2, v162 :: v_dual_mul_f32 v1, v8, v4
	v_add_f32_e32 v2, v2, v163
	s_delay_alu instid0(VALU_DEP_2) | instskip(NEXT) | instid1(VALU_DEP_2)
	v_fma_f32 v198, v7, v3, -v1
	v_dual_add_f32 v1, 0, v22 :: v_dual_add_f32 v2, v2, v15
	s_delay_alu instid0(VALU_DEP_1) | instskip(NEXT) | instid1(VALU_DEP_1)
	v_dual_fmac_f32 v197, v8, v3 :: v_dual_add_f32 v2, v2, v18
	v_add_f32_e32 v2, v2, v19
	s_delay_alu instid0(VALU_DEP_1) | instskip(NEXT) | instid1(VALU_DEP_1)
	v_dual_add_f32 v1, v1, v23 :: v_dual_add_f32 v2, v2, v20
	v_dual_add_f32 v1, v1, v26 :: v_dual_add_f32 v2, v2, v167
	s_delay_alu instid0(VALU_DEP_1) | instskip(NEXT) | instid1(VALU_DEP_2)
	v_add_f32_e32 v1, v1, v27
	v_add_f32_e32 v5, v2, v168
	s_delay_alu instid0(VALU_DEP_2) | instskip(NEXT) | instid1(VALU_DEP_1)
	v_add_f32_e32 v1, v1, v28
	v_add_f32_e32 v1, v1, v29
	s_delay_alu instid0(VALU_DEP_1) | instskip(NEXT) | instid1(VALU_DEP_4)
	v_add_f32_e32 v1, v1, v13
	v_add_f32_e32 v13, v5, v171
	s_delay_alu instid0(VALU_DEP_1) | instskip(NEXT) | instid1(VALU_DEP_1)
	v_add_f32_e32 v13, v13, v173
	v_add_f32_e32 v13, v13, v175
	s_delay_alu instid0(VALU_DEP_1) | instskip(NEXT) | instid1(VALU_DEP_1)
	v_add_f32_e32 v18, v13, v177
	v_dual_add_f32 v18, v18, v179 :: v_dual_add_f32 v1, v1, v14
	s_delay_alu instid0(VALU_DEP_1) | instskip(NEXT) | instid1(VALU_DEP_1)
	v_dual_add_f32 v18, v18, v181 :: v_dual_add_f32 v1, v1, v16
	v_dual_add_f32 v22, v18, v183 :: v_dual_add_f32 v1, v1, v17
	s_delay_alu instid0(VALU_DEP_1) | instskip(NEXT) | instid1(VALU_DEP_1)
	v_dual_add_f32 v22, v22, v185 :: v_dual_add_f32 v1, v1, v164
	v_add_f32_e32 v1, v1, v165
	s_delay_alu instid0(VALU_DEP_1) | instskip(NEXT) | instid1(VALU_DEP_1)
	v_add_f32_e32 v1, v1, v169
	v_add_f32_e32 v1, v1, v170
	s_delay_alu instid0(VALU_DEP_1)
	v_add_f32_e32 v6, v1, v172
	ds_load_2addr_b64 v[1:4], v21 offset0:117 offset1:118
	v_add_f32_e32 v22, v22, v187
	v_add_f32_e32 v14, v6, v174
	scratch_load_b128 v[5:8], off, off offset:440
	v_add_f32_e32 v14, v14, v176
	s_delay_alu instid0(VALU_DEP_1)
	v_add_f32_e32 v17, v14, v178
	ds_load_2addr_b64 v[13:16], v21 offset0:119 offset1:120
	s_wait_loadcnt_dscnt 0x101
	v_mul_f32_e32 v25, v1, v10
	v_mul_f32_e32 v10, v2, v10
	;; [unrolled: 1-line block ×3, first 2 shown]
	s_delay_alu instid0(VALU_DEP_3) | instskip(NEXT) | instid1(VALU_DEP_3)
	v_dual_mul_f32 v12, v4, v12 :: v_dual_fmac_f32 v25, v2, v9
	v_fma_f32 v27, v1, v9, -v10
	s_delay_alu instid0(VALU_DEP_3) | instskip(NEXT) | instid1(VALU_DEP_3)
	v_fmac_f32_e32 v26, v4, v11
	v_fma_f32 v28, v3, v11, -v12
	s_clause 0x1
	scratch_load_b128 v[1:4], off, off offset:456
	scratch_load_b128 v[9:12], off, off offset:472
	s_wait_loadcnt_dscnt 0x200
	v_dual_mul_f32 v32, v15, v8 :: v_dual_mul_f32 v29, v13, v6
	v_mul_f32_e32 v6, v14, v6
	v_mul_f32_e32 v8, v16, v8
	s_delay_alu instid0(VALU_DEP_3) | instskip(NEXT) | instid1(VALU_DEP_4)
	v_dual_fmac_f32 v32, v16, v7 :: v_dual_add_f32 v17, v17, v180
	v_fmac_f32_e32 v29, v14, v5
	s_delay_alu instid0(VALU_DEP_4) | instskip(NEXT) | instid1(VALU_DEP_4)
	v_fma_f32 v159, v13, v5, -v6
	v_fma_f32 v160, v15, v7, -v8
	ds_load_2addr_b64 v[5:8], v21 offset0:121 offset1:122
	v_add_f32_e32 v17, v17, v182
	v_add_f32_e32 v13, v22, v189
	s_delay_alu instid0(VALU_DEP_2) | instskip(NEXT) | instid1(VALU_DEP_1)
	v_add_f32_e32 v17, v17, v184
	v_add_f32_e32 v23, v17, v186
	scratch_load_b128 v[17:20], off, off offset:488
	v_add_f32_e32 v23, v23, v188
	s_delay_alu instid0(VALU_DEP_1) | instskip(NEXT) | instid1(VALU_DEP_1)
	v_add_f32_e32 v23, v23, v190
	v_dual_add_f32 v22, v23, v192 :: v_dual_add_f32 v23, v13, v191
	ds_load_2addr_b64 v[13:16], v21 offset0:123 offset1:124
	s_wait_loadcnt_dscnt 0x201
	v_mul_f32_e32 v164, v5, v2
	v_mul_f32_e32 v2, v6, v2
	v_dual_add_f32 v162, v22, v194 :: v_dual_add_f32 v163, v23, v193
	ds_load_2addr_b64 v[21:24], v21 offset0:125 offset1:126
	v_fmac_f32_e32 v164, v6, v1
	v_fma_f32 v2, v5, v1, -v2
	v_add_f32_e32 v162, v162, v196
	s_delay_alu instid0(VALU_DEP_1) | instskip(NEXT) | instid1(VALU_DEP_1)
	v_add_f32_e32 v162, v162, v198
	v_dual_add_f32 v27, v162, v27 :: v_dual_mul_f32 v162, v7, v4
	v_mul_f32_e32 v4, v8, v4
	s_wait_loadcnt_dscnt 0x101
	v_dual_mul_f32 v6, v14, v10 :: v_dual_add_f32 v163, v163, v195
	s_delay_alu instid0(VALU_DEP_3) | instskip(NEXT) | instid1(VALU_DEP_3)
	v_dual_add_f32 v27, v27, v28 :: v_dual_fmac_f32 v162, v8, v3
	v_fma_f32 v3, v7, v3, -v4
	s_delay_alu instid0(VALU_DEP_3) | instskip(NEXT) | instid1(VALU_DEP_1)
	v_dual_mul_f32 v4, v16, v12 :: v_dual_add_f32 v163, v163, v197
	v_fma_f32 v4, v15, v11, -v4
	s_delay_alu instid0(VALU_DEP_2) | instskip(SKIP_2) | instid1(VALU_DEP_1)
	v_add_f32_e32 v25, v163, v25
	s_wait_loadcnt_dscnt 0x0
	v_mul_f32_e32 v28, v23, v20
	v_dual_mul_f32 v165, v15, v12 :: v_dual_fmac_f32 v28, v24, v19
	s_delay_alu instid0(VALU_DEP_3) | instskip(SKIP_2) | instid1(VALU_DEP_4)
	v_add_f32_e32 v25, v25, v26
	v_mul_f32_e32 v26, v21, v18
	v_mul_f32_e32 v163, v13, v10
	v_fmac_f32_e32 v165, v16, v11
	s_delay_alu instid0(VALU_DEP_4) | instskip(NEXT) | instid1(VALU_DEP_4)
	v_add_f32_e32 v25, v25, v29
	v_dual_fmac_f32 v26, v22, v17 :: v_dual_add_f32 v27, v27, v159
	s_delay_alu instid0(VALU_DEP_4) | instskip(NEXT) | instid1(VALU_DEP_3)
	v_fmac_f32_e32 v163, v14, v9
	v_add_f32_e32 v5, v25, v32
	s_delay_alu instid0(VALU_DEP_3) | instskip(NEXT) | instid1(VALU_DEP_1)
	v_add_f32_e32 v1, v27, v160
	v_add_f32_e32 v1, v1, v2
	s_delay_alu instid0(VALU_DEP_3) | instskip(SKIP_1) | instid1(VALU_DEP_2)
	v_add_f32_e32 v2, v5, v164
	v_fma_f32 v5, v13, v9, -v6
	v_dual_add_f32 v1, v1, v3 :: v_dual_add_f32 v2, v2, v162
	v_mul_f32_e32 v3, v22, v18
	s_delay_alu instid0(VALU_DEP_2) | instskip(SKIP_1) | instid1(VALU_DEP_3)
	v_dual_add_f32 v1, v1, v5 :: v_dual_add_f32 v2, v2, v163
	v_mul_f32_e32 v5, v24, v20
	v_fma_f32 v3, v21, v17, -v3
	s_delay_alu instid0(VALU_DEP_3) | instskip(NEXT) | instid1(VALU_DEP_3)
	v_dual_add_f32 v1, v1, v4 :: v_dual_add_f32 v2, v2, v165
	v_fma_f32 v4, v23, v19, -v5
	s_delay_alu instid0(VALU_DEP_2) | instskip(NEXT) | instid1(VALU_DEP_1)
	v_dual_add_f32 v1, v1, v3 :: v_dual_add_f32 v2, v2, v26
	v_add_f32_e32 v1, v1, v4
	s_delay_alu instid0(VALU_DEP_2) | instskip(NEXT) | instid1(VALU_DEP_1)
	v_add_f32_e32 v2, v2, v28
	v_dual_sub_f32 v1, v30, v1 :: v_dual_sub_f32 v2, v31, v2
	scratch_store_b64 off, v[1:2], off offset:192
	v_cmpx_lt_u32_e32 23, v0
	s_cbranch_execz .LBB126_345
; %bb.344:
	scratch_load_b64 v[1:2], off, off offset:184
	v_mov_b32_e32 v3, 0
	s_delay_alu instid0(VALU_DEP_1)
	v_mov_b32_e32 v4, v3
	scratch_store_b64 off, v[3:4], off offset:184
	s_wait_loadcnt 0x0
	ds_store_b64 v161, v[1:2]
.LBB126_345:
	s_wait_alu 0xfffe
	s_or_b32 exec_lo, exec_lo, s0
	s_wait_storecnt_dscnt 0x0
	s_barrier_signal -1
	s_barrier_wait -1
	global_inv scope:SCOPE_SE
	s_clause 0x4
	scratch_load_b128 v[5:8], off, off offset:192
	scratch_load_b128 v[1:4], off, off offset:208
	;; [unrolled: 1-line block ×5, first 2 shown]
	v_mov_b32_e32 v21, 0
	ds_load_b128 v[22:25], v21 offset:704
	ds_load_b128 v[26:29], v21 offset:720
	;; [unrolled: 1-line block ×3, first 2 shown]
	scratch_load_b64 v[30:31], off, off offset:184
	s_mov_b32 s0, exec_lo
	s_wait_loadcnt_dscnt 0x502
	v_mul_f32_e32 v32, v23, v6
	v_dual_mul_f32 v159, v22, v6 :: v_dual_mul_f32 v160, v24, v8
	v_mul_f32_e32 v6, v25, v8
	s_wait_loadcnt_dscnt 0x300
	v_mul_f32_e32 v166, v164, v12
	v_fma_f32 v22, v22, v5, -v32
	v_dual_fmac_f32 v159, v23, v5 :: v_dual_fmac_f32 v160, v25, v7
	v_mul_f32_e32 v25, v28, v4
	v_fma_f32 v23, v24, v7, -v6
	ds_load_b128 v[5:8], v21 offset:752
	v_mul_f32_e32 v24, v26, v2
	v_mul_f32_e32 v4, v29, v4
	;; [unrolled: 1-line block ×5, first 2 shown]
	v_dual_mul_f32 v2, v27, v2 :: v_dual_fmac_f32 v25, v29, v3
	v_fmac_f32_e32 v24, v27, v1
	v_fma_f32 v27, v28, v3, -v4
	v_fmac_f32_e32 v32, v163, v9
	v_fma_f32 v28, v162, v9, -v10
	;; [unrolled: 2-line block ×3, first 2 shown]
	ds_load_b128 v[9:12], v21 offset:768
	s_wait_loadcnt_dscnt 0x201
	v_dual_mul_f32 v163, v7, v16 :: v_dual_mul_f32 v162, v5, v14
	v_mul_f32_e32 v14, v6, v14
	v_mul_f32_e32 v16, v8, v16
	s_delay_alu instid0(VALU_DEP_3)
	v_fmac_f32_e32 v163, v8, v15
	v_fma_f32 v26, v26, v1, -v2
	scratch_load_b128 v[1:4], off, off offset:272
	v_fmac_f32_e32 v162, v6, v13
	v_fma_f32 v13, v5, v13, -v14
	v_fma_f32 v14, v7, v15, -v16
	ds_load_b128 v[5:8], v21 offset:784
	s_wait_loadcnt_dscnt 0x201
	v_mul_f32_e32 v15, v9, v18
	v_mul_f32_e32 v16, v10, v18
	;; [unrolled: 1-line block ×3, first 2 shown]
	s_delay_alu instid0(VALU_DEP_3) | instskip(NEXT) | instid1(VALU_DEP_3)
	v_dual_mul_f32 v20, v12, v20 :: v_dual_fmac_f32 v15, v10, v17
	v_fma_f32 v16, v9, v17, -v16
	s_delay_alu instid0(VALU_DEP_3) | instskip(NEXT) | instid1(VALU_DEP_3)
	v_fmac_f32_e32 v18, v12, v19
	v_fma_f32 v17, v11, v19, -v20
	scratch_load_b128 v[9:12], off, off offset:288
	s_wait_loadcnt_dscnt 0x100
	v_mul_f32_e32 v19, v5, v2
	v_mul_f32_e32 v2, v6, v2
	;; [unrolled: 1-line block ×3, first 2 shown]
	s_delay_alu instid0(VALU_DEP_3) | instskip(NEXT) | instid1(VALU_DEP_3)
	v_dual_mul_f32 v4, v8, v4 :: v_dual_fmac_f32 v19, v6, v1
	v_fma_f32 v164, v5, v1, -v2
	s_delay_alu instid0(VALU_DEP_3) | instskip(NEXT) | instid1(VALU_DEP_3)
	v_fmac_f32_e32 v20, v8, v3
	v_fma_f32 v165, v7, v3, -v4
	ds_load_b128 v[1:4], v21 offset:800
	ds_load_b128 v[5:8], v21 offset:816
	s_wait_loadcnt_dscnt 0x1
	v_mul_f32_e32 v167, v1, v10
	v_mul_f32_e32 v10, v2, v10
	s_delay_alu instid0(VALU_DEP_2) | instskip(NEXT) | instid1(VALU_DEP_2)
	v_dual_mul_f32 v168, v3, v12 :: v_dual_fmac_f32 v167, v2, v9
	v_fma_f32 v169, v1, v9, -v10
	v_mul_f32_e32 v1, v4, v12
	s_delay_alu instid0(VALU_DEP_3) | instskip(NEXT) | instid1(VALU_DEP_2)
	v_fmac_f32_e32 v168, v4, v11
	v_fma_f32 v170, v3, v11, -v1
	s_clause 0x1
	scratch_load_b128 v[1:4], off, off offset:304
	scratch_load_b128 v[9:12], off, off offset:320
	s_wait_loadcnt_dscnt 0x100
	v_mul_f32_e32 v171, v5, v2
	v_dual_mul_f32 v2, v6, v2 :: v_dual_mul_f32 v173, v7, v4
	s_delay_alu instid0(VALU_DEP_2) | instskip(NEXT) | instid1(VALU_DEP_2)
	v_fmac_f32_e32 v171, v6, v1
	v_fma_f32 v172, v5, v1, -v2
	v_mul_f32_e32 v1, v8, v4
	s_delay_alu instid0(VALU_DEP_4) | instskip(NEXT) | instid1(VALU_DEP_2)
	v_fmac_f32_e32 v173, v8, v3
	v_fma_f32 v174, v7, v3, -v1
	ds_load_b128 v[1:4], v21 offset:832
	ds_load_b128 v[5:8], v21 offset:848
	s_wait_loadcnt_dscnt 0x1
	v_mul_f32_e32 v175, v1, v10
	v_mul_f32_e32 v177, v3, v12
	s_delay_alu instid0(VALU_DEP_2) | instskip(NEXT) | instid1(VALU_DEP_2)
	v_fmac_f32_e32 v175, v2, v9
	v_dual_mul_f32 v2, v2, v10 :: v_dual_fmac_f32 v177, v4, v11
	s_delay_alu instid0(VALU_DEP_1) | instskip(SKIP_1) | instid1(VALU_DEP_1)
	v_fma_f32 v176, v1, v9, -v2
	v_mul_f32_e32 v1, v4, v12
	v_fma_f32 v178, v3, v11, -v1
	s_clause 0x1
	scratch_load_b128 v[1:4], off, off offset:336
	scratch_load_b128 v[9:12], off, off offset:352
	s_wait_loadcnt_dscnt 0x100
	v_mul_f32_e32 v179, v5, v2
	v_dual_mul_f32 v2, v6, v2 :: v_dual_mul_f32 v181, v7, v4
	s_delay_alu instid0(VALU_DEP_2) | instskip(NEXT) | instid1(VALU_DEP_2)
	v_fmac_f32_e32 v179, v6, v1
	v_fma_f32 v180, v5, v1, -v2
	v_mul_f32_e32 v1, v8, v4
	s_delay_alu instid0(VALU_DEP_4) | instskip(NEXT) | instid1(VALU_DEP_2)
	v_fmac_f32_e32 v181, v8, v3
	v_fma_f32 v182, v7, v3, -v1
	ds_load_b128 v[1:4], v21 offset:864
	ds_load_b128 v[5:8], v21 offset:880
	s_wait_loadcnt_dscnt 0x1
	v_mul_f32_e32 v183, v1, v10
	v_mul_f32_e32 v185, v3, v12
	s_delay_alu instid0(VALU_DEP_2) | instskip(NEXT) | instid1(VALU_DEP_2)
	v_fmac_f32_e32 v183, v2, v9
	v_dual_mul_f32 v2, v2, v10 :: v_dual_fmac_f32 v185, v4, v11
	s_delay_alu instid0(VALU_DEP_1) | instskip(SKIP_1) | instid1(VALU_DEP_1)
	v_fma_f32 v184, v1, v9, -v2
	v_mul_f32_e32 v1, v4, v12
	;; [unrolled: 25-line block ×3, first 2 shown]
	v_fma_f32 v194, v3, v11, -v1
	s_clause 0x1
	scratch_load_b128 v[1:4], off, off offset:400
	scratch_load_b128 v[9:12], off, off offset:416
	s_wait_loadcnt_dscnt 0x100
	v_mul_f32_e32 v195, v5, v2
	v_mul_f32_e32 v2, v6, v2
	s_delay_alu instid0(VALU_DEP_1) | instskip(SKIP_1) | instid1(VALU_DEP_1)
	v_fma_f32 v196, v5, v1, -v2
	v_add_f32_e32 v2, 0, v159
	v_add_f32_e32 v2, v2, v160
	s_delay_alu instid0(VALU_DEP_1) | instskip(NEXT) | instid1(VALU_DEP_1)
	v_add_f32_e32 v2, v2, v24
	v_add_f32_e32 v2, v2, v25
	s_delay_alu instid0(VALU_DEP_1) | instskip(NEXT) | instid1(VALU_DEP_1)
	v_add_f32_e32 v2, v2, v32
	v_dual_add_f32 v2, v2, v166 :: v_dual_mul_f32 v197, v7, v4
	s_delay_alu instid0(VALU_DEP_1) | instskip(NEXT) | instid1(VALU_DEP_1)
	v_add_f32_e32 v2, v2, v162
	v_add_f32_e32 v2, v2, v163
	v_fmac_f32_e32 v195, v6, v1
	s_delay_alu instid0(VALU_DEP_2) | instskip(SKIP_1) | instid1(VALU_DEP_2)
	v_dual_mul_f32 v1, v8, v4 :: v_dual_add_f32 v2, v2, v15
	v_fmac_f32_e32 v197, v8, v3
	v_fma_f32 v198, v7, v3, -v1
	s_delay_alu instid0(VALU_DEP_3) | instskip(NEXT) | instid1(VALU_DEP_1)
	v_add_f32_e32 v2, v2, v18
	v_dual_add_f32 v1, 0, v22 :: v_dual_add_f32 v2, v2, v19
	s_delay_alu instid0(VALU_DEP_1) | instskip(NEXT) | instid1(VALU_DEP_1)
	v_dual_add_f32 v1, v1, v23 :: v_dual_add_f32 v2, v2, v20
	v_dual_add_f32 v1, v1, v26 :: v_dual_add_f32 v2, v2, v167
	s_delay_alu instid0(VALU_DEP_1) | instskip(SKIP_3) | instid1(VALU_DEP_1)
	v_add_f32_e32 v1, v1, v27
	scratch_load_b64 v[26:27], off, off offset:496
	v_add_f32_e32 v5, v2, v168
	v_add_f32_e32 v1, v1, v28
	;; [unrolled: 1-line block ×3, first 2 shown]
	s_delay_alu instid0(VALU_DEP_1) | instskip(NEXT) | instid1(VALU_DEP_4)
	v_add_f32_e32 v1, v1, v13
	v_add_f32_e32 v13, v5, v171
	s_delay_alu instid0(VALU_DEP_1) | instskip(NEXT) | instid1(VALU_DEP_1)
	v_add_f32_e32 v13, v13, v173
	v_add_f32_e32 v13, v13, v175
	s_delay_alu instid0(VALU_DEP_1) | instskip(NEXT) | instid1(VALU_DEP_1)
	v_add_f32_e32 v18, v13, v177
	v_dual_add_f32 v18, v18, v179 :: v_dual_add_f32 v1, v1, v14
	s_delay_alu instid0(VALU_DEP_1) | instskip(NEXT) | instid1(VALU_DEP_1)
	v_dual_add_f32 v18, v18, v181 :: v_dual_add_f32 v1, v1, v16
	v_dual_add_f32 v22, v18, v183 :: v_dual_add_f32 v1, v1, v17
	s_delay_alu instid0(VALU_DEP_1) | instskip(NEXT) | instid1(VALU_DEP_1)
	v_dual_add_f32 v22, v22, v185 :: v_dual_add_f32 v1, v1, v164
	v_add_f32_e32 v1, v1, v165
	s_delay_alu instid0(VALU_DEP_1) | instskip(NEXT) | instid1(VALU_DEP_1)
	v_add_f32_e32 v1, v1, v169
	v_add_f32_e32 v1, v1, v170
	s_delay_alu instid0(VALU_DEP_1)
	v_add_f32_e32 v6, v1, v172
	scratch_load_b128 v[1:4], off, off offset:432
	v_add_f32_e32 v22, v22, v187
	v_add_f32_e32 v14, v6, v174
	ds_load_b128 v[5:8], v21 offset:928
	v_add_f32_e32 v22, v22, v189
	v_add_f32_e32 v14, v14, v176
	s_delay_alu instid0(VALU_DEP_1)
	v_add_f32_e32 v17, v14, v178
	ds_load_b128 v[13:16], v21 offset:944
	s_wait_loadcnt_dscnt 0x201
	v_mul_f32_e32 v32, v5, v10
	v_dual_mul_f32 v10, v6, v10 :: v_dual_mul_f32 v159, v7, v12
	v_mul_f32_e32 v12, v8, v12
	s_delay_alu instid0(VALU_DEP_3) | instskip(NEXT) | instid1(VALU_DEP_3)
	v_fmac_f32_e32 v32, v6, v9
	v_fma_f32 v160, v5, v9, -v10
	s_delay_alu instid0(VALU_DEP_4) | instskip(NEXT) | instid1(VALU_DEP_4)
	v_fmac_f32_e32 v159, v8, v11
	v_fma_f32 v162, v7, v11, -v12
	s_clause 0x1
	scratch_load_b128 v[5:8], off, off offset:448
	scratch_load_b128 v[9:12], off, off offset:464
	s_wait_loadcnt_dscnt 0x200
	v_mul_f32_e32 v163, v13, v2
	v_mul_f32_e32 v2, v14, v2
	;; [unrolled: 1-line block ×4, first 2 shown]
	s_delay_alu instid0(VALU_DEP_3) | instskip(NEXT) | instid1(VALU_DEP_3)
	v_fma_f32 v165, v13, v1, -v2
	v_fmac_f32_e32 v164, v16, v3
	s_delay_alu instid0(VALU_DEP_3) | instskip(SKIP_2) | instid1(VALU_DEP_2)
	v_fma_f32 v166, v15, v3, -v4
	v_add_f32_e32 v13, v22, v191
	v_add_f32_e32 v17, v17, v180
	;; [unrolled: 1-line block ×3, first 2 shown]
	s_delay_alu instid0(VALU_DEP_2) | instskip(NEXT) | instid1(VALU_DEP_2)
	v_add_f32_e32 v17, v17, v182
	v_add_f32_e32 v29, v22, v195
	s_delay_alu instid0(VALU_DEP_1) | instskip(NEXT) | instid1(VALU_DEP_1)
	v_add_f32_e32 v168, v29, v197
	v_dual_add_f32 v32, v168, v32 :: v_dual_fmac_f32 v163, v14, v1
	ds_load_b128 v[1:4], v21 offset:960
	v_dual_add_f32 v17, v17, v184 :: v_dual_add_f32 v32, v32, v159
	s_delay_alu instid0(VALU_DEP_1) | instskip(SKIP_2) | instid1(VALU_DEP_1)
	v_add_f32_e32 v23, v17, v186
	scratch_load_b128 v[17:20], off, off offset:480
	v_add_f32_e32 v23, v23, v188
	v_add_f32_e32 v23, v23, v190
	s_delay_alu instid0(VALU_DEP_1) | instskip(NEXT) | instid1(VALU_DEP_1)
	v_add_f32_e32 v23, v23, v192
	v_add_f32_e32 v14, v23, v194
	ds_load_b128 v[22:25], v21 offset:992
	v_add_f32_e32 v28, v14, v196
	ds_load_b128 v[13:16], v21 offset:976
	v_add_f32_e32 v167, v28, v198
	ds_load_b64 v[28:29], v21 offset:1008
	s_wait_loadcnt_dscnt 0x203
	v_mul_f32_e32 v159, v3, v8
	v_mul_f32_e32 v8, v4, v8
	v_add_f32_e32 v160, v167, v160
	s_delay_alu instid0(VALU_DEP_1) | instskip(NEXT) | instid1(VALU_DEP_1)
	v_add_f32_e32 v160, v160, v162
	v_add_f32_e32 v160, v160, v165
	s_wait_loadcnt_dscnt 0x101
	v_mul_f32_e32 v162, v13, v10
	v_dual_mul_f32 v167, v1, v6 :: v_dual_add_f32 v32, v32, v163
	v_mul_f32_e32 v6, v2, v6
	v_add_f32_e32 v160, v160, v166
	s_delay_alu instid0(VALU_DEP_4) | instskip(NEXT) | instid1(VALU_DEP_4)
	v_fmac_f32_e32 v162, v14, v9
	v_add_f32_e32 v32, v32, v164
	s_wait_dscnt 0x0
	v_mul_f32_e32 v164, v28, v27
	v_fma_f32 v1, v1, v5, -v6
	v_fmac_f32_e32 v159, v4, v7
	v_fmac_f32_e32 v167, v2, v5
	v_mul_f32_e32 v163, v15, v12
	v_fma_f32 v2, v3, v7, -v8
	v_dual_add_f32 v1, v160, v1 :: v_dual_fmac_f32 v164, v29, v26
	s_delay_alu instid0(VALU_DEP_4) | instskip(NEXT) | instid1(VALU_DEP_4)
	v_add_f32_e32 v4, v32, v167
	v_fmac_f32_e32 v163, v16, v11
	s_wait_loadcnt 0x0
	v_dual_mul_f32 v165, v22, v18 :: v_dual_mul_f32 v166, v24, v20
	v_mul_f32_e32 v3, v14, v10
	s_delay_alu instid0(VALU_DEP_2) | instskip(SKIP_1) | instid1(VALU_DEP_4)
	v_fmac_f32_e32 v165, v23, v17
	v_dual_add_f32 v1, v1, v2 :: v_dual_add_f32 v2, v4, v159
	v_fmac_f32_e32 v166, v25, v19
	s_delay_alu instid0(VALU_DEP_4) | instskip(SKIP_1) | instid1(VALU_DEP_4)
	v_fma_f32 v3, v13, v9, -v3
	v_mul_f32_e32 v4, v23, v18
	v_dual_add_f32 v2, v2, v162 :: v_dual_mul_f32 v5, v16, v12
	s_delay_alu instid0(VALU_DEP_2) | instskip(NEXT) | instid1(VALU_DEP_2)
	v_fma_f32 v4, v22, v17, -v4
	v_add_f32_e32 v2, v2, v163
	s_delay_alu instid0(VALU_DEP_3) | instskip(NEXT) | instid1(VALU_DEP_2)
	v_fma_f32 v5, v15, v11, -v5
	v_dual_add_f32 v2, v2, v165 :: v_dual_add_f32 v1, v1, v3
	s_delay_alu instid0(VALU_DEP_1) | instskip(NEXT) | instid1(VALU_DEP_1)
	v_dual_add_f32 v2, v2, v166 :: v_dual_add_f32 v1, v1, v5
	v_dual_mul_f32 v5, v29, v27 :: v_dual_add_f32 v2, v2, v164
	v_mul_f32_e32 v3, v25, v20
	s_delay_alu instid0(VALU_DEP_3) | instskip(NEXT) | instid1(VALU_DEP_3)
	v_add_f32_e32 v1, v1, v4
	v_fma_f32 v4, v28, v26, -v5
	s_delay_alu instid0(VALU_DEP_4) | instskip(NEXT) | instid1(VALU_DEP_4)
	v_sub_f32_e32 v2, v31, v2
	v_fma_f32 v3, v24, v19, -v3
	s_delay_alu instid0(VALU_DEP_1) | instskip(NEXT) | instid1(VALU_DEP_1)
	v_add_f32_e32 v1, v1, v3
	v_add_f32_e32 v1, v1, v4
	s_delay_alu instid0(VALU_DEP_1)
	v_sub_f32_e32 v1, v30, v1
	scratch_store_b64 off, v[1:2], off offset:184
	v_cmpx_lt_u32_e32 22, v0
	s_cbranch_execz .LBB126_347
; %bb.346:
	scratch_load_b64 v[1:2], off, off offset:176
	v_mov_b32_e32 v22, v21
	scratch_store_b64 off, v[21:22], off offset:176
	s_wait_loadcnt 0x0
	ds_store_b64 v161, v[1:2]
.LBB126_347:
	s_wait_alu 0xfffe
	s_or_b32 exec_lo, exec_lo, s0
	s_wait_storecnt_dscnt 0x0
	s_barrier_signal -1
	s_barrier_wait -1
	global_inv scope:SCOPE_SE
	s_clause 0x4
	scratch_load_b128 v[5:8], off, off offset:184
	scratch_load_b128 v[1:4], off, off offset:200
	;; [unrolled: 1-line block ×5, first 2 shown]
	ds_load_2addr_b64 v[22:25], v21 offset0:87 offset1:88
	ds_load_2addr_b64 v[26:29], v21 offset0:89 offset1:90
	;; [unrolled: 1-line block ×3, first 2 shown]
	scratch_load_b64 v[30:31], off, off offset:176
	s_mov_b32 s0, exec_lo
	s_wait_loadcnt_dscnt 0x502
	v_mul_f32_e32 v32, v23, v6
	v_dual_mul_f32 v159, v22, v6 :: v_dual_mul_f32 v160, v24, v8
	v_mul_f32_e32 v6, v25, v8
	s_wait_loadcnt_dscnt 0x300
	v_mul_f32_e32 v166, v164, v12
	s_delay_alu instid0(VALU_DEP_3)
	v_dual_mul_f32 v12, v165, v12 :: v_dual_fmac_f32 v159, v23, v5
	v_fmac_f32_e32 v160, v25, v7
	v_fma_f32 v23, v24, v7, -v6
	v_mul_f32_e32 v25, v28, v4
	v_fma_f32 v22, v22, v5, -v32
	ds_load_2addr_b64 v[5:8], v21 offset0:93 offset1:94
	v_mul_f32_e32 v24, v26, v2
	v_mul_f32_e32 v4, v29, v4
	;; [unrolled: 1-line block ×4, first 2 shown]
	v_dual_mul_f32 v2, v27, v2 :: v_dual_fmac_f32 v25, v29, v3
	v_fmac_f32_e32 v24, v27, v1
	v_fma_f32 v27, v28, v3, -v4
	v_fmac_f32_e32 v32, v163, v9
	v_fma_f32 v28, v162, v9, -v10
	v_fmac_f32_e32 v166, v165, v11
	v_fma_f32 v29, v164, v11, -v12
	ds_load_2addr_b64 v[9:12], v21 offset0:95 offset1:96
	s_wait_loadcnt_dscnt 0x201
	v_dual_mul_f32 v163, v7, v16 :: v_dual_mul_f32 v162, v5, v14
	v_mul_f32_e32 v14, v6, v14
	v_mul_f32_e32 v16, v8, v16
	s_delay_alu instid0(VALU_DEP_3)
	v_fmac_f32_e32 v163, v8, v15
	v_fma_f32 v26, v26, v1, -v2
	scratch_load_b128 v[1:4], off, off offset:264
	v_fmac_f32_e32 v162, v6, v13
	v_fma_f32 v13, v5, v13, -v14
	v_fma_f32 v14, v7, v15, -v16
	ds_load_2addr_b64 v[5:8], v21 offset0:97 offset1:98
	s_wait_loadcnt_dscnt 0x201
	v_mul_f32_e32 v15, v9, v18
	v_mul_f32_e32 v16, v10, v18
	v_mul_f32_e32 v18, v11, v20
	s_delay_alu instid0(VALU_DEP_3) | instskip(NEXT) | instid1(VALU_DEP_3)
	v_dual_mul_f32 v20, v12, v20 :: v_dual_fmac_f32 v15, v10, v17
	v_fma_f32 v16, v9, v17, -v16
	s_delay_alu instid0(VALU_DEP_3) | instskip(NEXT) | instid1(VALU_DEP_3)
	v_fmac_f32_e32 v18, v12, v19
	v_fma_f32 v17, v11, v19, -v20
	scratch_load_b128 v[9:12], off, off offset:280
	s_wait_loadcnt_dscnt 0x100
	v_mul_f32_e32 v19, v5, v2
	v_mul_f32_e32 v2, v6, v2
	;; [unrolled: 1-line block ×3, first 2 shown]
	s_delay_alu instid0(VALU_DEP_3) | instskip(NEXT) | instid1(VALU_DEP_3)
	v_dual_mul_f32 v4, v8, v4 :: v_dual_fmac_f32 v19, v6, v1
	v_fma_f32 v164, v5, v1, -v2
	s_delay_alu instid0(VALU_DEP_3) | instskip(NEXT) | instid1(VALU_DEP_3)
	v_fmac_f32_e32 v20, v8, v3
	v_fma_f32 v165, v7, v3, -v4
	ds_load_2addr_b64 v[1:4], v21 offset0:99 offset1:100
	ds_load_2addr_b64 v[5:8], v21 offset0:101 offset1:102
	s_wait_loadcnt_dscnt 0x1
	v_mul_f32_e32 v167, v1, v10
	v_mul_f32_e32 v10, v2, v10
	s_delay_alu instid0(VALU_DEP_2) | instskip(NEXT) | instid1(VALU_DEP_2)
	v_dual_mul_f32 v168, v3, v12 :: v_dual_fmac_f32 v167, v2, v9
	v_fma_f32 v169, v1, v9, -v10
	v_mul_f32_e32 v1, v4, v12
	s_delay_alu instid0(VALU_DEP_3) | instskip(NEXT) | instid1(VALU_DEP_2)
	v_fmac_f32_e32 v168, v4, v11
	v_fma_f32 v170, v3, v11, -v1
	s_clause 0x1
	scratch_load_b128 v[1:4], off, off offset:296
	scratch_load_b128 v[9:12], off, off offset:312
	s_wait_loadcnt_dscnt 0x100
	v_mul_f32_e32 v171, v5, v2
	v_dual_mul_f32 v2, v6, v2 :: v_dual_mul_f32 v173, v7, v4
	s_delay_alu instid0(VALU_DEP_2) | instskip(NEXT) | instid1(VALU_DEP_2)
	v_fmac_f32_e32 v171, v6, v1
	v_fma_f32 v172, v5, v1, -v2
	v_mul_f32_e32 v1, v8, v4
	s_delay_alu instid0(VALU_DEP_4) | instskip(NEXT) | instid1(VALU_DEP_2)
	v_fmac_f32_e32 v173, v8, v3
	v_fma_f32 v174, v7, v3, -v1
	ds_load_2addr_b64 v[1:4], v21 offset0:103 offset1:104
	ds_load_2addr_b64 v[5:8], v21 offset0:105 offset1:106
	s_wait_loadcnt_dscnt 0x1
	v_mul_f32_e32 v175, v1, v10
	v_mul_f32_e32 v177, v3, v12
	s_delay_alu instid0(VALU_DEP_2) | instskip(NEXT) | instid1(VALU_DEP_2)
	v_fmac_f32_e32 v175, v2, v9
	v_dual_mul_f32 v2, v2, v10 :: v_dual_fmac_f32 v177, v4, v11
	s_delay_alu instid0(VALU_DEP_1) | instskip(SKIP_1) | instid1(VALU_DEP_1)
	v_fma_f32 v176, v1, v9, -v2
	v_mul_f32_e32 v1, v4, v12
	v_fma_f32 v178, v3, v11, -v1
	s_clause 0x1
	scratch_load_b128 v[1:4], off, off offset:328
	scratch_load_b128 v[9:12], off, off offset:344
	s_wait_loadcnt_dscnt 0x100
	v_mul_f32_e32 v179, v5, v2
	v_dual_mul_f32 v2, v6, v2 :: v_dual_mul_f32 v181, v7, v4
	s_delay_alu instid0(VALU_DEP_2) | instskip(NEXT) | instid1(VALU_DEP_2)
	v_fmac_f32_e32 v179, v6, v1
	v_fma_f32 v180, v5, v1, -v2
	v_mul_f32_e32 v1, v8, v4
	s_delay_alu instid0(VALU_DEP_4) | instskip(NEXT) | instid1(VALU_DEP_2)
	v_fmac_f32_e32 v181, v8, v3
	v_fma_f32 v182, v7, v3, -v1
	ds_load_2addr_b64 v[1:4], v21 offset0:107 offset1:108
	ds_load_2addr_b64 v[5:8], v21 offset0:109 offset1:110
	s_wait_loadcnt_dscnt 0x1
	v_mul_f32_e32 v183, v1, v10
	v_mul_f32_e32 v185, v3, v12
	s_delay_alu instid0(VALU_DEP_2) | instskip(NEXT) | instid1(VALU_DEP_2)
	v_fmac_f32_e32 v183, v2, v9
	v_dual_mul_f32 v2, v2, v10 :: v_dual_fmac_f32 v185, v4, v11
	s_delay_alu instid0(VALU_DEP_1) | instskip(SKIP_1) | instid1(VALU_DEP_1)
	v_fma_f32 v184, v1, v9, -v2
	v_mul_f32_e32 v1, v4, v12
	;; [unrolled: 25-line block ×4, first 2 shown]
	v_fma_f32 v202, v3, v11, -v1
	s_clause 0x1
	scratch_load_b128 v[1:4], off, off offset:424
	scratch_load_b128 v[9:12], off, off offset:440
	s_wait_loadcnt_dscnt 0x100
	v_mul_f32_e32 v203, v5, v2
	v_mul_f32_e32 v2, v6, v2
	s_delay_alu instid0(VALU_DEP_1) | instskip(SKIP_1) | instid1(VALU_DEP_1)
	v_fma_f32 v204, v5, v1, -v2
	v_add_f32_e32 v2, 0, v159
	v_add_f32_e32 v2, v2, v160
	s_delay_alu instid0(VALU_DEP_1) | instskip(NEXT) | instid1(VALU_DEP_1)
	v_add_f32_e32 v2, v2, v24
	v_add_f32_e32 v2, v2, v25
	s_delay_alu instid0(VALU_DEP_1) | instskip(NEXT) | instid1(VALU_DEP_1)
	;; [unrolled: 3-line block ×5, first 2 shown]
	v_add_f32_e32 v2, v2, v19
	v_add_f32_e32 v2, v2, v20
	v_mul_f32_e32 v205, v7, v4
	v_fmac_f32_e32 v203, v6, v1
	s_delay_alu instid0(VALU_DEP_3) | instskip(NEXT) | instid1(VALU_DEP_1)
	v_add_f32_e32 v2, v2, v167
	v_dual_fmac_f32 v205, v8, v3 :: v_dual_add_f32 v2, v2, v168
	s_delay_alu instid0(VALU_DEP_1) | instskip(NEXT) | instid1(VALU_DEP_1)
	v_dual_mul_f32 v1, v8, v4 :: v_dual_add_f32 v2, v2, v171
	v_fma_f32 v206, v7, v3, -v1
	s_delay_alu instid0(VALU_DEP_2) | instskip(NEXT) | instid1(VALU_DEP_1)
	v_dual_add_f32 v1, 0, v22 :: v_dual_add_f32 v2, v2, v173
	v_add_f32_e32 v1, v1, v23
	s_delay_alu instid0(VALU_DEP_2) | instskip(NEXT) | instid1(VALU_DEP_2)
	v_add_f32_e32 v5, v2, v175
	v_add_f32_e32 v1, v1, v26
	s_delay_alu instid0(VALU_DEP_2) | instskip(NEXT) | instid1(VALU_DEP_2)
	v_add_f32_e32 v5, v5, v177
	;; [unrolled: 3-line block ×3, first 2 shown]
	v_add_f32_e32 v1, v1, v28
	s_delay_alu instid0(VALU_DEP_1) | instskip(NEXT) | instid1(VALU_DEP_1)
	v_add_f32_e32 v1, v1, v29
	v_add_f32_e32 v1, v1, v13
	s_delay_alu instid0(VALU_DEP_1) | instskip(SKIP_1) | instid1(VALU_DEP_1)
	v_add_f32_e32 v1, v1, v14
	v_add_f32_e32 v14, v5, v181
	v_dual_add_f32 v1, v1, v16 :: v_dual_add_f32 v14, v14, v183
	s_delay_alu instid0(VALU_DEP_1) | instskip(NEXT) | instid1(VALU_DEP_1)
	v_add_f32_e32 v1, v1, v17
	v_dual_add_f32 v14, v14, v185 :: v_dual_add_f32 v1, v1, v164
	s_delay_alu instid0(VALU_DEP_1) | instskip(NEXT) | instid1(VALU_DEP_1)
	v_add_f32_e32 v1, v1, v165
	v_add_f32_e32 v1, v1, v169
	s_delay_alu instid0(VALU_DEP_1) | instskip(NEXT) | instid1(VALU_DEP_1)
	v_add_f32_e32 v1, v1, v170
	v_add_f32_e32 v1, v1, v172
	;; [unrolled: 3-line block ×3, first 2 shown]
	s_delay_alu instid0(VALU_DEP_1) | instskip(SKIP_2) | instid1(VALU_DEP_1)
	v_add_f32_e32 v6, v1, v178
	ds_load_2addr_b64 v[1:4], v21 offset0:119 offset1:120
	v_add_f32_e32 v17, v14, v187
	v_dual_add_f32 v6, v6, v180 :: v_dual_add_f32 v17, v17, v189
	s_delay_alu instid0(VALU_DEP_1) | instskip(SKIP_4) | instid1(VALU_DEP_2)
	v_add_f32_e32 v13, v6, v182
	ds_load_2addr_b64 v[5:8], v21 offset0:121 offset1:122
	s_wait_loadcnt_dscnt 0x1
	v_dual_mul_f32 v25, v1, v10 :: v_dual_mul_f32 v26, v3, v12
	v_mul_f32_e32 v10, v2, v10
	v_dual_mul_f32 v12, v4, v12 :: v_dual_fmac_f32 v25, v2, v9
	s_delay_alu instid0(VALU_DEP_3) | instskip(NEXT) | instid1(VALU_DEP_3)
	v_fmac_f32_e32 v26, v4, v11
	v_fma_f32 v27, v1, v9, -v10
	s_delay_alu instid0(VALU_DEP_3) | instskip(SKIP_4) | instid1(VALU_DEP_1)
	v_fma_f32 v28, v3, v11, -v12
	s_clause 0x1
	scratch_load_b128 v[1:4], off, off offset:456
	scratch_load_b128 v[9:12], off, off offset:472
	v_add_f32_e32 v13, v13, v184
	v_add_f32_e32 v13, v13, v186
	s_delay_alu instid0(VALU_DEP_1) | instskip(NEXT) | instid1(VALU_DEP_1)
	v_add_f32_e32 v13, v13, v188
	v_add_f32_e32 v18, v13, v190
	scratch_load_b128 v[13:16], off, off offset:488
	v_dual_add_f32 v17, v17, v191 :: v_dual_add_f32 v18, v18, v192
	s_delay_alu instid0(VALU_DEP_1) | instskip(NEXT) | instid1(VALU_DEP_1)
	v_dual_add_f32 v17, v17, v193 :: v_dual_add_f32 v18, v18, v194
	v_dual_add_f32 v23, v17, v195 :: v_dual_add_f32 v22, v18, v196
	ds_load_2addr_b64 v[17:20], v21 offset0:123 offset1:124
	v_add_f32_e32 v32, v23, v197
	s_delay_alu instid0(VALU_DEP_1) | instskip(NEXT) | instid1(VALU_DEP_1)
	v_add_f32_e32 v32, v32, v199
	v_add_f32_e32 v32, v32, v201
	s_delay_alu instid0(VALU_DEP_1) | instskip(SKIP_1) | instid1(VALU_DEP_1)
	v_add_f32_e32 v32, v32, v203
	s_wait_loadcnt_dscnt 0x201
	v_dual_add_f32 v32, v32, v205 :: v_dual_mul_f32 v159, v5, v2
	v_mul_f32_e32 v2, v6, v2
	v_mul_f32_e32 v160, v7, v4
	;; [unrolled: 1-line block ×3, first 2 shown]
	s_wait_loadcnt_dscnt 0x100
	v_dual_mul_f32 v162, v17, v10 :: v_dual_fmac_f32 v159, v6, v1
	v_add_f32_e32 v29, v22, v198
	ds_load_2addr_b64 v[21:24], v21 offset0:125 offset1:126
	v_fma_f32 v2, v5, v1, -v2
	v_mul_f32_e32 v6, v18, v10
	v_dual_fmac_f32 v160, v8, v3 :: v_dual_add_f32 v29, v29, v200
	v_fma_f32 v3, v7, v3, -v4
	v_mul_f32_e32 v163, v19, v12
	v_mul_f32_e32 v4, v20, v12
	s_delay_alu instid0(VALU_DEP_4) | instskip(NEXT) | instid1(VALU_DEP_3)
	v_dual_fmac_f32 v162, v18, v9 :: v_dual_add_f32 v29, v29, v202
	v_fmac_f32_e32 v163, v20, v11
	s_delay_alu instid0(VALU_DEP_3) | instskip(NEXT) | instid1(VALU_DEP_3)
	v_fma_f32 v4, v19, v11, -v4
	v_add_f32_e32 v29, v29, v204
	s_delay_alu instid0(VALU_DEP_1) | instskip(SKIP_2) | instid1(VALU_DEP_2)
	v_add_f32_e32 v29, v29, v206
	s_wait_loadcnt_dscnt 0x0
	v_dual_mul_f32 v164, v21, v14 :: v_dual_add_f32 v25, v32, v25
	v_add_f32_e32 v27, v29, v27
	v_mul_f32_e32 v29, v23, v16
	s_delay_alu instid0(VALU_DEP_3) | instskip(NEXT) | instid1(VALU_DEP_3)
	v_dual_add_f32 v5, v25, v26 :: v_dual_fmac_f32 v164, v22, v13
	v_add_f32_e32 v1, v27, v28
	s_delay_alu instid0(VALU_DEP_3) | instskip(NEXT) | instid1(VALU_DEP_2)
	v_fmac_f32_e32 v29, v24, v15
	v_add_f32_e32 v1, v1, v2
	s_delay_alu instid0(VALU_DEP_4) | instskip(SKIP_1) | instid1(VALU_DEP_2)
	v_add_f32_e32 v2, v5, v159
	v_fma_f32 v5, v17, v9, -v6
	v_dual_add_f32 v1, v1, v3 :: v_dual_add_f32 v2, v2, v160
	v_mul_f32_e32 v3, v22, v14
	s_delay_alu instid0(VALU_DEP_2) | instskip(SKIP_1) | instid1(VALU_DEP_3)
	v_dual_add_f32 v1, v1, v5 :: v_dual_add_f32 v2, v2, v162
	v_mul_f32_e32 v5, v24, v16
	v_fma_f32 v3, v21, v13, -v3
	s_delay_alu instid0(VALU_DEP_3) | instskip(NEXT) | instid1(VALU_DEP_3)
	v_dual_add_f32 v1, v1, v4 :: v_dual_add_f32 v2, v2, v163
	v_fma_f32 v4, v23, v15, -v5
	s_delay_alu instid0(VALU_DEP_2) | instskip(NEXT) | instid1(VALU_DEP_1)
	v_dual_add_f32 v1, v1, v3 :: v_dual_add_f32 v2, v2, v164
	v_dual_add_f32 v1, v1, v4 :: v_dual_add_f32 v2, v2, v29
	s_delay_alu instid0(VALU_DEP_1)
	v_dual_sub_f32 v1, v30, v1 :: v_dual_sub_f32 v2, v31, v2
	scratch_store_b64 off, v[1:2], off offset:176
	v_cmpx_lt_u32_e32 21, v0
	s_cbranch_execz .LBB126_349
; %bb.348:
	scratch_load_b64 v[1:2], off, off offset:168
	v_mov_b32_e32 v3, 0
	s_delay_alu instid0(VALU_DEP_1)
	v_mov_b32_e32 v4, v3
	scratch_store_b64 off, v[3:4], off offset:168
	s_wait_loadcnt 0x0
	ds_store_b64 v161, v[1:2]
.LBB126_349:
	s_wait_alu 0xfffe
	s_or_b32 exec_lo, exec_lo, s0
	s_wait_storecnt_dscnt 0x0
	s_barrier_signal -1
	s_barrier_wait -1
	global_inv scope:SCOPE_SE
	s_clause 0x4
	scratch_load_b128 v[5:8], off, off offset:176
	scratch_load_b128 v[1:4], off, off offset:192
	;; [unrolled: 1-line block ×5, first 2 shown]
	v_mov_b32_e32 v21, 0
	ds_load_b128 v[22:25], v21 offset:688
	ds_load_b128 v[26:29], v21 offset:704
	;; [unrolled: 1-line block ×3, first 2 shown]
	scratch_load_b64 v[30:31], off, off offset:168
	s_mov_b32 s0, exec_lo
	s_wait_loadcnt_dscnt 0x502
	v_mul_f32_e32 v32, v23, v6
	v_dual_mul_f32 v159, v22, v6 :: v_dual_mul_f32 v160, v24, v8
	v_mul_f32_e32 v6, v25, v8
	s_wait_loadcnt_dscnt 0x300
	v_mul_f32_e32 v166, v164, v12
	v_fma_f32 v22, v22, v5, -v32
	v_dual_fmac_f32 v159, v23, v5 :: v_dual_fmac_f32 v160, v25, v7
	v_mul_f32_e32 v25, v28, v4
	v_fma_f32 v23, v24, v7, -v6
	ds_load_b128 v[5:8], v21 offset:736
	v_mul_f32_e32 v24, v26, v2
	v_mul_f32_e32 v4, v29, v4
	;; [unrolled: 1-line block ×5, first 2 shown]
	v_dual_mul_f32 v2, v27, v2 :: v_dual_fmac_f32 v25, v29, v3
	v_fmac_f32_e32 v24, v27, v1
	v_fma_f32 v27, v28, v3, -v4
	v_fmac_f32_e32 v32, v163, v9
	v_fma_f32 v28, v162, v9, -v10
	;; [unrolled: 2-line block ×3, first 2 shown]
	ds_load_b128 v[9:12], v21 offset:752
	s_wait_loadcnt_dscnt 0x201
	v_dual_mul_f32 v163, v7, v16 :: v_dual_mul_f32 v162, v5, v14
	v_mul_f32_e32 v14, v6, v14
	v_mul_f32_e32 v16, v8, v16
	s_delay_alu instid0(VALU_DEP_3)
	v_fmac_f32_e32 v163, v8, v15
	v_fma_f32 v26, v26, v1, -v2
	scratch_load_b128 v[1:4], off, off offset:256
	v_fmac_f32_e32 v162, v6, v13
	v_fma_f32 v13, v5, v13, -v14
	v_fma_f32 v14, v7, v15, -v16
	ds_load_b128 v[5:8], v21 offset:768
	s_wait_loadcnt_dscnt 0x201
	v_mul_f32_e32 v15, v9, v18
	v_mul_f32_e32 v16, v10, v18
	;; [unrolled: 1-line block ×3, first 2 shown]
	s_delay_alu instid0(VALU_DEP_3) | instskip(NEXT) | instid1(VALU_DEP_3)
	v_dual_mul_f32 v20, v12, v20 :: v_dual_fmac_f32 v15, v10, v17
	v_fma_f32 v16, v9, v17, -v16
	s_delay_alu instid0(VALU_DEP_3) | instskip(NEXT) | instid1(VALU_DEP_3)
	v_fmac_f32_e32 v18, v12, v19
	v_fma_f32 v17, v11, v19, -v20
	scratch_load_b128 v[9:12], off, off offset:272
	s_wait_loadcnt_dscnt 0x100
	v_mul_f32_e32 v19, v5, v2
	v_mul_f32_e32 v2, v6, v2
	v_mul_f32_e32 v20, v7, v4
	s_delay_alu instid0(VALU_DEP_3) | instskip(NEXT) | instid1(VALU_DEP_3)
	v_dual_mul_f32 v4, v8, v4 :: v_dual_fmac_f32 v19, v6, v1
	v_fma_f32 v164, v5, v1, -v2
	s_delay_alu instid0(VALU_DEP_3) | instskip(NEXT) | instid1(VALU_DEP_3)
	v_fmac_f32_e32 v20, v8, v3
	v_fma_f32 v165, v7, v3, -v4
	ds_load_b128 v[1:4], v21 offset:784
	ds_load_b128 v[5:8], v21 offset:800
	s_wait_loadcnt_dscnt 0x1
	v_mul_f32_e32 v167, v1, v10
	v_mul_f32_e32 v10, v2, v10
	s_delay_alu instid0(VALU_DEP_2) | instskip(NEXT) | instid1(VALU_DEP_2)
	v_dual_mul_f32 v168, v3, v12 :: v_dual_fmac_f32 v167, v2, v9
	v_fma_f32 v169, v1, v9, -v10
	v_mul_f32_e32 v1, v4, v12
	s_delay_alu instid0(VALU_DEP_3) | instskip(NEXT) | instid1(VALU_DEP_2)
	v_fmac_f32_e32 v168, v4, v11
	v_fma_f32 v170, v3, v11, -v1
	s_clause 0x1
	scratch_load_b128 v[1:4], off, off offset:288
	scratch_load_b128 v[9:12], off, off offset:304
	s_wait_loadcnt_dscnt 0x100
	v_mul_f32_e32 v171, v5, v2
	v_dual_mul_f32 v2, v6, v2 :: v_dual_mul_f32 v173, v7, v4
	s_delay_alu instid0(VALU_DEP_2) | instskip(NEXT) | instid1(VALU_DEP_2)
	v_fmac_f32_e32 v171, v6, v1
	v_fma_f32 v172, v5, v1, -v2
	v_mul_f32_e32 v1, v8, v4
	s_delay_alu instid0(VALU_DEP_4) | instskip(NEXT) | instid1(VALU_DEP_2)
	v_fmac_f32_e32 v173, v8, v3
	v_fma_f32 v174, v7, v3, -v1
	ds_load_b128 v[1:4], v21 offset:816
	ds_load_b128 v[5:8], v21 offset:832
	s_wait_loadcnt_dscnt 0x1
	v_mul_f32_e32 v175, v1, v10
	v_mul_f32_e32 v177, v3, v12
	s_delay_alu instid0(VALU_DEP_2) | instskip(NEXT) | instid1(VALU_DEP_2)
	v_fmac_f32_e32 v175, v2, v9
	v_dual_mul_f32 v2, v2, v10 :: v_dual_fmac_f32 v177, v4, v11
	s_delay_alu instid0(VALU_DEP_1) | instskip(SKIP_1) | instid1(VALU_DEP_1)
	v_fma_f32 v176, v1, v9, -v2
	v_mul_f32_e32 v1, v4, v12
	v_fma_f32 v178, v3, v11, -v1
	s_clause 0x1
	scratch_load_b128 v[1:4], off, off offset:320
	scratch_load_b128 v[9:12], off, off offset:336
	s_wait_loadcnt_dscnt 0x100
	v_mul_f32_e32 v179, v5, v2
	v_dual_mul_f32 v2, v6, v2 :: v_dual_mul_f32 v181, v7, v4
	s_delay_alu instid0(VALU_DEP_2) | instskip(NEXT) | instid1(VALU_DEP_2)
	v_fmac_f32_e32 v179, v6, v1
	v_fma_f32 v180, v5, v1, -v2
	v_mul_f32_e32 v1, v8, v4
	s_delay_alu instid0(VALU_DEP_4) | instskip(NEXT) | instid1(VALU_DEP_2)
	v_fmac_f32_e32 v181, v8, v3
	v_fma_f32 v182, v7, v3, -v1
	ds_load_b128 v[1:4], v21 offset:848
	ds_load_b128 v[5:8], v21 offset:864
	s_wait_loadcnt_dscnt 0x1
	v_mul_f32_e32 v183, v1, v10
	v_mul_f32_e32 v185, v3, v12
	s_delay_alu instid0(VALU_DEP_2) | instskip(NEXT) | instid1(VALU_DEP_2)
	v_fmac_f32_e32 v183, v2, v9
	v_dual_mul_f32 v2, v2, v10 :: v_dual_fmac_f32 v185, v4, v11
	s_delay_alu instid0(VALU_DEP_1) | instskip(SKIP_1) | instid1(VALU_DEP_1)
	v_fma_f32 v184, v1, v9, -v2
	v_mul_f32_e32 v1, v4, v12
	;; [unrolled: 25-line block ×4, first 2 shown]
	v_fma_f32 v202, v3, v11, -v1
	s_clause 0x1
	scratch_load_b128 v[1:4], off, off offset:416
	scratch_load_b128 v[9:12], off, off offset:432
	s_wait_loadcnt_dscnt 0x100
	v_mul_f32_e32 v203, v5, v2
	v_mul_f32_e32 v2, v6, v2
	s_delay_alu instid0(VALU_DEP_1) | instskip(SKIP_1) | instid1(VALU_DEP_1)
	v_fma_f32 v204, v5, v1, -v2
	v_add_f32_e32 v2, 0, v159
	v_add_f32_e32 v2, v2, v160
	s_delay_alu instid0(VALU_DEP_1) | instskip(NEXT) | instid1(VALU_DEP_1)
	v_add_f32_e32 v2, v2, v24
	v_add_f32_e32 v2, v2, v25
	s_delay_alu instid0(VALU_DEP_1) | instskip(NEXT) | instid1(VALU_DEP_1)
	;; [unrolled: 3-line block ×5, first 2 shown]
	v_add_f32_e32 v2, v2, v19
	v_add_f32_e32 v2, v2, v20
	s_delay_alu instid0(VALU_DEP_1) | instskip(SKIP_1) | instid1(VALU_DEP_2)
	v_add_f32_e32 v2, v2, v167
	v_fmac_f32_e32 v203, v6, v1
	v_add_f32_e32 v2, v2, v168
	s_delay_alu instid0(VALU_DEP_1) | instskip(NEXT) | instid1(VALU_DEP_1)
	v_dual_mul_f32 v205, v7, v4 :: v_dual_add_f32 v2, v2, v171
	v_dual_fmac_f32 v205, v8, v3 :: v_dual_add_f32 v2, v2, v173
	s_delay_alu instid0(VALU_DEP_1) | instskip(NEXT) | instid1(VALU_DEP_1)
	v_add_f32_e32 v5, v2, v175
	v_add_f32_e32 v5, v5, v177
	s_delay_alu instid0(VALU_DEP_1) | instskip(SKIP_1) | instid1(VALU_DEP_1)
	v_add_f32_e32 v5, v5, v179
	v_mul_f32_e32 v1, v8, v4
	v_fma_f32 v206, v7, v3, -v1
	v_add_f32_e32 v1, 0, v22
	s_delay_alu instid0(VALU_DEP_1) | instskip(NEXT) | instid1(VALU_DEP_1)
	v_add_f32_e32 v1, v1, v23
	v_add_f32_e32 v1, v1, v26
	s_delay_alu instid0(VALU_DEP_1) | instskip(SKIP_2) | instid1(VALU_DEP_1)
	v_add_f32_e32 v1, v1, v27
	scratch_load_b64 v[26:27], off, off offset:496
	v_add_f32_e32 v1, v1, v28
	v_add_f32_e32 v1, v1, v29
	s_delay_alu instid0(VALU_DEP_1) | instskip(NEXT) | instid1(VALU_DEP_1)
	v_add_f32_e32 v1, v1, v13
	v_add_f32_e32 v1, v1, v14
	v_add_f32_e32 v14, v5, v181
	s_delay_alu instid0(VALU_DEP_1) | instskip(NEXT) | instid1(VALU_DEP_1)
	v_dual_add_f32 v1, v1, v16 :: v_dual_add_f32 v14, v14, v183
	v_add_f32_e32 v1, v1, v17
	s_delay_alu instid0(VALU_DEP_1) | instskip(NEXT) | instid1(VALU_DEP_1)
	v_dual_add_f32 v14, v14, v185 :: v_dual_add_f32 v1, v1, v164
	v_add_f32_e32 v1, v1, v165
	s_delay_alu instid0(VALU_DEP_1) | instskip(NEXT) | instid1(VALU_DEP_1)
	v_add_f32_e32 v1, v1, v169
	v_add_f32_e32 v1, v1, v170
	s_delay_alu instid0(VALU_DEP_1) | instskip(NEXT) | instid1(VALU_DEP_1)
	v_add_f32_e32 v1, v1, v172
	;; [unrolled: 3-line block ×3, first 2 shown]
	v_add_f32_e32 v6, v1, v178
	ds_load_b128 v[1:4], v21 offset:944
	v_add_f32_e32 v17, v14, v187
	v_add_f32_e32 v6, v6, v180
	s_delay_alu instid0(VALU_DEP_1)
	v_add_f32_e32 v13, v6, v182
	ds_load_b128 v[5:8], v21 offset:960
	s_wait_loadcnt_dscnt 0x101
	v_mul_f32_e32 v32, v1, v10
	v_dual_mul_f32 v10, v2, v10 :: v_dual_mul_f32 v159, v3, v12
	v_mul_f32_e32 v12, v4, v12
	s_delay_alu instid0(VALU_DEP_3) | instskip(NEXT) | instid1(VALU_DEP_3)
	v_fmac_f32_e32 v32, v2, v9
	v_fma_f32 v160, v1, v9, -v10
	s_delay_alu instid0(VALU_DEP_4) | instskip(NEXT) | instid1(VALU_DEP_4)
	v_fmac_f32_e32 v159, v4, v11
	v_fma_f32 v162, v3, v11, -v12
	s_clause 0x1
	scratch_load_b128 v[1:4], off, off offset:448
	scratch_load_b128 v[9:12], off, off offset:464
	s_wait_loadcnt_dscnt 0x100
	v_mul_f32_e32 v166, v7, v4
	v_add_f32_e32 v13, v13, v184
	v_mul_f32_e32 v165, v5, v2
	v_mul_f32_e32 v2, v6, v2
	;; [unrolled: 1-line block ×3, first 2 shown]
	s_delay_alu instid0(VALU_DEP_4) | instskip(NEXT) | instid1(VALU_DEP_4)
	v_dual_fmac_f32 v166, v8, v3 :: v_dual_add_f32 v13, v13, v186
	v_fmac_f32_e32 v165, v6, v1
	v_add_f32_e32 v17, v17, v189
	v_fma_f32 v2, v5, v1, -v2
	v_fma_f32 v1, v7, v3, -v4
	v_add_f32_e32 v13, v13, v188
	s_delay_alu instid0(VALU_DEP_4) | instskip(NEXT) | instid1(VALU_DEP_2)
	v_add_f32_e32 v17, v17, v191
	v_add_f32_e32 v18, v13, v190
	scratch_load_b128 v[13:16], off, off offset:480
	v_dual_add_f32 v17, v17, v193 :: v_dual_add_f32 v18, v18, v192
	s_delay_alu instid0(VALU_DEP_1) | instskip(NEXT) | instid1(VALU_DEP_1)
	v_dual_add_f32 v17, v17, v195 :: v_dual_add_f32 v18, v18, v194
	v_add_f32_e32 v22, v17, v197
	s_delay_alu instid0(VALU_DEP_2) | instskip(NEXT) | instid1(VALU_DEP_2)
	v_add_f32_e32 v18, v18, v196
	v_add_f32_e32 v29, v22, v199
	ds_load_b128 v[22:25], v21 offset:992
	v_add_f32_e32 v18, v18, v198
	v_add_f32_e32 v164, v29, v201
	s_delay_alu instid0(VALU_DEP_2)
	v_add_f32_e32 v28, v18, v200
	ds_load_b128 v[17:20], v21 offset:976
	v_add_f32_e32 v164, v164, v203
	v_add_f32_e32 v163, v28, v202
	ds_load_b64 v[28:29], v21 offset:1008
	v_add_f32_e32 v164, v164, v205
	s_delay_alu instid0(VALU_DEP_1) | instskip(SKIP_1) | instid1(VALU_DEP_1)
	v_add_f32_e32 v32, v164, v32
	s_wait_loadcnt_dscnt 0x101
	v_dual_add_f32 v32, v32, v159 :: v_dual_mul_f32 v3, v18, v10
	s_delay_alu instid0(VALU_DEP_1) | instskip(SKIP_2) | instid1(VALU_DEP_4)
	v_add_f32_e32 v4, v32, v165
	v_mul_f32_e32 v164, v19, v12
	v_mul_f32_e32 v5, v20, v12
	v_fma_f32 v3, v17, v9, -v3
	s_wait_dscnt 0x0
	v_mul_f32_e32 v159, v28, v27
	v_fmac_f32_e32 v164, v20, v11
	v_fma_f32 v5, v19, v11, -v5
	s_delay_alu instid0(VALU_DEP_3) | instskip(SKIP_2) | instid1(VALU_DEP_1)
	v_fmac_f32_e32 v159, v29, v26
	s_wait_loadcnt 0x0
	v_mul_f32_e32 v167, v22, v14
	v_fmac_f32_e32 v167, v23, v13
	v_add_f32_e32 v163, v163, v204
	s_delay_alu instid0(VALU_DEP_1) | instskip(NEXT) | instid1(VALU_DEP_1)
	v_add_f32_e32 v163, v163, v206
	v_dual_add_f32 v160, v163, v160 :: v_dual_mul_f32 v163, v17, v10
	s_delay_alu instid0(VALU_DEP_1) | instskip(SKIP_1) | instid1(VALU_DEP_2)
	v_dual_add_f32 v160, v160, v162 :: v_dual_fmac_f32 v163, v18, v9
	v_mul_f32_e32 v162, v24, v16
	v_add_f32_e32 v2, v160, v2
	s_delay_alu instid0(VALU_DEP_1) | instskip(SKIP_1) | instid1(VALU_DEP_2)
	v_dual_fmac_f32 v162, v25, v15 :: v_dual_add_f32 v1, v2, v1
	v_add_f32_e32 v2, v4, v166
	v_dual_mul_f32 v4, v23, v14 :: v_dual_add_f32 v1, v1, v3
	s_delay_alu instid0(VALU_DEP_2) | instskip(NEXT) | instid1(VALU_DEP_2)
	v_dual_add_f32 v2, v2, v163 :: v_dual_mul_f32 v3, v25, v16
	v_fma_f32 v4, v22, v13, -v4
	s_delay_alu instid0(VALU_DEP_2) | instskip(SKIP_1) | instid1(VALU_DEP_4)
	v_dual_add_f32 v1, v1, v5 :: v_dual_add_f32 v2, v2, v164
	v_mul_f32_e32 v5, v29, v27
	v_fma_f32 v3, v24, v15, -v3
	s_delay_alu instid0(VALU_DEP_3) | instskip(NEXT) | instid1(VALU_DEP_3)
	v_dual_add_f32 v1, v1, v4 :: v_dual_add_f32 v2, v2, v167
	v_fma_f32 v4, v28, v26, -v5
	s_delay_alu instid0(VALU_DEP_2) | instskip(NEXT) | instid1(VALU_DEP_1)
	v_dual_add_f32 v1, v1, v3 :: v_dual_add_f32 v2, v2, v162
	v_dual_add_f32 v1, v1, v4 :: v_dual_add_f32 v2, v2, v159
	s_delay_alu instid0(VALU_DEP_1)
	v_dual_sub_f32 v1, v30, v1 :: v_dual_sub_f32 v2, v31, v2
	scratch_store_b64 off, v[1:2], off offset:168
	v_cmpx_lt_u32_e32 20, v0
	s_cbranch_execz .LBB126_351
; %bb.350:
	scratch_load_b64 v[1:2], off, off offset:160
	v_mov_b32_e32 v22, v21
	scratch_store_b64 off, v[21:22], off offset:160
	s_wait_loadcnt 0x0
	ds_store_b64 v161, v[1:2]
.LBB126_351:
	s_wait_alu 0xfffe
	s_or_b32 exec_lo, exec_lo, s0
	s_wait_storecnt_dscnt 0x0
	s_barrier_signal -1
	s_barrier_wait -1
	global_inv scope:SCOPE_SE
	s_clause 0x4
	scratch_load_b128 v[5:8], off, off offset:168
	scratch_load_b128 v[1:4], off, off offset:184
	scratch_load_b128 v[9:12], off, off offset:200
	scratch_load_b128 v[13:16], off, off offset:216
	scratch_load_b128 v[17:20], off, off offset:232
	ds_load_2addr_b64 v[22:25], v21 offset0:85 offset1:86
	ds_load_2addr_b64 v[26:29], v21 offset0:87 offset1:88
	;; [unrolled: 1-line block ×3, first 2 shown]
	scratch_load_b64 v[30:31], off, off offset:160
	s_mov_b32 s0, exec_lo
	s_wait_loadcnt_dscnt 0x502
	v_mul_f32_e32 v32, v23, v6
	v_dual_mul_f32 v159, v22, v6 :: v_dual_mul_f32 v160, v24, v8
	v_mul_f32_e32 v6, v25, v8
	s_wait_loadcnt_dscnt 0x300
	v_mul_f32_e32 v166, v164, v12
	s_delay_alu instid0(VALU_DEP_3)
	v_dual_mul_f32 v12, v165, v12 :: v_dual_fmac_f32 v159, v23, v5
	v_fmac_f32_e32 v160, v25, v7
	v_fma_f32 v23, v24, v7, -v6
	v_mul_f32_e32 v25, v28, v4
	v_fma_f32 v22, v22, v5, -v32
	ds_load_2addr_b64 v[5:8], v21 offset0:91 offset1:92
	v_mul_f32_e32 v24, v26, v2
	v_mul_f32_e32 v4, v29, v4
	;; [unrolled: 1-line block ×4, first 2 shown]
	v_dual_mul_f32 v2, v27, v2 :: v_dual_fmac_f32 v25, v29, v3
	v_fmac_f32_e32 v24, v27, v1
	v_fma_f32 v27, v28, v3, -v4
	v_fmac_f32_e32 v32, v163, v9
	v_fma_f32 v28, v162, v9, -v10
	;; [unrolled: 2-line block ×3, first 2 shown]
	ds_load_2addr_b64 v[9:12], v21 offset0:93 offset1:94
	s_wait_loadcnt_dscnt 0x201
	v_dual_mul_f32 v163, v7, v16 :: v_dual_mul_f32 v162, v5, v14
	v_mul_f32_e32 v14, v6, v14
	v_mul_f32_e32 v16, v8, v16
	s_delay_alu instid0(VALU_DEP_3)
	v_fmac_f32_e32 v163, v8, v15
	v_fma_f32 v26, v26, v1, -v2
	scratch_load_b128 v[1:4], off, off offset:248
	v_fmac_f32_e32 v162, v6, v13
	v_fma_f32 v13, v5, v13, -v14
	v_fma_f32 v14, v7, v15, -v16
	ds_load_2addr_b64 v[5:8], v21 offset0:95 offset1:96
	s_wait_loadcnt_dscnt 0x201
	v_mul_f32_e32 v15, v9, v18
	v_mul_f32_e32 v16, v10, v18
	;; [unrolled: 1-line block ×3, first 2 shown]
	s_delay_alu instid0(VALU_DEP_3) | instskip(NEXT) | instid1(VALU_DEP_3)
	v_dual_mul_f32 v20, v12, v20 :: v_dual_fmac_f32 v15, v10, v17
	v_fma_f32 v16, v9, v17, -v16
	s_delay_alu instid0(VALU_DEP_3) | instskip(NEXT) | instid1(VALU_DEP_3)
	v_fmac_f32_e32 v18, v12, v19
	v_fma_f32 v17, v11, v19, -v20
	scratch_load_b128 v[9:12], off, off offset:264
	s_wait_loadcnt_dscnt 0x100
	v_mul_f32_e32 v19, v5, v2
	v_mul_f32_e32 v2, v6, v2
	;; [unrolled: 1-line block ×3, first 2 shown]
	s_delay_alu instid0(VALU_DEP_3) | instskip(NEXT) | instid1(VALU_DEP_3)
	v_dual_mul_f32 v4, v8, v4 :: v_dual_fmac_f32 v19, v6, v1
	v_fma_f32 v164, v5, v1, -v2
	s_delay_alu instid0(VALU_DEP_3) | instskip(NEXT) | instid1(VALU_DEP_3)
	v_fmac_f32_e32 v20, v8, v3
	v_fma_f32 v165, v7, v3, -v4
	ds_load_2addr_b64 v[1:4], v21 offset0:97 offset1:98
	ds_load_2addr_b64 v[5:8], v21 offset0:99 offset1:100
	s_wait_loadcnt_dscnt 0x1
	v_mul_f32_e32 v167, v1, v10
	v_mul_f32_e32 v10, v2, v10
	s_delay_alu instid0(VALU_DEP_2) | instskip(NEXT) | instid1(VALU_DEP_2)
	v_dual_mul_f32 v168, v3, v12 :: v_dual_fmac_f32 v167, v2, v9
	v_fma_f32 v169, v1, v9, -v10
	v_mul_f32_e32 v1, v4, v12
	s_delay_alu instid0(VALU_DEP_3) | instskip(NEXT) | instid1(VALU_DEP_2)
	v_fmac_f32_e32 v168, v4, v11
	v_fma_f32 v170, v3, v11, -v1
	s_clause 0x1
	scratch_load_b128 v[1:4], off, off offset:280
	scratch_load_b128 v[9:12], off, off offset:296
	s_wait_loadcnt_dscnt 0x100
	v_mul_f32_e32 v171, v5, v2
	v_dual_mul_f32 v2, v6, v2 :: v_dual_mul_f32 v173, v7, v4
	s_delay_alu instid0(VALU_DEP_2) | instskip(NEXT) | instid1(VALU_DEP_2)
	v_fmac_f32_e32 v171, v6, v1
	v_fma_f32 v172, v5, v1, -v2
	v_mul_f32_e32 v1, v8, v4
	s_delay_alu instid0(VALU_DEP_4) | instskip(NEXT) | instid1(VALU_DEP_2)
	v_fmac_f32_e32 v173, v8, v3
	v_fma_f32 v174, v7, v3, -v1
	ds_load_2addr_b64 v[1:4], v21 offset0:101 offset1:102
	ds_load_2addr_b64 v[5:8], v21 offset0:103 offset1:104
	s_wait_loadcnt_dscnt 0x1
	v_mul_f32_e32 v175, v1, v10
	v_mul_f32_e32 v177, v3, v12
	s_delay_alu instid0(VALU_DEP_2) | instskip(NEXT) | instid1(VALU_DEP_2)
	v_fmac_f32_e32 v175, v2, v9
	v_dual_mul_f32 v2, v2, v10 :: v_dual_fmac_f32 v177, v4, v11
	s_delay_alu instid0(VALU_DEP_1) | instskip(SKIP_1) | instid1(VALU_DEP_1)
	v_fma_f32 v176, v1, v9, -v2
	v_mul_f32_e32 v1, v4, v12
	v_fma_f32 v178, v3, v11, -v1
	s_clause 0x1
	scratch_load_b128 v[1:4], off, off offset:312
	scratch_load_b128 v[9:12], off, off offset:328
	s_wait_loadcnt_dscnt 0x100
	v_mul_f32_e32 v179, v5, v2
	v_dual_mul_f32 v2, v6, v2 :: v_dual_mul_f32 v181, v7, v4
	s_delay_alu instid0(VALU_DEP_2) | instskip(NEXT) | instid1(VALU_DEP_2)
	v_fmac_f32_e32 v179, v6, v1
	v_fma_f32 v180, v5, v1, -v2
	v_mul_f32_e32 v1, v8, v4
	s_delay_alu instid0(VALU_DEP_4) | instskip(NEXT) | instid1(VALU_DEP_2)
	v_fmac_f32_e32 v181, v8, v3
	v_fma_f32 v182, v7, v3, -v1
	ds_load_2addr_b64 v[1:4], v21 offset0:105 offset1:106
	ds_load_2addr_b64 v[5:8], v21 offset0:107 offset1:108
	s_wait_loadcnt_dscnt 0x1
	v_mul_f32_e32 v183, v1, v10
	v_mul_f32_e32 v185, v3, v12
	s_delay_alu instid0(VALU_DEP_2) | instskip(NEXT) | instid1(VALU_DEP_2)
	v_fmac_f32_e32 v183, v2, v9
	v_dual_mul_f32 v2, v2, v10 :: v_dual_fmac_f32 v185, v4, v11
	s_delay_alu instid0(VALU_DEP_1) | instskip(SKIP_1) | instid1(VALU_DEP_1)
	v_fma_f32 v184, v1, v9, -v2
	v_mul_f32_e32 v1, v4, v12
	;; [unrolled: 25-line block ×4, first 2 shown]
	v_fma_f32 v202, v3, v11, -v1
	s_clause 0x1
	scratch_load_b128 v[1:4], off, off offset:408
	scratch_load_b128 v[9:12], off, off offset:424
	s_wait_loadcnt_dscnt 0x100
	v_mul_f32_e32 v203, v5, v2
	v_mul_f32_e32 v2, v6, v2
	s_delay_alu instid0(VALU_DEP_1) | instskip(SKIP_1) | instid1(VALU_DEP_1)
	v_fma_f32 v204, v5, v1, -v2
	v_add_f32_e32 v2, 0, v159
	v_add_f32_e32 v2, v2, v160
	s_delay_alu instid0(VALU_DEP_1) | instskip(NEXT) | instid1(VALU_DEP_1)
	v_add_f32_e32 v2, v2, v24
	v_add_f32_e32 v2, v2, v25
	s_delay_alu instid0(VALU_DEP_1) | instskip(NEXT) | instid1(VALU_DEP_1)
	;; [unrolled: 3-line block ×5, first 2 shown]
	v_add_f32_e32 v2, v2, v19
	v_add_f32_e32 v2, v2, v20
	v_mul_f32_e32 v205, v7, v4
	v_fmac_f32_e32 v203, v6, v1
	s_delay_alu instid0(VALU_DEP_3) | instskip(NEXT) | instid1(VALU_DEP_1)
	v_add_f32_e32 v2, v2, v167
	v_dual_fmac_f32 v205, v8, v3 :: v_dual_add_f32 v2, v2, v168
	s_delay_alu instid0(VALU_DEP_1) | instskip(NEXT) | instid1(VALU_DEP_1)
	v_dual_mul_f32 v1, v8, v4 :: v_dual_add_f32 v2, v2, v171
	v_fma_f32 v206, v7, v3, -v1
	s_delay_alu instid0(VALU_DEP_2) | instskip(NEXT) | instid1(VALU_DEP_1)
	v_dual_add_f32 v1, 0, v22 :: v_dual_add_f32 v2, v2, v173
	v_add_f32_e32 v1, v1, v23
	s_delay_alu instid0(VALU_DEP_1) | instskip(NEXT) | instid1(VALU_DEP_1)
	v_dual_add_f32 v2, v2, v175 :: v_dual_add_f32 v1, v1, v26
	v_add_f32_e32 v5, v2, v177
	s_delay_alu instid0(VALU_DEP_2) | instskip(NEXT) | instid1(VALU_DEP_1)
	v_add_f32_e32 v1, v1, v27
	v_add_f32_e32 v1, v1, v28
	s_delay_alu instid0(VALU_DEP_1) | instskip(NEXT) | instid1(VALU_DEP_1)
	v_add_f32_e32 v1, v1, v29
	v_add_f32_e32 v1, v1, v13
	;; [unrolled: 1-line block ×3, first 2 shown]
	s_delay_alu instid0(VALU_DEP_2) | instskip(NEXT) | instid1(VALU_DEP_2)
	v_add_f32_e32 v1, v1, v14
	v_add_f32_e32 v13, v13, v181
	s_delay_alu instid0(VALU_DEP_2) | instskip(NEXT) | instid1(VALU_DEP_2)
	v_add_f32_e32 v1, v1, v16
	v_add_f32_e32 v13, v13, v183
	;; [unrolled: 3-line block ×3, first 2 shown]
	s_delay_alu instid0(VALU_DEP_2) | instskip(NEXT) | instid1(VALU_DEP_1)
	v_add_f32_e32 v1, v1, v164
	v_add_f32_e32 v1, v1, v165
	s_delay_alu instid0(VALU_DEP_1) | instskip(NEXT) | instid1(VALU_DEP_1)
	v_add_f32_e32 v1, v1, v169
	v_add_f32_e32 v1, v1, v170
	s_delay_alu instid0(VALU_DEP_1) | instskip(NEXT) | instid1(VALU_DEP_1)
	;; [unrolled: 3-line block ×3, first 2 shown]
	v_add_f32_e32 v1, v1, v176
	v_add_f32_e32 v1, v1, v178
	s_delay_alu instid0(VALU_DEP_1)
	v_add_f32_e32 v6, v1, v180
	ds_load_2addr_b64 v[1:4], v21 offset0:117 offset1:118
	v_add_f32_e32 v18, v18, v187
	v_add_f32_e32 v14, v6, v182
	scratch_load_b128 v[5:8], off, off offset:440
	v_add_f32_e32 v18, v18, v189
	v_add_f32_e32 v14, v14, v184
	s_delay_alu instid0(VALU_DEP_1)
	v_add_f32_e32 v17, v14, v186
	ds_load_2addr_b64 v[13:16], v21 offset0:119 offset1:120
	s_wait_loadcnt_dscnt 0x101
	v_mul_f32_e32 v25, v1, v10
	v_mul_f32_e32 v10, v2, v10
	;; [unrolled: 1-line block ×4, first 2 shown]
	v_add_f32_e32 v22, v18, v191
	v_fmac_f32_e32 v25, v2, v9
	v_fma_f32 v27, v1, v9, -v10
	v_fmac_f32_e32 v26, v4, v11
	v_fma_f32 v28, v3, v11, -v12
	s_clause 0x1
	scratch_load_b128 v[1:4], off, off offset:456
	scratch_load_b128 v[9:12], off, off offset:472
	v_add_f32_e32 v22, v22, v193
	s_wait_loadcnt_dscnt 0x200
	s_delay_alu instid0(VALU_DEP_1) | instskip(SKIP_2) | instid1(VALU_DEP_3)
	v_dual_add_f32 v22, v22, v195 :: v_dual_mul_f32 v29, v13, v6
	v_mul_f32_e32 v6, v14, v6
	v_mul_f32_e32 v32, v15, v8
	v_dual_mul_f32 v8, v16, v8 :: v_dual_fmac_f32 v29, v14, v5
	s_delay_alu instid0(VALU_DEP_3) | instskip(NEXT) | instid1(VALU_DEP_3)
	v_fma_f32 v159, v13, v5, -v6
	v_fmac_f32_e32 v32, v16, v7
	s_delay_alu instid0(VALU_DEP_3) | instskip(SKIP_3) | instid1(VALU_DEP_2)
	v_fma_f32 v160, v15, v7, -v8
	ds_load_2addr_b64 v[5:8], v21 offset0:121 offset1:122
	v_add_f32_e32 v17, v17, v188
	v_add_f32_e32 v13, v22, v197
	;; [unrolled: 1-line block ×3, first 2 shown]
	s_delay_alu instid0(VALU_DEP_1) | instskip(NEXT) | instid1(VALU_DEP_1)
	v_add_f32_e32 v17, v17, v192
	v_add_f32_e32 v23, v17, v194
	scratch_load_b128 v[17:20], off, off offset:488
	v_add_f32_e32 v23, v23, v196
	s_delay_alu instid0(VALU_DEP_1) | instskip(NEXT) | instid1(VALU_DEP_1)
	v_add_f32_e32 v23, v23, v198
	v_dual_add_f32 v22, v23, v200 :: v_dual_add_f32 v23, v13, v199
	ds_load_2addr_b64 v[13:16], v21 offset0:123 offset1:124
	s_wait_loadcnt_dscnt 0x201
	v_mul_f32_e32 v164, v5, v2
	v_mul_f32_e32 v2, v6, v2
	v_dual_add_f32 v162, v22, v202 :: v_dual_add_f32 v163, v23, v201
	ds_load_2addr_b64 v[21:24], v21 offset0:125 offset1:126
	v_fmac_f32_e32 v164, v6, v1
	v_fma_f32 v2, v5, v1, -v2
	v_add_f32_e32 v162, v162, v204
	s_delay_alu instid0(VALU_DEP_1) | instskip(NEXT) | instid1(VALU_DEP_1)
	v_add_f32_e32 v162, v162, v206
	v_dual_add_f32 v27, v162, v27 :: v_dual_mul_f32 v162, v7, v4
	v_mul_f32_e32 v4, v8, v4
	s_wait_loadcnt_dscnt 0x101
	v_dual_mul_f32 v6, v14, v10 :: v_dual_mul_f32 v165, v15, v12
	s_delay_alu instid0(VALU_DEP_3) | instskip(NEXT) | instid1(VALU_DEP_3)
	v_dual_add_f32 v27, v27, v28 :: v_dual_fmac_f32 v162, v8, v3
	v_fma_f32 v3, v7, v3, -v4
	v_mul_f32_e32 v4, v16, v12
	s_delay_alu instid0(VALU_DEP_4) | instskip(NEXT) | instid1(VALU_DEP_4)
	v_fmac_f32_e32 v165, v16, v11
	v_add_f32_e32 v27, v27, v159
	s_delay_alu instid0(VALU_DEP_3) | instskip(NEXT) | instid1(VALU_DEP_2)
	v_fma_f32 v4, v15, v11, -v4
	v_add_f32_e32 v1, v27, v160
	s_delay_alu instid0(VALU_DEP_1) | instskip(SKIP_1) | instid1(VALU_DEP_1)
	v_add_f32_e32 v1, v1, v2
	s_wait_loadcnt_dscnt 0x0
	v_dual_add_f32 v1, v1, v3 :: v_dual_mul_f32 v28, v23, v20
	s_delay_alu instid0(VALU_DEP_1) | instskip(SKIP_1) | instid1(VALU_DEP_2)
	v_dual_mul_f32 v3, v22, v18 :: v_dual_fmac_f32 v28, v24, v19
	v_add_f32_e32 v163, v163, v203
	v_fma_f32 v3, v21, v17, -v3
	s_delay_alu instid0(VALU_DEP_2) | instskip(NEXT) | instid1(VALU_DEP_1)
	v_add_f32_e32 v163, v163, v205
	v_add_f32_e32 v25, v163, v25
	v_mul_f32_e32 v163, v13, v10
	s_delay_alu instid0(VALU_DEP_2) | instskip(NEXT) | instid1(VALU_DEP_2)
	v_add_f32_e32 v25, v25, v26
	v_dual_fmac_f32 v163, v14, v9 :: v_dual_mul_f32 v26, v21, v18
	s_delay_alu instid0(VALU_DEP_2) | instskip(NEXT) | instid1(VALU_DEP_1)
	v_add_f32_e32 v25, v25, v29
	v_dual_fmac_f32 v26, v22, v17 :: v_dual_add_f32 v5, v25, v32
	s_delay_alu instid0(VALU_DEP_1) | instskip(SKIP_1) | instid1(VALU_DEP_1)
	v_add_f32_e32 v2, v5, v164
	v_fma_f32 v5, v13, v9, -v6
	v_dual_add_f32 v2, v2, v162 :: v_dual_add_f32 v1, v1, v5
	s_delay_alu instid0(VALU_DEP_1) | instskip(NEXT) | instid1(VALU_DEP_2)
	v_dual_mul_f32 v5, v24, v20 :: v_dual_add_f32 v2, v2, v163
	v_add_f32_e32 v1, v1, v4
	s_delay_alu instid0(VALU_DEP_2) | instskip(NEXT) | instid1(VALU_DEP_2)
	v_fma_f32 v4, v23, v19, -v5
	v_dual_add_f32 v2, v2, v165 :: v_dual_add_f32 v1, v1, v3
	s_delay_alu instid0(VALU_DEP_1) | instskip(NEXT) | instid1(VALU_DEP_1)
	v_dual_add_f32 v2, v2, v26 :: v_dual_add_f32 v1, v1, v4
	v_add_f32_e32 v2, v2, v28
	s_delay_alu instid0(VALU_DEP_1)
	v_dual_sub_f32 v1, v30, v1 :: v_dual_sub_f32 v2, v31, v2
	scratch_store_b64 off, v[1:2], off offset:160
	v_cmpx_lt_u32_e32 19, v0
	s_cbranch_execz .LBB126_353
; %bb.352:
	scratch_load_b64 v[1:2], off, off offset:152
	v_mov_b32_e32 v3, 0
	s_delay_alu instid0(VALU_DEP_1)
	v_mov_b32_e32 v4, v3
	scratch_store_b64 off, v[3:4], off offset:152
	s_wait_loadcnt 0x0
	ds_store_b64 v161, v[1:2]
.LBB126_353:
	s_wait_alu 0xfffe
	s_or_b32 exec_lo, exec_lo, s0
	s_wait_storecnt_dscnt 0x0
	s_barrier_signal -1
	s_barrier_wait -1
	global_inv scope:SCOPE_SE
	s_clause 0x4
	scratch_load_b128 v[5:8], off, off offset:160
	scratch_load_b128 v[1:4], off, off offset:176
	;; [unrolled: 1-line block ×5, first 2 shown]
	v_mov_b32_e32 v21, 0
	ds_load_b128 v[22:25], v21 offset:672
	ds_load_b128 v[26:29], v21 offset:688
	;; [unrolled: 1-line block ×3, first 2 shown]
	scratch_load_b64 v[30:31], off, off offset:152
	s_mov_b32 s0, exec_lo
	s_wait_loadcnt_dscnt 0x502
	v_mul_f32_e32 v32, v23, v6
	v_dual_mul_f32 v159, v22, v6 :: v_dual_mul_f32 v160, v24, v8
	v_mul_f32_e32 v6, v25, v8
	s_wait_loadcnt_dscnt 0x300
	v_mul_f32_e32 v166, v164, v12
	v_fma_f32 v22, v22, v5, -v32
	v_dual_fmac_f32 v159, v23, v5 :: v_dual_fmac_f32 v160, v25, v7
	v_mul_f32_e32 v25, v28, v4
	v_fma_f32 v23, v24, v7, -v6
	ds_load_b128 v[5:8], v21 offset:720
	v_mul_f32_e32 v24, v26, v2
	v_mul_f32_e32 v4, v29, v4
	;; [unrolled: 1-line block ×5, first 2 shown]
	v_dual_mul_f32 v2, v27, v2 :: v_dual_fmac_f32 v25, v29, v3
	v_fmac_f32_e32 v24, v27, v1
	v_fma_f32 v27, v28, v3, -v4
	v_fmac_f32_e32 v32, v163, v9
	v_fma_f32 v28, v162, v9, -v10
	;; [unrolled: 2-line block ×3, first 2 shown]
	ds_load_b128 v[9:12], v21 offset:736
	s_wait_loadcnt_dscnt 0x201
	v_dual_mul_f32 v163, v7, v16 :: v_dual_mul_f32 v162, v5, v14
	v_mul_f32_e32 v14, v6, v14
	v_mul_f32_e32 v16, v8, v16
	s_delay_alu instid0(VALU_DEP_3)
	v_fmac_f32_e32 v163, v8, v15
	v_fma_f32 v26, v26, v1, -v2
	scratch_load_b128 v[1:4], off, off offset:240
	v_fmac_f32_e32 v162, v6, v13
	v_fma_f32 v13, v5, v13, -v14
	v_fma_f32 v14, v7, v15, -v16
	ds_load_b128 v[5:8], v21 offset:752
	s_wait_loadcnt_dscnt 0x201
	v_mul_f32_e32 v15, v9, v18
	v_mul_f32_e32 v16, v10, v18
	;; [unrolled: 1-line block ×3, first 2 shown]
	s_delay_alu instid0(VALU_DEP_3) | instskip(NEXT) | instid1(VALU_DEP_3)
	v_dual_mul_f32 v20, v12, v20 :: v_dual_fmac_f32 v15, v10, v17
	v_fma_f32 v16, v9, v17, -v16
	s_delay_alu instid0(VALU_DEP_3) | instskip(NEXT) | instid1(VALU_DEP_3)
	v_fmac_f32_e32 v18, v12, v19
	v_fma_f32 v17, v11, v19, -v20
	scratch_load_b128 v[9:12], off, off offset:256
	s_wait_loadcnt_dscnt 0x100
	v_mul_f32_e32 v19, v5, v2
	v_mul_f32_e32 v2, v6, v2
	;; [unrolled: 1-line block ×3, first 2 shown]
	s_delay_alu instid0(VALU_DEP_3) | instskip(NEXT) | instid1(VALU_DEP_3)
	v_dual_mul_f32 v4, v8, v4 :: v_dual_fmac_f32 v19, v6, v1
	v_fma_f32 v164, v5, v1, -v2
	s_delay_alu instid0(VALU_DEP_3) | instskip(NEXT) | instid1(VALU_DEP_3)
	v_fmac_f32_e32 v20, v8, v3
	v_fma_f32 v165, v7, v3, -v4
	ds_load_b128 v[1:4], v21 offset:768
	ds_load_b128 v[5:8], v21 offset:784
	s_wait_loadcnt_dscnt 0x1
	v_mul_f32_e32 v167, v1, v10
	v_mul_f32_e32 v10, v2, v10
	s_delay_alu instid0(VALU_DEP_2) | instskip(NEXT) | instid1(VALU_DEP_2)
	v_dual_mul_f32 v168, v3, v12 :: v_dual_fmac_f32 v167, v2, v9
	v_fma_f32 v169, v1, v9, -v10
	v_mul_f32_e32 v1, v4, v12
	s_delay_alu instid0(VALU_DEP_3) | instskip(NEXT) | instid1(VALU_DEP_2)
	v_fmac_f32_e32 v168, v4, v11
	v_fma_f32 v170, v3, v11, -v1
	s_clause 0x1
	scratch_load_b128 v[1:4], off, off offset:272
	scratch_load_b128 v[9:12], off, off offset:288
	s_wait_loadcnt_dscnt 0x100
	v_mul_f32_e32 v171, v5, v2
	v_dual_mul_f32 v2, v6, v2 :: v_dual_mul_f32 v173, v7, v4
	s_delay_alu instid0(VALU_DEP_2) | instskip(NEXT) | instid1(VALU_DEP_2)
	v_fmac_f32_e32 v171, v6, v1
	v_fma_f32 v172, v5, v1, -v2
	v_mul_f32_e32 v1, v8, v4
	s_delay_alu instid0(VALU_DEP_4) | instskip(NEXT) | instid1(VALU_DEP_2)
	v_fmac_f32_e32 v173, v8, v3
	v_fma_f32 v174, v7, v3, -v1
	ds_load_b128 v[1:4], v21 offset:800
	ds_load_b128 v[5:8], v21 offset:816
	s_wait_loadcnt_dscnt 0x1
	v_mul_f32_e32 v175, v1, v10
	v_mul_f32_e32 v177, v3, v12
	s_delay_alu instid0(VALU_DEP_2) | instskip(NEXT) | instid1(VALU_DEP_2)
	v_fmac_f32_e32 v175, v2, v9
	v_dual_mul_f32 v2, v2, v10 :: v_dual_fmac_f32 v177, v4, v11
	s_delay_alu instid0(VALU_DEP_1) | instskip(SKIP_1) | instid1(VALU_DEP_1)
	v_fma_f32 v176, v1, v9, -v2
	v_mul_f32_e32 v1, v4, v12
	v_fma_f32 v178, v3, v11, -v1
	s_clause 0x1
	scratch_load_b128 v[1:4], off, off offset:304
	scratch_load_b128 v[9:12], off, off offset:320
	s_wait_loadcnt_dscnt 0x100
	v_mul_f32_e32 v179, v5, v2
	v_dual_mul_f32 v2, v6, v2 :: v_dual_mul_f32 v181, v7, v4
	s_delay_alu instid0(VALU_DEP_2) | instskip(NEXT) | instid1(VALU_DEP_2)
	v_fmac_f32_e32 v179, v6, v1
	v_fma_f32 v180, v5, v1, -v2
	v_mul_f32_e32 v1, v8, v4
	s_delay_alu instid0(VALU_DEP_4) | instskip(NEXT) | instid1(VALU_DEP_2)
	v_fmac_f32_e32 v181, v8, v3
	v_fma_f32 v182, v7, v3, -v1
	ds_load_b128 v[1:4], v21 offset:832
	ds_load_b128 v[5:8], v21 offset:848
	s_wait_loadcnt_dscnt 0x1
	v_mul_f32_e32 v183, v1, v10
	v_mul_f32_e32 v185, v3, v12
	s_delay_alu instid0(VALU_DEP_2) | instskip(NEXT) | instid1(VALU_DEP_2)
	v_fmac_f32_e32 v183, v2, v9
	v_dual_mul_f32 v2, v2, v10 :: v_dual_fmac_f32 v185, v4, v11
	s_delay_alu instid0(VALU_DEP_1) | instskip(SKIP_1) | instid1(VALU_DEP_1)
	v_fma_f32 v184, v1, v9, -v2
	v_mul_f32_e32 v1, v4, v12
	v_fma_f32 v186, v3, v11, -v1
	s_clause 0x1
	scratch_load_b128 v[1:4], off, off offset:336
	scratch_load_b128 v[9:12], off, off offset:352
	s_wait_loadcnt_dscnt 0x100
	v_mul_f32_e32 v187, v5, v2
	v_dual_mul_f32 v2, v6, v2 :: v_dual_mul_f32 v189, v7, v4
	s_delay_alu instid0(VALU_DEP_2) | instskip(NEXT) | instid1(VALU_DEP_2)
	v_fmac_f32_e32 v187, v6, v1
	v_fma_f32 v188, v5, v1, -v2
	v_mul_f32_e32 v1, v8, v4
	s_delay_alu instid0(VALU_DEP_4) | instskip(NEXT) | instid1(VALU_DEP_2)
	v_fmac_f32_e32 v189, v8, v3
	v_fma_f32 v190, v7, v3, -v1
	ds_load_b128 v[1:4], v21 offset:864
	ds_load_b128 v[5:8], v21 offset:880
	s_wait_loadcnt_dscnt 0x1
	v_mul_f32_e32 v191, v1, v10
	v_mul_f32_e32 v193, v3, v12
	s_delay_alu instid0(VALU_DEP_2) | instskip(NEXT) | instid1(VALU_DEP_2)
	v_fmac_f32_e32 v191, v2, v9
	v_dual_mul_f32 v2, v2, v10 :: v_dual_fmac_f32 v193, v4, v11
	s_delay_alu instid0(VALU_DEP_1) | instskip(SKIP_1) | instid1(VALU_DEP_1)
	v_fma_f32 v192, v1, v9, -v2
	v_mul_f32_e32 v1, v4, v12
	v_fma_f32 v194, v3, v11, -v1
	s_clause 0x1
	scratch_load_b128 v[1:4], off, off offset:368
	scratch_load_b128 v[9:12], off, off offset:384
	s_wait_loadcnt_dscnt 0x100
	v_mul_f32_e32 v195, v5, v2
	v_dual_mul_f32 v2, v6, v2 :: v_dual_mul_f32 v197, v7, v4
	s_delay_alu instid0(VALU_DEP_2) | instskip(NEXT) | instid1(VALU_DEP_2)
	v_fmac_f32_e32 v195, v6, v1
	v_fma_f32 v196, v5, v1, -v2
	v_mul_f32_e32 v1, v8, v4
	s_delay_alu instid0(VALU_DEP_4) | instskip(NEXT) | instid1(VALU_DEP_2)
	v_fmac_f32_e32 v197, v8, v3
	v_fma_f32 v198, v7, v3, -v1
	ds_load_b128 v[1:4], v21 offset:896
	ds_load_b128 v[5:8], v21 offset:912
	s_wait_loadcnt_dscnt 0x1
	v_mul_f32_e32 v199, v1, v10
	v_mul_f32_e32 v201, v3, v12
	s_delay_alu instid0(VALU_DEP_2) | instskip(NEXT) | instid1(VALU_DEP_2)
	v_fmac_f32_e32 v199, v2, v9
	v_dual_mul_f32 v2, v2, v10 :: v_dual_fmac_f32 v201, v4, v11
	s_delay_alu instid0(VALU_DEP_1) | instskip(SKIP_1) | instid1(VALU_DEP_1)
	v_fma_f32 v200, v1, v9, -v2
	v_mul_f32_e32 v1, v4, v12
	v_fma_f32 v202, v3, v11, -v1
	s_clause 0x1
	scratch_load_b128 v[1:4], off, off offset:400
	scratch_load_b128 v[9:12], off, off offset:416
	s_wait_loadcnt_dscnt 0x100
	v_mul_f32_e32 v203, v5, v2
	v_mul_f32_e32 v2, v6, v2
	s_delay_alu instid0(VALU_DEP_1) | instskip(SKIP_1) | instid1(VALU_DEP_1)
	v_fma_f32 v204, v5, v1, -v2
	v_add_f32_e32 v2, 0, v159
	v_add_f32_e32 v2, v2, v160
	s_delay_alu instid0(VALU_DEP_1) | instskip(NEXT) | instid1(VALU_DEP_1)
	v_add_f32_e32 v2, v2, v24
	v_add_f32_e32 v2, v2, v25
	s_delay_alu instid0(VALU_DEP_1) | instskip(NEXT) | instid1(VALU_DEP_1)
	;; [unrolled: 3-line block ×5, first 2 shown]
	v_add_f32_e32 v2, v2, v19
	v_add_f32_e32 v2, v2, v20
	s_delay_alu instid0(VALU_DEP_1) | instskip(SKIP_1) | instid1(VALU_DEP_2)
	v_add_f32_e32 v2, v2, v167
	v_fmac_f32_e32 v203, v6, v1
	v_add_f32_e32 v2, v2, v168
	s_delay_alu instid0(VALU_DEP_1) | instskip(NEXT) | instid1(VALU_DEP_1)
	v_dual_mul_f32 v205, v7, v4 :: v_dual_add_f32 v2, v2, v171
	v_dual_fmac_f32 v205, v8, v3 :: v_dual_add_f32 v2, v2, v173
	s_delay_alu instid0(VALU_DEP_1) | instskip(NEXT) | instid1(VALU_DEP_1)
	v_dual_mul_f32 v1, v8, v4 :: v_dual_add_f32 v2, v2, v175
	v_fma_f32 v206, v7, v3, -v1
	v_add_f32_e32 v1, 0, v22
	s_delay_alu instid0(VALU_DEP_3) | instskip(NEXT) | instid1(VALU_DEP_2)
	v_add_f32_e32 v5, v2, v177
	v_add_f32_e32 v1, v1, v23
	s_delay_alu instid0(VALU_DEP_1) | instskip(NEXT) | instid1(VALU_DEP_1)
	v_add_f32_e32 v1, v1, v26
	v_add_f32_e32 v1, v1, v27
	scratch_load_b64 v[26:27], off, off offset:496
	v_add_f32_e32 v1, v1, v28
	s_delay_alu instid0(VALU_DEP_1) | instskip(NEXT) | instid1(VALU_DEP_1)
	v_add_f32_e32 v1, v1, v29
	v_add_f32_e32 v1, v1, v13
	;; [unrolled: 1-line block ×3, first 2 shown]
	s_delay_alu instid0(VALU_DEP_2) | instskip(NEXT) | instid1(VALU_DEP_2)
	v_add_f32_e32 v1, v1, v14
	v_add_f32_e32 v13, v13, v181
	s_delay_alu instid0(VALU_DEP_2) | instskip(NEXT) | instid1(VALU_DEP_2)
	v_add_f32_e32 v1, v1, v16
	v_add_f32_e32 v13, v13, v183
	s_delay_alu instid0(VALU_DEP_2) | instskip(NEXT) | instid1(VALU_DEP_2)
	v_add_f32_e32 v1, v1, v17
	v_add_f32_e32 v18, v13, v185
	s_delay_alu instid0(VALU_DEP_2) | instskip(NEXT) | instid1(VALU_DEP_1)
	v_add_f32_e32 v1, v1, v164
	v_add_f32_e32 v1, v1, v165
	s_delay_alu instid0(VALU_DEP_1) | instskip(NEXT) | instid1(VALU_DEP_1)
	v_add_f32_e32 v1, v1, v169
	v_add_f32_e32 v1, v1, v170
	s_delay_alu instid0(VALU_DEP_1) | instskip(NEXT) | instid1(VALU_DEP_1)
	;; [unrolled: 3-line block ×3, first 2 shown]
	v_add_f32_e32 v1, v1, v176
	v_add_f32_e32 v1, v1, v178
	s_delay_alu instid0(VALU_DEP_1)
	v_add_f32_e32 v6, v1, v180
	scratch_load_b128 v[1:4], off, off offset:432
	v_add_f32_e32 v18, v18, v187
	v_add_f32_e32 v14, v6, v182
	ds_load_b128 v[5:8], v21 offset:928
	v_add_f32_e32 v18, v18, v189
	v_add_f32_e32 v14, v14, v184
	s_delay_alu instid0(VALU_DEP_1)
	v_add_f32_e32 v17, v14, v186
	ds_load_b128 v[13:16], v21 offset:944
	s_wait_loadcnt_dscnt 0x201
	v_mul_f32_e32 v32, v5, v10
	v_add_f32_e32 v22, v18, v191
	v_dual_mul_f32 v10, v6, v10 :: v_dual_mul_f32 v159, v7, v12
	v_mul_f32_e32 v12, v8, v12
	s_delay_alu instid0(VALU_DEP_4) | instskip(NEXT) | instid1(VALU_DEP_4)
	v_fmac_f32_e32 v32, v6, v9
	v_add_f32_e32 v22, v22, v193
	s_delay_alu instid0(VALU_DEP_4)
	v_fma_f32 v160, v5, v9, -v10
	v_fmac_f32_e32 v159, v8, v11
	v_fma_f32 v162, v7, v11, -v12
	scratch_load_b128 v[5:8], off, off offset:448
	v_add_f32_e32 v22, v22, v195
	scratch_load_b128 v[9:12], off, off offset:464
	s_wait_loadcnt_dscnt 0x200
	v_dual_add_f32 v22, v22, v197 :: v_dual_mul_f32 v163, v13, v2
	v_mul_f32_e32 v2, v14, v2
	v_mul_f32_e32 v164, v15, v4
	s_delay_alu instid0(VALU_DEP_3) | instskip(NEXT) | instid1(VALU_DEP_3)
	v_dual_mul_f32 v4, v16, v4 :: v_dual_fmac_f32 v163, v14, v1
	v_fma_f32 v165, v13, v1, -v2
	v_add_f32_e32 v13, v22, v199
	s_delay_alu instid0(VALU_DEP_3) | instskip(SKIP_3) | instid1(VALU_DEP_1)
	v_fma_f32 v166, v15, v3, -v4
	v_fmac_f32_e32 v164, v16, v3
	ds_load_b128 v[1:4], v21 offset:960
	v_add_f32_e32 v22, v13, v201
	v_add_f32_e32 v29, v22, v203
	s_delay_alu instid0(VALU_DEP_1) | instskip(NEXT) | instid1(VALU_DEP_1)
	v_add_f32_e32 v168, v29, v205
	v_add_f32_e32 v32, v168, v32
	s_delay_alu instid0(VALU_DEP_1) | instskip(NEXT) | instid1(VALU_DEP_1)
	v_dual_add_f32 v32, v32, v159 :: v_dual_add_f32 v17, v17, v188
	v_dual_add_f32 v32, v32, v163 :: v_dual_add_f32 v17, v17, v190
	s_delay_alu instid0(VALU_DEP_1) | instskip(NEXT) | instid1(VALU_DEP_2)
	v_add_f32_e32 v32, v32, v164
	v_add_f32_e32 v17, v17, v192
	s_delay_alu instid0(VALU_DEP_1) | instskip(SKIP_2) | instid1(VALU_DEP_1)
	v_add_f32_e32 v23, v17, v194
	scratch_load_b128 v[17:20], off, off offset:480
	v_add_f32_e32 v23, v23, v196
	v_add_f32_e32 v23, v23, v198
	s_delay_alu instid0(VALU_DEP_1) | instskip(NEXT) | instid1(VALU_DEP_1)
	v_add_f32_e32 v23, v23, v200
	v_add_f32_e32 v14, v23, v202
	ds_load_b128 v[22:25], v21 offset:992
	v_add_f32_e32 v28, v14, v204
	ds_load_b128 v[13:16], v21 offset:976
	s_wait_loadcnt_dscnt 0x100
	v_mul_f32_e32 v163, v15, v12
	s_delay_alu instid0(VALU_DEP_1) | instskip(SKIP_3) | instid1(VALU_DEP_1)
	v_fmac_f32_e32 v163, v16, v11
	v_add_f32_e32 v167, v28, v206
	ds_load_b64 v[28:29], v21 offset:1008
	v_add_f32_e32 v160, v167, v160
	v_add_f32_e32 v160, v160, v162
	v_mul_f32_e32 v162, v13, v10
	s_delay_alu instid0(VALU_DEP_2) | instskip(NEXT) | instid1(VALU_DEP_2)
	v_add_f32_e32 v160, v160, v165
	v_dual_fmac_f32 v162, v14, v9 :: v_dual_mul_f32 v159, v3, v8
	v_mul_f32_e32 v8, v4, v8
	s_delay_alu instid0(VALU_DEP_3) | instskip(SKIP_2) | instid1(VALU_DEP_1)
	v_add_f32_e32 v160, v160, v166
	s_wait_dscnt 0x0
	v_mul_f32_e32 v164, v28, v27
	v_fmac_f32_e32 v164, v29, v26
	s_wait_loadcnt 0x0
	v_dual_mul_f32 v165, v22, v18 :: v_dual_mul_f32 v166, v24, v20
	s_delay_alu instid0(VALU_DEP_1) | instskip(SKIP_2) | instid1(VALU_DEP_4)
	v_fmac_f32_e32 v165, v23, v17
	v_mul_f32_e32 v167, v1, v6
	v_mul_f32_e32 v6, v2, v6
	v_fmac_f32_e32 v166, v25, v19
	v_fmac_f32_e32 v159, v4, v7
	s_delay_alu instid0(VALU_DEP_4) | instskip(NEXT) | instid1(VALU_DEP_4)
	v_fmac_f32_e32 v167, v2, v5
	v_fma_f32 v1, v1, v5, -v6
	v_fma_f32 v2, v3, v7, -v8
	v_mul_f32_e32 v3, v14, v10
	v_mul_f32_e32 v5, v16, v12
	v_add_f32_e32 v4, v32, v167
	v_add_f32_e32 v1, v160, v1
	s_delay_alu instid0(VALU_DEP_4) | instskip(NEXT) | instid1(VALU_DEP_4)
	v_fma_f32 v3, v13, v9, -v3
	v_fma_f32 v5, v15, v11, -v5
	s_delay_alu instid0(VALU_DEP_3) | instskip(NEXT) | instid1(VALU_DEP_1)
	v_dual_add_f32 v1, v1, v2 :: v_dual_add_f32 v2, v4, v159
	v_dual_mul_f32 v4, v23, v18 :: v_dual_add_f32 v1, v1, v3
	s_delay_alu instid0(VALU_DEP_2) | instskip(NEXT) | instid1(VALU_DEP_2)
	v_dual_add_f32 v2, v2, v162 :: v_dual_mul_f32 v3, v25, v20
	v_fma_f32 v4, v22, v17, -v4
	s_delay_alu instid0(VALU_DEP_2) | instskip(SKIP_1) | instid1(VALU_DEP_4)
	v_dual_add_f32 v1, v1, v5 :: v_dual_add_f32 v2, v2, v163
	v_mul_f32_e32 v5, v29, v27
	v_fma_f32 v3, v24, v19, -v3
	s_delay_alu instid0(VALU_DEP_3) | instskip(NEXT) | instid1(VALU_DEP_3)
	v_dual_add_f32 v1, v1, v4 :: v_dual_add_f32 v2, v2, v165
	v_fma_f32 v4, v28, v26, -v5
	s_delay_alu instid0(VALU_DEP_2) | instskip(NEXT) | instid1(VALU_DEP_1)
	v_dual_add_f32 v1, v1, v3 :: v_dual_add_f32 v2, v2, v166
	v_add_f32_e32 v1, v1, v4
	s_delay_alu instid0(VALU_DEP_2) | instskip(NEXT) | instid1(VALU_DEP_1)
	v_add_f32_e32 v2, v2, v164
	v_dual_sub_f32 v1, v30, v1 :: v_dual_sub_f32 v2, v31, v2
	scratch_store_b64 off, v[1:2], off offset:152
	v_cmpx_lt_u32_e32 18, v0
	s_cbranch_execz .LBB126_355
; %bb.354:
	scratch_load_b64 v[1:2], off, off offset:144
	v_mov_b32_e32 v22, v21
	scratch_store_b64 off, v[21:22], off offset:144
	s_wait_loadcnt 0x0
	ds_store_b64 v161, v[1:2]
.LBB126_355:
	s_wait_alu 0xfffe
	s_or_b32 exec_lo, exec_lo, s0
	s_wait_storecnt_dscnt 0x0
	s_barrier_signal -1
	s_barrier_wait -1
	global_inv scope:SCOPE_SE
	s_clause 0x4
	scratch_load_b128 v[5:8], off, off offset:152
	scratch_load_b128 v[1:4], off, off offset:168
	;; [unrolled: 1-line block ×5, first 2 shown]
	ds_load_2addr_b64 v[22:25], v21 offset0:83 offset1:84
	ds_load_2addr_b64 v[26:29], v21 offset0:85 offset1:86
	;; [unrolled: 1-line block ×3, first 2 shown]
	scratch_load_b64 v[30:31], off, off offset:144
	s_mov_b32 s0, exec_lo
	s_wait_loadcnt_dscnt 0x502
	v_mul_f32_e32 v32, v23, v6
	v_dual_mul_f32 v159, v22, v6 :: v_dual_mul_f32 v160, v24, v8
	v_mul_f32_e32 v6, v25, v8
	s_wait_loadcnt_dscnt 0x300
	v_mul_f32_e32 v166, v164, v12
	s_delay_alu instid0(VALU_DEP_3)
	v_dual_mul_f32 v12, v165, v12 :: v_dual_fmac_f32 v159, v23, v5
	v_fmac_f32_e32 v160, v25, v7
	v_fma_f32 v23, v24, v7, -v6
	v_mul_f32_e32 v25, v28, v4
	v_fma_f32 v22, v22, v5, -v32
	ds_load_2addr_b64 v[5:8], v21 offset0:89 offset1:90
	v_mul_f32_e32 v24, v26, v2
	v_mul_f32_e32 v4, v29, v4
	;; [unrolled: 1-line block ×4, first 2 shown]
	v_dual_mul_f32 v2, v27, v2 :: v_dual_fmac_f32 v25, v29, v3
	v_fmac_f32_e32 v24, v27, v1
	v_fma_f32 v27, v28, v3, -v4
	v_fmac_f32_e32 v32, v163, v9
	v_fma_f32 v28, v162, v9, -v10
	;; [unrolled: 2-line block ×3, first 2 shown]
	ds_load_2addr_b64 v[9:12], v21 offset0:91 offset1:92
	s_wait_loadcnt_dscnt 0x201
	v_dual_mul_f32 v163, v7, v16 :: v_dual_mul_f32 v162, v5, v14
	v_mul_f32_e32 v14, v6, v14
	v_mul_f32_e32 v16, v8, v16
	s_delay_alu instid0(VALU_DEP_3)
	v_fmac_f32_e32 v163, v8, v15
	v_fma_f32 v26, v26, v1, -v2
	scratch_load_b128 v[1:4], off, off offset:232
	v_fmac_f32_e32 v162, v6, v13
	v_fma_f32 v13, v5, v13, -v14
	v_fma_f32 v14, v7, v15, -v16
	ds_load_2addr_b64 v[5:8], v21 offset0:93 offset1:94
	s_wait_loadcnt_dscnt 0x201
	v_mul_f32_e32 v15, v9, v18
	v_mul_f32_e32 v16, v10, v18
	;; [unrolled: 1-line block ×3, first 2 shown]
	s_delay_alu instid0(VALU_DEP_3) | instskip(NEXT) | instid1(VALU_DEP_3)
	v_dual_mul_f32 v20, v12, v20 :: v_dual_fmac_f32 v15, v10, v17
	v_fma_f32 v16, v9, v17, -v16
	s_delay_alu instid0(VALU_DEP_3) | instskip(NEXT) | instid1(VALU_DEP_3)
	v_fmac_f32_e32 v18, v12, v19
	v_fma_f32 v17, v11, v19, -v20
	scratch_load_b128 v[9:12], off, off offset:248
	s_wait_loadcnt_dscnt 0x100
	v_mul_f32_e32 v19, v5, v2
	v_mul_f32_e32 v2, v6, v2
	;; [unrolled: 1-line block ×3, first 2 shown]
	s_delay_alu instid0(VALU_DEP_3) | instskip(NEXT) | instid1(VALU_DEP_3)
	v_dual_mul_f32 v4, v8, v4 :: v_dual_fmac_f32 v19, v6, v1
	v_fma_f32 v164, v5, v1, -v2
	s_delay_alu instid0(VALU_DEP_3) | instskip(NEXT) | instid1(VALU_DEP_3)
	v_fmac_f32_e32 v20, v8, v3
	v_fma_f32 v165, v7, v3, -v4
	ds_load_2addr_b64 v[1:4], v21 offset0:95 offset1:96
	ds_load_2addr_b64 v[5:8], v21 offset0:97 offset1:98
	s_wait_loadcnt_dscnt 0x1
	v_mul_f32_e32 v167, v1, v10
	v_mul_f32_e32 v10, v2, v10
	s_delay_alu instid0(VALU_DEP_2) | instskip(NEXT) | instid1(VALU_DEP_2)
	v_dual_mul_f32 v168, v3, v12 :: v_dual_fmac_f32 v167, v2, v9
	v_fma_f32 v169, v1, v9, -v10
	v_mul_f32_e32 v1, v4, v12
	s_delay_alu instid0(VALU_DEP_3) | instskip(NEXT) | instid1(VALU_DEP_2)
	v_fmac_f32_e32 v168, v4, v11
	v_fma_f32 v170, v3, v11, -v1
	s_clause 0x1
	scratch_load_b128 v[1:4], off, off offset:264
	scratch_load_b128 v[9:12], off, off offset:280
	s_wait_loadcnt_dscnt 0x100
	v_mul_f32_e32 v171, v5, v2
	v_dual_mul_f32 v2, v6, v2 :: v_dual_mul_f32 v173, v7, v4
	s_delay_alu instid0(VALU_DEP_2) | instskip(NEXT) | instid1(VALU_DEP_2)
	v_fmac_f32_e32 v171, v6, v1
	v_fma_f32 v172, v5, v1, -v2
	v_mul_f32_e32 v1, v8, v4
	s_delay_alu instid0(VALU_DEP_4) | instskip(NEXT) | instid1(VALU_DEP_2)
	v_fmac_f32_e32 v173, v8, v3
	v_fma_f32 v174, v7, v3, -v1
	ds_load_2addr_b64 v[1:4], v21 offset0:99 offset1:100
	ds_load_2addr_b64 v[5:8], v21 offset0:101 offset1:102
	s_wait_loadcnt_dscnt 0x1
	v_mul_f32_e32 v175, v1, v10
	v_mul_f32_e32 v177, v3, v12
	s_delay_alu instid0(VALU_DEP_2) | instskip(NEXT) | instid1(VALU_DEP_2)
	v_fmac_f32_e32 v175, v2, v9
	v_dual_mul_f32 v2, v2, v10 :: v_dual_fmac_f32 v177, v4, v11
	s_delay_alu instid0(VALU_DEP_1) | instskip(SKIP_1) | instid1(VALU_DEP_1)
	v_fma_f32 v176, v1, v9, -v2
	v_mul_f32_e32 v1, v4, v12
	v_fma_f32 v178, v3, v11, -v1
	s_clause 0x1
	scratch_load_b128 v[1:4], off, off offset:296
	scratch_load_b128 v[9:12], off, off offset:312
	s_wait_loadcnt_dscnt 0x100
	v_mul_f32_e32 v179, v5, v2
	v_dual_mul_f32 v2, v6, v2 :: v_dual_mul_f32 v181, v7, v4
	s_delay_alu instid0(VALU_DEP_2) | instskip(NEXT) | instid1(VALU_DEP_2)
	v_fmac_f32_e32 v179, v6, v1
	v_fma_f32 v180, v5, v1, -v2
	v_mul_f32_e32 v1, v8, v4
	s_delay_alu instid0(VALU_DEP_4) | instskip(NEXT) | instid1(VALU_DEP_2)
	v_fmac_f32_e32 v181, v8, v3
	v_fma_f32 v182, v7, v3, -v1
	ds_load_2addr_b64 v[1:4], v21 offset0:103 offset1:104
	ds_load_2addr_b64 v[5:8], v21 offset0:105 offset1:106
	s_wait_loadcnt_dscnt 0x1
	v_mul_f32_e32 v183, v1, v10
	v_mul_f32_e32 v185, v3, v12
	s_delay_alu instid0(VALU_DEP_2) | instskip(NEXT) | instid1(VALU_DEP_2)
	v_fmac_f32_e32 v183, v2, v9
	v_dual_mul_f32 v2, v2, v10 :: v_dual_fmac_f32 v185, v4, v11
	s_delay_alu instid0(VALU_DEP_1) | instskip(SKIP_1) | instid1(VALU_DEP_1)
	v_fma_f32 v184, v1, v9, -v2
	v_mul_f32_e32 v1, v4, v12
	;; [unrolled: 25-line block ×5, first 2 shown]
	v_fma_f32 v210, v3, v11, -v1
	s_clause 0x1
	scratch_load_b128 v[1:4], off, off offset:424
	scratch_load_b128 v[9:12], off, off offset:440
	s_wait_loadcnt_dscnt 0x100
	v_mul_f32_e32 v211, v5, v2
	v_mul_f32_e32 v2, v6, v2
	s_delay_alu instid0(VALU_DEP_1) | instskip(SKIP_1) | instid1(VALU_DEP_1)
	v_fma_f32 v212, v5, v1, -v2
	v_add_f32_e32 v2, 0, v159
	v_add_f32_e32 v2, v2, v160
	s_delay_alu instid0(VALU_DEP_1) | instskip(NEXT) | instid1(VALU_DEP_1)
	v_add_f32_e32 v2, v2, v24
	v_add_f32_e32 v2, v2, v25
	s_delay_alu instid0(VALU_DEP_1) | instskip(NEXT) | instid1(VALU_DEP_1)
	v_add_f32_e32 v2, v2, v32
	v_add_f32_e32 v2, v2, v166
	s_delay_alu instid0(VALU_DEP_1) | instskip(NEXT) | instid1(VALU_DEP_1)
	v_add_f32_e32 v2, v2, v162
	v_add_f32_e32 v2, v2, v163
	s_delay_alu instid0(VALU_DEP_1) | instskip(NEXT) | instid1(VALU_DEP_1)
	v_add_f32_e32 v2, v2, v15
	v_add_f32_e32 v2, v2, v18
	s_delay_alu instid0(VALU_DEP_1) | instskip(NEXT) | instid1(VALU_DEP_1)
	v_add_f32_e32 v2, v2, v19
	v_add_f32_e32 v2, v2, v20
	s_delay_alu instid0(VALU_DEP_1) | instskip(NEXT) | instid1(VALU_DEP_1)
	v_add_f32_e32 v2, v2, v167
	v_add_f32_e32 v2, v2, v168
	s_delay_alu instid0(VALU_DEP_1) | instskip(NEXT) | instid1(VALU_DEP_1)
	v_add_f32_e32 v2, v2, v171
	v_add_f32_e32 v2, v2, v173
	s_delay_alu instid0(VALU_DEP_1) | instskip(NEXT) | instid1(VALU_DEP_1)
	v_add_f32_e32 v2, v2, v175
	v_add_f32_e32 v2, v2, v177
	v_fmac_f32_e32 v211, v6, v1
	v_mul_f32_e32 v1, v8, v4
	s_delay_alu instid0(VALU_DEP_3) | instskip(NEXT) | instid1(VALU_DEP_2)
	v_dual_mul_f32 v213, v7, v4 :: v_dual_add_f32 v2, v2, v179
	v_fma_f32 v214, v7, v3, -v1
	v_add_f32_e32 v1, 0, v22
	s_delay_alu instid0(VALU_DEP_3) | instskip(NEXT) | instid1(VALU_DEP_2)
	v_dual_fmac_f32 v213, v8, v3 :: v_dual_add_f32 v2, v2, v181
	v_add_f32_e32 v1, v1, v23
	s_delay_alu instid0(VALU_DEP_2) | instskip(NEXT) | instid1(VALU_DEP_2)
	v_add_f32_e32 v5, v2, v183
	v_add_f32_e32 v1, v1, v26
	s_delay_alu instid0(VALU_DEP_2) | instskip(NEXT) | instid1(VALU_DEP_2)
	v_add_f32_e32 v5, v5, v185
	v_add_f32_e32 v1, v1, v27
	s_delay_alu instid0(VALU_DEP_1) | instskip(NEXT) | instid1(VALU_DEP_1)
	v_add_f32_e32 v1, v1, v28
	v_add_f32_e32 v1, v1, v29
	s_delay_alu instid0(VALU_DEP_1) | instskip(NEXT) | instid1(VALU_DEP_1)
	;; [unrolled: 3-line block ×9, first 2 shown]
	v_add_f32_e32 v1, v1, v184
	v_add_f32_e32 v6, v1, v186
	ds_load_2addr_b64 v[1:4], v21 offset0:119 offset1:120
	v_dual_add_f32 v5, v5, v187 :: v_dual_add_f32 v6, v6, v188
	s_delay_alu instid0(VALU_DEP_1) | instskip(SKIP_3) | instid1(VALU_DEP_1)
	v_dual_add_f32 v14, v5, v189 :: v_dual_add_f32 v13, v6, v190
	ds_load_2addr_b64 v[5:8], v21 offset0:121 offset1:122
	v_add_f32_e32 v13, v13, v192
	s_wait_loadcnt_dscnt 0x1
	v_dual_add_f32 v13, v13, v194 :: v_dual_mul_f32 v26, v3, v12
	v_add_f32_e32 v14, v14, v191
	v_dual_mul_f32 v12, v4, v12 :: v_dual_mul_f32 v25, v1, v10
	s_delay_alu instid0(VALU_DEP_3) | instskip(NEXT) | instid1(VALU_DEP_3)
	v_dual_add_f32 v13, v13, v196 :: v_dual_fmac_f32 v26, v4, v11
	v_add_f32_e32 v14, v14, v193
	v_mul_f32_e32 v10, v2, v10
	s_delay_alu instid0(VALU_DEP_4) | instskip(NEXT) | instid1(VALU_DEP_3)
	v_fma_f32 v28, v3, v11, -v12
	v_dual_add_f32 v18, v13, v198 :: v_dual_add_f32 v17, v14, v195
	s_delay_alu instid0(VALU_DEP_3) | instskip(SKIP_2) | instid1(VALU_DEP_1)
	v_fma_f32 v27, v1, v9, -v10
	scratch_load_b128 v[13:16], off, off offset:488
	v_dual_add_f32 v18, v18, v200 :: v_dual_add_f32 v17, v17, v197
	v_dual_add_f32 v18, v18, v202 :: v_dual_add_f32 v17, v17, v199
	s_delay_alu instid0(VALU_DEP_1) | instskip(NEXT) | instid1(VALU_DEP_1)
	v_dual_add_f32 v22, v18, v204 :: v_dual_add_f32 v17, v17, v201
	v_add_f32_e32 v29, v22, v206
	s_delay_alu instid0(VALU_DEP_2)
	v_add_f32_e32 v23, v17, v203
	ds_load_2addr_b64 v[17:20], v21 offset0:123 offset1:124
	v_dual_add_f32 v29, v29, v208 :: v_dual_add_f32 v32, v23, v205
	ds_load_2addr_b64 v[21:24], v21 offset0:125 offset1:126
	v_fmac_f32_e32 v25, v2, v9
	s_clause 0x1
	scratch_load_b128 v[1:4], off, off offset:456
	scratch_load_b128 v[9:12], off, off offset:472
	v_dual_add_f32 v32, v32, v207 :: v_dual_add_f32 v29, v29, v210
	s_delay_alu instid0(VALU_DEP_1) | instskip(NEXT) | instid1(VALU_DEP_1)
	v_dual_add_f32 v32, v32, v209 :: v_dual_add_f32 v29, v29, v212
	v_dual_add_f32 v32, v32, v211 :: v_dual_add_f32 v29, v29, v214
	s_delay_alu instid0(VALU_DEP_1) | instskip(SKIP_1) | instid1(VALU_DEP_1)
	v_dual_add_f32 v32, v32, v213 :: v_dual_add_f32 v27, v29, v27
	s_wait_loadcnt_dscnt 0x200
	v_dual_mul_f32 v164, v21, v14 :: v_dual_add_f32 v25, v32, v25
	s_delay_alu instid0(VALU_DEP_1) | instskip(NEXT) | instid1(VALU_DEP_1)
	v_dual_mul_f32 v29, v23, v16 :: v_dual_fmac_f32 v164, v22, v13
	v_fmac_f32_e32 v29, v24, v15
	s_wait_loadcnt 0x1
	v_mul_f32_e32 v159, v5, v2
	v_mul_f32_e32 v2, v6, v2
	;; [unrolled: 1-line block ×4, first 2 shown]
	s_wait_loadcnt 0x0
	v_dual_mul_f32 v162, v17, v10 :: v_dual_fmac_f32 v159, v6, v1
	v_fma_f32 v2, v5, v1, -v2
	v_add_f32_e32 v1, v27, v28
	v_add_f32_e32 v5, v25, v26
	v_mul_f32_e32 v6, v18, v10
	v_fmac_f32_e32 v160, v8, v3
	v_fma_f32 v3, v7, v3, -v4
	v_add_f32_e32 v1, v1, v2
	v_dual_add_f32 v2, v5, v159 :: v_dual_mul_f32 v163, v19, v12
	v_mul_f32_e32 v4, v20, v12
	v_fmac_f32_e32 v162, v18, v9
	v_fma_f32 v5, v17, v9, -v6
	s_delay_alu instid0(VALU_DEP_4) | instskip(SKIP_3) | instid1(VALU_DEP_4)
	v_dual_add_f32 v1, v1, v3 :: v_dual_add_f32 v2, v2, v160
	v_mul_f32_e32 v3, v22, v14
	v_fmac_f32_e32 v163, v20, v11
	v_fma_f32 v4, v19, v11, -v4
	v_dual_add_f32 v1, v1, v5 :: v_dual_add_f32 v2, v2, v162
	v_mul_f32_e32 v5, v24, v16
	v_fma_f32 v3, v21, v13, -v3
	s_delay_alu instid0(VALU_DEP_3) | instskip(NEXT) | instid1(VALU_DEP_3)
	v_dual_add_f32 v1, v1, v4 :: v_dual_add_f32 v2, v2, v163
	v_fma_f32 v4, v23, v15, -v5
	s_delay_alu instid0(VALU_DEP_2) | instskip(NEXT) | instid1(VALU_DEP_1)
	v_dual_add_f32 v1, v1, v3 :: v_dual_add_f32 v2, v2, v164
	v_dual_add_f32 v1, v1, v4 :: v_dual_add_f32 v2, v2, v29
	s_delay_alu instid0(VALU_DEP_1)
	v_dual_sub_f32 v1, v30, v1 :: v_dual_sub_f32 v2, v31, v2
	scratch_store_b64 off, v[1:2], off offset:144
	v_cmpx_lt_u32_e32 17, v0
	s_cbranch_execz .LBB126_357
; %bb.356:
	scratch_load_b64 v[1:2], off, off offset:136
	v_mov_b32_e32 v3, 0
	s_delay_alu instid0(VALU_DEP_1)
	v_mov_b32_e32 v4, v3
	scratch_store_b64 off, v[3:4], off offset:136
	s_wait_loadcnt 0x0
	ds_store_b64 v161, v[1:2]
.LBB126_357:
	s_wait_alu 0xfffe
	s_or_b32 exec_lo, exec_lo, s0
	s_wait_storecnt_dscnt 0x0
	s_barrier_signal -1
	s_barrier_wait -1
	global_inv scope:SCOPE_SE
	s_clause 0x4
	scratch_load_b128 v[5:8], off, off offset:144
	scratch_load_b128 v[1:4], off, off offset:160
	;; [unrolled: 1-line block ×5, first 2 shown]
	v_mov_b32_e32 v21, 0
	ds_load_b128 v[22:25], v21 offset:656
	ds_load_b128 v[26:29], v21 offset:672
	;; [unrolled: 1-line block ×3, first 2 shown]
	scratch_load_b64 v[30:31], off, off offset:136
	s_mov_b32 s0, exec_lo
	s_wait_loadcnt_dscnt 0x502
	v_mul_f32_e32 v32, v23, v6
	v_dual_mul_f32 v159, v22, v6 :: v_dual_mul_f32 v160, v24, v8
	v_mul_f32_e32 v6, v25, v8
	s_wait_loadcnt_dscnt 0x300
	v_mul_f32_e32 v166, v164, v12
	v_fma_f32 v22, v22, v5, -v32
	v_dual_fmac_f32 v159, v23, v5 :: v_dual_fmac_f32 v160, v25, v7
	v_mul_f32_e32 v25, v28, v4
	v_fma_f32 v23, v24, v7, -v6
	ds_load_b128 v[5:8], v21 offset:704
	v_mul_f32_e32 v24, v26, v2
	v_mul_f32_e32 v4, v29, v4
	;; [unrolled: 1-line block ×5, first 2 shown]
	v_dual_mul_f32 v2, v27, v2 :: v_dual_fmac_f32 v25, v29, v3
	v_fmac_f32_e32 v24, v27, v1
	v_fma_f32 v27, v28, v3, -v4
	v_fmac_f32_e32 v32, v163, v9
	v_fma_f32 v28, v162, v9, -v10
	;; [unrolled: 2-line block ×3, first 2 shown]
	ds_load_b128 v[9:12], v21 offset:720
	s_wait_loadcnt_dscnt 0x201
	v_dual_mul_f32 v163, v7, v16 :: v_dual_mul_f32 v162, v5, v14
	v_mul_f32_e32 v14, v6, v14
	v_mul_f32_e32 v16, v8, v16
	s_delay_alu instid0(VALU_DEP_3)
	v_fmac_f32_e32 v163, v8, v15
	v_fma_f32 v26, v26, v1, -v2
	scratch_load_b128 v[1:4], off, off offset:224
	v_fmac_f32_e32 v162, v6, v13
	v_fma_f32 v13, v5, v13, -v14
	v_fma_f32 v14, v7, v15, -v16
	ds_load_b128 v[5:8], v21 offset:736
	s_wait_loadcnt_dscnt 0x201
	v_mul_f32_e32 v15, v9, v18
	v_mul_f32_e32 v16, v10, v18
	v_mul_f32_e32 v18, v11, v20
	s_delay_alu instid0(VALU_DEP_3) | instskip(NEXT) | instid1(VALU_DEP_3)
	v_dual_mul_f32 v20, v12, v20 :: v_dual_fmac_f32 v15, v10, v17
	v_fma_f32 v16, v9, v17, -v16
	s_delay_alu instid0(VALU_DEP_3) | instskip(NEXT) | instid1(VALU_DEP_3)
	v_fmac_f32_e32 v18, v12, v19
	v_fma_f32 v17, v11, v19, -v20
	scratch_load_b128 v[9:12], off, off offset:240
	s_wait_loadcnt_dscnt 0x100
	v_mul_f32_e32 v19, v5, v2
	v_mul_f32_e32 v2, v6, v2
	;; [unrolled: 1-line block ×3, first 2 shown]
	s_delay_alu instid0(VALU_DEP_3) | instskip(NEXT) | instid1(VALU_DEP_3)
	v_dual_mul_f32 v4, v8, v4 :: v_dual_fmac_f32 v19, v6, v1
	v_fma_f32 v164, v5, v1, -v2
	s_delay_alu instid0(VALU_DEP_3) | instskip(NEXT) | instid1(VALU_DEP_3)
	v_fmac_f32_e32 v20, v8, v3
	v_fma_f32 v165, v7, v3, -v4
	ds_load_b128 v[1:4], v21 offset:752
	ds_load_b128 v[5:8], v21 offset:768
	s_wait_loadcnt_dscnt 0x1
	v_mul_f32_e32 v167, v1, v10
	v_mul_f32_e32 v10, v2, v10
	s_delay_alu instid0(VALU_DEP_2) | instskip(NEXT) | instid1(VALU_DEP_2)
	v_dual_mul_f32 v168, v3, v12 :: v_dual_fmac_f32 v167, v2, v9
	v_fma_f32 v169, v1, v9, -v10
	v_mul_f32_e32 v1, v4, v12
	s_delay_alu instid0(VALU_DEP_3) | instskip(NEXT) | instid1(VALU_DEP_2)
	v_fmac_f32_e32 v168, v4, v11
	v_fma_f32 v170, v3, v11, -v1
	s_clause 0x1
	scratch_load_b128 v[1:4], off, off offset:256
	scratch_load_b128 v[9:12], off, off offset:272
	s_wait_loadcnt_dscnt 0x100
	v_mul_f32_e32 v171, v5, v2
	v_dual_mul_f32 v2, v6, v2 :: v_dual_mul_f32 v173, v7, v4
	s_delay_alu instid0(VALU_DEP_2) | instskip(NEXT) | instid1(VALU_DEP_2)
	v_fmac_f32_e32 v171, v6, v1
	v_fma_f32 v172, v5, v1, -v2
	v_mul_f32_e32 v1, v8, v4
	s_delay_alu instid0(VALU_DEP_4) | instskip(NEXT) | instid1(VALU_DEP_2)
	v_fmac_f32_e32 v173, v8, v3
	v_fma_f32 v174, v7, v3, -v1
	ds_load_b128 v[1:4], v21 offset:784
	ds_load_b128 v[5:8], v21 offset:800
	s_wait_loadcnt_dscnt 0x1
	v_mul_f32_e32 v175, v1, v10
	v_mul_f32_e32 v177, v3, v12
	s_delay_alu instid0(VALU_DEP_2) | instskip(NEXT) | instid1(VALU_DEP_2)
	v_fmac_f32_e32 v175, v2, v9
	v_dual_mul_f32 v2, v2, v10 :: v_dual_fmac_f32 v177, v4, v11
	s_delay_alu instid0(VALU_DEP_1) | instskip(SKIP_1) | instid1(VALU_DEP_1)
	v_fma_f32 v176, v1, v9, -v2
	v_mul_f32_e32 v1, v4, v12
	v_fma_f32 v178, v3, v11, -v1
	s_clause 0x1
	scratch_load_b128 v[1:4], off, off offset:288
	scratch_load_b128 v[9:12], off, off offset:304
	s_wait_loadcnt_dscnt 0x100
	v_mul_f32_e32 v179, v5, v2
	v_dual_mul_f32 v2, v6, v2 :: v_dual_mul_f32 v181, v7, v4
	s_delay_alu instid0(VALU_DEP_2) | instskip(NEXT) | instid1(VALU_DEP_2)
	v_fmac_f32_e32 v179, v6, v1
	v_fma_f32 v180, v5, v1, -v2
	v_mul_f32_e32 v1, v8, v4
	s_delay_alu instid0(VALU_DEP_4) | instskip(NEXT) | instid1(VALU_DEP_2)
	v_fmac_f32_e32 v181, v8, v3
	v_fma_f32 v182, v7, v3, -v1
	ds_load_b128 v[1:4], v21 offset:816
	ds_load_b128 v[5:8], v21 offset:832
	s_wait_loadcnt_dscnt 0x1
	v_mul_f32_e32 v183, v1, v10
	v_mul_f32_e32 v185, v3, v12
	s_delay_alu instid0(VALU_DEP_2) | instskip(NEXT) | instid1(VALU_DEP_2)
	v_fmac_f32_e32 v183, v2, v9
	v_dual_mul_f32 v2, v2, v10 :: v_dual_fmac_f32 v185, v4, v11
	s_delay_alu instid0(VALU_DEP_1) | instskip(SKIP_1) | instid1(VALU_DEP_1)
	v_fma_f32 v184, v1, v9, -v2
	v_mul_f32_e32 v1, v4, v12
	;; [unrolled: 25-line block ×5, first 2 shown]
	v_fma_f32 v210, v3, v11, -v1
	s_clause 0x1
	scratch_load_b128 v[1:4], off, off offset:416
	scratch_load_b128 v[9:12], off, off offset:432
	s_wait_loadcnt_dscnt 0x100
	v_mul_f32_e32 v211, v5, v2
	v_mul_f32_e32 v2, v6, v2
	s_delay_alu instid0(VALU_DEP_1) | instskip(SKIP_1) | instid1(VALU_DEP_1)
	v_fma_f32 v212, v5, v1, -v2
	v_add_f32_e32 v2, 0, v159
	v_add_f32_e32 v2, v2, v160
	s_delay_alu instid0(VALU_DEP_1) | instskip(NEXT) | instid1(VALU_DEP_1)
	v_add_f32_e32 v2, v2, v24
	v_add_f32_e32 v2, v2, v25
	s_delay_alu instid0(VALU_DEP_1) | instskip(NEXT) | instid1(VALU_DEP_1)
	;; [unrolled: 3-line block ×8, first 2 shown]
	v_add_f32_e32 v2, v2, v175
	v_add_f32_e32 v2, v2, v177
	s_delay_alu instid0(VALU_DEP_1) | instskip(SKIP_2) | instid1(VALU_DEP_3)
	v_add_f32_e32 v2, v2, v179
	v_fmac_f32_e32 v211, v6, v1
	v_mul_f32_e32 v1, v8, v4
	v_dual_mul_f32 v213, v7, v4 :: v_dual_add_f32 v2, v2, v181
	s_delay_alu instid0(VALU_DEP_2) | instskip(SKIP_1) | instid1(VALU_DEP_3)
	v_fma_f32 v214, v7, v3, -v1
	v_add_f32_e32 v1, 0, v22
	v_add_f32_e32 v5, v2, v183
	s_delay_alu instid0(VALU_DEP_2) | instskip(NEXT) | instid1(VALU_DEP_2)
	v_add_f32_e32 v1, v1, v23
	v_add_f32_e32 v5, v5, v185
	s_delay_alu instid0(VALU_DEP_2) | instskip(NEXT) | instid1(VALU_DEP_1)
	v_add_f32_e32 v1, v1, v26
	v_add_f32_e32 v1, v1, v27
	scratch_load_b64 v[26:27], off, off offset:496
	v_add_f32_e32 v1, v1, v28
	s_delay_alu instid0(VALU_DEP_1) | instskip(NEXT) | instid1(VALU_DEP_1)
	v_add_f32_e32 v1, v1, v29
	v_add_f32_e32 v1, v1, v13
	s_delay_alu instid0(VALU_DEP_1) | instskip(NEXT) | instid1(VALU_DEP_1)
	v_add_f32_e32 v1, v1, v14
	;; [unrolled: 3-line block ×8, first 2 shown]
	v_add_f32_e32 v1, v1, v184
	s_delay_alu instid0(VALU_DEP_1) | instskip(SKIP_2) | instid1(VALU_DEP_1)
	v_dual_add_f32 v6, v1, v186 :: v_dual_fmac_f32 v213, v8, v3
	ds_load_b128 v[1:4], v21 offset:944
	v_dual_add_f32 v5, v5, v187 :: v_dual_add_f32 v6, v6, v188
	v_dual_add_f32 v14, v5, v189 :: v_dual_add_f32 v13, v6, v190
	ds_load_b128 v[5:8], v21 offset:960
	s_wait_loadcnt_dscnt 0x101
	v_mul_f32_e32 v32, v1, v10
	v_dual_mul_f32 v10, v2, v10 :: v_dual_mul_f32 v159, v3, v12
	v_mul_f32_e32 v12, v4, v12
	v_add_f32_e32 v14, v14, v191
	s_delay_alu instid0(VALU_DEP_4) | instskip(NEXT) | instid1(VALU_DEP_4)
	v_fmac_f32_e32 v32, v2, v9
	v_fma_f32 v160, v1, v9, -v10
	v_fmac_f32_e32 v159, v4, v11
	v_fma_f32 v162, v3, v11, -v12
	s_clause 0x1
	scratch_load_b128 v[1:4], off, off offset:448
	scratch_load_b128 v[9:12], off, off offset:464
	v_dual_add_f32 v13, v13, v192 :: v_dual_add_f32 v14, v14, v193
	s_delay_alu instid0(VALU_DEP_1) | instskip(NEXT) | instid1(VALU_DEP_2)
	v_add_f32_e32 v13, v13, v194
	v_add_f32_e32 v17, v14, v195
	s_delay_alu instid0(VALU_DEP_2) | instskip(NEXT) | instid1(VALU_DEP_2)
	v_add_f32_e32 v13, v13, v196
	v_add_f32_e32 v17, v17, v197
	s_delay_alu instid0(VALU_DEP_2) | instskip(SKIP_2) | instid1(VALU_DEP_1)
	v_add_f32_e32 v18, v13, v198
	scratch_load_b128 v[13:16], off, off offset:480
	v_dual_add_f32 v17, v17, v199 :: v_dual_add_f32 v18, v18, v200
	v_dual_add_f32 v17, v17, v201 :: v_dual_add_f32 v18, v18, v202
	s_delay_alu instid0(VALU_DEP_1) | instskip(NEXT) | instid1(VALU_DEP_1)
	v_dual_add_f32 v17, v17, v203 :: v_dual_add_f32 v18, v18, v204
	v_add_f32_e32 v22, v17, v205
	s_delay_alu instid0(VALU_DEP_2) | instskip(NEXT) | instid1(VALU_DEP_1)
	v_add_f32_e32 v18, v18, v206
	v_add_f32_e32 v28, v18, v208
	ds_load_b128 v[17:20], v21 offset:976
	s_wait_loadcnt_dscnt 0x201
	v_dual_mul_f32 v166, v7, v4 :: v_dual_add_f32 v29, v22, v207
	ds_load_b128 v[22:25], v21 offset:992
	v_add_f32_e32 v163, v28, v210
	v_dual_mul_f32 v4, v8, v4 :: v_dual_mul_f32 v165, v5, v2
	v_add_f32_e32 v164, v29, v209
	s_delay_alu instid0(VALU_DEP_3)
	v_dual_mul_f32 v2, v6, v2 :: v_dual_add_f32 v163, v163, v212
	ds_load_b64 v[28:29], v21 offset:1008
	v_dual_fmac_f32 v165, v6, v1 :: v_dual_add_f32 v164, v164, v211
	v_fma_f32 v2, v5, v1, -v2
	v_dual_add_f32 v163, v163, v214 :: v_dual_fmac_f32 v166, v8, v3
	v_fma_f32 v1, v7, v3, -v4
	s_wait_loadcnt_dscnt 0x102
	v_dual_add_f32 v164, v164, v213 :: v_dual_mul_f32 v3, v18, v10
	s_delay_alu instid0(VALU_DEP_3) | instskip(SKIP_1) | instid1(VALU_DEP_3)
	v_dual_add_f32 v160, v163, v160 :: v_dual_mul_f32 v163, v17, v10
	v_mul_f32_e32 v5, v20, v12
	v_add_f32_e32 v32, v164, v32
	v_mul_f32_e32 v164, v19, v12
	s_delay_alu instid0(VALU_DEP_4) | instskip(SKIP_3) | instid1(VALU_DEP_3)
	v_dual_add_f32 v160, v160, v162 :: v_dual_fmac_f32 v163, v18, v9
	v_fma_f32 v3, v17, v9, -v3
	s_wait_loadcnt_dscnt 0x1
	v_dual_add_f32 v32, v32, v159 :: v_dual_mul_f32 v167, v22, v14
	v_add_f32_e32 v2, v160, v2
	v_fmac_f32_e32 v164, v20, v11
	v_fma_f32 v5, v19, v11, -v5
	s_delay_alu instid0(VALU_DEP_4) | instskip(NEXT) | instid1(VALU_DEP_4)
	v_add_f32_e32 v4, v32, v165
	v_dual_mul_f32 v162, v24, v16 :: v_dual_add_f32 v1, v2, v1
	v_fmac_f32_e32 v167, v23, v13
	s_wait_dscnt 0x0
	v_mul_f32_e32 v159, v28, v27
	v_add_f32_e32 v2, v4, v166
	v_dual_mul_f32 v4, v23, v14 :: v_dual_add_f32 v1, v1, v3
	v_mul_f32_e32 v3, v25, v16
	v_fmac_f32_e32 v162, v25, v15
	s_delay_alu instid0(VALU_DEP_4) | instskip(NEXT) | instid1(VALU_DEP_4)
	v_add_f32_e32 v2, v2, v163
	v_fma_f32 v4, v22, v13, -v4
	v_add_f32_e32 v1, v1, v5
	v_mul_f32_e32 v5, v29, v27
	v_fma_f32 v3, v24, v15, -v3
	v_dual_add_f32 v2, v2, v164 :: v_dual_fmac_f32 v159, v29, v26
	s_delay_alu instid0(VALU_DEP_4) | instskip(NEXT) | instid1(VALU_DEP_4)
	v_add_f32_e32 v1, v1, v4
	v_fma_f32 v4, v28, v26, -v5
	s_delay_alu instid0(VALU_DEP_3) | instskip(NEXT) | instid1(VALU_DEP_1)
	v_add_f32_e32 v2, v2, v167
	v_dual_add_f32 v1, v1, v3 :: v_dual_add_f32 v2, v2, v162
	s_delay_alu instid0(VALU_DEP_1) | instskip(NEXT) | instid1(VALU_DEP_1)
	v_dual_add_f32 v1, v1, v4 :: v_dual_add_f32 v2, v2, v159
	v_dual_sub_f32 v1, v30, v1 :: v_dual_sub_f32 v2, v31, v2
	scratch_store_b64 off, v[1:2], off offset:136
	v_cmpx_lt_u32_e32 16, v0
	s_cbranch_execz .LBB126_359
; %bb.358:
	scratch_load_b64 v[1:2], off, off offset:128
	v_mov_b32_e32 v22, v21
	scratch_store_b64 off, v[21:22], off offset:128
	s_wait_loadcnt 0x0
	ds_store_b64 v161, v[1:2]
.LBB126_359:
	s_wait_alu 0xfffe
	s_or_b32 exec_lo, exec_lo, s0
	s_wait_storecnt_dscnt 0x0
	s_barrier_signal -1
	s_barrier_wait -1
	global_inv scope:SCOPE_SE
	s_clause 0x4
	scratch_load_b128 v[5:8], off, off offset:136
	scratch_load_b128 v[1:4], off, off offset:152
	;; [unrolled: 1-line block ×5, first 2 shown]
	ds_load_2addr_b64 v[22:25], v21 offset0:81 offset1:82
	ds_load_2addr_b64 v[26:29], v21 offset0:83 offset1:84
	;; [unrolled: 1-line block ×3, first 2 shown]
	scratch_load_b64 v[30:31], off, off offset:128
	s_mov_b32 s0, exec_lo
	s_wait_loadcnt_dscnt 0x502
	v_mul_f32_e32 v32, v23, v6
	v_dual_mul_f32 v159, v22, v6 :: v_dual_mul_f32 v160, v24, v8
	v_mul_f32_e32 v6, v25, v8
	s_wait_loadcnt_dscnt 0x300
	v_mul_f32_e32 v166, v164, v12
	s_delay_alu instid0(VALU_DEP_3)
	v_dual_mul_f32 v12, v165, v12 :: v_dual_fmac_f32 v159, v23, v5
	v_fmac_f32_e32 v160, v25, v7
	v_fma_f32 v23, v24, v7, -v6
	v_mul_f32_e32 v25, v28, v4
	v_fma_f32 v22, v22, v5, -v32
	ds_load_2addr_b64 v[5:8], v21 offset0:87 offset1:88
	v_mul_f32_e32 v24, v26, v2
	v_mul_f32_e32 v4, v29, v4
	;; [unrolled: 1-line block ×4, first 2 shown]
	v_dual_mul_f32 v2, v27, v2 :: v_dual_fmac_f32 v25, v29, v3
	v_fmac_f32_e32 v24, v27, v1
	v_fma_f32 v27, v28, v3, -v4
	v_fmac_f32_e32 v32, v163, v9
	v_fma_f32 v28, v162, v9, -v10
	;; [unrolled: 2-line block ×3, first 2 shown]
	ds_load_2addr_b64 v[9:12], v21 offset0:89 offset1:90
	s_wait_loadcnt_dscnt 0x201
	v_dual_mul_f32 v163, v7, v16 :: v_dual_mul_f32 v162, v5, v14
	v_mul_f32_e32 v14, v6, v14
	v_mul_f32_e32 v16, v8, v16
	s_delay_alu instid0(VALU_DEP_3)
	v_fmac_f32_e32 v163, v8, v15
	v_fma_f32 v26, v26, v1, -v2
	scratch_load_b128 v[1:4], off, off offset:216
	v_fmac_f32_e32 v162, v6, v13
	v_fma_f32 v13, v5, v13, -v14
	v_fma_f32 v14, v7, v15, -v16
	ds_load_2addr_b64 v[5:8], v21 offset0:91 offset1:92
	s_wait_loadcnt_dscnt 0x201
	v_mul_f32_e32 v15, v9, v18
	v_mul_f32_e32 v16, v10, v18
	;; [unrolled: 1-line block ×3, first 2 shown]
	s_delay_alu instid0(VALU_DEP_3) | instskip(NEXT) | instid1(VALU_DEP_3)
	v_dual_mul_f32 v20, v12, v20 :: v_dual_fmac_f32 v15, v10, v17
	v_fma_f32 v16, v9, v17, -v16
	s_delay_alu instid0(VALU_DEP_3) | instskip(NEXT) | instid1(VALU_DEP_3)
	v_fmac_f32_e32 v18, v12, v19
	v_fma_f32 v17, v11, v19, -v20
	scratch_load_b128 v[9:12], off, off offset:232
	s_wait_loadcnt_dscnt 0x100
	v_mul_f32_e32 v19, v5, v2
	v_mul_f32_e32 v2, v6, v2
	;; [unrolled: 1-line block ×3, first 2 shown]
	s_delay_alu instid0(VALU_DEP_3) | instskip(NEXT) | instid1(VALU_DEP_3)
	v_dual_mul_f32 v4, v8, v4 :: v_dual_fmac_f32 v19, v6, v1
	v_fma_f32 v164, v5, v1, -v2
	s_delay_alu instid0(VALU_DEP_3) | instskip(NEXT) | instid1(VALU_DEP_3)
	v_fmac_f32_e32 v20, v8, v3
	v_fma_f32 v165, v7, v3, -v4
	ds_load_2addr_b64 v[1:4], v21 offset0:93 offset1:94
	ds_load_2addr_b64 v[5:8], v21 offset0:95 offset1:96
	s_wait_loadcnt_dscnt 0x1
	v_mul_f32_e32 v167, v1, v10
	v_mul_f32_e32 v10, v2, v10
	s_delay_alu instid0(VALU_DEP_2) | instskip(NEXT) | instid1(VALU_DEP_2)
	v_dual_mul_f32 v168, v3, v12 :: v_dual_fmac_f32 v167, v2, v9
	v_fma_f32 v169, v1, v9, -v10
	v_mul_f32_e32 v1, v4, v12
	s_delay_alu instid0(VALU_DEP_3) | instskip(NEXT) | instid1(VALU_DEP_2)
	v_fmac_f32_e32 v168, v4, v11
	v_fma_f32 v170, v3, v11, -v1
	s_clause 0x1
	scratch_load_b128 v[1:4], off, off offset:248
	scratch_load_b128 v[9:12], off, off offset:264
	s_wait_loadcnt_dscnt 0x100
	v_mul_f32_e32 v171, v5, v2
	v_dual_mul_f32 v2, v6, v2 :: v_dual_mul_f32 v173, v7, v4
	s_delay_alu instid0(VALU_DEP_2) | instskip(NEXT) | instid1(VALU_DEP_2)
	v_fmac_f32_e32 v171, v6, v1
	v_fma_f32 v172, v5, v1, -v2
	v_mul_f32_e32 v1, v8, v4
	s_delay_alu instid0(VALU_DEP_4) | instskip(NEXT) | instid1(VALU_DEP_2)
	v_fmac_f32_e32 v173, v8, v3
	v_fma_f32 v174, v7, v3, -v1
	ds_load_2addr_b64 v[1:4], v21 offset0:97 offset1:98
	ds_load_2addr_b64 v[5:8], v21 offset0:99 offset1:100
	s_wait_loadcnt_dscnt 0x1
	v_mul_f32_e32 v175, v1, v10
	v_mul_f32_e32 v177, v3, v12
	s_delay_alu instid0(VALU_DEP_2) | instskip(NEXT) | instid1(VALU_DEP_2)
	v_fmac_f32_e32 v175, v2, v9
	v_dual_mul_f32 v2, v2, v10 :: v_dual_fmac_f32 v177, v4, v11
	s_delay_alu instid0(VALU_DEP_1) | instskip(SKIP_1) | instid1(VALU_DEP_1)
	v_fma_f32 v176, v1, v9, -v2
	v_mul_f32_e32 v1, v4, v12
	v_fma_f32 v178, v3, v11, -v1
	s_clause 0x1
	scratch_load_b128 v[1:4], off, off offset:280
	scratch_load_b128 v[9:12], off, off offset:296
	s_wait_loadcnt_dscnt 0x100
	v_mul_f32_e32 v179, v5, v2
	v_dual_mul_f32 v2, v6, v2 :: v_dual_mul_f32 v181, v7, v4
	s_delay_alu instid0(VALU_DEP_2) | instskip(NEXT) | instid1(VALU_DEP_2)
	v_fmac_f32_e32 v179, v6, v1
	v_fma_f32 v180, v5, v1, -v2
	v_mul_f32_e32 v1, v8, v4
	s_delay_alu instid0(VALU_DEP_4) | instskip(NEXT) | instid1(VALU_DEP_2)
	v_fmac_f32_e32 v181, v8, v3
	v_fma_f32 v182, v7, v3, -v1
	ds_load_2addr_b64 v[1:4], v21 offset0:101 offset1:102
	ds_load_2addr_b64 v[5:8], v21 offset0:103 offset1:104
	s_wait_loadcnt_dscnt 0x1
	v_mul_f32_e32 v183, v1, v10
	v_mul_f32_e32 v185, v3, v12
	s_delay_alu instid0(VALU_DEP_2) | instskip(NEXT) | instid1(VALU_DEP_2)
	v_fmac_f32_e32 v183, v2, v9
	v_dual_mul_f32 v2, v2, v10 :: v_dual_fmac_f32 v185, v4, v11
	s_delay_alu instid0(VALU_DEP_1) | instskip(SKIP_1) | instid1(VALU_DEP_1)
	v_fma_f32 v184, v1, v9, -v2
	v_mul_f32_e32 v1, v4, v12
	v_fma_f32 v186, v3, v11, -v1
	s_clause 0x1
	scratch_load_b128 v[1:4], off, off offset:312
	scratch_load_b128 v[9:12], off, off offset:328
	s_wait_loadcnt_dscnt 0x100
	v_mul_f32_e32 v187, v5, v2
	v_dual_mul_f32 v2, v6, v2 :: v_dual_mul_f32 v189, v7, v4
	s_delay_alu instid0(VALU_DEP_1) | instskip(NEXT) | instid1(VALU_DEP_3)
	v_fma_f32 v188, v5, v1, -v2
	v_fmac_f32_e32 v187, v6, v1
	v_mul_f32_e32 v1, v8, v4
	s_delay_alu instid0(VALU_DEP_4) | instskip(NEXT) | instid1(VALU_DEP_2)
	v_fmac_f32_e32 v189, v8, v3
	v_fma_f32 v190, v7, v3, -v1
	ds_load_2addr_b64 v[1:4], v21 offset0:105 offset1:106
	ds_load_2addr_b64 v[5:8], v21 offset0:107 offset1:108
	s_wait_loadcnt_dscnt 0x1
	v_mul_f32_e32 v191, v1, v10
	v_mul_f32_e32 v193, v3, v12
	s_delay_alu instid0(VALU_DEP_2) | instskip(NEXT) | instid1(VALU_DEP_2)
	v_fmac_f32_e32 v191, v2, v9
	v_dual_mul_f32 v2, v2, v10 :: v_dual_fmac_f32 v193, v4, v11
	s_delay_alu instid0(VALU_DEP_1) | instskip(SKIP_1) | instid1(VALU_DEP_1)
	v_fma_f32 v192, v1, v9, -v2
	v_mul_f32_e32 v1, v4, v12
	v_fma_f32 v194, v3, v11, -v1
	s_clause 0x1
	scratch_load_b128 v[1:4], off, off offset:344
	scratch_load_b128 v[9:12], off, off offset:360
	s_wait_loadcnt_dscnt 0x100
	v_mul_f32_e32 v195, v5, v2
	v_dual_mul_f32 v2, v6, v2 :: v_dual_mul_f32 v197, v7, v4
	s_delay_alu instid0(VALU_DEP_2) | instskip(NEXT) | instid1(VALU_DEP_2)
	v_fmac_f32_e32 v195, v6, v1
	v_fma_f32 v196, v5, v1, -v2
	v_mul_f32_e32 v1, v8, v4
	s_delay_alu instid0(VALU_DEP_4) | instskip(NEXT) | instid1(VALU_DEP_2)
	v_fmac_f32_e32 v197, v8, v3
	v_fma_f32 v198, v7, v3, -v1
	ds_load_2addr_b64 v[1:4], v21 offset0:109 offset1:110
	ds_load_2addr_b64 v[5:8], v21 offset0:111 offset1:112
	s_wait_loadcnt_dscnt 0x1
	v_mul_f32_e32 v199, v1, v10
	v_mul_f32_e32 v201, v3, v12
	s_delay_alu instid0(VALU_DEP_2) | instskip(NEXT) | instid1(VALU_DEP_2)
	v_fmac_f32_e32 v199, v2, v9
	v_dual_mul_f32 v2, v2, v10 :: v_dual_fmac_f32 v201, v4, v11
	s_delay_alu instid0(VALU_DEP_1) | instskip(SKIP_1) | instid1(VALU_DEP_1)
	v_fma_f32 v200, v1, v9, -v2
	v_mul_f32_e32 v1, v4, v12
	v_fma_f32 v202, v3, v11, -v1
	s_clause 0x1
	scratch_load_b128 v[1:4], off, off offset:376
	scratch_load_b128 v[9:12], off, off offset:392
	s_wait_loadcnt_dscnt 0x100
	v_mul_f32_e32 v203, v5, v2
	v_dual_mul_f32 v2, v6, v2 :: v_dual_mul_f32 v205, v7, v4
	s_delay_alu instid0(VALU_DEP_2) | instskip(NEXT) | instid1(VALU_DEP_2)
	v_fmac_f32_e32 v203, v6, v1
	v_fma_f32 v204, v5, v1, -v2
	v_mul_f32_e32 v1, v8, v4
	s_delay_alu instid0(VALU_DEP_4) | instskip(NEXT) | instid1(VALU_DEP_2)
	v_fmac_f32_e32 v205, v8, v3
	v_fma_f32 v206, v7, v3, -v1
	ds_load_2addr_b64 v[1:4], v21 offset0:113 offset1:114
	ds_load_2addr_b64 v[5:8], v21 offset0:115 offset1:116
	s_wait_loadcnt_dscnt 0x1
	v_mul_f32_e32 v207, v1, v10
	v_mul_f32_e32 v209, v3, v12
	s_delay_alu instid0(VALU_DEP_2) | instskip(NEXT) | instid1(VALU_DEP_2)
	v_fmac_f32_e32 v207, v2, v9
	v_dual_mul_f32 v2, v2, v10 :: v_dual_fmac_f32 v209, v4, v11
	s_delay_alu instid0(VALU_DEP_1) | instskip(SKIP_1) | instid1(VALU_DEP_1)
	v_fma_f32 v208, v1, v9, -v2
	v_mul_f32_e32 v1, v4, v12
	v_fma_f32 v210, v3, v11, -v1
	s_clause 0x1
	scratch_load_b128 v[1:4], off, off offset:408
	scratch_load_b128 v[9:12], off, off offset:424
	s_wait_loadcnt_dscnt 0x100
	v_mul_f32_e32 v211, v5, v2
	v_mul_f32_e32 v2, v6, v2
	s_delay_alu instid0(VALU_DEP_1) | instskip(SKIP_1) | instid1(VALU_DEP_1)
	v_fma_f32 v212, v5, v1, -v2
	v_add_f32_e32 v2, 0, v159
	v_add_f32_e32 v2, v2, v160
	s_delay_alu instid0(VALU_DEP_1) | instskip(NEXT) | instid1(VALU_DEP_1)
	v_add_f32_e32 v2, v2, v24
	v_add_f32_e32 v2, v2, v25
	s_delay_alu instid0(VALU_DEP_1) | instskip(NEXT) | instid1(VALU_DEP_1)
	;; [unrolled: 3-line block ×8, first 2 shown]
	v_add_f32_e32 v2, v2, v175
	v_dual_add_f32 v2, v2, v177 :: v_dual_mul_f32 v213, v7, v4
	v_fmac_f32_e32 v211, v6, v1
	s_delay_alu instid0(VALU_DEP_2) | instskip(NEXT) | instid1(VALU_DEP_1)
	v_add_f32_e32 v2, v2, v179
	v_dual_fmac_f32 v213, v8, v3 :: v_dual_add_f32 v2, v2, v181
	s_delay_alu instid0(VALU_DEP_1) | instskip(NEXT) | instid1(VALU_DEP_1)
	v_dual_mul_f32 v1, v8, v4 :: v_dual_add_f32 v2, v2, v183
	v_fma_f32 v214, v7, v3, -v1
	v_add_f32_e32 v1, 0, v22
	s_delay_alu instid0(VALU_DEP_3) | instskip(NEXT) | instid1(VALU_DEP_2)
	v_add_f32_e32 v5, v2, v185
	v_add_f32_e32 v1, v1, v23
	s_delay_alu instid0(VALU_DEP_1) | instskip(NEXT) | instid1(VALU_DEP_1)
	v_add_f32_e32 v1, v1, v26
	v_add_f32_e32 v1, v1, v27
	s_delay_alu instid0(VALU_DEP_1) | instskip(NEXT) | instid1(VALU_DEP_1)
	;; [unrolled: 3-line block ×10, first 2 shown]
	v_add_f32_e32 v1, v1, v184
	v_add_f32_e32 v1, v1, v186
	s_delay_alu instid0(VALU_DEP_1)
	v_add_f32_e32 v6, v1, v188
	v_add_f32_e32 v13, v5, v187
	ds_load_2addr_b64 v[1:4], v21 offset0:117 offset1:118
	v_add_f32_e32 v14, v6, v190
	scratch_load_b128 v[5:8], off, off offset:440
	v_dual_add_f32 v13, v13, v189 :: v_dual_add_f32 v14, v14, v192
	s_delay_alu instid0(VALU_DEP_1) | instskip(NEXT) | instid1(VALU_DEP_1)
	v_add_f32_e32 v13, v13, v191
	v_dual_add_f32 v17, v14, v194 :: v_dual_add_f32 v18, v13, v193
	ds_load_2addr_b64 v[13:16], v21 offset0:119 offset1:120
	v_add_f32_e32 v17, v17, v196
	s_wait_loadcnt_dscnt 0x101
	v_mul_f32_e32 v25, v1, v10
	v_mul_f32_e32 v10, v2, v10
	;; [unrolled: 1-line block ×4, first 2 shown]
	v_add_f32_e32 v18, v18, v195
	v_fmac_f32_e32 v25, v2, v9
	v_fma_f32 v27, v1, v9, -v10
	v_fmac_f32_e32 v26, v4, v11
	v_fma_f32 v28, v3, v11, -v12
	scratch_load_b128 v[1:4], off, off offset:456
	v_add_f32_e32 v17, v17, v198
	scratch_load_b128 v[9:12], off, off offset:472
	v_dual_add_f32 v18, v18, v197 :: v_dual_add_f32 v17, v17, v200
	s_delay_alu instid0(VALU_DEP_1) | instskip(SKIP_2) | instid1(VALU_DEP_1)
	v_dual_add_f32 v22, v18, v199 :: v_dual_add_f32 v23, v17, v202
	scratch_load_b128 v[17:20], off, off offset:488
	v_dual_add_f32 v22, v22, v201 :: v_dual_add_f32 v23, v23, v204
	v_add_f32_e32 v23, v23, v206
	s_wait_loadcnt_dscnt 0x300
	v_mul_f32_e32 v29, v13, v6
	v_mul_f32_e32 v6, v14, v6
	;; [unrolled: 1-line block ×3, first 2 shown]
	v_add_f32_e32 v22, v22, v203
	s_delay_alu instid0(VALU_DEP_4) | instskip(NEXT) | instid1(VALU_DEP_4)
	v_dual_mul_f32 v8, v16, v8 :: v_dual_fmac_f32 v29, v14, v5
	v_fma_f32 v159, v13, v5, -v6
	s_delay_alu instid0(VALU_DEP_3) | instskip(NEXT) | instid1(VALU_DEP_3)
	v_dual_fmac_f32 v32, v16, v7 :: v_dual_add_f32 v13, v22, v205
	v_fma_f32 v160, v15, v7, -v8
	ds_load_2addr_b64 v[5:8], v21 offset0:121 offset1:122
	v_dual_add_f32 v22, v23, v208 :: v_dual_add_f32 v23, v13, v207
	ds_load_2addr_b64 v[13:16], v21 offset0:123 offset1:124
	v_dual_add_f32 v162, v22, v210 :: v_dual_add_f32 v163, v23, v209
	;; [unrolled: 2-line block ×3, first 2 shown]
	s_delay_alu instid0(VALU_DEP_1) | instskip(SKIP_1) | instid1(VALU_DEP_1)
	v_dual_add_f32 v162, v162, v214 :: v_dual_add_f32 v163, v163, v213
	s_wait_loadcnt_dscnt 0x202
	v_dual_mul_f32 v164, v5, v2 :: v_dual_add_f32 v27, v162, v27
	s_delay_alu instid0(VALU_DEP_2) | instskip(SKIP_2) | instid1(VALU_DEP_4)
	v_dual_mul_f32 v2, v6, v2 :: v_dual_add_f32 v25, v163, v25
	v_mul_f32_e32 v162, v7, v4
	v_mul_f32_e32 v4, v8, v4
	v_add_f32_e32 v27, v27, v28
	s_delay_alu instid0(VALU_DEP_4) | instskip(SKIP_4) | instid1(VALU_DEP_3)
	v_fma_f32 v2, v5, v1, -v2
	v_dual_add_f32 v25, v25, v26 :: v_dual_fmac_f32 v164, v6, v1
	s_wait_loadcnt_dscnt 0x101
	v_mul_f32_e32 v163, v13, v10
	v_dual_add_f32 v27, v27, v159 :: v_dual_mul_f32 v6, v14, v10
	v_dual_add_f32 v25, v25, v29 :: v_dual_fmac_f32 v162, v8, v3
	v_fma_f32 v3, v7, v3, -v4
	s_delay_alu instid0(VALU_DEP_3) | instskip(SKIP_1) | instid1(VALU_DEP_4)
	v_add_f32_e32 v1, v27, v160
	v_mul_f32_e32 v165, v15, v12
	v_add_f32_e32 v5, v25, v32
	v_dual_mul_f32 v4, v16, v12 :: v_dual_fmac_f32 v163, v14, v9
	s_delay_alu instid0(VALU_DEP_4)
	v_add_f32_e32 v1, v1, v2
	s_wait_loadcnt_dscnt 0x0
	v_mul_f32_e32 v26, v21, v18
	v_add_f32_e32 v2, v5, v164
	v_fma_f32 v5, v13, v9, -v6
	v_fmac_f32_e32 v165, v16, v11
	v_add_f32_e32 v1, v1, v3
	v_mul_f32_e32 v3, v22, v18
	v_add_f32_e32 v2, v2, v162
	v_fma_f32 v4, v15, v11, -v4
	s_delay_alu instid0(VALU_DEP_4) | instskip(NEXT) | instid1(VALU_DEP_3)
	v_dual_mul_f32 v28, v23, v20 :: v_dual_add_f32 v1, v1, v5
	v_dual_mul_f32 v5, v24, v20 :: v_dual_add_f32 v2, v2, v163
	v_fmac_f32_e32 v26, v22, v17
	v_fma_f32 v3, v21, v17, -v3
	s_delay_alu instid0(VALU_DEP_4) | instskip(NEXT) | instid1(VALU_DEP_4)
	v_dual_add_f32 v1, v1, v4 :: v_dual_fmac_f32 v28, v24, v19
	v_add_f32_e32 v2, v2, v165
	v_fma_f32 v4, v23, v19, -v5
	s_delay_alu instid0(VALU_DEP_2) | instskip(NEXT) | instid1(VALU_DEP_1)
	v_dual_add_f32 v1, v1, v3 :: v_dual_add_f32 v2, v2, v26
	v_add_f32_e32 v1, v1, v4
	s_delay_alu instid0(VALU_DEP_2) | instskip(NEXT) | instid1(VALU_DEP_1)
	v_add_f32_e32 v2, v2, v28
	v_dual_sub_f32 v1, v30, v1 :: v_dual_sub_f32 v2, v31, v2
	scratch_store_b64 off, v[1:2], off offset:128
	v_cmpx_lt_u32_e32 15, v0
	s_cbranch_execz .LBB126_361
; %bb.360:
	scratch_load_b64 v[1:2], off, off offset:120
	v_mov_b32_e32 v3, 0
	s_delay_alu instid0(VALU_DEP_1)
	v_mov_b32_e32 v4, v3
	scratch_store_b64 off, v[3:4], off offset:120
	s_wait_loadcnt 0x0
	ds_store_b64 v161, v[1:2]
.LBB126_361:
	s_wait_alu 0xfffe
	s_or_b32 exec_lo, exec_lo, s0
	s_wait_storecnt_dscnt 0x0
	s_barrier_signal -1
	s_barrier_wait -1
	global_inv scope:SCOPE_SE
	s_clause 0x4
	scratch_load_b128 v[5:8], off, off offset:128
	scratch_load_b128 v[1:4], off, off offset:144
	;; [unrolled: 1-line block ×5, first 2 shown]
	v_mov_b32_e32 v21, 0
	ds_load_b128 v[22:25], v21 offset:640
	ds_load_b128 v[26:29], v21 offset:656
	;; [unrolled: 1-line block ×3, first 2 shown]
	scratch_load_b64 v[30:31], off, off offset:120
	s_mov_b32 s0, exec_lo
	s_wait_loadcnt_dscnt 0x502
	v_mul_f32_e32 v32, v23, v6
	v_dual_mul_f32 v159, v22, v6 :: v_dual_mul_f32 v160, v24, v8
	v_mul_f32_e32 v6, v25, v8
	s_wait_loadcnt_dscnt 0x300
	v_mul_f32_e32 v166, v164, v12
	v_fma_f32 v22, v22, v5, -v32
	v_dual_fmac_f32 v159, v23, v5 :: v_dual_fmac_f32 v160, v25, v7
	v_mul_f32_e32 v25, v28, v4
	v_fma_f32 v23, v24, v7, -v6
	ds_load_b128 v[5:8], v21 offset:688
	v_mul_f32_e32 v24, v26, v2
	v_mul_f32_e32 v4, v29, v4
	;; [unrolled: 1-line block ×5, first 2 shown]
	v_dual_mul_f32 v2, v27, v2 :: v_dual_fmac_f32 v25, v29, v3
	v_fmac_f32_e32 v24, v27, v1
	v_fma_f32 v27, v28, v3, -v4
	v_fmac_f32_e32 v32, v163, v9
	v_fma_f32 v28, v162, v9, -v10
	;; [unrolled: 2-line block ×3, first 2 shown]
	ds_load_b128 v[9:12], v21 offset:704
	s_wait_loadcnt_dscnt 0x201
	v_dual_mul_f32 v163, v7, v16 :: v_dual_mul_f32 v162, v5, v14
	v_mul_f32_e32 v14, v6, v14
	v_mul_f32_e32 v16, v8, v16
	s_delay_alu instid0(VALU_DEP_3)
	v_fmac_f32_e32 v163, v8, v15
	v_fma_f32 v26, v26, v1, -v2
	scratch_load_b128 v[1:4], off, off offset:208
	v_fmac_f32_e32 v162, v6, v13
	v_fma_f32 v13, v5, v13, -v14
	v_fma_f32 v14, v7, v15, -v16
	ds_load_b128 v[5:8], v21 offset:720
	s_wait_loadcnt_dscnt 0x201
	v_mul_f32_e32 v15, v9, v18
	v_mul_f32_e32 v16, v10, v18
	;; [unrolled: 1-line block ×3, first 2 shown]
	s_delay_alu instid0(VALU_DEP_3) | instskip(NEXT) | instid1(VALU_DEP_3)
	v_dual_mul_f32 v20, v12, v20 :: v_dual_fmac_f32 v15, v10, v17
	v_fma_f32 v16, v9, v17, -v16
	s_delay_alu instid0(VALU_DEP_3) | instskip(NEXT) | instid1(VALU_DEP_3)
	v_fmac_f32_e32 v18, v12, v19
	v_fma_f32 v17, v11, v19, -v20
	scratch_load_b128 v[9:12], off, off offset:224
	s_wait_loadcnt_dscnt 0x100
	v_mul_f32_e32 v19, v5, v2
	v_mul_f32_e32 v2, v6, v2
	;; [unrolled: 1-line block ×3, first 2 shown]
	s_delay_alu instid0(VALU_DEP_3) | instskip(NEXT) | instid1(VALU_DEP_3)
	v_dual_mul_f32 v4, v8, v4 :: v_dual_fmac_f32 v19, v6, v1
	v_fma_f32 v164, v5, v1, -v2
	s_delay_alu instid0(VALU_DEP_3) | instskip(NEXT) | instid1(VALU_DEP_3)
	v_fmac_f32_e32 v20, v8, v3
	v_fma_f32 v165, v7, v3, -v4
	ds_load_b128 v[1:4], v21 offset:736
	ds_load_b128 v[5:8], v21 offset:752
	s_wait_loadcnt_dscnt 0x1
	v_mul_f32_e32 v167, v1, v10
	v_mul_f32_e32 v10, v2, v10
	s_delay_alu instid0(VALU_DEP_2) | instskip(NEXT) | instid1(VALU_DEP_2)
	v_dual_mul_f32 v168, v3, v12 :: v_dual_fmac_f32 v167, v2, v9
	v_fma_f32 v169, v1, v9, -v10
	v_mul_f32_e32 v1, v4, v12
	s_delay_alu instid0(VALU_DEP_3) | instskip(NEXT) | instid1(VALU_DEP_2)
	v_fmac_f32_e32 v168, v4, v11
	v_fma_f32 v170, v3, v11, -v1
	s_clause 0x1
	scratch_load_b128 v[1:4], off, off offset:240
	scratch_load_b128 v[9:12], off, off offset:256
	s_wait_loadcnt_dscnt 0x100
	v_mul_f32_e32 v171, v5, v2
	v_dual_mul_f32 v2, v6, v2 :: v_dual_mul_f32 v173, v7, v4
	s_delay_alu instid0(VALU_DEP_2) | instskip(NEXT) | instid1(VALU_DEP_2)
	v_fmac_f32_e32 v171, v6, v1
	v_fma_f32 v172, v5, v1, -v2
	v_mul_f32_e32 v1, v8, v4
	s_delay_alu instid0(VALU_DEP_4) | instskip(NEXT) | instid1(VALU_DEP_2)
	v_fmac_f32_e32 v173, v8, v3
	v_fma_f32 v174, v7, v3, -v1
	ds_load_b128 v[1:4], v21 offset:768
	ds_load_b128 v[5:8], v21 offset:784
	s_wait_loadcnt_dscnt 0x1
	v_mul_f32_e32 v175, v1, v10
	v_mul_f32_e32 v177, v3, v12
	s_delay_alu instid0(VALU_DEP_2) | instskip(NEXT) | instid1(VALU_DEP_2)
	v_fmac_f32_e32 v175, v2, v9
	v_dual_mul_f32 v2, v2, v10 :: v_dual_fmac_f32 v177, v4, v11
	s_delay_alu instid0(VALU_DEP_1) | instskip(SKIP_1) | instid1(VALU_DEP_1)
	v_fma_f32 v176, v1, v9, -v2
	v_mul_f32_e32 v1, v4, v12
	v_fma_f32 v178, v3, v11, -v1
	s_clause 0x1
	scratch_load_b128 v[1:4], off, off offset:272
	scratch_load_b128 v[9:12], off, off offset:288
	s_wait_loadcnt_dscnt 0x100
	v_mul_f32_e32 v179, v5, v2
	v_dual_mul_f32 v2, v6, v2 :: v_dual_mul_f32 v181, v7, v4
	s_delay_alu instid0(VALU_DEP_2) | instskip(NEXT) | instid1(VALU_DEP_2)
	v_fmac_f32_e32 v179, v6, v1
	v_fma_f32 v180, v5, v1, -v2
	v_mul_f32_e32 v1, v8, v4
	s_delay_alu instid0(VALU_DEP_4) | instskip(NEXT) | instid1(VALU_DEP_2)
	v_fmac_f32_e32 v181, v8, v3
	v_fma_f32 v182, v7, v3, -v1
	ds_load_b128 v[1:4], v21 offset:800
	ds_load_b128 v[5:8], v21 offset:816
	s_wait_loadcnt_dscnt 0x1
	v_mul_f32_e32 v183, v1, v10
	v_mul_f32_e32 v185, v3, v12
	s_delay_alu instid0(VALU_DEP_2) | instskip(NEXT) | instid1(VALU_DEP_2)
	v_fmac_f32_e32 v183, v2, v9
	v_dual_mul_f32 v2, v2, v10 :: v_dual_fmac_f32 v185, v4, v11
	s_delay_alu instid0(VALU_DEP_1) | instskip(SKIP_1) | instid1(VALU_DEP_1)
	v_fma_f32 v184, v1, v9, -v2
	v_mul_f32_e32 v1, v4, v12
	v_fma_f32 v186, v3, v11, -v1
	s_clause 0x1
	scratch_load_b128 v[1:4], off, off offset:304
	scratch_load_b128 v[9:12], off, off offset:320
	s_wait_loadcnt_dscnt 0x100
	v_mul_f32_e32 v187, v5, v2
	v_dual_mul_f32 v2, v6, v2 :: v_dual_mul_f32 v189, v7, v4
	s_delay_alu instid0(VALU_DEP_1) | instskip(NEXT) | instid1(VALU_DEP_3)
	v_fma_f32 v188, v5, v1, -v2
	v_fmac_f32_e32 v187, v6, v1
	v_mul_f32_e32 v1, v8, v4
	s_delay_alu instid0(VALU_DEP_4) | instskip(NEXT) | instid1(VALU_DEP_2)
	v_fmac_f32_e32 v189, v8, v3
	v_fma_f32 v190, v7, v3, -v1
	ds_load_b128 v[1:4], v21 offset:832
	ds_load_b128 v[5:8], v21 offset:848
	s_wait_loadcnt_dscnt 0x1
	v_mul_f32_e32 v191, v1, v10
	v_mul_f32_e32 v193, v3, v12
	s_delay_alu instid0(VALU_DEP_2) | instskip(NEXT) | instid1(VALU_DEP_2)
	v_fmac_f32_e32 v191, v2, v9
	v_dual_mul_f32 v2, v2, v10 :: v_dual_fmac_f32 v193, v4, v11
	s_delay_alu instid0(VALU_DEP_1) | instskip(SKIP_1) | instid1(VALU_DEP_1)
	v_fma_f32 v192, v1, v9, -v2
	v_mul_f32_e32 v1, v4, v12
	v_fma_f32 v194, v3, v11, -v1
	s_clause 0x1
	scratch_load_b128 v[1:4], off, off offset:336
	scratch_load_b128 v[9:12], off, off offset:352
	s_wait_loadcnt_dscnt 0x100
	v_mul_f32_e32 v195, v5, v2
	v_dual_mul_f32 v2, v6, v2 :: v_dual_mul_f32 v197, v7, v4
	s_delay_alu instid0(VALU_DEP_2) | instskip(NEXT) | instid1(VALU_DEP_2)
	v_fmac_f32_e32 v195, v6, v1
	v_fma_f32 v196, v5, v1, -v2
	v_mul_f32_e32 v1, v8, v4
	s_delay_alu instid0(VALU_DEP_4) | instskip(NEXT) | instid1(VALU_DEP_2)
	v_fmac_f32_e32 v197, v8, v3
	v_fma_f32 v198, v7, v3, -v1
	ds_load_b128 v[1:4], v21 offset:864
	ds_load_b128 v[5:8], v21 offset:880
	s_wait_loadcnt_dscnt 0x1
	v_mul_f32_e32 v199, v1, v10
	v_mul_f32_e32 v201, v3, v12
	s_delay_alu instid0(VALU_DEP_2) | instskip(NEXT) | instid1(VALU_DEP_2)
	v_fmac_f32_e32 v199, v2, v9
	v_dual_mul_f32 v2, v2, v10 :: v_dual_fmac_f32 v201, v4, v11
	s_delay_alu instid0(VALU_DEP_1) | instskip(SKIP_1) | instid1(VALU_DEP_1)
	v_fma_f32 v200, v1, v9, -v2
	v_mul_f32_e32 v1, v4, v12
	v_fma_f32 v202, v3, v11, -v1
	s_clause 0x1
	scratch_load_b128 v[1:4], off, off offset:368
	scratch_load_b128 v[9:12], off, off offset:384
	s_wait_loadcnt_dscnt 0x100
	v_mul_f32_e32 v203, v5, v2
	v_dual_mul_f32 v2, v6, v2 :: v_dual_mul_f32 v205, v7, v4
	s_delay_alu instid0(VALU_DEP_2) | instskip(NEXT) | instid1(VALU_DEP_2)
	v_fmac_f32_e32 v203, v6, v1
	v_fma_f32 v204, v5, v1, -v2
	v_mul_f32_e32 v1, v8, v4
	s_delay_alu instid0(VALU_DEP_4) | instskip(NEXT) | instid1(VALU_DEP_2)
	v_fmac_f32_e32 v205, v8, v3
	v_fma_f32 v206, v7, v3, -v1
	ds_load_b128 v[1:4], v21 offset:896
	ds_load_b128 v[5:8], v21 offset:912
	s_wait_loadcnt_dscnt 0x1
	v_mul_f32_e32 v207, v1, v10
	v_mul_f32_e32 v209, v3, v12
	s_delay_alu instid0(VALU_DEP_2) | instskip(NEXT) | instid1(VALU_DEP_2)
	v_fmac_f32_e32 v207, v2, v9
	v_dual_mul_f32 v2, v2, v10 :: v_dual_fmac_f32 v209, v4, v11
	s_delay_alu instid0(VALU_DEP_1) | instskip(SKIP_1) | instid1(VALU_DEP_1)
	v_fma_f32 v208, v1, v9, -v2
	v_mul_f32_e32 v1, v4, v12
	v_fma_f32 v210, v3, v11, -v1
	s_clause 0x1
	scratch_load_b128 v[1:4], off, off offset:400
	scratch_load_b128 v[9:12], off, off offset:416
	s_wait_loadcnt_dscnt 0x100
	v_mul_f32_e32 v211, v5, v2
	v_mul_f32_e32 v2, v6, v2
	s_delay_alu instid0(VALU_DEP_1) | instskip(SKIP_1) | instid1(VALU_DEP_1)
	v_fma_f32 v212, v5, v1, -v2
	v_add_f32_e32 v2, 0, v159
	v_add_f32_e32 v2, v2, v160
	s_delay_alu instid0(VALU_DEP_1) | instskip(NEXT) | instid1(VALU_DEP_1)
	v_add_f32_e32 v2, v2, v24
	v_add_f32_e32 v2, v2, v25
	s_delay_alu instid0(VALU_DEP_1) | instskip(NEXT) | instid1(VALU_DEP_1)
	;; [unrolled: 3-line block ×8, first 2 shown]
	v_add_f32_e32 v2, v2, v175
	v_add_f32_e32 v2, v2, v177
	s_delay_alu instid0(VALU_DEP_1) | instskip(SKIP_1) | instid1(VALU_DEP_2)
	v_add_f32_e32 v2, v2, v179
	v_fmac_f32_e32 v211, v6, v1
	v_dual_mul_f32 v213, v7, v4 :: v_dual_add_f32 v2, v2, v181
	s_delay_alu instid0(VALU_DEP_1) | instskip(NEXT) | instid1(VALU_DEP_1)
	v_dual_mul_f32 v1, v8, v4 :: v_dual_add_f32 v2, v2, v183
	v_fma_f32 v214, v7, v3, -v1
	v_add_f32_e32 v1, 0, v22
	s_delay_alu instid0(VALU_DEP_3) | instskip(NEXT) | instid1(VALU_DEP_2)
	v_add_f32_e32 v5, v2, v185
	v_add_f32_e32 v1, v1, v23
	s_delay_alu instid0(VALU_DEP_1) | instskip(NEXT) | instid1(VALU_DEP_1)
	v_add_f32_e32 v1, v1, v26
	v_add_f32_e32 v1, v1, v27
	scratch_load_b64 v[26:27], off, off offset:496
	v_add_f32_e32 v1, v1, v28
	s_delay_alu instid0(VALU_DEP_1) | instskip(NEXT) | instid1(VALU_DEP_1)
	v_add_f32_e32 v1, v1, v29
	v_add_f32_e32 v1, v1, v13
	s_delay_alu instid0(VALU_DEP_1) | instskip(NEXT) | instid1(VALU_DEP_1)
	v_add_f32_e32 v1, v1, v14
	;; [unrolled: 3-line block ×9, first 2 shown]
	v_dual_add_f32 v6, v1, v188 :: v_dual_fmac_f32 v213, v8, v3
	scratch_load_b128 v[1:4], off, off offset:432
	v_dual_add_f32 v13, v5, v187 :: v_dual_add_f32 v14, v6, v190
	ds_load_b128 v[5:8], v21 offset:928
	v_dual_add_f32 v13, v13, v189 :: v_dual_add_f32 v14, v14, v192
	s_delay_alu instid0(VALU_DEP_1) | instskip(NEXT) | instid1(VALU_DEP_1)
	v_add_f32_e32 v13, v13, v191
	v_dual_add_f32 v17, v14, v194 :: v_dual_add_f32 v18, v13, v193
	ds_load_b128 v[13:16], v21 offset:944
	v_add_f32_e32 v17, v17, v196
	s_delay_alu instid0(VALU_DEP_1)
	v_add_f32_e32 v17, v17, v198
	s_wait_loadcnt_dscnt 0x201
	v_mul_f32_e32 v159, v7, v12
	v_mul_f32_e32 v12, v8, v12
	v_add_f32_e32 v18, v18, v195
	v_mul_f32_e32 v32, v5, v10
	v_dual_mul_f32 v10, v6, v10 :: v_dual_add_f32 v17, v17, v200
	s_delay_alu instid0(VALU_DEP_3) | instskip(NEXT) | instid1(VALU_DEP_3)
	v_dual_fmac_f32 v159, v8, v11 :: v_dual_add_f32 v18, v18, v197
	v_fmac_f32_e32 v32, v6, v9
	s_delay_alu instid0(VALU_DEP_3)
	v_fma_f32 v160, v5, v9, -v10
	v_fma_f32 v162, v7, v11, -v12
	s_clause 0x1
	scratch_load_b128 v[5:8], off, off offset:448
	scratch_load_b128 v[9:12], off, off offset:464
	s_wait_loadcnt_dscnt 0x200
	v_dual_add_f32 v23, v17, v202 :: v_dual_mul_f32 v164, v15, v4
	v_add_f32_e32 v22, v18, v199
	scratch_load_b128 v[17:20], off, off offset:480
	v_add_f32_e32 v23, v23, v204
	v_dual_mul_f32 v4, v16, v4 :: v_dual_mul_f32 v163, v13, v2
	v_add_f32_e32 v22, v22, v201
	v_mul_f32_e32 v2, v14, v2
	s_delay_alu instid0(VALU_DEP_4) | instskip(NEXT) | instid1(VALU_DEP_4)
	v_dual_add_f32 v23, v23, v206 :: v_dual_fmac_f32 v164, v16, v3
	v_fmac_f32_e32 v163, v14, v1
	s_delay_alu instid0(VALU_DEP_4) | instskip(NEXT) | instid1(VALU_DEP_4)
	v_add_f32_e32 v22, v22, v203
	v_fma_f32 v165, v13, v1, -v2
	s_delay_alu instid0(VALU_DEP_4) | instskip(SKIP_3) | instid1(VALU_DEP_1)
	v_add_f32_e32 v23, v23, v208
	v_fma_f32 v166, v15, v3, -v4
	ds_load_b128 v[1:4], v21 offset:960
	v_add_f32_e32 v22, v22, v205
	v_dual_add_f32 v14, v23, v210 :: v_dual_add_f32 v13, v22, v207
	s_delay_alu instid0(VALU_DEP_1) | instskip(NEXT) | instid1(VALU_DEP_2)
	v_add_f32_e32 v28, v14, v212
	v_add_f32_e32 v22, v13, v209
	ds_load_b128 v[13:16], v21 offset:976
	v_add_f32_e32 v167, v28, v214
	v_add_f32_e32 v29, v22, v211
	ds_load_b128 v[22:25], v21 offset:992
	s_wait_loadcnt_dscnt 0x202
	v_dual_add_f32 v160, v167, v160 :: v_dual_mul_f32 v167, v1, v6
	v_add_f32_e32 v168, v29, v213
	ds_load_b64 v[28:29], v21 offset:1008
	v_add_f32_e32 v160, v160, v162
	v_mul_f32_e32 v6, v2, v6
	v_dual_fmac_f32 v167, v2, v5 :: v_dual_add_f32 v32, v168, v32
	s_delay_alu instid0(VALU_DEP_3) | instskip(NEXT) | instid1(VALU_DEP_3)
	v_add_f32_e32 v160, v160, v165
	v_fma_f32 v1, v1, v5, -v6
	s_delay_alu instid0(VALU_DEP_3)
	v_add_f32_e32 v32, v32, v159
	s_wait_loadcnt_dscnt 0x102
	v_mul_f32_e32 v162, v13, v10
	v_add_f32_e32 v160, v160, v166
	v_mul_f32_e32 v5, v16, v12
	v_dual_add_f32 v32, v32, v163 :: v_dual_mul_f32 v163, v15, v12
	s_delay_alu instid0(VALU_DEP_3) | instskip(SKIP_1) | instid1(VALU_DEP_4)
	v_add_f32_e32 v1, v160, v1
	v_fmac_f32_e32 v162, v14, v9
	v_fma_f32 v5, v15, v11, -v5
	s_delay_alu instid0(VALU_DEP_4) | instskip(SKIP_3) | instid1(VALU_DEP_1)
	v_add_f32_e32 v32, v32, v164
	v_fmac_f32_e32 v163, v16, v11
	s_wait_dscnt 0x0
	v_mul_f32_e32 v164, v28, v27
	v_fmac_f32_e32 v164, v29, v26
	s_wait_loadcnt 0x0
	v_dual_mul_f32 v166, v24, v20 :: v_dual_mul_f32 v165, v22, v18
	s_delay_alu instid0(VALU_DEP_1) | instskip(NEXT) | instid1(VALU_DEP_2)
	v_dual_fmac_f32 v166, v25, v19 :: v_dual_mul_f32 v159, v3, v8
	v_dual_mul_f32 v8, v4, v8 :: v_dual_fmac_f32 v165, v23, v17
	s_delay_alu instid0(VALU_DEP_2) | instskip(NEXT) | instid1(VALU_DEP_2)
	v_fmac_f32_e32 v159, v4, v7
	v_fma_f32 v2, v3, v7, -v8
	v_dual_mul_f32 v3, v14, v10 :: v_dual_add_f32 v4, v32, v167
	s_delay_alu instid0(VALU_DEP_2) | instskip(NEXT) | instid1(VALU_DEP_2)
	v_add_f32_e32 v1, v1, v2
	v_fma_f32 v3, v13, v9, -v3
	s_delay_alu instid0(VALU_DEP_3) | instskip(NEXT) | instid1(VALU_DEP_2)
	v_add_f32_e32 v2, v4, v159
	v_dual_mul_f32 v4, v23, v18 :: v_dual_add_f32 v1, v1, v3
	s_delay_alu instid0(VALU_DEP_2) | instskip(NEXT) | instid1(VALU_DEP_2)
	v_dual_add_f32 v2, v2, v162 :: v_dual_mul_f32 v3, v25, v20
	v_fma_f32 v4, v22, v17, -v4
	s_delay_alu instid0(VALU_DEP_2) | instskip(SKIP_1) | instid1(VALU_DEP_4)
	v_dual_add_f32 v1, v1, v5 :: v_dual_add_f32 v2, v2, v163
	v_mul_f32_e32 v5, v29, v27
	v_fma_f32 v3, v24, v19, -v3
	s_delay_alu instid0(VALU_DEP_3) | instskip(NEXT) | instid1(VALU_DEP_3)
	v_dual_add_f32 v1, v1, v4 :: v_dual_add_f32 v2, v2, v165
	v_fma_f32 v4, v28, v26, -v5
	s_delay_alu instid0(VALU_DEP_2) | instskip(NEXT) | instid1(VALU_DEP_1)
	v_dual_add_f32 v1, v1, v3 :: v_dual_add_f32 v2, v2, v166
	v_add_f32_e32 v1, v1, v4
	s_delay_alu instid0(VALU_DEP_2) | instskip(NEXT) | instid1(VALU_DEP_1)
	v_add_f32_e32 v2, v2, v164
	v_dual_sub_f32 v1, v30, v1 :: v_dual_sub_f32 v2, v31, v2
	scratch_store_b64 off, v[1:2], off offset:120
	v_cmpx_lt_u32_e32 14, v0
	s_cbranch_execz .LBB126_363
; %bb.362:
	scratch_load_b64 v[1:2], off, off offset:112
	v_mov_b32_e32 v22, v21
	scratch_store_b64 off, v[21:22], off offset:112
	s_wait_loadcnt 0x0
	ds_store_b64 v161, v[1:2]
.LBB126_363:
	s_wait_alu 0xfffe
	s_or_b32 exec_lo, exec_lo, s0
	s_wait_storecnt_dscnt 0x0
	s_barrier_signal -1
	s_barrier_wait -1
	global_inv scope:SCOPE_SE
	s_clause 0x4
	scratch_load_b128 v[5:8], off, off offset:120
	scratch_load_b128 v[1:4], off, off offset:136
	;; [unrolled: 1-line block ×5, first 2 shown]
	ds_load_2addr_b64 v[22:25], v21 offset0:79 offset1:80
	ds_load_2addr_b64 v[26:29], v21 offset0:81 offset1:82
	;; [unrolled: 1-line block ×3, first 2 shown]
	scratch_load_b64 v[30:31], off, off offset:112
	s_mov_b32 s0, exec_lo
	s_wait_loadcnt_dscnt 0x502
	v_mul_f32_e32 v32, v23, v6
	v_dual_mul_f32 v159, v22, v6 :: v_dual_mul_f32 v160, v24, v8
	v_mul_f32_e32 v6, v25, v8
	s_wait_loadcnt_dscnt 0x300
	v_mul_f32_e32 v166, v164, v12
	s_delay_alu instid0(VALU_DEP_3)
	v_dual_mul_f32 v12, v165, v12 :: v_dual_fmac_f32 v159, v23, v5
	v_fmac_f32_e32 v160, v25, v7
	v_fma_f32 v23, v24, v7, -v6
	v_mul_f32_e32 v25, v28, v4
	v_fma_f32 v22, v22, v5, -v32
	ds_load_2addr_b64 v[5:8], v21 offset0:85 offset1:86
	v_mul_f32_e32 v24, v26, v2
	v_mul_f32_e32 v4, v29, v4
	;; [unrolled: 1-line block ×4, first 2 shown]
	v_dual_mul_f32 v2, v27, v2 :: v_dual_fmac_f32 v25, v29, v3
	v_fmac_f32_e32 v24, v27, v1
	v_fma_f32 v27, v28, v3, -v4
	v_fmac_f32_e32 v32, v163, v9
	v_fma_f32 v28, v162, v9, -v10
	;; [unrolled: 2-line block ×3, first 2 shown]
	ds_load_2addr_b64 v[9:12], v21 offset0:87 offset1:88
	s_wait_loadcnt_dscnt 0x201
	v_dual_mul_f32 v163, v7, v16 :: v_dual_mul_f32 v162, v5, v14
	v_mul_f32_e32 v14, v6, v14
	v_mul_f32_e32 v16, v8, v16
	s_delay_alu instid0(VALU_DEP_3)
	v_fmac_f32_e32 v163, v8, v15
	v_fma_f32 v26, v26, v1, -v2
	scratch_load_b128 v[1:4], off, off offset:200
	v_fmac_f32_e32 v162, v6, v13
	v_fma_f32 v13, v5, v13, -v14
	v_fma_f32 v14, v7, v15, -v16
	ds_load_2addr_b64 v[5:8], v21 offset0:89 offset1:90
	s_wait_loadcnt_dscnt 0x201
	v_mul_f32_e32 v15, v9, v18
	v_mul_f32_e32 v16, v10, v18
	;; [unrolled: 1-line block ×3, first 2 shown]
	s_delay_alu instid0(VALU_DEP_3) | instskip(NEXT) | instid1(VALU_DEP_3)
	v_dual_mul_f32 v20, v12, v20 :: v_dual_fmac_f32 v15, v10, v17
	v_fma_f32 v16, v9, v17, -v16
	s_delay_alu instid0(VALU_DEP_3) | instskip(NEXT) | instid1(VALU_DEP_3)
	v_fmac_f32_e32 v18, v12, v19
	v_fma_f32 v17, v11, v19, -v20
	scratch_load_b128 v[9:12], off, off offset:216
	s_wait_loadcnt_dscnt 0x100
	v_mul_f32_e32 v19, v5, v2
	v_mul_f32_e32 v2, v6, v2
	;; [unrolled: 1-line block ×3, first 2 shown]
	s_delay_alu instid0(VALU_DEP_3) | instskip(NEXT) | instid1(VALU_DEP_3)
	v_dual_mul_f32 v4, v8, v4 :: v_dual_fmac_f32 v19, v6, v1
	v_fma_f32 v164, v5, v1, -v2
	s_delay_alu instid0(VALU_DEP_3) | instskip(NEXT) | instid1(VALU_DEP_3)
	v_fmac_f32_e32 v20, v8, v3
	v_fma_f32 v165, v7, v3, -v4
	ds_load_2addr_b64 v[1:4], v21 offset0:91 offset1:92
	ds_load_2addr_b64 v[5:8], v21 offset0:93 offset1:94
	s_wait_loadcnt_dscnt 0x1
	v_mul_f32_e32 v167, v1, v10
	v_mul_f32_e32 v10, v2, v10
	s_delay_alu instid0(VALU_DEP_2) | instskip(NEXT) | instid1(VALU_DEP_2)
	v_dual_mul_f32 v168, v3, v12 :: v_dual_fmac_f32 v167, v2, v9
	v_fma_f32 v169, v1, v9, -v10
	v_mul_f32_e32 v1, v4, v12
	s_delay_alu instid0(VALU_DEP_3) | instskip(NEXT) | instid1(VALU_DEP_2)
	v_fmac_f32_e32 v168, v4, v11
	v_fma_f32 v170, v3, v11, -v1
	s_clause 0x1
	scratch_load_b128 v[1:4], off, off offset:232
	scratch_load_b128 v[9:12], off, off offset:248
	s_wait_loadcnt_dscnt 0x100
	v_mul_f32_e32 v171, v5, v2
	v_dual_mul_f32 v2, v6, v2 :: v_dual_mul_f32 v173, v7, v4
	s_delay_alu instid0(VALU_DEP_2) | instskip(NEXT) | instid1(VALU_DEP_2)
	v_fmac_f32_e32 v171, v6, v1
	v_fma_f32 v172, v5, v1, -v2
	v_mul_f32_e32 v1, v8, v4
	s_delay_alu instid0(VALU_DEP_4) | instskip(NEXT) | instid1(VALU_DEP_2)
	v_fmac_f32_e32 v173, v8, v3
	v_fma_f32 v174, v7, v3, -v1
	ds_load_2addr_b64 v[1:4], v21 offset0:95 offset1:96
	ds_load_2addr_b64 v[5:8], v21 offset0:97 offset1:98
	s_wait_loadcnt_dscnt 0x1
	v_mul_f32_e32 v175, v1, v10
	v_mul_f32_e32 v177, v3, v12
	s_delay_alu instid0(VALU_DEP_2) | instskip(NEXT) | instid1(VALU_DEP_2)
	v_fmac_f32_e32 v175, v2, v9
	v_dual_mul_f32 v2, v2, v10 :: v_dual_fmac_f32 v177, v4, v11
	s_delay_alu instid0(VALU_DEP_1) | instskip(SKIP_1) | instid1(VALU_DEP_1)
	v_fma_f32 v176, v1, v9, -v2
	v_mul_f32_e32 v1, v4, v12
	v_fma_f32 v178, v3, v11, -v1
	s_clause 0x1
	scratch_load_b128 v[1:4], off, off offset:264
	scratch_load_b128 v[9:12], off, off offset:280
	s_wait_loadcnt_dscnt 0x100
	v_mul_f32_e32 v179, v5, v2
	v_dual_mul_f32 v2, v6, v2 :: v_dual_mul_f32 v181, v7, v4
	s_delay_alu instid0(VALU_DEP_2) | instskip(NEXT) | instid1(VALU_DEP_2)
	v_fmac_f32_e32 v179, v6, v1
	v_fma_f32 v180, v5, v1, -v2
	v_mul_f32_e32 v1, v8, v4
	s_delay_alu instid0(VALU_DEP_4) | instskip(NEXT) | instid1(VALU_DEP_2)
	v_fmac_f32_e32 v181, v8, v3
	v_fma_f32 v182, v7, v3, -v1
	ds_load_2addr_b64 v[1:4], v21 offset0:99 offset1:100
	ds_load_2addr_b64 v[5:8], v21 offset0:101 offset1:102
	s_wait_loadcnt_dscnt 0x1
	v_mul_f32_e32 v183, v1, v10
	v_mul_f32_e32 v185, v3, v12
	s_delay_alu instid0(VALU_DEP_2) | instskip(NEXT) | instid1(VALU_DEP_2)
	v_fmac_f32_e32 v183, v2, v9
	v_dual_mul_f32 v2, v2, v10 :: v_dual_fmac_f32 v185, v4, v11
	s_delay_alu instid0(VALU_DEP_1) | instskip(SKIP_1) | instid1(VALU_DEP_1)
	v_fma_f32 v184, v1, v9, -v2
	v_mul_f32_e32 v1, v4, v12
	v_fma_f32 v186, v3, v11, -v1
	s_clause 0x1
	scratch_load_b128 v[1:4], off, off offset:296
	scratch_load_b128 v[9:12], off, off offset:312
	s_wait_loadcnt_dscnt 0x100
	v_mul_f32_e32 v187, v5, v2
	v_dual_mul_f32 v2, v6, v2 :: v_dual_mul_f32 v189, v7, v4
	s_delay_alu instid0(VALU_DEP_2) | instskip(NEXT) | instid1(VALU_DEP_2)
	v_fmac_f32_e32 v187, v6, v1
	v_fma_f32 v188, v5, v1, -v2
	v_mul_f32_e32 v1, v8, v4
	s_delay_alu instid0(VALU_DEP_4) | instskip(NEXT) | instid1(VALU_DEP_2)
	v_fmac_f32_e32 v189, v8, v3
	v_fma_f32 v190, v7, v3, -v1
	ds_load_2addr_b64 v[1:4], v21 offset0:103 offset1:104
	ds_load_2addr_b64 v[5:8], v21 offset0:105 offset1:106
	s_wait_loadcnt_dscnt 0x1
	v_mul_f32_e32 v191, v1, v10
	v_mul_f32_e32 v193, v3, v12
	s_delay_alu instid0(VALU_DEP_2) | instskip(NEXT) | instid1(VALU_DEP_2)
	v_fmac_f32_e32 v191, v2, v9
	v_dual_mul_f32 v2, v2, v10 :: v_dual_fmac_f32 v193, v4, v11
	s_delay_alu instid0(VALU_DEP_1) | instskip(SKIP_1) | instid1(VALU_DEP_1)
	v_fma_f32 v192, v1, v9, -v2
	v_mul_f32_e32 v1, v4, v12
	v_fma_f32 v194, v3, v11, -v1
	s_clause 0x1
	scratch_load_b128 v[1:4], off, off offset:328
	scratch_load_b128 v[9:12], off, off offset:344
	s_wait_loadcnt_dscnt 0x100
	v_mul_f32_e32 v195, v5, v2
	v_dual_mul_f32 v2, v6, v2 :: v_dual_mul_f32 v197, v7, v4
	s_delay_alu instid0(VALU_DEP_2) | instskip(NEXT) | instid1(VALU_DEP_2)
	v_fmac_f32_e32 v195, v6, v1
	v_fma_f32 v196, v5, v1, -v2
	v_mul_f32_e32 v1, v8, v4
	s_delay_alu instid0(VALU_DEP_4) | instskip(NEXT) | instid1(VALU_DEP_2)
	v_fmac_f32_e32 v197, v8, v3
	v_fma_f32 v198, v7, v3, -v1
	ds_load_2addr_b64 v[1:4], v21 offset0:107 offset1:108
	ds_load_2addr_b64 v[5:8], v21 offset0:109 offset1:110
	s_wait_loadcnt_dscnt 0x1
	v_mul_f32_e32 v199, v1, v10
	v_mul_f32_e32 v201, v3, v12
	s_delay_alu instid0(VALU_DEP_2) | instskip(NEXT) | instid1(VALU_DEP_2)
	v_fmac_f32_e32 v199, v2, v9
	v_dual_mul_f32 v2, v2, v10 :: v_dual_fmac_f32 v201, v4, v11
	s_delay_alu instid0(VALU_DEP_1) | instskip(SKIP_1) | instid1(VALU_DEP_1)
	v_fma_f32 v200, v1, v9, -v2
	v_mul_f32_e32 v1, v4, v12
	v_fma_f32 v202, v3, v11, -v1
	s_clause 0x1
	scratch_load_b128 v[1:4], off, off offset:360
	scratch_load_b128 v[9:12], off, off offset:376
	s_wait_loadcnt_dscnt 0x100
	v_mul_f32_e32 v203, v5, v2
	v_dual_mul_f32 v2, v6, v2 :: v_dual_mul_f32 v205, v7, v4
	s_delay_alu instid0(VALU_DEP_2) | instskip(NEXT) | instid1(VALU_DEP_2)
	v_fmac_f32_e32 v203, v6, v1
	v_fma_f32 v204, v5, v1, -v2
	v_mul_f32_e32 v1, v8, v4
	s_delay_alu instid0(VALU_DEP_4) | instskip(NEXT) | instid1(VALU_DEP_2)
	v_fmac_f32_e32 v205, v8, v3
	v_fma_f32 v206, v7, v3, -v1
	ds_load_2addr_b64 v[1:4], v21 offset0:111 offset1:112
	ds_load_2addr_b64 v[5:8], v21 offset0:113 offset1:114
	s_wait_loadcnt_dscnt 0x1
	v_mul_f32_e32 v207, v1, v10
	v_mul_f32_e32 v209, v3, v12
	s_delay_alu instid0(VALU_DEP_2) | instskip(NEXT) | instid1(VALU_DEP_2)
	v_fmac_f32_e32 v207, v2, v9
	v_dual_mul_f32 v2, v2, v10 :: v_dual_fmac_f32 v209, v4, v11
	s_delay_alu instid0(VALU_DEP_1) | instskip(SKIP_1) | instid1(VALU_DEP_1)
	v_fma_f32 v208, v1, v9, -v2
	v_mul_f32_e32 v1, v4, v12
	v_fma_f32 v210, v3, v11, -v1
	s_clause 0x1
	scratch_load_b128 v[1:4], off, off offset:392
	scratch_load_b128 v[9:12], off, off offset:408
	s_wait_loadcnt_dscnt 0x100
	v_mul_f32_e32 v211, v5, v2
	v_dual_mul_f32 v2, v6, v2 :: v_dual_mul_f32 v213, v7, v4
	s_delay_alu instid0(VALU_DEP_2) | instskip(NEXT) | instid1(VALU_DEP_2)
	v_fmac_f32_e32 v211, v6, v1
	v_fma_f32 v212, v5, v1, -v2
	v_mul_f32_e32 v1, v8, v4
	s_delay_alu instid0(VALU_DEP_4) | instskip(NEXT) | instid1(VALU_DEP_2)
	v_fmac_f32_e32 v213, v8, v3
	v_fma_f32 v214, v7, v3, -v1
	ds_load_2addr_b64 v[1:4], v21 offset0:115 offset1:116
	ds_load_2addr_b64 v[5:8], v21 offset0:117 offset1:118
	s_wait_loadcnt_dscnt 0x1
	v_mul_f32_e32 v215, v1, v10
	v_mul_f32_e32 v217, v3, v12
	s_delay_alu instid0(VALU_DEP_2) | instskip(NEXT) | instid1(VALU_DEP_2)
	v_fmac_f32_e32 v215, v2, v9
	v_dual_mul_f32 v2, v2, v10 :: v_dual_fmac_f32 v217, v4, v11
	s_delay_alu instid0(VALU_DEP_1) | instskip(SKIP_1) | instid1(VALU_DEP_1)
	v_fma_f32 v216, v1, v9, -v2
	v_mul_f32_e32 v1, v4, v12
	v_fma_f32 v218, v3, v11, -v1
	s_clause 0x1
	scratch_load_b128 v[1:4], off, off offset:424
	scratch_load_b128 v[9:12], off, off offset:440
	s_wait_loadcnt_dscnt 0x100
	v_mul_f32_e32 v219, v5, v2
	v_mul_f32_e32 v2, v6, v2
	s_delay_alu instid0(VALU_DEP_2) | instskip(NEXT) | instid1(VALU_DEP_2)
	v_fmac_f32_e32 v219, v6, v1
	v_fma_f32 v220, v5, v1, -v2
	v_dual_add_f32 v2, 0, v159 :: v_dual_mul_f32 v1, v8, v4
	s_delay_alu instid0(VALU_DEP_1) | instskip(NEXT) | instid1(VALU_DEP_2)
	v_add_f32_e32 v2, v2, v160
	v_fma_f32 v222, v7, v3, -v1
	s_delay_alu instid0(VALU_DEP_2) | instskip(NEXT) | instid1(VALU_DEP_1)
	v_add_f32_e32 v2, v2, v24
	v_add_f32_e32 v2, v2, v25
	s_delay_alu instid0(VALU_DEP_1) | instskip(NEXT) | instid1(VALU_DEP_1)
	v_dual_add_f32 v2, v2, v32 :: v_dual_add_f32 v1, 0, v22
	v_dual_add_f32 v2, v2, v166 :: v_dual_add_f32 v1, v1, v23
	s_delay_alu instid0(VALU_DEP_1) | instskip(NEXT) | instid1(VALU_DEP_1)
	v_add_f32_e32 v2, v2, v162
	v_dual_add_f32 v1, v1, v26 :: v_dual_add_f32 v2, v2, v163
	s_delay_alu instid0(VALU_DEP_1) | instskip(NEXT) | instid1(VALU_DEP_2)
	v_add_f32_e32 v1, v1, v27
	v_add_f32_e32 v2, v2, v15
	s_delay_alu instid0(VALU_DEP_1) | instskip(NEXT) | instid1(VALU_DEP_1)
	v_add_f32_e32 v2, v2, v18
	v_add_f32_e32 v2, v2, v19
	s_delay_alu instid0(VALU_DEP_1) | instskip(NEXT) | instid1(VALU_DEP_1)
	;; [unrolled: 3-line block ×5, first 2 shown]
	v_dual_add_f32 v2, v2, v177 :: v_dual_add_f32 v1, v1, v28
	v_dual_add_f32 v2, v2, v179 :: v_dual_add_f32 v1, v1, v29
	s_delay_alu instid0(VALU_DEP_1) | instskip(NEXT) | instid1(VALU_DEP_1)
	v_add_f32_e32 v2, v2, v181
	v_dual_add_f32 v1, v1, v13 :: v_dual_add_f32 v2, v2, v183
	s_delay_alu instid0(VALU_DEP_1) | instskip(NEXT) | instid1(VALU_DEP_1)
	v_dual_add_f32 v2, v2, v185 :: v_dual_add_f32 v1, v1, v14
	v_add_f32_e32 v1, v1, v16
	s_delay_alu instid0(VALU_DEP_1) | instskip(NEXT) | instid1(VALU_DEP_1)
	v_add_f32_e32 v1, v1, v17
	v_add_f32_e32 v1, v1, v164
	s_delay_alu instid0(VALU_DEP_1) | instskip(NEXT) | instid1(VALU_DEP_1)
	v_add_f32_e32 v1, v1, v165
	;; [unrolled: 3-line block ×8, first 2 shown]
	v_add_f32_e32 v1, v1, v192
	s_delay_alu instid0(VALU_DEP_1) | instskip(SKIP_1) | instid1(VALU_DEP_2)
	v_add_f32_e32 v6, v1, v194
	v_add_f32_e32 v2, v2, v187
	;; [unrolled: 1-line block ×3, first 2 shown]
	s_delay_alu instid0(VALU_DEP_2) | instskip(NEXT) | instid1(VALU_DEP_2)
	v_add_f32_e32 v2, v2, v189
	v_add_f32_e32 v13, v6, v198
	s_delay_alu instid0(VALU_DEP_2) | instskip(NEXT) | instid1(VALU_DEP_2)
	v_add_f32_e32 v5, v2, v191
	v_add_f32_e32 v13, v13, v200
	;; [unrolled: 3-line block ×3, first 2 shown]
	s_delay_alu instid0(VALU_DEP_2) | instskip(SKIP_1) | instid1(VALU_DEP_3)
	v_add_f32_e32 v5, v5, v195
	v_mul_f32_e32 v221, v7, v4
	v_add_f32_e32 v13, v13, v204
	s_delay_alu instid0(VALU_DEP_2) | instskip(SKIP_3) | instid1(VALU_DEP_1)
	v_dual_add_f32 v14, v5, v197 :: v_dual_fmac_f32 v221, v8, v3
	ds_load_2addr_b64 v[1:4], v21 offset0:119 offset1:120
	ds_load_2addr_b64 v[5:8], v21 offset0:121 offset1:122
	v_add_f32_e32 v18, v13, v206
	v_add_f32_e32 v18, v18, v208
	s_delay_alu instid0(VALU_DEP_1) | instskip(SKIP_1) | instid1(VALU_DEP_1)
	v_add_f32_e32 v18, v18, v210
	s_wait_loadcnt_dscnt 0x1
	v_dual_add_f32 v22, v18, v212 :: v_dual_mul_f32 v25, v1, v10
	v_mul_f32_e32 v26, v3, v12
	v_mul_f32_e32 v10, v2, v10
	s_delay_alu instid0(VALU_DEP_3) | instskip(NEXT) | instid1(VALU_DEP_3)
	v_dual_mul_f32 v12, v4, v12 :: v_dual_add_f32 v29, v22, v214
	v_dual_fmac_f32 v25, v2, v9 :: v_dual_fmac_f32 v26, v4, v11
	s_delay_alu instid0(VALU_DEP_3) | instskip(NEXT) | instid1(VALU_DEP_3)
	v_fma_f32 v27, v1, v9, -v10
	v_fma_f32 v28, v3, v11, -v12
	s_clause 0x1
	scratch_load_b128 v[1:4], off, off offset:456
	scratch_load_b128 v[9:12], off, off offset:472
	v_dual_add_f32 v14, v14, v199 :: v_dual_add_f32 v29, v29, v216
	s_delay_alu instid0(VALU_DEP_1) | instskip(NEXT) | instid1(VALU_DEP_1)
	v_dual_add_f32 v14, v14, v201 :: v_dual_add_f32 v29, v29, v218
	v_add_f32_e32 v17, v14, v203
	scratch_load_b128 v[13:16], off, off offset:488
	v_add_f32_e32 v29, v29, v220
	v_add_f32_e32 v17, v17, v205
	s_delay_alu instid0(VALU_DEP_2) | instskip(NEXT) | instid1(VALU_DEP_2)
	v_add_f32_e32 v29, v29, v222
	v_add_f32_e32 v17, v17, v207
	s_delay_alu instid0(VALU_DEP_2) | instskip(NEXT) | instid1(VALU_DEP_2)
	v_add_f32_e32 v27, v29, v27
	v_add_f32_e32 v17, v17, v209
	s_delay_alu instid0(VALU_DEP_1)
	v_add_f32_e32 v23, v17, v211
	ds_load_2addr_b64 v[17:20], v21 offset0:123 offset1:124
	v_add_f32_e32 v32, v23, v213
	ds_load_2addr_b64 v[21:24], v21 offset0:125 offset1:126
	s_wait_loadcnt_dscnt 0x202
	v_mul_f32_e32 v160, v7, v4
	v_add_f32_e32 v32, v32, v215
	s_wait_loadcnt_dscnt 0x101
	v_mul_f32_e32 v162, v17, v10
	v_mul_f32_e32 v159, v5, v2
	;; [unrolled: 1-line block ×4, first 2 shown]
	v_add_f32_e32 v32, v32, v217
	s_delay_alu instid0(VALU_DEP_4) | instskip(NEXT) | instid1(VALU_DEP_4)
	v_dual_fmac_f32 v160, v8, v3 :: v_dual_fmac_f32 v159, v6, v1
	v_fma_f32 v2, v5, v1, -v2
	s_delay_alu instid0(VALU_DEP_3) | instskip(SKIP_3) | instid1(VALU_DEP_4)
	v_dual_add_f32 v1, v27, v28 :: v_dual_add_f32 v32, v32, v219
	v_mul_f32_e32 v6, v18, v10
	v_fma_f32 v3, v7, v3, -v4
	v_mul_f32_e32 v163, v19, v12
	v_dual_add_f32 v1, v1, v2 :: v_dual_add_f32 v32, v32, v221
	v_mul_f32_e32 v4, v20, v12
	v_fmac_f32_e32 v162, v18, v9
	s_wait_loadcnt_dscnt 0x0
	v_mul_f32_e32 v164, v21, v14
	v_add_f32_e32 v1, v1, v3
	v_add_f32_e32 v25, v32, v25
	v_mul_f32_e32 v3, v22, v14
	v_fmac_f32_e32 v163, v20, v11
	v_fma_f32 v4, v19, v11, -v4
	v_mul_f32_e32 v29, v23, v16
	v_dual_add_f32 v5, v25, v26 :: v_dual_fmac_f32 v164, v22, v13
	v_fma_f32 v3, v21, v13, -v3
	s_delay_alu instid0(VALU_DEP_3) | instskip(NEXT) | instid1(VALU_DEP_3)
	v_fmac_f32_e32 v29, v24, v15
	v_add_f32_e32 v2, v5, v159
	v_fma_f32 v5, v17, v9, -v6
	s_delay_alu instid0(VALU_DEP_1) | instskip(NEXT) | instid1(VALU_DEP_1)
	v_dual_add_f32 v2, v2, v160 :: v_dual_add_f32 v1, v1, v5
	v_dual_mul_f32 v5, v24, v16 :: v_dual_add_f32 v2, v2, v162
	s_delay_alu instid0(VALU_DEP_2) | instskip(NEXT) | instid1(VALU_DEP_2)
	v_add_f32_e32 v1, v1, v4
	v_fma_f32 v4, v23, v15, -v5
	s_delay_alu instid0(VALU_DEP_3) | instskip(NEXT) | instid1(VALU_DEP_1)
	v_add_f32_e32 v2, v2, v163
	v_dual_add_f32 v1, v1, v3 :: v_dual_add_f32 v2, v2, v164
	s_delay_alu instid0(VALU_DEP_1) | instskip(NEXT) | instid1(VALU_DEP_1)
	v_dual_add_f32 v1, v1, v4 :: v_dual_add_f32 v2, v2, v29
	v_dual_sub_f32 v1, v30, v1 :: v_dual_sub_f32 v2, v31, v2
	scratch_store_b64 off, v[1:2], off offset:112
	v_cmpx_lt_u32_e32 13, v0
	s_cbranch_execz .LBB126_365
; %bb.364:
	scratch_load_b64 v[1:2], off, off offset:104
	v_mov_b32_e32 v3, 0
	s_delay_alu instid0(VALU_DEP_1)
	v_mov_b32_e32 v4, v3
	scratch_store_b64 off, v[3:4], off offset:104
	s_wait_loadcnt 0x0
	ds_store_b64 v161, v[1:2]
.LBB126_365:
	s_wait_alu 0xfffe
	s_or_b32 exec_lo, exec_lo, s0
	s_wait_storecnt_dscnt 0x0
	s_barrier_signal -1
	s_barrier_wait -1
	global_inv scope:SCOPE_SE
	s_clause 0x4
	scratch_load_b128 v[5:8], off, off offset:112
	scratch_load_b128 v[1:4], off, off offset:128
	;; [unrolled: 1-line block ×5, first 2 shown]
	v_mov_b32_e32 v25, 0
	ds_load_b128 v[21:24], v25 offset:624
	ds_load_b128 v[26:29], v25 offset:640
	ds_load_b128 v[162:165], v25 offset:656
	scratch_load_b64 v[30:31], off, off offset:104
	s_mov_b32 s0, exec_lo
	s_wait_loadcnt_dscnt 0x502
	v_mul_f32_e32 v32, v22, v6
	v_dual_mul_f32 v159, v21, v6 :: v_dual_mul_f32 v160, v23, v8
	v_mul_f32_e32 v6, v24, v8
	s_wait_loadcnt_dscnt 0x300
	v_mul_f32_e32 v166, v164, v12
	v_fma_f32 v21, v21, v5, -v32
	v_dual_fmac_f32 v159, v22, v5 :: v_dual_fmac_f32 v160, v24, v7
	v_fma_f32 v22, v23, v7, -v6
	ds_load_b128 v[5:8], v25 offset:672
	v_dual_mul_f32 v23, v26, v2 :: v_dual_mul_f32 v24, v28, v4
	v_mul_f32_e32 v4, v29, v4
	v_mul_f32_e32 v32, v162, v10
	;; [unrolled: 1-line block ×5, first 2 shown]
	v_dual_fmac_f32 v23, v27, v1 :: v_dual_fmac_f32 v24, v29, v3
	v_fma_f32 v27, v28, v3, -v4
	v_fmac_f32_e32 v32, v163, v9
	v_fma_f32 v28, v162, v9, -v10
	v_fmac_f32_e32 v166, v165, v11
	v_fma_f32 v29, v164, v11, -v12
	ds_load_b128 v[9:12], v25 offset:688
	s_wait_loadcnt_dscnt 0x201
	v_dual_mul_f32 v163, v7, v16 :: v_dual_mul_f32 v162, v5, v14
	v_mul_f32_e32 v14, v6, v14
	v_mul_f32_e32 v16, v8, v16
	s_delay_alu instid0(VALU_DEP_3)
	v_fmac_f32_e32 v163, v8, v15
	v_fma_f32 v26, v26, v1, -v2
	scratch_load_b128 v[1:4], off, off offset:192
	v_fmac_f32_e32 v162, v6, v13
	v_fma_f32 v13, v5, v13, -v14
	v_fma_f32 v14, v7, v15, -v16
	ds_load_b128 v[5:8], v25 offset:704
	s_wait_loadcnt_dscnt 0x201
	v_mul_f32_e32 v15, v9, v18
	v_mul_f32_e32 v16, v10, v18
	;; [unrolled: 1-line block ×3, first 2 shown]
	s_delay_alu instid0(VALU_DEP_3) | instskip(NEXT) | instid1(VALU_DEP_3)
	v_dual_mul_f32 v20, v12, v20 :: v_dual_fmac_f32 v15, v10, v17
	v_fma_f32 v16, v9, v17, -v16
	s_delay_alu instid0(VALU_DEP_3) | instskip(NEXT) | instid1(VALU_DEP_3)
	v_fmac_f32_e32 v18, v12, v19
	v_fma_f32 v17, v11, v19, -v20
	scratch_load_b128 v[9:12], off, off offset:208
	s_wait_loadcnt_dscnt 0x100
	v_mul_f32_e32 v19, v5, v2
	v_mul_f32_e32 v2, v6, v2
	;; [unrolled: 1-line block ×3, first 2 shown]
	s_delay_alu instid0(VALU_DEP_3) | instskip(NEXT) | instid1(VALU_DEP_3)
	v_dual_mul_f32 v4, v8, v4 :: v_dual_fmac_f32 v19, v6, v1
	v_fma_f32 v164, v5, v1, -v2
	s_delay_alu instid0(VALU_DEP_3) | instskip(NEXT) | instid1(VALU_DEP_3)
	v_fmac_f32_e32 v20, v8, v3
	v_fma_f32 v165, v7, v3, -v4
	ds_load_b128 v[1:4], v25 offset:720
	ds_load_b128 v[5:8], v25 offset:736
	s_wait_loadcnt_dscnt 0x1
	v_mul_f32_e32 v167, v1, v10
	v_mul_f32_e32 v10, v2, v10
	s_delay_alu instid0(VALU_DEP_2) | instskip(NEXT) | instid1(VALU_DEP_2)
	v_dual_mul_f32 v168, v3, v12 :: v_dual_fmac_f32 v167, v2, v9
	v_fma_f32 v169, v1, v9, -v10
	v_mul_f32_e32 v1, v4, v12
	s_delay_alu instid0(VALU_DEP_3) | instskip(NEXT) | instid1(VALU_DEP_2)
	v_fmac_f32_e32 v168, v4, v11
	v_fma_f32 v170, v3, v11, -v1
	s_clause 0x1
	scratch_load_b128 v[1:4], off, off offset:224
	scratch_load_b128 v[9:12], off, off offset:240
	s_wait_loadcnt_dscnt 0x100
	v_mul_f32_e32 v171, v5, v2
	v_dual_mul_f32 v2, v6, v2 :: v_dual_mul_f32 v173, v7, v4
	s_delay_alu instid0(VALU_DEP_2) | instskip(NEXT) | instid1(VALU_DEP_2)
	v_fmac_f32_e32 v171, v6, v1
	v_fma_f32 v172, v5, v1, -v2
	v_mul_f32_e32 v1, v8, v4
	s_delay_alu instid0(VALU_DEP_4) | instskip(NEXT) | instid1(VALU_DEP_2)
	v_fmac_f32_e32 v173, v8, v3
	v_fma_f32 v174, v7, v3, -v1
	ds_load_b128 v[1:4], v25 offset:752
	ds_load_b128 v[5:8], v25 offset:768
	s_wait_loadcnt_dscnt 0x1
	v_mul_f32_e32 v175, v1, v10
	v_mul_f32_e32 v177, v3, v12
	s_delay_alu instid0(VALU_DEP_2) | instskip(NEXT) | instid1(VALU_DEP_2)
	v_fmac_f32_e32 v175, v2, v9
	v_dual_mul_f32 v2, v2, v10 :: v_dual_fmac_f32 v177, v4, v11
	s_delay_alu instid0(VALU_DEP_1) | instskip(SKIP_1) | instid1(VALU_DEP_1)
	v_fma_f32 v176, v1, v9, -v2
	v_mul_f32_e32 v1, v4, v12
	v_fma_f32 v178, v3, v11, -v1
	s_clause 0x1
	scratch_load_b128 v[1:4], off, off offset:256
	scratch_load_b128 v[9:12], off, off offset:272
	s_wait_loadcnt_dscnt 0x100
	v_mul_f32_e32 v179, v5, v2
	v_dual_mul_f32 v2, v6, v2 :: v_dual_mul_f32 v181, v7, v4
	s_delay_alu instid0(VALU_DEP_2) | instskip(NEXT) | instid1(VALU_DEP_2)
	v_fmac_f32_e32 v179, v6, v1
	v_fma_f32 v180, v5, v1, -v2
	v_mul_f32_e32 v1, v8, v4
	s_delay_alu instid0(VALU_DEP_4) | instskip(NEXT) | instid1(VALU_DEP_2)
	v_fmac_f32_e32 v181, v8, v3
	v_fma_f32 v182, v7, v3, -v1
	ds_load_b128 v[1:4], v25 offset:784
	ds_load_b128 v[5:8], v25 offset:800
	s_wait_loadcnt_dscnt 0x1
	v_mul_f32_e32 v183, v1, v10
	v_mul_f32_e32 v185, v3, v12
	s_delay_alu instid0(VALU_DEP_2) | instskip(NEXT) | instid1(VALU_DEP_2)
	v_fmac_f32_e32 v183, v2, v9
	v_dual_mul_f32 v2, v2, v10 :: v_dual_fmac_f32 v185, v4, v11
	s_delay_alu instid0(VALU_DEP_1) | instskip(SKIP_1) | instid1(VALU_DEP_1)
	v_fma_f32 v184, v1, v9, -v2
	v_mul_f32_e32 v1, v4, v12
	;; [unrolled: 25-line block ×6, first 2 shown]
	v_fma_f32 v218, v3, v11, -v1
	s_clause 0x1
	scratch_load_b128 v[1:4], off, off offset:416
	scratch_load_b128 v[9:12], off, off offset:432
	s_wait_loadcnt_dscnt 0x100
	v_mul_f32_e32 v219, v5, v2
	v_mul_f32_e32 v2, v6, v2
	s_delay_alu instid0(VALU_DEP_2) | instskip(NEXT) | instid1(VALU_DEP_2)
	v_fmac_f32_e32 v219, v6, v1
	v_fma_f32 v220, v5, v1, -v2
	v_dual_add_f32 v2, 0, v159 :: v_dual_mul_f32 v1, v8, v4
	s_delay_alu instid0(VALU_DEP_1) | instskip(NEXT) | instid1(VALU_DEP_2)
	v_add_f32_e32 v2, v2, v160
	v_fma_f32 v222, v7, v3, -v1
	s_delay_alu instid0(VALU_DEP_2) | instskip(NEXT) | instid1(VALU_DEP_1)
	v_dual_add_f32 v1, 0, v21 :: v_dual_add_f32 v2, v2, v23
	v_dual_add_f32 v1, v1, v22 :: v_dual_add_f32 v2, v2, v24
	s_delay_alu instid0(VALU_DEP_1) | instskip(NEXT) | instid1(VALU_DEP_1)
	v_add_f32_e32 v2, v2, v32
	v_add_f32_e32 v2, v2, v166
	s_delay_alu instid0(VALU_DEP_1) | instskip(NEXT) | instid1(VALU_DEP_1)
	v_add_f32_e32 v2, v2, v162
	v_dual_add_f32 v1, v1, v26 :: v_dual_add_f32 v2, v2, v163
	s_delay_alu instid0(VALU_DEP_1) | instskip(SKIP_2) | instid1(VALU_DEP_1)
	v_add_f32_e32 v1, v1, v27
	scratch_load_b64 v[26:27], off, off offset:496
	v_dual_add_f32 v2, v2, v15 :: v_dual_add_f32 v1, v1, v28
	v_dual_add_f32 v2, v2, v18 :: v_dual_add_f32 v1, v1, v29
	s_delay_alu instid0(VALU_DEP_1) | instskip(NEXT) | instid1(VALU_DEP_1)
	v_dual_add_f32 v2, v2, v19 :: v_dual_add_f32 v1, v1, v13
	v_dual_add_f32 v2, v2, v20 :: v_dual_add_f32 v1, v1, v14
	s_delay_alu instid0(VALU_DEP_1) | instskip(NEXT) | instid1(VALU_DEP_1)
	;; [unrolled: 3-line block ×3, first 2 shown]
	v_dual_add_f32 v2, v2, v171 :: v_dual_add_f32 v1, v1, v164
	v_add_f32_e32 v2, v2, v173
	s_delay_alu instid0(VALU_DEP_1) | instskip(NEXT) | instid1(VALU_DEP_1)
	v_dual_add_f32 v1, v1, v165 :: v_dual_add_f32 v2, v2, v175
	v_add_f32_e32 v1, v1, v169
	s_delay_alu instid0(VALU_DEP_1) | instskip(NEXT) | instid1(VALU_DEP_1)
	v_dual_add_f32 v2, v2, v177 :: v_dual_add_f32 v1, v1, v170
	v_dual_add_f32 v2, v2, v179 :: v_dual_add_f32 v1, v1, v172
	s_delay_alu instid0(VALU_DEP_1) | instskip(NEXT) | instid1(VALU_DEP_1)
	v_dual_add_f32 v2, v2, v181 :: v_dual_add_f32 v1, v1, v174
	v_dual_add_f32 v2, v2, v183 :: v_dual_add_f32 v1, v1, v176
	s_delay_alu instid0(VALU_DEP_1) | instskip(NEXT) | instid1(VALU_DEP_1)
	v_dual_add_f32 v2, v2, v185 :: v_dual_add_f32 v1, v1, v178
	v_add_f32_e32 v1, v1, v180
	s_delay_alu instid0(VALU_DEP_1) | instskip(NEXT) | instid1(VALU_DEP_1)
	v_add_f32_e32 v1, v1, v182
	v_add_f32_e32 v1, v1, v184
	s_delay_alu instid0(VALU_DEP_1) | instskip(NEXT) | instid1(VALU_DEP_1)
	v_add_f32_e32 v1, v1, v186
	;; [unrolled: 3-line block ×3, first 2 shown]
	v_add_f32_e32 v1, v1, v192
	s_delay_alu instid0(VALU_DEP_1) | instskip(SKIP_1) | instid1(VALU_DEP_2)
	v_add_f32_e32 v6, v1, v194
	v_add_f32_e32 v2, v2, v187
	;; [unrolled: 1-line block ×3, first 2 shown]
	s_delay_alu instid0(VALU_DEP_2) | instskip(NEXT) | instid1(VALU_DEP_2)
	v_add_f32_e32 v2, v2, v189
	v_add_f32_e32 v13, v6, v198
	s_delay_alu instid0(VALU_DEP_2) | instskip(NEXT) | instid1(VALU_DEP_2)
	v_add_f32_e32 v5, v2, v191
	v_add_f32_e32 v13, v13, v200
	s_delay_alu instid0(VALU_DEP_2) | instskip(NEXT) | instid1(VALU_DEP_2)
	v_add_f32_e32 v5, v5, v193
	v_add_f32_e32 v13, v13, v202
	s_delay_alu instid0(VALU_DEP_2) | instskip(SKIP_1) | instid1(VALU_DEP_3)
	v_add_f32_e32 v5, v5, v195
	v_mul_f32_e32 v221, v7, v4
	v_add_f32_e32 v13, v13, v204
	s_delay_alu instid0(VALU_DEP_2) | instskip(SKIP_4) | instid1(VALU_DEP_2)
	v_dual_add_f32 v14, v5, v197 :: v_dual_fmac_f32 v221, v8, v3
	ds_load_b128 v[1:4], v25 offset:944
	ds_load_b128 v[5:8], v25 offset:960
	v_add_f32_e32 v18, v13, v206
	v_add_f32_e32 v14, v14, v199
	;; [unrolled: 1-line block ×3, first 2 shown]
	s_delay_alu instid0(VALU_DEP_2) | instskip(NEXT) | instid1(VALU_DEP_2)
	v_add_f32_e32 v14, v14, v201
	v_add_f32_e32 v18, v18, v210
	s_delay_alu instid0(VALU_DEP_2)
	v_add_f32_e32 v17, v14, v203
	scratch_load_b128 v[13:16], off, off offset:480
	v_dual_add_f32 v18, v18, v212 :: v_dual_add_f32 v17, v17, v205
	s_wait_loadcnt_dscnt 0x201
	v_mul_f32_e32 v32, v1, v10
	v_dual_mul_f32 v10, v2, v10 :: v_dual_mul_f32 v159, v3, v12
	v_mul_f32_e32 v12, v4, v12
	v_add_f32_e32 v18, v18, v214
	s_delay_alu instid0(VALU_DEP_4) | instskip(NEXT) | instid1(VALU_DEP_4)
	v_fmac_f32_e32 v32, v2, v9
	v_fma_f32 v160, v1, v9, -v10
	v_fmac_f32_e32 v159, v4, v11
	v_fma_f32 v162, v3, v11, -v12
	s_clause 0x1
	scratch_load_b128 v[1:4], off, off offset:448
	scratch_load_b128 v[9:12], off, off offset:464
	v_add_f32_e32 v28, v18, v216
	s_delay_alu instid0(VALU_DEP_1) | instskip(NEXT) | instid1(VALU_DEP_1)
	v_add_f32_e32 v163, v28, v218
	v_add_f32_e32 v163, v163, v220
	s_delay_alu instid0(VALU_DEP_1) | instskip(NEXT) | instid1(VALU_DEP_1)
	v_add_f32_e32 v163, v163, v222
	v_add_f32_e32 v160, v163, v160
	s_delay_alu instid0(VALU_DEP_1) | instskip(SKIP_4) | instid1(VALU_DEP_3)
	v_add_f32_e32 v160, v160, v162
	s_wait_loadcnt_dscnt 0x100
	v_dual_mul_f32 v166, v7, v4 :: v_dual_add_f32 v17, v17, v207
	v_dual_mul_f32 v4, v8, v4 :: v_dual_mul_f32 v165, v5, v2
	v_mul_f32_e32 v2, v6, v2
	v_dual_fmac_f32 v166, v8, v3 :: v_dual_add_f32 v17, v17, v209
	s_delay_alu instid0(VALU_DEP_3) | instskip(NEXT) | instid1(VALU_DEP_3)
	v_fmac_f32_e32 v165, v6, v1
	v_fma_f32 v2, v5, v1, -v2
	v_fma_f32 v1, v7, v3, -v4
	s_delay_alu instid0(VALU_DEP_2) | instskip(NEXT) | instid1(VALU_DEP_1)
	v_dual_add_f32 v17, v17, v211 :: v_dual_add_f32 v2, v160, v2
	v_add_f32_e32 v21, v17, v213
	ds_load_b128 v[17:20], v25 offset:976
	v_add_f32_e32 v1, v2, v1
	v_add_f32_e32 v29, v21, v215
	ds_load_b128 v[21:24], v25 offset:992
	v_add_f32_e32 v164, v29, v217
	ds_load_b64 v[28:29], v25 offset:1008
	v_add_f32_e32 v164, v164, v219
	s_wait_loadcnt_dscnt 0x2
	s_delay_alu instid0(VALU_DEP_1) | instskip(SKIP_2) | instid1(VALU_DEP_3)
	v_dual_add_f32 v164, v164, v221 :: v_dual_mul_f32 v163, v17, v10
	v_mul_f32_e32 v3, v18, v10
	v_mul_f32_e32 v5, v20, v12
	v_add_f32_e32 v32, v164, v32
	s_delay_alu instid0(VALU_DEP_4) | instskip(NEXT) | instid1(VALU_DEP_4)
	v_dual_mul_f32 v164, v19, v12 :: v_dual_fmac_f32 v163, v18, v9
	v_fma_f32 v3, v17, v9, -v3
	s_wait_dscnt 0x1
	s_delay_alu instid0(VALU_DEP_3) | instskip(NEXT) | instid1(VALU_DEP_3)
	v_dual_mul_f32 v167, v21, v14 :: v_dual_add_f32 v32, v32, v159
	v_fmac_f32_e32 v164, v20, v11
	v_fma_f32 v5, v19, v11, -v5
	v_dual_add_f32 v1, v1, v3 :: v_dual_mul_f32 v162, v23, v16
	s_delay_alu instid0(VALU_DEP_4) | instskip(SKIP_2) | instid1(VALU_DEP_4)
	v_add_f32_e32 v4, v32, v165
	v_mul_f32_e32 v3, v24, v16
	v_fmac_f32_e32 v167, v22, v13
	v_add_f32_e32 v1, v1, v5
	s_wait_dscnt 0x0
	v_mul_f32_e32 v159, v28, v27
	v_add_f32_e32 v2, v4, v166
	v_dual_mul_f32 v4, v22, v14 :: v_dual_mul_f32 v5, v29, v27
	v_fmac_f32_e32 v162, v24, v15
	v_fma_f32 v3, v23, v15, -v3
	s_delay_alu instid0(VALU_DEP_4) | instskip(NEXT) | instid1(VALU_DEP_4)
	v_add_f32_e32 v2, v2, v163
	v_fma_f32 v4, v21, v13, -v4
	s_delay_alu instid0(VALU_DEP_2) | instskip(NEXT) | instid1(VALU_DEP_2)
	v_dual_fmac_f32 v159, v29, v26 :: v_dual_add_f32 v2, v2, v164
	v_add_f32_e32 v1, v1, v4
	v_fma_f32 v4, v28, v26, -v5
	s_delay_alu instid0(VALU_DEP_3) | instskip(NEXT) | instid1(VALU_DEP_1)
	v_add_f32_e32 v2, v2, v167
	v_dual_add_f32 v1, v1, v3 :: v_dual_add_f32 v2, v2, v162
	s_delay_alu instid0(VALU_DEP_1) | instskip(NEXT) | instid1(VALU_DEP_1)
	v_dual_add_f32 v1, v1, v4 :: v_dual_add_f32 v2, v2, v159
	v_dual_sub_f32 v1, v30, v1 :: v_dual_sub_f32 v2, v31, v2
	scratch_store_b64 off, v[1:2], off offset:104
	v_cmpx_lt_u32_e32 12, v0
	s_cbranch_execz .LBB126_367
; %bb.366:
	scratch_load_b64 v[1:2], off, off offset:96
	v_mov_b32_e32 v26, v25
	scratch_store_b64 off, v[25:26], off offset:96
	s_wait_loadcnt 0x0
	ds_store_b64 v161, v[1:2]
.LBB126_367:
	s_wait_alu 0xfffe
	s_or_b32 exec_lo, exec_lo, s0
	s_wait_storecnt_dscnt 0x0
	s_barrier_signal -1
	s_barrier_wait -1
	global_inv scope:SCOPE_SE
	s_clause 0x4
	scratch_load_b128 v[5:8], off, off offset:104
	scratch_load_b128 v[1:4], off, off offset:120
	;; [unrolled: 1-line block ×5, first 2 shown]
	ds_load_2addr_b64 v[21:24], v25 offset0:77 offset1:78
	ds_load_2addr_b64 v[26:29], v25 offset0:79 offset1:80
	;; [unrolled: 1-line block ×3, first 2 shown]
	scratch_load_b64 v[30:31], off, off offset:96
	s_mov_b32 s0, exec_lo
	s_wait_loadcnt_dscnt 0x502
	v_dual_mul_f32 v32, v21, v6 :: v_dual_mul_f32 v159, v23, v8
	v_mul_f32_e32 v6, v22, v6
	v_mul_f32_e32 v8, v24, v8
	s_wait_loadcnt_dscnt 0x300
	v_mul_f32_e32 v160, v162, v10
	v_dual_fmac_f32 v32, v22, v5 :: v_dual_fmac_f32 v159, v24, v7
	v_fma_f32 v21, v21, v5, -v6
	v_fma_f32 v22, v23, v7, -v8
	ds_load_2addr_b64 v[5:8], v25 offset0:83 offset1:84
	v_dual_mul_f32 v23, v26, v2 :: v_dual_mul_f32 v24, v28, v4
	v_mul_f32_e32 v4, v29, v4
	v_mul_f32_e32 v10, v163, v10
	;; [unrolled: 1-line block ×5, first 2 shown]
	v_dual_fmac_f32 v23, v27, v1 :: v_dual_fmac_f32 v24, v29, v3
	v_fma_f32 v27, v28, v3, -v4
	v_fmac_f32_e32 v160, v163, v9
	v_fma_f32 v28, v162, v9, -v10
	v_fmac_f32_e32 v166, v165, v11
	v_fma_f32 v29, v164, v11, -v12
	ds_load_2addr_b64 v[9:12], v25 offset0:85 offset1:86
	s_wait_loadcnt_dscnt 0x201
	v_dual_mul_f32 v163, v7, v16 :: v_dual_mul_f32 v162, v5, v14
	v_mul_f32_e32 v14, v6, v14
	v_mul_f32_e32 v16, v8, v16
	s_delay_alu instid0(VALU_DEP_3)
	v_fmac_f32_e32 v163, v8, v15
	v_fma_f32 v26, v26, v1, -v2
	scratch_load_b128 v[1:4], off, off offset:184
	v_fmac_f32_e32 v162, v6, v13
	v_fma_f32 v13, v5, v13, -v14
	v_fma_f32 v14, v7, v15, -v16
	ds_load_2addr_b64 v[5:8], v25 offset0:87 offset1:88
	s_wait_loadcnt_dscnt 0x201
	v_mul_f32_e32 v15, v9, v18
	v_mul_f32_e32 v16, v10, v18
	;; [unrolled: 1-line block ×3, first 2 shown]
	s_delay_alu instid0(VALU_DEP_3) | instskip(NEXT) | instid1(VALU_DEP_3)
	v_dual_mul_f32 v20, v12, v20 :: v_dual_fmac_f32 v15, v10, v17
	v_fma_f32 v16, v9, v17, -v16
	s_delay_alu instid0(VALU_DEP_3) | instskip(NEXT) | instid1(VALU_DEP_3)
	v_fmac_f32_e32 v18, v12, v19
	v_fma_f32 v17, v11, v19, -v20
	scratch_load_b128 v[9:12], off, off offset:200
	s_wait_loadcnt_dscnt 0x100
	v_mul_f32_e32 v19, v5, v2
	v_mul_f32_e32 v2, v6, v2
	v_mul_f32_e32 v20, v7, v4
	s_delay_alu instid0(VALU_DEP_3) | instskip(NEXT) | instid1(VALU_DEP_3)
	v_dual_mul_f32 v4, v8, v4 :: v_dual_fmac_f32 v19, v6, v1
	v_fma_f32 v164, v5, v1, -v2
	s_delay_alu instid0(VALU_DEP_3) | instskip(NEXT) | instid1(VALU_DEP_3)
	v_fmac_f32_e32 v20, v8, v3
	v_fma_f32 v165, v7, v3, -v4
	ds_load_2addr_b64 v[1:4], v25 offset0:89 offset1:90
	ds_load_2addr_b64 v[5:8], v25 offset0:91 offset1:92
	s_wait_loadcnt_dscnt 0x1
	v_mul_f32_e32 v167, v1, v10
	v_mul_f32_e32 v10, v2, v10
	s_delay_alu instid0(VALU_DEP_2) | instskip(NEXT) | instid1(VALU_DEP_2)
	v_dual_mul_f32 v168, v3, v12 :: v_dual_fmac_f32 v167, v2, v9
	v_fma_f32 v169, v1, v9, -v10
	v_mul_f32_e32 v1, v4, v12
	s_delay_alu instid0(VALU_DEP_3) | instskip(NEXT) | instid1(VALU_DEP_2)
	v_fmac_f32_e32 v168, v4, v11
	v_fma_f32 v170, v3, v11, -v1
	s_clause 0x1
	scratch_load_b128 v[1:4], off, off offset:216
	scratch_load_b128 v[9:12], off, off offset:232
	s_wait_loadcnt_dscnt 0x100
	v_mul_f32_e32 v171, v5, v2
	v_dual_mul_f32 v2, v6, v2 :: v_dual_mul_f32 v173, v7, v4
	s_delay_alu instid0(VALU_DEP_2) | instskip(NEXT) | instid1(VALU_DEP_2)
	v_fmac_f32_e32 v171, v6, v1
	v_fma_f32 v172, v5, v1, -v2
	v_mul_f32_e32 v1, v8, v4
	s_delay_alu instid0(VALU_DEP_4) | instskip(NEXT) | instid1(VALU_DEP_2)
	v_fmac_f32_e32 v173, v8, v3
	v_fma_f32 v174, v7, v3, -v1
	ds_load_2addr_b64 v[1:4], v25 offset0:93 offset1:94
	ds_load_2addr_b64 v[5:8], v25 offset0:95 offset1:96
	s_wait_loadcnt_dscnt 0x1
	v_mul_f32_e32 v175, v1, v10
	v_mul_f32_e32 v177, v3, v12
	s_delay_alu instid0(VALU_DEP_2) | instskip(NEXT) | instid1(VALU_DEP_2)
	v_fmac_f32_e32 v175, v2, v9
	v_dual_mul_f32 v2, v2, v10 :: v_dual_fmac_f32 v177, v4, v11
	s_delay_alu instid0(VALU_DEP_1) | instskip(SKIP_1) | instid1(VALU_DEP_1)
	v_fma_f32 v176, v1, v9, -v2
	v_mul_f32_e32 v1, v4, v12
	v_fma_f32 v178, v3, v11, -v1
	s_clause 0x1
	scratch_load_b128 v[1:4], off, off offset:248
	scratch_load_b128 v[9:12], off, off offset:264
	s_wait_loadcnt_dscnt 0x100
	v_mul_f32_e32 v179, v5, v2
	v_dual_mul_f32 v2, v6, v2 :: v_dual_mul_f32 v181, v7, v4
	s_delay_alu instid0(VALU_DEP_2) | instskip(NEXT) | instid1(VALU_DEP_2)
	v_fmac_f32_e32 v179, v6, v1
	v_fma_f32 v180, v5, v1, -v2
	v_mul_f32_e32 v1, v8, v4
	s_delay_alu instid0(VALU_DEP_4) | instskip(NEXT) | instid1(VALU_DEP_2)
	v_fmac_f32_e32 v181, v8, v3
	v_fma_f32 v182, v7, v3, -v1
	ds_load_2addr_b64 v[1:4], v25 offset0:97 offset1:98
	ds_load_2addr_b64 v[5:8], v25 offset0:99 offset1:100
	s_wait_loadcnt_dscnt 0x1
	v_mul_f32_e32 v183, v1, v10
	v_mul_f32_e32 v185, v3, v12
	s_delay_alu instid0(VALU_DEP_2) | instskip(NEXT) | instid1(VALU_DEP_2)
	v_fmac_f32_e32 v183, v2, v9
	v_dual_mul_f32 v2, v2, v10 :: v_dual_fmac_f32 v185, v4, v11
	s_delay_alu instid0(VALU_DEP_1) | instskip(SKIP_1) | instid1(VALU_DEP_1)
	v_fma_f32 v184, v1, v9, -v2
	v_mul_f32_e32 v1, v4, v12
	;; [unrolled: 25-line block ×6, first 2 shown]
	v_fma_f32 v218, v3, v11, -v1
	s_clause 0x1
	scratch_load_b128 v[1:4], off, off offset:408
	scratch_load_b128 v[9:12], off, off offset:424
	s_wait_loadcnt_dscnt 0x100
	v_mul_f32_e32 v219, v5, v2
	v_mul_f32_e32 v2, v6, v2
	s_delay_alu instid0(VALU_DEP_2) | instskip(NEXT) | instid1(VALU_DEP_2)
	v_fmac_f32_e32 v219, v6, v1
	v_fma_f32 v220, v5, v1, -v2
	v_add_f32_e32 v2, 0, v32
	s_delay_alu instid0(VALU_DEP_1) | instskip(NEXT) | instid1(VALU_DEP_1)
	v_add_f32_e32 v2, v2, v159
	v_add_f32_e32 v2, v2, v23
	s_delay_alu instid0(VALU_DEP_1) | instskip(NEXT) | instid1(VALU_DEP_1)
	v_add_f32_e32 v2, v2, v24
	v_add_f32_e32 v2, v2, v160
	s_delay_alu instid0(VALU_DEP_1) | instskip(NEXT) | instid1(VALU_DEP_1)
	v_dual_mul_f32 v1, v8, v4 :: v_dual_add_f32 v2, v2, v166
	v_fma_f32 v222, v7, v3, -v1
	s_delay_alu instid0(VALU_DEP_2) | instskip(NEXT) | instid1(VALU_DEP_1)
	v_dual_add_f32 v1, 0, v21 :: v_dual_add_f32 v2, v2, v162
	v_dual_add_f32 v1, v1, v22 :: v_dual_add_f32 v2, v2, v163
	s_delay_alu instid0(VALU_DEP_1) | instskip(NEXT) | instid1(VALU_DEP_1)
	v_dual_add_f32 v1, v1, v26 :: v_dual_add_f32 v2, v2, v15
	v_dual_add_f32 v1, v1, v27 :: v_dual_add_f32 v2, v2, v18
	s_delay_alu instid0(VALU_DEP_1) | instskip(NEXT) | instid1(VALU_DEP_1)
	;; [unrolled: 3-line block ×4, first 2 shown]
	v_dual_add_f32 v1, v1, v16 :: v_dual_add_f32 v2, v2, v171
	v_add_f32_e32 v1, v1, v17
	s_delay_alu instid0(VALU_DEP_2) | instskip(NEXT) | instid1(VALU_DEP_1)
	v_add_f32_e32 v2, v2, v173
	v_add_f32_e32 v2, v2, v175
	s_delay_alu instid0(VALU_DEP_1) | instskip(NEXT) | instid1(VALU_DEP_1)
	v_add_f32_e32 v2, v2, v177
	v_add_f32_e32 v2, v2, v179
	s_delay_alu instid0(VALU_DEP_1) | instskip(NEXT) | instid1(VALU_DEP_1)
	;; [unrolled: 3-line block ×3, first 2 shown]
	v_dual_add_f32 v2, v2, v185 :: v_dual_add_f32 v1, v1, v164
	v_add_f32_e32 v1, v1, v165
	s_delay_alu instid0(VALU_DEP_1) | instskip(NEXT) | instid1(VALU_DEP_1)
	v_add_f32_e32 v1, v1, v169
	v_add_f32_e32 v1, v1, v170
	s_delay_alu instid0(VALU_DEP_1) | instskip(NEXT) | instid1(VALU_DEP_1)
	v_add_f32_e32 v1, v1, v172
	;; [unrolled: 3-line block ×7, first 2 shown]
	v_add_f32_e32 v1, v1, v194
	s_delay_alu instid0(VALU_DEP_1) | instskip(SKIP_1) | instid1(VALU_DEP_2)
	v_add_f32_e32 v6, v1, v196
	v_add_f32_e32 v2, v2, v187
	;; [unrolled: 1-line block ×3, first 2 shown]
	s_delay_alu instid0(VALU_DEP_2) | instskip(NEXT) | instid1(VALU_DEP_2)
	v_dual_add_f32 v2, v2, v189 :: v_dual_mul_f32 v221, v7, v4
	v_add_f32_e32 v14, v14, v200
	s_delay_alu instid0(VALU_DEP_2) | instskip(NEXT) | instid1(VALU_DEP_3)
	v_add_f32_e32 v2, v2, v191
	v_fmac_f32_e32 v221, v8, v3
	s_delay_alu instid0(VALU_DEP_3) | instskip(NEXT) | instid1(VALU_DEP_3)
	v_add_f32_e32 v17, v14, v202
	v_add_f32_e32 v5, v2, v193
	ds_load_2addr_b64 v[1:4], v25 offset0:117 offset1:118
	v_add_f32_e32 v17, v17, v204
	v_add_f32_e32 v13, v5, v195
	scratch_load_b128 v[5:8], off, off offset:440
	v_add_f32_e32 v17, v17, v206
	v_add_f32_e32 v13, v13, v197
	s_delay_alu instid0(VALU_DEP_2) | instskip(NEXT) | instid1(VALU_DEP_1)
	v_add_f32_e32 v17, v17, v208
	v_add_f32_e32 v22, v17, v210
	s_delay_alu instid0(VALU_DEP_1) | instskip(NEXT) | instid1(VALU_DEP_1)
	v_dual_add_f32 v13, v13, v199 :: v_dual_add_f32 v22, v22, v212
	v_add_f32_e32 v18, v13, v201
	ds_load_2addr_b64 v[13:16], v25 offset0:119 offset1:120
	s_wait_loadcnt_dscnt 0x101
	v_mul_f32_e32 v26, v1, v10
	v_dual_mul_f32 v10, v2, v10 :: v_dual_mul_f32 v27, v3, v12
	v_mul_f32_e32 v12, v4, v12
	v_add_f32_e32 v22, v22, v214
	s_delay_alu instid0(VALU_DEP_4) | instskip(NEXT) | instid1(VALU_DEP_4)
	v_fmac_f32_e32 v26, v2, v9
	v_fma_f32 v28, v1, v9, -v10
	v_fmac_f32_e32 v27, v4, v11
	v_fma_f32 v29, v3, v11, -v12
	s_clause 0x1
	scratch_load_b128 v[1:4], off, off offset:456
	scratch_load_b128 v[9:12], off, off offset:472
	s_wait_loadcnt_dscnt 0x200
	v_mul_f32_e32 v32, v13, v6
	v_dual_add_f32 v18, v18, v203 :: v_dual_mul_f32 v159, v15, v8
	v_mul_f32_e32 v8, v16, v8
	v_mul_f32_e32 v6, v14, v6
	s_delay_alu instid0(VALU_DEP_4) | instskip(NEXT) | instid1(VALU_DEP_4)
	v_fmac_f32_e32 v32, v14, v5
	v_dual_add_f32 v18, v18, v205 :: v_dual_fmac_f32 v159, v16, v7
	s_delay_alu instid0(VALU_DEP_4) | instskip(NEXT) | instid1(VALU_DEP_4)
	v_fma_f32 v162, v15, v7, -v8
	v_fma_f32 v160, v13, v5, -v6
	ds_load_2addr_b64 v[5:8], v25 offset0:121 offset1:122
	v_add_f32_e32 v21, v18, v207
	scratch_load_b128 v[17:20], off, off offset:488
	v_add_f32_e32 v21, v21, v209
	s_delay_alu instid0(VALU_DEP_1) | instskip(NEXT) | instid1(VALU_DEP_1)
	v_add_f32_e32 v21, v21, v211
	v_add_f32_e32 v13, v21, v213
	s_delay_alu instid0(VALU_DEP_1) | instskip(NEXT) | instid1(VALU_DEP_1)
	v_dual_add_f32 v21, v22, v216 :: v_dual_add_f32 v22, v13, v215
	v_add_f32_e32 v163, v21, v218
	ds_load_2addr_b64 v[13:16], v25 offset0:123 offset1:124
	v_add_f32_e32 v164, v22, v217
	ds_load_2addr_b64 v[21:24], v25 offset0:125 offset1:126
	v_add_f32_e32 v25, v163, v220
	s_wait_loadcnt_dscnt 0x202
	v_dual_add_f32 v163, v164, v219 :: v_dual_mul_f32 v164, v5, v2
	s_delay_alu instid0(VALU_DEP_2) | instskip(NEXT) | instid1(VALU_DEP_2)
	v_add_f32_e32 v25, v25, v222
	v_dual_mul_f32 v2, v6, v2 :: v_dual_add_f32 v163, v163, v221
	s_delay_alu instid0(VALU_DEP_2) | instskip(SKIP_2) | instid1(VALU_DEP_4)
	v_dual_fmac_f32 v164, v6, v1 :: v_dual_add_f32 v25, v25, v28
	v_mul_f32_e32 v28, v7, v4
	v_mul_f32_e32 v4, v8, v4
	v_add_f32_e32 v26, v163, v26
	v_fma_f32 v2, v5, v1, -v2
	v_add_f32_e32 v25, v25, v29
	s_wait_loadcnt_dscnt 0x101
	v_mul_f32_e32 v163, v13, v10
	v_mul_f32_e32 v6, v14, v10
	v_add_f32_e32 v26, v26, v27
	v_dual_fmac_f32 v28, v8, v3 :: v_dual_add_f32 v25, v25, v160
	v_fma_f32 v3, v7, v3, -v4
	v_mul_f32_e32 v165, v15, v12
	s_delay_alu instid0(VALU_DEP_4) | instskip(NEXT) | instid1(VALU_DEP_4)
	v_add_f32_e32 v26, v26, v32
	v_dual_mul_f32 v4, v16, v12 :: v_dual_add_f32 v1, v25, v162
	v_fmac_f32_e32 v163, v14, v9
	s_delay_alu instid0(VALU_DEP_4) | instskip(NEXT) | instid1(VALU_DEP_4)
	v_fmac_f32_e32 v165, v16, v11
	v_add_f32_e32 v5, v26, v159
	s_delay_alu instid0(VALU_DEP_4) | instskip(SKIP_1) | instid1(VALU_DEP_3)
	v_fma_f32 v4, v15, v11, -v4
	v_add_f32_e32 v1, v1, v2
	v_add_f32_e32 v2, v5, v164
	v_fma_f32 v5, v13, v9, -v6
	s_delay_alu instid0(VALU_DEP_2) | instskip(NEXT) | instid1(VALU_DEP_1)
	v_dual_add_f32 v1, v1, v3 :: v_dual_add_f32 v2, v2, v28
	v_dual_add_f32 v1, v1, v5 :: v_dual_add_f32 v2, v2, v163
	s_delay_alu instid0(VALU_DEP_1)
	v_dual_add_f32 v1, v1, v4 :: v_dual_add_f32 v2, v2, v165
	s_wait_loadcnt_dscnt 0x0
	v_mul_f32_e32 v27, v21, v18
	v_mul_f32_e32 v3, v22, v18
	;; [unrolled: 1-line block ×4, first 2 shown]
	s_delay_alu instid0(VALU_DEP_4) | instskip(NEXT) | instid1(VALU_DEP_4)
	v_fmac_f32_e32 v27, v22, v17
	v_fma_f32 v3, v21, v17, -v3
	s_delay_alu instid0(VALU_DEP_4) | instskip(NEXT) | instid1(VALU_DEP_4)
	v_fmac_f32_e32 v29, v24, v19
	v_fma_f32 v4, v23, v19, -v5
	s_delay_alu instid0(VALU_DEP_4) | instskip(NEXT) | instid1(VALU_DEP_1)
	v_add_f32_e32 v2, v2, v27
	v_dual_add_f32 v1, v1, v3 :: v_dual_add_f32 v2, v2, v29
	s_delay_alu instid0(VALU_DEP_1) | instskip(NEXT) | instid1(VALU_DEP_1)
	v_dual_add_f32 v1, v1, v4 :: v_dual_sub_f32 v2, v31, v2
	v_sub_f32_e32 v1, v30, v1
	scratch_store_b64 off, v[1:2], off offset:96
	v_cmpx_lt_u32_e32 11, v0
	s_cbranch_execz .LBB126_369
; %bb.368:
	scratch_load_b64 v[1:2], off, off offset:88
	v_mov_b32_e32 v3, 0
	s_delay_alu instid0(VALU_DEP_1)
	v_mov_b32_e32 v4, v3
	scratch_store_b64 off, v[3:4], off offset:88
	s_wait_loadcnt 0x0
	ds_store_b64 v161, v[1:2]
.LBB126_369:
	s_wait_alu 0xfffe
	s_or_b32 exec_lo, exec_lo, s0
	s_wait_storecnt_dscnt 0x0
	s_barrier_signal -1
	s_barrier_wait -1
	global_inv scope:SCOPE_SE
	s_clause 0x4
	scratch_load_b128 v[5:8], off, off offset:96
	scratch_load_b128 v[1:4], off, off offset:112
	;; [unrolled: 1-line block ×5, first 2 shown]
	v_mov_b32_e32 v25, 0
	ds_load_b128 v[21:24], v25 offset:608
	ds_load_b128 v[26:29], v25 offset:624
	;; [unrolled: 1-line block ×3, first 2 shown]
	scratch_load_b64 v[30:31], off, off offset:88
	s_mov_b32 s0, exec_lo
	s_wait_loadcnt_dscnt 0x502
	v_dual_mul_f32 v32, v21, v6 :: v_dual_mul_f32 v159, v23, v8
	v_mul_f32_e32 v6, v22, v6
	v_mul_f32_e32 v8, v24, v8
	s_wait_loadcnt_dscnt 0x300
	v_mul_f32_e32 v166, v164, v12
	v_dual_fmac_f32 v32, v22, v5 :: v_dual_fmac_f32 v159, v24, v7
	v_fma_f32 v21, v21, v5, -v6
	v_fma_f32 v22, v23, v7, -v8
	ds_load_b128 v[5:8], v25 offset:656
	v_dual_mul_f32 v23, v26, v2 :: v_dual_mul_f32 v24, v28, v4
	v_mul_f32_e32 v4, v29, v4
	v_mul_f32_e32 v160, v162, v10
	;; [unrolled: 1-line block ×5, first 2 shown]
	v_dual_fmac_f32 v23, v27, v1 :: v_dual_fmac_f32 v24, v29, v3
	v_fma_f32 v27, v28, v3, -v4
	v_fmac_f32_e32 v160, v163, v9
	v_fma_f32 v28, v162, v9, -v10
	v_fmac_f32_e32 v166, v165, v11
	v_fma_f32 v29, v164, v11, -v12
	ds_load_b128 v[9:12], v25 offset:672
	s_wait_loadcnt_dscnt 0x201
	v_dual_mul_f32 v163, v7, v16 :: v_dual_mul_f32 v162, v5, v14
	v_mul_f32_e32 v14, v6, v14
	v_mul_f32_e32 v16, v8, v16
	s_delay_alu instid0(VALU_DEP_3)
	v_fmac_f32_e32 v163, v8, v15
	v_fma_f32 v26, v26, v1, -v2
	scratch_load_b128 v[1:4], off, off offset:176
	v_fmac_f32_e32 v162, v6, v13
	v_fma_f32 v13, v5, v13, -v14
	v_fma_f32 v14, v7, v15, -v16
	ds_load_b128 v[5:8], v25 offset:688
	s_wait_loadcnt_dscnt 0x201
	v_mul_f32_e32 v15, v9, v18
	v_mul_f32_e32 v16, v10, v18
	;; [unrolled: 1-line block ×3, first 2 shown]
	s_delay_alu instid0(VALU_DEP_3) | instskip(NEXT) | instid1(VALU_DEP_3)
	v_dual_mul_f32 v20, v12, v20 :: v_dual_fmac_f32 v15, v10, v17
	v_fma_f32 v16, v9, v17, -v16
	s_delay_alu instid0(VALU_DEP_3) | instskip(NEXT) | instid1(VALU_DEP_3)
	v_fmac_f32_e32 v18, v12, v19
	v_fma_f32 v17, v11, v19, -v20
	scratch_load_b128 v[9:12], off, off offset:192
	s_wait_loadcnt_dscnt 0x100
	v_mul_f32_e32 v19, v5, v2
	v_mul_f32_e32 v2, v6, v2
	;; [unrolled: 1-line block ×3, first 2 shown]
	s_delay_alu instid0(VALU_DEP_3) | instskip(NEXT) | instid1(VALU_DEP_3)
	v_dual_mul_f32 v4, v8, v4 :: v_dual_fmac_f32 v19, v6, v1
	v_fma_f32 v164, v5, v1, -v2
	s_delay_alu instid0(VALU_DEP_3) | instskip(NEXT) | instid1(VALU_DEP_3)
	v_fmac_f32_e32 v20, v8, v3
	v_fma_f32 v165, v7, v3, -v4
	ds_load_b128 v[1:4], v25 offset:704
	ds_load_b128 v[5:8], v25 offset:720
	s_wait_loadcnt_dscnt 0x1
	v_mul_f32_e32 v167, v1, v10
	v_mul_f32_e32 v10, v2, v10
	s_delay_alu instid0(VALU_DEP_2) | instskip(NEXT) | instid1(VALU_DEP_2)
	v_dual_mul_f32 v168, v3, v12 :: v_dual_fmac_f32 v167, v2, v9
	v_fma_f32 v169, v1, v9, -v10
	v_mul_f32_e32 v1, v4, v12
	s_delay_alu instid0(VALU_DEP_3) | instskip(NEXT) | instid1(VALU_DEP_2)
	v_fmac_f32_e32 v168, v4, v11
	v_fma_f32 v170, v3, v11, -v1
	s_clause 0x1
	scratch_load_b128 v[1:4], off, off offset:208
	scratch_load_b128 v[9:12], off, off offset:224
	s_wait_loadcnt_dscnt 0x100
	v_mul_f32_e32 v171, v5, v2
	v_dual_mul_f32 v2, v6, v2 :: v_dual_mul_f32 v173, v7, v4
	s_delay_alu instid0(VALU_DEP_2) | instskip(NEXT) | instid1(VALU_DEP_2)
	v_fmac_f32_e32 v171, v6, v1
	v_fma_f32 v172, v5, v1, -v2
	v_mul_f32_e32 v1, v8, v4
	s_delay_alu instid0(VALU_DEP_4) | instskip(NEXT) | instid1(VALU_DEP_2)
	v_fmac_f32_e32 v173, v8, v3
	v_fma_f32 v174, v7, v3, -v1
	ds_load_b128 v[1:4], v25 offset:736
	ds_load_b128 v[5:8], v25 offset:752
	s_wait_loadcnt_dscnt 0x1
	v_mul_f32_e32 v175, v1, v10
	v_mul_f32_e32 v177, v3, v12
	s_delay_alu instid0(VALU_DEP_2) | instskip(NEXT) | instid1(VALU_DEP_2)
	v_fmac_f32_e32 v175, v2, v9
	v_dual_mul_f32 v2, v2, v10 :: v_dual_fmac_f32 v177, v4, v11
	s_delay_alu instid0(VALU_DEP_1) | instskip(SKIP_1) | instid1(VALU_DEP_1)
	v_fma_f32 v176, v1, v9, -v2
	v_mul_f32_e32 v1, v4, v12
	v_fma_f32 v178, v3, v11, -v1
	s_clause 0x1
	scratch_load_b128 v[1:4], off, off offset:240
	scratch_load_b128 v[9:12], off, off offset:256
	s_wait_loadcnt_dscnt 0x100
	v_mul_f32_e32 v179, v5, v2
	v_dual_mul_f32 v2, v6, v2 :: v_dual_mul_f32 v181, v7, v4
	s_delay_alu instid0(VALU_DEP_2) | instskip(NEXT) | instid1(VALU_DEP_2)
	v_fmac_f32_e32 v179, v6, v1
	v_fma_f32 v180, v5, v1, -v2
	v_mul_f32_e32 v1, v8, v4
	s_delay_alu instid0(VALU_DEP_4) | instskip(NEXT) | instid1(VALU_DEP_2)
	v_fmac_f32_e32 v181, v8, v3
	v_fma_f32 v182, v7, v3, -v1
	ds_load_b128 v[1:4], v25 offset:768
	ds_load_b128 v[5:8], v25 offset:784
	s_wait_loadcnt_dscnt 0x1
	v_mul_f32_e32 v183, v1, v10
	v_mul_f32_e32 v185, v3, v12
	s_delay_alu instid0(VALU_DEP_2) | instskip(NEXT) | instid1(VALU_DEP_2)
	v_fmac_f32_e32 v183, v2, v9
	v_dual_mul_f32 v2, v2, v10 :: v_dual_fmac_f32 v185, v4, v11
	s_delay_alu instid0(VALU_DEP_1) | instskip(SKIP_1) | instid1(VALU_DEP_1)
	v_fma_f32 v184, v1, v9, -v2
	v_mul_f32_e32 v1, v4, v12
	;; [unrolled: 25-line block ×6, first 2 shown]
	v_fma_f32 v218, v3, v11, -v1
	s_clause 0x1
	scratch_load_b128 v[1:4], off, off offset:400
	scratch_load_b128 v[9:12], off, off offset:416
	s_wait_loadcnt_dscnt 0x100
	v_mul_f32_e32 v219, v5, v2
	v_mul_f32_e32 v2, v6, v2
	s_delay_alu instid0(VALU_DEP_2) | instskip(NEXT) | instid1(VALU_DEP_2)
	v_fmac_f32_e32 v219, v6, v1
	v_fma_f32 v220, v5, v1, -v2
	v_add_f32_e32 v2, 0, v32
	s_delay_alu instid0(VALU_DEP_1) | instskip(NEXT) | instid1(VALU_DEP_1)
	v_add_f32_e32 v2, v2, v159
	v_add_f32_e32 v2, v2, v23
	s_delay_alu instid0(VALU_DEP_1) | instskip(NEXT) | instid1(VALU_DEP_1)
	v_add_f32_e32 v2, v2, v24
	;; [unrolled: 3-line block ×3, first 2 shown]
	v_dual_add_f32 v2, v2, v162 :: v_dual_mul_f32 v1, v8, v4
	s_delay_alu instid0(VALU_DEP_1) | instskip(NEXT) | instid1(VALU_DEP_2)
	v_add_f32_e32 v2, v2, v163
	v_fma_f32 v222, v7, v3, -v1
	s_delay_alu instid0(VALU_DEP_2) | instskip(NEXT) | instid1(VALU_DEP_1)
	v_dual_add_f32 v1, 0, v21 :: v_dual_add_f32 v2, v2, v15
	v_add_f32_e32 v1, v1, v22
	s_delay_alu instid0(VALU_DEP_2) | instskip(NEXT) | instid1(VALU_DEP_1)
	v_add_f32_e32 v2, v2, v18
	v_dual_add_f32 v1, v1, v26 :: v_dual_add_f32 v2, v2, v19
	s_delay_alu instid0(VALU_DEP_1) | instskip(SKIP_2) | instid1(VALU_DEP_1)
	v_dual_add_f32 v2, v2, v20 :: v_dual_add_f32 v1, v1, v27
	scratch_load_b64 v[26:27], off, off offset:496
	v_dual_add_f32 v2, v2, v167 :: v_dual_add_f32 v1, v1, v28
	v_dual_add_f32 v2, v2, v168 :: v_dual_add_f32 v1, v1, v29
	s_delay_alu instid0(VALU_DEP_1) | instskip(NEXT) | instid1(VALU_DEP_1)
	v_dual_add_f32 v2, v2, v171 :: v_dual_add_f32 v1, v1, v13
	v_dual_add_f32 v2, v2, v173 :: v_dual_add_f32 v1, v1, v14
	s_delay_alu instid0(VALU_DEP_1) | instskip(NEXT) | instid1(VALU_DEP_1)
	v_dual_add_f32 v2, v2, v175 :: v_dual_add_f32 v1, v1, v16
	v_add_f32_e32 v2, v2, v177
	s_delay_alu instid0(VALU_DEP_1) | instskip(NEXT) | instid1(VALU_DEP_1)
	v_dual_add_f32 v1, v1, v17 :: v_dual_add_f32 v2, v2, v179
	v_dual_add_f32 v1, v1, v164 :: v_dual_add_f32 v2, v2, v181
	s_delay_alu instid0(VALU_DEP_1) | instskip(NEXT) | instid1(VALU_DEP_1)
	v_dual_add_f32 v1, v1, v165 :: v_dual_add_f32 v2, v2, v183
	v_add_f32_e32 v1, v1, v169
	s_delay_alu instid0(VALU_DEP_1) | instskip(NEXT) | instid1(VALU_DEP_1)
	v_dual_add_f32 v2, v2, v185 :: v_dual_add_f32 v1, v1, v170
	v_add_f32_e32 v1, v1, v172
	s_delay_alu instid0(VALU_DEP_1) | instskip(NEXT) | instid1(VALU_DEP_1)
	v_add_f32_e32 v1, v1, v174
	v_add_f32_e32 v1, v1, v176
	s_delay_alu instid0(VALU_DEP_1) | instskip(NEXT) | instid1(VALU_DEP_1)
	v_add_f32_e32 v1, v1, v178
	;; [unrolled: 3-line block ×6, first 2 shown]
	v_add_f32_e32 v6, v1, v196
	v_dual_add_f32 v2, v2, v187 :: v_dual_mul_f32 v221, v7, v4
	s_delay_alu instid0(VALU_DEP_2) | instskip(NEXT) | instid1(VALU_DEP_2)
	v_add_f32_e32 v14, v6, v198
	v_dual_add_f32 v2, v2, v189 :: v_dual_fmac_f32 v221, v8, v3
	s_delay_alu instid0(VALU_DEP_2) | instskip(NEXT) | instid1(VALU_DEP_2)
	v_add_f32_e32 v14, v14, v200
	v_add_f32_e32 v2, v2, v191
	s_delay_alu instid0(VALU_DEP_2) | instskip(NEXT) | instid1(VALU_DEP_2)
	v_add_f32_e32 v17, v14, v202
	v_add_f32_e32 v5, v2, v193
	scratch_load_b128 v[1:4], off, off offset:432
	v_add_f32_e32 v17, v17, v204
	v_add_f32_e32 v13, v5, v195
	ds_load_b128 v[5:8], v25 offset:928
	v_add_f32_e32 v17, v17, v206
	v_add_f32_e32 v13, v13, v197
	s_delay_alu instid0(VALU_DEP_2) | instskip(NEXT) | instid1(VALU_DEP_1)
	v_add_f32_e32 v17, v17, v208
	v_add_f32_e32 v22, v17, v210
	s_delay_alu instid0(VALU_DEP_1) | instskip(NEXT) | instid1(VALU_DEP_1)
	v_dual_add_f32 v13, v13, v199 :: v_dual_add_f32 v22, v22, v212
	v_add_f32_e32 v18, v13, v201
	ds_load_b128 v[13:16], v25 offset:944
	s_wait_loadcnt_dscnt 0x201
	v_mul_f32_e32 v32, v5, v10
	v_dual_mul_f32 v10, v6, v10 :: v_dual_mul_f32 v159, v7, v12
	v_mul_f32_e32 v12, v8, v12
	v_add_f32_e32 v22, v22, v214
	s_delay_alu instid0(VALU_DEP_4) | instskip(NEXT) | instid1(VALU_DEP_4)
	v_fmac_f32_e32 v32, v6, v9
	v_fma_f32 v160, v5, v9, -v10
	v_fmac_f32_e32 v159, v8, v11
	v_fma_f32 v162, v7, v11, -v12
	s_clause 0x1
	scratch_load_b128 v[5:8], off, off offset:448
	scratch_load_b128 v[9:12], off, off offset:464
	v_add_f32_e32 v22, v22, v216
	s_wait_loadcnt_dscnt 0x200
	v_mul_f32_e32 v164, v15, v4
	v_add_f32_e32 v18, v18, v203
	v_dual_mul_f32 v4, v16, v4 :: v_dual_mul_f32 v163, v13, v2
	v_mul_f32_e32 v2, v14, v2
	s_delay_alu instid0(VALU_DEP_4) | instskip(NEXT) | instid1(VALU_DEP_4)
	v_fmac_f32_e32 v164, v16, v3
	v_add_f32_e32 v18, v18, v205
	s_delay_alu instid0(VALU_DEP_4)
	v_fma_f32 v166, v15, v3, -v4
	v_fmac_f32_e32 v163, v14, v1
	v_add_f32_e32 v14, v22, v218
	v_fma_f32 v165, v13, v1, -v2
	v_add_f32_e32 v21, v18, v207
	scratch_load_b128 v[17:20], off, off offset:480
	ds_load_b128 v[1:4], v25 offset:960
	v_dual_add_f32 v28, v14, v220 :: v_dual_add_f32 v21, v21, v209
	s_delay_alu instid0(VALU_DEP_1) | instskip(NEXT) | instid1(VALU_DEP_1)
	v_add_f32_e32 v167, v28, v222
	v_dual_add_f32 v21, v21, v211 :: v_dual_add_f32 v160, v167, v160
	s_delay_alu instid0(VALU_DEP_1) | instskip(NEXT) | instid1(VALU_DEP_1)
	v_dual_add_f32 v21, v21, v213 :: v_dual_add_f32 v160, v160, v162
	v_dual_add_f32 v13, v21, v215 :: v_dual_add_f32 v160, v160, v165
	s_delay_alu instid0(VALU_DEP_1)
	v_add_f32_e32 v21, v13, v217
	ds_load_b128 v[13:16], v25 offset:976
	s_wait_loadcnt_dscnt 0x201
	v_mul_f32_e32 v167, v1, v6
	v_mul_f32_e32 v6, v2, v6
	v_dual_add_f32 v160, v160, v166 :: v_dual_add_f32 v29, v21, v219
	ds_load_b128 v[21:24], v25 offset:992
	v_fmac_f32_e32 v167, v2, v5
	v_fma_f32 v1, v1, v5, -v6
	v_add_f32_e32 v168, v29, v221
	ds_load_b64 v[28:29], v25 offset:1008
	v_add_f32_e32 v1, v160, v1
	v_add_f32_e32 v32, v168, v32
	s_delay_alu instid0(VALU_DEP_1) | instskip(SKIP_3) | instid1(VALU_DEP_3)
	v_dual_add_f32 v32, v32, v159 :: v_dual_mul_f32 v159, v3, v8
	v_mul_f32_e32 v8, v4, v8
	s_wait_loadcnt_dscnt 0x102
	v_dual_mul_f32 v162, v13, v10 :: v_dual_mul_f32 v5, v16, v12
	v_add_f32_e32 v32, v32, v163
	v_fmac_f32_e32 v159, v4, v7
	v_fma_f32 v2, v3, v7, -v8
	v_mul_f32_e32 v3, v14, v10
	v_mul_f32_e32 v163, v15, v12
	v_add_f32_e32 v32, v32, v164
	s_delay_alu instid0(VALU_DEP_4) | instskip(NEXT) | instid1(VALU_DEP_4)
	v_dual_fmac_f32 v162, v14, v9 :: v_dual_add_f32 v1, v1, v2
	v_fma_f32 v3, v13, v9, -v3
	s_delay_alu instid0(VALU_DEP_4) | instskip(NEXT) | instid1(VALU_DEP_4)
	v_fmac_f32_e32 v163, v16, v11
	v_add_f32_e32 v4, v32, v167
	v_fma_f32 v5, v15, v11, -v5
	s_wait_dscnt 0x0
	v_mul_f32_e32 v164, v28, v27
	v_add_f32_e32 v1, v1, v3
	v_add_f32_e32 v2, v4, v159
	s_delay_alu instid0(VALU_DEP_3) | instskip(NEXT) | instid1(VALU_DEP_3)
	v_fmac_f32_e32 v164, v29, v26
	v_add_f32_e32 v1, v1, v5
	s_delay_alu instid0(VALU_DEP_3) | instskip(SKIP_1) | instid1(VALU_DEP_1)
	v_dual_mul_f32 v5, v29, v27 :: v_dual_add_f32 v2, v2, v162
	s_wait_loadcnt 0x0
	v_dual_add_f32 v2, v2, v163 :: v_dual_mul_f32 v165, v21, v18
	v_mul_f32_e32 v4, v22, v18
	v_mul_f32_e32 v166, v23, v20
	v_mul_f32_e32 v3, v24, v20
	s_delay_alu instid0(VALU_DEP_4) | instskip(NEXT) | instid1(VALU_DEP_4)
	v_fmac_f32_e32 v165, v22, v17
	v_fma_f32 v4, v21, v17, -v4
	s_delay_alu instid0(VALU_DEP_4) | instskip(NEXT) | instid1(VALU_DEP_4)
	v_fmac_f32_e32 v166, v24, v19
	v_fma_f32 v3, v23, v19, -v3
	s_delay_alu instid0(VALU_DEP_3) | instskip(SKIP_1) | instid1(VALU_DEP_2)
	v_dual_add_f32 v2, v2, v165 :: v_dual_add_f32 v1, v1, v4
	v_fma_f32 v4, v28, v26, -v5
	v_dual_add_f32 v2, v2, v166 :: v_dual_add_f32 v1, v1, v3
	s_delay_alu instid0(VALU_DEP_1) | instskip(NEXT) | instid1(VALU_DEP_1)
	v_add_f32_e32 v2, v2, v164
	v_dual_add_f32 v1, v1, v4 :: v_dual_sub_f32 v2, v31, v2
	s_delay_alu instid0(VALU_DEP_1)
	v_sub_f32_e32 v1, v30, v1
	scratch_store_b64 off, v[1:2], off offset:88
	v_cmpx_lt_u32_e32 10, v0
	s_cbranch_execz .LBB126_371
; %bb.370:
	scratch_load_b64 v[1:2], off, off offset:80
	v_mov_b32_e32 v26, v25
	scratch_store_b64 off, v[25:26], off offset:80
	s_wait_loadcnt 0x0
	ds_store_b64 v161, v[1:2]
.LBB126_371:
	s_wait_alu 0xfffe
	s_or_b32 exec_lo, exec_lo, s0
	s_wait_storecnt_dscnt 0x0
	s_barrier_signal -1
	s_barrier_wait -1
	global_inv scope:SCOPE_SE
	s_clause 0x4
	scratch_load_b128 v[5:8], off, off offset:88
	scratch_load_b128 v[1:4], off, off offset:104
	;; [unrolled: 1-line block ×5, first 2 shown]
	ds_load_2addr_b64 v[21:24], v25 offset0:75 offset1:76
	ds_load_2addr_b64 v[26:29], v25 offset0:77 offset1:78
	;; [unrolled: 1-line block ×3, first 2 shown]
	scratch_load_b64 v[30:31], off, off offset:80
	s_mov_b32 s0, exec_lo
	s_wait_loadcnt_dscnt 0x502
	v_dual_mul_f32 v32, v21, v6 :: v_dual_mul_f32 v159, v23, v8
	v_mul_f32_e32 v6, v22, v6
	v_mul_f32_e32 v8, v24, v8
	s_wait_loadcnt_dscnt 0x300
	v_mul_f32_e32 v160, v162, v10
	v_dual_fmac_f32 v32, v22, v5 :: v_dual_fmac_f32 v159, v24, v7
	v_fma_f32 v21, v21, v5, -v6
	v_fma_f32 v22, v23, v7, -v8
	ds_load_2addr_b64 v[5:8], v25 offset0:81 offset1:82
	v_dual_mul_f32 v23, v26, v2 :: v_dual_mul_f32 v24, v28, v4
	v_mul_f32_e32 v4, v29, v4
	v_mul_f32_e32 v10, v163, v10
	;; [unrolled: 1-line block ×5, first 2 shown]
	v_dual_fmac_f32 v23, v27, v1 :: v_dual_fmac_f32 v24, v29, v3
	v_fma_f32 v27, v28, v3, -v4
	v_fmac_f32_e32 v160, v163, v9
	v_fma_f32 v28, v162, v9, -v10
	v_fmac_f32_e32 v166, v165, v11
	v_fma_f32 v29, v164, v11, -v12
	ds_load_2addr_b64 v[9:12], v25 offset0:83 offset1:84
	s_wait_loadcnt_dscnt 0x201
	v_dual_mul_f32 v163, v7, v16 :: v_dual_mul_f32 v162, v5, v14
	v_mul_f32_e32 v14, v6, v14
	v_mul_f32_e32 v16, v8, v16
	s_delay_alu instid0(VALU_DEP_3)
	v_fmac_f32_e32 v163, v8, v15
	v_fma_f32 v26, v26, v1, -v2
	scratch_load_b128 v[1:4], off, off offset:168
	v_fmac_f32_e32 v162, v6, v13
	v_fma_f32 v13, v5, v13, -v14
	v_fma_f32 v14, v7, v15, -v16
	ds_load_2addr_b64 v[5:8], v25 offset0:85 offset1:86
	s_wait_loadcnt_dscnt 0x201
	v_mul_f32_e32 v15, v9, v18
	v_mul_f32_e32 v16, v10, v18
	;; [unrolled: 1-line block ×3, first 2 shown]
	s_delay_alu instid0(VALU_DEP_3) | instskip(NEXT) | instid1(VALU_DEP_3)
	v_dual_mul_f32 v20, v12, v20 :: v_dual_fmac_f32 v15, v10, v17
	v_fma_f32 v16, v9, v17, -v16
	s_delay_alu instid0(VALU_DEP_3) | instskip(NEXT) | instid1(VALU_DEP_3)
	v_fmac_f32_e32 v18, v12, v19
	v_fma_f32 v17, v11, v19, -v20
	scratch_load_b128 v[9:12], off, off offset:184
	s_wait_loadcnt_dscnt 0x100
	v_mul_f32_e32 v19, v5, v2
	v_mul_f32_e32 v2, v6, v2
	;; [unrolled: 1-line block ×3, first 2 shown]
	s_delay_alu instid0(VALU_DEP_3) | instskip(NEXT) | instid1(VALU_DEP_3)
	v_dual_mul_f32 v4, v8, v4 :: v_dual_fmac_f32 v19, v6, v1
	v_fma_f32 v164, v5, v1, -v2
	s_delay_alu instid0(VALU_DEP_3) | instskip(NEXT) | instid1(VALU_DEP_3)
	v_fmac_f32_e32 v20, v8, v3
	v_fma_f32 v165, v7, v3, -v4
	ds_load_2addr_b64 v[1:4], v25 offset0:87 offset1:88
	ds_load_2addr_b64 v[5:8], v25 offset0:89 offset1:90
	s_wait_loadcnt_dscnt 0x1
	v_mul_f32_e32 v167, v1, v10
	v_mul_f32_e32 v10, v2, v10
	s_delay_alu instid0(VALU_DEP_2) | instskip(NEXT) | instid1(VALU_DEP_2)
	v_dual_mul_f32 v168, v3, v12 :: v_dual_fmac_f32 v167, v2, v9
	v_fma_f32 v169, v1, v9, -v10
	v_mul_f32_e32 v1, v4, v12
	s_delay_alu instid0(VALU_DEP_3) | instskip(NEXT) | instid1(VALU_DEP_2)
	v_fmac_f32_e32 v168, v4, v11
	v_fma_f32 v170, v3, v11, -v1
	s_clause 0x1
	scratch_load_b128 v[1:4], off, off offset:200
	scratch_load_b128 v[9:12], off, off offset:216
	s_wait_loadcnt_dscnt 0x100
	v_mul_f32_e32 v171, v5, v2
	v_dual_mul_f32 v2, v6, v2 :: v_dual_mul_f32 v173, v7, v4
	s_delay_alu instid0(VALU_DEP_2) | instskip(NEXT) | instid1(VALU_DEP_2)
	v_fmac_f32_e32 v171, v6, v1
	v_fma_f32 v172, v5, v1, -v2
	v_mul_f32_e32 v1, v8, v4
	s_delay_alu instid0(VALU_DEP_4) | instskip(NEXT) | instid1(VALU_DEP_2)
	v_fmac_f32_e32 v173, v8, v3
	v_fma_f32 v174, v7, v3, -v1
	ds_load_2addr_b64 v[1:4], v25 offset0:91 offset1:92
	ds_load_2addr_b64 v[5:8], v25 offset0:93 offset1:94
	s_wait_loadcnt_dscnt 0x1
	v_mul_f32_e32 v175, v1, v10
	v_mul_f32_e32 v177, v3, v12
	s_delay_alu instid0(VALU_DEP_2) | instskip(NEXT) | instid1(VALU_DEP_2)
	v_fmac_f32_e32 v175, v2, v9
	v_dual_mul_f32 v2, v2, v10 :: v_dual_fmac_f32 v177, v4, v11
	s_delay_alu instid0(VALU_DEP_1) | instskip(SKIP_1) | instid1(VALU_DEP_1)
	v_fma_f32 v176, v1, v9, -v2
	v_mul_f32_e32 v1, v4, v12
	v_fma_f32 v178, v3, v11, -v1
	s_clause 0x1
	scratch_load_b128 v[1:4], off, off offset:232
	scratch_load_b128 v[9:12], off, off offset:248
	s_wait_loadcnt_dscnt 0x100
	v_mul_f32_e32 v179, v5, v2
	v_dual_mul_f32 v2, v6, v2 :: v_dual_mul_f32 v181, v7, v4
	s_delay_alu instid0(VALU_DEP_2) | instskip(NEXT) | instid1(VALU_DEP_2)
	v_fmac_f32_e32 v179, v6, v1
	v_fma_f32 v180, v5, v1, -v2
	v_mul_f32_e32 v1, v8, v4
	s_delay_alu instid0(VALU_DEP_4) | instskip(NEXT) | instid1(VALU_DEP_2)
	v_fmac_f32_e32 v181, v8, v3
	v_fma_f32 v182, v7, v3, -v1
	ds_load_2addr_b64 v[1:4], v25 offset0:95 offset1:96
	ds_load_2addr_b64 v[5:8], v25 offset0:97 offset1:98
	s_wait_loadcnt_dscnt 0x1
	v_mul_f32_e32 v183, v1, v10
	v_mul_f32_e32 v185, v3, v12
	s_delay_alu instid0(VALU_DEP_2) | instskip(NEXT) | instid1(VALU_DEP_2)
	v_fmac_f32_e32 v183, v2, v9
	v_dual_mul_f32 v2, v2, v10 :: v_dual_fmac_f32 v185, v4, v11
	s_delay_alu instid0(VALU_DEP_1) | instskip(SKIP_1) | instid1(VALU_DEP_1)
	v_fma_f32 v184, v1, v9, -v2
	v_mul_f32_e32 v1, v4, v12
	;; [unrolled: 25-line block ×7, first 2 shown]
	v_fma_f32 v226, v3, v11, -v1
	s_clause 0x1
	scratch_load_b128 v[1:4], off, off offset:424
	scratch_load_b128 v[9:12], off, off offset:440
	s_wait_loadcnt_dscnt 0x100
	v_mul_f32_e32 v227, v5, v2
	v_mul_f32_e32 v2, v6, v2
	s_delay_alu instid0(VALU_DEP_2) | instskip(NEXT) | instid1(VALU_DEP_2)
	v_fmac_f32_e32 v227, v6, v1
	v_fma_f32 v228, v5, v1, -v2
	v_add_f32_e32 v2, 0, v32
	s_delay_alu instid0(VALU_DEP_1) | instskip(NEXT) | instid1(VALU_DEP_1)
	v_dual_mul_f32 v1, v8, v4 :: v_dual_add_f32 v2, v2, v159
	v_fma_f32 v230, v7, v3, -v1
	s_delay_alu instid0(VALU_DEP_2) | instskip(NEXT) | instid1(VALU_DEP_1)
	v_dual_add_f32 v1, 0, v21 :: v_dual_add_f32 v2, v2, v23
	v_add_f32_e32 v2, v2, v24
	s_delay_alu instid0(VALU_DEP_1) | instskip(NEXT) | instid1(VALU_DEP_1)
	v_add_f32_e32 v2, v2, v160
	v_add_f32_e32 v2, v2, v166
	s_delay_alu instid0(VALU_DEP_1) | instskip(NEXT) | instid1(VALU_DEP_1)
	v_add_f32_e32 v2, v2, v162
	v_add_f32_e32 v2, v2, v163
	s_delay_alu instid0(VALU_DEP_1) | instskip(NEXT) | instid1(VALU_DEP_1)
	v_add_f32_e32 v2, v2, v15
	v_add_f32_e32 v2, v2, v18
	s_delay_alu instid0(VALU_DEP_1) | instskip(NEXT) | instid1(VALU_DEP_1)
	v_add_f32_e32 v2, v2, v19
	v_dual_add_f32 v2, v2, v20 :: v_dual_add_f32 v1, v1, v22
	s_delay_alu instid0(VALU_DEP_1) | instskip(NEXT) | instid1(VALU_DEP_1)
	v_dual_add_f32 v2, v2, v167 :: v_dual_add_f32 v1, v1, v26
	v_dual_add_f32 v2, v2, v168 :: v_dual_add_f32 v1, v1, v27
	s_delay_alu instid0(VALU_DEP_1) | instskip(NEXT) | instid1(VALU_DEP_1)
	v_dual_add_f32 v2, v2, v171 :: v_dual_add_f32 v1, v1, v28
	v_add_f32_e32 v2, v2, v173
	s_delay_alu instid0(VALU_DEP_1) | instskip(NEXT) | instid1(VALU_DEP_1)
	v_dual_add_f32 v1, v1, v29 :: v_dual_add_f32 v2, v2, v175
	v_add_f32_e32 v1, v1, v13
	s_delay_alu instid0(VALU_DEP_1) | instskip(NEXT) | instid1(VALU_DEP_1)
	v_dual_add_f32 v2, v2, v177 :: v_dual_add_f32 v1, v1, v14
	v_dual_add_f32 v2, v2, v179 :: v_dual_add_f32 v1, v1, v16
	s_delay_alu instid0(VALU_DEP_1) | instskip(NEXT) | instid1(VALU_DEP_1)
	v_add_f32_e32 v2, v2, v181
	v_dual_add_f32 v1, v1, v17 :: v_dual_add_f32 v2, v2, v183
	s_delay_alu instid0(VALU_DEP_1) | instskip(NEXT) | instid1(VALU_DEP_1)
	v_dual_add_f32 v1, v1, v164 :: v_dual_add_f32 v2, v2, v185
	v_add_f32_e32 v1, v1, v165
	s_delay_alu instid0(VALU_DEP_1) | instskip(NEXT) | instid1(VALU_DEP_1)
	v_add_f32_e32 v1, v1, v169
	v_add_f32_e32 v1, v1, v170
	s_delay_alu instid0(VALU_DEP_1) | instskip(NEXT) | instid1(VALU_DEP_1)
	v_add_f32_e32 v1, v1, v172
	;; [unrolled: 3-line block ×9, first 2 shown]
	v_add_f32_e32 v6, v1, v202
	v_add_f32_e32 v2, v2, v187
	s_delay_alu instid0(VALU_DEP_2) | instskip(NEXT) | instid1(VALU_DEP_2)
	v_add_f32_e32 v6, v6, v204
	v_add_f32_e32 v2, v2, v189
	s_delay_alu instid0(VALU_DEP_2) | instskip(NEXT) | instid1(VALU_DEP_1)
	v_add_f32_e32 v13, v6, v206
	v_dual_add_f32 v2, v2, v191 :: v_dual_add_f32 v13, v13, v208
	s_delay_alu instid0(VALU_DEP_1) | instskip(NEXT) | instid1(VALU_DEP_1)
	v_dual_add_f32 v2, v2, v193 :: v_dual_add_f32 v13, v13, v210
	v_dual_add_f32 v2, v2, v195 :: v_dual_add_f32 v13, v13, v212
	s_delay_alu instid0(VALU_DEP_1) | instskip(NEXT) | instid1(VALU_DEP_1)
	v_add_f32_e32 v2, v2, v197
	v_dual_add_f32 v18, v13, v214 :: v_dual_add_f32 v5, v2, v199
	s_delay_alu instid0(VALU_DEP_1) | instskip(NEXT) | instid1(VALU_DEP_1)
	v_dual_add_f32 v18, v18, v216 :: v_dual_add_f32 v5, v5, v201
	v_dual_add_f32 v18, v18, v218 :: v_dual_add_f32 v5, v5, v203
	s_delay_alu instid0(VALU_DEP_1) | instskip(NEXT) | instid1(VALU_DEP_1)
	v_dual_add_f32 v21, v18, v220 :: v_dual_add_f32 v14, v5, v205
	v_dual_add_f32 v32, v21, v222 :: v_dual_mul_f32 v229, v7, v4
	s_delay_alu instid0(VALU_DEP_2) | instskip(NEXT) | instid1(VALU_DEP_2)
	v_add_f32_e32 v14, v14, v207
	v_fmac_f32_e32 v229, v8, v3
	ds_load_2addr_b64 v[1:4], v25 offset0:119 offset1:120
	ds_load_2addr_b64 v[5:8], v25 offset0:121 offset1:122
	v_add_f32_e32 v14, v14, v209
	s_delay_alu instid0(VALU_DEP_1) | instskip(SKIP_2) | instid1(VALU_DEP_1)
	v_add_f32_e32 v17, v14, v211
	scratch_load_b128 v[13:16], off, off offset:488
	v_add_f32_e32 v17, v17, v213
	v_add_f32_e32 v17, v17, v215
	s_wait_loadcnt_dscnt 0x101
	v_dual_mul_f32 v26, v1, v10 :: v_dual_mul_f32 v27, v3, v12
	v_mul_f32_e32 v10, v2, v10
	s_delay_alu instid0(VALU_DEP_3) | instskip(NEXT) | instid1(VALU_DEP_3)
	v_dual_mul_f32 v12, v4, v12 :: v_dual_add_f32 v17, v17, v217
	v_dual_fmac_f32 v26, v2, v9 :: v_dual_fmac_f32 v27, v4, v11
	s_delay_alu instid0(VALU_DEP_3) | instskip(NEXT) | instid1(VALU_DEP_3)
	v_fma_f32 v28, v1, v9, -v10
	v_fma_f32 v29, v3, v11, -v12
	s_clause 0x1
	scratch_load_b128 v[1:4], off, off offset:456
	scratch_load_b128 v[9:12], off, off offset:472
	s_wait_loadcnt_dscnt 0x100
	v_mul_f32_e32 v160, v7, v4
	v_add_f32_e32 v22, v17, v219
	ds_load_2addr_b64 v[17:20], v25 offset0:123 offset1:124
	v_mul_f32_e32 v4, v8, v4
	v_dual_fmac_f32 v160, v8, v3 :: v_dual_add_f32 v159, v22, v221
	ds_load_2addr_b64 v[21:24], v25 offset0:125 offset1:126
	v_add_f32_e32 v25, v32, v224
	v_fma_f32 v3, v7, v3, -v4
	s_delay_alu instid0(VALU_DEP_2) | instskip(NEXT) | instid1(VALU_DEP_1)
	v_add_f32_e32 v25, v25, v226
	v_add_f32_e32 v25, v25, v228
	s_wait_loadcnt_dscnt 0x1
	v_mul_f32_e32 v162, v17, v10
	s_delay_alu instid0(VALU_DEP_2)
	v_dual_add_f32 v32, v159, v223 :: v_dual_add_f32 v25, v25, v230
	v_mul_f32_e32 v159, v5, v2
	v_mul_f32_e32 v2, v6, v2
	s_wait_dscnt 0x0
	v_mul_f32_e32 v164, v21, v14
	v_dual_add_f32 v32, v32, v225 :: v_dual_add_f32 v25, v25, v28
	v_fmac_f32_e32 v159, v6, v1
	v_fma_f32 v2, v5, v1, -v2
	v_mul_f32_e32 v6, v18, v10
	s_delay_alu instid0(VALU_DEP_4) | instskip(SKIP_3) | instid1(VALU_DEP_4)
	v_dual_add_f32 v32, v32, v227 :: v_dual_add_f32 v1, v25, v29
	v_mul_f32_e32 v163, v19, v12
	v_mul_f32_e32 v4, v20, v12
	v_fmac_f32_e32 v162, v18, v9
	v_dual_add_f32 v32, v32, v229 :: v_dual_add_f32 v1, v1, v2
	s_delay_alu instid0(VALU_DEP_4) | instskip(NEXT) | instid1(VALU_DEP_4)
	v_fmac_f32_e32 v163, v20, v11
	v_fma_f32 v4, v19, v11, -v4
	v_mul_f32_e32 v28, v23, v16
	s_delay_alu instid0(VALU_DEP_4) | instskip(SKIP_2) | instid1(VALU_DEP_4)
	v_dual_add_f32 v26, v32, v26 :: v_dual_add_f32 v1, v1, v3
	v_mul_f32_e32 v3, v22, v14
	v_fmac_f32_e32 v164, v22, v13
	v_fmac_f32_e32 v28, v24, v15
	s_delay_alu instid0(VALU_DEP_4) | instskip(NEXT) | instid1(VALU_DEP_4)
	v_add_f32_e32 v5, v26, v27
	v_fma_f32 v3, v21, v13, -v3
	s_delay_alu instid0(VALU_DEP_2) | instskip(SKIP_1) | instid1(VALU_DEP_1)
	v_add_f32_e32 v2, v5, v159
	v_fma_f32 v5, v17, v9, -v6
	v_dual_add_f32 v2, v2, v160 :: v_dual_add_f32 v1, v1, v5
	s_delay_alu instid0(VALU_DEP_1) | instskip(NEXT) | instid1(VALU_DEP_2)
	v_dual_mul_f32 v5, v24, v16 :: v_dual_add_f32 v2, v2, v162
	v_add_f32_e32 v1, v1, v4
	s_delay_alu instid0(VALU_DEP_2) | instskip(NEXT) | instid1(VALU_DEP_3)
	v_fma_f32 v4, v23, v15, -v5
	v_add_f32_e32 v2, v2, v163
	s_delay_alu instid0(VALU_DEP_1) | instskip(NEXT) | instid1(VALU_DEP_1)
	v_dual_add_f32 v1, v1, v3 :: v_dual_add_f32 v2, v2, v164
	v_add_f32_e32 v1, v1, v4
	s_delay_alu instid0(VALU_DEP_2) | instskip(NEXT) | instid1(VALU_DEP_1)
	v_add_f32_e32 v2, v2, v28
	v_dual_sub_f32 v1, v30, v1 :: v_dual_sub_f32 v2, v31, v2
	scratch_store_b64 off, v[1:2], off offset:80
	v_cmpx_lt_u32_e32 9, v0
	s_cbranch_execz .LBB126_373
; %bb.372:
	scratch_load_b64 v[1:2], off, off offset:72
	v_mov_b32_e32 v3, 0
	s_delay_alu instid0(VALU_DEP_1)
	v_mov_b32_e32 v4, v3
	scratch_store_b64 off, v[3:4], off offset:72
	s_wait_loadcnt 0x0
	ds_store_b64 v161, v[1:2]
.LBB126_373:
	s_wait_alu 0xfffe
	s_or_b32 exec_lo, exec_lo, s0
	s_wait_storecnt_dscnt 0x0
	s_barrier_signal -1
	s_barrier_wait -1
	global_inv scope:SCOPE_SE
	s_clause 0x4
	scratch_load_b128 v[5:8], off, off offset:80
	scratch_load_b128 v[1:4], off, off offset:96
	;; [unrolled: 1-line block ×5, first 2 shown]
	v_mov_b32_e32 v25, 0
	ds_load_b128 v[21:24], v25 offset:592
	ds_load_b128 v[26:29], v25 offset:608
	;; [unrolled: 1-line block ×3, first 2 shown]
	scratch_load_b64 v[30:31], off, off offset:72
	s_mov_b32 s0, exec_lo
	s_wait_loadcnt_dscnt 0x502
	v_dual_mul_f32 v32, v21, v6 :: v_dual_mul_f32 v159, v23, v8
	v_mul_f32_e32 v6, v22, v6
	v_mul_f32_e32 v8, v24, v8
	s_wait_loadcnt_dscnt 0x300
	v_mul_f32_e32 v166, v164, v12
	v_dual_fmac_f32 v32, v22, v5 :: v_dual_fmac_f32 v159, v24, v7
	v_fma_f32 v21, v21, v5, -v6
	v_fma_f32 v22, v23, v7, -v8
	ds_load_b128 v[5:8], v25 offset:640
	v_dual_mul_f32 v23, v26, v2 :: v_dual_mul_f32 v24, v28, v4
	v_mul_f32_e32 v4, v29, v4
	v_mul_f32_e32 v160, v162, v10
	;; [unrolled: 1-line block ×5, first 2 shown]
	v_dual_fmac_f32 v23, v27, v1 :: v_dual_fmac_f32 v24, v29, v3
	v_fma_f32 v27, v28, v3, -v4
	v_fmac_f32_e32 v160, v163, v9
	v_fmac_f32_e32 v166, v165, v11
	v_fma_f32 v28, v162, v9, -v10
	v_fma_f32 v29, v164, v11, -v12
	ds_load_b128 v[9:12], v25 offset:656
	s_wait_loadcnt_dscnt 0x201
	v_dual_mul_f32 v163, v7, v16 :: v_dual_mul_f32 v162, v5, v14
	v_mul_f32_e32 v14, v6, v14
	v_mul_f32_e32 v16, v8, v16
	s_delay_alu instid0(VALU_DEP_3)
	v_fmac_f32_e32 v163, v8, v15
	v_fma_f32 v26, v26, v1, -v2
	scratch_load_b128 v[1:4], off, off offset:160
	v_fmac_f32_e32 v162, v6, v13
	v_fma_f32 v13, v5, v13, -v14
	v_fma_f32 v14, v7, v15, -v16
	ds_load_b128 v[5:8], v25 offset:672
	s_wait_loadcnt_dscnt 0x201
	v_mul_f32_e32 v15, v9, v18
	v_mul_f32_e32 v16, v10, v18
	;; [unrolled: 1-line block ×3, first 2 shown]
	s_delay_alu instid0(VALU_DEP_3) | instskip(NEXT) | instid1(VALU_DEP_3)
	v_dual_mul_f32 v20, v12, v20 :: v_dual_fmac_f32 v15, v10, v17
	v_fma_f32 v16, v9, v17, -v16
	s_delay_alu instid0(VALU_DEP_3) | instskip(NEXT) | instid1(VALU_DEP_3)
	v_fmac_f32_e32 v18, v12, v19
	v_fma_f32 v17, v11, v19, -v20
	scratch_load_b128 v[9:12], off, off offset:176
	s_wait_loadcnt_dscnt 0x100
	v_mul_f32_e32 v19, v5, v2
	v_mul_f32_e32 v2, v6, v2
	;; [unrolled: 1-line block ×3, first 2 shown]
	s_delay_alu instid0(VALU_DEP_3) | instskip(NEXT) | instid1(VALU_DEP_3)
	v_dual_mul_f32 v4, v8, v4 :: v_dual_fmac_f32 v19, v6, v1
	v_fma_f32 v164, v5, v1, -v2
	s_delay_alu instid0(VALU_DEP_3) | instskip(NEXT) | instid1(VALU_DEP_3)
	v_fmac_f32_e32 v20, v8, v3
	v_fma_f32 v165, v7, v3, -v4
	ds_load_b128 v[1:4], v25 offset:688
	ds_load_b128 v[5:8], v25 offset:704
	s_wait_loadcnt_dscnt 0x1
	v_mul_f32_e32 v167, v1, v10
	v_mul_f32_e32 v10, v2, v10
	s_delay_alu instid0(VALU_DEP_2) | instskip(NEXT) | instid1(VALU_DEP_2)
	v_dual_mul_f32 v168, v3, v12 :: v_dual_fmac_f32 v167, v2, v9
	v_fma_f32 v169, v1, v9, -v10
	v_mul_f32_e32 v1, v4, v12
	s_delay_alu instid0(VALU_DEP_3) | instskip(NEXT) | instid1(VALU_DEP_2)
	v_fmac_f32_e32 v168, v4, v11
	v_fma_f32 v170, v3, v11, -v1
	s_clause 0x1
	scratch_load_b128 v[1:4], off, off offset:192
	scratch_load_b128 v[9:12], off, off offset:208
	s_wait_loadcnt_dscnt 0x100
	v_mul_f32_e32 v171, v5, v2
	v_dual_mul_f32 v2, v6, v2 :: v_dual_mul_f32 v173, v7, v4
	s_delay_alu instid0(VALU_DEP_2) | instskip(NEXT) | instid1(VALU_DEP_2)
	v_fmac_f32_e32 v171, v6, v1
	v_fma_f32 v172, v5, v1, -v2
	v_mul_f32_e32 v1, v8, v4
	s_delay_alu instid0(VALU_DEP_4) | instskip(NEXT) | instid1(VALU_DEP_2)
	v_fmac_f32_e32 v173, v8, v3
	v_fma_f32 v174, v7, v3, -v1
	ds_load_b128 v[1:4], v25 offset:720
	ds_load_b128 v[5:8], v25 offset:736
	s_wait_loadcnt_dscnt 0x1
	v_mul_f32_e32 v175, v1, v10
	v_mul_f32_e32 v177, v3, v12
	s_delay_alu instid0(VALU_DEP_2) | instskip(NEXT) | instid1(VALU_DEP_2)
	v_fmac_f32_e32 v175, v2, v9
	v_dual_mul_f32 v2, v2, v10 :: v_dual_fmac_f32 v177, v4, v11
	s_delay_alu instid0(VALU_DEP_1) | instskip(SKIP_1) | instid1(VALU_DEP_1)
	v_fma_f32 v176, v1, v9, -v2
	v_mul_f32_e32 v1, v4, v12
	v_fma_f32 v178, v3, v11, -v1
	s_clause 0x1
	scratch_load_b128 v[1:4], off, off offset:224
	scratch_load_b128 v[9:12], off, off offset:240
	s_wait_loadcnt_dscnt 0x100
	v_mul_f32_e32 v179, v5, v2
	v_dual_mul_f32 v2, v6, v2 :: v_dual_mul_f32 v181, v7, v4
	s_delay_alu instid0(VALU_DEP_2) | instskip(NEXT) | instid1(VALU_DEP_2)
	v_fmac_f32_e32 v179, v6, v1
	v_fma_f32 v180, v5, v1, -v2
	v_mul_f32_e32 v1, v8, v4
	s_delay_alu instid0(VALU_DEP_4) | instskip(NEXT) | instid1(VALU_DEP_2)
	v_fmac_f32_e32 v181, v8, v3
	v_fma_f32 v182, v7, v3, -v1
	ds_load_b128 v[1:4], v25 offset:752
	ds_load_b128 v[5:8], v25 offset:768
	s_wait_loadcnt_dscnt 0x1
	v_mul_f32_e32 v183, v1, v10
	v_mul_f32_e32 v185, v3, v12
	s_delay_alu instid0(VALU_DEP_2) | instskip(NEXT) | instid1(VALU_DEP_2)
	v_fmac_f32_e32 v183, v2, v9
	v_dual_mul_f32 v2, v2, v10 :: v_dual_fmac_f32 v185, v4, v11
	s_delay_alu instid0(VALU_DEP_1) | instskip(SKIP_1) | instid1(VALU_DEP_1)
	v_fma_f32 v184, v1, v9, -v2
	v_mul_f32_e32 v1, v4, v12
	;; [unrolled: 25-line block ×7, first 2 shown]
	v_fma_f32 v226, v3, v11, -v1
	s_clause 0x1
	scratch_load_b128 v[1:4], off, off offset:416
	scratch_load_b128 v[9:12], off, off offset:432
	s_wait_loadcnt_dscnt 0x100
	v_mul_f32_e32 v227, v5, v2
	v_dual_mul_f32 v2, v6, v2 :: v_dual_mul_f32 v229, v7, v4
	s_delay_alu instid0(VALU_DEP_2) | instskip(NEXT) | instid1(VALU_DEP_2)
	v_fmac_f32_e32 v227, v6, v1
	v_fma_f32 v228, v5, v1, -v2
	s_delay_alu instid0(VALU_DEP_3) | instskip(NEXT) | instid1(VALU_DEP_1)
	v_dual_add_f32 v2, 0, v32 :: v_dual_fmac_f32 v229, v8, v3
	v_add_f32_e32 v2, v2, v159
	s_delay_alu instid0(VALU_DEP_1) | instskip(NEXT) | instid1(VALU_DEP_1)
	v_add_f32_e32 v2, v2, v23
	v_add_f32_e32 v2, v2, v24
	s_delay_alu instid0(VALU_DEP_1) | instskip(NEXT) | instid1(VALU_DEP_1)
	v_add_f32_e32 v2, v2, v160
	;; [unrolled: 3-line block ×5, first 2 shown]
	v_add_f32_e32 v2, v2, v20
	s_delay_alu instid0(VALU_DEP_1) | instskip(NEXT) | instid1(VALU_DEP_1)
	v_dual_mul_f32 v1, v8, v4 :: v_dual_add_f32 v2, v2, v167
	v_fma_f32 v230, v7, v3, -v1
	s_delay_alu instid0(VALU_DEP_2) | instskip(NEXT) | instid1(VALU_DEP_1)
	v_dual_add_f32 v1, 0, v21 :: v_dual_add_f32 v2, v2, v168
	v_dual_add_f32 v1, v1, v22 :: v_dual_add_f32 v2, v2, v171
	s_delay_alu instid0(VALU_DEP_1) | instskip(NEXT) | instid1(VALU_DEP_1)
	v_dual_add_f32 v1, v1, v26 :: v_dual_add_f32 v2, v2, v173
	v_add_f32_e32 v1, v1, v27
	scratch_load_b64 v[26:27], off, off offset:496
	v_dual_add_f32 v2, v2, v175 :: v_dual_add_f32 v1, v1, v28
	s_delay_alu instid0(VALU_DEP_1) | instskip(NEXT) | instid1(VALU_DEP_1)
	v_add_f32_e32 v2, v2, v177
	v_dual_add_f32 v1, v1, v29 :: v_dual_add_f32 v2, v2, v179
	s_delay_alu instid0(VALU_DEP_1) | instskip(NEXT) | instid1(VALU_DEP_1)
	v_add_f32_e32 v1, v1, v13
	v_dual_add_f32 v2, v2, v181 :: v_dual_add_f32 v1, v1, v14
	s_delay_alu instid0(VALU_DEP_1) | instskip(NEXT) | instid1(VALU_DEP_1)
	v_dual_add_f32 v2, v2, v183 :: v_dual_add_f32 v1, v1, v16
	v_add_f32_e32 v2, v2, v185
	s_delay_alu instid0(VALU_DEP_2) | instskip(NEXT) | instid1(VALU_DEP_1)
	v_add_f32_e32 v1, v1, v17
	v_add_f32_e32 v1, v1, v164
	s_delay_alu instid0(VALU_DEP_1) | instskip(NEXT) | instid1(VALU_DEP_1)
	v_add_f32_e32 v1, v1, v165
	v_add_f32_e32 v1, v1, v169
	s_delay_alu instid0(VALU_DEP_1) | instskip(NEXT) | instid1(VALU_DEP_1)
	;; [unrolled: 3-line block ×9, first 2 shown]
	v_add_f32_e32 v1, v1, v198
	v_add_f32_e32 v1, v1, v200
	s_delay_alu instid0(VALU_DEP_1) | instskip(SKIP_1) | instid1(VALU_DEP_2)
	v_add_f32_e32 v6, v1, v202
	v_add_f32_e32 v2, v2, v187
	;; [unrolled: 1-line block ×3, first 2 shown]
	s_delay_alu instid0(VALU_DEP_2) | instskip(NEXT) | instid1(VALU_DEP_2)
	v_add_f32_e32 v2, v2, v189
	v_add_f32_e32 v13, v6, v206
	s_delay_alu instid0(VALU_DEP_1) | instskip(NEXT) | instid1(VALU_DEP_1)
	v_dual_add_f32 v2, v2, v191 :: v_dual_add_f32 v13, v13, v208
	v_dual_add_f32 v2, v2, v193 :: v_dual_add_f32 v13, v13, v210
	s_delay_alu instid0(VALU_DEP_1) | instskip(NEXT) | instid1(VALU_DEP_1)
	v_dual_add_f32 v2, v2, v195 :: v_dual_add_f32 v13, v13, v212
	v_add_f32_e32 v2, v2, v197
	s_delay_alu instid0(VALU_DEP_1) | instskip(SKIP_2) | instid1(VALU_DEP_1)
	v_dual_add_f32 v18, v13, v214 :: v_dual_add_f32 v5, v2, v199
	ds_load_b128 v[1:4], v25 offset:944
	v_dual_add_f32 v18, v18, v216 :: v_dual_add_f32 v5, v5, v201
	v_dual_add_f32 v18, v18, v218 :: v_dual_add_f32 v5, v5, v203
	s_delay_alu instid0(VALU_DEP_1) | instskip(NEXT) | instid1(VALU_DEP_2)
	v_add_f32_e32 v18, v18, v220
	v_add_f32_e32 v14, v5, v205
	ds_load_b128 v[5:8], v25 offset:960
	v_add_f32_e32 v18, v18, v222
	s_wait_loadcnt_dscnt 0x101
	v_mul_f32_e32 v32, v1, v10
	v_dual_mul_f32 v10, v2, v10 :: v_dual_mul_f32 v159, v3, v12
	v_mul_f32_e32 v12, v4, v12
	v_add_f32_e32 v28, v18, v224
	s_delay_alu instid0(VALU_DEP_4) | instskip(NEXT) | instid1(VALU_DEP_4)
	v_fmac_f32_e32 v32, v2, v9
	v_fma_f32 v160, v1, v9, -v10
	v_fmac_f32_e32 v159, v4, v11
	v_fma_f32 v162, v3, v11, -v12
	s_clause 0x1
	scratch_load_b128 v[1:4], off, off offset:448
	scratch_load_b128 v[9:12], off, off offset:464
	v_add_f32_e32 v163, v28, v226
	s_delay_alu instid0(VALU_DEP_1) | instskip(NEXT) | instid1(VALU_DEP_1)
	v_add_f32_e32 v163, v163, v228
	v_add_f32_e32 v163, v163, v230
	s_delay_alu instid0(VALU_DEP_1) | instskip(NEXT) | instid1(VALU_DEP_1)
	v_add_f32_e32 v160, v163, v160
	v_add_f32_e32 v160, v160, v162
	s_wait_loadcnt_dscnt 0x100
	v_mul_f32_e32 v166, v7, v4
	v_add_f32_e32 v14, v14, v207
	v_dual_mul_f32 v4, v8, v4 :: v_dual_mul_f32 v165, v5, v2
	v_mul_f32_e32 v2, v6, v2
	s_delay_alu instid0(VALU_DEP_4) | instskip(NEXT) | instid1(VALU_DEP_4)
	v_fmac_f32_e32 v166, v8, v3
	v_add_f32_e32 v14, v14, v209
	s_delay_alu instid0(VALU_DEP_4) | instskip(NEXT) | instid1(VALU_DEP_4)
	v_fmac_f32_e32 v165, v6, v1
	v_fma_f32 v2, v5, v1, -v2
	v_fma_f32 v1, v7, v3, -v4
	s_delay_alu instid0(VALU_DEP_4) | instskip(SKIP_2) | instid1(VALU_DEP_1)
	v_add_f32_e32 v17, v14, v211
	scratch_load_b128 v[13:16], off, off offset:480
	v_dual_add_f32 v2, v160, v2 :: v_dual_add_f32 v17, v17, v213
	v_add_f32_e32 v1, v2, v1
	s_delay_alu instid0(VALU_DEP_2) | instskip(NEXT) | instid1(VALU_DEP_1)
	v_add_f32_e32 v17, v17, v215
	v_add_f32_e32 v17, v17, v217
	s_delay_alu instid0(VALU_DEP_1) | instskip(NEXT) | instid1(VALU_DEP_1)
	v_add_f32_e32 v17, v17, v219
	v_add_f32_e32 v21, v17, v221
	ds_load_b128 v[17:20], v25 offset:976
	v_add_f32_e32 v29, v21, v223
	ds_load_b128 v[21:24], v25 offset:992
	v_add_f32_e32 v164, v29, v225
	ds_load_b64 v[28:29], v25 offset:1008
	v_add_f32_e32 v164, v164, v227
	s_wait_loadcnt_dscnt 0x102
	s_delay_alu instid0(VALU_DEP_1) | instskip(SKIP_2) | instid1(VALU_DEP_3)
	v_dual_add_f32 v164, v164, v229 :: v_dual_mul_f32 v163, v17, v10
	v_mul_f32_e32 v3, v18, v10
	v_mul_f32_e32 v5, v20, v12
	v_add_f32_e32 v32, v164, v32
	s_delay_alu instid0(VALU_DEP_4) | instskip(NEXT) | instid1(VALU_DEP_4)
	v_dual_mul_f32 v164, v19, v12 :: v_dual_fmac_f32 v163, v18, v9
	v_fma_f32 v3, v17, v9, -v3
	s_delay_alu instid0(VALU_DEP_4) | instskip(NEXT) | instid1(VALU_DEP_4)
	v_fma_f32 v5, v19, v11, -v5
	v_add_f32_e32 v32, v32, v159
	s_delay_alu instid0(VALU_DEP_4) | instskip(SKIP_2) | instid1(VALU_DEP_3)
	v_fmac_f32_e32 v164, v20, v11
	s_wait_dscnt 0x0
	v_mul_f32_e32 v159, v28, v27
	v_dual_add_f32 v1, v1, v3 :: v_dual_add_f32 v4, v32, v165
	s_delay_alu instid0(VALU_DEP_2) | instskip(NEXT) | instid1(VALU_DEP_2)
	v_fmac_f32_e32 v159, v29, v26
	v_add_f32_e32 v1, v1, v5
	s_delay_alu instid0(VALU_DEP_3) | instskip(NEXT) | instid1(VALU_DEP_1)
	v_dual_mul_f32 v5, v29, v27 :: v_dual_add_f32 v2, v4, v166
	v_add_f32_e32 v2, v2, v163
	s_wait_loadcnt 0x0
	s_delay_alu instid0(VALU_DEP_1) | instskip(SKIP_3) | instid1(VALU_DEP_4)
	v_dual_add_f32 v2, v2, v164 :: v_dual_mul_f32 v167, v21, v14
	v_mul_f32_e32 v4, v22, v14
	v_mul_f32_e32 v162, v23, v16
	;; [unrolled: 1-line block ×3, first 2 shown]
	v_fmac_f32_e32 v167, v22, v13
	s_delay_alu instid0(VALU_DEP_4) | instskip(NEXT) | instid1(VALU_DEP_4)
	v_fma_f32 v4, v21, v13, -v4
	v_fmac_f32_e32 v162, v24, v15
	s_delay_alu instid0(VALU_DEP_4) | instskip(NEXT) | instid1(VALU_DEP_3)
	v_fma_f32 v3, v23, v15, -v3
	v_dual_add_f32 v2, v2, v167 :: v_dual_add_f32 v1, v1, v4
	v_fma_f32 v4, v28, v26, -v5
	s_delay_alu instid0(VALU_DEP_2) | instskip(NEXT) | instid1(VALU_DEP_1)
	v_dual_add_f32 v2, v2, v162 :: v_dual_add_f32 v1, v1, v3
	v_dual_add_f32 v2, v2, v159 :: v_dual_add_f32 v1, v1, v4
	s_delay_alu instid0(VALU_DEP_1)
	v_dual_sub_f32 v2, v31, v2 :: v_dual_sub_f32 v1, v30, v1
	scratch_store_b64 off, v[1:2], off offset:72
	v_cmpx_lt_u32_e32 8, v0
	s_cbranch_execz .LBB126_375
; %bb.374:
	scratch_load_b64 v[1:2], off, off offset:64
	v_mov_b32_e32 v26, v25
	scratch_store_b64 off, v[25:26], off offset:64
	s_wait_loadcnt 0x0
	ds_store_b64 v161, v[1:2]
.LBB126_375:
	s_wait_alu 0xfffe
	s_or_b32 exec_lo, exec_lo, s0
	s_wait_storecnt_dscnt 0x0
	s_barrier_signal -1
	s_barrier_wait -1
	global_inv scope:SCOPE_SE
	s_clause 0x4
	scratch_load_b128 v[5:8], off, off offset:72
	scratch_load_b128 v[1:4], off, off offset:88
	;; [unrolled: 1-line block ×5, first 2 shown]
	ds_load_2addr_b64 v[21:24], v25 offset0:73 offset1:74
	ds_load_2addr_b64 v[26:29], v25 offset0:75 offset1:76
	ds_load_2addr_b64 v[162:165], v25 offset0:77 offset1:78
	scratch_load_b64 v[30:31], off, off offset:64
	s_mov_b32 s0, exec_lo
	s_wait_loadcnt_dscnt 0x502
	v_dual_mul_f32 v32, v21, v6 :: v_dual_mul_f32 v159, v23, v8
	v_mul_f32_e32 v6, v22, v6
	v_mul_f32_e32 v8, v24, v8
	s_wait_loadcnt_dscnt 0x300
	v_mul_f32_e32 v160, v162, v10
	v_dual_fmac_f32 v32, v22, v5 :: v_dual_fmac_f32 v159, v24, v7
	v_fma_f32 v21, v21, v5, -v6
	v_fma_f32 v22, v23, v7, -v8
	ds_load_2addr_b64 v[5:8], v25 offset0:79 offset1:80
	v_dual_mul_f32 v23, v26, v2 :: v_dual_mul_f32 v24, v28, v4
	v_mul_f32_e32 v4, v29, v4
	v_mul_f32_e32 v166, v164, v12
	;; [unrolled: 1-line block ×5, first 2 shown]
	v_dual_fmac_f32 v23, v27, v1 :: v_dual_fmac_f32 v24, v29, v3
	v_fma_f32 v27, v28, v3, -v4
	v_fmac_f32_e32 v160, v163, v9
	v_fmac_f32_e32 v166, v165, v11
	v_fma_f32 v28, v162, v9, -v10
	v_fma_f32 v29, v164, v11, -v12
	ds_load_2addr_b64 v[9:12], v25 offset0:81 offset1:82
	s_wait_loadcnt_dscnt 0x201
	v_dual_mul_f32 v163, v7, v16 :: v_dual_mul_f32 v162, v5, v14
	v_mul_f32_e32 v14, v6, v14
	v_mul_f32_e32 v16, v8, v16
	s_delay_alu instid0(VALU_DEP_3)
	v_fmac_f32_e32 v163, v8, v15
	v_fma_f32 v26, v26, v1, -v2
	scratch_load_b128 v[1:4], off, off offset:152
	v_fmac_f32_e32 v162, v6, v13
	v_fma_f32 v13, v5, v13, -v14
	v_fma_f32 v14, v7, v15, -v16
	ds_load_2addr_b64 v[5:8], v25 offset0:83 offset1:84
	s_wait_loadcnt_dscnt 0x201
	v_mul_f32_e32 v15, v9, v18
	v_mul_f32_e32 v16, v10, v18
	;; [unrolled: 1-line block ×3, first 2 shown]
	s_delay_alu instid0(VALU_DEP_3) | instskip(NEXT) | instid1(VALU_DEP_3)
	v_dual_mul_f32 v20, v12, v20 :: v_dual_fmac_f32 v15, v10, v17
	v_fma_f32 v16, v9, v17, -v16
	s_delay_alu instid0(VALU_DEP_3) | instskip(NEXT) | instid1(VALU_DEP_3)
	v_fmac_f32_e32 v18, v12, v19
	v_fma_f32 v17, v11, v19, -v20
	scratch_load_b128 v[9:12], off, off offset:168
	s_wait_loadcnt_dscnt 0x100
	v_mul_f32_e32 v19, v5, v2
	v_mul_f32_e32 v2, v6, v2
	;; [unrolled: 1-line block ×3, first 2 shown]
	s_delay_alu instid0(VALU_DEP_3) | instskip(NEXT) | instid1(VALU_DEP_3)
	v_dual_mul_f32 v4, v8, v4 :: v_dual_fmac_f32 v19, v6, v1
	v_fma_f32 v164, v5, v1, -v2
	s_delay_alu instid0(VALU_DEP_3) | instskip(NEXT) | instid1(VALU_DEP_3)
	v_fmac_f32_e32 v20, v8, v3
	v_fma_f32 v165, v7, v3, -v4
	ds_load_2addr_b64 v[1:4], v25 offset0:85 offset1:86
	ds_load_2addr_b64 v[5:8], v25 offset0:87 offset1:88
	s_wait_loadcnt_dscnt 0x1
	v_mul_f32_e32 v167, v1, v10
	v_mul_f32_e32 v10, v2, v10
	s_delay_alu instid0(VALU_DEP_2) | instskip(NEXT) | instid1(VALU_DEP_2)
	v_dual_mul_f32 v168, v3, v12 :: v_dual_fmac_f32 v167, v2, v9
	v_fma_f32 v169, v1, v9, -v10
	v_mul_f32_e32 v1, v4, v12
	s_delay_alu instid0(VALU_DEP_3) | instskip(NEXT) | instid1(VALU_DEP_2)
	v_fmac_f32_e32 v168, v4, v11
	v_fma_f32 v170, v3, v11, -v1
	s_clause 0x1
	scratch_load_b128 v[1:4], off, off offset:184
	scratch_load_b128 v[9:12], off, off offset:200
	s_wait_loadcnt_dscnt 0x100
	v_mul_f32_e32 v171, v5, v2
	v_dual_mul_f32 v2, v6, v2 :: v_dual_mul_f32 v173, v7, v4
	s_delay_alu instid0(VALU_DEP_2) | instskip(NEXT) | instid1(VALU_DEP_2)
	v_fmac_f32_e32 v171, v6, v1
	v_fma_f32 v172, v5, v1, -v2
	v_mul_f32_e32 v1, v8, v4
	s_delay_alu instid0(VALU_DEP_4) | instskip(NEXT) | instid1(VALU_DEP_2)
	v_fmac_f32_e32 v173, v8, v3
	v_fma_f32 v174, v7, v3, -v1
	ds_load_2addr_b64 v[1:4], v25 offset0:89 offset1:90
	ds_load_2addr_b64 v[5:8], v25 offset0:91 offset1:92
	s_wait_loadcnt_dscnt 0x1
	v_mul_f32_e32 v175, v1, v10
	v_mul_f32_e32 v177, v3, v12
	s_delay_alu instid0(VALU_DEP_2) | instskip(NEXT) | instid1(VALU_DEP_2)
	v_fmac_f32_e32 v175, v2, v9
	v_dual_mul_f32 v2, v2, v10 :: v_dual_fmac_f32 v177, v4, v11
	s_delay_alu instid0(VALU_DEP_1) | instskip(SKIP_1) | instid1(VALU_DEP_1)
	v_fma_f32 v176, v1, v9, -v2
	v_mul_f32_e32 v1, v4, v12
	v_fma_f32 v178, v3, v11, -v1
	s_clause 0x1
	scratch_load_b128 v[1:4], off, off offset:216
	scratch_load_b128 v[9:12], off, off offset:232
	s_wait_loadcnt_dscnt 0x100
	v_mul_f32_e32 v179, v5, v2
	v_dual_mul_f32 v2, v6, v2 :: v_dual_mul_f32 v181, v7, v4
	s_delay_alu instid0(VALU_DEP_2) | instskip(NEXT) | instid1(VALU_DEP_2)
	v_fmac_f32_e32 v179, v6, v1
	v_fma_f32 v180, v5, v1, -v2
	v_mul_f32_e32 v1, v8, v4
	s_delay_alu instid0(VALU_DEP_4) | instskip(NEXT) | instid1(VALU_DEP_2)
	v_fmac_f32_e32 v181, v8, v3
	v_fma_f32 v182, v7, v3, -v1
	ds_load_2addr_b64 v[1:4], v25 offset0:93 offset1:94
	ds_load_2addr_b64 v[5:8], v25 offset0:95 offset1:96
	s_wait_loadcnt_dscnt 0x1
	v_mul_f32_e32 v183, v1, v10
	v_mul_f32_e32 v185, v3, v12
	s_delay_alu instid0(VALU_DEP_2) | instskip(NEXT) | instid1(VALU_DEP_2)
	v_fmac_f32_e32 v183, v2, v9
	v_dual_mul_f32 v2, v2, v10 :: v_dual_fmac_f32 v185, v4, v11
	s_delay_alu instid0(VALU_DEP_1) | instskip(SKIP_1) | instid1(VALU_DEP_1)
	v_fma_f32 v184, v1, v9, -v2
	v_mul_f32_e32 v1, v4, v12
	;; [unrolled: 25-line block ×7, first 2 shown]
	v_fma_f32 v226, v3, v11, -v1
	s_clause 0x1
	scratch_load_b128 v[1:4], off, off offset:408
	scratch_load_b128 v[9:12], off, off offset:424
	s_wait_loadcnt_dscnt 0x100
	v_mul_f32_e32 v227, v5, v2
	v_mul_f32_e32 v2, v6, v2
	s_delay_alu instid0(VALU_DEP_2) | instskip(NEXT) | instid1(VALU_DEP_2)
	v_fmac_f32_e32 v227, v6, v1
	v_fma_f32 v228, v5, v1, -v2
	v_add_f32_e32 v2, 0, v32
	s_delay_alu instid0(VALU_DEP_1) | instskip(NEXT) | instid1(VALU_DEP_1)
	v_dual_mul_f32 v1, v8, v4 :: v_dual_add_f32 v2, v2, v159
	v_fma_f32 v230, v7, v3, -v1
	s_delay_alu instid0(VALU_DEP_2) | instskip(NEXT) | instid1(VALU_DEP_1)
	v_dual_add_f32 v1, 0, v21 :: v_dual_add_f32 v2, v2, v23
	v_dual_add_f32 v1, v1, v22 :: v_dual_add_f32 v2, v2, v24
	s_delay_alu instid0(VALU_DEP_1) | instskip(NEXT) | instid1(VALU_DEP_1)
	v_add_f32_e32 v2, v2, v160
	v_add_f32_e32 v2, v2, v166
	s_delay_alu instid0(VALU_DEP_1) | instskip(NEXT) | instid1(VALU_DEP_1)
	v_add_f32_e32 v2, v2, v162
	v_add_f32_e32 v2, v2, v163
	;; [unrolled: 3-line block ×5, first 2 shown]
	s_delay_alu instid0(VALU_DEP_1) | instskip(NEXT) | instid1(VALU_DEP_1)
	v_add_f32_e32 v2, v2, v171
	v_dual_add_f32 v2, v2, v173 :: v_dual_add_f32 v1, v1, v26
	s_delay_alu instid0(VALU_DEP_1) | instskip(NEXT) | instid1(VALU_DEP_1)
	v_add_f32_e32 v2, v2, v175
	v_dual_add_f32 v1, v1, v27 :: v_dual_add_f32 v2, v2, v177
	s_delay_alu instid0(VALU_DEP_1) | instskip(NEXT) | instid1(VALU_DEP_1)
	v_dual_add_f32 v1, v1, v28 :: v_dual_add_f32 v2, v2, v179
	v_add_f32_e32 v1, v1, v29
	s_delay_alu instid0(VALU_DEP_2) | instskip(NEXT) | instid1(VALU_DEP_1)
	v_add_f32_e32 v2, v2, v181
	v_dual_add_f32 v1, v1, v13 :: v_dual_add_f32 v2, v2, v183
	s_delay_alu instid0(VALU_DEP_1) | instskip(NEXT) | instid1(VALU_DEP_1)
	v_dual_add_f32 v1, v1, v14 :: v_dual_add_f32 v2, v2, v185
	v_add_f32_e32 v1, v1, v16
	s_delay_alu instid0(VALU_DEP_1) | instskip(NEXT) | instid1(VALU_DEP_1)
	v_add_f32_e32 v1, v1, v17
	v_add_f32_e32 v1, v1, v164
	s_delay_alu instid0(VALU_DEP_1) | instskip(NEXT) | instid1(VALU_DEP_1)
	v_add_f32_e32 v1, v1, v165
	;; [unrolled: 3-line block ×11, first 2 shown]
	v_add_f32_e32 v6, v1, v204
	v_dual_mul_f32 v229, v7, v4 :: v_dual_add_f32 v2, v2, v187
	s_delay_alu instid0(VALU_DEP_2) | instskip(NEXT) | instid1(VALU_DEP_2)
	v_add_f32_e32 v14, v6, v206
	v_add_f32_e32 v2, v2, v189
	s_delay_alu instid0(VALU_DEP_2) | instskip(NEXT) | instid1(VALU_DEP_2)
	v_add_f32_e32 v14, v14, v208
	v_add_f32_e32 v2, v2, v191
	s_delay_alu instid0(VALU_DEP_2) | instskip(NEXT) | instid1(VALU_DEP_1)
	v_add_f32_e32 v17, v14, v210
	v_dual_add_f32 v2, v2, v193 :: v_dual_add_f32 v17, v17, v212
	s_delay_alu instid0(VALU_DEP_1) | instskip(NEXT) | instid1(VALU_DEP_1)
	v_dual_add_f32 v2, v2, v195 :: v_dual_add_f32 v17, v17, v214
	v_dual_add_f32 v2, v2, v197 :: v_dual_add_f32 v17, v17, v216
	s_delay_alu instid0(VALU_DEP_1) | instskip(NEXT) | instid1(VALU_DEP_2)
	v_add_f32_e32 v22, v17, v218
	v_add_f32_e32 v2, v2, v199
	s_delay_alu instid0(VALU_DEP_2) | instskip(NEXT) | instid1(VALU_DEP_2)
	v_add_f32_e32 v22, v22, v220
	v_add_f32_e32 v5, v2, v201
	s_delay_alu instid0(VALU_DEP_1) | instskip(NEXT) | instid1(VALU_DEP_1)
	v_dual_add_f32 v22, v22, v222 :: v_dual_add_f32 v13, v5, v203
	v_add_f32_e32 v13, v13, v205
	s_delay_alu instid0(VALU_DEP_1)
	v_add_f32_e32 v13, v13, v207
	v_fmac_f32_e32 v229, v8, v3
	ds_load_2addr_b64 v[1:4], v25 offset0:117 offset1:118
	scratch_load_b128 v[5:8], off, off offset:440
	v_add_f32_e32 v18, v13, v209
	ds_load_2addr_b64 v[13:16], v25 offset0:119 offset1:120
	v_add_f32_e32 v18, v18, v211
	s_delay_alu instid0(VALU_DEP_1) | instskip(NEXT) | instid1(VALU_DEP_1)
	v_add_f32_e32 v18, v18, v213
	v_add_f32_e32 v21, v18, v215
	scratch_load_b128 v[17:20], off, off offset:488
	s_wait_loadcnt_dscnt 0x201
	v_mul_f32_e32 v26, v1, v10
	v_dual_mul_f32 v10, v2, v10 :: v_dual_mul_f32 v27, v3, v12
	v_dual_mul_f32 v12, v4, v12 :: v_dual_add_f32 v21, v21, v217
	s_delay_alu instid0(VALU_DEP_3) | instskip(NEXT) | instid1(VALU_DEP_3)
	v_fmac_f32_e32 v26, v2, v9
	v_fma_f32 v28, v1, v9, -v10
	s_delay_alu instid0(VALU_DEP_4) | instskip(NEXT) | instid1(VALU_DEP_4)
	v_fmac_f32_e32 v27, v4, v11
	v_fma_f32 v29, v3, v11, -v12
	s_clause 0x1
	scratch_load_b128 v[1:4], off, off offset:456
	scratch_load_b128 v[9:12], off, off offset:472
	v_add_f32_e32 v21, v21, v219
	s_wait_loadcnt_dscnt 0x300
	v_mul_f32_e32 v32, v13, v6
	v_dual_mul_f32 v6, v14, v6 :: v_dual_mul_f32 v159, v15, v8
	v_mul_f32_e32 v8, v16, v8
	s_delay_alu instid0(VALU_DEP_3) | instskip(NEXT) | instid1(VALU_DEP_3)
	v_fmac_f32_e32 v32, v14, v5
	v_fma_f32 v160, v13, v5, -v6
	v_add_f32_e32 v13, v21, v221
	v_fmac_f32_e32 v159, v16, v7
	v_fma_f32 v162, v15, v7, -v8
	ds_load_2addr_b64 v[5:8], v25 offset0:121 offset1:122
	v_dual_add_f32 v21, v22, v224 :: v_dual_add_f32 v22, v13, v223
	ds_load_2addr_b64 v[13:16], v25 offset0:123 offset1:124
	v_dual_add_f32 v163, v21, v226 :: v_dual_add_f32 v164, v22, v225
	ds_load_2addr_b64 v[21:24], v25 offset0:125 offset1:126
	v_add_f32_e32 v25, v163, v228
	s_delay_alu instid0(VALU_DEP_1) | instskip(NEXT) | instid1(VALU_DEP_1)
	v_add_f32_e32 v25, v25, v230
	v_add_f32_e32 v25, v25, v28
	s_wait_loadcnt_dscnt 0x102
	v_mul_f32_e32 v28, v7, v4
	v_mul_f32_e32 v4, v8, v4
	v_dual_add_f32 v163, v164, v227 :: v_dual_mul_f32 v164, v5, v2
	v_dual_add_f32 v25, v25, v29 :: v_dual_mul_f32 v2, v6, v2
	s_delay_alu instid0(VALU_DEP_2) | instskip(NEXT) | instid1(VALU_DEP_2)
	v_dual_fmac_f32 v28, v8, v3 :: v_dual_add_f32 v163, v163, v229
	v_dual_fmac_f32 v164, v6, v1 :: v_dual_add_f32 v25, v25, v160
	s_delay_alu instid0(VALU_DEP_3)
	v_fma_f32 v2, v5, v1, -v2
	s_wait_loadcnt_dscnt 0x1
	v_mul_f32_e32 v6, v14, v10
	v_add_f32_e32 v26, v163, v26
	v_mul_f32_e32 v163, v13, v10
	v_add_f32_e32 v1, v25, v162
	v_fma_f32 v3, v7, v3, -v4
	s_delay_alu instid0(VALU_DEP_4) | instskip(NEXT) | instid1(VALU_DEP_3)
	v_dual_mul_f32 v165, v15, v12 :: v_dual_add_f32 v26, v26, v27
	v_dual_mul_f32 v4, v16, v12 :: v_dual_add_f32 v1, v1, v2
	v_fmac_f32_e32 v163, v14, v9
	s_wait_dscnt 0x0
	s_delay_alu instid0(VALU_DEP_3)
	v_dual_mul_f32 v27, v21, v18 :: v_dual_add_f32 v26, v26, v32
	v_fmac_f32_e32 v165, v16, v11
	v_add_f32_e32 v1, v1, v3
	v_mul_f32_e32 v3, v22, v18
	v_fma_f32 v4, v15, v11, -v4
	v_add_f32_e32 v5, v26, v159
	v_mul_f32_e32 v29, v23, v20
	v_fmac_f32_e32 v27, v22, v17
	v_fma_f32 v3, v21, v17, -v3
	s_delay_alu instid0(VALU_DEP_4) | instskip(SKIP_1) | instid1(VALU_DEP_2)
	v_add_f32_e32 v2, v5, v164
	v_fma_f32 v5, v13, v9, -v6
	v_dual_fmac_f32 v29, v24, v19 :: v_dual_add_f32 v2, v2, v28
	s_delay_alu instid0(VALU_DEP_2) | instskip(NEXT) | instid1(VALU_DEP_2)
	v_add_f32_e32 v1, v1, v5
	v_dual_mul_f32 v5, v24, v20 :: v_dual_add_f32 v2, v2, v163
	s_delay_alu instid0(VALU_DEP_2) | instskip(NEXT) | instid1(VALU_DEP_2)
	v_add_f32_e32 v1, v1, v4
	v_fma_f32 v4, v23, v19, -v5
	s_delay_alu instid0(VALU_DEP_2) | instskip(NEXT) | instid1(VALU_DEP_1)
	v_dual_add_f32 v2, v2, v165 :: v_dual_add_f32 v1, v1, v3
	v_dual_add_f32 v2, v2, v27 :: v_dual_add_f32 v1, v1, v4
	s_delay_alu instid0(VALU_DEP_1) | instskip(NEXT) | instid1(VALU_DEP_1)
	v_add_f32_e32 v2, v2, v29
	v_dual_sub_f32 v1, v30, v1 :: v_dual_sub_f32 v2, v31, v2
	scratch_store_b64 off, v[1:2], off offset:64
	v_cmpx_lt_u32_e32 7, v0
	s_cbranch_execz .LBB126_377
; %bb.376:
	scratch_load_b64 v[1:2], off, off offset:56
	v_mov_b32_e32 v3, 0
	s_delay_alu instid0(VALU_DEP_1)
	v_mov_b32_e32 v4, v3
	scratch_store_b64 off, v[3:4], off offset:56
	s_wait_loadcnt 0x0
	ds_store_b64 v161, v[1:2]
.LBB126_377:
	s_wait_alu 0xfffe
	s_or_b32 exec_lo, exec_lo, s0
	s_wait_storecnt_dscnt 0x0
	s_barrier_signal -1
	s_barrier_wait -1
	global_inv scope:SCOPE_SE
	s_clause 0x4
	scratch_load_b128 v[5:8], off, off offset:64
	scratch_load_b128 v[1:4], off, off offset:80
	;; [unrolled: 1-line block ×5, first 2 shown]
	v_mov_b32_e32 v29, 0
	ds_load_b128 v[21:24], v29 offset:576
	ds_load_b128 v[25:28], v29 offset:592
	;; [unrolled: 1-line block ×3, first 2 shown]
	scratch_load_b64 v[30:31], off, off offset:56
	s_mov_b32 s0, exec_lo
	s_wait_loadcnt_dscnt 0x502
	v_dual_mul_f32 v32, v21, v6 :: v_dual_mul_f32 v159, v23, v8
	v_mul_f32_e32 v6, v22, v6
	v_mul_f32_e32 v8, v24, v8
	s_wait_loadcnt_dscnt 0x300
	v_mul_f32_e32 v166, v164, v12
	v_dual_fmac_f32 v32, v22, v5 :: v_dual_fmac_f32 v159, v24, v7
	v_fma_f32 v21, v21, v5, -v6
	v_fma_f32 v22, v23, v7, -v8
	ds_load_b128 v[5:8], v29 offset:624
	v_dual_mul_f32 v23, v25, v2 :: v_dual_mul_f32 v24, v27, v4
	v_mul_f32_e32 v4, v28, v4
	v_mul_f32_e32 v160, v162, v10
	;; [unrolled: 1-line block ×5, first 2 shown]
	v_dual_fmac_f32 v23, v26, v1 :: v_dual_fmac_f32 v24, v28, v3
	v_fma_f32 v26, v27, v3, -v4
	v_fmac_f32_e32 v160, v163, v9
	v_fmac_f32_e32 v166, v165, v11
	v_fma_f32 v27, v162, v9, -v10
	v_fma_f32 v28, v164, v11, -v12
	ds_load_b128 v[9:12], v29 offset:640
	s_wait_loadcnt_dscnt 0x201
	v_mul_f32_e32 v163, v7, v16
	v_fma_f32 v25, v25, v1, -v2
	scratch_load_b128 v[1:4], off, off offset:144
	v_mul_f32_e32 v162, v5, v14
	v_mul_f32_e32 v14, v6, v14
	v_mul_f32_e32 v16, v8, v16
	s_delay_alu instid0(VALU_DEP_3) | instskip(NEXT) | instid1(VALU_DEP_3)
	v_dual_fmac_f32 v163, v8, v15 :: v_dual_fmac_f32 v162, v6, v13
	v_fma_f32 v13, v5, v13, -v14
	s_delay_alu instid0(VALU_DEP_3)
	v_fma_f32 v14, v7, v15, -v16
	ds_load_b128 v[5:8], v29 offset:656
	s_wait_loadcnt_dscnt 0x201
	v_mul_f32_e32 v15, v9, v18
	v_mul_f32_e32 v16, v10, v18
	v_mul_f32_e32 v18, v11, v20
	s_delay_alu instid0(VALU_DEP_3) | instskip(NEXT) | instid1(VALU_DEP_3)
	v_dual_mul_f32 v20, v12, v20 :: v_dual_fmac_f32 v15, v10, v17
	v_fma_f32 v16, v9, v17, -v16
	s_delay_alu instid0(VALU_DEP_3) | instskip(NEXT) | instid1(VALU_DEP_3)
	v_fmac_f32_e32 v18, v12, v19
	v_fma_f32 v17, v11, v19, -v20
	scratch_load_b128 v[9:12], off, off offset:160
	s_wait_loadcnt_dscnt 0x100
	v_mul_f32_e32 v19, v5, v2
	v_mul_f32_e32 v2, v6, v2
	;; [unrolled: 1-line block ×3, first 2 shown]
	s_delay_alu instid0(VALU_DEP_3) | instskip(NEXT) | instid1(VALU_DEP_3)
	v_dual_mul_f32 v4, v8, v4 :: v_dual_fmac_f32 v19, v6, v1
	v_fma_f32 v164, v5, v1, -v2
	s_delay_alu instid0(VALU_DEP_3) | instskip(NEXT) | instid1(VALU_DEP_3)
	v_fmac_f32_e32 v20, v8, v3
	v_fma_f32 v165, v7, v3, -v4
	ds_load_b128 v[1:4], v29 offset:672
	ds_load_b128 v[5:8], v29 offset:688
	s_wait_loadcnt_dscnt 0x1
	v_mul_f32_e32 v167, v1, v10
	v_mul_f32_e32 v10, v2, v10
	s_delay_alu instid0(VALU_DEP_2) | instskip(NEXT) | instid1(VALU_DEP_2)
	v_dual_mul_f32 v168, v3, v12 :: v_dual_fmac_f32 v167, v2, v9
	v_fma_f32 v169, v1, v9, -v10
	v_mul_f32_e32 v1, v4, v12
	s_delay_alu instid0(VALU_DEP_3) | instskip(NEXT) | instid1(VALU_DEP_2)
	v_fmac_f32_e32 v168, v4, v11
	v_fma_f32 v170, v3, v11, -v1
	s_clause 0x1
	scratch_load_b128 v[1:4], off, off offset:176
	scratch_load_b128 v[9:12], off, off offset:192
	s_wait_loadcnt_dscnt 0x100
	v_mul_f32_e32 v171, v5, v2
	v_dual_mul_f32 v2, v6, v2 :: v_dual_mul_f32 v173, v7, v4
	s_delay_alu instid0(VALU_DEP_2) | instskip(NEXT) | instid1(VALU_DEP_2)
	v_fmac_f32_e32 v171, v6, v1
	v_fma_f32 v172, v5, v1, -v2
	v_mul_f32_e32 v1, v8, v4
	s_delay_alu instid0(VALU_DEP_4) | instskip(NEXT) | instid1(VALU_DEP_2)
	v_fmac_f32_e32 v173, v8, v3
	v_fma_f32 v174, v7, v3, -v1
	ds_load_b128 v[1:4], v29 offset:704
	ds_load_b128 v[5:8], v29 offset:720
	s_wait_loadcnt_dscnt 0x1
	v_mul_f32_e32 v175, v1, v10
	v_mul_f32_e32 v177, v3, v12
	s_delay_alu instid0(VALU_DEP_2) | instskip(NEXT) | instid1(VALU_DEP_2)
	v_fmac_f32_e32 v175, v2, v9
	v_dual_mul_f32 v2, v2, v10 :: v_dual_fmac_f32 v177, v4, v11
	s_delay_alu instid0(VALU_DEP_1) | instskip(SKIP_1) | instid1(VALU_DEP_1)
	v_fma_f32 v176, v1, v9, -v2
	v_mul_f32_e32 v1, v4, v12
	v_fma_f32 v178, v3, v11, -v1
	s_clause 0x1
	scratch_load_b128 v[1:4], off, off offset:208
	scratch_load_b128 v[9:12], off, off offset:224
	s_wait_loadcnt_dscnt 0x100
	v_mul_f32_e32 v179, v5, v2
	v_dual_mul_f32 v2, v6, v2 :: v_dual_mul_f32 v181, v7, v4
	s_delay_alu instid0(VALU_DEP_2) | instskip(NEXT) | instid1(VALU_DEP_2)
	v_fmac_f32_e32 v179, v6, v1
	v_fma_f32 v180, v5, v1, -v2
	v_mul_f32_e32 v1, v8, v4
	s_delay_alu instid0(VALU_DEP_4) | instskip(NEXT) | instid1(VALU_DEP_2)
	v_fmac_f32_e32 v181, v8, v3
	v_fma_f32 v182, v7, v3, -v1
	ds_load_b128 v[1:4], v29 offset:736
	ds_load_b128 v[5:8], v29 offset:752
	s_wait_loadcnt_dscnt 0x1
	v_mul_f32_e32 v183, v1, v10
	v_mul_f32_e32 v185, v3, v12
	s_delay_alu instid0(VALU_DEP_2) | instskip(NEXT) | instid1(VALU_DEP_2)
	v_fmac_f32_e32 v183, v2, v9
	v_dual_mul_f32 v2, v2, v10 :: v_dual_fmac_f32 v185, v4, v11
	s_delay_alu instid0(VALU_DEP_1) | instskip(SKIP_1) | instid1(VALU_DEP_1)
	v_fma_f32 v184, v1, v9, -v2
	v_mul_f32_e32 v1, v4, v12
	;; [unrolled: 25-line block ×7, first 2 shown]
	v_fma_f32 v226, v3, v11, -v1
	s_clause 0x1
	scratch_load_b128 v[1:4], off, off offset:400
	scratch_load_b128 v[9:12], off, off offset:416
	s_wait_loadcnt_dscnt 0x100
	v_mul_f32_e32 v227, v5, v2
	v_mul_f32_e32 v2, v6, v2
	s_delay_alu instid0(VALU_DEP_2) | instskip(NEXT) | instid1(VALU_DEP_2)
	v_fmac_f32_e32 v227, v6, v1
	v_fma_f32 v228, v5, v1, -v2
	v_add_f32_e32 v2, 0, v32
	s_delay_alu instid0(VALU_DEP_1) | instskip(NEXT) | instid1(VALU_DEP_1)
	v_dual_mul_f32 v1, v8, v4 :: v_dual_add_f32 v2, v2, v159
	v_fma_f32 v230, v7, v3, -v1
	s_delay_alu instid0(VALU_DEP_2) | instskip(NEXT) | instid1(VALU_DEP_1)
	v_dual_add_f32 v1, 0, v21 :: v_dual_add_f32 v2, v2, v23
	v_dual_add_f32 v1, v1, v22 :: v_dual_add_f32 v2, v2, v24
	s_delay_alu instid0(VALU_DEP_1) | instskip(NEXT) | instid1(VALU_DEP_1)
	v_dual_add_f32 v1, v1, v25 :: v_dual_add_f32 v2, v2, v160
	v_add_f32_e32 v2, v2, v166
	s_delay_alu instid0(VALU_DEP_1) | instskip(NEXT) | instid1(VALU_DEP_1)
	v_add_f32_e32 v2, v2, v162
	v_add_f32_e32 v2, v2, v163
	s_delay_alu instid0(VALU_DEP_1) | instskip(NEXT) | instid1(VALU_DEP_1)
	v_add_f32_e32 v2, v2, v15
	;; [unrolled: 3-line block ×6, first 2 shown]
	v_dual_add_f32 v2, v2, v177 :: v_dual_add_f32 v1, v1, v26
	scratch_load_b64 v[25:26], off, off offset:496
	v_add_f32_e32 v2, v2, v179
	s_delay_alu instid0(VALU_DEP_1) | instskip(NEXT) | instid1(VALU_DEP_1)
	v_dual_add_f32 v1, v1, v27 :: v_dual_add_f32 v2, v2, v181
	v_dual_add_f32 v1, v1, v28 :: v_dual_add_f32 v2, v2, v183
	s_delay_alu instid0(VALU_DEP_1) | instskip(NEXT) | instid1(VALU_DEP_1)
	v_add_f32_e32 v1, v1, v13
	v_dual_add_f32 v2, v2, v185 :: v_dual_add_f32 v1, v1, v14
	s_delay_alu instid0(VALU_DEP_1) | instskip(NEXT) | instid1(VALU_DEP_1)
	v_add_f32_e32 v1, v1, v16
	v_add_f32_e32 v1, v1, v17
	s_delay_alu instid0(VALU_DEP_1) | instskip(NEXT) | instid1(VALU_DEP_1)
	v_add_f32_e32 v1, v1, v164
	v_add_f32_e32 v1, v1, v165
	;; [unrolled: 3-line block ×11, first 2 shown]
	s_delay_alu instid0(VALU_DEP_1) | instskip(SKIP_1) | instid1(VALU_DEP_2)
	v_add_f32_e32 v6, v1, v204
	v_add_f32_e32 v2, v2, v187
	;; [unrolled: 1-line block ×3, first 2 shown]
	s_delay_alu instid0(VALU_DEP_2) | instskip(NEXT) | instid1(VALU_DEP_2)
	v_add_f32_e32 v2, v2, v189
	v_add_f32_e32 v14, v14, v208
	s_delay_alu instid0(VALU_DEP_2) | instskip(NEXT) | instid1(VALU_DEP_2)
	v_add_f32_e32 v2, v2, v191
	v_add_f32_e32 v17, v14, v210
	s_delay_alu instid0(VALU_DEP_1) | instskip(NEXT) | instid1(VALU_DEP_1)
	v_dual_add_f32 v2, v2, v193 :: v_dual_add_f32 v17, v17, v212
	v_dual_add_f32 v2, v2, v195 :: v_dual_add_f32 v17, v17, v214
	s_delay_alu instid0(VALU_DEP_1) | instskip(NEXT) | instid1(VALU_DEP_1)
	v_dual_add_f32 v2, v2, v197 :: v_dual_add_f32 v17, v17, v216
	v_add_f32_e32 v22, v17, v218
	s_delay_alu instid0(VALU_DEP_2) | instskip(NEXT) | instid1(VALU_DEP_2)
	v_add_f32_e32 v2, v2, v199
	v_add_f32_e32 v22, v22, v220
	s_delay_alu instid0(VALU_DEP_2) | instskip(NEXT) | instid1(VALU_DEP_1)
	v_add_f32_e32 v5, v2, v201
	v_dual_add_f32 v22, v22, v222 :: v_dual_add_f32 v13, v5, v203
	s_delay_alu instid0(VALU_DEP_1) | instskip(NEXT) | instid1(VALU_DEP_1)
	v_dual_add_f32 v22, v22, v224 :: v_dual_add_f32 v13, v13, v205
	v_add_f32_e32 v13, v13, v207
	s_delay_alu instid0(VALU_DEP_1) | instskip(NEXT) | instid1(VALU_DEP_1)
	v_dual_mul_f32 v229, v7, v4 :: v_dual_add_f32 v18, v13, v209
	v_fmac_f32_e32 v229, v8, v3
	scratch_load_b128 v[1:4], off, off offset:432
	ds_load_b128 v[5:8], v29 offset:928
	ds_load_b128 v[13:16], v29 offset:944
	s_wait_loadcnt_dscnt 0x201
	v_mul_f32_e32 v32, v5, v10
	v_dual_mul_f32 v10, v6, v10 :: v_dual_mul_f32 v159, v7, v12
	v_mul_f32_e32 v12, v8, v12
	s_delay_alu instid0(VALU_DEP_3) | instskip(NEXT) | instid1(VALU_DEP_3)
	v_fmac_f32_e32 v32, v6, v9
	v_fma_f32 v160, v5, v9, -v10
	s_delay_alu instid0(VALU_DEP_4) | instskip(NEXT) | instid1(VALU_DEP_4)
	v_fmac_f32_e32 v159, v8, v11
	v_fma_f32 v162, v7, v11, -v12
	s_clause 0x1
	scratch_load_b128 v[5:8], off, off offset:448
	scratch_load_b128 v[9:12], off, off offset:464
	s_wait_loadcnt_dscnt 0x200
	v_dual_mul_f32 v164, v15, v4 :: v_dual_mul_f32 v163, v13, v2
	v_mul_f32_e32 v2, v14, v2
	v_mul_f32_e32 v4, v16, v4
	s_delay_alu instid0(VALU_DEP_3)
	v_fmac_f32_e32 v164, v16, v3
	v_add_f32_e32 v18, v18, v211
	v_fmac_f32_e32 v163, v14, v1
	v_add_f32_e32 v14, v22, v226
	v_fma_f32 v165, v13, v1, -v2
	v_fma_f32 v166, v15, v3, -v4
	v_add_f32_e32 v18, v18, v213
	ds_load_b128 v[1:4], v29 offset:960
	v_add_f32_e32 v27, v14, v228
	v_add_f32_e32 v21, v18, v215
	scratch_load_b128 v[17:20], off, off offset:480
	v_add_f32_e32 v167, v27, v230
	s_delay_alu instid0(VALU_DEP_1) | instskip(NEXT) | instid1(VALU_DEP_1)
	v_dual_add_f32 v21, v21, v217 :: v_dual_add_f32 v160, v167, v160
	v_dual_add_f32 v21, v21, v219 :: v_dual_add_f32 v160, v160, v162
	s_delay_alu instid0(VALU_DEP_1) | instskip(NEXT) | instid1(VALU_DEP_1)
	v_add_f32_e32 v21, v21, v221
	v_dual_add_f32 v160, v160, v165 :: v_dual_add_f32 v13, v21, v223
	s_delay_alu instid0(VALU_DEP_1)
	v_dual_add_f32 v160, v160, v166 :: v_dual_add_f32 v21, v13, v225
	ds_load_b128 v[13:16], v29 offset:976
	s_wait_loadcnt_dscnt 0x201
	v_mul_f32_e32 v167, v1, v6
	v_mul_f32_e32 v6, v2, v6
	v_add_f32_e32 v28, v21, v227
	ds_load_b128 v[21:24], v29 offset:992
	v_fmac_f32_e32 v167, v2, v5
	v_fma_f32 v1, v1, v5, -v6
	v_add_f32_e32 v168, v28, v229
	ds_load_b64 v[27:28], v29 offset:1008
	v_add_f32_e32 v1, v160, v1
	v_add_f32_e32 v32, v168, v32
	s_delay_alu instid0(VALU_DEP_1) | instskip(SKIP_3) | instid1(VALU_DEP_3)
	v_dual_add_f32 v32, v32, v159 :: v_dual_mul_f32 v159, v3, v8
	v_mul_f32_e32 v8, v4, v8
	s_wait_loadcnt_dscnt 0x102
	v_dual_mul_f32 v162, v13, v10 :: v_dual_mul_f32 v5, v16, v12
	v_add_f32_e32 v32, v32, v163
	v_fmac_f32_e32 v159, v4, v7
	v_fma_f32 v2, v3, v7, -v8
	v_mul_f32_e32 v3, v14, v10
	v_mul_f32_e32 v163, v15, v12
	v_add_f32_e32 v32, v32, v164
	s_delay_alu instid0(VALU_DEP_4) | instskip(NEXT) | instid1(VALU_DEP_4)
	v_dual_fmac_f32 v162, v14, v9 :: v_dual_add_f32 v1, v1, v2
	v_fma_f32 v3, v13, v9, -v3
	s_delay_alu instid0(VALU_DEP_4) | instskip(NEXT) | instid1(VALU_DEP_4)
	v_fmac_f32_e32 v163, v16, v11
	v_add_f32_e32 v4, v32, v167
	v_fma_f32 v5, v15, v11, -v5
	s_wait_dscnt 0x0
	v_dual_mul_f32 v164, v27, v26 :: v_dual_add_f32 v1, v1, v3
	s_delay_alu instid0(VALU_DEP_3) | instskip(NEXT) | instid1(VALU_DEP_2)
	v_add_f32_e32 v2, v4, v159
	v_fmac_f32_e32 v164, v28, v25
	s_delay_alu instid0(VALU_DEP_3) | instskip(SKIP_1) | instid1(VALU_DEP_4)
	v_add_f32_e32 v1, v1, v5
	v_mul_f32_e32 v5, v28, v26
	v_add_f32_e32 v2, v2, v162
	s_wait_loadcnt 0x0
	s_delay_alu instid0(VALU_DEP_1) | instskip(SKIP_3) | instid1(VALU_DEP_4)
	v_dual_add_f32 v2, v2, v163 :: v_dual_mul_f32 v165, v21, v18
	v_mul_f32_e32 v4, v22, v18
	v_mul_f32_e32 v166, v23, v20
	;; [unrolled: 1-line block ×3, first 2 shown]
	v_fmac_f32_e32 v165, v22, v17
	s_delay_alu instid0(VALU_DEP_4) | instskip(NEXT) | instid1(VALU_DEP_4)
	v_fma_f32 v4, v21, v17, -v4
	v_fmac_f32_e32 v166, v24, v19
	s_delay_alu instid0(VALU_DEP_4) | instskip(NEXT) | instid1(VALU_DEP_3)
	v_fma_f32 v3, v23, v19, -v3
	v_dual_add_f32 v2, v2, v165 :: v_dual_add_f32 v1, v1, v4
	v_fma_f32 v4, v27, v25, -v5
	s_delay_alu instid0(VALU_DEP_2) | instskip(NEXT) | instid1(VALU_DEP_1)
	v_dual_add_f32 v2, v2, v166 :: v_dual_add_f32 v1, v1, v3
	v_add_f32_e32 v2, v2, v164
	s_delay_alu instid0(VALU_DEP_1) | instskip(NEXT) | instid1(VALU_DEP_1)
	v_dual_add_f32 v1, v1, v4 :: v_dual_sub_f32 v2, v31, v2
	v_sub_f32_e32 v1, v30, v1
	scratch_store_b64 off, v[1:2], off offset:56
	v_cmpx_lt_u32_e32 6, v0
	s_cbranch_execz .LBB126_379
; %bb.378:
	scratch_load_b64 v[1:2], off, off offset:48
	v_mov_b32_e32 v30, v29
	scratch_store_b64 off, v[29:30], off offset:48
	s_wait_loadcnt 0x0
	ds_store_b64 v161, v[1:2]
.LBB126_379:
	s_wait_alu 0xfffe
	s_or_b32 exec_lo, exec_lo, s0
	s_wait_storecnt_dscnt 0x0
	s_barrier_signal -1
	s_barrier_wait -1
	global_inv scope:SCOPE_SE
	s_clause 0x4
	scratch_load_b128 v[5:8], off, off offset:56
	scratch_load_b128 v[1:4], off, off offset:72
	;; [unrolled: 1-line block ×5, first 2 shown]
	ds_load_2addr_b64 v[21:24], v29 offset0:71 offset1:72
	ds_load_2addr_b64 v[25:28], v29 offset0:73 offset1:74
	;; [unrolled: 1-line block ×3, first 2 shown]
	scratch_load_b64 v[30:31], off, off offset:48
	s_mov_b32 s0, exec_lo
	s_wait_loadcnt_dscnt 0x502
	v_dual_mul_f32 v32, v21, v6 :: v_dual_mul_f32 v159, v23, v8
	v_mul_f32_e32 v6, v22, v6
	v_mul_f32_e32 v8, v24, v8
	s_wait_loadcnt_dscnt 0x300
	v_mul_f32_e32 v160, v162, v10
	v_dual_fmac_f32 v32, v22, v5 :: v_dual_fmac_f32 v159, v24, v7
	v_fma_f32 v21, v21, v5, -v6
	v_fma_f32 v22, v23, v7, -v8
	ds_load_2addr_b64 v[5:8], v29 offset0:77 offset1:78
	v_dual_mul_f32 v23, v25, v2 :: v_dual_mul_f32 v24, v27, v4
	v_mul_f32_e32 v4, v28, v4
	v_mul_f32_e32 v166, v164, v12
	;; [unrolled: 1-line block ×5, first 2 shown]
	v_dual_fmac_f32 v23, v26, v1 :: v_dual_fmac_f32 v24, v28, v3
	v_fma_f32 v26, v27, v3, -v4
	v_fmac_f32_e32 v160, v163, v9
	v_fmac_f32_e32 v166, v165, v11
	v_fma_f32 v27, v162, v9, -v10
	v_fma_f32 v28, v164, v11, -v12
	ds_load_2addr_b64 v[9:12], v29 offset0:79 offset1:80
	s_wait_loadcnt_dscnt 0x201
	v_dual_mul_f32 v163, v7, v16 :: v_dual_mul_f32 v162, v5, v14
	v_mul_f32_e32 v14, v6, v14
	v_mul_f32_e32 v16, v8, v16
	s_delay_alu instid0(VALU_DEP_3)
	v_fmac_f32_e32 v163, v8, v15
	v_fma_f32 v25, v25, v1, -v2
	scratch_load_b128 v[1:4], off, off offset:136
	v_fmac_f32_e32 v162, v6, v13
	v_fma_f32 v13, v5, v13, -v14
	v_fma_f32 v14, v7, v15, -v16
	ds_load_2addr_b64 v[5:8], v29 offset0:81 offset1:82
	s_wait_loadcnt_dscnt 0x201
	v_mul_f32_e32 v15, v9, v18
	v_mul_f32_e32 v16, v10, v18
	v_mul_f32_e32 v18, v11, v20
	s_delay_alu instid0(VALU_DEP_3) | instskip(NEXT) | instid1(VALU_DEP_3)
	v_dual_mul_f32 v20, v12, v20 :: v_dual_fmac_f32 v15, v10, v17
	v_fma_f32 v16, v9, v17, -v16
	s_delay_alu instid0(VALU_DEP_3) | instskip(NEXT) | instid1(VALU_DEP_3)
	v_fmac_f32_e32 v18, v12, v19
	v_fma_f32 v17, v11, v19, -v20
	scratch_load_b128 v[9:12], off, off offset:152
	s_wait_loadcnt_dscnt 0x100
	v_mul_f32_e32 v19, v5, v2
	v_mul_f32_e32 v2, v6, v2
	;; [unrolled: 1-line block ×3, first 2 shown]
	s_delay_alu instid0(VALU_DEP_3) | instskip(NEXT) | instid1(VALU_DEP_3)
	v_dual_mul_f32 v4, v8, v4 :: v_dual_fmac_f32 v19, v6, v1
	v_fma_f32 v164, v5, v1, -v2
	s_delay_alu instid0(VALU_DEP_3) | instskip(NEXT) | instid1(VALU_DEP_3)
	v_fmac_f32_e32 v20, v8, v3
	v_fma_f32 v165, v7, v3, -v4
	ds_load_2addr_b64 v[1:4], v29 offset0:83 offset1:84
	ds_load_2addr_b64 v[5:8], v29 offset0:85 offset1:86
	s_wait_loadcnt_dscnt 0x1
	v_mul_f32_e32 v167, v1, v10
	v_mul_f32_e32 v10, v2, v10
	s_delay_alu instid0(VALU_DEP_2) | instskip(NEXT) | instid1(VALU_DEP_2)
	v_dual_mul_f32 v168, v3, v12 :: v_dual_fmac_f32 v167, v2, v9
	v_fma_f32 v169, v1, v9, -v10
	v_mul_f32_e32 v1, v4, v12
	s_delay_alu instid0(VALU_DEP_3) | instskip(NEXT) | instid1(VALU_DEP_2)
	v_fmac_f32_e32 v168, v4, v11
	v_fma_f32 v170, v3, v11, -v1
	s_clause 0x1
	scratch_load_b128 v[1:4], off, off offset:168
	scratch_load_b128 v[9:12], off, off offset:184
	s_wait_loadcnt_dscnt 0x100
	v_mul_f32_e32 v171, v5, v2
	v_dual_mul_f32 v2, v6, v2 :: v_dual_mul_f32 v173, v7, v4
	s_delay_alu instid0(VALU_DEP_2) | instskip(NEXT) | instid1(VALU_DEP_2)
	v_fmac_f32_e32 v171, v6, v1
	v_fma_f32 v172, v5, v1, -v2
	v_mul_f32_e32 v1, v8, v4
	s_delay_alu instid0(VALU_DEP_4) | instskip(NEXT) | instid1(VALU_DEP_2)
	v_fmac_f32_e32 v173, v8, v3
	v_fma_f32 v174, v7, v3, -v1
	ds_load_2addr_b64 v[1:4], v29 offset0:87 offset1:88
	ds_load_2addr_b64 v[5:8], v29 offset0:89 offset1:90
	s_wait_loadcnt_dscnt 0x1
	v_mul_f32_e32 v175, v1, v10
	v_mul_f32_e32 v177, v3, v12
	s_delay_alu instid0(VALU_DEP_2) | instskip(NEXT) | instid1(VALU_DEP_2)
	v_fmac_f32_e32 v175, v2, v9
	v_dual_mul_f32 v2, v2, v10 :: v_dual_fmac_f32 v177, v4, v11
	s_delay_alu instid0(VALU_DEP_1) | instskip(SKIP_1) | instid1(VALU_DEP_1)
	v_fma_f32 v176, v1, v9, -v2
	v_mul_f32_e32 v1, v4, v12
	v_fma_f32 v178, v3, v11, -v1
	s_clause 0x1
	scratch_load_b128 v[1:4], off, off offset:200
	scratch_load_b128 v[9:12], off, off offset:216
	s_wait_loadcnt_dscnt 0x100
	v_mul_f32_e32 v179, v5, v2
	v_dual_mul_f32 v2, v6, v2 :: v_dual_mul_f32 v181, v7, v4
	s_delay_alu instid0(VALU_DEP_2) | instskip(NEXT) | instid1(VALU_DEP_2)
	v_fmac_f32_e32 v179, v6, v1
	v_fma_f32 v180, v5, v1, -v2
	v_mul_f32_e32 v1, v8, v4
	s_delay_alu instid0(VALU_DEP_4) | instskip(NEXT) | instid1(VALU_DEP_2)
	v_fmac_f32_e32 v181, v8, v3
	v_fma_f32 v182, v7, v3, -v1
	ds_load_2addr_b64 v[1:4], v29 offset0:91 offset1:92
	ds_load_2addr_b64 v[5:8], v29 offset0:93 offset1:94
	s_wait_loadcnt_dscnt 0x1
	v_mul_f32_e32 v183, v1, v10
	v_mul_f32_e32 v185, v3, v12
	s_delay_alu instid0(VALU_DEP_2) | instskip(NEXT) | instid1(VALU_DEP_2)
	v_fmac_f32_e32 v183, v2, v9
	v_dual_mul_f32 v2, v2, v10 :: v_dual_fmac_f32 v185, v4, v11
	s_delay_alu instid0(VALU_DEP_1) | instskip(SKIP_1) | instid1(VALU_DEP_1)
	v_fma_f32 v184, v1, v9, -v2
	v_mul_f32_e32 v1, v4, v12
	;; [unrolled: 25-line block ×8, first 2 shown]
	v_fma_f32 v234, v3, v11, -v1
	s_clause 0x1
	scratch_load_b128 v[1:4], off, off offset:424
	scratch_load_b128 v[9:12], off, off offset:440
	s_wait_loadcnt_dscnt 0x100
	v_mul_f32_e32 v235, v5, v2
	v_dual_mul_f32 v2, v6, v2 :: v_dual_mul_f32 v237, v7, v4
	s_delay_alu instid0(VALU_DEP_2) | instskip(NEXT) | instid1(VALU_DEP_2)
	v_fmac_f32_e32 v235, v6, v1
	v_fma_f32 v236, v5, v1, -v2
	v_mul_f32_e32 v1, v8, v4
	v_add_f32_e32 v2, 0, v32
	s_delay_alu instid0(VALU_DEP_2) | instskip(NEXT) | instid1(VALU_DEP_2)
	v_fma_f32 v238, v7, v3, -v1
	v_dual_add_f32 v1, 0, v21 :: v_dual_add_f32 v2, v2, v159
	s_delay_alu instid0(VALU_DEP_1) | instskip(NEXT) | instid1(VALU_DEP_1)
	v_dual_add_f32 v1, v1, v22 :: v_dual_add_f32 v2, v2, v23
	v_dual_add_f32 v1, v1, v25 :: v_dual_add_f32 v2, v2, v24
	s_delay_alu instid0(VALU_DEP_1) | instskip(NEXT) | instid1(VALU_DEP_1)
	v_dual_add_f32 v1, v1, v26 :: v_dual_add_f32 v2, v2, v160
	;; [unrolled: 3-line block ×5, first 2 shown]
	v_add_f32_e32 v1, v1, v164
	s_delay_alu instid0(VALU_DEP_1) | instskip(NEXT) | instid1(VALU_DEP_1)
	v_dual_add_f32 v2, v2, v20 :: v_dual_add_f32 v1, v1, v165
	v_dual_add_f32 v2, v2, v167 :: v_dual_add_f32 v1, v1, v169
	s_delay_alu instid0(VALU_DEP_1) | instskip(NEXT) | instid1(VALU_DEP_1)
	v_dual_add_f32 v2, v2, v168 :: v_dual_add_f32 v1, v1, v170
	v_dual_add_f32 v2, v2, v171 :: v_dual_add_f32 v1, v1, v172
	;; [unrolled: 3-line block ×5, first 2 shown]
	s_delay_alu instid0(VALU_DEP_1) | instskip(NEXT) | instid1(VALU_DEP_1)
	v_dual_add_f32 v2, v2, v185 :: v_dual_add_f32 v1, v1, v186
	v_add_f32_e32 v1, v1, v188
	s_delay_alu instid0(VALU_DEP_1) | instskip(NEXT) | instid1(VALU_DEP_1)
	v_add_f32_e32 v1, v1, v190
	v_add_f32_e32 v1, v1, v192
	s_delay_alu instid0(VALU_DEP_1) | instskip(NEXT) | instid1(VALU_DEP_1)
	v_add_f32_e32 v1, v1, v194
	;; [unrolled: 3-line block ×5, first 2 shown]
	v_add_f32_e32 v1, v1, v208
	s_delay_alu instid0(VALU_DEP_1) | instskip(SKIP_1) | instid1(VALU_DEP_2)
	v_add_f32_e32 v6, v1, v210
	v_add_f32_e32 v2, v2, v187
	;; [unrolled: 1-line block ×3, first 2 shown]
	s_delay_alu instid0(VALU_DEP_2) | instskip(NEXT) | instid1(VALU_DEP_2)
	v_add_f32_e32 v2, v2, v189
	v_add_f32_e32 v13, v6, v214
	s_delay_alu instid0(VALU_DEP_1) | instskip(NEXT) | instid1(VALU_DEP_1)
	v_dual_add_f32 v2, v2, v191 :: v_dual_add_f32 v13, v13, v216
	v_dual_add_f32 v2, v2, v193 :: v_dual_add_f32 v13, v13, v218
	s_delay_alu instid0(VALU_DEP_1) | instskip(NEXT) | instid1(VALU_DEP_1)
	v_dual_add_f32 v2, v2, v195 :: v_dual_add_f32 v13, v13, v220
	v_add_f32_e32 v2, v2, v197
	s_delay_alu instid0(VALU_DEP_2) | instskip(NEXT) | instid1(VALU_DEP_2)
	v_add_f32_e32 v18, v13, v222
	v_add_f32_e32 v2, v2, v199
	s_delay_alu instid0(VALU_DEP_2) | instskip(NEXT) | instid1(VALU_DEP_2)
	v_dual_fmac_f32 v237, v8, v3 :: v_dual_add_f32 v18, v18, v224
	v_add_f32_e32 v2, v2, v201
	s_delay_alu instid0(VALU_DEP_2) | instskip(NEXT) | instid1(VALU_DEP_2)
	v_add_f32_e32 v18, v18, v226
	v_add_f32_e32 v2, v2, v203
	s_delay_alu instid0(VALU_DEP_2) | instskip(NEXT) | instid1(VALU_DEP_2)
	v_add_f32_e32 v21, v18, v228
	v_add_f32_e32 v2, v2, v205
	s_delay_alu instid0(VALU_DEP_1) | instskip(SKIP_2) | instid1(VALU_DEP_1)
	v_dual_add_f32 v32, v21, v230 :: v_dual_add_f32 v5, v2, v207
	ds_load_2addr_b64 v[1:4], v29 offset0:119 offset1:120
	v_add_f32_e32 v5, v5, v209
	v_add_f32_e32 v5, v5, v211
	s_delay_alu instid0(VALU_DEP_1)
	v_add_f32_e32 v14, v5, v213
	ds_load_2addr_b64 v[5:8], v29 offset0:121 offset1:122
	s_wait_loadcnt_dscnt 0x1
	v_dual_add_f32 v14, v14, v215 :: v_dual_mul_f32 v25, v1, v10
	v_mul_f32_e32 v26, v3, v12
	v_mul_f32_e32 v10, v2, v10
	;; [unrolled: 1-line block ×3, first 2 shown]
	s_delay_alu instid0(VALU_DEP_4) | instskip(NEXT) | instid1(VALU_DEP_4)
	v_add_f32_e32 v14, v14, v217
	v_dual_fmac_f32 v25, v2, v9 :: v_dual_fmac_f32 v26, v4, v11
	s_delay_alu instid0(VALU_DEP_4) | instskip(NEXT) | instid1(VALU_DEP_4)
	v_fma_f32 v27, v1, v9, -v10
	v_fma_f32 v28, v3, v11, -v12
	s_clause 0x1
	scratch_load_b128 v[1:4], off, off offset:456
	scratch_load_b128 v[9:12], off, off offset:472
	v_add_f32_e32 v17, v14, v219
	scratch_load_b128 v[13:16], off, off offset:488
	s_wait_loadcnt_dscnt 0x200
	v_dual_add_f32 v17, v17, v221 :: v_dual_mul_f32 v160, v7, v4
	s_delay_alu instid0(VALU_DEP_1) | instskip(NEXT) | instid1(VALU_DEP_1)
	v_dual_add_f32 v17, v17, v223 :: v_dual_mul_f32 v4, v8, v4
	v_dual_fmac_f32 v160, v8, v3 :: v_dual_add_f32 v17, v17, v225
	s_delay_alu instid0(VALU_DEP_2) | instskip(NEXT) | instid1(VALU_DEP_2)
	v_fma_f32 v3, v7, v3, -v4
	v_add_f32_e32 v22, v17, v227
	ds_load_2addr_b64 v[17:20], v29 offset0:123 offset1:124
	v_add_f32_e32 v159, v22, v229
	ds_load_2addr_b64 v[21:24], v29 offset0:125 offset1:126
	v_add_f32_e32 v29, v32, v232
	s_delay_alu instid0(VALU_DEP_1) | instskip(NEXT) | instid1(VALU_DEP_1)
	v_add_f32_e32 v29, v29, v234
	v_add_f32_e32 v29, v29, v236
	s_wait_loadcnt_dscnt 0x101
	v_mul_f32_e32 v162, v17, v10
	s_delay_alu instid0(VALU_DEP_2)
	v_add_f32_e32 v29, v29, v238
	v_mul_f32_e32 v163, v19, v12
	v_mul_f32_e32 v4, v20, v12
	s_wait_loadcnt_dscnt 0x0
	v_mul_f32_e32 v164, v21, v14
	v_dual_add_f32 v32, v159, v231 :: v_dual_mul_f32 v159, v5, v2
	v_dual_mul_f32 v2, v6, v2 :: v_dual_add_f32 v27, v29, v27
	v_fmac_f32_e32 v162, v18, v9
	s_delay_alu instid0(VALU_DEP_3) | instskip(NEXT) | instid1(VALU_DEP_4)
	v_add_f32_e32 v32, v32, v233
	v_fmac_f32_e32 v159, v6, v1
	s_delay_alu instid0(VALU_DEP_4) | instskip(SKIP_1) | instid1(VALU_DEP_4)
	v_fma_f32 v2, v5, v1, -v2
	v_dual_add_f32 v1, v27, v28 :: v_dual_mul_f32 v6, v18, v10
	v_add_f32_e32 v32, v32, v235
	v_fmac_f32_e32 v163, v20, v11
	v_fma_f32 v4, v19, v11, -v4
	s_delay_alu instid0(VALU_DEP_4) | instskip(NEXT) | instid1(VALU_DEP_4)
	v_add_f32_e32 v1, v1, v2
	v_dual_mul_f32 v29, v23, v16 :: v_dual_add_f32 v32, v32, v237
	s_delay_alu instid0(VALU_DEP_2) | instskip(SKIP_1) | instid1(VALU_DEP_3)
	v_dual_fmac_f32 v164, v22, v13 :: v_dual_add_f32 v1, v1, v3
	v_mul_f32_e32 v3, v22, v14
	v_add_f32_e32 v25, v32, v25
	s_delay_alu instid0(VALU_DEP_4) | instskip(NEXT) | instid1(VALU_DEP_3)
	v_fmac_f32_e32 v29, v24, v15
	v_fma_f32 v3, v21, v13, -v3
	s_delay_alu instid0(VALU_DEP_3) | instskip(NEXT) | instid1(VALU_DEP_1)
	v_add_f32_e32 v5, v25, v26
	v_add_f32_e32 v2, v5, v159
	v_fma_f32 v5, v17, v9, -v6
	s_delay_alu instid0(VALU_DEP_1) | instskip(NEXT) | instid1(VALU_DEP_1)
	v_dual_add_f32 v2, v2, v160 :: v_dual_add_f32 v1, v1, v5
	v_dual_mul_f32 v5, v24, v16 :: v_dual_add_f32 v2, v2, v162
	s_delay_alu instid0(VALU_DEP_2) | instskip(NEXT) | instid1(VALU_DEP_2)
	v_add_f32_e32 v1, v1, v4
	v_fma_f32 v4, v23, v15, -v5
	s_delay_alu instid0(VALU_DEP_3) | instskip(NEXT) | instid1(VALU_DEP_1)
	v_add_f32_e32 v2, v2, v163
	v_dual_add_f32 v1, v1, v3 :: v_dual_add_f32 v2, v2, v164
	s_delay_alu instid0(VALU_DEP_1) | instskip(NEXT) | instid1(VALU_DEP_1)
	v_dual_add_f32 v1, v1, v4 :: v_dual_add_f32 v2, v2, v29
	v_dual_sub_f32 v1, v30, v1 :: v_dual_sub_f32 v2, v31, v2
	scratch_store_b64 off, v[1:2], off offset:48
	v_cmpx_lt_u32_e32 5, v0
	s_cbranch_execz .LBB126_381
; %bb.380:
	scratch_load_b64 v[1:2], off, off offset:40
	v_mov_b32_e32 v3, 0
	s_delay_alu instid0(VALU_DEP_1)
	v_mov_b32_e32 v4, v3
	scratch_store_b64 off, v[3:4], off offset:40
	s_wait_loadcnt 0x0
	ds_store_b64 v161, v[1:2]
.LBB126_381:
	s_wait_alu 0xfffe
	s_or_b32 exec_lo, exec_lo, s0
	s_wait_storecnt_dscnt 0x0
	s_barrier_signal -1
	s_barrier_wait -1
	global_inv scope:SCOPE_SE
	s_clause 0x4
	scratch_load_b128 v[5:8], off, off offset:48
	scratch_load_b128 v[1:4], off, off offset:64
	;; [unrolled: 1-line block ×5, first 2 shown]
	v_mov_b32_e32 v159, 0
	ds_load_b128 v[21:24], v159 offset:560
	ds_load_b128 v[25:28], v159 offset:576
	;; [unrolled: 1-line block ×3, first 2 shown]
	scratch_load_b64 v[162:163], off, off offset:40
	s_mov_b32 s0, exec_lo
	s_wait_loadcnt_dscnt 0x502
	v_mul_f32_e32 v160, v21, v6
	v_mul_f32_e32 v164, v23, v8
	;; [unrolled: 1-line block ×3, first 2 shown]
	s_wait_loadcnt_dscnt 0x300
	v_dual_mul_f32 v8, v24, v8 :: v_dual_mul_f32 v165, v29, v10
	v_fmac_f32_e32 v160, v22, v5
	v_mul_f32_e32 v166, v31, v12
	v_fma_f32 v21, v21, v5, -v6
	s_delay_alu instid0(VALU_DEP_4)
	v_fma_f32 v22, v23, v7, -v8
	v_dual_mul_f32 v23, v25, v2 :: v_dual_fmac_f32 v164, v24, v7
	ds_load_b128 v[5:8], v159 offset:608
	v_dual_mul_f32 v24, v27, v4 :: v_dual_fmac_f32 v165, v30, v9
	v_mul_f32_e32 v2, v26, v2
	v_mul_f32_e32 v4, v28, v4
	;; [unrolled: 1-line block ×3, first 2 shown]
	s_delay_alu instid0(VALU_DEP_4) | instskip(NEXT) | instid1(VALU_DEP_4)
	v_dual_fmac_f32 v23, v26, v1 :: v_dual_fmac_f32 v24, v28, v3
	v_fma_f32 v25, v25, v1, -v2
	s_delay_alu instid0(VALU_DEP_4) | instskip(SKIP_4) | instid1(VALU_DEP_3)
	v_fma_f32 v26, v27, v3, -v4
	scratch_load_b128 v[1:4], off, off offset:128
	v_mul_f32_e32 v12, v32, v12
	v_fmac_f32_e32 v166, v32, v11
	v_fma_f32 v27, v29, v9, -v10
	v_fma_f32 v28, v31, v11, -v12
	ds_load_b128 v[9:12], v159 offset:624
	s_wait_loadcnt_dscnt 0x301
	v_dual_mul_f32 v29, v5, v14 :: v_dual_mul_f32 v30, v7, v16
	v_mul_f32_e32 v14, v6, v14
	s_delay_alu instid0(VALU_DEP_2) | instskip(NEXT) | instid1(VALU_DEP_3)
	v_dual_mul_f32 v16, v8, v16 :: v_dual_fmac_f32 v29, v6, v13
	v_fmac_f32_e32 v30, v8, v15
	s_delay_alu instid0(VALU_DEP_3) | instskip(NEXT) | instid1(VALU_DEP_3)
	v_fma_f32 v13, v5, v13, -v14
	v_fma_f32 v14, v7, v15, -v16
	ds_load_b128 v[5:8], v159 offset:640
	s_wait_loadcnt_dscnt 0x201
	v_dual_mul_f32 v15, v9, v18 :: v_dual_mul_f32 v16, v11, v20
	v_mul_f32_e32 v18, v10, v18
	s_delay_alu instid0(VALU_DEP_2) | instskip(NEXT) | instid1(VALU_DEP_3)
	v_dual_mul_f32 v20, v12, v20 :: v_dual_fmac_f32 v15, v10, v17
	v_fmac_f32_e32 v16, v12, v19
	s_delay_alu instid0(VALU_DEP_3) | instskip(NEXT) | instid1(VALU_DEP_3)
	v_fma_f32 v17, v9, v17, -v18
	v_fma_f32 v18, v11, v19, -v20
	scratch_load_b128 v[9:12], off, off offset:144
	s_wait_loadcnt_dscnt 0x100
	v_mul_f32_e32 v19, v5, v2
	v_mul_f32_e32 v2, v6, v2
	;; [unrolled: 1-line block ×3, first 2 shown]
	s_delay_alu instid0(VALU_DEP_3) | instskip(NEXT) | instid1(VALU_DEP_3)
	v_dual_mul_f32 v4, v8, v4 :: v_dual_fmac_f32 v19, v6, v1
	v_fma_f32 v31, v5, v1, -v2
	s_delay_alu instid0(VALU_DEP_3) | instskip(NEXT) | instid1(VALU_DEP_3)
	v_fmac_f32_e32 v20, v8, v3
	v_fma_f32 v32, v7, v3, -v4
	ds_load_b128 v[1:4], v159 offset:656
	ds_load_b128 v[5:8], v159 offset:672
	s_wait_loadcnt_dscnt 0x1
	v_mul_f32_e32 v167, v1, v10
	v_mul_f32_e32 v10, v2, v10
	s_delay_alu instid0(VALU_DEP_2) | instskip(NEXT) | instid1(VALU_DEP_2)
	v_dual_mul_f32 v168, v3, v12 :: v_dual_fmac_f32 v167, v2, v9
	v_fma_f32 v169, v1, v9, -v10
	v_mul_f32_e32 v1, v4, v12
	s_delay_alu instid0(VALU_DEP_3) | instskip(NEXT) | instid1(VALU_DEP_2)
	v_fmac_f32_e32 v168, v4, v11
	v_fma_f32 v170, v3, v11, -v1
	s_clause 0x1
	scratch_load_b128 v[1:4], off, off offset:160
	scratch_load_b128 v[9:12], off, off offset:176
	s_wait_loadcnt_dscnt 0x100
	v_mul_f32_e32 v171, v5, v2
	v_dual_mul_f32 v2, v6, v2 :: v_dual_mul_f32 v173, v7, v4
	s_delay_alu instid0(VALU_DEP_2) | instskip(NEXT) | instid1(VALU_DEP_2)
	v_fmac_f32_e32 v171, v6, v1
	v_fma_f32 v172, v5, v1, -v2
	v_mul_f32_e32 v1, v8, v4
	s_delay_alu instid0(VALU_DEP_4) | instskip(NEXT) | instid1(VALU_DEP_2)
	v_fmac_f32_e32 v173, v8, v3
	v_fma_f32 v174, v7, v3, -v1
	ds_load_b128 v[1:4], v159 offset:688
	ds_load_b128 v[5:8], v159 offset:704
	s_wait_loadcnt_dscnt 0x1
	v_mul_f32_e32 v175, v1, v10
	v_mul_f32_e32 v177, v3, v12
	s_delay_alu instid0(VALU_DEP_2) | instskip(NEXT) | instid1(VALU_DEP_2)
	v_fmac_f32_e32 v175, v2, v9
	v_dual_mul_f32 v2, v2, v10 :: v_dual_fmac_f32 v177, v4, v11
	s_delay_alu instid0(VALU_DEP_1) | instskip(SKIP_1) | instid1(VALU_DEP_1)
	v_fma_f32 v176, v1, v9, -v2
	v_mul_f32_e32 v1, v4, v12
	v_fma_f32 v178, v3, v11, -v1
	s_clause 0x1
	scratch_load_b128 v[1:4], off, off offset:192
	scratch_load_b128 v[9:12], off, off offset:208
	s_wait_loadcnt_dscnt 0x100
	v_mul_f32_e32 v179, v5, v2
	v_dual_mul_f32 v2, v6, v2 :: v_dual_mul_f32 v181, v7, v4
	s_delay_alu instid0(VALU_DEP_2) | instskip(NEXT) | instid1(VALU_DEP_2)
	v_fmac_f32_e32 v179, v6, v1
	v_fma_f32 v180, v5, v1, -v2
	v_mul_f32_e32 v1, v8, v4
	s_delay_alu instid0(VALU_DEP_4) | instskip(NEXT) | instid1(VALU_DEP_2)
	v_fmac_f32_e32 v181, v8, v3
	v_fma_f32 v182, v7, v3, -v1
	ds_load_b128 v[1:4], v159 offset:720
	ds_load_b128 v[5:8], v159 offset:736
	s_wait_loadcnt_dscnt 0x1
	v_mul_f32_e32 v183, v1, v10
	v_mul_f32_e32 v185, v3, v12
	s_delay_alu instid0(VALU_DEP_2) | instskip(NEXT) | instid1(VALU_DEP_2)
	v_fmac_f32_e32 v183, v2, v9
	v_dual_mul_f32 v2, v2, v10 :: v_dual_fmac_f32 v185, v4, v11
	s_delay_alu instid0(VALU_DEP_1) | instskip(SKIP_1) | instid1(VALU_DEP_1)
	v_fma_f32 v184, v1, v9, -v2
	v_mul_f32_e32 v1, v4, v12
	;; [unrolled: 25-line block ×8, first 2 shown]
	v_fma_f32 v234, v3, v11, -v1
	s_clause 0x1
	scratch_load_b128 v[1:4], off, off offset:416
	scratch_load_b128 v[9:12], off, off offset:432
	s_wait_loadcnt_dscnt 0x100
	v_mul_f32_e32 v235, v5, v2
	v_mul_f32_e32 v2, v6, v2
	s_delay_alu instid0(VALU_DEP_2) | instskip(NEXT) | instid1(VALU_DEP_2)
	v_fmac_f32_e32 v235, v6, v1
	v_fma_f32 v236, v5, v1, -v2
	v_mul_f32_e32 v1, v8, v4
	v_add_f32_e32 v2, 0, v160
	s_delay_alu instid0(VALU_DEP_2) | instskip(NEXT) | instid1(VALU_DEP_2)
	v_fma_f32 v238, v7, v3, -v1
	v_dual_add_f32 v1, 0, v21 :: v_dual_add_f32 v2, v2, v164
	s_delay_alu instid0(VALU_DEP_1) | instskip(NEXT) | instid1(VALU_DEP_1)
	v_dual_add_f32 v1, v1, v22 :: v_dual_add_f32 v2, v2, v23
	v_dual_add_f32 v1, v1, v25 :: v_dual_add_f32 v2, v2, v24
	s_delay_alu instid0(VALU_DEP_1) | instskip(SKIP_2) | instid1(VALU_DEP_1)
	v_dual_add_f32 v1, v1, v26 :: v_dual_add_f32 v2, v2, v165
	scratch_load_b64 v[25:26], off, off offset:496
	v_dual_add_f32 v1, v1, v27 :: v_dual_add_f32 v2, v2, v166
	v_dual_add_f32 v1, v1, v28 :: v_dual_add_f32 v2, v2, v29
	s_delay_alu instid0(VALU_DEP_1) | instskip(NEXT) | instid1(VALU_DEP_1)
	v_dual_add_f32 v1, v1, v13 :: v_dual_add_f32 v2, v2, v30
	v_dual_add_f32 v1, v1, v14 :: v_dual_add_f32 v2, v2, v15
	s_delay_alu instid0(VALU_DEP_1) | instskip(NEXT) | instid1(VALU_DEP_1)
	;; [unrolled: 3-line block ×8, first 2 shown]
	v_dual_add_f32 v1, v1, v184 :: v_dual_add_f32 v2, v2, v185
	v_add_f32_e32 v1, v1, v186
	s_delay_alu instid0(VALU_DEP_1) | instskip(NEXT) | instid1(VALU_DEP_1)
	v_add_f32_e32 v1, v1, v188
	v_add_f32_e32 v1, v1, v190
	s_delay_alu instid0(VALU_DEP_1) | instskip(NEXT) | instid1(VALU_DEP_1)
	v_add_f32_e32 v1, v1, v192
	;; [unrolled: 3-line block ×6, first 2 shown]
	v_add_f32_e32 v6, v1, v210
	v_add_f32_e32 v2, v2, v187
	s_delay_alu instid0(VALU_DEP_2) | instskip(NEXT) | instid1(VALU_DEP_2)
	v_add_f32_e32 v6, v6, v212
	v_add_f32_e32 v2, v2, v189
	s_delay_alu instid0(VALU_DEP_2) | instskip(NEXT) | instid1(VALU_DEP_1)
	v_add_f32_e32 v13, v6, v214
	v_dual_add_f32 v2, v2, v191 :: v_dual_add_f32 v13, v13, v216
	s_delay_alu instid0(VALU_DEP_1) | instskip(NEXT) | instid1(VALU_DEP_1)
	v_dual_add_f32 v2, v2, v193 :: v_dual_add_f32 v13, v13, v218
	v_dual_add_f32 v2, v2, v195 :: v_dual_add_f32 v13, v13, v220
	s_delay_alu instid0(VALU_DEP_1) | instskip(NEXT) | instid1(VALU_DEP_2)
	v_add_f32_e32 v2, v2, v197
	v_add_f32_e32 v18, v13, v222
	s_delay_alu instid0(VALU_DEP_2) | instskip(NEXT) | instid1(VALU_DEP_2)
	v_add_f32_e32 v2, v2, v199
	v_add_f32_e32 v18, v18, v224
	s_delay_alu instid0(VALU_DEP_2) | instskip(NEXT) | instid1(VALU_DEP_2)
	v_dual_add_f32 v2, v2, v201 :: v_dual_mul_f32 v237, v7, v4
	v_add_f32_e32 v18, v18, v226
	s_delay_alu instid0(VALU_DEP_2) | instskip(NEXT) | instid1(VALU_DEP_2)
	v_add_f32_e32 v2, v2, v203
	v_dual_fmac_f32 v237, v8, v3 :: v_dual_add_f32 v18, v18, v228
	s_delay_alu instid0(VALU_DEP_2) | instskip(NEXT) | instid1(VALU_DEP_2)
	v_add_f32_e32 v2, v2, v205
	v_add_f32_e32 v18, v18, v230
	s_delay_alu instid0(VALU_DEP_2) | instskip(SKIP_2) | instid1(VALU_DEP_1)
	v_add_f32_e32 v5, v2, v207
	ds_load_b128 v[1:4], v159 offset:944
	v_add_f32_e32 v27, v18, v232
	v_dual_add_f32 v5, v5, v209 :: v_dual_add_f32 v160, v27, v234
	s_delay_alu instid0(VALU_DEP_1) | instskip(NEXT) | instid1(VALU_DEP_1)
	v_dual_add_f32 v5, v5, v211 :: v_dual_add_f32 v160, v160, v236
	v_add_f32_e32 v14, v5, v213
	ds_load_b128 v[5:8], v159 offset:960
	v_add_f32_e32 v160, v160, v238
	s_wait_loadcnt_dscnt 0x101
	v_dual_add_f32 v14, v14, v215 :: v_dual_mul_f32 v29, v1, v10
	v_mul_f32_e32 v10, v2, v10
	v_mul_f32_e32 v30, v3, v12
	;; [unrolled: 1-line block ×3, first 2 shown]
	s_delay_alu instid0(VALU_DEP_4)
	v_add_f32_e32 v14, v14, v217
	v_fmac_f32_e32 v29, v2, v9
	v_fma_f32 v31, v1, v9, -v10
	v_fmac_f32_e32 v30, v4, v11
	v_fma_f32 v32, v3, v11, -v12
	s_clause 0x1
	scratch_load_b128 v[1:4], off, off offset:448
	scratch_load_b128 v[9:12], off, off offset:464
	v_add_f32_e32 v17, v14, v219
	scratch_load_b128 v[13:16], off, off offset:480
	v_add_f32_e32 v31, v160, v31
	v_add_f32_e32 v17, v17, v221
	s_delay_alu instid0(VALU_DEP_2) | instskip(NEXT) | instid1(VALU_DEP_2)
	v_add_f32_e32 v31, v31, v32
	v_add_f32_e32 v17, v17, v223
	s_wait_loadcnt_dscnt 0x200
	s_delay_alu instid0(VALU_DEP_1) | instskip(NEXT) | instid1(VALU_DEP_1)
	v_dual_add_f32 v17, v17, v225 :: v_dual_mul_f32 v166, v7, v4
	v_dual_add_f32 v17, v17, v227 :: v_dual_mul_f32 v4, v8, v4
	v_mul_f32_e32 v165, v5, v2
	v_mul_f32_e32 v2, v6, v2
	s_delay_alu instid0(VALU_DEP_3)
	v_dual_fmac_f32 v166, v8, v3 :: v_dual_add_f32 v21, v17, v229
	ds_load_b128 v[17:20], v159 offset:976
	v_fmac_f32_e32 v165, v6, v1
	v_fma_f32 v2, v5, v1, -v2
	v_fma_f32 v1, v7, v3, -v4
	v_add_f32_e32 v28, v21, v231
	ds_load_b128 v[21:24], v159 offset:992
	v_add_f32_e32 v2, v31, v2
	v_add_f32_e32 v164, v28, v233
	ds_load_b64 v[27:28], v159 offset:1008
	s_wait_loadcnt_dscnt 0x102
	v_dual_add_f32 v1, v2, v1 :: v_dual_mul_f32 v160, v17, v10
	v_dual_add_f32 v164, v164, v235 :: v_dual_mul_f32 v3, v18, v10
	s_delay_alu instid0(VALU_DEP_2) | instskip(NEXT) | instid1(VALU_DEP_2)
	v_dual_mul_f32 v5, v20, v12 :: v_dual_fmac_f32 v160, v18, v9
	v_add_f32_e32 v164, v164, v237
	s_delay_alu instid0(VALU_DEP_3)
	v_fma_f32 v3, v17, v9, -v3
	s_wait_loadcnt_dscnt 0x1
	v_mul_f32_e32 v167, v21, v14
	v_fma_f32 v5, v19, v11, -v5
	v_dual_mul_f32 v32, v23, v16 :: v_dual_add_f32 v29, v164, v29
	v_dual_mul_f32 v164, v19, v12 :: v_dual_add_f32 v1, v1, v3
	v_mul_f32_e32 v3, v24, v16
	v_fmac_f32_e32 v167, v22, v13
	s_delay_alu instid0(VALU_DEP_3) | instskip(SKIP_2) | instid1(VALU_DEP_2)
	v_dual_add_f32 v29, v29, v30 :: v_dual_fmac_f32 v164, v20, v11
	s_wait_dscnt 0x0
	v_dual_add_f32 v1, v1, v5 :: v_dual_mul_f32 v30, v27, v26
	v_dual_mul_f32 v5, v28, v26 :: v_dual_add_f32 v4, v29, v165
	v_fmac_f32_e32 v32, v24, v15
	v_fma_f32 v3, v23, v15, -v3
	s_delay_alu instid0(VALU_DEP_4) | instskip(NEXT) | instid1(VALU_DEP_4)
	v_fmac_f32_e32 v30, v28, v25
	v_add_f32_e32 v2, v4, v166
	v_mul_f32_e32 v4, v22, v14
	s_delay_alu instid0(VALU_DEP_2) | instskip(NEXT) | instid1(VALU_DEP_2)
	v_add_f32_e32 v2, v2, v160
	v_fma_f32 v4, v21, v13, -v4
	s_delay_alu instid0(VALU_DEP_2) | instskip(NEXT) | instid1(VALU_DEP_2)
	v_add_f32_e32 v2, v2, v164
	v_add_f32_e32 v1, v1, v4
	v_fma_f32 v4, v27, v25, -v5
	s_delay_alu instid0(VALU_DEP_3) | instskip(NEXT) | instid1(VALU_DEP_1)
	v_add_f32_e32 v2, v2, v167
	v_dual_add_f32 v1, v1, v3 :: v_dual_add_f32 v2, v2, v32
	s_delay_alu instid0(VALU_DEP_1) | instskip(NEXT) | instid1(VALU_DEP_1)
	v_dual_add_f32 v1, v1, v4 :: v_dual_add_f32 v2, v2, v30
	v_dual_sub_f32 v1, v162, v1 :: v_dual_sub_f32 v2, v163, v2
	scratch_store_b64 off, v[1:2], off offset:40
	v_cmpx_lt_u32_e32 4, v0
	s_cbranch_execz .LBB126_383
; %bb.382:
	scratch_load_b64 v[1:2], off, off offset:32
	v_mov_b32_e32 v160, v159
	scratch_store_b64 off, v[159:160], off offset:32
	s_wait_loadcnt 0x0
	ds_store_b64 v161, v[1:2]
.LBB126_383:
	s_wait_alu 0xfffe
	s_or_b32 exec_lo, exec_lo, s0
	s_wait_storecnt_dscnt 0x0
	s_barrier_signal -1
	s_barrier_wait -1
	global_inv scope:SCOPE_SE
	s_clause 0x4
	scratch_load_b128 v[5:8], off, off offset:40
	scratch_load_b128 v[1:4], off, off offset:56
	;; [unrolled: 1-line block ×5, first 2 shown]
	ds_load_2addr_b64 v[21:24], v159 offset0:69 offset1:70
	ds_load_2addr_b64 v[25:28], v159 offset0:71 offset1:72
	;; [unrolled: 1-line block ×3, first 2 shown]
	scratch_load_b64 v[162:163], off, off offset:32
	s_mov_b32 s0, exec_lo
	s_wait_loadcnt_dscnt 0x502
	v_mul_f32_e32 v160, v21, v6
	v_mul_f32_e32 v164, v23, v8
	;; [unrolled: 1-line block ×3, first 2 shown]
	s_wait_loadcnt_dscnt 0x300
	v_dual_mul_f32 v8, v24, v8 :: v_dual_mul_f32 v165, v29, v10
	v_fmac_f32_e32 v160, v22, v5
	v_mul_f32_e32 v166, v31, v12
	v_fma_f32 v21, v21, v5, -v6
	s_delay_alu instid0(VALU_DEP_4)
	v_fma_f32 v22, v23, v7, -v8
	v_dual_mul_f32 v23, v25, v2 :: v_dual_fmac_f32 v164, v24, v7
	v_fmac_f32_e32 v165, v30, v9
	ds_load_2addr_b64 v[5:8], v159 offset0:75 offset1:76
	v_mul_f32_e32 v24, v27, v4
	v_mul_f32_e32 v2, v26, v2
	;; [unrolled: 1-line block ×4, first 2 shown]
	s_delay_alu instid0(VALU_DEP_4) | instskip(NEXT) | instid1(VALU_DEP_4)
	v_dual_fmac_f32 v23, v26, v1 :: v_dual_fmac_f32 v24, v28, v3
	v_fma_f32 v25, v25, v1, -v2
	s_delay_alu instid0(VALU_DEP_4) | instskip(SKIP_4) | instid1(VALU_DEP_3)
	v_fma_f32 v26, v27, v3, -v4
	scratch_load_b128 v[1:4], off, off offset:120
	v_mul_f32_e32 v12, v32, v12
	v_fmac_f32_e32 v166, v32, v11
	v_fma_f32 v27, v29, v9, -v10
	v_fma_f32 v28, v31, v11, -v12
	ds_load_2addr_b64 v[9:12], v159 offset0:77 offset1:78
	s_wait_loadcnt_dscnt 0x301
	v_dual_mul_f32 v29, v5, v14 :: v_dual_mul_f32 v30, v7, v16
	v_mul_f32_e32 v14, v6, v14
	s_delay_alu instid0(VALU_DEP_2) | instskip(NEXT) | instid1(VALU_DEP_3)
	v_dual_mul_f32 v16, v8, v16 :: v_dual_fmac_f32 v29, v6, v13
	v_fmac_f32_e32 v30, v8, v15
	s_delay_alu instid0(VALU_DEP_3) | instskip(NEXT) | instid1(VALU_DEP_3)
	v_fma_f32 v13, v5, v13, -v14
	v_fma_f32 v14, v7, v15, -v16
	ds_load_2addr_b64 v[5:8], v159 offset0:79 offset1:80
	s_wait_loadcnt_dscnt 0x201
	v_dual_mul_f32 v15, v9, v18 :: v_dual_mul_f32 v16, v11, v20
	v_mul_f32_e32 v18, v10, v18
	s_delay_alu instid0(VALU_DEP_2) | instskip(NEXT) | instid1(VALU_DEP_3)
	v_dual_mul_f32 v20, v12, v20 :: v_dual_fmac_f32 v15, v10, v17
	v_fmac_f32_e32 v16, v12, v19
	s_delay_alu instid0(VALU_DEP_3) | instskip(NEXT) | instid1(VALU_DEP_3)
	v_fma_f32 v17, v9, v17, -v18
	v_fma_f32 v18, v11, v19, -v20
	scratch_load_b128 v[9:12], off, off offset:136
	s_wait_loadcnt_dscnt 0x100
	v_mul_f32_e32 v19, v5, v2
	v_mul_f32_e32 v2, v6, v2
	;; [unrolled: 1-line block ×3, first 2 shown]
	s_delay_alu instid0(VALU_DEP_3) | instskip(NEXT) | instid1(VALU_DEP_3)
	v_dual_mul_f32 v4, v8, v4 :: v_dual_fmac_f32 v19, v6, v1
	v_fma_f32 v31, v5, v1, -v2
	s_delay_alu instid0(VALU_DEP_3) | instskip(NEXT) | instid1(VALU_DEP_3)
	v_fmac_f32_e32 v20, v8, v3
	v_fma_f32 v32, v7, v3, -v4
	ds_load_2addr_b64 v[1:4], v159 offset0:81 offset1:82
	ds_load_2addr_b64 v[5:8], v159 offset0:83 offset1:84
	s_wait_loadcnt_dscnt 0x1
	v_mul_f32_e32 v167, v1, v10
	v_mul_f32_e32 v10, v2, v10
	s_delay_alu instid0(VALU_DEP_2) | instskip(NEXT) | instid1(VALU_DEP_2)
	v_dual_mul_f32 v168, v3, v12 :: v_dual_fmac_f32 v167, v2, v9
	v_fma_f32 v169, v1, v9, -v10
	v_mul_f32_e32 v1, v4, v12
	s_delay_alu instid0(VALU_DEP_3) | instskip(NEXT) | instid1(VALU_DEP_2)
	v_fmac_f32_e32 v168, v4, v11
	v_fma_f32 v170, v3, v11, -v1
	s_clause 0x1
	scratch_load_b128 v[1:4], off, off offset:152
	scratch_load_b128 v[9:12], off, off offset:168
	s_wait_loadcnt_dscnt 0x100
	v_mul_f32_e32 v171, v5, v2
	v_dual_mul_f32 v2, v6, v2 :: v_dual_mul_f32 v173, v7, v4
	s_delay_alu instid0(VALU_DEP_2) | instskip(NEXT) | instid1(VALU_DEP_2)
	v_fmac_f32_e32 v171, v6, v1
	v_fma_f32 v172, v5, v1, -v2
	v_mul_f32_e32 v1, v8, v4
	s_delay_alu instid0(VALU_DEP_4) | instskip(NEXT) | instid1(VALU_DEP_2)
	v_fmac_f32_e32 v173, v8, v3
	v_fma_f32 v174, v7, v3, -v1
	ds_load_2addr_b64 v[1:4], v159 offset0:85 offset1:86
	ds_load_2addr_b64 v[5:8], v159 offset0:87 offset1:88
	s_wait_loadcnt_dscnt 0x1
	v_mul_f32_e32 v175, v1, v10
	v_mul_f32_e32 v177, v3, v12
	s_delay_alu instid0(VALU_DEP_2) | instskip(NEXT) | instid1(VALU_DEP_2)
	v_fmac_f32_e32 v175, v2, v9
	v_dual_mul_f32 v2, v2, v10 :: v_dual_fmac_f32 v177, v4, v11
	s_delay_alu instid0(VALU_DEP_1) | instskip(SKIP_1) | instid1(VALU_DEP_1)
	v_fma_f32 v176, v1, v9, -v2
	v_mul_f32_e32 v1, v4, v12
	v_fma_f32 v178, v3, v11, -v1
	s_clause 0x1
	scratch_load_b128 v[1:4], off, off offset:184
	scratch_load_b128 v[9:12], off, off offset:200
	s_wait_loadcnt_dscnt 0x100
	v_mul_f32_e32 v179, v5, v2
	v_dual_mul_f32 v2, v6, v2 :: v_dual_mul_f32 v181, v7, v4
	s_delay_alu instid0(VALU_DEP_2) | instskip(NEXT) | instid1(VALU_DEP_2)
	v_fmac_f32_e32 v179, v6, v1
	v_fma_f32 v180, v5, v1, -v2
	v_mul_f32_e32 v1, v8, v4
	s_delay_alu instid0(VALU_DEP_4) | instskip(NEXT) | instid1(VALU_DEP_2)
	v_fmac_f32_e32 v181, v8, v3
	v_fma_f32 v182, v7, v3, -v1
	ds_load_2addr_b64 v[1:4], v159 offset0:89 offset1:90
	ds_load_2addr_b64 v[5:8], v159 offset0:91 offset1:92
	s_wait_loadcnt_dscnt 0x1
	v_mul_f32_e32 v183, v1, v10
	v_mul_f32_e32 v185, v3, v12
	s_delay_alu instid0(VALU_DEP_2) | instskip(NEXT) | instid1(VALU_DEP_2)
	v_fmac_f32_e32 v183, v2, v9
	v_dual_mul_f32 v2, v2, v10 :: v_dual_fmac_f32 v185, v4, v11
	s_delay_alu instid0(VALU_DEP_1) | instskip(SKIP_1) | instid1(VALU_DEP_1)
	v_fma_f32 v184, v1, v9, -v2
	v_mul_f32_e32 v1, v4, v12
	v_fma_f32 v186, v3, v11, -v1
	s_clause 0x1
	scratch_load_b128 v[1:4], off, off offset:216
	scratch_load_b128 v[9:12], off, off offset:232
	s_wait_loadcnt_dscnt 0x100
	v_mul_f32_e32 v187, v5, v2
	v_dual_mul_f32 v2, v6, v2 :: v_dual_mul_f32 v189, v7, v4
	s_delay_alu instid0(VALU_DEP_2) | instskip(NEXT) | instid1(VALU_DEP_2)
	v_fmac_f32_e32 v187, v6, v1
	v_fma_f32 v188, v5, v1, -v2
	v_mul_f32_e32 v1, v8, v4
	s_delay_alu instid0(VALU_DEP_4) | instskip(NEXT) | instid1(VALU_DEP_2)
	v_fmac_f32_e32 v189, v8, v3
	v_fma_f32 v190, v7, v3, -v1
	ds_load_2addr_b64 v[1:4], v159 offset0:93 offset1:94
	ds_load_2addr_b64 v[5:8], v159 offset0:95 offset1:96
	s_wait_loadcnt_dscnt 0x1
	v_mul_f32_e32 v191, v1, v10
	v_mul_f32_e32 v193, v3, v12
	s_delay_alu instid0(VALU_DEP_2) | instskip(NEXT) | instid1(VALU_DEP_2)
	v_fmac_f32_e32 v191, v2, v9
	v_dual_mul_f32 v2, v2, v10 :: v_dual_fmac_f32 v193, v4, v11
	s_delay_alu instid0(VALU_DEP_1) | instskip(SKIP_1) | instid1(VALU_DEP_1)
	v_fma_f32 v192, v1, v9, -v2
	v_mul_f32_e32 v1, v4, v12
	v_fma_f32 v194, v3, v11, -v1
	s_clause 0x1
	scratch_load_b128 v[1:4], off, off offset:248
	scratch_load_b128 v[9:12], off, off offset:264
	s_wait_loadcnt_dscnt 0x100
	v_mul_f32_e32 v195, v5, v2
	v_dual_mul_f32 v2, v6, v2 :: v_dual_mul_f32 v197, v7, v4
	s_delay_alu instid0(VALU_DEP_2) | instskip(NEXT) | instid1(VALU_DEP_2)
	v_fmac_f32_e32 v195, v6, v1
	v_fma_f32 v196, v5, v1, -v2
	v_mul_f32_e32 v1, v8, v4
	s_delay_alu instid0(VALU_DEP_4) | instskip(NEXT) | instid1(VALU_DEP_2)
	v_fmac_f32_e32 v197, v8, v3
	v_fma_f32 v198, v7, v3, -v1
	ds_load_2addr_b64 v[1:4], v159 offset0:97 offset1:98
	ds_load_2addr_b64 v[5:8], v159 offset0:99 offset1:100
	s_wait_loadcnt_dscnt 0x1
	v_mul_f32_e32 v199, v1, v10
	v_mul_f32_e32 v201, v3, v12
	s_delay_alu instid0(VALU_DEP_2) | instskip(NEXT) | instid1(VALU_DEP_2)
	v_fmac_f32_e32 v199, v2, v9
	v_dual_mul_f32 v2, v2, v10 :: v_dual_fmac_f32 v201, v4, v11
	s_delay_alu instid0(VALU_DEP_1) | instskip(SKIP_1) | instid1(VALU_DEP_1)
	v_fma_f32 v200, v1, v9, -v2
	v_mul_f32_e32 v1, v4, v12
	v_fma_f32 v202, v3, v11, -v1
	s_clause 0x1
	scratch_load_b128 v[1:4], off, off offset:280
	scratch_load_b128 v[9:12], off, off offset:296
	s_wait_loadcnt_dscnt 0x100
	v_mul_f32_e32 v203, v5, v2
	v_dual_mul_f32 v2, v6, v2 :: v_dual_mul_f32 v205, v7, v4
	s_delay_alu instid0(VALU_DEP_2) | instskip(NEXT) | instid1(VALU_DEP_2)
	v_fmac_f32_e32 v203, v6, v1
	v_fma_f32 v204, v5, v1, -v2
	v_mul_f32_e32 v1, v8, v4
	s_delay_alu instid0(VALU_DEP_4) | instskip(NEXT) | instid1(VALU_DEP_2)
	v_fmac_f32_e32 v205, v8, v3
	v_fma_f32 v206, v7, v3, -v1
	ds_load_2addr_b64 v[1:4], v159 offset0:101 offset1:102
	ds_load_2addr_b64 v[5:8], v159 offset0:103 offset1:104
	s_wait_loadcnt_dscnt 0x1
	v_mul_f32_e32 v207, v1, v10
	v_mul_f32_e32 v209, v3, v12
	s_delay_alu instid0(VALU_DEP_2) | instskip(NEXT) | instid1(VALU_DEP_2)
	v_fmac_f32_e32 v207, v2, v9
	v_dual_mul_f32 v2, v2, v10 :: v_dual_fmac_f32 v209, v4, v11
	s_delay_alu instid0(VALU_DEP_1) | instskip(SKIP_1) | instid1(VALU_DEP_1)
	v_fma_f32 v208, v1, v9, -v2
	v_mul_f32_e32 v1, v4, v12
	v_fma_f32 v210, v3, v11, -v1
	s_clause 0x1
	scratch_load_b128 v[1:4], off, off offset:312
	scratch_load_b128 v[9:12], off, off offset:328
	s_wait_loadcnt_dscnt 0x100
	v_mul_f32_e32 v211, v5, v2
	v_dual_mul_f32 v2, v6, v2 :: v_dual_mul_f32 v213, v7, v4
	s_delay_alu instid0(VALU_DEP_2) | instskip(NEXT) | instid1(VALU_DEP_2)
	v_fmac_f32_e32 v211, v6, v1
	v_fma_f32 v212, v5, v1, -v2
	v_mul_f32_e32 v1, v8, v4
	s_delay_alu instid0(VALU_DEP_4) | instskip(NEXT) | instid1(VALU_DEP_2)
	v_fmac_f32_e32 v213, v8, v3
	v_fma_f32 v214, v7, v3, -v1
	ds_load_2addr_b64 v[1:4], v159 offset0:105 offset1:106
	ds_load_2addr_b64 v[5:8], v159 offset0:107 offset1:108
	s_wait_loadcnt_dscnt 0x1
	v_mul_f32_e32 v215, v1, v10
	v_mul_f32_e32 v217, v3, v12
	s_delay_alu instid0(VALU_DEP_2) | instskip(NEXT) | instid1(VALU_DEP_2)
	v_fmac_f32_e32 v215, v2, v9
	v_dual_mul_f32 v2, v2, v10 :: v_dual_fmac_f32 v217, v4, v11
	s_delay_alu instid0(VALU_DEP_1) | instskip(SKIP_1) | instid1(VALU_DEP_1)
	v_fma_f32 v216, v1, v9, -v2
	v_mul_f32_e32 v1, v4, v12
	v_fma_f32 v218, v3, v11, -v1
	s_clause 0x1
	scratch_load_b128 v[1:4], off, off offset:344
	scratch_load_b128 v[9:12], off, off offset:360
	s_wait_loadcnt_dscnt 0x100
	v_mul_f32_e32 v219, v5, v2
	v_dual_mul_f32 v2, v6, v2 :: v_dual_mul_f32 v221, v7, v4
	s_delay_alu instid0(VALU_DEP_2) | instskip(NEXT) | instid1(VALU_DEP_2)
	v_fmac_f32_e32 v219, v6, v1
	v_fma_f32 v220, v5, v1, -v2
	v_mul_f32_e32 v1, v8, v4
	s_delay_alu instid0(VALU_DEP_4) | instskip(NEXT) | instid1(VALU_DEP_2)
	v_fmac_f32_e32 v221, v8, v3
	v_fma_f32 v222, v7, v3, -v1
	ds_load_2addr_b64 v[1:4], v159 offset0:109 offset1:110
	ds_load_2addr_b64 v[5:8], v159 offset0:111 offset1:112
	s_wait_loadcnt_dscnt 0x1
	v_mul_f32_e32 v223, v1, v10
	v_mul_f32_e32 v225, v3, v12
	s_delay_alu instid0(VALU_DEP_2) | instskip(NEXT) | instid1(VALU_DEP_2)
	v_fmac_f32_e32 v223, v2, v9
	v_dual_mul_f32 v2, v2, v10 :: v_dual_fmac_f32 v225, v4, v11
	s_delay_alu instid0(VALU_DEP_1) | instskip(SKIP_1) | instid1(VALU_DEP_1)
	v_fma_f32 v224, v1, v9, -v2
	v_mul_f32_e32 v1, v4, v12
	v_fma_f32 v226, v3, v11, -v1
	s_clause 0x1
	scratch_load_b128 v[1:4], off, off offset:376
	scratch_load_b128 v[9:12], off, off offset:392
	s_wait_loadcnt_dscnt 0x100
	v_mul_f32_e32 v227, v5, v2
	v_dual_mul_f32 v2, v6, v2 :: v_dual_mul_f32 v229, v7, v4
	s_delay_alu instid0(VALU_DEP_2) | instskip(NEXT) | instid1(VALU_DEP_2)
	v_fmac_f32_e32 v227, v6, v1
	v_fma_f32 v228, v5, v1, -v2
	v_mul_f32_e32 v1, v8, v4
	s_delay_alu instid0(VALU_DEP_4) | instskip(NEXT) | instid1(VALU_DEP_2)
	v_fmac_f32_e32 v229, v8, v3
	v_fma_f32 v230, v7, v3, -v1
	ds_load_2addr_b64 v[1:4], v159 offset0:113 offset1:114
	ds_load_2addr_b64 v[5:8], v159 offset0:115 offset1:116
	s_wait_loadcnt_dscnt 0x1
	v_mul_f32_e32 v231, v1, v10
	v_mul_f32_e32 v233, v3, v12
	s_delay_alu instid0(VALU_DEP_2) | instskip(NEXT) | instid1(VALU_DEP_2)
	v_fmac_f32_e32 v231, v2, v9
	v_dual_mul_f32 v2, v2, v10 :: v_dual_fmac_f32 v233, v4, v11
	s_delay_alu instid0(VALU_DEP_1) | instskip(SKIP_1) | instid1(VALU_DEP_1)
	v_fma_f32 v232, v1, v9, -v2
	v_mul_f32_e32 v1, v4, v12
	v_fma_f32 v234, v3, v11, -v1
	s_clause 0x1
	scratch_load_b128 v[1:4], off, off offset:408
	scratch_load_b128 v[9:12], off, off offset:424
	s_wait_loadcnt_dscnt 0x100
	v_mul_f32_e32 v235, v5, v2
	v_dual_mul_f32 v2, v6, v2 :: v_dual_mul_f32 v237, v7, v4
	s_delay_alu instid0(VALU_DEP_2) | instskip(NEXT) | instid1(VALU_DEP_2)
	v_fmac_f32_e32 v235, v6, v1
	v_fma_f32 v236, v5, v1, -v2
	v_mul_f32_e32 v1, v8, v4
	v_add_f32_e32 v2, 0, v160
	s_delay_alu instid0(VALU_DEP_2) | instskip(NEXT) | instid1(VALU_DEP_2)
	v_fma_f32 v238, v7, v3, -v1
	v_dual_add_f32 v1, 0, v21 :: v_dual_add_f32 v2, v2, v164
	s_delay_alu instid0(VALU_DEP_1) | instskip(NEXT) | instid1(VALU_DEP_1)
	v_dual_add_f32 v1, v1, v22 :: v_dual_add_f32 v2, v2, v23
	v_dual_add_f32 v1, v1, v25 :: v_dual_add_f32 v2, v2, v24
	s_delay_alu instid0(VALU_DEP_1) | instskip(NEXT) | instid1(VALU_DEP_1)
	v_dual_add_f32 v1, v1, v26 :: v_dual_add_f32 v2, v2, v165
	;; [unrolled: 3-line block ×10, first 2 shown]
	v_dual_add_f32 v1, v1, v184 :: v_dual_add_f32 v2, v2, v185
	s_delay_alu instid0(VALU_DEP_1) | instskip(NEXT) | instid1(VALU_DEP_1)
	v_add_f32_e32 v1, v1, v186
	v_add_f32_e32 v1, v1, v188
	s_delay_alu instid0(VALU_DEP_1) | instskip(NEXT) | instid1(VALU_DEP_1)
	v_add_f32_e32 v1, v1, v190
	v_add_f32_e32 v1, v1, v192
	;; [unrolled: 3-line block ×7, first 2 shown]
	v_add_f32_e32 v2, v2, v187
	s_delay_alu instid0(VALU_DEP_2) | instskip(NEXT) | instid1(VALU_DEP_2)
	v_add_f32_e32 v14, v6, v214
	v_add_f32_e32 v2, v2, v189
	s_delay_alu instid0(VALU_DEP_2) | instskip(NEXT) | instid1(VALU_DEP_2)
	v_add_f32_e32 v14, v14, v216
	v_add_f32_e32 v2, v2, v191
	s_delay_alu instid0(VALU_DEP_2) | instskip(NEXT) | instid1(VALU_DEP_1)
	v_add_f32_e32 v17, v14, v218
	v_dual_add_f32 v2, v2, v193 :: v_dual_add_f32 v17, v17, v220
	s_delay_alu instid0(VALU_DEP_1) | instskip(NEXT) | instid1(VALU_DEP_1)
	v_dual_add_f32 v2, v2, v195 :: v_dual_add_f32 v17, v17, v222
	v_dual_add_f32 v2, v2, v197 :: v_dual_add_f32 v17, v17, v224
	s_delay_alu instid0(VALU_DEP_1) | instskip(NEXT) | instid1(VALU_DEP_2)
	v_add_f32_e32 v2, v2, v199
	v_add_f32_e32 v22, v17, v226
	s_delay_alu instid0(VALU_DEP_2) | instskip(NEXT) | instid1(VALU_DEP_2)
	v_add_f32_e32 v2, v2, v201
	v_add_f32_e32 v22, v22, v228
	s_delay_alu instid0(VALU_DEP_2) | instskip(NEXT) | instid1(VALU_DEP_2)
	v_add_f32_e32 v2, v2, v203
	v_add_f32_e32 v22, v22, v230
	s_delay_alu instid0(VALU_DEP_2) | instskip(NEXT) | instid1(VALU_DEP_1)
	v_add_f32_e32 v2, v2, v205
	v_add_f32_e32 v2, v2, v207
	s_delay_alu instid0(VALU_DEP_1) | instskip(NEXT) | instid1(VALU_DEP_1)
	v_add_f32_e32 v5, v2, v209
	v_add_f32_e32 v13, v5, v211
	s_delay_alu instid0(VALU_DEP_1) | instskip(NEXT) | instid1(VALU_DEP_1)
	v_add_f32_e32 v13, v13, v213
	v_add_f32_e32 v13, v13, v215
	s_delay_alu instid0(VALU_DEP_1)
	v_add_f32_e32 v18, v13, v217
	ds_load_2addr_b64 v[13:16], v159 offset0:119 offset1:120
	v_add_f32_e32 v18, v18, v219
	v_fmac_f32_e32 v237, v8, v3
	scratch_load_b128 v[5:8], off, off offset:440
	ds_load_2addr_b64 v[1:4], v159 offset0:117 offset1:118
	v_add_f32_e32 v18, v18, v221
	s_delay_alu instid0(VALU_DEP_1) | instskip(SKIP_2) | instid1(VALU_DEP_1)
	v_add_f32_e32 v21, v18, v223
	scratch_load_b128 v[17:20], off, off offset:488
	v_add_f32_e32 v21, v21, v225
	v_add_f32_e32 v21, v21, v227
	s_wait_loadcnt_dscnt 0x200
	v_mul_f32_e32 v25, v1, v10
	v_mul_f32_e32 v10, v2, v10
	;; [unrolled: 1-line block ×3, first 2 shown]
	s_delay_alu instid0(VALU_DEP_3) | instskip(NEXT) | instid1(VALU_DEP_3)
	v_dual_mul_f32 v12, v4, v12 :: v_dual_fmac_f32 v25, v2, v9
	v_fma_f32 v27, v1, v9, -v10
	s_delay_alu instid0(VALU_DEP_3) | instskip(NEXT) | instid1(VALU_DEP_3)
	v_fmac_f32_e32 v26, v4, v11
	v_fma_f32 v28, v3, v11, -v12
	s_clause 0x1
	scratch_load_b128 v[1:4], off, off offset:456
	scratch_load_b128 v[9:12], off, off offset:472
	s_wait_loadcnt 0x3
	v_mul_f32_e32 v29, v13, v6
	v_mul_f32_e32 v6, v14, v6
	;; [unrolled: 1-line block ×3, first 2 shown]
	s_delay_alu instid0(VALU_DEP_3) | instskip(NEXT) | instid1(VALU_DEP_3)
	v_dual_mul_f32 v8, v16, v8 :: v_dual_fmac_f32 v29, v14, v5
	v_fma_f32 v31, v13, v5, -v6
	v_add_f32_e32 v13, v21, v229
	s_delay_alu instid0(VALU_DEP_4) | instskip(NEXT) | instid1(VALU_DEP_4)
	v_dual_add_f32 v21, v22, v232 :: v_dual_fmac_f32 v30, v16, v7
	v_fma_f32 v32, v15, v7, -v8
	ds_load_2addr_b64 v[5:8], v159 offset0:121 offset1:122
	v_add_f32_e32 v22, v13, v231
	v_add_f32_e32 v160, v21, v234
	ds_load_2addr_b64 v[13:16], v159 offset0:123 offset1:124
	v_add_f32_e32 v164, v22, v233
	ds_load_2addr_b64 v[21:24], v159 offset0:125 offset1:126
	v_add_f32_e32 v159, v160, v236
	s_delay_alu instid0(VALU_DEP_1) | instskip(NEXT) | instid1(VALU_DEP_1)
	v_dual_add_f32 v160, v164, v235 :: v_dual_add_f32 v159, v159, v238
	v_dual_add_f32 v160, v160, v237 :: v_dual_add_f32 v27, v159, v27
	s_wait_loadcnt_dscnt 0x102
	s_delay_alu instid0(VALU_DEP_1) | instskip(NEXT) | instid1(VALU_DEP_2)
	v_dual_mul_f32 v164, v5, v2 :: v_dual_add_f32 v25, v160, v25
	v_dual_mul_f32 v2, v6, v2 :: v_dual_add_f32 v27, v27, v28
	v_mul_f32_e32 v159, v7, v4
	s_delay_alu instid0(VALU_DEP_3) | instskip(NEXT) | instid1(VALU_DEP_3)
	v_dual_mul_f32 v4, v8, v4 :: v_dual_add_f32 v25, v25, v26
	v_fma_f32 v2, v5, v1, -v2
	s_delay_alu instid0(VALU_DEP_4) | instskip(SKIP_3) | instid1(VALU_DEP_3)
	v_dual_add_f32 v27, v27, v31 :: v_dual_fmac_f32 v164, v6, v1
	s_wait_loadcnt_dscnt 0x1
	v_mul_f32_e32 v160, v13, v10
	v_dual_add_f32 v25, v25, v29 :: v_dual_mul_f32 v6, v14, v10
	v_add_f32_e32 v1, v27, v32
	v_fmac_f32_e32 v159, v8, v3
	v_fma_f32 v3, v7, v3, -v4
	s_delay_alu instid0(VALU_DEP_4) | instskip(SKIP_3) | instid1(VALU_DEP_4)
	v_add_f32_e32 v5, v25, v30
	v_mul_f32_e32 v165, v15, v12
	v_dual_add_f32 v1, v1, v2 :: v_dual_mul_f32 v4, v16, v12
	v_fmac_f32_e32 v160, v14, v9
	v_add_f32_e32 v2, v5, v164
	v_fma_f32 v5, v13, v9, -v6
	s_delay_alu instid0(VALU_DEP_4)
	v_add_f32_e32 v1, v1, v3
	s_wait_dscnt 0x0
	v_mul_f32_e32 v26, v21, v18
	v_mul_f32_e32 v3, v22, v18
	v_add_f32_e32 v2, v2, v159
	v_fmac_f32_e32 v165, v16, v11
	v_fma_f32 v4, v15, v11, -v4
	v_dual_add_f32 v1, v1, v5 :: v_dual_mul_f32 v28, v23, v20
	s_delay_alu instid0(VALU_DEP_4) | instskip(SKIP_2) | instid1(VALU_DEP_3)
	v_add_f32_e32 v2, v2, v160
	v_dual_mul_f32 v5, v24, v20 :: v_dual_fmac_f32 v26, v22, v17
	v_fma_f32 v3, v21, v17, -v3
	v_dual_add_f32 v1, v1, v4 :: v_dual_add_f32 v2, v2, v165
	v_fmac_f32_e32 v28, v24, v19
	s_delay_alu instid0(VALU_DEP_4) | instskip(NEXT) | instid1(VALU_DEP_3)
	v_fma_f32 v4, v23, v19, -v5
	v_dual_add_f32 v1, v1, v3 :: v_dual_add_f32 v2, v2, v26
	s_delay_alu instid0(VALU_DEP_1) | instskip(NEXT) | instid1(VALU_DEP_2)
	v_add_f32_e32 v1, v1, v4
	v_add_f32_e32 v2, v2, v28
	s_delay_alu instid0(VALU_DEP_1)
	v_dual_sub_f32 v1, v162, v1 :: v_dual_sub_f32 v2, v163, v2
	scratch_store_b64 off, v[1:2], off offset:32
	v_cmpx_lt_u32_e32 3, v0
	s_cbranch_execz .LBB126_385
; %bb.384:
	scratch_load_b64 v[1:2], off, off offset:24
	v_mov_b32_e32 v3, 0
	s_delay_alu instid0(VALU_DEP_1)
	v_mov_b32_e32 v4, v3
	scratch_store_b64 off, v[3:4], off offset:24
	s_wait_loadcnt 0x0
	ds_store_b64 v161, v[1:2]
.LBB126_385:
	s_wait_alu 0xfffe
	s_or_b32 exec_lo, exec_lo, s0
	s_wait_storecnt_dscnt 0x0
	s_barrier_signal -1
	s_barrier_wait -1
	global_inv scope:SCOPE_SE
	s_clause 0x4
	scratch_load_b128 v[5:8], off, off offset:32
	scratch_load_b128 v[1:4], off, off offset:48
	;; [unrolled: 1-line block ×5, first 2 shown]
	v_mov_b32_e32 v159, 0
	ds_load_b128 v[21:24], v159 offset:544
	ds_load_b128 v[25:28], v159 offset:560
	;; [unrolled: 1-line block ×3, first 2 shown]
	scratch_load_b64 v[162:163], off, off offset:24
	s_mov_b32 s0, exec_lo
	s_wait_loadcnt_dscnt 0x502
	v_mul_f32_e32 v160, v21, v6
	v_mul_f32_e32 v164, v23, v8
	;; [unrolled: 1-line block ×3, first 2 shown]
	s_wait_loadcnt_dscnt 0x300
	v_dual_mul_f32 v8, v24, v8 :: v_dual_mul_f32 v165, v29, v10
	v_fmac_f32_e32 v160, v22, v5
	v_mul_f32_e32 v166, v31, v12
	v_fma_f32 v21, v21, v5, -v6
	s_delay_alu instid0(VALU_DEP_4)
	v_fma_f32 v22, v23, v7, -v8
	v_dual_mul_f32 v23, v25, v2 :: v_dual_fmac_f32 v164, v24, v7
	ds_load_b128 v[5:8], v159 offset:592
	v_dual_mul_f32 v24, v27, v4 :: v_dual_fmac_f32 v165, v30, v9
	v_mul_f32_e32 v2, v26, v2
	v_mul_f32_e32 v4, v28, v4
	;; [unrolled: 1-line block ×3, first 2 shown]
	s_delay_alu instid0(VALU_DEP_4) | instskip(NEXT) | instid1(VALU_DEP_4)
	v_dual_fmac_f32 v23, v26, v1 :: v_dual_fmac_f32 v24, v28, v3
	v_fma_f32 v25, v25, v1, -v2
	s_delay_alu instid0(VALU_DEP_4) | instskip(SKIP_4) | instid1(VALU_DEP_3)
	v_fma_f32 v26, v27, v3, -v4
	scratch_load_b128 v[1:4], off, off offset:112
	v_mul_f32_e32 v12, v32, v12
	v_fmac_f32_e32 v166, v32, v11
	v_fma_f32 v27, v29, v9, -v10
	v_fma_f32 v28, v31, v11, -v12
	ds_load_b128 v[9:12], v159 offset:608
	s_wait_loadcnt_dscnt 0x301
	v_dual_mul_f32 v29, v5, v14 :: v_dual_mul_f32 v30, v7, v16
	v_mul_f32_e32 v14, v6, v14
	s_delay_alu instid0(VALU_DEP_2) | instskip(NEXT) | instid1(VALU_DEP_3)
	v_dual_mul_f32 v16, v8, v16 :: v_dual_fmac_f32 v29, v6, v13
	v_fmac_f32_e32 v30, v8, v15
	s_delay_alu instid0(VALU_DEP_3) | instskip(NEXT) | instid1(VALU_DEP_3)
	v_fma_f32 v13, v5, v13, -v14
	v_fma_f32 v14, v7, v15, -v16
	ds_load_b128 v[5:8], v159 offset:624
	s_wait_loadcnt_dscnt 0x201
	v_dual_mul_f32 v15, v9, v18 :: v_dual_mul_f32 v16, v11, v20
	v_mul_f32_e32 v18, v10, v18
	s_delay_alu instid0(VALU_DEP_2) | instskip(NEXT) | instid1(VALU_DEP_3)
	v_dual_mul_f32 v20, v12, v20 :: v_dual_fmac_f32 v15, v10, v17
	v_fmac_f32_e32 v16, v12, v19
	s_delay_alu instid0(VALU_DEP_3) | instskip(NEXT) | instid1(VALU_DEP_3)
	v_fma_f32 v17, v9, v17, -v18
	v_fma_f32 v18, v11, v19, -v20
	scratch_load_b128 v[9:12], off, off offset:128
	s_wait_loadcnt_dscnt 0x100
	v_dual_mul_f32 v19, v5, v2 :: v_dual_mul_f32 v20, v7, v4
	v_mul_f32_e32 v2, v6, v2
	s_delay_alu instid0(VALU_DEP_2) | instskip(NEXT) | instid1(VALU_DEP_3)
	v_dual_mul_f32 v4, v8, v4 :: v_dual_fmac_f32 v19, v6, v1
	v_fmac_f32_e32 v20, v8, v3
	s_delay_alu instid0(VALU_DEP_3) | instskip(NEXT) | instid1(VALU_DEP_3)
	v_fma_f32 v31, v5, v1, -v2
	v_fma_f32 v32, v7, v3, -v4
	ds_load_b128 v[1:4], v159 offset:640
	ds_load_b128 v[5:8], v159 offset:656
	s_wait_loadcnt_dscnt 0x1
	v_mul_f32_e32 v167, v1, v10
	v_mul_f32_e32 v10, v2, v10
	s_delay_alu instid0(VALU_DEP_2) | instskip(NEXT) | instid1(VALU_DEP_2)
	v_dual_mul_f32 v168, v3, v12 :: v_dual_fmac_f32 v167, v2, v9
	v_fma_f32 v169, v1, v9, -v10
	v_mul_f32_e32 v1, v4, v12
	s_delay_alu instid0(VALU_DEP_3) | instskip(NEXT) | instid1(VALU_DEP_2)
	v_fmac_f32_e32 v168, v4, v11
	v_fma_f32 v170, v3, v11, -v1
	s_clause 0x1
	scratch_load_b128 v[1:4], off, off offset:144
	scratch_load_b128 v[9:12], off, off offset:160
	s_wait_loadcnt_dscnt 0x100
	v_mul_f32_e32 v171, v5, v2
	v_dual_mul_f32 v2, v6, v2 :: v_dual_mul_f32 v173, v7, v4
	s_delay_alu instid0(VALU_DEP_2) | instskip(NEXT) | instid1(VALU_DEP_2)
	v_fmac_f32_e32 v171, v6, v1
	v_fma_f32 v172, v5, v1, -v2
	v_mul_f32_e32 v1, v8, v4
	s_delay_alu instid0(VALU_DEP_4) | instskip(NEXT) | instid1(VALU_DEP_2)
	v_fmac_f32_e32 v173, v8, v3
	v_fma_f32 v174, v7, v3, -v1
	ds_load_b128 v[1:4], v159 offset:672
	ds_load_b128 v[5:8], v159 offset:688
	s_wait_loadcnt_dscnt 0x1
	v_mul_f32_e32 v175, v1, v10
	v_mul_f32_e32 v177, v3, v12
	s_delay_alu instid0(VALU_DEP_2) | instskip(NEXT) | instid1(VALU_DEP_2)
	v_fmac_f32_e32 v175, v2, v9
	v_dual_mul_f32 v2, v2, v10 :: v_dual_fmac_f32 v177, v4, v11
	s_delay_alu instid0(VALU_DEP_1) | instskip(SKIP_1) | instid1(VALU_DEP_1)
	v_fma_f32 v176, v1, v9, -v2
	v_mul_f32_e32 v1, v4, v12
	v_fma_f32 v178, v3, v11, -v1
	s_clause 0x1
	scratch_load_b128 v[1:4], off, off offset:176
	scratch_load_b128 v[9:12], off, off offset:192
	s_wait_loadcnt_dscnt 0x100
	v_mul_f32_e32 v179, v5, v2
	v_dual_mul_f32 v2, v6, v2 :: v_dual_mul_f32 v181, v7, v4
	s_delay_alu instid0(VALU_DEP_2) | instskip(NEXT) | instid1(VALU_DEP_2)
	v_fmac_f32_e32 v179, v6, v1
	v_fma_f32 v180, v5, v1, -v2
	v_mul_f32_e32 v1, v8, v4
	s_delay_alu instid0(VALU_DEP_4) | instskip(NEXT) | instid1(VALU_DEP_2)
	v_fmac_f32_e32 v181, v8, v3
	v_fma_f32 v182, v7, v3, -v1
	ds_load_b128 v[1:4], v159 offset:704
	ds_load_b128 v[5:8], v159 offset:720
	s_wait_loadcnt_dscnt 0x1
	v_mul_f32_e32 v183, v1, v10
	v_mul_f32_e32 v185, v3, v12
	s_delay_alu instid0(VALU_DEP_2) | instskip(NEXT) | instid1(VALU_DEP_2)
	v_fmac_f32_e32 v183, v2, v9
	v_dual_mul_f32 v2, v2, v10 :: v_dual_fmac_f32 v185, v4, v11
	s_delay_alu instid0(VALU_DEP_1) | instskip(SKIP_1) | instid1(VALU_DEP_1)
	v_fma_f32 v184, v1, v9, -v2
	v_mul_f32_e32 v1, v4, v12
	;; [unrolled: 25-line block ×8, first 2 shown]
	v_fma_f32 v234, v3, v11, -v1
	s_clause 0x1
	scratch_load_b128 v[1:4], off, off offset:400
	scratch_load_b128 v[9:12], off, off offset:416
	s_wait_loadcnt_dscnt 0x100
	v_mul_f32_e32 v235, v5, v2
	v_dual_mul_f32 v2, v6, v2 :: v_dual_mul_f32 v237, v7, v4
	s_delay_alu instid0(VALU_DEP_2) | instskip(NEXT) | instid1(VALU_DEP_2)
	v_fmac_f32_e32 v235, v6, v1
	v_fma_f32 v236, v5, v1, -v2
	v_mul_f32_e32 v1, v8, v4
	v_add_f32_e32 v2, 0, v160
	s_delay_alu instid0(VALU_DEP_2) | instskip(NEXT) | instid1(VALU_DEP_2)
	v_fma_f32 v238, v7, v3, -v1
	v_dual_add_f32 v1, 0, v21 :: v_dual_add_f32 v2, v2, v164
	s_delay_alu instid0(VALU_DEP_1) | instskip(NEXT) | instid1(VALU_DEP_1)
	v_dual_add_f32 v1, v1, v22 :: v_dual_add_f32 v2, v2, v23
	v_dual_add_f32 v1, v1, v25 :: v_dual_add_f32 v2, v2, v24
	s_delay_alu instid0(VALU_DEP_1) | instskip(SKIP_2) | instid1(VALU_DEP_1)
	v_add_f32_e32 v1, v1, v26
	scratch_load_b64 v[25:26], off, off offset:496
	v_dual_add_f32 v2, v2, v165 :: v_dual_add_f32 v1, v1, v27
	v_dual_add_f32 v2, v2, v166 :: v_dual_add_f32 v1, v1, v28
	s_delay_alu instid0(VALU_DEP_1) | instskip(NEXT) | instid1(VALU_DEP_1)
	v_add_f32_e32 v2, v2, v29
	v_dual_add_f32 v1, v1, v13 :: v_dual_add_f32 v2, v2, v30
	s_delay_alu instid0(VALU_DEP_1) | instskip(NEXT) | instid1(VALU_DEP_1)
	v_dual_add_f32 v1, v1, v14 :: v_dual_add_f32 v2, v2, v15
	v_dual_add_f32 v1, v1, v17 :: v_dual_add_f32 v2, v2, v16
	s_delay_alu instid0(VALU_DEP_1) | instskip(NEXT) | instid1(VALU_DEP_1)
	v_dual_add_f32 v1, v1, v18 :: v_dual_add_f32 v2, v2, v19
	v_dual_add_f32 v1, v1, v31 :: v_dual_add_f32 v2, v2, v20
	s_delay_alu instid0(VALU_DEP_1) | instskip(NEXT) | instid1(VALU_DEP_1)
	v_dual_add_f32 v1, v1, v32 :: v_dual_add_f32 v2, v2, v167
	v_dual_add_f32 v1, v1, v169 :: v_dual_add_f32 v2, v2, v168
	s_delay_alu instid0(VALU_DEP_1) | instskip(NEXT) | instid1(VALU_DEP_1)
	v_dual_add_f32 v1, v1, v170 :: v_dual_add_f32 v2, v2, v171
	v_dual_add_f32 v1, v1, v172 :: v_dual_add_f32 v2, v2, v173
	s_delay_alu instid0(VALU_DEP_1) | instskip(NEXT) | instid1(VALU_DEP_1)
	v_dual_add_f32 v1, v1, v174 :: v_dual_add_f32 v2, v2, v175
	v_dual_add_f32 v1, v1, v176 :: v_dual_add_f32 v2, v2, v177
	s_delay_alu instid0(VALU_DEP_1) | instskip(NEXT) | instid1(VALU_DEP_1)
	v_dual_add_f32 v1, v1, v178 :: v_dual_add_f32 v2, v2, v179
	v_dual_add_f32 v1, v1, v180 :: v_dual_add_f32 v2, v2, v181
	s_delay_alu instid0(VALU_DEP_1) | instskip(NEXT) | instid1(VALU_DEP_1)
	v_dual_add_f32 v1, v1, v182 :: v_dual_add_f32 v2, v2, v183
	v_dual_add_f32 v1, v1, v184 :: v_dual_add_f32 v2, v2, v185
	s_delay_alu instid0(VALU_DEP_1) | instskip(NEXT) | instid1(VALU_DEP_1)
	v_add_f32_e32 v1, v1, v186
	v_add_f32_e32 v1, v1, v188
	s_delay_alu instid0(VALU_DEP_1) | instskip(NEXT) | instid1(VALU_DEP_1)
	v_add_f32_e32 v1, v1, v190
	v_add_f32_e32 v1, v1, v192
	;; [unrolled: 3-line block ×7, first 2 shown]
	v_add_f32_e32 v2, v2, v187
	s_delay_alu instid0(VALU_DEP_2) | instskip(NEXT) | instid1(VALU_DEP_2)
	v_add_f32_e32 v14, v6, v214
	v_dual_add_f32 v2, v2, v189 :: v_dual_fmac_f32 v237, v8, v3
	s_delay_alu instid0(VALU_DEP_2) | instskip(NEXT) | instid1(VALU_DEP_2)
	v_add_f32_e32 v14, v14, v216
	v_add_f32_e32 v2, v2, v191
	s_delay_alu instid0(VALU_DEP_2) | instskip(NEXT) | instid1(VALU_DEP_1)
	v_add_f32_e32 v17, v14, v218
	v_dual_add_f32 v2, v2, v193 :: v_dual_add_f32 v17, v17, v220
	s_delay_alu instid0(VALU_DEP_1) | instskip(NEXT) | instid1(VALU_DEP_1)
	v_dual_add_f32 v2, v2, v195 :: v_dual_add_f32 v17, v17, v222
	v_dual_add_f32 v2, v2, v197 :: v_dual_add_f32 v17, v17, v224
	s_delay_alu instid0(VALU_DEP_1) | instskip(NEXT) | instid1(VALU_DEP_2)
	v_add_f32_e32 v2, v2, v199
	v_add_f32_e32 v22, v17, v226
	s_delay_alu instid0(VALU_DEP_2) | instskip(NEXT) | instid1(VALU_DEP_2)
	v_add_f32_e32 v2, v2, v201
	v_add_f32_e32 v22, v22, v228
	s_delay_alu instid0(VALU_DEP_2) | instskip(NEXT) | instid1(VALU_DEP_2)
	;; [unrolled: 3-line block ×3, first 2 shown]
	v_add_f32_e32 v2, v2, v205
	v_add_f32_e32 v22, v22, v232
	s_delay_alu instid0(VALU_DEP_2) | instskip(NEXT) | instid1(VALU_DEP_1)
	v_add_f32_e32 v2, v2, v207
	v_add_f32_e32 v5, v2, v209
	scratch_load_b128 v[1:4], off, off offset:432
	v_add_f32_e32 v13, v5, v211
	ds_load_b128 v[5:8], v159 offset:928
	v_add_f32_e32 v13, v13, v213
	s_delay_alu instid0(VALU_DEP_1) | instskip(NEXT) | instid1(VALU_DEP_1)
	v_add_f32_e32 v13, v13, v215
	v_add_f32_e32 v18, v13, v217
	ds_load_b128 v[13:16], v159 offset:944
	s_wait_loadcnt_dscnt 0x201
	v_mul_f32_e32 v29, v5, v10
	v_mul_f32_e32 v10, v6, v10
	;; [unrolled: 1-line block ×3, first 2 shown]
	s_delay_alu instid0(VALU_DEP_3) | instskip(NEXT) | instid1(VALU_DEP_3)
	v_dual_mul_f32 v12, v8, v12 :: v_dual_fmac_f32 v29, v6, v9
	v_fma_f32 v31, v5, v9, -v10
	s_delay_alu instid0(VALU_DEP_3) | instskip(NEXT) | instid1(VALU_DEP_3)
	v_fmac_f32_e32 v30, v8, v11
	v_fma_f32 v32, v7, v11, -v12
	s_clause 0x1
	scratch_load_b128 v[9:12], off, off offset:464
	scratch_load_b128 v[5:8], off, off offset:448
	s_wait_loadcnt_dscnt 0x200
	v_mul_f32_e32 v164, v15, v4
	v_mul_f32_e32 v160, v13, v2
	;; [unrolled: 1-line block ×4, first 2 shown]
	s_delay_alu instid0(VALU_DEP_4)
	v_fmac_f32_e32 v164, v16, v3
	v_add_f32_e32 v18, v18, v219
	v_fmac_f32_e32 v160, v14, v1
	v_fma_f32 v165, v13, v1, -v2
	v_add_f32_e32 v14, v22, v234
	v_fma_f32 v166, v15, v3, -v4
	v_add_f32_e32 v18, v18, v221
	ds_load_b128 v[1:4], v159 offset:960
	v_add_f32_e32 v27, v14, v236
	v_add_f32_e32 v21, v18, v223
	scratch_load_b128 v[17:20], off, off offset:480
	v_add_f32_e32 v167, v27, v238
	v_add_f32_e32 v21, v21, v225
	s_delay_alu instid0(VALU_DEP_2) | instskip(NEXT) | instid1(VALU_DEP_2)
	v_add_f32_e32 v31, v167, v31
	v_add_f32_e32 v21, v21, v227
	s_delay_alu instid0(VALU_DEP_2) | instskip(NEXT) | instid1(VALU_DEP_2)
	;; [unrolled: 3-line block ×4, first 2 shown]
	v_add_f32_e32 v31, v31, v166
	v_add_f32_e32 v21, v13, v233
	ds_load_b128 v[13:16], v159 offset:976
	s_wait_loadcnt_dscnt 0x101
	v_mul_f32_e32 v167, v1, v6
	v_mul_f32_e32 v6, v2, v6
	s_delay_alu instid0(VALU_DEP_2) | instskip(NEXT) | instid1(VALU_DEP_2)
	v_fmac_f32_e32 v167, v2, v5
	v_fma_f32 v1, v1, v5, -v6
	s_wait_dscnt 0x0
	s_delay_alu instid0(VALU_DEP_1)
	v_dual_add_f32 v1, v31, v1 :: v_dual_mul_f32 v32, v13, v10
	v_add_f32_e32 v28, v21, v235
	ds_load_b128 v[21:24], v159 offset:992
	v_dual_mul_f32 v5, v16, v12 :: v_dual_fmac_f32 v32, v14, v9
	v_add_f32_e32 v168, v28, v237
	ds_load_b64 v[27:28], v159 offset:1008
	v_fma_f32 v5, v15, v11, -v5
	v_add_f32_e32 v29, v168, v29
	s_delay_alu instid0(VALU_DEP_1) | instskip(SKIP_1) | instid1(VALU_DEP_2)
	v_dual_add_f32 v29, v29, v30 :: v_dual_mul_f32 v30, v3, v8
	v_mul_f32_e32 v8, v4, v8
	v_dual_add_f32 v29, v29, v160 :: v_dual_fmac_f32 v30, v4, v7
	s_delay_alu instid0(VALU_DEP_2) | instskip(SKIP_2) | instid1(VALU_DEP_3)
	v_fma_f32 v2, v3, v7, -v8
	v_dual_mul_f32 v3, v14, v10 :: v_dual_mul_f32 v160, v15, v12
	s_wait_dscnt 0x0
	v_dual_add_f32 v29, v29, v164 :: v_dual_mul_f32 v164, v27, v26
	s_delay_alu instid0(VALU_DEP_3) | instskip(NEXT) | instid1(VALU_DEP_3)
	v_add_f32_e32 v1, v1, v2
	v_fma_f32 v3, v13, v9, -v3
	v_fmac_f32_e32 v160, v16, v11
	s_delay_alu instid0(VALU_DEP_4) | instskip(NEXT) | instid1(VALU_DEP_3)
	v_add_f32_e32 v4, v29, v167
	v_dual_fmac_f32 v164, v28, v25 :: v_dual_add_f32 v1, v1, v3
	s_delay_alu instid0(VALU_DEP_1) | instskip(NEXT) | instid1(VALU_DEP_1)
	v_dual_add_f32 v2, v4, v30 :: v_dual_add_f32 v1, v1, v5
	v_dual_mul_f32 v5, v28, v26 :: v_dual_add_f32 v2, v2, v32
	s_wait_loadcnt 0x0
	s_delay_alu instid0(VALU_DEP_1) | instskip(SKIP_3) | instid1(VALU_DEP_4)
	v_dual_add_f32 v2, v2, v160 :: v_dual_mul_f32 v165, v21, v18
	v_mul_f32_e32 v4, v22, v18
	v_mul_f32_e32 v166, v23, v20
	;; [unrolled: 1-line block ×3, first 2 shown]
	v_fmac_f32_e32 v165, v22, v17
	s_delay_alu instid0(VALU_DEP_4) | instskip(NEXT) | instid1(VALU_DEP_4)
	v_fma_f32 v4, v21, v17, -v4
	v_fmac_f32_e32 v166, v24, v19
	s_delay_alu instid0(VALU_DEP_4) | instskip(NEXT) | instid1(VALU_DEP_3)
	v_fma_f32 v3, v23, v19, -v3
	v_dual_add_f32 v2, v2, v165 :: v_dual_add_f32 v1, v1, v4
	v_fma_f32 v4, v27, v25, -v5
	s_delay_alu instid0(VALU_DEP_2) | instskip(NEXT) | instid1(VALU_DEP_1)
	v_dual_add_f32 v2, v2, v166 :: v_dual_add_f32 v1, v1, v3
	v_add_f32_e32 v2, v2, v164
	s_delay_alu instid0(VALU_DEP_1) | instskip(NEXT) | instid1(VALU_DEP_1)
	v_dual_add_f32 v1, v1, v4 :: v_dual_sub_f32 v2, v163, v2
	v_sub_f32_e32 v1, v162, v1
	scratch_store_b64 off, v[1:2], off offset:24
	v_cmpx_lt_u32_e32 2, v0
	s_cbranch_execz .LBB126_387
; %bb.386:
	scratch_load_b64 v[1:2], off, off offset:16
	v_mov_b32_e32 v160, v159
	scratch_store_b64 off, v[159:160], off offset:16
	s_wait_loadcnt 0x0
	ds_store_b64 v161, v[1:2]
.LBB126_387:
	s_wait_alu 0xfffe
	s_or_b32 exec_lo, exec_lo, s0
	s_wait_storecnt_dscnt 0x0
	s_barrier_signal -1
	s_barrier_wait -1
	global_inv scope:SCOPE_SE
	s_clause 0x4
	scratch_load_b128 v[5:8], off, off offset:24
	scratch_load_b128 v[1:4], off, off offset:40
	scratch_load_b128 v[9:12], off, off offset:56
	scratch_load_b128 v[13:16], off, off offset:72
	scratch_load_b128 v[17:20], off, off offset:88
	ds_load_2addr_b64 v[21:24], v159 offset0:67 offset1:68
	ds_load_2addr_b64 v[25:28], v159 offset0:69 offset1:70
	;; [unrolled: 1-line block ×3, first 2 shown]
	scratch_load_b64 v[162:163], off, off offset:16
	s_mov_b32 s0, exec_lo
	s_wait_loadcnt_dscnt 0x502
	v_mul_f32_e32 v160, v21, v6
	v_mul_f32_e32 v164, v23, v8
	;; [unrolled: 1-line block ×3, first 2 shown]
	s_wait_loadcnt_dscnt 0x300
	v_dual_mul_f32 v8, v24, v8 :: v_dual_mul_f32 v165, v29, v10
	v_fmac_f32_e32 v160, v22, v5
	v_mul_f32_e32 v166, v31, v12
	v_fma_f32 v21, v21, v5, -v6
	s_delay_alu instid0(VALU_DEP_4)
	v_fma_f32 v22, v23, v7, -v8
	v_dual_mul_f32 v23, v25, v2 :: v_dual_fmac_f32 v164, v24, v7
	v_fmac_f32_e32 v165, v30, v9
	ds_load_2addr_b64 v[5:8], v159 offset0:73 offset1:74
	v_mul_f32_e32 v24, v27, v4
	v_mul_f32_e32 v2, v26, v2
	v_mul_f32_e32 v4, v28, v4
	v_mul_f32_e32 v10, v30, v10
	s_delay_alu instid0(VALU_DEP_4) | instskip(NEXT) | instid1(VALU_DEP_4)
	v_dual_fmac_f32 v23, v26, v1 :: v_dual_fmac_f32 v24, v28, v3
	v_fma_f32 v25, v25, v1, -v2
	s_delay_alu instid0(VALU_DEP_4) | instskip(SKIP_4) | instid1(VALU_DEP_3)
	v_fma_f32 v26, v27, v3, -v4
	scratch_load_b128 v[1:4], off, off offset:104
	v_mul_f32_e32 v12, v32, v12
	v_fmac_f32_e32 v166, v32, v11
	v_fma_f32 v27, v29, v9, -v10
	v_fma_f32 v28, v31, v11, -v12
	ds_load_2addr_b64 v[9:12], v159 offset0:75 offset1:76
	s_wait_loadcnt_dscnt 0x301
	v_dual_mul_f32 v29, v5, v14 :: v_dual_mul_f32 v30, v7, v16
	v_mul_f32_e32 v14, v6, v14
	s_delay_alu instid0(VALU_DEP_2) | instskip(NEXT) | instid1(VALU_DEP_3)
	v_dual_mul_f32 v16, v8, v16 :: v_dual_fmac_f32 v29, v6, v13
	v_fmac_f32_e32 v30, v8, v15
	s_delay_alu instid0(VALU_DEP_3) | instskip(NEXT) | instid1(VALU_DEP_3)
	v_fma_f32 v13, v5, v13, -v14
	v_fma_f32 v14, v7, v15, -v16
	ds_load_2addr_b64 v[5:8], v159 offset0:77 offset1:78
	s_wait_loadcnt_dscnt 0x201
	v_dual_mul_f32 v15, v9, v18 :: v_dual_mul_f32 v16, v11, v20
	v_mul_f32_e32 v18, v10, v18
	s_delay_alu instid0(VALU_DEP_2) | instskip(NEXT) | instid1(VALU_DEP_3)
	v_dual_mul_f32 v20, v12, v20 :: v_dual_fmac_f32 v15, v10, v17
	v_fmac_f32_e32 v16, v12, v19
	s_delay_alu instid0(VALU_DEP_3) | instskip(NEXT) | instid1(VALU_DEP_3)
	v_fma_f32 v17, v9, v17, -v18
	v_fma_f32 v18, v11, v19, -v20
	scratch_load_b128 v[9:12], off, off offset:120
	s_wait_loadcnt_dscnt 0x100
	v_dual_mul_f32 v19, v5, v2 :: v_dual_mul_f32 v20, v7, v4
	v_mul_f32_e32 v2, v6, v2
	s_delay_alu instid0(VALU_DEP_2) | instskip(NEXT) | instid1(VALU_DEP_3)
	v_dual_mul_f32 v4, v8, v4 :: v_dual_fmac_f32 v19, v6, v1
	v_fmac_f32_e32 v20, v8, v3
	s_delay_alu instid0(VALU_DEP_3) | instskip(NEXT) | instid1(VALU_DEP_3)
	v_fma_f32 v31, v5, v1, -v2
	v_fma_f32 v32, v7, v3, -v4
	ds_load_2addr_b64 v[1:4], v159 offset0:79 offset1:80
	ds_load_2addr_b64 v[5:8], v159 offset0:81 offset1:82
	s_wait_loadcnt_dscnt 0x1
	v_mul_f32_e32 v167, v1, v10
	v_mul_f32_e32 v10, v2, v10
	s_delay_alu instid0(VALU_DEP_2) | instskip(NEXT) | instid1(VALU_DEP_2)
	v_dual_mul_f32 v168, v3, v12 :: v_dual_fmac_f32 v167, v2, v9
	v_fma_f32 v169, v1, v9, -v10
	v_mul_f32_e32 v1, v4, v12
	s_delay_alu instid0(VALU_DEP_3) | instskip(NEXT) | instid1(VALU_DEP_2)
	v_fmac_f32_e32 v168, v4, v11
	v_fma_f32 v170, v3, v11, -v1
	s_clause 0x1
	scratch_load_b128 v[1:4], off, off offset:136
	scratch_load_b128 v[9:12], off, off offset:152
	s_wait_loadcnt_dscnt 0x100
	v_mul_f32_e32 v171, v5, v2
	v_dual_mul_f32 v2, v6, v2 :: v_dual_mul_f32 v173, v7, v4
	s_delay_alu instid0(VALU_DEP_2) | instskip(NEXT) | instid1(VALU_DEP_2)
	v_fmac_f32_e32 v171, v6, v1
	v_fma_f32 v172, v5, v1, -v2
	v_mul_f32_e32 v1, v8, v4
	s_delay_alu instid0(VALU_DEP_4) | instskip(NEXT) | instid1(VALU_DEP_2)
	v_fmac_f32_e32 v173, v8, v3
	v_fma_f32 v174, v7, v3, -v1
	ds_load_2addr_b64 v[1:4], v159 offset0:83 offset1:84
	ds_load_2addr_b64 v[5:8], v159 offset0:85 offset1:86
	s_wait_loadcnt_dscnt 0x1
	v_mul_f32_e32 v175, v1, v10
	v_mul_f32_e32 v177, v3, v12
	s_delay_alu instid0(VALU_DEP_2) | instskip(NEXT) | instid1(VALU_DEP_2)
	v_fmac_f32_e32 v175, v2, v9
	v_dual_mul_f32 v2, v2, v10 :: v_dual_fmac_f32 v177, v4, v11
	s_delay_alu instid0(VALU_DEP_1) | instskip(SKIP_1) | instid1(VALU_DEP_1)
	v_fma_f32 v176, v1, v9, -v2
	v_mul_f32_e32 v1, v4, v12
	v_fma_f32 v178, v3, v11, -v1
	s_clause 0x1
	scratch_load_b128 v[1:4], off, off offset:168
	scratch_load_b128 v[9:12], off, off offset:184
	s_wait_loadcnt_dscnt 0x100
	v_mul_f32_e32 v179, v5, v2
	v_dual_mul_f32 v2, v6, v2 :: v_dual_mul_f32 v181, v7, v4
	s_delay_alu instid0(VALU_DEP_2) | instskip(NEXT) | instid1(VALU_DEP_2)
	v_fmac_f32_e32 v179, v6, v1
	v_fma_f32 v180, v5, v1, -v2
	v_mul_f32_e32 v1, v8, v4
	s_delay_alu instid0(VALU_DEP_4) | instskip(NEXT) | instid1(VALU_DEP_2)
	v_fmac_f32_e32 v181, v8, v3
	v_fma_f32 v182, v7, v3, -v1
	ds_load_2addr_b64 v[1:4], v159 offset0:87 offset1:88
	ds_load_2addr_b64 v[5:8], v159 offset0:89 offset1:90
	s_wait_loadcnt_dscnt 0x1
	v_mul_f32_e32 v183, v1, v10
	v_mul_f32_e32 v185, v3, v12
	s_delay_alu instid0(VALU_DEP_2) | instskip(NEXT) | instid1(VALU_DEP_2)
	v_fmac_f32_e32 v183, v2, v9
	v_dual_mul_f32 v2, v2, v10 :: v_dual_fmac_f32 v185, v4, v11
	s_delay_alu instid0(VALU_DEP_1) | instskip(SKIP_1) | instid1(VALU_DEP_1)
	v_fma_f32 v184, v1, v9, -v2
	v_mul_f32_e32 v1, v4, v12
	;; [unrolled: 25-line block ×9, first 2 shown]
	v_fma_f32 v242, v3, v11, -v1
	s_clause 0x1
	scratch_load_b128 v[1:4], off, off offset:424
	scratch_load_b128 v[9:12], off, off offset:440
	s_wait_loadcnt_dscnt 0x100
	v_mul_f32_e32 v243, v5, v2
	v_mul_f32_e32 v2, v6, v2
	s_delay_alu instid0(VALU_DEP_2) | instskip(NEXT) | instid1(VALU_DEP_2)
	v_fmac_f32_e32 v243, v6, v1
	v_fma_f32 v244, v5, v1, -v2
	v_mul_f32_e32 v1, v8, v4
	v_add_f32_e32 v2, 0, v160
	s_delay_alu instid0(VALU_DEP_2) | instskip(NEXT) | instid1(VALU_DEP_2)
	v_fma_f32 v246, v7, v3, -v1
	v_dual_add_f32 v1, 0, v21 :: v_dual_add_f32 v2, v2, v164
	s_delay_alu instid0(VALU_DEP_1) | instskip(NEXT) | instid1(VALU_DEP_1)
	v_dual_add_f32 v1, v1, v22 :: v_dual_add_f32 v2, v2, v23
	v_dual_add_f32 v1, v1, v25 :: v_dual_add_f32 v2, v2, v24
	s_delay_alu instid0(VALU_DEP_1) | instskip(NEXT) | instid1(VALU_DEP_1)
	v_dual_add_f32 v1, v1, v26 :: v_dual_add_f32 v2, v2, v165
	;; [unrolled: 3-line block ×10, first 2 shown]
	v_dual_add_f32 v1, v1, v184 :: v_dual_add_f32 v2, v2, v185
	s_delay_alu instid0(VALU_DEP_1) | instskip(NEXT) | instid1(VALU_DEP_1)
	v_add_f32_e32 v1, v1, v186
	v_add_f32_e32 v1, v1, v188
	s_delay_alu instid0(VALU_DEP_1) | instskip(NEXT) | instid1(VALU_DEP_1)
	v_add_f32_e32 v1, v1, v190
	v_add_f32_e32 v1, v1, v192
	;; [unrolled: 3-line block ×8, first 2 shown]
	s_delay_alu instid0(VALU_DEP_1) | instskip(SKIP_1) | instid1(VALU_DEP_2)
	v_add_f32_e32 v6, v1, v218
	v_add_f32_e32 v2, v2, v187
	;; [unrolled: 1-line block ×3, first 2 shown]
	s_delay_alu instid0(VALU_DEP_2) | instskip(NEXT) | instid1(VALU_DEP_2)
	v_add_f32_e32 v2, v2, v189
	v_add_f32_e32 v13, v6, v222
	s_delay_alu instid0(VALU_DEP_1) | instskip(NEXT) | instid1(VALU_DEP_1)
	v_dual_add_f32 v2, v2, v191 :: v_dual_add_f32 v13, v13, v224
	v_dual_add_f32 v2, v2, v193 :: v_dual_add_f32 v13, v13, v226
	s_delay_alu instid0(VALU_DEP_1) | instskip(NEXT) | instid1(VALU_DEP_1)
	v_dual_add_f32 v2, v2, v195 :: v_dual_add_f32 v13, v13, v228
	v_add_f32_e32 v2, v2, v197
	s_delay_alu instid0(VALU_DEP_2) | instskip(NEXT) | instid1(VALU_DEP_2)
	v_add_f32_e32 v18, v13, v230
	v_add_f32_e32 v2, v2, v199
	s_delay_alu instid0(VALU_DEP_2) | instskip(NEXT) | instid1(VALU_DEP_2)
	v_add_f32_e32 v18, v18, v232
	v_dual_add_f32 v2, v2, v201 :: v_dual_mul_f32 v245, v7, v4
	s_delay_alu instid0(VALU_DEP_2) | instskip(NEXT) | instid1(VALU_DEP_2)
	v_add_f32_e32 v18, v18, v234
	v_add_f32_e32 v2, v2, v203
	s_delay_alu instid0(VALU_DEP_2) | instskip(NEXT) | instid1(VALU_DEP_1)
	v_add_f32_e32 v21, v18, v236
	v_dual_add_f32 v2, v2, v205 :: v_dual_add_f32 v29, v21, v238
	s_delay_alu instid0(VALU_DEP_1) | instskip(NEXT) | instid1(VALU_DEP_1)
	v_dual_add_f32 v2, v2, v207 :: v_dual_add_f32 v29, v29, v240
	v_dual_add_f32 v2, v2, v209 :: v_dual_add_f32 v29, v29, v242
	s_delay_alu instid0(VALU_DEP_1) | instskip(NEXT) | instid1(VALU_DEP_1)
	v_dual_add_f32 v2, v2, v211 :: v_dual_add_f32 v29, v29, v244
	v_dual_add_f32 v2, v2, v213 :: v_dual_fmac_f32 v245, v8, v3
	s_delay_alu instid0(VALU_DEP_2) | instskip(NEXT) | instid1(VALU_DEP_2)
	v_add_f32_e32 v29, v29, v246
	v_add_f32_e32 v5, v2, v215
	ds_load_2addr_b64 v[1:4], v159 offset0:119 offset1:120
	v_add_f32_e32 v5, v5, v217
	s_delay_alu instid0(VALU_DEP_1) | instskip(NEXT) | instid1(VALU_DEP_1)
	v_add_f32_e32 v5, v5, v219
	v_add_f32_e32 v14, v5, v221
	ds_load_2addr_b64 v[5:8], v159 offset0:121 offset1:122
	s_wait_loadcnt_dscnt 0x1
	v_dual_mul_f32 v25, v1, v10 :: v_dual_mul_f32 v26, v3, v12
	v_mul_f32_e32 v10, v2, v10
	s_delay_alu instid0(VALU_DEP_2) | instskip(NEXT) | instid1(VALU_DEP_3)
	v_dual_mul_f32 v12, v4, v12 :: v_dual_fmac_f32 v25, v2, v9
	v_fmac_f32_e32 v26, v4, v11
	s_delay_alu instid0(VALU_DEP_3) | instskip(NEXT) | instid1(VALU_DEP_3)
	v_fma_f32 v27, v1, v9, -v10
	v_fma_f32 v28, v3, v11, -v12
	s_clause 0x1
	scratch_load_b128 v[1:4], off, off offset:456
	scratch_load_b128 v[9:12], off, off offset:472
	s_wait_loadcnt_dscnt 0x100
	v_dual_add_f32 v27, v29, v27 :: v_dual_mul_f32 v32, v7, v4
	v_mul_f32_e32 v4, v8, v4
	v_dual_add_f32 v14, v14, v223 :: v_dual_mul_f32 v31, v5, v2
	v_mul_f32_e32 v2, v6, v2
	s_delay_alu instid0(VALU_DEP_4) | instskip(NEXT) | instid1(VALU_DEP_4)
	v_fmac_f32_e32 v32, v8, v3
	v_fma_f32 v3, v7, v3, -v4
	s_delay_alu instid0(VALU_DEP_4) | instskip(SKIP_3) | instid1(VALU_DEP_4)
	v_add_f32_e32 v14, v14, v225
	v_fmac_f32_e32 v31, v6, v1
	v_fma_f32 v2, v5, v1, -v2
	v_add_f32_e32 v1, v27, v28
	v_add_f32_e32 v17, v14, v227
	scratch_load_b128 v[13:16], off, off offset:488
	v_add_f32_e32 v1, v1, v2
	v_add_f32_e32 v17, v17, v229
	s_delay_alu instid0(VALU_DEP_2) | instskip(NEXT) | instid1(VALU_DEP_2)
	v_add_f32_e32 v1, v1, v3
	v_add_f32_e32 v17, v17, v231
	s_delay_alu instid0(VALU_DEP_1) | instskip(NEXT) | instid1(VALU_DEP_1)
	v_add_f32_e32 v17, v17, v233
	v_add_f32_e32 v22, v17, v235
	ds_load_2addr_b64 v[17:20], v159 offset0:123 offset1:124
	v_add_f32_e32 v30, v22, v237
	ds_load_2addr_b64 v[21:24], v159 offset0:125 offset1:126
	s_wait_loadcnt_dscnt 0x101
	v_dual_mul_f32 v160, v19, v12 :: v_dual_mul_f32 v159, v17, v10
	v_mul_f32_e32 v6, v18, v10
	v_mul_f32_e32 v4, v20, v12
	s_delay_alu instid0(VALU_DEP_3) | instskip(SKIP_2) | instid1(VALU_DEP_4)
	v_fmac_f32_e32 v160, v20, v11
	v_add_f32_e32 v30, v30, v239
	v_fmac_f32_e32 v159, v18, v9
	v_fma_f32 v4, v19, v11, -v4
	s_delay_alu instid0(VALU_DEP_3) | instskip(NEXT) | instid1(VALU_DEP_1)
	v_add_f32_e32 v30, v30, v241
	v_add_f32_e32 v30, v30, v243
	s_delay_alu instid0(VALU_DEP_1) | instskip(NEXT) | instid1(VALU_DEP_1)
	v_add_f32_e32 v30, v30, v245
	v_add_f32_e32 v25, v30, v25
	s_delay_alu instid0(VALU_DEP_1) | instskip(NEXT) | instid1(VALU_DEP_1)
	v_add_f32_e32 v5, v25, v26
	v_add_f32_e32 v2, v5, v31
	v_fma_f32 v5, v17, v9, -v6
	s_delay_alu instid0(VALU_DEP_1) | instskip(NEXT) | instid1(VALU_DEP_1)
	v_dual_add_f32 v2, v2, v32 :: v_dual_add_f32 v1, v1, v5
	v_dual_add_f32 v2, v2, v159 :: v_dual_add_f32 v1, v1, v4
	s_delay_alu instid0(VALU_DEP_1) | instskip(SKIP_4) | instid1(VALU_DEP_3)
	v_add_f32_e32 v2, v2, v160
	s_wait_loadcnt_dscnt 0x0
	v_mul_f32_e32 v164, v21, v14
	v_mul_f32_e32 v3, v22, v14
	;; [unrolled: 1-line block ×3, first 2 shown]
	v_dual_mul_f32 v5, v24, v16 :: v_dual_fmac_f32 v164, v22, v13
	s_delay_alu instid0(VALU_DEP_3) | instskip(NEXT) | instid1(VALU_DEP_3)
	v_fma_f32 v3, v21, v13, -v3
	v_fmac_f32_e32 v29, v24, v15
	s_delay_alu instid0(VALU_DEP_3) | instskip(NEXT) | instid1(VALU_DEP_3)
	v_fma_f32 v4, v23, v15, -v5
	v_dual_add_f32 v2, v2, v164 :: v_dual_add_f32 v1, v1, v3
	s_delay_alu instid0(VALU_DEP_1) | instskip(NEXT) | instid1(VALU_DEP_1)
	v_dual_add_f32 v2, v2, v29 :: v_dual_add_f32 v1, v1, v4
	v_dual_sub_f32 v2, v163, v2 :: v_dual_sub_f32 v1, v162, v1
	scratch_store_b64 off, v[1:2], off offset:16
	v_cmpx_lt_u32_e32 1, v0
	s_cbranch_execz .LBB126_389
; %bb.388:
	scratch_load_b64 v[1:2], off, off offset:8
	v_mov_b32_e32 v3, 0
	s_delay_alu instid0(VALU_DEP_1)
	v_mov_b32_e32 v4, v3
	scratch_store_b64 off, v[3:4], off offset:8
	s_wait_loadcnt 0x0
	ds_store_b64 v161, v[1:2]
.LBB126_389:
	s_wait_alu 0xfffe
	s_or_b32 exec_lo, exec_lo, s0
	s_wait_storecnt_dscnt 0x0
	s_barrier_signal -1
	s_barrier_wait -1
	global_inv scope:SCOPE_SE
	s_clause 0x4
	scratch_load_b128 v[5:8], off, off offset:16
	scratch_load_b128 v[1:4], off, off offset:32
	;; [unrolled: 1-line block ×5, first 2 shown]
	v_mov_b32_e32 v159, 0
	ds_load_b128 v[21:24], v159 offset:528
	ds_load_b128 v[25:28], v159 offset:544
	;; [unrolled: 1-line block ×3, first 2 shown]
	scratch_load_b64 v[162:163], off, off offset:8
	s_mov_b32 s0, exec_lo
	s_wait_loadcnt_dscnt 0x502
	v_mul_f32_e32 v160, v21, v6
	v_mul_f32_e32 v164, v23, v8
	;; [unrolled: 1-line block ×3, first 2 shown]
	s_wait_loadcnt_dscnt 0x300
	v_dual_mul_f32 v8, v24, v8 :: v_dual_mul_f32 v165, v29, v10
	v_fmac_f32_e32 v160, v22, v5
	v_mul_f32_e32 v166, v31, v12
	v_fma_f32 v21, v21, v5, -v6
	s_delay_alu instid0(VALU_DEP_4)
	v_fma_f32 v22, v23, v7, -v8
	v_dual_mul_f32 v23, v25, v2 :: v_dual_fmac_f32 v164, v24, v7
	ds_load_b128 v[5:8], v159 offset:576
	v_dual_mul_f32 v24, v27, v4 :: v_dual_fmac_f32 v165, v30, v9
	v_mul_f32_e32 v2, v26, v2
	v_mul_f32_e32 v4, v28, v4
	;; [unrolled: 1-line block ×3, first 2 shown]
	s_delay_alu instid0(VALU_DEP_4) | instskip(NEXT) | instid1(VALU_DEP_4)
	v_dual_fmac_f32 v23, v26, v1 :: v_dual_fmac_f32 v24, v28, v3
	v_fma_f32 v25, v25, v1, -v2
	s_delay_alu instid0(VALU_DEP_4) | instskip(SKIP_4) | instid1(VALU_DEP_3)
	v_fma_f32 v26, v27, v3, -v4
	scratch_load_b128 v[1:4], off, off offset:96
	v_mul_f32_e32 v12, v32, v12
	v_fmac_f32_e32 v166, v32, v11
	v_fma_f32 v27, v29, v9, -v10
	v_fma_f32 v28, v31, v11, -v12
	ds_load_b128 v[9:12], v159 offset:592
	s_wait_loadcnt_dscnt 0x301
	v_dual_mul_f32 v29, v5, v14 :: v_dual_mul_f32 v30, v7, v16
	v_mul_f32_e32 v14, v6, v14
	s_delay_alu instid0(VALU_DEP_2) | instskip(NEXT) | instid1(VALU_DEP_3)
	v_dual_mul_f32 v16, v8, v16 :: v_dual_fmac_f32 v29, v6, v13
	v_fmac_f32_e32 v30, v8, v15
	s_delay_alu instid0(VALU_DEP_3) | instskip(NEXT) | instid1(VALU_DEP_3)
	v_fma_f32 v13, v5, v13, -v14
	v_fma_f32 v14, v7, v15, -v16
	ds_load_b128 v[5:8], v159 offset:608
	s_wait_loadcnt_dscnt 0x201
	v_dual_mul_f32 v15, v9, v18 :: v_dual_mul_f32 v16, v11, v20
	v_mul_f32_e32 v18, v10, v18
	s_delay_alu instid0(VALU_DEP_2) | instskip(NEXT) | instid1(VALU_DEP_3)
	v_dual_mul_f32 v20, v12, v20 :: v_dual_fmac_f32 v15, v10, v17
	v_fmac_f32_e32 v16, v12, v19
	s_delay_alu instid0(VALU_DEP_3) | instskip(NEXT) | instid1(VALU_DEP_3)
	v_fma_f32 v17, v9, v17, -v18
	v_fma_f32 v18, v11, v19, -v20
	scratch_load_b128 v[9:12], off, off offset:112
	s_wait_loadcnt_dscnt 0x100
	v_dual_mul_f32 v19, v5, v2 :: v_dual_mul_f32 v20, v7, v4
	v_mul_f32_e32 v2, v6, v2
	s_delay_alu instid0(VALU_DEP_2) | instskip(NEXT) | instid1(VALU_DEP_3)
	v_dual_mul_f32 v4, v8, v4 :: v_dual_fmac_f32 v19, v6, v1
	v_fmac_f32_e32 v20, v8, v3
	s_delay_alu instid0(VALU_DEP_3) | instskip(NEXT) | instid1(VALU_DEP_3)
	v_fma_f32 v31, v5, v1, -v2
	v_fma_f32 v32, v7, v3, -v4
	ds_load_b128 v[1:4], v159 offset:624
	ds_load_b128 v[5:8], v159 offset:640
	s_wait_loadcnt_dscnt 0x1
	v_mul_f32_e32 v167, v1, v10
	v_mul_f32_e32 v10, v2, v10
	s_delay_alu instid0(VALU_DEP_2) | instskip(NEXT) | instid1(VALU_DEP_2)
	v_dual_mul_f32 v168, v3, v12 :: v_dual_fmac_f32 v167, v2, v9
	v_fma_f32 v169, v1, v9, -v10
	v_mul_f32_e32 v1, v4, v12
	s_delay_alu instid0(VALU_DEP_3) | instskip(NEXT) | instid1(VALU_DEP_2)
	v_fmac_f32_e32 v168, v4, v11
	v_fma_f32 v170, v3, v11, -v1
	s_clause 0x1
	scratch_load_b128 v[1:4], off, off offset:128
	scratch_load_b128 v[9:12], off, off offset:144
	s_wait_loadcnt_dscnt 0x100
	v_mul_f32_e32 v171, v5, v2
	v_dual_mul_f32 v2, v6, v2 :: v_dual_mul_f32 v173, v7, v4
	s_delay_alu instid0(VALU_DEP_2) | instskip(NEXT) | instid1(VALU_DEP_2)
	v_fmac_f32_e32 v171, v6, v1
	v_fma_f32 v172, v5, v1, -v2
	v_mul_f32_e32 v1, v8, v4
	s_delay_alu instid0(VALU_DEP_4) | instskip(NEXT) | instid1(VALU_DEP_2)
	v_fmac_f32_e32 v173, v8, v3
	v_fma_f32 v174, v7, v3, -v1
	ds_load_b128 v[1:4], v159 offset:656
	ds_load_b128 v[5:8], v159 offset:672
	s_wait_loadcnt_dscnt 0x1
	v_mul_f32_e32 v175, v1, v10
	v_mul_f32_e32 v177, v3, v12
	s_delay_alu instid0(VALU_DEP_2) | instskip(NEXT) | instid1(VALU_DEP_2)
	v_fmac_f32_e32 v175, v2, v9
	v_dual_mul_f32 v2, v2, v10 :: v_dual_fmac_f32 v177, v4, v11
	s_delay_alu instid0(VALU_DEP_1) | instskip(SKIP_1) | instid1(VALU_DEP_1)
	v_fma_f32 v176, v1, v9, -v2
	v_mul_f32_e32 v1, v4, v12
	v_fma_f32 v178, v3, v11, -v1
	s_clause 0x1
	scratch_load_b128 v[1:4], off, off offset:160
	scratch_load_b128 v[9:12], off, off offset:176
	s_wait_loadcnt_dscnt 0x100
	v_mul_f32_e32 v179, v5, v2
	v_dual_mul_f32 v2, v6, v2 :: v_dual_mul_f32 v181, v7, v4
	s_delay_alu instid0(VALU_DEP_2) | instskip(NEXT) | instid1(VALU_DEP_2)
	v_fmac_f32_e32 v179, v6, v1
	v_fma_f32 v180, v5, v1, -v2
	v_mul_f32_e32 v1, v8, v4
	s_delay_alu instid0(VALU_DEP_4) | instskip(NEXT) | instid1(VALU_DEP_2)
	v_fmac_f32_e32 v181, v8, v3
	v_fma_f32 v182, v7, v3, -v1
	ds_load_b128 v[1:4], v159 offset:688
	ds_load_b128 v[5:8], v159 offset:704
	s_wait_loadcnt_dscnt 0x1
	v_mul_f32_e32 v183, v1, v10
	v_mul_f32_e32 v185, v3, v12
	s_delay_alu instid0(VALU_DEP_2) | instskip(NEXT) | instid1(VALU_DEP_2)
	v_fmac_f32_e32 v183, v2, v9
	v_dual_mul_f32 v2, v2, v10 :: v_dual_fmac_f32 v185, v4, v11
	s_delay_alu instid0(VALU_DEP_1) | instskip(SKIP_1) | instid1(VALU_DEP_1)
	v_fma_f32 v184, v1, v9, -v2
	v_mul_f32_e32 v1, v4, v12
	;; [unrolled: 25-line block ×9, first 2 shown]
	v_fma_f32 v242, v3, v11, -v1
	s_clause 0x1
	scratch_load_b128 v[1:4], off, off offset:416
	scratch_load_b128 v[9:12], off, off offset:432
	s_wait_loadcnt_dscnt 0x100
	v_mul_f32_e32 v243, v5, v2
	v_mul_f32_e32 v2, v6, v2
	s_delay_alu instid0(VALU_DEP_2) | instskip(NEXT) | instid1(VALU_DEP_2)
	v_fmac_f32_e32 v243, v6, v1
	v_fma_f32 v244, v5, v1, -v2
	v_mul_f32_e32 v1, v8, v4
	v_add_f32_e32 v2, 0, v160
	s_delay_alu instid0(VALU_DEP_2) | instskip(NEXT) | instid1(VALU_DEP_2)
	v_fma_f32 v246, v7, v3, -v1
	v_dual_add_f32 v1, 0, v21 :: v_dual_add_f32 v2, v2, v164
	s_delay_alu instid0(VALU_DEP_1) | instskip(NEXT) | instid1(VALU_DEP_1)
	v_dual_add_f32 v1, v1, v22 :: v_dual_add_f32 v2, v2, v23
	v_dual_add_f32 v1, v1, v25 :: v_dual_add_f32 v2, v2, v24
	s_delay_alu instid0(VALU_DEP_1) | instskip(SKIP_2) | instid1(VALU_DEP_1)
	v_dual_add_f32 v1, v1, v26 :: v_dual_add_f32 v2, v2, v165
	scratch_load_b64 v[25:26], off, off offset:496
	v_dual_add_f32 v1, v1, v27 :: v_dual_add_f32 v2, v2, v166
	v_dual_add_f32 v1, v1, v28 :: v_dual_add_f32 v2, v2, v29
	s_delay_alu instid0(VALU_DEP_1) | instskip(NEXT) | instid1(VALU_DEP_1)
	v_dual_add_f32 v1, v1, v13 :: v_dual_add_f32 v2, v2, v30
	v_dual_add_f32 v1, v1, v14 :: v_dual_add_f32 v2, v2, v15
	s_delay_alu instid0(VALU_DEP_1) | instskip(NEXT) | instid1(VALU_DEP_1)
	;; [unrolled: 3-line block ×8, first 2 shown]
	v_dual_add_f32 v1, v1, v184 :: v_dual_add_f32 v2, v2, v185
	v_add_f32_e32 v1, v1, v186
	s_delay_alu instid0(VALU_DEP_1) | instskip(NEXT) | instid1(VALU_DEP_1)
	v_add_f32_e32 v1, v1, v188
	v_add_f32_e32 v1, v1, v190
	s_delay_alu instid0(VALU_DEP_1) | instskip(NEXT) | instid1(VALU_DEP_1)
	v_add_f32_e32 v1, v1, v192
	;; [unrolled: 3-line block ×8, first 2 shown]
	v_add_f32_e32 v6, v1, v218
	v_add_f32_e32 v2, v2, v187
	s_delay_alu instid0(VALU_DEP_2) | instskip(NEXT) | instid1(VALU_DEP_2)
	v_add_f32_e32 v6, v6, v220
	v_add_f32_e32 v2, v2, v189
	s_delay_alu instid0(VALU_DEP_2) | instskip(NEXT) | instid1(VALU_DEP_1)
	v_add_f32_e32 v13, v6, v222
	v_dual_add_f32 v2, v2, v191 :: v_dual_add_f32 v13, v13, v224
	s_delay_alu instid0(VALU_DEP_1) | instskip(NEXT) | instid1(VALU_DEP_1)
	v_dual_add_f32 v2, v2, v193 :: v_dual_add_f32 v13, v13, v226
	v_dual_add_f32 v2, v2, v195 :: v_dual_add_f32 v13, v13, v228
	s_delay_alu instid0(VALU_DEP_1) | instskip(NEXT) | instid1(VALU_DEP_2)
	v_add_f32_e32 v2, v2, v197
	v_add_f32_e32 v18, v13, v230
	s_delay_alu instid0(VALU_DEP_2) | instskip(NEXT) | instid1(VALU_DEP_2)
	v_add_f32_e32 v2, v2, v199
	v_add_f32_e32 v18, v18, v232
	s_delay_alu instid0(VALU_DEP_2) | instskip(NEXT) | instid1(VALU_DEP_2)
	;; [unrolled: 3-line block ×4, first 2 shown]
	v_dual_add_f32 v2, v2, v205 :: v_dual_mul_f32 v245, v7, v4
	v_add_f32_e32 v18, v18, v238
	s_delay_alu instid0(VALU_DEP_2) | instskip(NEXT) | instid1(VALU_DEP_3)
	v_add_f32_e32 v2, v2, v207
	v_fmac_f32_e32 v245, v8, v3
	s_delay_alu instid0(VALU_DEP_3) | instskip(NEXT) | instid1(VALU_DEP_3)
	v_add_f32_e32 v27, v18, v240
	v_add_f32_e32 v2, v2, v209
	s_delay_alu instid0(VALU_DEP_2) | instskip(NEXT) | instid1(VALU_DEP_2)
	v_add_f32_e32 v160, v27, v242
	v_add_f32_e32 v2, v2, v211
	s_delay_alu instid0(VALU_DEP_2) | instskip(NEXT) | instid1(VALU_DEP_2)
	v_add_f32_e32 v160, v160, v244
	v_add_f32_e32 v2, v2, v213
	s_delay_alu instid0(VALU_DEP_1) | instskip(SKIP_2) | instid1(VALU_DEP_1)
	v_dual_add_f32 v160, v160, v246 :: v_dual_add_f32 v5, v2, v215
	ds_load_b128 v[1:4], v159 offset:944
	v_add_f32_e32 v5, v5, v217
	v_add_f32_e32 v5, v5, v219
	s_delay_alu instid0(VALU_DEP_1)
	v_add_f32_e32 v14, v5, v221
	ds_load_b128 v[5:8], v159 offset:960
	s_wait_loadcnt_dscnt 0x101
	v_dual_add_f32 v14, v14, v223 :: v_dual_mul_f32 v29, v1, v10
	v_mul_f32_e32 v10, v2, v10
	v_mul_f32_e32 v30, v3, v12
	;; [unrolled: 1-line block ×3, first 2 shown]
	s_delay_alu instid0(VALU_DEP_4)
	v_add_f32_e32 v14, v14, v225
	v_fmac_f32_e32 v29, v2, v9
	v_fma_f32 v31, v1, v9, -v10
	v_fmac_f32_e32 v30, v4, v11
	v_fma_f32 v32, v3, v11, -v12
	s_clause 0x1
	scratch_load_b128 v[1:4], off, off offset:448
	scratch_load_b128 v[9:12], off, off offset:464
	v_add_f32_e32 v31, v160, v31
	s_delay_alu instid0(VALU_DEP_1)
	v_add_f32_e32 v31, v31, v32
	s_wait_loadcnt_dscnt 0x100
	v_dual_mul_f32 v166, v7, v4 :: v_dual_add_f32 v17, v14, v227
	scratch_load_b128 v[13:16], off, off offset:480
	v_dual_mul_f32 v4, v8, v4 :: v_dual_mul_f32 v165, v5, v2
	v_dual_mul_f32 v2, v6, v2 :: v_dual_add_f32 v17, v17, v229
	s_delay_alu instid0(VALU_DEP_2) | instskip(NEXT) | instid1(VALU_DEP_2)
	v_dual_fmac_f32 v166, v8, v3 :: v_dual_fmac_f32 v165, v6, v1
	v_fma_f32 v2, v5, v1, -v2
	s_delay_alu instid0(VALU_DEP_3) | instskip(SKIP_1) | instid1(VALU_DEP_2)
	v_add_f32_e32 v17, v17, v231
	v_fma_f32 v1, v7, v3, -v4
	v_dual_add_f32 v2, v31, v2 :: v_dual_add_f32 v17, v17, v233
	s_delay_alu instid0(VALU_DEP_1) | instskip(NEXT) | instid1(VALU_DEP_2)
	v_add_f32_e32 v1, v2, v1
	v_add_f32_e32 v17, v17, v235
	s_delay_alu instid0(VALU_DEP_1)
	v_add_f32_e32 v21, v17, v237
	ds_load_b128 v[17:20], v159 offset:976
	v_add_f32_e32 v28, v21, v239
	ds_load_b128 v[21:24], v159 offset:992
	v_add_f32_e32 v164, v28, v241
	ds_load_b64 v[27:28], v159 offset:1008
	s_wait_loadcnt_dscnt 0x102
	v_mul_f32_e32 v160, v17, v10
	v_mul_f32_e32 v3, v18, v10
	s_delay_alu instid0(VALU_DEP_2) | instskip(NEXT) | instid1(VALU_DEP_2)
	v_dual_mul_f32 v5, v20, v12 :: v_dual_fmac_f32 v160, v18, v9
	v_fma_f32 v3, v17, v9, -v3
	s_delay_alu instid0(VALU_DEP_2) | instskip(NEXT) | instid1(VALU_DEP_2)
	v_fma_f32 v5, v19, v11, -v5
	v_add_f32_e32 v1, v1, v3
	s_delay_alu instid0(VALU_DEP_1) | instskip(SKIP_4) | instid1(VALU_DEP_3)
	v_add_f32_e32 v1, v1, v5
	s_wait_loadcnt_dscnt 0x0
	v_dual_mul_f32 v5, v28, v26 :: v_dual_mul_f32 v32, v23, v16
	v_dual_add_f32 v164, v164, v243 :: v_dual_mul_f32 v167, v21, v14
	v_mul_f32_e32 v3, v24, v16
	v_fmac_f32_e32 v32, v24, v15
	s_delay_alu instid0(VALU_DEP_3) | instskip(NEXT) | instid1(VALU_DEP_4)
	v_add_f32_e32 v164, v164, v245
	v_fmac_f32_e32 v167, v22, v13
	s_delay_alu instid0(VALU_DEP_4) | instskip(NEXT) | instid1(VALU_DEP_3)
	v_fma_f32 v3, v23, v15, -v3
	v_dual_add_f32 v29, v164, v29 :: v_dual_mul_f32 v164, v19, v12
	s_delay_alu instid0(VALU_DEP_1) | instskip(SKIP_1) | instid1(VALU_DEP_2)
	v_dual_add_f32 v29, v29, v30 :: v_dual_fmac_f32 v164, v20, v11
	v_mul_f32_e32 v30, v27, v26
	v_add_f32_e32 v4, v29, v165
	s_delay_alu instid0(VALU_DEP_2) | instskip(NEXT) | instid1(VALU_DEP_2)
	v_fmac_f32_e32 v30, v28, v25
	v_add_f32_e32 v2, v4, v166
	v_mul_f32_e32 v4, v22, v14
	s_delay_alu instid0(VALU_DEP_2) | instskip(NEXT) | instid1(VALU_DEP_2)
	v_add_f32_e32 v2, v2, v160
	v_fma_f32 v4, v21, v13, -v4
	s_delay_alu instid0(VALU_DEP_2) | instskip(NEXT) | instid1(VALU_DEP_2)
	v_add_f32_e32 v2, v2, v164
	v_add_f32_e32 v1, v1, v4
	v_fma_f32 v4, v27, v25, -v5
	s_delay_alu instid0(VALU_DEP_3) | instskip(NEXT) | instid1(VALU_DEP_1)
	v_add_f32_e32 v2, v2, v167
	v_dual_add_f32 v1, v1, v3 :: v_dual_add_f32 v2, v2, v32
	s_delay_alu instid0(VALU_DEP_1) | instskip(NEXT) | instid1(VALU_DEP_1)
	v_dual_add_f32 v1, v1, v4 :: v_dual_add_f32 v2, v2, v30
	v_dual_sub_f32 v1, v162, v1 :: v_dual_sub_f32 v2, v163, v2
	scratch_store_b64 off, v[1:2], off offset:8
	v_cmpx_ne_u32_e32 0, v0
	s_cbranch_execz .LBB126_391
; %bb.390:
	scratch_load_b64 v[0:1], off, off
	v_mov_b32_e32 v160, v159
	scratch_store_b64 off, v[159:160], off
	s_wait_loadcnt 0x0
	ds_store_b64 v161, v[0:1]
.LBB126_391:
	s_wait_alu 0xfffe
	s_or_b32 exec_lo, exec_lo, s0
	s_wait_storecnt_dscnt 0x0
	s_barrier_signal -1
	s_barrier_wait -1
	global_inv scope:SCOPE_SE
	s_clause 0x6
	scratch_load_b128 v[0:3], off, off offset:8
	scratch_load_b128 v[4:7], off, off offset:24
	scratch_load_b128 v[8:11], off, off offset:40
	scratch_load_b128 v[12:15], off, off offset:56
	scratch_load_b128 v[16:19], off, off offset:72
	scratch_load_b128 v[20:23], off, off offset:88
	scratch_load_b128 v[24:27], off, off offset:104
	ds_load_2addr_b64 v[160:163], v159 offset0:65 offset1:66
	ds_load_2addr_b64 v[28:31], v159 offset0:67 offset1:68
	scratch_load_b64 v[164:165], off, off
	s_and_b32 vcc_lo, exec_lo, s12
	s_wait_loadcnt_dscnt 0x701
	v_mul_f32_e32 v32, v160, v1
	v_dual_mul_f32 v166, v162, v3 :: v_dual_mul_f32 v1, v161, v1
	s_delay_alu instid0(VALU_DEP_2) | instskip(NEXT) | instid1(VALU_DEP_2)
	v_dual_mul_f32 v3, v163, v3 :: v_dual_fmac_f32 v32, v161, v0
	v_fmac_f32_e32 v166, v163, v2
	s_delay_alu instid0(VALU_DEP_3) | instskip(NEXT) | instid1(VALU_DEP_3)
	v_fma_f32 v160, v160, v0, -v1
	v_fma_f32 v161, v162, v2, -v3
	ds_load_2addr_b64 v[0:3], v159 offset0:69 offset1:70
	s_wait_loadcnt_dscnt 0x601
	v_dual_mul_f32 v162, v28, v5 :: v_dual_mul_f32 v163, v30, v7
	v_mul_f32_e32 v5, v29, v5
	s_delay_alu instid0(VALU_DEP_2) | instskip(NEXT) | instid1(VALU_DEP_3)
	v_dual_mul_f32 v7, v31, v7 :: v_dual_fmac_f32 v162, v29, v4
	v_fmac_f32_e32 v163, v31, v6
	s_delay_alu instid0(VALU_DEP_3) | instskip(NEXT) | instid1(VALU_DEP_3)
	v_fma_f32 v28, v28, v4, -v5
	v_fma_f32 v29, v30, v6, -v7
	ds_load_2addr_b64 v[4:7], v159 offset0:71 offset1:72
	s_wait_loadcnt_dscnt 0x501
	v_dual_mul_f32 v30, v0, v9 :: v_dual_mul_f32 v31, v2, v11
	v_mul_f32_e32 v9, v1, v9
	s_delay_alu instid0(VALU_DEP_2) | instskip(NEXT) | instid1(VALU_DEP_3)
	v_dual_mul_f32 v11, v3, v11 :: v_dual_fmac_f32 v30, v1, v8
	v_fmac_f32_e32 v31, v3, v10
	s_delay_alu instid0(VALU_DEP_2)
	v_fma_f32 v168, v2, v10, -v11
	s_wait_loadcnt_dscnt 0x400
	v_mul_f32_e32 v170, v6, v15
	v_fma_f32 v167, v0, v8, -v9
	ds_load_2addr_b64 v[0:3], v159 offset0:73 offset1:74
	v_mul_f32_e32 v169, v4, v13
	v_dual_mul_f32 v8, v5, v13 :: v_dual_mul_f32 v9, v7, v15
	s_delay_alu instid0(VALU_DEP_2) | instskip(NEXT) | instid1(VALU_DEP_2)
	v_dual_fmac_f32 v170, v7, v14 :: v_dual_fmac_f32 v169, v5, v12
	v_fma_f32 v12, v4, v12, -v8
	s_delay_alu instid0(VALU_DEP_3) | instskip(SKIP_4) | instid1(VALU_DEP_2)
	v_fma_f32 v13, v6, v14, -v9
	ds_load_2addr_b64 v[4:7], v159 offset0:75 offset1:76
	s_wait_loadcnt_dscnt 0x301
	v_dual_mul_f32 v14, v0, v17 :: v_dual_mul_f32 v15, v2, v19
	v_dual_mul_f32 v8, v1, v17 :: v_dual_mul_f32 v9, v3, v19
	v_dual_fmac_f32 v14, v1, v16 :: v_dual_fmac_f32 v15, v3, v18
	s_delay_alu instid0(VALU_DEP_2) | instskip(NEXT) | instid1(VALU_DEP_3)
	v_fma_f32 v16, v0, v16, -v8
	v_fma_f32 v17, v2, v18, -v9
	ds_load_2addr_b64 v[0:3], v159 offset0:77 offset1:78
	s_wait_loadcnt_dscnt 0x201
	v_dual_mul_f32 v18, v4, v21 :: v_dual_mul_f32 v19, v6, v23
	v_dual_mul_f32 v8, v5, v21 :: v_dual_mul_f32 v9, v7, v23
	s_delay_alu instid0(VALU_DEP_2) | instskip(NEXT) | instid1(VALU_DEP_2)
	v_dual_fmac_f32 v18, v5, v20 :: v_dual_fmac_f32 v19, v7, v22
	v_fma_f32 v20, v4, v20, -v8
	s_delay_alu instid0(VALU_DEP_3) | instskip(SKIP_4) | instid1(VALU_DEP_2)
	v_fma_f32 v21, v6, v22, -v9
	ds_load_2addr_b64 v[4:7], v159 offset0:79 offset1:80
	s_wait_loadcnt_dscnt 0x101
	v_dual_mul_f32 v22, v0, v25 :: v_dual_mul_f32 v23, v2, v27
	v_dual_mul_f32 v8, v1, v25 :: v_dual_mul_f32 v9, v3, v27
	v_dual_fmac_f32 v22, v1, v24 :: v_dual_fmac_f32 v23, v3, v26
	s_delay_alu instid0(VALU_DEP_2) | instskip(NEXT) | instid1(VALU_DEP_3)
	v_fma_f32 v24, v0, v24, -v8
	v_fma_f32 v25, v2, v26, -v9
	s_clause 0x1
	scratch_load_b128 v[0:3], off, off offset:120
	scratch_load_b128 v[8:11], off, off offset:136
	s_wait_loadcnt_dscnt 0x100
	v_mul_f32_e32 v26, v4, v1
	v_mul_f32_e32 v1, v5, v1
	s_delay_alu instid0(VALU_DEP_2) | instskip(NEXT) | instid1(VALU_DEP_2)
	v_dual_mul_f32 v171, v6, v3 :: v_dual_fmac_f32 v26, v5, v0
	v_fma_f32 v27, v4, v0, -v1
	v_mul_f32_e32 v0, v7, v3
	s_delay_alu instid0(VALU_DEP_3) | instskip(NEXT) | instid1(VALU_DEP_2)
	v_fmac_f32_e32 v171, v7, v2
	v_fma_f32 v172, v6, v2, -v0
	ds_load_2addr_b64 v[0:3], v159 offset0:81 offset1:82
	ds_load_2addr_b64 v[4:7], v159 offset0:83 offset1:84
	s_wait_loadcnt_dscnt 0x1
	v_mul_f32_e32 v173, v0, v9
	v_mul_f32_e32 v175, v2, v11
	s_delay_alu instid0(VALU_DEP_2) | instskip(SKIP_1) | instid1(VALU_DEP_3)
	v_fmac_f32_e32 v173, v1, v8
	v_mul_f32_e32 v1, v1, v9
	v_fmac_f32_e32 v175, v3, v10
	s_delay_alu instid0(VALU_DEP_2) | instskip(SKIP_1) | instid1(VALU_DEP_1)
	v_fma_f32 v174, v0, v8, -v1
	v_mul_f32_e32 v0, v3, v11
	v_fma_f32 v176, v2, v10, -v0
	s_clause 0x1
	scratch_load_b128 v[0:3], off, off offset:152
	scratch_load_b128 v[8:11], off, off offset:168
	s_wait_loadcnt_dscnt 0x100
	v_mul_f32_e32 v177, v4, v1
	v_mul_f32_e32 v1, v5, v1
	v_mul_f32_e32 v179, v6, v3
	s_delay_alu instid0(VALU_DEP_3) | instskip(NEXT) | instid1(VALU_DEP_3)
	v_fmac_f32_e32 v177, v5, v0
	v_fma_f32 v178, v4, v0, -v1
	v_mul_f32_e32 v0, v7, v3
	s_delay_alu instid0(VALU_DEP_4) | instskip(NEXT) | instid1(VALU_DEP_2)
	v_fmac_f32_e32 v179, v7, v2
	v_fma_f32 v180, v6, v2, -v0
	ds_load_2addr_b64 v[0:3], v159 offset0:85 offset1:86
	ds_load_2addr_b64 v[4:7], v159 offset0:87 offset1:88
	s_wait_loadcnt_dscnt 0x1
	v_mul_f32_e32 v181, v0, v9
	v_mul_f32_e32 v183, v2, v11
	s_delay_alu instid0(VALU_DEP_2) | instskip(SKIP_1) | instid1(VALU_DEP_3)
	v_fmac_f32_e32 v181, v1, v8
	v_mul_f32_e32 v1, v1, v9
	v_fmac_f32_e32 v183, v3, v10
	s_delay_alu instid0(VALU_DEP_2) | instskip(SKIP_1) | instid1(VALU_DEP_1)
	v_fma_f32 v182, v0, v8, -v1
	v_mul_f32_e32 v0, v3, v11
	v_fma_f32 v184, v2, v10, -v0
	s_clause 0x1
	scratch_load_b128 v[0:3], off, off offset:184
	scratch_load_b128 v[8:11], off, off offset:200
	s_wait_loadcnt_dscnt 0x100
	v_mul_f32_e32 v185, v4, v1
	v_mul_f32_e32 v1, v5, v1
	v_mul_f32_e32 v187, v6, v3
	s_delay_alu instid0(VALU_DEP_3) | instskip(NEXT) | instid1(VALU_DEP_3)
	v_fmac_f32_e32 v185, v5, v0
	v_fma_f32 v186, v4, v0, -v1
	v_mul_f32_e32 v0, v7, v3
	s_delay_alu instid0(VALU_DEP_4) | instskip(NEXT) | instid1(VALU_DEP_2)
	v_fmac_f32_e32 v187, v7, v2
	v_fma_f32 v188, v6, v2, -v0
	ds_load_2addr_b64 v[0:3], v159 offset0:89 offset1:90
	ds_load_2addr_b64 v[4:7], v159 offset0:91 offset1:92
	s_wait_loadcnt_dscnt 0x1
	v_mul_f32_e32 v189, v0, v9
	v_mul_f32_e32 v191, v2, v11
	s_delay_alu instid0(VALU_DEP_2) | instskip(SKIP_1) | instid1(VALU_DEP_3)
	v_fmac_f32_e32 v189, v1, v8
	v_mul_f32_e32 v1, v1, v9
	v_fmac_f32_e32 v191, v3, v10
	s_delay_alu instid0(VALU_DEP_2) | instskip(SKIP_1) | instid1(VALU_DEP_1)
	v_fma_f32 v190, v0, v8, -v1
	v_mul_f32_e32 v0, v3, v11
	v_fma_f32 v192, v2, v10, -v0
	s_clause 0x1
	scratch_load_b128 v[0:3], off, off offset:216
	scratch_load_b128 v[8:11], off, off offset:232
	s_wait_loadcnt_dscnt 0x100
	v_mul_f32_e32 v193, v4, v1
	v_mul_f32_e32 v1, v5, v1
	v_mul_f32_e32 v195, v6, v3
	s_delay_alu instid0(VALU_DEP_3) | instskip(NEXT) | instid1(VALU_DEP_3)
	v_fmac_f32_e32 v193, v5, v0
	v_fma_f32 v194, v4, v0, -v1
	v_mul_f32_e32 v0, v7, v3
	s_delay_alu instid0(VALU_DEP_4) | instskip(NEXT) | instid1(VALU_DEP_2)
	v_fmac_f32_e32 v195, v7, v2
	v_fma_f32 v196, v6, v2, -v0
	ds_load_2addr_b64 v[0:3], v159 offset0:93 offset1:94
	ds_load_2addr_b64 v[4:7], v159 offset0:95 offset1:96
	s_wait_loadcnt_dscnt 0x1
	v_mul_f32_e32 v197, v0, v9
	v_mul_f32_e32 v199, v2, v11
	s_delay_alu instid0(VALU_DEP_2) | instskip(SKIP_1) | instid1(VALU_DEP_3)
	v_fmac_f32_e32 v197, v1, v8
	v_mul_f32_e32 v1, v1, v9
	v_fmac_f32_e32 v199, v3, v10
	s_delay_alu instid0(VALU_DEP_2) | instskip(SKIP_1) | instid1(VALU_DEP_1)
	v_fma_f32 v198, v0, v8, -v1
	v_mul_f32_e32 v0, v3, v11
	v_fma_f32 v200, v2, v10, -v0
	s_clause 0x1
	scratch_load_b128 v[0:3], off, off offset:248
	scratch_load_b128 v[8:11], off, off offset:264
	s_wait_loadcnt_dscnt 0x100
	v_mul_f32_e32 v201, v4, v1
	v_mul_f32_e32 v1, v5, v1
	v_mul_f32_e32 v203, v6, v3
	s_delay_alu instid0(VALU_DEP_3) | instskip(NEXT) | instid1(VALU_DEP_3)
	v_fmac_f32_e32 v201, v5, v0
	v_fma_f32 v202, v4, v0, -v1
	v_mul_f32_e32 v0, v7, v3
	s_delay_alu instid0(VALU_DEP_4) | instskip(NEXT) | instid1(VALU_DEP_2)
	v_fmac_f32_e32 v203, v7, v2
	v_fma_f32 v204, v6, v2, -v0
	ds_load_2addr_b64 v[0:3], v159 offset0:97 offset1:98
	ds_load_2addr_b64 v[4:7], v159 offset0:99 offset1:100
	s_wait_loadcnt_dscnt 0x1
	v_mul_f32_e32 v205, v0, v9
	v_mul_f32_e32 v207, v2, v11
	s_delay_alu instid0(VALU_DEP_2) | instskip(SKIP_1) | instid1(VALU_DEP_3)
	v_fmac_f32_e32 v205, v1, v8
	v_mul_f32_e32 v1, v1, v9
	v_fmac_f32_e32 v207, v3, v10
	s_delay_alu instid0(VALU_DEP_2) | instskip(SKIP_1) | instid1(VALU_DEP_1)
	v_fma_f32 v206, v0, v8, -v1
	v_mul_f32_e32 v0, v3, v11
	v_fma_f32 v208, v2, v10, -v0
	s_clause 0x1
	scratch_load_b128 v[0:3], off, off offset:280
	scratch_load_b128 v[8:11], off, off offset:296
	s_wait_loadcnt_dscnt 0x100
	v_mul_f32_e32 v209, v4, v1
	v_mul_f32_e32 v1, v5, v1
	v_mul_f32_e32 v211, v6, v3
	s_delay_alu instid0(VALU_DEP_3) | instskip(NEXT) | instid1(VALU_DEP_3)
	v_fmac_f32_e32 v209, v5, v0
	v_fma_f32 v210, v4, v0, -v1
	v_mul_f32_e32 v0, v7, v3
	s_delay_alu instid0(VALU_DEP_4) | instskip(NEXT) | instid1(VALU_DEP_2)
	v_fmac_f32_e32 v211, v7, v2
	v_fma_f32 v212, v6, v2, -v0
	ds_load_2addr_b64 v[0:3], v159 offset0:101 offset1:102
	ds_load_2addr_b64 v[4:7], v159 offset0:103 offset1:104
	s_wait_loadcnt_dscnt 0x1
	v_mul_f32_e32 v213, v0, v9
	v_mul_f32_e32 v215, v2, v11
	s_delay_alu instid0(VALU_DEP_2) | instskip(SKIP_1) | instid1(VALU_DEP_3)
	v_fmac_f32_e32 v213, v1, v8
	v_mul_f32_e32 v1, v1, v9
	v_fmac_f32_e32 v215, v3, v10
	s_delay_alu instid0(VALU_DEP_2) | instskip(SKIP_1) | instid1(VALU_DEP_1)
	v_fma_f32 v214, v0, v8, -v1
	v_mul_f32_e32 v0, v3, v11
	v_fma_f32 v216, v2, v10, -v0
	s_clause 0x1
	scratch_load_b128 v[0:3], off, off offset:312
	scratch_load_b128 v[8:11], off, off offset:328
	s_wait_loadcnt_dscnt 0x100
	v_mul_f32_e32 v217, v4, v1
	v_mul_f32_e32 v1, v5, v1
	v_mul_f32_e32 v219, v6, v3
	s_delay_alu instid0(VALU_DEP_3) | instskip(NEXT) | instid1(VALU_DEP_3)
	v_fmac_f32_e32 v217, v5, v0
	v_fma_f32 v218, v4, v0, -v1
	v_mul_f32_e32 v0, v7, v3
	s_delay_alu instid0(VALU_DEP_4) | instskip(NEXT) | instid1(VALU_DEP_2)
	v_fmac_f32_e32 v219, v7, v2
	v_fma_f32 v220, v6, v2, -v0
	ds_load_2addr_b64 v[0:3], v159 offset0:105 offset1:106
	ds_load_2addr_b64 v[4:7], v159 offset0:107 offset1:108
	s_wait_loadcnt_dscnt 0x1
	v_mul_f32_e32 v221, v0, v9
	v_mul_f32_e32 v223, v2, v11
	s_delay_alu instid0(VALU_DEP_2) | instskip(SKIP_1) | instid1(VALU_DEP_3)
	v_fmac_f32_e32 v221, v1, v8
	v_mul_f32_e32 v1, v1, v9
	v_fmac_f32_e32 v223, v3, v10
	s_delay_alu instid0(VALU_DEP_2) | instskip(SKIP_1) | instid1(VALU_DEP_1)
	v_fma_f32 v222, v0, v8, -v1
	v_mul_f32_e32 v0, v3, v11
	v_fma_f32 v224, v2, v10, -v0
	s_clause 0x1
	scratch_load_b128 v[0:3], off, off offset:344
	scratch_load_b128 v[8:11], off, off offset:360
	s_wait_loadcnt_dscnt 0x100
	v_mul_f32_e32 v225, v4, v1
	v_mul_f32_e32 v1, v5, v1
	s_delay_alu instid0(VALU_DEP_2) | instskip(NEXT) | instid1(VALU_DEP_2)
	v_fmac_f32_e32 v225, v5, v0
	v_fma_f32 v226, v4, v0, -v1
	v_mul_f32_e32 v227, v6, v3
	v_mul_f32_e32 v0, v7, v3
	s_delay_alu instid0(VALU_DEP_2) | instskip(NEXT) | instid1(VALU_DEP_2)
	v_fmac_f32_e32 v227, v7, v2
	v_fma_f32 v228, v6, v2, -v0
	ds_load_2addr_b64 v[0:3], v159 offset0:109 offset1:110
	ds_load_2addr_b64 v[4:7], v159 offset0:111 offset1:112
	s_wait_loadcnt_dscnt 0x1
	v_mul_f32_e32 v229, v0, v9
	v_mul_f32_e32 v231, v2, v11
	s_delay_alu instid0(VALU_DEP_2) | instskip(SKIP_1) | instid1(VALU_DEP_3)
	v_fmac_f32_e32 v229, v1, v8
	v_mul_f32_e32 v1, v1, v9
	v_fmac_f32_e32 v231, v3, v10
	s_delay_alu instid0(VALU_DEP_2) | instskip(SKIP_1) | instid1(VALU_DEP_1)
	v_fma_f32 v230, v0, v8, -v1
	v_mul_f32_e32 v0, v3, v11
	v_fma_f32 v232, v2, v10, -v0
	s_clause 0x1
	scratch_load_b128 v[0:3], off, off offset:376
	scratch_load_b128 v[8:11], off, off offset:392
	s_wait_loadcnt_dscnt 0x100
	v_mul_f32_e32 v233, v4, v1
	v_mul_f32_e32 v1, v5, v1
	;; [unrolled: 1-line block ×3, first 2 shown]
	s_delay_alu instid0(VALU_DEP_3) | instskip(NEXT) | instid1(VALU_DEP_3)
	v_fmac_f32_e32 v233, v5, v0
	v_fma_f32 v234, v4, v0, -v1
	v_mul_f32_e32 v0, v7, v3
	s_delay_alu instid0(VALU_DEP_4) | instskip(NEXT) | instid1(VALU_DEP_2)
	v_fmac_f32_e32 v235, v7, v2
	v_fma_f32 v236, v6, v2, -v0
	ds_load_2addr_b64 v[0:3], v159 offset0:113 offset1:114
	ds_load_2addr_b64 v[4:7], v159 offset0:115 offset1:116
	s_wait_loadcnt_dscnt 0x1
	v_mul_f32_e32 v237, v0, v9
	v_mul_f32_e32 v239, v2, v11
	s_delay_alu instid0(VALU_DEP_2) | instskip(SKIP_1) | instid1(VALU_DEP_3)
	v_fmac_f32_e32 v237, v1, v8
	v_mul_f32_e32 v1, v1, v9
	v_fmac_f32_e32 v239, v3, v10
	s_delay_alu instid0(VALU_DEP_2) | instskip(SKIP_1) | instid1(VALU_DEP_1)
	v_fma_f32 v238, v0, v8, -v1
	v_mul_f32_e32 v0, v3, v11
	v_fma_f32 v240, v2, v10, -v0
	s_clause 0x1
	scratch_load_b128 v[0:3], off, off offset:408
	scratch_load_b128 v[8:11], off, off offset:424
	s_wait_loadcnt_dscnt 0x100
	v_mul_f32_e32 v241, v4, v1
	v_mul_f32_e32 v1, v5, v1
	s_delay_alu instid0(VALU_DEP_2) | instskip(NEXT) | instid1(VALU_DEP_2)
	v_fmac_f32_e32 v241, v5, v0
	v_fma_f32 v242, v4, v0, -v1
	v_dual_mul_f32 v0, v7, v3 :: v_dual_add_f32 v1, 0, v32
	s_delay_alu instid0(VALU_DEP_1) | instskip(NEXT) | instid1(VALU_DEP_2)
	v_fma_f32 v244, v6, v2, -v0
	v_dual_add_f32 v0, 0, v160 :: v_dual_add_f32 v1, v1, v166
	s_delay_alu instid0(VALU_DEP_1) | instskip(NEXT) | instid1(VALU_DEP_1)
	v_dual_add_f32 v0, v0, v161 :: v_dual_add_f32 v1, v1, v162
	v_dual_add_f32 v0, v0, v28 :: v_dual_add_f32 v1, v1, v163
	s_delay_alu instid0(VALU_DEP_1) | instskip(NEXT) | instid1(VALU_DEP_1)
	v_dual_add_f32 v0, v0, v29 :: v_dual_add_f32 v1, v1, v30
	v_add_f32_e32 v0, v0, v167
	s_delay_alu instid0(VALU_DEP_1) | instskip(NEXT) | instid1(VALU_DEP_1)
	v_dual_add_f32 v1, v1, v31 :: v_dual_add_f32 v0, v0, v168
	v_dual_add_f32 v1, v1, v169 :: v_dual_add_f32 v0, v0, v12
	s_delay_alu instid0(VALU_DEP_1) | instskip(NEXT) | instid1(VALU_DEP_1)
	v_dual_add_f32 v1, v1, v170 :: v_dual_add_f32 v0, v0, v13
	v_dual_add_f32 v1, v1, v14 :: v_dual_add_f32 v0, v0, v16
	s_delay_alu instid0(VALU_DEP_1) | instskip(NEXT) | instid1(VALU_DEP_1)
	v_dual_add_f32 v1, v1, v15 :: v_dual_add_f32 v0, v0, v17
	v_dual_add_f32 v1, v1, v18 :: v_dual_add_f32 v0, v0, v20
	s_delay_alu instid0(VALU_DEP_1) | instskip(NEXT) | instid1(VALU_DEP_1)
	v_dual_add_f32 v1, v1, v19 :: v_dual_add_f32 v0, v0, v21
	v_dual_add_f32 v1, v1, v22 :: v_dual_add_f32 v0, v0, v24
	s_delay_alu instid0(VALU_DEP_1) | instskip(NEXT) | instid1(VALU_DEP_1)
	v_dual_add_f32 v1, v1, v23 :: v_dual_add_f32 v0, v0, v25
	v_dual_add_f32 v1, v1, v26 :: v_dual_add_f32 v0, v0, v27
	s_delay_alu instid0(VALU_DEP_1) | instskip(NEXT) | instid1(VALU_DEP_1)
	v_dual_add_f32 v1, v1, v171 :: v_dual_add_f32 v0, v0, v172
	v_dual_add_f32 v1, v1, v173 :: v_dual_add_f32 v0, v0, v174
	s_delay_alu instid0(VALU_DEP_1) | instskip(NEXT) | instid1(VALU_DEP_1)
	v_dual_add_f32 v1, v1, v175 :: v_dual_add_f32 v0, v0, v176
	v_dual_add_f32 v1, v1, v177 :: v_dual_add_f32 v0, v0, v178
	s_delay_alu instid0(VALU_DEP_1) | instskip(NEXT) | instid1(VALU_DEP_1)
	v_dual_add_f32 v1, v1, v179 :: v_dual_add_f32 v0, v0, v180
	v_dual_add_f32 v1, v1, v181 :: v_dual_add_f32 v0, v0, v182
	s_delay_alu instid0(VALU_DEP_1) | instskip(NEXT) | instid1(VALU_DEP_1)
	v_dual_add_f32 v1, v1, v183 :: v_dual_add_f32 v0, v0, v184
	v_dual_add_f32 v1, v1, v185 :: v_dual_add_f32 v0, v0, v186
	s_delay_alu instid0(VALU_DEP_1) | instskip(NEXT) | instid1(VALU_DEP_1)
	v_dual_add_f32 v1, v1, v187 :: v_dual_add_f32 v0, v0, v188
	v_dual_add_f32 v1, v1, v189 :: v_dual_add_f32 v0, v0, v190
	s_delay_alu instid0(VALU_DEP_1) | instskip(NEXT) | instid1(VALU_DEP_1)
	v_dual_add_f32 v1, v1, v191 :: v_dual_add_f32 v0, v0, v192
	v_dual_add_f32 v1, v1, v193 :: v_dual_add_f32 v0, v0, v194
	s_delay_alu instid0(VALU_DEP_1) | instskip(NEXT) | instid1(VALU_DEP_1)
	v_dual_add_f32 v1, v1, v195 :: v_dual_add_f32 v0, v0, v196
	v_dual_add_f32 v1, v1, v197 :: v_dual_add_f32 v0, v0, v198
	s_delay_alu instid0(VALU_DEP_1) | instskip(NEXT) | instid1(VALU_DEP_1)
	v_dual_add_f32 v1, v1, v199 :: v_dual_add_f32 v0, v0, v200
	v_dual_add_f32 v1, v1, v201 :: v_dual_add_f32 v0, v0, v202
	s_delay_alu instid0(VALU_DEP_1) | instskip(NEXT) | instid1(VALU_DEP_1)
	v_dual_add_f32 v1, v1, v203 :: v_dual_add_f32 v0, v0, v204
	v_dual_add_f32 v1, v1, v205 :: v_dual_add_f32 v0, v0, v206
	s_delay_alu instid0(VALU_DEP_1) | instskip(NEXT) | instid1(VALU_DEP_1)
	v_dual_add_f32 v1, v1, v207 :: v_dual_add_f32 v0, v0, v208
	v_dual_add_f32 v1, v1, v209 :: v_dual_add_f32 v0, v0, v210
	s_delay_alu instid0(VALU_DEP_1) | instskip(NEXT) | instid1(VALU_DEP_1)
	v_dual_add_f32 v1, v1, v211 :: v_dual_add_f32 v0, v0, v212
	v_dual_add_f32 v5, v1, v213 :: v_dual_add_f32 v4, v0, v214
	s_delay_alu instid0(VALU_DEP_1) | instskip(NEXT) | instid1(VALU_DEP_1)
	v_dual_add_f32 v5, v5, v215 :: v_dual_add_f32 v4, v4, v216
	v_add_f32_e32 v12, v5, v217
	s_delay_alu instid0(VALU_DEP_2) | instskip(NEXT) | instid1(VALU_DEP_2)
	v_add_f32_e32 v4, v4, v218
	v_add_f32_e32 v12, v12, v219
	s_delay_alu instid0(VALU_DEP_2) | instskip(NEXT) | instid1(VALU_DEP_1)
	v_add_f32_e32 v13, v4, v220
	v_dual_add_f32 v12, v12, v221 :: v_dual_add_f32 v13, v13, v222
	s_delay_alu instid0(VALU_DEP_1) | instskip(NEXT) | instid1(VALU_DEP_1)
	v_add_f32_e32 v13, v13, v224
	v_add_f32_e32 v13, v13, v226
	s_delay_alu instid0(VALU_DEP_1) | instskip(NEXT) | instid1(VALU_DEP_1)
	v_add_f32_e32 v16, v13, v228
	v_add_f32_e32 v20, v16, v230
	;; [unrolled: 3-line block ×5, first 2 shown]
	ds_load_2addr_b64 v[28:31], v159 offset0:125 offset1:126
	v_mul_f32_e32 v243, v6, v3
	s_delay_alu instid0(VALU_DEP_1)
	v_dual_add_f32 v166, v166, v244 :: v_dual_fmac_f32 v243, v7, v2
	ds_load_2addr_b64 v[0:3], v159 offset0:117 offset1:118
	ds_load_2addr_b64 v[4:7], v159 offset0:119 offset1:120
	s_wait_loadcnt_dscnt 0x1
	v_mul_f32_e32 v32, v0, v9
	v_dual_mul_f32 v9, v1, v9 :: v_dual_mul_f32 v160, v2, v11
	v_mul_f32_e32 v11, v3, v11
	v_add_f32_e32 v12, v12, v223
	s_delay_alu instid0(VALU_DEP_4) | instskip(NEXT) | instid1(VALU_DEP_4)
	v_fmac_f32_e32 v32, v1, v8
	v_fma_f32 v161, v0, v8, -v9
	v_fmac_f32_e32 v160, v3, v10
	v_fma_f32 v162, v2, v10, -v11
	s_clause 0x1
	scratch_load_b128 v[0:3], off, off offset:440
	scratch_load_b128 v[8:11], off, off offset:456
	v_add_f32_e32 v12, v12, v225
	v_add_f32_e32 v161, v166, v161
	s_delay_alu instid0(VALU_DEP_2) | instskip(SKIP_4) | instid1(VALU_DEP_1)
	v_add_f32_e32 v17, v12, v227
	scratch_load_b128 v[12:15], off, off offset:472
	v_add_f32_e32 v21, v17, v229
	scratch_load_b128 v[16:19], off, off offset:488
	v_add_f32_e32 v21, v21, v231
	v_add_f32_e32 v21, v21, v233
	s_delay_alu instid0(VALU_DEP_1) | instskip(SKIP_2) | instid1(VALU_DEP_1)
	v_add_f32_e32 v24, v21, v235
	ds_load_2addr_b64 v[20:23], v159 offset0:121 offset1:122
	v_add_f32_e32 v24, v24, v237
	v_add_f32_e32 v163, v24, v239
	ds_load_2addr_b64 v[24:27], v159 offset0:123 offset1:124
	v_add_f32_e32 v159, v163, v241
	s_delay_alu instid0(VALU_DEP_1) | instskip(SKIP_1) | instid1(VALU_DEP_1)
	v_add_f32_e32 v159, v159, v243
	s_wait_loadcnt_dscnt 0x302
	v_dual_add_f32 v32, v159, v32 :: v_dual_mul_f32 v163, v4, v1
	v_mul_f32_e32 v1, v5, v1
	v_mul_f32_e32 v167, v6, v3
	s_wait_loadcnt_dscnt 0x201
	v_dual_mul_f32 v3, v7, v3 :: v_dual_mul_f32 v166, v20, v9
	v_fmac_f32_e32 v163, v5, v0
	v_fma_f32 v0, v4, v0, -v1
	v_dual_add_f32 v4, v161, v162 :: v_dual_add_f32 v5, v32, v160
	v_fmac_f32_e32 v167, v7, v2
	v_fma_f32 v1, v6, v2, -v3
	s_delay_alu instid0(VALU_DEP_3) | instskip(NEXT) | instid1(VALU_DEP_4)
	v_dual_mul_f32 v7, v21, v9 :: v_dual_add_f32 v0, v4, v0
	v_add_f32_e32 v4, v5, v163
	v_mul_f32_e32 v159, v22, v11
	v_dual_mul_f32 v5, v23, v11 :: v_dual_fmac_f32 v166, v21, v8
	s_delay_alu instid0(VALU_DEP_4)
	v_fma_f32 v7, v20, v8, -v7
	v_add_f32_e32 v0, v0, v1
	v_add_f32_e32 v1, v4, v167
	s_wait_loadcnt_dscnt 0x100
	v_mul_f32_e32 v2, v24, v13
	v_dual_mul_f32 v4, v25, v13 :: v_dual_fmac_f32 v159, v23, v10
	v_fma_f32 v5, v22, v10, -v5
	v_dual_add_f32 v0, v0, v7 :: v_dual_add_f32 v1, v1, v166
	v_mul_f32_e32 v3, v26, v15
	v_dual_mul_f32 v7, v27, v15 :: v_dual_fmac_f32 v2, v25, v12
	v_fma_f32 v4, v24, v12, -v4
	s_delay_alu instid0(VALU_DEP_4)
	v_dual_add_f32 v0, v0, v5 :: v_dual_add_f32 v1, v1, v159
	s_wait_loadcnt 0x0
	v_mul_f32_e32 v6, v28, v17
	v_mul_f32_e32 v5, v29, v17
	v_fmac_f32_e32 v3, v27, v14
	v_fma_f32 v7, v26, v14, -v7
	v_dual_add_f32 v0, v0, v4 :: v_dual_add_f32 v1, v1, v2
	v_mul_f32_e32 v9, v30, v19
	v_mul_f32_e32 v2, v31, v19
	v_fmac_f32_e32 v6, v29, v16
	v_fma_f32 v4, v28, v16, -v5
	v_add_f32_e32 v0, v0, v7
	v_add_f32_e32 v1, v1, v3
	v_fmac_f32_e32 v9, v31, v18
	v_fma_f32 v2, v30, v18, -v2
	s_delay_alu instid0(VALU_DEP_3) | instskip(NEXT) | instid1(VALU_DEP_1)
	v_dual_add_f32 v0, v0, v4 :: v_dual_add_f32 v1, v1, v6
	v_dual_add_f32 v0, v0, v2 :: v_dual_add_f32 v1, v1, v9
	s_delay_alu instid0(VALU_DEP_1)
	v_dual_sub_f32 v0, v164, v0 :: v_dual_sub_f32 v1, v165, v1
	scratch_store_b64 off, v[0:1], off
	s_wait_alu 0xfffe
	s_cbranch_vccz .LBB126_516
; %bb.392:
	v_mov_b32_e32 v0, 0
	global_load_b32 v1, v0, s[2:3] offset:244
	s_wait_loadcnt 0x0
	v_cmp_ne_u32_e32 vcc_lo, 62, v1
	s_cbranch_vccz .LBB126_394
; %bb.393:
	v_lshlrev_b32_e32 v1, 3, v1
	s_delay_alu instid0(VALU_DEP_1)
	v_mov_b32_e32 v5, v1
	scratch_load_b64 v[1:2], v5, off offset:-8
	scratch_load_b64 v[3:4], off, off offset:488
	s_wait_loadcnt 0x1
	scratch_store_b64 off, v[1:2], off offset:488
	s_wait_loadcnt 0x0
	scratch_store_b64 v5, v[3:4], off offset:-8
.LBB126_394:
	global_load_b32 v0, v0, s[2:3] offset:240
	s_wait_loadcnt 0x0
	v_cmp_eq_u32_e32 vcc_lo, 61, v0
	s_cbranch_vccnz .LBB126_396
; %bb.395:
	v_lshlrev_b32_e32 v0, 3, v0
	s_delay_alu instid0(VALU_DEP_1)
	v_mov_b32_e32 v4, v0
	scratch_load_b64 v[0:1], v4, off offset:-8
	scratch_load_b64 v[2:3], off, off offset:480
	s_wait_loadcnt 0x1
	scratch_store_b64 off, v[0:1], off offset:480
	s_wait_loadcnt 0x0
	scratch_store_b64 v4, v[2:3], off offset:-8
.LBB126_396:
	v_mov_b32_e32 v0, 0
	global_load_b32 v1, v0, s[2:3] offset:236
	s_wait_loadcnt 0x0
	v_cmp_eq_u32_e32 vcc_lo, 60, v1
	s_cbranch_vccnz .LBB126_398
; %bb.397:
	v_lshlrev_b32_e32 v1, 3, v1
	s_delay_alu instid0(VALU_DEP_1)
	v_mov_b32_e32 v5, v1
	scratch_load_b64 v[1:2], v5, off offset:-8
	scratch_load_b64 v[3:4], off, off offset:472
	s_wait_loadcnt 0x1
	scratch_store_b64 off, v[1:2], off offset:472
	s_wait_loadcnt 0x0
	scratch_store_b64 v5, v[3:4], off offset:-8
.LBB126_398:
	global_load_b32 v0, v0, s[2:3] offset:232
	s_wait_loadcnt 0x0
	v_cmp_eq_u32_e32 vcc_lo, 59, v0
	s_cbranch_vccnz .LBB126_400
; %bb.399:
	v_lshlrev_b32_e32 v0, 3, v0
	s_delay_alu instid0(VALU_DEP_1)
	v_mov_b32_e32 v4, v0
	scratch_load_b64 v[0:1], v4, off offset:-8
	scratch_load_b64 v[2:3], off, off offset:464
	s_wait_loadcnt 0x1
	scratch_store_b64 off, v[0:1], off offset:464
	s_wait_loadcnt 0x0
	scratch_store_b64 v4, v[2:3], off offset:-8
.LBB126_400:
	v_mov_b32_e32 v0, 0
	global_load_b32 v1, v0, s[2:3] offset:228
	s_wait_loadcnt 0x0
	v_cmp_eq_u32_e32 vcc_lo, 58, v1
	s_cbranch_vccnz .LBB126_402
; %bb.401:
	v_lshlrev_b32_e32 v1, 3, v1
	s_delay_alu instid0(VALU_DEP_1)
	v_mov_b32_e32 v5, v1
	scratch_load_b64 v[1:2], v5, off offset:-8
	scratch_load_b64 v[3:4], off, off offset:456
	s_wait_loadcnt 0x1
	scratch_store_b64 off, v[1:2], off offset:456
	s_wait_loadcnt 0x0
	scratch_store_b64 v5, v[3:4], off offset:-8
.LBB126_402:
	;; [unrolled: 31-line block ×30, first 2 shown]
	global_load_b32 v0, v0, s[2:3]
	s_wait_loadcnt 0x0
	v_cmp_eq_u32_e32 vcc_lo, 1, v0
	s_cbranch_vccnz .LBB126_516
; %bb.515:
	v_lshlrev_b32_e32 v0, 3, v0
	s_delay_alu instid0(VALU_DEP_1)
	v_mov_b32_e32 v4, v0
	scratch_load_b64 v[0:1], v4, off offset:-8
	scratch_load_b64 v[2:3], off, off
	s_wait_loadcnt 0x1
	scratch_store_b64 off, v[0:1], off
	s_wait_loadcnt 0x0
	scratch_store_b64 v4, v[2:3], off offset:-8
.LBB126_516:
	scratch_load_b64 v[0:1], off, off
	s_wait_loadcnt 0x0
	flat_store_b64 v[33:34], v[0:1]
	scratch_load_b64 v[0:1], off, off offset:8
	s_wait_loadcnt 0x0
	flat_store_b64 v[35:36], v[0:1]
	scratch_load_b64 v[0:1], off, off offset:16
	;; [unrolled: 3-line block ×62, first 2 shown]
	s_wait_loadcnt 0x0
	flat_store_b64 v[157:158], v[0:1]
	s_nop 0
	s_sendmsg sendmsg(MSG_DEALLOC_VGPRS)
	s_endpgm
	.section	.rodata,"a",@progbits
	.p2align	6, 0x0
	.amdhsa_kernel _ZN9rocsolver6v33100L18getri_kernel_smallILi63E19rocblas_complex_numIfEPKPS3_EEvT1_iilPiilS8_bb
		.amdhsa_group_segment_fixed_size 1016
		.amdhsa_private_segment_fixed_size 512
		.amdhsa_kernarg_size 60
		.amdhsa_user_sgpr_count 2
		.amdhsa_user_sgpr_dispatch_ptr 0
		.amdhsa_user_sgpr_queue_ptr 0
		.amdhsa_user_sgpr_kernarg_segment_ptr 1
		.amdhsa_user_sgpr_dispatch_id 0
		.amdhsa_user_sgpr_private_segment_size 0
		.amdhsa_wavefront_size32 1
		.amdhsa_uses_dynamic_stack 0
		.amdhsa_enable_private_segment 1
		.amdhsa_system_sgpr_workgroup_id_x 1
		.amdhsa_system_sgpr_workgroup_id_y 0
		.amdhsa_system_sgpr_workgroup_id_z 0
		.amdhsa_system_sgpr_workgroup_info 0
		.amdhsa_system_vgpr_workitem_id 0
		.amdhsa_next_free_vgpr 250
		.amdhsa_next_free_sgpr 19
		.amdhsa_reserve_vcc 1
		.amdhsa_float_round_mode_32 0
		.amdhsa_float_round_mode_16_64 0
		.amdhsa_float_denorm_mode_32 3
		.amdhsa_float_denorm_mode_16_64 3
		.amdhsa_fp16_overflow 0
		.amdhsa_workgroup_processor_mode 1
		.amdhsa_memory_ordered 1
		.amdhsa_forward_progress 1
		.amdhsa_inst_pref_size 255
		.amdhsa_round_robin_scheduling 0
		.amdhsa_exception_fp_ieee_invalid_op 0
		.amdhsa_exception_fp_denorm_src 0
		.amdhsa_exception_fp_ieee_div_zero 0
		.amdhsa_exception_fp_ieee_overflow 0
		.amdhsa_exception_fp_ieee_underflow 0
		.amdhsa_exception_fp_ieee_inexact 0
		.amdhsa_exception_int_div_zero 0
	.end_amdhsa_kernel
	.section	.text._ZN9rocsolver6v33100L18getri_kernel_smallILi63E19rocblas_complex_numIfEPKPS3_EEvT1_iilPiilS8_bb,"axG",@progbits,_ZN9rocsolver6v33100L18getri_kernel_smallILi63E19rocblas_complex_numIfEPKPS3_EEvT1_iilPiilS8_bb,comdat
.Lfunc_end126:
	.size	_ZN9rocsolver6v33100L18getri_kernel_smallILi63E19rocblas_complex_numIfEPKPS3_EEvT1_iilPiilS8_bb, .Lfunc_end126-_ZN9rocsolver6v33100L18getri_kernel_smallILi63E19rocblas_complex_numIfEPKPS3_EEvT1_iilPiilS8_bb
                                        ; -- End function
	.set _ZN9rocsolver6v33100L18getri_kernel_smallILi63E19rocblas_complex_numIfEPKPS3_EEvT1_iilPiilS8_bb.num_vgpr, 250
	.set _ZN9rocsolver6v33100L18getri_kernel_smallILi63E19rocblas_complex_numIfEPKPS3_EEvT1_iilPiilS8_bb.num_agpr, 0
	.set _ZN9rocsolver6v33100L18getri_kernel_smallILi63E19rocblas_complex_numIfEPKPS3_EEvT1_iilPiilS8_bb.numbered_sgpr, 19
	.set _ZN9rocsolver6v33100L18getri_kernel_smallILi63E19rocblas_complex_numIfEPKPS3_EEvT1_iilPiilS8_bb.num_named_barrier, 0
	.set _ZN9rocsolver6v33100L18getri_kernel_smallILi63E19rocblas_complex_numIfEPKPS3_EEvT1_iilPiilS8_bb.private_seg_size, 512
	.set _ZN9rocsolver6v33100L18getri_kernel_smallILi63E19rocblas_complex_numIfEPKPS3_EEvT1_iilPiilS8_bb.uses_vcc, 1
	.set _ZN9rocsolver6v33100L18getri_kernel_smallILi63E19rocblas_complex_numIfEPKPS3_EEvT1_iilPiilS8_bb.uses_flat_scratch, 1
	.set _ZN9rocsolver6v33100L18getri_kernel_smallILi63E19rocblas_complex_numIfEPKPS3_EEvT1_iilPiilS8_bb.has_dyn_sized_stack, 0
	.set _ZN9rocsolver6v33100L18getri_kernel_smallILi63E19rocblas_complex_numIfEPKPS3_EEvT1_iilPiilS8_bb.has_recursion, 0
	.set _ZN9rocsolver6v33100L18getri_kernel_smallILi63E19rocblas_complex_numIfEPKPS3_EEvT1_iilPiilS8_bb.has_indirect_call, 0
	.section	.AMDGPU.csdata,"",@progbits
; Kernel info:
; codeLenInByte = 128284
; TotalNumSgprs: 21
; NumVgprs: 250
; ScratchSize: 512
; MemoryBound: 0
; FloatMode: 240
; IeeeMode: 1
; LDSByteSize: 1016 bytes/workgroup (compile time only)
; SGPRBlocks: 0
; VGPRBlocks: 31
; NumSGPRsForWavesPerEU: 21
; NumVGPRsForWavesPerEU: 250
; Occupancy: 5
; WaveLimiterHint : 1
; COMPUTE_PGM_RSRC2:SCRATCH_EN: 1
; COMPUTE_PGM_RSRC2:USER_SGPR: 2
; COMPUTE_PGM_RSRC2:TRAP_HANDLER: 0
; COMPUTE_PGM_RSRC2:TGID_X_EN: 1
; COMPUTE_PGM_RSRC2:TGID_Y_EN: 0
; COMPUTE_PGM_RSRC2:TGID_Z_EN: 0
; COMPUTE_PGM_RSRC2:TIDIG_COMP_CNT: 0
	.section	.text._ZN9rocsolver6v33100L18getri_kernel_smallILi64E19rocblas_complex_numIfEPKPS3_EEvT1_iilPiilS8_bb,"axG",@progbits,_ZN9rocsolver6v33100L18getri_kernel_smallILi64E19rocblas_complex_numIfEPKPS3_EEvT1_iilPiilS8_bb,comdat
	.globl	_ZN9rocsolver6v33100L18getri_kernel_smallILi64E19rocblas_complex_numIfEPKPS3_EEvT1_iilPiilS8_bb ; -- Begin function _ZN9rocsolver6v33100L18getri_kernel_smallILi64E19rocblas_complex_numIfEPKPS3_EEvT1_iilPiilS8_bb
	.p2align	8
	.type	_ZN9rocsolver6v33100L18getri_kernel_smallILi64E19rocblas_complex_numIfEPKPS3_EEvT1_iilPiilS8_bb,@function
_ZN9rocsolver6v33100L18getri_kernel_smallILi64E19rocblas_complex_numIfEPKPS3_EEvT1_iilPiilS8_bb: ; @_ZN9rocsolver6v33100L18getri_kernel_smallILi64E19rocblas_complex_numIfEPKPS3_EEvT1_iilPiilS8_bb
; %bb.0:
	s_mov_b32 s2, exec_lo
	v_cmpx_gt_u32_e32 64, v0
	s_cbranch_execz .LBB127_270
; %bb.1:
	s_clause 0x1
	s_load_b32 s13, s[0:1], 0x38
	s_load_b64 s[2:3], s[0:1], 0x0
	s_mov_b32 s8, ttmp9
	s_load_b128 s[4:7], s[0:1], 0x28
	s_wait_kmcnt 0x0
	s_bitcmp1_b32 s13, 8
	s_cselect_b32 s12, -1, 0
	s_ashr_i32 s9, ttmp9, 31
	s_delay_alu instid0(SALU_CYCLE_1) | instskip(NEXT) | instid1(SALU_CYCLE_1)
	s_lshl_b64 s[10:11], s[8:9], 3
	s_add_nc_u64 s[2:3], s[2:3], s[10:11]
	s_load_b64 s[10:11], s[2:3], 0x0
	s_bfe_u32 s2, s13, 0x10008
	s_delay_alu instid0(SALU_CYCLE_1)
	s_cmp_eq_u32 s2, 0
                                        ; implicit-def: $sgpr2_sgpr3
	s_cbranch_scc1 .LBB127_3
; %bb.2:
	s_load_b96 s[16:18], s[0:1], 0x18
	s_mul_u64 s[2:3], s[4:5], s[8:9]
	s_delay_alu instid0(SALU_CYCLE_1)
	s_lshl_b64 s[2:3], s[2:3], 2
	s_wait_kmcnt 0x0
	s_ashr_i32 s5, s18, 31
	s_mov_b32 s4, s18
	s_add_nc_u64 s[2:3], s[16:17], s[2:3]
	s_lshl_b64 s[4:5], s[4:5], 2
	s_delay_alu instid0(SALU_CYCLE_1)
	s_add_nc_u64 s[2:3], s[2:3], s[4:5]
.LBB127_3:
	s_clause 0x1
	s_load_b64 s[4:5], s[0:1], 0x8
	s_load_b32 s13, s[0:1], 0x38
	v_lshlrev_b32_e32 v7, 3, v0
	s_wait_kmcnt 0x0
	s_ashr_i32 s1, s4, 31
	s_mov_b32 s0, s4
	v_add3_u32 v3, s5, s5, v0
	s_lshl_b64 s[0:1], s[0:1], 3
	s_delay_alu instid0(SALU_CYCLE_1)
	s_add_nc_u64 s[0:1], s[10:11], s[0:1]
	s_ashr_i32 s11, s5, 31
	v_add_co_u32 v33, s4, s0, v7
	s_wait_alu 0xf1ff
	v_add_co_ci_u32_e64 v34, null, s1, 0, s4
	s_mov_b32 s10, s5
	v_ashrrev_i32_e32 v4, 31, v3
	s_lshl_b64 s[10:11], s[10:11], 3
	flat_load_b64 v[1:2], v[33:34]
	v_add_co_u32 v35, vcc_lo, v33, s10
	s_delay_alu instid0(VALU_DEP_1) | instskip(SKIP_3) | instid1(VALU_DEP_2)
	v_add_co_ci_u32_e64 v36, null, s11, v34, vcc_lo
	v_lshlrev_b64_e32 v[4:5], 3, v[3:4]
	v_add_nc_u32_e32 v3, s5, v3
	s_bitcmp0_b32 s13, 0
	v_add_co_u32 v37, vcc_lo, s0, v4
	s_wait_alu 0xfffd
	s_delay_alu instid0(VALU_DEP_3) | instskip(SKIP_1) | instid1(VALU_DEP_1)
	v_add_co_ci_u32_e64 v38, null, s1, v5, vcc_lo
	v_ashrrev_i32_e32 v4, 31, v3
	v_lshlrev_b64_e32 v[4:5], 3, v[3:4]
	v_add_nc_u32_e32 v3, s5, v3
	s_delay_alu instid0(VALU_DEP_2) | instskip(SKIP_1) | instid1(VALU_DEP_3)
	v_add_co_u32 v39, vcc_lo, s0, v4
	s_wait_alu 0xfffd
	v_add_co_ci_u32_e64 v40, null, s1, v5, vcc_lo
	s_delay_alu instid0(VALU_DEP_3) | instskip(NEXT) | instid1(VALU_DEP_1)
	v_ashrrev_i32_e32 v4, 31, v3
	v_lshlrev_b64_e32 v[4:5], 3, v[3:4]
	v_add_nc_u32_e32 v3, s5, v3
	s_delay_alu instid0(VALU_DEP_2) | instskip(SKIP_1) | instid1(VALU_DEP_3)
	v_add_co_u32 v41, vcc_lo, s0, v4
	s_wait_alu 0xfffd
	v_add_co_ci_u32_e64 v42, null, s1, v5, vcc_lo
	s_delay_alu instid0(VALU_DEP_3) | instskip(NEXT) | instid1(VALU_DEP_1)
	;; [unrolled: 8-line block ×20, first 2 shown]
	v_ashrrev_i32_e32 v4, 31, v3
	v_lshlrev_b64_e32 v[4:5], 3, v[3:4]
	s_wait_loadcnt_dscnt 0x0
	scratch_store_b64 off, v[1:2], off
	flat_load_b64 v[1:2], v[35:36]
	v_add_nc_u32_e32 v3, s5, v3
	v_add_co_u32 v79, vcc_lo, s0, v4
	s_wait_alu 0xfffd
	v_add_co_ci_u32_e64 v80, null, s1, v5, vcc_lo
	s_delay_alu instid0(VALU_DEP_3) | instskip(NEXT) | instid1(VALU_DEP_1)
	v_ashrrev_i32_e32 v4, 31, v3
	v_lshlrev_b64_e32 v[4:5], 3, v[3:4]
	v_add_nc_u32_e32 v3, s5, v3
	s_delay_alu instid0(VALU_DEP_2) | instskip(SKIP_1) | instid1(VALU_DEP_3)
	v_add_co_u32 v81, vcc_lo, s0, v4
	s_wait_alu 0xfffd
	v_add_co_ci_u32_e64 v82, null, s1, v5, vcc_lo
	s_delay_alu instid0(VALU_DEP_3) | instskip(NEXT) | instid1(VALU_DEP_1)
	v_ashrrev_i32_e32 v4, 31, v3
	v_lshlrev_b64_e32 v[4:5], 3, v[3:4]
	v_add_nc_u32_e32 v3, s5, v3
	s_delay_alu instid0(VALU_DEP_2) | instskip(SKIP_1) | instid1(VALU_DEP_3)
	;; [unrolled: 8-line block ×20, first 2 shown]
	v_add_co_u32 v119, vcc_lo, s0, v4
	s_wait_alu 0xfffd
	v_add_co_ci_u32_e64 v120, null, s1, v5, vcc_lo
	s_delay_alu instid0(VALU_DEP_3) | instskip(NEXT) | instid1(VALU_DEP_1)
	v_ashrrev_i32_e32 v4, 31, v3
	v_lshlrev_b64_e32 v[4:5], 3, v[3:4]
	v_add_nc_u32_e32 v3, s5, v3
	s_delay_alu instid0(VALU_DEP_2)
	v_add_co_u32 v121, vcc_lo, s0, v4
	s_wait_loadcnt_dscnt 0x0
	scratch_store_b64 off, v[1:2], off offset:8
	flat_load_b64 v[1:2], v[37:38]
	s_wait_alu 0xfffd
	v_add_co_ci_u32_e64 v122, null, s1, v5, vcc_lo
	v_ashrrev_i32_e32 v4, 31, v3
	s_delay_alu instid0(VALU_DEP_1) | instskip(SKIP_1) | instid1(VALU_DEP_2)
	v_lshlrev_b64_e32 v[4:5], 3, v[3:4]
	v_add_nc_u32_e32 v3, s5, v3
	v_add_co_u32 v123, vcc_lo, s0, v4
	s_wait_alu 0xfffd
	s_delay_alu instid0(VALU_DEP_3) | instskip(NEXT) | instid1(VALU_DEP_3)
	v_add_co_ci_u32_e64 v124, null, s1, v5, vcc_lo
	v_ashrrev_i32_e32 v4, 31, v3
	s_delay_alu instid0(VALU_DEP_1) | instskip(SKIP_1) | instid1(VALU_DEP_2)
	v_lshlrev_b64_e32 v[4:5], 3, v[3:4]
	v_add_nc_u32_e32 v3, s5, v3
	v_add_co_u32 v125, vcc_lo, s0, v4
	s_wait_alu 0xfffd
	s_delay_alu instid0(VALU_DEP_3) | instskip(NEXT) | instid1(VALU_DEP_3)
	;; [unrolled: 8-line block ×18, first 2 shown]
	v_add_co_ci_u32_e64 v158, null, s1, v5, vcc_lo
	v_ashrrev_i32_e32 v4, 31, v3
	s_delay_alu instid0(VALU_DEP_1) | instskip(NEXT) | instid1(VALU_DEP_1)
	v_lshlrev_b64_e32 v[3:4], 3, v[3:4]
	v_add_co_u32 v159, vcc_lo, s0, v3
	s_wait_alu 0xfffd
	s_delay_alu instid0(VALU_DEP_2)
	v_add_co_ci_u32_e64 v160, null, s1, v4, vcc_lo
	s_mov_b32 s1, -1
	s_wait_loadcnt_dscnt 0x0
	scratch_store_b64 off, v[1:2], off offset:16
	flat_load_b64 v[1:2], v[39:40]
	s_wait_loadcnt_dscnt 0x0
	scratch_store_b64 off, v[1:2], off offset:24
	flat_load_b64 v[1:2], v[41:42]
	;; [unrolled: 3-line block ×61, first 2 shown]
	s_wait_loadcnt_dscnt 0x0
	scratch_store_b64 off, v[1:2], off offset:504
	s_cbranch_scc1 .LBB127_268
; %bb.4:
	v_cmp_eq_u32_e64 s0, 0, v0
	s_and_saveexec_b32 s1, s0
; %bb.5:
	v_mov_b32_e32 v1, 0
	ds_store_b32 v1, v1 offset:1024
; %bb.6:
	s_wait_alu 0xfffe
	s_or_b32 exec_lo, exec_lo, s1
	s_wait_storecnt_dscnt 0x0
	s_barrier_signal -1
	s_barrier_wait -1
	global_inv scope:SCOPE_SE
	scratch_load_b64 v[1:2], v7, off
	s_wait_loadcnt 0x0
	v_cmp_eq_f32_e32 vcc_lo, 0, v1
	v_cmp_eq_f32_e64 s1, 0, v2
	s_and_b32 s1, vcc_lo, s1
	s_wait_alu 0xfffe
	s_and_saveexec_b32 s4, s1
	s_cbranch_execz .LBB127_10
; %bb.7:
	v_mov_b32_e32 v1, 0
	s_mov_b32 s5, 0
	ds_load_b32 v2, v1 offset:1024
	s_wait_dscnt 0x0
	v_readfirstlane_b32 s1, v2
	v_add_nc_u32_e32 v2, 1, v0
	s_cmp_eq_u32 s1, 0
	s_delay_alu instid0(VALU_DEP_1)
	v_cmp_gt_i32_e32 vcc_lo, s1, v2
	s_cselect_b32 s10, -1, 0
	s_wait_alu 0xfffe
	s_or_b32 s10, s10, vcc_lo
	s_wait_alu 0xfffe
	s_and_b32 exec_lo, exec_lo, s10
	s_cbranch_execz .LBB127_10
; %bb.8:
	v_mov_b32_e32 v3, s1
.LBB127_9:                              ; =>This Inner Loop Header: Depth=1
	ds_cmpstore_rtn_b32 v3, v1, v2, v3 offset:1024
	s_wait_dscnt 0x0
	v_cmp_ne_u32_e32 vcc_lo, 0, v3
	v_cmp_le_i32_e64 s1, v3, v2
	s_and_b32 s1, vcc_lo, s1
	s_wait_alu 0xfffe
	s_and_b32 s1, exec_lo, s1
	s_wait_alu 0xfffe
	s_or_b32 s5, s1, s5
	s_wait_alu 0xfffe
	s_and_not1_b32 exec_lo, exec_lo, s5
	s_cbranch_execnz .LBB127_9
.LBB127_10:
	s_wait_alu 0xfffe
	s_or_b32 exec_lo, exec_lo, s4
	v_mov_b32_e32 v1, 0
	s_barrier_signal -1
	s_barrier_wait -1
	global_inv scope:SCOPE_SE
	ds_load_b32 v2, v1 offset:1024
	s_and_saveexec_b32 s1, s0
	s_cbranch_execz .LBB127_12
; %bb.11:
	s_lshl_b64 s[4:5], s[8:9], 2
	s_wait_alu 0xfffe
	s_add_nc_u64 s[4:5], s[6:7], s[4:5]
	s_wait_dscnt 0x0
	global_store_b32 v1, v2, s[4:5]
.LBB127_12:
	s_wait_alu 0xfffe
	s_or_b32 exec_lo, exec_lo, s1
	s_wait_dscnt 0x0
	v_cmp_ne_u32_e32 vcc_lo, 0, v2
	s_mov_b32 s1, 0
	s_cbranch_vccnz .LBB127_268
; %bb.13:
	v_mov_b32_e32 v8, v7
                                        ; implicit-def: $vgpr3
                                        ; implicit-def: $vgpr5
	scratch_load_b64 v[1:2], v8, off
	s_wait_loadcnt 0x0
	v_cmp_ngt_f32_e64 s1, |v1|, |v2|
	s_wait_alu 0xfffe
	s_and_saveexec_b32 s4, s1
	s_wait_alu 0xfffe
	s_xor_b32 s1, exec_lo, s4
	s_cbranch_execz .LBB127_15
; %bb.14:
	v_div_scale_f32 v3, null, v2, v2, v1
	v_div_scale_f32 v6, vcc_lo, v1, v2, v1
	s_delay_alu instid0(VALU_DEP_2) | instskip(NEXT) | instid1(TRANS32_DEP_1)
	v_rcp_f32_e32 v4, v3
	v_fma_f32 v5, -v3, v4, 1.0
	s_delay_alu instid0(VALU_DEP_1) | instskip(NEXT) | instid1(VALU_DEP_1)
	v_fmac_f32_e32 v4, v5, v4
	v_mul_f32_e32 v5, v6, v4
	s_delay_alu instid0(VALU_DEP_1) | instskip(NEXT) | instid1(VALU_DEP_1)
	v_fma_f32 v9, -v3, v5, v6
	v_fmac_f32_e32 v5, v9, v4
	s_delay_alu instid0(VALU_DEP_1) | instskip(SKIP_1) | instid1(VALU_DEP_1)
	v_fma_f32 v3, -v3, v5, v6
	s_wait_alu 0xfffd
	v_div_fmas_f32 v3, v3, v4, v5
	s_delay_alu instid0(VALU_DEP_1) | instskip(NEXT) | instid1(VALU_DEP_1)
	v_div_fixup_f32 v3, v3, v2, v1
	v_fmac_f32_e32 v2, v1, v3
	s_delay_alu instid0(VALU_DEP_1) | instskip(NEXT) | instid1(VALU_DEP_1)
	v_div_scale_f32 v1, null, v2, v2, 1.0
	v_rcp_f32_e32 v4, v1
	s_delay_alu instid0(TRANS32_DEP_1) | instskip(NEXT) | instid1(VALU_DEP_1)
	v_fma_f32 v5, -v1, v4, 1.0
	v_fmac_f32_e32 v4, v5, v4
	v_div_scale_f32 v5, vcc_lo, 1.0, v2, 1.0
	s_delay_alu instid0(VALU_DEP_1) | instskip(NEXT) | instid1(VALU_DEP_1)
	v_mul_f32_e32 v6, v5, v4
	v_fma_f32 v9, -v1, v6, v5
	s_delay_alu instid0(VALU_DEP_1) | instskip(NEXT) | instid1(VALU_DEP_1)
	v_fmac_f32_e32 v6, v9, v4
	v_fma_f32 v1, -v1, v6, v5
	s_wait_alu 0xfffd
	s_delay_alu instid0(VALU_DEP_1) | instskip(NEXT) | instid1(VALU_DEP_1)
	v_div_fmas_f32 v1, v1, v4, v6
	v_div_fixup_f32 v1, v1, v2, 1.0
	s_delay_alu instid0(VALU_DEP_1) | instskip(SKIP_1) | instid1(VALU_DEP_2)
	v_mul_f32_e32 v3, v3, v1
	v_xor_b32_e32 v4, 0x80000000, v1
                                        ; implicit-def: $vgpr1_vgpr2
	v_xor_b32_e32 v5, 0x80000000, v3
.LBB127_15:
	s_wait_alu 0xfffe
	s_and_not1_saveexec_b32 s1, s1
	s_cbranch_execz .LBB127_17
; %bb.16:
	v_div_scale_f32 v3, null, v1, v1, v2
	v_div_scale_f32 v6, vcc_lo, v2, v1, v2
	s_delay_alu instid0(VALU_DEP_2) | instskip(NEXT) | instid1(TRANS32_DEP_1)
	v_rcp_f32_e32 v4, v3
	v_fma_f32 v5, -v3, v4, 1.0
	s_delay_alu instid0(VALU_DEP_1) | instskip(NEXT) | instid1(VALU_DEP_1)
	v_fmac_f32_e32 v4, v5, v4
	v_mul_f32_e32 v5, v6, v4
	s_delay_alu instid0(VALU_DEP_1) | instskip(NEXT) | instid1(VALU_DEP_1)
	v_fma_f32 v9, -v3, v5, v6
	v_fmac_f32_e32 v5, v9, v4
	s_delay_alu instid0(VALU_DEP_1) | instskip(SKIP_1) | instid1(VALU_DEP_1)
	v_fma_f32 v3, -v3, v5, v6
	s_wait_alu 0xfffd
	v_div_fmas_f32 v3, v3, v4, v5
	s_delay_alu instid0(VALU_DEP_1) | instskip(NEXT) | instid1(VALU_DEP_1)
	v_div_fixup_f32 v4, v3, v1, v2
	v_fmac_f32_e32 v1, v2, v4
	s_delay_alu instid0(VALU_DEP_1) | instskip(SKIP_1) | instid1(VALU_DEP_2)
	v_div_scale_f32 v2, null, v1, v1, 1.0
	v_div_scale_f32 v6, vcc_lo, 1.0, v1, 1.0
	v_rcp_f32_e32 v3, v2
	s_delay_alu instid0(TRANS32_DEP_1) | instskip(NEXT) | instid1(VALU_DEP_1)
	v_fma_f32 v5, -v2, v3, 1.0
	v_fmac_f32_e32 v3, v5, v3
	s_delay_alu instid0(VALU_DEP_1) | instskip(NEXT) | instid1(VALU_DEP_1)
	v_mul_f32_e32 v5, v6, v3
	v_fma_f32 v9, -v2, v5, v6
	s_delay_alu instid0(VALU_DEP_1) | instskip(NEXT) | instid1(VALU_DEP_1)
	v_fmac_f32_e32 v5, v9, v3
	v_fma_f32 v2, -v2, v5, v6
	s_wait_alu 0xfffd
	s_delay_alu instid0(VALU_DEP_1) | instskip(NEXT) | instid1(VALU_DEP_1)
	v_div_fmas_f32 v2, v2, v3, v5
	v_div_fixup_f32 v3, v2, v1, 1.0
	s_delay_alu instid0(VALU_DEP_1)
	v_xor_b32_e32 v5, 0x80000000, v3
	v_mul_f32_e64 v4, v4, -v3
.LBB127_17:
	s_wait_alu 0xfffe
	s_or_b32 exec_lo, exec_lo, s1
	scratch_store_b64 v8, v[3:4], off
	scratch_load_b64 v[2:3], off, off offset:8
	v_xor_b32_e32 v6, 0x80000000, v4
	v_or_b32_e32 v1, 0x200, v7
	s_wait_loadcnt 0x0
	ds_store_2addr_stride64_b64 v7, v[5:6], v[2:3] offset1:1
	s_wait_storecnt_dscnt 0x0
	s_barrier_signal -1
	s_barrier_wait -1
	global_inv scope:SCOPE_SE
	s_and_saveexec_b32 s1, s0
	s_cbranch_execz .LBB127_19
; %bb.18:
	scratch_load_b64 v[2:3], v8, off
	ds_load_b64 v[4:5], v1
	v_mov_b32_e32 v6, 0
	ds_load_b64 v[9:10], v6 offset:8
	s_wait_loadcnt_dscnt 0x1
	v_mul_f32_e32 v6, v4, v3
	v_mul_f32_e32 v3, v5, v3
	s_delay_alu instid0(VALU_DEP_2) | instskip(NEXT) | instid1(VALU_DEP_2)
	v_fmac_f32_e32 v6, v5, v2
	v_fma_f32 v2, v4, v2, -v3
	s_delay_alu instid0(VALU_DEP_2) | instskip(NEXT) | instid1(VALU_DEP_2)
	v_add_f32_e32 v4, 0, v6
	v_add_f32_e32 v2, 0, v2
	s_wait_dscnt 0x0
	s_delay_alu instid0(VALU_DEP_2) | instskip(NEXT) | instid1(VALU_DEP_2)
	v_mul_f32_e32 v5, v4, v10
	v_mul_f32_e32 v3, v2, v10
	s_delay_alu instid0(VALU_DEP_2) | instskip(NEXT) | instid1(VALU_DEP_2)
	v_fma_f32 v2, v2, v9, -v5
	v_fmac_f32_e32 v3, v4, v9
	scratch_store_b64 off, v[2:3], off offset:8
.LBB127_19:
	s_wait_alu 0xfffe
	s_or_b32 exec_lo, exec_lo, s1
	s_wait_loadcnt 0x0
	s_wait_storecnt 0x0
	s_barrier_signal -1
	s_barrier_wait -1
	global_inv scope:SCOPE_SE
	scratch_load_b64 v[2:3], off, off offset:16
	s_mov_b32 s1, exec_lo
	s_wait_loadcnt 0x0
	ds_store_b64 v1, v[2:3]
	s_wait_dscnt 0x0
	s_barrier_signal -1
	s_barrier_wait -1
	global_inv scope:SCOPE_SE
	v_cmpx_gt_u32_e32 2, v0
	s_cbranch_execz .LBB127_23
; %bb.20:
	scratch_load_b64 v[2:3], v8, off
	ds_load_b64 v[4:5], v1
	s_wait_loadcnt_dscnt 0x0
	v_mul_f32_e32 v6, v5, v3
	v_mul_f32_e32 v9, v4, v3
	s_delay_alu instid0(VALU_DEP_2) | instskip(NEXT) | instid1(VALU_DEP_2)
	v_fma_f32 v3, v4, v2, -v6
	v_fmac_f32_e32 v9, v5, v2
	s_delay_alu instid0(VALU_DEP_1)
	v_dual_add_f32 v3, 0, v3 :: v_dual_add_f32 v2, 0, v9
	s_and_saveexec_b32 s4, s0
	s_cbranch_execz .LBB127_22
; %bb.21:
	scratch_load_b64 v[4:5], off, off offset:8
	v_mov_b32_e32 v6, 0
	ds_load_b64 v[9:10], v6 offset:520
	s_wait_loadcnt_dscnt 0x0
	v_mul_f32_e32 v6, v9, v5
	v_mul_f32_e32 v5, v10, v5
	s_delay_alu instid0(VALU_DEP_2) | instskip(NEXT) | instid1(VALU_DEP_2)
	v_fmac_f32_e32 v6, v10, v4
	v_fma_f32 v4, v9, v4, -v5
	s_delay_alu instid0(VALU_DEP_1)
	v_dual_add_f32 v2, v2, v6 :: v_dual_add_f32 v3, v3, v4
.LBB127_22:
	s_wait_alu 0xfffe
	s_or_b32 exec_lo, exec_lo, s4
	v_mov_b32_e32 v4, 0
	ds_load_b64 v[4:5], v4 offset:16
	s_wait_dscnt 0x0
	v_mul_f32_e32 v9, v2, v5
	v_mul_f32_e32 v6, v3, v5
	s_delay_alu instid0(VALU_DEP_2) | instskip(NEXT) | instid1(VALU_DEP_2)
	v_fma_f32 v5, v3, v4, -v9
	v_fmac_f32_e32 v6, v2, v4
	scratch_store_b64 off, v[5:6], off offset:16
.LBB127_23:
	s_wait_alu 0xfffe
	s_or_b32 exec_lo, exec_lo, s1
	s_wait_loadcnt 0x0
	s_wait_storecnt 0x0
	s_barrier_signal -1
	s_barrier_wait -1
	global_inv scope:SCOPE_SE
	scratch_load_b64 v[3:4], off, off offset:24
	v_add_nc_u32_e32 v2, -1, v0
	s_mov_b32 s0, exec_lo
	s_wait_loadcnt 0x0
	ds_store_b64 v1, v[3:4]
	s_wait_dscnt 0x0
	s_barrier_signal -1
	s_barrier_wait -1
	global_inv scope:SCOPE_SE
	v_cmpx_gt_u32_e32 3, v0
	s_cbranch_execz .LBB127_27
; %bb.24:
	v_dual_mov_b32 v3, 0 :: v_dual_add_nc_u32 v4, -1, v0
	v_or_b32_e32 v5, 0x200, v7
	v_dual_mov_b32 v6, v7 :: v_dual_mov_b32 v9, 0
	s_mov_b32 s1, 0
.LBB127_25:                             ; =>This Inner Loop Header: Depth=1
	scratch_load_b64 v[10:11], v6, off
	ds_load_b64 v[12:13], v5
	v_add_nc_u32_e32 v4, 1, v4
	v_add_nc_u32_e32 v5, 8, v5
	s_delay_alu instid0(VALU_DEP_2)
	v_cmp_lt_u32_e32 vcc_lo, 1, v4
	s_wait_alu 0xfffe
	s_or_b32 s1, vcc_lo, s1
	s_wait_loadcnt_dscnt 0x0
	v_mul_f32_e32 v14, v13, v11
	v_mul_f32_e32 v11, v12, v11
	s_delay_alu instid0(VALU_DEP_2) | instskip(NEXT) | instid1(VALU_DEP_2)
	v_fma_f32 v12, v12, v10, -v14
	v_fmac_f32_e32 v11, v13, v10
	s_delay_alu instid0(VALU_DEP_2) | instskip(NEXT) | instid1(VALU_DEP_2)
	v_dual_add_f32 v9, v9, v12 :: v_dual_add_nc_u32 v6, 8, v6
	v_add_f32_e32 v3, v3, v11
	s_wait_alu 0xfffe
	s_and_not1_b32 exec_lo, exec_lo, s1
	s_cbranch_execnz .LBB127_25
; %bb.26:
	s_or_b32 exec_lo, exec_lo, s1
	v_mov_b32_e32 v4, 0
	ds_load_b64 v[4:5], v4 offset:24
	s_wait_dscnt 0x0
	v_mul_f32_e32 v10, v3, v5
	v_mul_f32_e32 v6, v9, v5
	s_delay_alu instid0(VALU_DEP_2) | instskip(NEXT) | instid1(VALU_DEP_2)
	v_fma_f32 v5, v9, v4, -v10
	v_fmac_f32_e32 v6, v3, v4
	scratch_store_b64 off, v[5:6], off offset:24
.LBB127_27:
	s_wait_alu 0xfffe
	s_or_b32 exec_lo, exec_lo, s0
	s_wait_loadcnt 0x0
	s_wait_storecnt 0x0
	s_barrier_signal -1
	s_barrier_wait -1
	global_inv scope:SCOPE_SE
	scratch_load_b64 v[3:4], off, off offset:32
	s_mov_b32 s0, exec_lo
	s_wait_loadcnt 0x0
	ds_store_b64 v1, v[3:4]
	s_wait_dscnt 0x0
	s_barrier_signal -1
	s_barrier_wait -1
	global_inv scope:SCOPE_SE
	v_cmpx_gt_u32_e32 4, v0
	s_cbranch_execz .LBB127_31
; %bb.28:
	v_dual_mov_b32 v3, 0 :: v_dual_add_nc_u32 v4, -1, v0
	v_or_b32_e32 v5, 0x200, v7
	v_dual_mov_b32 v6, v7 :: v_dual_mov_b32 v9, 0
	s_mov_b32 s1, 0
.LBB127_29:                             ; =>This Inner Loop Header: Depth=1
	scratch_load_b64 v[10:11], v6, off
	ds_load_b64 v[12:13], v5
	v_add_nc_u32_e32 v4, 1, v4
	v_add_nc_u32_e32 v5, 8, v5
	s_delay_alu instid0(VALU_DEP_2)
	v_cmp_lt_u32_e32 vcc_lo, 2, v4
	s_wait_alu 0xfffe
	s_or_b32 s1, vcc_lo, s1
	s_wait_loadcnt_dscnt 0x0
	v_mul_f32_e32 v14, v13, v11
	v_mul_f32_e32 v11, v12, v11
	s_delay_alu instid0(VALU_DEP_2) | instskip(NEXT) | instid1(VALU_DEP_2)
	v_fma_f32 v12, v12, v10, -v14
	v_fmac_f32_e32 v11, v13, v10
	s_delay_alu instid0(VALU_DEP_2) | instskip(NEXT) | instid1(VALU_DEP_2)
	v_dual_add_f32 v9, v9, v12 :: v_dual_add_nc_u32 v6, 8, v6
	v_add_f32_e32 v3, v3, v11
	s_wait_alu 0xfffe
	s_and_not1_b32 exec_lo, exec_lo, s1
	s_cbranch_execnz .LBB127_29
; %bb.30:
	s_or_b32 exec_lo, exec_lo, s1
	v_mov_b32_e32 v4, 0
	ds_load_b64 v[4:5], v4 offset:32
	s_wait_dscnt 0x0
	v_mul_f32_e32 v10, v3, v5
	v_mul_f32_e32 v6, v9, v5
	s_delay_alu instid0(VALU_DEP_2) | instskip(NEXT) | instid1(VALU_DEP_2)
	v_fma_f32 v5, v9, v4, -v10
	v_fmac_f32_e32 v6, v3, v4
	scratch_store_b64 off, v[5:6], off offset:32
.LBB127_31:
	s_wait_alu 0xfffe
	s_or_b32 exec_lo, exec_lo, s0
	s_wait_loadcnt 0x0
	s_wait_storecnt 0x0
	s_barrier_signal -1
	s_barrier_wait -1
	global_inv scope:SCOPE_SE
	scratch_load_b64 v[3:4], off, off offset:40
	;; [unrolled: 55-line block ×19, first 2 shown]
	s_mov_b32 s0, exec_lo
	s_wait_loadcnt 0x0
	ds_store_b64 v1, v[3:4]
	s_wait_dscnt 0x0
	s_barrier_signal -1
	s_barrier_wait -1
	global_inv scope:SCOPE_SE
	v_cmpx_gt_u32_e32 22, v0
	s_cbranch_execz .LBB127_103
; %bb.100:
	v_dual_mov_b32 v3, 0 :: v_dual_add_nc_u32 v4, -1, v0
	v_or_b32_e32 v5, 0x200, v7
	v_dual_mov_b32 v6, v7 :: v_dual_mov_b32 v9, 0
	s_mov_b32 s1, 0
.LBB127_101:                            ; =>This Inner Loop Header: Depth=1
	scratch_load_b64 v[10:11], v6, off
	ds_load_b64 v[12:13], v5
	v_add_nc_u32_e32 v4, 1, v4
	v_add_nc_u32_e32 v5, 8, v5
	s_delay_alu instid0(VALU_DEP_2)
	v_cmp_lt_u32_e32 vcc_lo, 20, v4
	s_wait_alu 0xfffe
	s_or_b32 s1, vcc_lo, s1
	s_wait_loadcnt_dscnt 0x0
	v_mul_f32_e32 v14, v13, v11
	v_mul_f32_e32 v11, v12, v11
	s_delay_alu instid0(VALU_DEP_2) | instskip(NEXT) | instid1(VALU_DEP_2)
	v_fma_f32 v12, v12, v10, -v14
	v_fmac_f32_e32 v11, v13, v10
	s_delay_alu instid0(VALU_DEP_2) | instskip(NEXT) | instid1(VALU_DEP_2)
	v_dual_add_f32 v9, v9, v12 :: v_dual_add_nc_u32 v6, 8, v6
	v_add_f32_e32 v3, v3, v11
	s_wait_alu 0xfffe
	s_and_not1_b32 exec_lo, exec_lo, s1
	s_cbranch_execnz .LBB127_101
; %bb.102:
	s_or_b32 exec_lo, exec_lo, s1
	v_mov_b32_e32 v4, 0
	ds_load_b64 v[4:5], v4 offset:176
	s_wait_dscnt 0x0
	v_mul_f32_e32 v10, v3, v5
	v_mul_f32_e32 v6, v9, v5
	s_delay_alu instid0(VALU_DEP_2) | instskip(NEXT) | instid1(VALU_DEP_2)
	v_fma_f32 v5, v9, v4, -v10
	v_fmac_f32_e32 v6, v3, v4
	scratch_store_b64 off, v[5:6], off offset:176
.LBB127_103:
	s_wait_alu 0xfffe
	s_or_b32 exec_lo, exec_lo, s0
	s_wait_loadcnt 0x0
	s_wait_storecnt 0x0
	s_barrier_signal -1
	s_barrier_wait -1
	global_inv scope:SCOPE_SE
	scratch_load_b64 v[3:4], off, off offset:184
	s_mov_b32 s0, exec_lo
	s_wait_loadcnt 0x0
	ds_store_b64 v1, v[3:4]
	s_wait_dscnt 0x0
	s_barrier_signal -1
	s_barrier_wait -1
	global_inv scope:SCOPE_SE
	v_cmpx_gt_u32_e32 23, v0
	s_cbranch_execz .LBB127_107
; %bb.104:
	v_dual_mov_b32 v3, 0 :: v_dual_add_nc_u32 v4, -1, v0
	v_or_b32_e32 v5, 0x200, v7
	v_dual_mov_b32 v6, v7 :: v_dual_mov_b32 v9, 0
	s_mov_b32 s1, 0
.LBB127_105:                            ; =>This Inner Loop Header: Depth=1
	scratch_load_b64 v[10:11], v6, off
	ds_load_b64 v[12:13], v5
	v_add_nc_u32_e32 v4, 1, v4
	v_add_nc_u32_e32 v5, 8, v5
	s_delay_alu instid0(VALU_DEP_2)
	v_cmp_lt_u32_e32 vcc_lo, 21, v4
	s_wait_alu 0xfffe
	s_or_b32 s1, vcc_lo, s1
	s_wait_loadcnt_dscnt 0x0
	v_mul_f32_e32 v14, v13, v11
	v_mul_f32_e32 v11, v12, v11
	s_delay_alu instid0(VALU_DEP_2) | instskip(NEXT) | instid1(VALU_DEP_2)
	v_fma_f32 v12, v12, v10, -v14
	v_fmac_f32_e32 v11, v13, v10
	s_delay_alu instid0(VALU_DEP_2) | instskip(NEXT) | instid1(VALU_DEP_2)
	v_dual_add_f32 v9, v9, v12 :: v_dual_add_nc_u32 v6, 8, v6
	v_add_f32_e32 v3, v3, v11
	s_wait_alu 0xfffe
	s_and_not1_b32 exec_lo, exec_lo, s1
	s_cbranch_execnz .LBB127_105
; %bb.106:
	s_or_b32 exec_lo, exec_lo, s1
	v_mov_b32_e32 v4, 0
	ds_load_b64 v[4:5], v4 offset:184
	s_wait_dscnt 0x0
	v_mul_f32_e32 v10, v3, v5
	v_mul_f32_e32 v6, v9, v5
	s_delay_alu instid0(VALU_DEP_2) | instskip(NEXT) | instid1(VALU_DEP_2)
	v_fma_f32 v5, v9, v4, -v10
	v_fmac_f32_e32 v6, v3, v4
	scratch_store_b64 off, v[5:6], off offset:184
.LBB127_107:
	s_wait_alu 0xfffe
	s_or_b32 exec_lo, exec_lo, s0
	s_wait_loadcnt 0x0
	s_wait_storecnt 0x0
	s_barrier_signal -1
	s_barrier_wait -1
	global_inv scope:SCOPE_SE
	scratch_load_b64 v[3:4], off, off offset:192
	;; [unrolled: 55-line block ×40, first 2 shown]
	s_mov_b32 s0, exec_lo
	s_wait_loadcnt 0x0
	ds_store_b64 v1, v[3:4]
	s_wait_dscnt 0x0
	s_barrier_signal -1
	s_barrier_wait -1
	global_inv scope:SCOPE_SE
	v_cmpx_gt_u32_e32 62, v0
	s_cbranch_execz .LBB127_263
; %bb.260:
	v_dual_mov_b32 v3, 0 :: v_dual_add_nc_u32 v4, -1, v0
	v_or_b32_e32 v5, 0x200, v7
	v_dual_mov_b32 v6, v7 :: v_dual_mov_b32 v7, 0
	s_mov_b32 s1, 0
.LBB127_261:                            ; =>This Inner Loop Header: Depth=1
	scratch_load_b64 v[9:10], v6, off
	ds_load_b64 v[11:12], v5
	v_add_nc_u32_e32 v6, 8, v6
	v_add_nc_u32_e32 v4, 1, v4
	;; [unrolled: 1-line block ×3, first 2 shown]
	s_delay_alu instid0(VALU_DEP_2)
	v_cmp_lt_u32_e32 vcc_lo, 60, v4
	s_wait_alu 0xfffe
	s_or_b32 s1, vcc_lo, s1
	s_wait_loadcnt_dscnt 0x0
	v_mul_f32_e32 v13, v12, v10
	v_mul_f32_e32 v10, v11, v10
	s_delay_alu instid0(VALU_DEP_2) | instskip(NEXT) | instid1(VALU_DEP_1)
	v_fma_f32 v11, v11, v9, -v13
	v_dual_fmac_f32 v10, v12, v9 :: v_dual_add_f32 v7, v7, v11
	s_delay_alu instid0(VALU_DEP_1)
	v_add_f32_e32 v3, v3, v10
	s_wait_alu 0xfffe
	s_and_not1_b32 exec_lo, exec_lo, s1
	s_cbranch_execnz .LBB127_261
; %bb.262:
	s_or_b32 exec_lo, exec_lo, s1
	v_mov_b32_e32 v4, 0
	ds_load_b64 v[4:5], v4 offset:496
	s_wait_dscnt 0x0
	v_mul_f32_e32 v9, v3, v5
	v_mul_f32_e32 v6, v7, v5
	s_delay_alu instid0(VALU_DEP_2) | instskip(NEXT) | instid1(VALU_DEP_2)
	v_fma_f32 v5, v7, v4, -v9
	v_fmac_f32_e32 v6, v3, v4
	scratch_store_b64 off, v[5:6], off offset:496
.LBB127_263:
	s_wait_alu 0xfffe
	s_or_b32 exec_lo, exec_lo, s0
	s_wait_loadcnt 0x0
	s_wait_storecnt 0x0
	s_barrier_signal -1
	s_barrier_wait -1
	global_inv scope:SCOPE_SE
	scratch_load_b64 v[3:4], off, off offset:504
	s_mov_b32 s0, exec_lo
	s_wait_loadcnt 0x0
	ds_store_b64 v1, v[3:4]
	s_wait_dscnt 0x0
	s_barrier_signal -1
	s_barrier_wait -1
	global_inv scope:SCOPE_SE
	v_cmpx_ne_u32_e32 63, v0
	s_cbranch_execz .LBB127_267
; %bb.264:
	v_dual_mov_b32 v3, 0 :: v_dual_mov_b32 v4, 0
	s_mov_b32 s1, 0
.LBB127_265:                            ; =>This Inner Loop Header: Depth=1
	scratch_load_b64 v[5:6], v8, off
	ds_load_b64 v[9:10], v1
	v_add_nc_u32_e32 v2, 1, v2
	v_add_nc_u32_e32 v1, 8, v1
	;; [unrolled: 1-line block ×3, first 2 shown]
	s_delay_alu instid0(VALU_DEP_3)
	v_cmp_lt_u32_e32 vcc_lo, 61, v2
	s_wait_alu 0xfffe
	s_or_b32 s1, vcc_lo, s1
	s_wait_loadcnt_dscnt 0x0
	v_mul_f32_e32 v7, v10, v6
	v_mul_f32_e32 v6, v9, v6
	s_delay_alu instid0(VALU_DEP_2) | instskip(NEXT) | instid1(VALU_DEP_2)
	v_fma_f32 v7, v9, v5, -v7
	v_fmac_f32_e32 v6, v10, v5
	s_delay_alu instid0(VALU_DEP_1)
	v_dual_add_f32 v4, v4, v7 :: v_dual_add_f32 v3, v3, v6
	s_wait_alu 0xfffe
	s_and_not1_b32 exec_lo, exec_lo, s1
	s_cbranch_execnz .LBB127_265
; %bb.266:
	s_or_b32 exec_lo, exec_lo, s1
	v_mov_b32_e32 v1, 0
	ds_load_b64 v[1:2], v1 offset:504
	s_wait_dscnt 0x0
	v_mul_f32_e32 v6, v3, v2
	v_mul_f32_e32 v5, v4, v2
	s_delay_alu instid0(VALU_DEP_2) | instskip(NEXT) | instid1(VALU_DEP_2)
	v_fma_f32 v4, v4, v1, -v6
	v_fmac_f32_e32 v5, v3, v1
	scratch_store_b64 off, v[4:5], off offset:504
.LBB127_267:
	s_wait_alu 0xfffe
	s_or_b32 exec_lo, exec_lo, s0
	s_mov_b32 s1, -1
	s_wait_loadcnt 0x0
	s_wait_storecnt 0x0
	s_barrier_signal -1
	s_barrier_wait -1
	global_inv scope:SCOPE_SE
.LBB127_268:
	s_wait_alu 0xfffe
	s_and_b32 vcc_lo, exec_lo, s1
	s_wait_alu 0xfffe
	s_cbranch_vccz .LBB127_270
; %bb.269:
	v_mov_b32_e32 v1, 0
	s_lshl_b64 s[0:1], s[8:9], 2
	s_wait_alu 0xfffe
	s_add_nc_u64 s[0:1], s[6:7], s[0:1]
	global_load_b32 v1, v1, s[0:1]
	s_wait_loadcnt 0x0
	v_cmp_ne_u32_e32 vcc_lo, 0, v1
	s_cbranch_vccz .LBB127_271
.LBB127_270:
	s_nop 0
	s_sendmsg sendmsg(MSG_DEALLOC_VGPRS)
	s_endpgm
.LBB127_271:
	v_lshl_or_b32 v163, v0, 3, 0x200
	s_mov_b32 s0, exec_lo
	v_cmpx_eq_u32_e32 63, v0
	s_cbranch_execz .LBB127_273
; %bb.272:
	scratch_load_b64 v[1:2], off, off offset:496
	v_mov_b32_e32 v3, 0
	s_delay_alu instid0(VALU_DEP_1)
	v_mov_b32_e32 v4, v3
	scratch_store_b64 off, v[3:4], off offset:496
	s_wait_loadcnt 0x0
	ds_store_b64 v163, v[1:2]
.LBB127_273:
	s_wait_alu 0xfffe
	s_or_b32 exec_lo, exec_lo, s0
	s_wait_storecnt_dscnt 0x0
	s_barrier_signal -1
	s_barrier_wait -1
	global_inv scope:SCOPE_SE
	s_clause 0x1
	scratch_load_b64 v[2:3], off, off offset:504
	scratch_load_b64 v[4:5], off, off offset:496
	v_mov_b32_e32 v1, 0
	s_mov_b32 s0, exec_lo
	ds_load_b64 v[6:7], v1 offset:1016
	s_wait_loadcnt_dscnt 0x100
	v_mul_f32_e32 v8, v7, v3
	v_mul_f32_e32 v3, v6, v3
	s_delay_alu instid0(VALU_DEP_2) | instskip(NEXT) | instid1(VALU_DEP_2)
	v_fma_f32 v6, v6, v2, -v8
	v_fmac_f32_e32 v3, v7, v2
	s_delay_alu instid0(VALU_DEP_1) | instskip(SKIP_1) | instid1(VALU_DEP_1)
	v_dual_add_f32 v2, 0, v6 :: v_dual_add_f32 v3, 0, v3
	s_wait_loadcnt 0x0
	v_dual_sub_f32 v2, v4, v2 :: v_dual_sub_f32 v3, v5, v3
	scratch_store_b64 off, v[2:3], off offset:496
	v_cmpx_lt_u32_e32 61, v0
	s_cbranch_execz .LBB127_275
; %bb.274:
	scratch_load_b64 v[3:4], off, off offset:488
	v_mov_b32_e32 v2, v1
	scratch_store_b64 off, v[1:2], off offset:488
	s_wait_loadcnt 0x0
	ds_store_b64 v163, v[3:4]
.LBB127_275:
	s_wait_alu 0xfffe
	s_or_b32 exec_lo, exec_lo, s0
	s_wait_storecnt_dscnt 0x0
	s_barrier_signal -1
	s_barrier_wait -1
	global_inv scope:SCOPE_SE
	s_clause 0x1
	scratch_load_b128 v[2:5], off, off offset:496
	scratch_load_b64 v[10:11], off, off offset:488
	ds_load_b128 v[6:9], v1 offset:1008
	s_mov_b32 s0, exec_lo
	s_wait_loadcnt_dscnt 0x100
	v_dual_mul_f32 v1, v7, v3 :: v_dual_mul_f32 v12, v8, v5
	v_mul_f32_e32 v3, v6, v3
	s_delay_alu instid0(VALU_DEP_2) | instskip(NEXT) | instid1(VALU_DEP_2)
	v_fma_f32 v1, v6, v2, -v1
	v_dual_fmac_f32 v12, v9, v4 :: v_dual_fmac_f32 v3, v7, v2
	s_delay_alu instid0(VALU_DEP_2) | instskip(NEXT) | instid1(VALU_DEP_2)
	v_add_f32_e32 v1, 0, v1
	v_add_f32_e32 v3, 0, v3
	v_mul_f32_e32 v5, v9, v5
	s_delay_alu instid0(VALU_DEP_1) | instskip(NEXT) | instid1(VALU_DEP_1)
	v_fma_f32 v2, v8, v4, -v5
	v_dual_add_f32 v1, v1, v2 :: v_dual_add_f32 v2, v3, v12
	s_wait_loadcnt 0x0
	s_delay_alu instid0(VALU_DEP_1)
	v_dual_sub_f32 v1, v10, v1 :: v_dual_sub_f32 v2, v11, v2
	scratch_store_b64 off, v[1:2], off offset:488
	v_cmpx_lt_u32_e32 60, v0
	s_cbranch_execz .LBB127_277
; %bb.276:
	scratch_load_b64 v[1:2], off, off offset:480
	v_mov_b32_e32 v3, 0
	s_delay_alu instid0(VALU_DEP_1)
	v_mov_b32_e32 v4, v3
	scratch_store_b64 off, v[3:4], off offset:480
	s_wait_loadcnt 0x0
	ds_store_b64 v163, v[1:2]
.LBB127_277:
	s_wait_alu 0xfffe
	s_or_b32 exec_lo, exec_lo, s0
	s_wait_storecnt_dscnt 0x0
	s_barrier_signal -1
	s_barrier_wait -1
	global_inv scope:SCOPE_SE
	s_clause 0x2
	scratch_load_b128 v[2:5], off, off offset:488
	scratch_load_b64 v[10:11], off, off offset:504
	scratch_load_b64 v[12:13], off, off offset:480
	v_mov_b32_e32 v1, 0
	ds_load_2addr_b64 v[6:9], v1 offset0:125 offset1:126
	ds_load_b64 v[14:15], v1 offset:1016
	s_mov_b32 s0, exec_lo
	s_wait_loadcnt_dscnt 0x201
	v_dual_mul_f32 v16, v7, v3 :: v_dual_mul_f32 v17, v8, v5
	s_wait_loadcnt_dscnt 0x100
	v_mul_f32_e32 v18, v14, v11
	v_mul_f32_e32 v3, v6, v3
	;; [unrolled: 1-line block ×3, first 2 shown]
	v_fma_f32 v6, v6, v2, -v16
	s_delay_alu instid0(VALU_DEP_4) | instskip(NEXT) | instid1(VALU_DEP_4)
	v_fmac_f32_e32 v18, v15, v10
	v_fmac_f32_e32 v3, v7, v2
	v_mul_f32_e32 v2, v15, v11
	s_delay_alu instid0(VALU_DEP_1) | instskip(SKIP_3) | instid1(VALU_DEP_1)
	v_fma_f32 v2, v14, v10, -v2
	v_fmac_f32_e32 v17, v9, v4
	v_fma_f32 v4, v8, v4, -v5
	v_add_f32_e32 v5, 0, v6
	v_add_f32_e32 v4, v5, v4
	s_delay_alu instid0(VALU_DEP_1) | instskip(SKIP_1) | instid1(VALU_DEP_1)
	v_dual_add_f32 v2, v4, v2 :: v_dual_add_f32 v3, 0, v3
	s_wait_loadcnt 0x0
	v_dual_sub_f32 v2, v12, v2 :: v_dual_add_f32 v3, v3, v17
	s_delay_alu instid0(VALU_DEP_1) | instskip(NEXT) | instid1(VALU_DEP_1)
	v_add_f32_e32 v3, v3, v18
	v_sub_f32_e32 v3, v13, v3
	scratch_store_b64 off, v[2:3], off offset:480
	v_cmpx_lt_u32_e32 59, v0
	s_cbranch_execz .LBB127_279
; %bb.278:
	scratch_load_b64 v[3:4], off, off offset:472
	v_mov_b32_e32 v2, v1
	scratch_store_b64 off, v[1:2], off offset:472
	s_wait_loadcnt 0x0
	ds_store_b64 v163, v[3:4]
.LBB127_279:
	s_wait_alu 0xfffe
	s_or_b32 exec_lo, exec_lo, s0
	s_wait_storecnt_dscnt 0x0
	s_barrier_signal -1
	s_barrier_wait -1
	global_inv scope:SCOPE_SE
	s_clause 0x2
	scratch_load_b128 v[2:5], off, off offset:480
	scratch_load_b128 v[6:9], off, off offset:496
	scratch_load_b64 v[18:19], off, off offset:472
	ds_load_b128 v[10:13], v1 offset:992
	ds_load_b128 v[14:17], v1 offset:1008
	s_mov_b32 s0, exec_lo
	s_wait_loadcnt_dscnt 0x201
	v_dual_mul_f32 v1, v10, v3 :: v_dual_mul_f32 v20, v12, v5
	s_wait_loadcnt_dscnt 0x100
	v_dual_mul_f32 v3, v11, v3 :: v_dual_mul_f32 v22, v16, v9
	v_mul_f32_e32 v5, v13, v5
	s_delay_alu instid0(VALU_DEP_3) | instskip(NEXT) | instid1(VALU_DEP_3)
	v_dual_mul_f32 v21, v14, v7 :: v_dual_fmac_f32 v20, v13, v4
	v_fma_f32 v3, v10, v2, -v3
	s_delay_alu instid0(VALU_DEP_4) | instskip(SKIP_2) | instid1(VALU_DEP_4)
	v_dual_fmac_f32 v1, v11, v2 :: v_dual_fmac_f32 v22, v17, v8
	v_mul_f32_e32 v2, v15, v7
	v_fma_f32 v4, v12, v4, -v5
	v_add_f32_e32 v3, 0, v3
	v_fmac_f32_e32 v21, v15, v6
	s_delay_alu instid0(VALU_DEP_4) | instskip(NEXT) | instid1(VALU_DEP_3)
	v_fma_f32 v2, v14, v6, -v2
	v_add_f32_e32 v3, v3, v4
	s_delay_alu instid0(VALU_DEP_1) | instskip(NEXT) | instid1(VALU_DEP_1)
	v_dual_add_f32 v1, 0, v1 :: v_dual_add_f32 v2, v3, v2
	v_add_f32_e32 v1, v1, v20
	s_delay_alu instid0(VALU_DEP_1) | instskip(NEXT) | instid1(VALU_DEP_1)
	v_add_f32_e32 v1, v1, v21
	v_add_f32_e32 v3, v1, v22
	v_mul_f32_e32 v5, v17, v9
	s_delay_alu instid0(VALU_DEP_1) | instskip(NEXT) | instid1(VALU_DEP_1)
	v_fma_f32 v4, v16, v8, -v5
	v_add_f32_e32 v2, v2, v4
	s_wait_loadcnt 0x0
	s_delay_alu instid0(VALU_DEP_1)
	v_dual_sub_f32 v1, v18, v2 :: v_dual_sub_f32 v2, v19, v3
	scratch_store_b64 off, v[1:2], off offset:472
	v_cmpx_lt_u32_e32 58, v0
	s_cbranch_execz .LBB127_281
; %bb.280:
	scratch_load_b64 v[1:2], off, off offset:464
	v_mov_b32_e32 v3, 0
	s_delay_alu instid0(VALU_DEP_1)
	v_mov_b32_e32 v4, v3
	scratch_store_b64 off, v[3:4], off offset:464
	s_wait_loadcnt 0x0
	ds_store_b64 v163, v[1:2]
.LBB127_281:
	s_wait_alu 0xfffe
	s_or_b32 exec_lo, exec_lo, s0
	s_wait_storecnt_dscnt 0x0
	s_barrier_signal -1
	s_barrier_wait -1
	global_inv scope:SCOPE_SE
	s_clause 0x3
	scratch_load_b128 v[2:5], off, off offset:472
	scratch_load_b128 v[6:9], off, off offset:488
	scratch_load_b64 v[18:19], off, off offset:504
	scratch_load_b64 v[20:21], off, off offset:464
	v_mov_b32_e32 v1, 0
	ds_load_2addr_b64 v[10:13], v1 offset0:123 offset1:124
	ds_load_2addr_b64 v[14:17], v1 offset0:125 offset1:126
	ds_load_b64 v[22:23], v1 offset:1016
	s_mov_b32 s0, exec_lo
	s_wait_loadcnt_dscnt 0x302
	v_dual_mul_f32 v24, v10, v3 :: v_dual_mul_f32 v25, v12, v5
	s_wait_loadcnt_dscnt 0x201
	v_dual_mul_f32 v26, v14, v7 :: v_dual_mul_f32 v5, v13, v5
	;; [unrolled: 2-line block ×3, first 2 shown]
	v_dual_fmac_f32 v24, v11, v2 :: v_dual_fmac_f32 v25, v13, v4
	s_delay_alu instid0(VALU_DEP_3) | instskip(SKIP_1) | instid1(VALU_DEP_3)
	v_fmac_f32_e32 v26, v15, v6
	v_fma_f32 v4, v12, v4, -v5
	v_dual_fmac_f32 v28, v23, v18 :: v_dual_add_f32 v5, 0, v24
	v_mul_f32_e32 v3, v11, v3
	s_delay_alu instid0(VALU_DEP_1) | instskip(SKIP_1) | instid1(VALU_DEP_2)
	v_fma_f32 v3, v10, v2, -v3
	v_dual_mul_f32 v2, v15, v7 :: v_dual_mul_f32 v7, v17, v9
	v_add_f32_e32 v3, 0, v3
	s_delay_alu instid0(VALU_DEP_2) | instskip(NEXT) | instid1(VALU_DEP_3)
	v_fma_f32 v2, v14, v6, -v2
	v_fma_f32 v6, v16, v8, -v7
	s_delay_alu instid0(VALU_DEP_3) | instskip(NEXT) | instid1(VALU_DEP_1)
	v_add_f32_e32 v3, v3, v4
	v_add_f32_e32 v2, v3, v2
	;; [unrolled: 1-line block ×3, first 2 shown]
	s_delay_alu instid0(VALU_DEP_2) | instskip(NEXT) | instid1(VALU_DEP_2)
	v_dual_add_f32 v2, v2, v6 :: v_dual_mul_f32 v5, v23, v19
	v_add_f32_e32 v3, v4, v26
	s_delay_alu instid0(VALU_DEP_2) | instskip(NEXT) | instid1(VALU_DEP_1)
	v_fma_f32 v4, v22, v18, -v5
	v_add_f32_e32 v2, v2, v4
	s_wait_loadcnt 0x0
	s_delay_alu instid0(VALU_DEP_1) | instskip(NEXT) | instid1(VALU_DEP_1)
	v_dual_fmac_f32 v27, v17, v8 :: v_dual_sub_f32 v2, v20, v2
	v_add_f32_e32 v3, v3, v27
	s_delay_alu instid0(VALU_DEP_1) | instskip(NEXT) | instid1(VALU_DEP_1)
	v_add_f32_e32 v3, v3, v28
	v_sub_f32_e32 v3, v21, v3
	scratch_store_b64 off, v[2:3], off offset:464
	v_cmpx_lt_u32_e32 57, v0
	s_cbranch_execz .LBB127_283
; %bb.282:
	scratch_load_b64 v[3:4], off, off offset:456
	v_mov_b32_e32 v2, v1
	scratch_store_b64 off, v[1:2], off offset:456
	s_wait_loadcnt 0x0
	ds_store_b64 v163, v[3:4]
.LBB127_283:
	s_wait_alu 0xfffe
	s_or_b32 exec_lo, exec_lo, s0
	s_wait_storecnt_dscnt 0x0
	s_barrier_signal -1
	s_barrier_wait -1
	global_inv scope:SCOPE_SE
	s_clause 0x3
	scratch_load_b128 v[2:5], off, off offset:464
	scratch_load_b128 v[6:9], off, off offset:480
	;; [unrolled: 1-line block ×3, first 2 shown]
	scratch_load_b64 v[26:27], off, off offset:456
	ds_load_b128 v[14:17], v1 offset:976
	ds_load_b128 v[18:21], v1 offset:992
	;; [unrolled: 1-line block ×3, first 2 shown]
	s_mov_b32 s0, exec_lo
	s_wait_loadcnt_dscnt 0x302
	v_dual_mul_f32 v1, v14, v3 :: v_dual_mul_f32 v28, v16, v5
	s_wait_loadcnt_dscnt 0x100
	v_dual_mul_f32 v3, v15, v3 :: v_dual_mul_f32 v32, v24, v13
	v_dual_mul_f32 v29, v18, v7 :: v_dual_mul_f32 v30, v20, v9
	v_mul_f32_e32 v5, v17, v5
	s_delay_alu instid0(VALU_DEP_3)
	v_fma_f32 v3, v14, v2, -v3
	v_fmac_f32_e32 v1, v15, v2
	v_mul_f32_e32 v2, v19, v7
	v_dual_mul_f32 v31, v22, v11 :: v_dual_fmac_f32 v28, v17, v4
	v_fma_f32 v4, v16, v4, -v5
	v_fmac_f32_e32 v30, v21, v8
	s_delay_alu instid0(VALU_DEP_4) | instskip(SKIP_4) | instid1(VALU_DEP_4)
	v_fma_f32 v2, v18, v6, -v2
	v_mul_f32_e32 v5, v21, v9
	v_add_f32_e32 v1, 0, v1
	v_dual_fmac_f32 v29, v19, v6 :: v_dual_fmac_f32 v32, v25, v12
	v_fmac_f32_e32 v31, v23, v10
	v_fma_f32 v5, v20, v8, -v5
	v_add_f32_e32 v3, 0, v3
	s_delay_alu instid0(VALU_DEP_1) | instskip(SKIP_1) | instid1(VALU_DEP_2)
	v_add_f32_e32 v3, v3, v4
	v_mul_f32_e32 v4, v23, v11
	v_add_f32_e32 v2, v3, v2
	s_delay_alu instid0(VALU_DEP_2) | instskip(NEXT) | instid1(VALU_DEP_2)
	v_fma_f32 v4, v22, v10, -v4
	v_add_f32_e32 v2, v2, v5
	s_delay_alu instid0(VALU_DEP_1) | instskip(NEXT) | instid1(VALU_DEP_1)
	v_dual_mul_f32 v3, v25, v13 :: v_dual_add_f32 v2, v2, v4
	v_fma_f32 v3, v24, v12, -v3
	s_delay_alu instid0(VALU_DEP_1) | instskip(NEXT) | instid1(VALU_DEP_1)
	v_dual_add_f32 v1, v1, v28 :: v_dual_add_f32 v2, v2, v3
	v_add_f32_e32 v1, v1, v29
	s_delay_alu instid0(VALU_DEP_1) | instskip(NEXT) | instid1(VALU_DEP_1)
	v_add_f32_e32 v1, v1, v30
	v_add_f32_e32 v1, v1, v31
	s_delay_alu instid0(VALU_DEP_1) | instskip(SKIP_1) | instid1(VALU_DEP_1)
	v_add_f32_e32 v3, v1, v32
	s_wait_loadcnt 0x0
	v_dual_sub_f32 v1, v26, v2 :: v_dual_sub_f32 v2, v27, v3
	scratch_store_b64 off, v[1:2], off offset:456
	v_cmpx_lt_u32_e32 56, v0
	s_cbranch_execz .LBB127_285
; %bb.284:
	scratch_load_b64 v[1:2], off, off offset:448
	v_mov_b32_e32 v3, 0
	s_delay_alu instid0(VALU_DEP_1)
	v_mov_b32_e32 v4, v3
	scratch_store_b64 off, v[3:4], off offset:448
	s_wait_loadcnt 0x0
	ds_store_b64 v163, v[1:2]
.LBB127_285:
	s_wait_alu 0xfffe
	s_or_b32 exec_lo, exec_lo, s0
	s_wait_storecnt_dscnt 0x0
	s_barrier_signal -1
	s_barrier_wait -1
	global_inv scope:SCOPE_SE
	s_clause 0x4
	scratch_load_b128 v[2:5], off, off offset:456
	scratch_load_b128 v[6:9], off, off offset:472
	;; [unrolled: 1-line block ×3, first 2 shown]
	scratch_load_b64 v[26:27], off, off offset:504
	scratch_load_b64 v[28:29], off, off offset:448
	v_mov_b32_e32 v1, 0
	ds_load_2addr_b64 v[14:17], v1 offset0:121 offset1:122
	ds_load_2addr_b64 v[18:21], v1 offset0:123 offset1:124
	;; [unrolled: 1-line block ×3, first 2 shown]
	ds_load_b64 v[30:31], v1 offset:1016
	s_mov_b32 s0, exec_lo
	s_wait_loadcnt_dscnt 0x403
	v_mul_f32_e32 v32, v14, v3
	s_wait_loadcnt_dscnt 0x302
	v_dual_mul_f32 v164, v20, v9 :: v_dual_mul_f32 v3, v15, v3
	v_dual_mul_f32 v161, v16, v5 :: v_dual_mul_f32 v162, v18, v7
	s_wait_loadcnt_dscnt 0x100
	v_dual_mul_f32 v167, v30, v27 :: v_dual_fmac_f32 v32, v15, v2
	v_mul_f32_e32 v5, v17, v5
	v_fma_f32 v3, v14, v2, -v3
	v_dual_mul_f32 v2, v19, v7 :: v_dual_fmac_f32 v161, v17, v4
	v_fmac_f32_e32 v162, v19, v6
	s_delay_alu instid0(VALU_DEP_4) | instskip(SKIP_1) | instid1(VALU_DEP_4)
	v_fma_f32 v4, v16, v4, -v5
	v_dual_mul_f32 v165, v22, v11 :: v_dual_mul_f32 v166, v24, v13
	v_fma_f32 v2, v18, v6, -v2
	v_add_f32_e32 v5, 0, v32
	v_dual_add_f32 v3, 0, v3 :: v_dual_fmac_f32 v164, v21, v8
	s_delay_alu instid0(VALU_DEP_4) | instskip(NEXT) | instid1(VALU_DEP_2)
	v_dual_fmac_f32 v165, v23, v10 :: v_dual_fmac_f32 v166, v25, v12
	v_add_f32_e32 v3, v3, v4
	s_delay_alu instid0(VALU_DEP_1) | instskip(SKIP_1) | instid1(VALU_DEP_2)
	v_dual_add_f32 v2, v3, v2 :: v_dual_mul_f32 v7, v21, v9
	v_dual_add_f32 v4, v5, v161 :: v_dual_mul_f32 v5, v23, v11
	v_fma_f32 v6, v20, v8, -v7
	s_delay_alu instid0(VALU_DEP_2) | instskip(NEXT) | instid1(VALU_DEP_3)
	v_dual_add_f32 v3, v4, v162 :: v_dual_mul_f32 v4, v25, v13
	v_fma_f32 v5, v22, v10, -v5
	s_delay_alu instid0(VALU_DEP_3) | instskip(SKIP_1) | instid1(VALU_DEP_4)
	v_add_f32_e32 v2, v2, v6
	v_mul_f32_e32 v6, v31, v27
	v_add_f32_e32 v3, v3, v164
	v_fma_f32 v4, v24, v12, -v4
	s_delay_alu instid0(VALU_DEP_4) | instskip(NEXT) | instid1(VALU_DEP_4)
	v_add_f32_e32 v2, v2, v5
	v_fma_f32 v5, v30, v26, -v6
	s_delay_alu instid0(VALU_DEP_2) | instskip(SKIP_1) | instid1(VALU_DEP_2)
	v_dual_add_f32 v3, v3, v165 :: v_dual_add_f32 v2, v2, v4
	v_fmac_f32_e32 v167, v31, v26
	v_dual_add_f32 v3, v3, v166 :: v_dual_add_f32 v2, v2, v5
	s_wait_loadcnt 0x0
	s_delay_alu instid0(VALU_DEP_1) | instskip(NEXT) | instid1(VALU_DEP_1)
	v_dual_add_f32 v3, v3, v167 :: v_dual_sub_f32 v2, v28, v2
	v_sub_f32_e32 v3, v29, v3
	scratch_store_b64 off, v[2:3], off offset:448
	v_cmpx_lt_u32_e32 55, v0
	s_cbranch_execz .LBB127_287
; %bb.286:
	scratch_load_b64 v[3:4], off, off offset:440
	v_mov_b32_e32 v2, v1
	scratch_store_b64 off, v[1:2], off offset:440
	s_wait_loadcnt 0x0
	ds_store_b64 v163, v[3:4]
.LBB127_287:
	s_wait_alu 0xfffe
	s_or_b32 exec_lo, exec_lo, s0
	s_wait_storecnt_dscnt 0x0
	s_barrier_signal -1
	s_barrier_wait -1
	global_inv scope:SCOPE_SE
	s_clause 0x4
	scratch_load_b128 v[2:5], off, off offset:448
	scratch_load_b128 v[6:9], off, off offset:464
	;; [unrolled: 1-line block ×4, first 2 shown]
	scratch_load_b64 v[30:31], off, off offset:440
	ds_load_b128 v[18:21], v1 offset:960
	ds_load_b128 v[22:25], v1 offset:976
	;; [unrolled: 1-line block ×4, first 2 shown]
	s_mov_b32 s0, exec_lo
	s_wait_loadcnt_dscnt 0x403
	v_dual_mul_f32 v1, v18, v3 :: v_dual_mul_f32 v32, v20, v5
	v_mul_f32_e32 v3, v19, v3
	v_mul_f32_e32 v5, v21, v5
	s_wait_loadcnt_dscnt 0x302
	v_dual_mul_f32 v161, v22, v7 :: v_dual_mul_f32 v162, v24, v9
	v_fmac_f32_e32 v32, v21, v4
	v_fma_f32 v3, v18, v2, -v3
	s_wait_loadcnt_dscnt 0x201
	v_dual_mul_f32 v168, v26, v11 :: v_dual_mul_f32 v169, v28, v13
	s_wait_loadcnt_dscnt 0x100
	v_dual_mul_f32 v170, v164, v15 :: v_dual_mul_f32 v171, v166, v17
	v_dual_fmac_f32 v1, v19, v2 :: v_dual_fmac_f32 v162, v25, v8
	v_mul_f32_e32 v2, v23, v7
	v_fma_f32 v4, v20, v4, -v5
	v_dual_add_f32 v3, 0, v3 :: v_dual_fmac_f32 v168, v27, v10
	v_fmac_f32_e32 v170, v165, v14
	s_delay_alu instid0(VALU_DEP_4) | instskip(SKIP_1) | instid1(VALU_DEP_4)
	v_fma_f32 v2, v22, v6, -v2
	v_add_f32_e32 v1, 0, v1
	v_add_f32_e32 v3, v3, v4
	v_dual_mul_f32 v5, v25, v9 :: v_dual_mul_f32 v4, v27, v11
	v_fmac_f32_e32 v171, v167, v16
	s_delay_alu instid0(VALU_DEP_3) | instskip(NEXT) | instid1(VALU_DEP_3)
	v_dual_add_f32 v1, v1, v32 :: v_dual_add_f32 v2, v3, v2
	v_fma_f32 v5, v24, v8, -v5
	v_fmac_f32_e32 v161, v23, v6
	v_fma_f32 v4, v26, v10, -v4
	s_delay_alu instid0(VALU_DEP_3) | instskip(SKIP_1) | instid1(VALU_DEP_2)
	v_add_f32_e32 v2, v2, v5
	v_mul_f32_e32 v3, v29, v13
	v_dual_mul_f32 v5, v165, v15 :: v_dual_add_f32 v2, v2, v4
	s_delay_alu instid0(VALU_DEP_2) | instskip(SKIP_2) | instid1(VALU_DEP_4)
	v_fma_f32 v3, v28, v12, -v3
	v_mul_f32_e32 v4, v167, v17
	v_add_f32_e32 v1, v1, v161
	v_fma_f32 v5, v164, v14, -v5
	s_delay_alu instid0(VALU_DEP_4) | instskip(NEXT) | instid1(VALU_DEP_4)
	v_add_f32_e32 v2, v2, v3
	v_fma_f32 v3, v166, v16, -v4
	s_delay_alu instid0(VALU_DEP_2) | instskip(SKIP_1) | instid1(VALU_DEP_2)
	v_dual_add_f32 v1, v1, v162 :: v_dual_add_f32 v2, v2, v5
	v_fmac_f32_e32 v169, v29, v12
	v_dual_add_f32 v1, v1, v168 :: v_dual_add_f32 v2, v2, v3
	s_delay_alu instid0(VALU_DEP_1) | instskip(NEXT) | instid1(VALU_DEP_1)
	v_add_f32_e32 v1, v1, v169
	v_add_f32_e32 v1, v1, v170
	s_delay_alu instid0(VALU_DEP_1) | instskip(SKIP_1) | instid1(VALU_DEP_1)
	v_add_f32_e32 v3, v1, v171
	s_wait_loadcnt 0x0
	v_dual_sub_f32 v1, v30, v2 :: v_dual_sub_f32 v2, v31, v3
	scratch_store_b64 off, v[1:2], off offset:440
	v_cmpx_lt_u32_e32 54, v0
	s_cbranch_execz .LBB127_289
; %bb.288:
	scratch_load_b64 v[1:2], off, off offset:432
	v_mov_b32_e32 v3, 0
	s_delay_alu instid0(VALU_DEP_1)
	v_mov_b32_e32 v4, v3
	scratch_store_b64 off, v[3:4], off offset:432
	s_wait_loadcnt 0x0
	ds_store_b64 v163, v[1:2]
.LBB127_289:
	s_wait_alu 0xfffe
	s_or_b32 exec_lo, exec_lo, s0
	s_wait_storecnt_dscnt 0x0
	s_barrier_signal -1
	s_barrier_wait -1
	global_inv scope:SCOPE_SE
	s_clause 0x5
	scratch_load_b128 v[2:5], off, off offset:440
	scratch_load_b128 v[6:9], off, off offset:456
	;; [unrolled: 1-line block ×4, first 2 shown]
	scratch_load_b64 v[30:31], off, off offset:504
	scratch_load_b64 v[161:162], off, off offset:432
	v_mov_b32_e32 v1, 0
	ds_load_2addr_b64 v[18:21], v1 offset0:119 offset1:120
	ds_load_2addr_b64 v[22:25], v1 offset0:121 offset1:122
	;; [unrolled: 1-line block ×4, first 2 shown]
	ds_load_b64 v[168:169], v1 offset:1016
	s_mov_b32 s0, exec_lo
	s_wait_loadcnt_dscnt 0x504
	v_mul_f32_e32 v32, v18, v3
	s_wait_loadcnt_dscnt 0x302
	v_dual_mul_f32 v3, v19, v3 :: v_dual_mul_f32 v174, v28, v13
	v_dual_mul_f32 v170, v20, v5 :: v_dual_mul_f32 v171, v22, v7
	v_mul_f32_e32 v5, v21, v5
	s_delay_alu instid0(VALU_DEP_3) | instskip(SKIP_3) | instid1(VALU_DEP_3)
	v_fma_f32 v3, v18, v2, -v3
	s_wait_loadcnt_dscnt 0x100
	v_dual_mul_f32 v177, v168, v31 :: v_dual_fmac_f32 v32, v19, v2
	v_mul_f32_e32 v2, v23, v7
	v_dual_fmac_f32 v170, v21, v4 :: v_dual_add_f32 v3, 0, v3
	v_fma_f32 v4, v20, v4, -v5
	v_dual_mul_f32 v172, v24, v9 :: v_dual_mul_f32 v173, v26, v11
	s_delay_alu instid0(VALU_DEP_4) | instskip(SKIP_1) | instid1(VALU_DEP_4)
	v_fma_f32 v2, v22, v6, -v2
	v_fmac_f32_e32 v171, v23, v6
	v_add_f32_e32 v3, v3, v4
	v_add_f32_e32 v5, 0, v32
	v_dual_fmac_f32 v172, v25, v8 :: v_dual_fmac_f32 v173, v27, v10
	v_dual_mul_f32 v175, v164, v15 :: v_dual_mul_f32 v176, v166, v17
	s_delay_alu instid0(VALU_DEP_4) | instskip(NEXT) | instid1(VALU_DEP_4)
	v_dual_add_f32 v2, v3, v2 :: v_dual_mul_f32 v7, v25, v9
	v_dual_add_f32 v4, v5, v170 :: v_dual_mul_f32 v5, v27, v11
	v_fmac_f32_e32 v174, v29, v12
	s_delay_alu instid0(VALU_DEP_4) | instskip(NEXT) | instid1(VALU_DEP_4)
	v_dual_fmac_f32 v175, v165, v14 :: v_dual_fmac_f32 v176, v167, v16
	v_fma_f32 v6, v24, v8, -v7
	s_delay_alu instid0(VALU_DEP_4) | instskip(SKIP_1) | instid1(VALU_DEP_2)
	v_dual_add_f32 v3, v4, v171 :: v_dual_mul_f32 v4, v29, v13
	v_fma_f32 v5, v26, v10, -v5
	v_dual_add_f32 v2, v2, v6 :: v_dual_add_f32 v3, v3, v172
	v_mul_f32_e32 v6, v165, v15
	s_delay_alu instid0(VALU_DEP_4) | instskip(NEXT) | instid1(VALU_DEP_3)
	v_fma_f32 v4, v28, v12, -v4
	v_add_f32_e32 v2, v2, v5
	s_delay_alu instid0(VALU_DEP_4) | instskip(SKIP_2) | instid1(VALU_DEP_4)
	v_add_f32_e32 v3, v3, v173
	v_mul_f32_e32 v5, v167, v17
	v_fma_f32 v6, v164, v14, -v6
	v_add_f32_e32 v2, v2, v4
	v_mul_f32_e32 v4, v169, v31
	s_delay_alu instid0(VALU_DEP_4) | instskip(NEXT) | instid1(VALU_DEP_3)
	v_fma_f32 v5, v166, v16, -v5
	v_add_f32_e32 v2, v2, v6
	v_add_f32_e32 v3, v3, v174
	s_delay_alu instid0(VALU_DEP_4) | instskip(NEXT) | instid1(VALU_DEP_2)
	v_fma_f32 v4, v168, v30, -v4
	v_dual_add_f32 v2, v2, v5 :: v_dual_add_f32 v3, v3, v175
	s_delay_alu instid0(VALU_DEP_1) | instskip(SKIP_1) | instid1(VALU_DEP_1)
	v_dual_fmac_f32 v177, v169, v30 :: v_dual_add_f32 v2, v2, v4
	s_wait_loadcnt 0x0
	v_dual_add_f32 v3, v3, v176 :: v_dual_sub_f32 v2, v161, v2
	s_delay_alu instid0(VALU_DEP_1) | instskip(NEXT) | instid1(VALU_DEP_1)
	v_add_f32_e32 v3, v3, v177
	v_sub_f32_e32 v3, v162, v3
	scratch_store_b64 off, v[2:3], off offset:432
	v_cmpx_lt_u32_e32 53, v0
	s_cbranch_execz .LBB127_291
; %bb.290:
	scratch_load_b64 v[3:4], off, off offset:424
	v_mov_b32_e32 v2, v1
	scratch_store_b64 off, v[1:2], off offset:424
	s_wait_loadcnt 0x0
	ds_store_b64 v163, v[3:4]
.LBB127_291:
	s_wait_alu 0xfffe
	s_or_b32 exec_lo, exec_lo, s0
	s_wait_storecnt_dscnt 0x0
	s_barrier_signal -1
	s_barrier_wait -1
	global_inv scope:SCOPE_SE
	s_clause 0x5
	scratch_load_b128 v[2:5], off, off offset:432
	scratch_load_b128 v[6:9], off, off offset:448
	;; [unrolled: 1-line block ×5, first 2 shown]
	scratch_load_b64 v[30:31], off, off offset:424
	ds_load_b128 v[22:25], v1 offset:944
	ds_load_b128 v[26:29], v1 offset:960
	;; [unrolled: 1-line block ×5, first 2 shown]
	s_mov_b32 s0, exec_lo
	s_wait_loadcnt_dscnt 0x504
	v_dual_mul_f32 v1, v22, v3 :: v_dual_mul_f32 v32, v24, v5
	v_mul_f32_e32 v3, v23, v3
	v_mul_f32_e32 v5, v25, v5
	s_wait_loadcnt_dscnt 0x403
	v_dual_mul_f32 v161, v26, v7 :: v_dual_mul_f32 v162, v28, v9
	v_fmac_f32_e32 v32, v25, v4
	v_fma_f32 v3, v22, v2, -v3
	v_fmac_f32_e32 v1, v23, v2
	v_mul_f32_e32 v2, v27, v7
	v_fma_f32 v4, v24, v4, -v5
	s_wait_loadcnt_dscnt 0x302
	v_dual_mul_f32 v176, v164, v11 :: v_dual_mul_f32 v177, v166, v13
	v_dual_add_f32 v3, 0, v3 :: v_dual_fmac_f32 v162, v29, v8
	v_fma_f32 v2, v26, v6, -v2
	s_delay_alu instid0(VALU_DEP_3) | instskip(SKIP_3) | instid1(VALU_DEP_2)
	v_fmac_f32_e32 v176, v165, v10
	s_wait_loadcnt_dscnt 0x201
	v_dual_mul_f32 v178, v168, v15 :: v_dual_mul_f32 v179, v170, v17
	v_dual_add_f32 v3, v3, v4 :: v_dual_mul_f32 v4, v165, v11
	v_dual_add_f32 v1, 0, v1 :: v_dual_fmac_f32 v178, v169, v14
	s_wait_loadcnt_dscnt 0x100
	v_dual_mul_f32 v180, v172, v19 :: v_dual_mul_f32 v181, v174, v21
	s_delay_alu instid0(VALU_DEP_3) | instskip(SKIP_4) | instid1(VALU_DEP_4)
	v_fma_f32 v4, v164, v10, -v4
	v_dual_mul_f32 v5, v29, v9 :: v_dual_add_f32 v2, v3, v2
	v_add_f32_e32 v1, v1, v32
	v_mul_f32_e32 v3, v167, v13
	v_dual_fmac_f32 v177, v167, v12 :: v_dual_fmac_f32 v180, v173, v18
	v_fma_f32 v5, v28, v8, -v5
	v_fmac_f32_e32 v161, v27, v6
	s_delay_alu instid0(VALU_DEP_4) | instskip(SKIP_1) | instid1(VALU_DEP_4)
	v_fma_f32 v3, v166, v12, -v3
	v_fmac_f32_e32 v179, v171, v16
	v_dual_fmac_f32 v181, v175, v20 :: v_dual_add_f32 v2, v2, v5
	s_delay_alu instid0(VALU_DEP_1) | instskip(SKIP_1) | instid1(VALU_DEP_2)
	v_add_f32_e32 v2, v2, v4
	v_mul_f32_e32 v4, v171, v17
	v_dual_add_f32 v1, v1, v161 :: v_dual_add_f32 v2, v2, v3
	s_delay_alu instid0(VALU_DEP_2) | instskip(SKIP_2) | instid1(VALU_DEP_2)
	v_fma_f32 v4, v170, v16, -v4
	v_mul_f32_e32 v5, v169, v15
	v_mul_f32_e32 v3, v173, v19
	v_fma_f32 v5, v168, v14, -v5
	v_add_f32_e32 v1, v1, v162
	s_delay_alu instid0(VALU_DEP_3) | instskip(NEXT) | instid1(VALU_DEP_3)
	v_fma_f32 v3, v172, v18, -v3
	v_add_f32_e32 v2, v2, v5
	s_delay_alu instid0(VALU_DEP_1) | instskip(NEXT) | instid1(VALU_DEP_4)
	v_dual_mul_f32 v5, v175, v21 :: v_dual_add_f32 v2, v2, v4
	v_add_f32_e32 v1, v1, v176
	s_delay_alu instid0(VALU_DEP_2) | instskip(NEXT) | instid1(VALU_DEP_2)
	v_fma_f32 v4, v174, v20, -v5
	v_dual_add_f32 v2, v2, v3 :: v_dual_add_f32 v1, v1, v177
	s_delay_alu instid0(VALU_DEP_1) | instskip(NEXT) | instid1(VALU_DEP_1)
	v_dual_add_f32 v2, v2, v4 :: v_dual_add_f32 v1, v1, v178
	v_add_f32_e32 v1, v1, v179
	s_delay_alu instid0(VALU_DEP_1) | instskip(NEXT) | instid1(VALU_DEP_1)
	v_add_f32_e32 v1, v1, v180
	v_add_f32_e32 v3, v1, v181
	s_wait_loadcnt 0x0
	s_delay_alu instid0(VALU_DEP_1)
	v_dual_sub_f32 v1, v30, v2 :: v_dual_sub_f32 v2, v31, v3
	scratch_store_b64 off, v[1:2], off offset:424
	v_cmpx_lt_u32_e32 52, v0
	s_cbranch_execz .LBB127_293
; %bb.292:
	scratch_load_b64 v[1:2], off, off offset:416
	v_mov_b32_e32 v3, 0
	s_delay_alu instid0(VALU_DEP_1)
	v_mov_b32_e32 v4, v3
	scratch_store_b64 off, v[3:4], off offset:416
	s_wait_loadcnt 0x0
	ds_store_b64 v163, v[1:2]
.LBB127_293:
	s_wait_alu 0xfffe
	s_or_b32 exec_lo, exec_lo, s0
	s_wait_storecnt_dscnt 0x0
	s_barrier_signal -1
	s_barrier_wait -1
	global_inv scope:SCOPE_SE
	s_clause 0x6
	scratch_load_b128 v[2:5], off, off offset:424
	scratch_load_b128 v[6:9], off, off offset:440
	;; [unrolled: 1-line block ×5, first 2 shown]
	scratch_load_b64 v[30:31], off, off offset:504
	scratch_load_b64 v[161:162], off, off offset:416
	v_mov_b32_e32 v1, 0
	ds_load_2addr_b64 v[22:25], v1 offset0:117 offset1:118
	ds_load_2addr_b64 v[26:29], v1 offset0:119 offset1:120
	ds_load_2addr_b64 v[164:167], v1 offset0:121 offset1:122
	ds_load_2addr_b64 v[168:171], v1 offset0:123 offset1:124
	ds_load_2addr_b64 v[172:175], v1 offset0:125 offset1:126
	ds_load_b64 v[176:177], v1 offset:1016
	s_mov_b32 s0, exec_lo
	s_wait_loadcnt_dscnt 0x605
	v_mul_f32_e32 v32, v22, v3
	s_wait_loadcnt_dscnt 0x504
	v_dual_mul_f32 v180, v28, v9 :: v_dual_mul_f32 v3, v23, v3
	v_dual_mul_f32 v178, v24, v5 :: v_dual_mul_f32 v179, v26, v7
	v_mul_f32_e32 v5, v25, v5
	s_wait_loadcnt_dscnt 0x100
	v_dual_mul_f32 v187, v176, v31 :: v_dual_fmac_f32 v32, v23, v2
	v_fma_f32 v3, v22, v2, -v3
	v_mul_f32_e32 v2, v27, v7
	v_fmac_f32_e32 v178, v25, v4
	v_fma_f32 v4, v24, v4, -v5
	v_dual_fmac_f32 v179, v27, v6 :: v_dual_fmac_f32 v180, v29, v8
	v_add_f32_e32 v3, 0, v3
	v_fma_f32 v2, v26, v6, -v2
	v_dual_mul_f32 v181, v164, v11 :: v_dual_mul_f32 v182, v166, v13
	v_dual_mul_f32 v183, v168, v15 :: v_dual_mul_f32 v184, v170, v17
	s_delay_alu instid0(VALU_DEP_4) | instskip(SKIP_1) | instid1(VALU_DEP_3)
	v_add_f32_e32 v3, v3, v4
	v_add_f32_e32 v5, 0, v32
	v_dual_fmac_f32 v182, v167, v12 :: v_dual_fmac_f32 v183, v169, v14
	s_delay_alu instid0(VALU_DEP_4) | instskip(NEXT) | instid1(VALU_DEP_4)
	v_fmac_f32_e32 v184, v171, v16
	v_dual_add_f32 v2, v3, v2 :: v_dual_mul_f32 v7, v29, v9
	s_delay_alu instid0(VALU_DEP_4) | instskip(SKIP_2) | instid1(VALU_DEP_4)
	v_add_f32_e32 v4, v5, v178
	v_mul_f32_e32 v5, v165, v11
	v_dual_mul_f32 v185, v172, v19 :: v_dual_mul_f32 v186, v174, v21
	v_fma_f32 v6, v28, v8, -v7
	s_delay_alu instid0(VALU_DEP_4) | instskip(NEXT) | instid1(VALU_DEP_4)
	v_dual_add_f32 v3, v4, v179 :: v_dual_mul_f32 v4, v167, v13
	v_fma_f32 v5, v164, v10, -v5
	s_delay_alu instid0(VALU_DEP_4) | instskip(NEXT) | instid1(VALU_DEP_4)
	v_fmac_f32_e32 v185, v173, v18
	v_add_f32_e32 v2, v2, v6
	v_fmac_f32_e32 v181, v165, v10
	v_dual_add_f32 v3, v3, v180 :: v_dual_mul_f32 v6, v169, v15
	v_fma_f32 v4, v166, v12, -v4
	s_delay_alu instid0(VALU_DEP_4) | instskip(SKIP_1) | instid1(VALU_DEP_4)
	v_add_f32_e32 v2, v2, v5
	v_mul_f32_e32 v5, v171, v17
	v_add_f32_e32 v3, v3, v181
	v_fma_f32 v6, v168, v14, -v6
	v_fmac_f32_e32 v186, v175, v20
	v_add_f32_e32 v2, v2, v4
	v_mul_f32_e32 v4, v173, v19
	v_fma_f32 v5, v170, v16, -v5
	s_delay_alu instid0(VALU_DEP_3) | instskip(SKIP_3) | instid1(VALU_DEP_3)
	v_add_f32_e32 v2, v2, v6
	v_add_f32_e32 v3, v3, v182
	v_mul_f32_e32 v6, v175, v21
	v_fma_f32 v4, v172, v18, -v4
	v_dual_add_f32 v2, v2, v5 :: v_dual_add_f32 v3, v3, v183
	s_delay_alu instid0(VALU_DEP_3) | instskip(NEXT) | instid1(VALU_DEP_2)
	v_fma_f32 v6, v174, v20, -v6
	v_dual_mul_f32 v5, v177, v31 :: v_dual_add_f32 v2, v2, v4
	s_delay_alu instid0(VALU_DEP_3) | instskip(NEXT) | instid1(VALU_DEP_2)
	v_add_f32_e32 v3, v3, v184
	v_fma_f32 v4, v176, v30, -v5
	s_delay_alu instid0(VALU_DEP_2) | instskip(NEXT) | instid1(VALU_DEP_1)
	v_dual_add_f32 v2, v2, v6 :: v_dual_add_f32 v3, v3, v185
	v_dual_fmac_f32 v187, v177, v30 :: v_dual_add_f32 v2, v2, v4
	s_delay_alu instid0(VALU_DEP_2) | instskip(SKIP_1) | instid1(VALU_DEP_1)
	v_add_f32_e32 v3, v3, v186
	s_wait_loadcnt 0x0
	v_dual_sub_f32 v2, v161, v2 :: v_dual_add_f32 v3, v3, v187
	s_delay_alu instid0(VALU_DEP_1)
	v_sub_f32_e32 v3, v162, v3
	scratch_store_b64 off, v[2:3], off offset:416
	v_cmpx_lt_u32_e32 51, v0
	s_cbranch_execz .LBB127_295
; %bb.294:
	scratch_load_b64 v[3:4], off, off offset:408
	v_mov_b32_e32 v2, v1
	scratch_store_b64 off, v[1:2], off offset:408
	s_wait_loadcnt 0x0
	ds_store_b64 v163, v[3:4]
.LBB127_295:
	s_wait_alu 0xfffe
	s_or_b32 exec_lo, exec_lo, s0
	s_wait_storecnt_dscnt 0x0
	s_barrier_signal -1
	s_barrier_wait -1
	global_inv scope:SCOPE_SE
	s_clause 0x6
	scratch_load_b128 v[2:5], off, off offset:416
	scratch_load_b128 v[6:9], off, off offset:432
	;; [unrolled: 1-line block ×6, first 2 shown]
	scratch_load_b64 v[30:31], off, off offset:408
	ds_load_b128 v[26:29], v1 offset:928
	ds_load_b128 v[164:167], v1 offset:944
	;; [unrolled: 1-line block ×6, first 2 shown]
	s_mov_b32 s0, exec_lo
	s_wait_loadcnt_dscnt 0x605
	v_dual_mul_f32 v1, v26, v3 :: v_dual_mul_f32 v32, v28, v5
	v_mul_f32_e32 v3, v27, v3
	s_wait_loadcnt_dscnt 0x504
	v_dual_mul_f32 v161, v164, v7 :: v_dual_mul_f32 v162, v166, v9
	v_mul_f32_e32 v5, v29, v5
	v_fmac_f32_e32 v32, v29, v4
	v_fma_f32 v3, v26, v2, -v3
	s_wait_loadcnt_dscnt 0x403
	v_dual_mul_f32 v184, v168, v11 :: v_dual_mul_f32 v185, v170, v13
	v_dual_fmac_f32 v1, v27, v2 :: v_dual_mul_f32 v2, v165, v7
	s_delay_alu instid0(VALU_DEP_2)
	v_dual_add_f32 v3, 0, v3 :: v_dual_fmac_f32 v184, v169, v10
	v_fmac_f32_e32 v162, v167, v8
	v_fma_f32 v4, v28, v4, -v5
	s_wait_loadcnt_dscnt 0x302
	v_dual_mul_f32 v186, v172, v15 :: v_dual_mul_f32 v187, v174, v17
	v_add_f32_e32 v1, 0, v1
	v_fma_f32 v2, v164, v6, -v2
	s_delay_alu instid0(VALU_DEP_3) | instskip(SKIP_3) | instid1(VALU_DEP_3)
	v_dual_add_f32 v3, v3, v4 :: v_dual_fmac_f32 v186, v173, v14
	v_mul_f32_e32 v4, v169, v11
	s_wait_loadcnt_dscnt 0x201
	v_dual_add_f32 v1, v1, v32 :: v_dual_mul_f32 v188, v176, v19
	v_dual_mul_f32 v189, v178, v21 :: v_dual_add_f32 v2, v3, v2
	s_delay_alu instid0(VALU_DEP_3) | instskip(SKIP_1) | instid1(VALU_DEP_4)
	v_fma_f32 v4, v168, v10, -v4
	v_mul_f32_e32 v5, v167, v9
	v_dual_mul_f32 v3, v171, v13 :: v_dual_fmac_f32 v188, v177, v18
	s_wait_loadcnt_dscnt 0x100
	v_dual_mul_f32 v190, v180, v23 :: v_dual_mul_f32 v191, v182, v25
	s_delay_alu instid0(VALU_DEP_3) | instskip(SKIP_3) | instid1(VALU_DEP_4)
	v_fma_f32 v5, v166, v8, -v5
	v_fmac_f32_e32 v161, v165, v6
	v_fma_f32 v3, v170, v12, -v3
	v_fmac_f32_e32 v187, v175, v16
	v_dual_fmac_f32 v189, v179, v20 :: v_dual_add_f32 v2, v2, v5
	v_dual_fmac_f32 v191, v183, v24 :: v_dual_fmac_f32 v190, v181, v22
	s_delay_alu instid0(VALU_DEP_2) | instskip(SKIP_1) | instid1(VALU_DEP_2)
	v_dual_add_f32 v2, v2, v4 :: v_dual_add_f32 v1, v1, v161
	v_mul_f32_e32 v4, v175, v17
	v_dual_add_f32 v2, v2, v3 :: v_dual_add_f32 v1, v1, v162
	s_delay_alu instid0(VALU_DEP_2) | instskip(SKIP_1) | instid1(VALU_DEP_1)
	v_fma_f32 v4, v174, v16, -v4
	v_mul_f32_e32 v5, v173, v15
	v_fma_f32 v5, v172, v14, -v5
	s_delay_alu instid0(VALU_DEP_1) | instskip(NEXT) | instid1(VALU_DEP_1)
	v_dual_fmac_f32 v185, v171, v12 :: v_dual_add_f32 v2, v2, v5
	v_dual_mul_f32 v5, v179, v21 :: v_dual_add_f32 v2, v2, v4
	s_delay_alu instid0(VALU_DEP_1) | instskip(SKIP_2) | instid1(VALU_DEP_2)
	v_fma_f32 v5, v178, v20, -v5
	v_mul_f32_e32 v3, v177, v19
	v_mul_f32_e32 v4, v181, v23
	v_fma_f32 v3, v176, v18, -v3
	v_add_f32_e32 v1, v1, v184
	s_delay_alu instid0(VALU_DEP_3) | instskip(NEXT) | instid1(VALU_DEP_3)
	v_fma_f32 v4, v180, v22, -v4
	v_dual_add_f32 v2, v2, v3 :: v_dual_mul_f32 v3, v183, v25
	s_delay_alu instid0(VALU_DEP_1) | instskip(NEXT) | instid1(VALU_DEP_4)
	v_add_f32_e32 v2, v2, v5
	v_add_f32_e32 v1, v1, v185
	s_delay_alu instid0(VALU_DEP_3) | instskip(NEXT) | instid1(VALU_DEP_2)
	v_fma_f32 v3, v182, v24, -v3
	v_dual_add_f32 v2, v2, v4 :: v_dual_add_f32 v1, v1, v186
	s_delay_alu instid0(VALU_DEP_1) | instskip(NEXT) | instid1(VALU_DEP_2)
	v_add_f32_e32 v2, v2, v3
	v_add_f32_e32 v1, v1, v187
	s_delay_alu instid0(VALU_DEP_1) | instskip(NEXT) | instid1(VALU_DEP_1)
	v_add_f32_e32 v1, v1, v188
	v_add_f32_e32 v1, v1, v189
	s_delay_alu instid0(VALU_DEP_1) | instskip(NEXT) | instid1(VALU_DEP_1)
	v_add_f32_e32 v1, v1, v190
	v_add_f32_e32 v3, v1, v191
	s_wait_loadcnt 0x0
	s_delay_alu instid0(VALU_DEP_1)
	v_dual_sub_f32 v1, v30, v2 :: v_dual_sub_f32 v2, v31, v3
	scratch_store_b64 off, v[1:2], off offset:408
	v_cmpx_lt_u32_e32 50, v0
	s_cbranch_execz .LBB127_297
; %bb.296:
	scratch_load_b64 v[1:2], off, off offset:400
	v_mov_b32_e32 v3, 0
	s_delay_alu instid0(VALU_DEP_1)
	v_mov_b32_e32 v4, v3
	scratch_store_b64 off, v[3:4], off offset:400
	s_wait_loadcnt 0x0
	ds_store_b64 v163, v[1:2]
.LBB127_297:
	s_wait_alu 0xfffe
	s_or_b32 exec_lo, exec_lo, s0
	s_wait_storecnt_dscnt 0x0
	s_barrier_signal -1
	s_barrier_wait -1
	global_inv scope:SCOPE_SE
	s_clause 0x7
	scratch_load_b128 v[2:5], off, off offset:408
	scratch_load_b128 v[6:9], off, off offset:424
	;; [unrolled: 1-line block ×6, first 2 shown]
	scratch_load_b64 v[30:31], off, off offset:504
	scratch_load_b64 v[161:162], off, off offset:400
	v_mov_b32_e32 v1, 0
	ds_load_2addr_b64 v[26:29], v1 offset0:115 offset1:116
	ds_load_2addr_b64 v[164:167], v1 offset0:117 offset1:118
	;; [unrolled: 1-line block ×6, first 2 shown]
	ds_load_b64 v[184:185], v1 offset:1016
	s_mov_b32 s0, exec_lo
	s_wait_loadcnt_dscnt 0x706
	v_mul_f32_e32 v32, v26, v3
	v_dual_mul_f32 v186, v28, v5 :: v_dual_mul_f32 v3, v27, v3
	s_wait_loadcnt_dscnt 0x605
	v_dual_mul_f32 v187, v164, v7 :: v_dual_mul_f32 v188, v166, v9
	v_mul_f32_e32 v5, v29, v5
	s_wait_loadcnt_dscnt 0x100
	v_dual_mul_f32 v197, v184, v31 :: v_dual_fmac_f32 v32, v27, v2
	v_fma_f32 v3, v26, v2, -v3
	v_mul_f32_e32 v2, v165, v7
	v_fmac_f32_e32 v186, v29, v4
	v_fmac_f32_e32 v188, v167, v8
	v_fma_f32 v4, v28, v4, -v5
	v_add_f32_e32 v3, 0, v3
	v_add_f32_e32 v5, 0, v32
	v_mul_f32_e32 v7, v167, v9
	v_fma_f32 v2, v164, v6, -v2
	v_fmac_f32_e32 v187, v165, v6
	s_delay_alu instid0(VALU_DEP_4) | instskip(SKIP_3) | instid1(VALU_DEP_4)
	v_dual_add_f32 v3, v3, v4 :: v_dual_add_f32 v4, v5, v186
	v_mul_f32_e32 v5, v169, v11
	v_fma_f32 v6, v166, v8, -v7
	v_dual_mul_f32 v189, v168, v11 :: v_dual_mul_f32 v190, v170, v13
	v_dual_add_f32 v2, v3, v2 :: v_dual_add_f32 v3, v4, v187
	v_mul_f32_e32 v4, v171, v13
	v_fma_f32 v5, v168, v10, -v5
	s_delay_alu instid0(VALU_DEP_4) | instskip(NEXT) | instid1(VALU_DEP_4)
	v_fmac_f32_e32 v190, v171, v12
	v_add_f32_e32 v2, v2, v6
	v_fmac_f32_e32 v189, v169, v10
	v_dual_add_f32 v3, v3, v188 :: v_dual_mul_f32 v6, v173, v15
	v_fma_f32 v4, v170, v12, -v4
	s_delay_alu instid0(VALU_DEP_4) | instskip(SKIP_1) | instid1(VALU_DEP_4)
	v_dual_add_f32 v2, v2, v5 :: v_dual_mul_f32 v191, v172, v15
	v_mul_f32_e32 v192, v174, v17
	v_add_f32_e32 v3, v3, v189
	v_mul_f32_e32 v5, v175, v17
	v_fma_f32 v6, v172, v14, -v6
	v_dual_add_f32 v2, v2, v4 :: v_dual_fmac_f32 v191, v173, v14
	v_fmac_f32_e32 v192, v175, v16
	v_mul_f32_e32 v4, v177, v19
	v_fma_f32 v5, v174, v16, -v5
	s_delay_alu instid0(VALU_DEP_4) | instskip(SKIP_4) | instid1(VALU_DEP_4)
	v_add_f32_e32 v2, v2, v6
	v_add_f32_e32 v3, v3, v190
	v_dual_mul_f32 v193, v176, v19 :: v_dual_mul_f32 v194, v178, v21
	v_mul_f32_e32 v6, v179, v21
	v_fma_f32 v4, v176, v18, -v4
	v_dual_add_f32 v2, v2, v5 :: v_dual_add_f32 v3, v3, v191
	s_delay_alu instid0(VALU_DEP_4) | instskip(NEXT) | instid1(VALU_DEP_4)
	v_fmac_f32_e32 v193, v177, v18
	v_fma_f32 v6, v178, v20, -v6
	v_dual_mul_f32 v195, v180, v23 :: v_dual_mul_f32 v196, v182, v25
	s_delay_alu instid0(VALU_DEP_4) | instskip(SKIP_2) | instid1(VALU_DEP_4)
	v_add_f32_e32 v2, v2, v4
	v_add_f32_e32 v3, v3, v192
	v_dual_mul_f32 v5, v181, v23 :: v_dual_fmac_f32 v194, v179, v20
	v_dual_mul_f32 v4, v183, v25 :: v_dual_fmac_f32 v195, v181, v22
	s_delay_alu instid0(VALU_DEP_3) | instskip(NEXT) | instid1(VALU_DEP_3)
	v_dual_add_f32 v2, v2, v6 :: v_dual_add_f32 v3, v3, v193
	v_fma_f32 v5, v180, v22, -v5
	v_mul_f32_e32 v6, v185, v31
	v_dual_fmac_f32 v196, v183, v24 :: v_dual_fmac_f32 v197, v185, v30
	s_delay_alu instid0(VALU_DEP_4) | instskip(SKIP_3) | instid1(VALU_DEP_4)
	v_add_f32_e32 v3, v3, v194
	v_fma_f32 v4, v182, v24, -v4
	v_add_f32_e32 v2, v2, v5
	v_fma_f32 v5, v184, v30, -v6
	v_add_f32_e32 v3, v3, v195
	s_delay_alu instid0(VALU_DEP_1) | instskip(NEXT) | instid1(VALU_DEP_1)
	v_add_f32_e32 v3, v3, v196
	v_dual_add_f32 v2, v2, v4 :: v_dual_add_f32 v3, v3, v197
	s_delay_alu instid0(VALU_DEP_1) | instskip(SKIP_1) | instid1(VALU_DEP_1)
	v_add_f32_e32 v2, v2, v5
	s_wait_loadcnt 0x0
	v_dual_sub_f32 v3, v162, v3 :: v_dual_sub_f32 v2, v161, v2
	scratch_store_b64 off, v[2:3], off offset:400
	v_cmpx_lt_u32_e32 49, v0
	s_cbranch_execz .LBB127_299
; %bb.298:
	scratch_load_b64 v[3:4], off, off offset:392
	v_mov_b32_e32 v2, v1
	scratch_store_b64 off, v[1:2], off offset:392
	s_wait_loadcnt 0x0
	ds_store_b64 v163, v[3:4]
.LBB127_299:
	s_wait_alu 0xfffe
	s_or_b32 exec_lo, exec_lo, s0
	s_wait_storecnt_dscnt 0x0
	s_barrier_signal -1
	s_barrier_wait -1
	global_inv scope:SCOPE_SE
	s_clause 0x7
	scratch_load_b128 v[2:5], off, off offset:400
	scratch_load_b128 v[6:9], off, off offset:416
	;; [unrolled: 1-line block ×7, first 2 shown]
	scratch_load_b64 v[30:31], off, off offset:392
	ds_load_b128 v[164:167], v1 offset:912
	ds_load_b128 v[168:171], v1 offset:928
	;; [unrolled: 1-line block ×7, first 2 shown]
	s_mov_b32 s0, exec_lo
	s_wait_loadcnt_dscnt 0x706
	v_dual_mul_f32 v1, v164, v3 :: v_dual_mul_f32 v32, v166, v5
	v_mul_f32_e32 v3, v165, v3
	v_mul_f32_e32 v5, v167, v5
	s_wait_loadcnt_dscnt 0x605
	v_dual_mul_f32 v161, v168, v7 :: v_dual_mul_f32 v162, v170, v9
	v_fmac_f32_e32 v32, v167, v4
	v_fma_f32 v3, v164, v2, -v3
	s_wait_loadcnt_dscnt 0x504
	v_dual_mul_f32 v192, v172, v11 :: v_dual_mul_f32 v193, v174, v13
	v_dual_fmac_f32 v1, v165, v2 :: v_dual_fmac_f32 v162, v171, v8
	v_mul_f32_e32 v2, v169, v7
	v_fma_f32 v4, v166, v4, -v5
	s_delay_alu instid0(VALU_DEP_4) | instskip(SKIP_3) | instid1(VALU_DEP_3)
	v_dual_add_f32 v3, 0, v3 :: v_dual_fmac_f32 v192, v173, v10
	s_wait_loadcnt_dscnt 0x403
	v_dual_mul_f32 v194, v176, v15 :: v_dual_mul_f32 v195, v178, v17
	v_add_f32_e32 v1, 0, v1
	v_dual_add_f32 v3, v3, v4 :: v_dual_mul_f32 v4, v173, v11
	v_fma_f32 v2, v168, v6, -v2
	s_delay_alu instid0(VALU_DEP_4)
	v_fmac_f32_e32 v194, v177, v14
	s_wait_loadcnt_dscnt 0x302
	v_dual_add_f32 v1, v1, v32 :: v_dual_mul_f32 v196, v180, v19
	v_mul_f32_e32 v197, v182, v21
	v_fma_f32 v4, v172, v10, -v4
	v_mul_f32_e32 v5, v171, v9
	v_add_f32_e32 v2, v3, v2
	v_dual_mul_f32 v3, v175, v13 :: v_dual_fmac_f32 v196, v181, v18
	s_wait_loadcnt_dscnt 0x201
	v_dual_mul_f32 v198, v184, v23 :: v_dual_mul_f32 v199, v186, v25
	v_fma_f32 v5, v170, v8, -v5
	v_fmac_f32_e32 v161, v169, v6
	v_fma_f32 v3, v174, v12, -v3
	s_wait_loadcnt_dscnt 0x100
	v_dual_fmac_f32 v195, v179, v16 :: v_dual_mul_f32 v200, v188, v27
	v_mul_f32_e32 v201, v190, v29
	v_dual_add_f32 v2, v2, v5 :: v_dual_fmac_f32 v197, v183, v20
	v_fmac_f32_e32 v198, v185, v22
	s_delay_alu instid0(VALU_DEP_3) | instskip(NEXT) | instid1(VALU_DEP_3)
	v_dual_fmac_f32 v200, v189, v26 :: v_dual_fmac_f32 v201, v191, v28
	v_dual_add_f32 v2, v2, v4 :: v_dual_add_f32 v1, v1, v161
	v_mul_f32_e32 v4, v179, v17
	s_delay_alu instid0(VALU_DEP_2) | instskip(NEXT) | instid1(VALU_DEP_2)
	v_dual_add_f32 v2, v2, v3 :: v_dual_add_f32 v1, v1, v162
	v_fma_f32 v4, v178, v16, -v4
	v_mul_f32_e32 v5, v177, v15
	s_delay_alu instid0(VALU_DEP_1) | instskip(NEXT) | instid1(VALU_DEP_1)
	v_fma_f32 v5, v176, v14, -v5
	v_dual_fmac_f32 v193, v175, v12 :: v_dual_add_f32 v2, v2, v5
	s_delay_alu instid0(VALU_DEP_1) | instskip(NEXT) | instid1(VALU_DEP_1)
	v_dual_mul_f32 v5, v183, v21 :: v_dual_add_f32 v2, v2, v4
	v_fma_f32 v5, v182, v20, -v5
	v_mul_f32_e32 v3, v181, v19
	v_mul_f32_e32 v4, v185, v23
	s_delay_alu instid0(VALU_DEP_2) | instskip(SKIP_1) | instid1(VALU_DEP_3)
	v_fma_f32 v3, v180, v18, -v3
	v_add_f32_e32 v1, v1, v192
	v_fma_f32 v4, v184, v22, -v4
	s_delay_alu instid0(VALU_DEP_3) | instskip(NEXT) | instid1(VALU_DEP_1)
	v_dual_add_f32 v2, v2, v3 :: v_dual_mul_f32 v3, v187, v25
	v_add_f32_e32 v2, v2, v5
	s_delay_alu instid0(VALU_DEP_4) | instskip(SKIP_1) | instid1(VALU_DEP_4)
	v_add_f32_e32 v1, v1, v193
	v_mul_f32_e32 v5, v189, v27
	v_fma_f32 v3, v186, v24, -v3
	s_delay_alu instid0(VALU_DEP_3) | instskip(SKIP_3) | instid1(VALU_DEP_4)
	v_dual_add_f32 v2, v2, v4 :: v_dual_add_f32 v1, v1, v194
	v_mul_f32_e32 v4, v191, v29
	v_fmac_f32_e32 v199, v187, v24
	v_fma_f32 v5, v188, v26, -v5
	v_add_f32_e32 v2, v2, v3
	v_add_f32_e32 v1, v1, v195
	v_fma_f32 v3, v190, v28, -v4
	s_delay_alu instid0(VALU_DEP_2) | instskip(NEXT) | instid1(VALU_DEP_1)
	v_dual_add_f32 v2, v2, v5 :: v_dual_add_f32 v1, v1, v196
	v_dual_add_f32 v2, v2, v3 :: v_dual_add_f32 v1, v1, v197
	s_delay_alu instid0(VALU_DEP_1) | instskip(NEXT) | instid1(VALU_DEP_1)
	v_add_f32_e32 v1, v1, v198
	v_add_f32_e32 v1, v1, v199
	s_delay_alu instid0(VALU_DEP_1) | instskip(NEXT) | instid1(VALU_DEP_1)
	v_add_f32_e32 v1, v1, v200
	v_add_f32_e32 v3, v1, v201
	s_wait_loadcnt 0x0
	s_delay_alu instid0(VALU_DEP_1)
	v_dual_sub_f32 v1, v30, v2 :: v_dual_sub_f32 v2, v31, v3
	scratch_store_b64 off, v[1:2], off offset:392
	v_cmpx_lt_u32_e32 48, v0
	s_cbranch_execz .LBB127_301
; %bb.300:
	scratch_load_b64 v[1:2], off, off offset:384
	v_mov_b32_e32 v3, 0
	s_delay_alu instid0(VALU_DEP_1)
	v_mov_b32_e32 v4, v3
	scratch_store_b64 off, v[3:4], off offset:384
	s_wait_loadcnt 0x0
	ds_store_b64 v163, v[1:2]
.LBB127_301:
	s_wait_alu 0xfffe
	s_or_b32 exec_lo, exec_lo, s0
	s_wait_storecnt_dscnt 0x0
	s_barrier_signal -1
	s_barrier_wait -1
	global_inv scope:SCOPE_SE
	s_clause 0x8
	scratch_load_b128 v[2:5], off, off offset:392
	scratch_load_b128 v[6:9], off, off offset:408
	;; [unrolled: 1-line block ×7, first 2 shown]
	scratch_load_b64 v[30:31], off, off offset:504
	scratch_load_b64 v[161:162], off, off offset:384
	v_mov_b32_e32 v1, 0
	ds_load_2addr_b64 v[164:167], v1 offset0:113 offset1:114
	ds_load_2addr_b64 v[168:171], v1 offset0:115 offset1:116
	;; [unrolled: 1-line block ×7, first 2 shown]
	ds_load_b64 v[192:193], v1 offset:1016
	s_mov_b32 s0, exec_lo
	s_wait_loadcnt_dscnt 0x807
	v_mul_f32_e32 v32, v164, v3
	v_dual_mul_f32 v3, v165, v3 :: v_dual_mul_f32 v194, v166, v5
	s_wait_loadcnt_dscnt 0x706
	v_mul_f32_e32 v195, v168, v7
	v_mul_f32_e32 v5, v167, v5
	s_wait_loadcnt_dscnt 0x302
	v_mul_f32_e32 v204, v186, v25
	v_fma_f32 v3, v164, v2, -v3
	s_wait_loadcnt_dscnt 0x100
	v_dual_mul_f32 v207, v192, v31 :: v_dual_fmac_f32 v32, v165, v2
	v_mul_f32_e32 v2, v169, v7
	s_delay_alu instid0(VALU_DEP_3) | instskip(SKIP_2) | instid1(VALU_DEP_4)
	v_dual_fmac_f32 v194, v167, v4 :: v_dual_add_f32 v3, 0, v3
	v_fma_f32 v4, v166, v4, -v5
	v_dual_mul_f32 v196, v170, v9 :: v_dual_mul_f32 v197, v172, v11
	v_fma_f32 v2, v168, v6, -v2
	v_fmac_f32_e32 v195, v169, v6
	s_delay_alu instid0(VALU_DEP_4) | instskip(SKIP_2) | instid1(VALU_DEP_3)
	v_add_f32_e32 v3, v3, v4
	v_dual_add_f32 v5, 0, v32 :: v_dual_mul_f32 v198, v174, v13
	v_dual_mul_f32 v199, v176, v15 :: v_dual_fmac_f32 v196, v171, v8
	v_add_f32_e32 v2, v3, v2
	s_delay_alu instid0(VALU_DEP_3) | instskip(NEXT) | instid1(VALU_DEP_4)
	v_dual_mul_f32 v7, v171, v9 :: v_dual_add_f32 v4, v5, v194
	v_dual_mul_f32 v5, v173, v11 :: v_dual_fmac_f32 v198, v175, v12
	v_dual_mul_f32 v200, v178, v17 :: v_dual_mul_f32 v201, v180, v19
	s_delay_alu instid0(VALU_DEP_3) | instskip(NEXT) | instid1(VALU_DEP_4)
	v_fma_f32 v6, v170, v8, -v7
	v_dual_add_f32 v3, v4, v195 :: v_dual_mul_f32 v4, v175, v13
	s_delay_alu instid0(VALU_DEP_4) | instskip(NEXT) | instid1(VALU_DEP_4)
	v_fma_f32 v5, v172, v10, -v5
	v_dual_fmac_f32 v199, v177, v14 :: v_dual_fmac_f32 v200, v179, v16
	s_delay_alu instid0(VALU_DEP_4) | instskip(SKIP_3) | instid1(VALU_DEP_4)
	v_add_f32_e32 v2, v2, v6
	v_fmac_f32_e32 v197, v173, v10
	v_dual_add_f32 v3, v3, v196 :: v_dual_mul_f32 v6, v177, v15
	v_fma_f32 v4, v174, v12, -v4
	v_add_f32_e32 v2, v2, v5
	v_mul_f32_e32 v5, v179, v17
	s_delay_alu instid0(VALU_DEP_4)
	v_add_f32_e32 v3, v3, v197
	v_fma_f32 v6, v176, v14, -v6
	v_dual_mul_f32 v202, v182, v21 :: v_dual_mul_f32 v203, v184, v23
	v_add_f32_e32 v2, v2, v4
	v_mul_f32_e32 v4, v181, v19
	v_fma_f32 v5, v178, v16, -v5
	v_fmac_f32_e32 v201, v181, v18
	v_dual_mul_f32 v205, v188, v27 :: v_dual_mul_f32 v206, v190, v29
	v_add_f32_e32 v2, v2, v6
	v_add_f32_e32 v3, v3, v198
	v_mul_f32_e32 v6, v183, v21
	v_fma_f32 v4, v180, v18, -v4
	v_fmac_f32_e32 v202, v183, v20
	s_delay_alu instid0(VALU_DEP_4) | instskip(NEXT) | instid1(VALU_DEP_4)
	v_dual_add_f32 v2, v2, v5 :: v_dual_add_f32 v3, v3, v199
	v_fma_f32 v6, v182, v20, -v6
	v_mul_f32_e32 v5, v185, v23
	s_delay_alu instid0(VALU_DEP_3) | instskip(NEXT) | instid1(VALU_DEP_4)
	v_dual_fmac_f32 v203, v185, v22 :: v_dual_add_f32 v2, v2, v4
	v_add_f32_e32 v3, v3, v200
	v_mul_f32_e32 v4, v187, v25
	s_delay_alu instid0(VALU_DEP_4) | instskip(SKIP_1) | instid1(VALU_DEP_4)
	v_fma_f32 v5, v184, v22, -v5
	v_dual_fmac_f32 v204, v187, v24 :: v_dual_fmac_f32 v205, v189, v26
	v_dual_add_f32 v2, v2, v6 :: v_dual_add_f32 v3, v3, v201
	v_mul_f32_e32 v6, v189, v27
	v_fma_f32 v4, v186, v24, -v4
	v_dual_fmac_f32 v206, v191, v28 :: v_dual_fmac_f32 v207, v193, v30
	s_delay_alu instid0(VALU_DEP_4) | instskip(NEXT) | instid1(VALU_DEP_4)
	v_dual_add_f32 v3, v3, v202 :: v_dual_add_f32 v2, v2, v5
	v_fma_f32 v6, v188, v26, -v6
	s_delay_alu instid0(VALU_DEP_2) | instskip(NEXT) | instid1(VALU_DEP_3)
	v_add_f32_e32 v3, v3, v203
	v_dual_mul_f32 v5, v191, v29 :: v_dual_add_f32 v2, v2, v4
	s_delay_alu instid0(VALU_DEP_2) | instskip(NEXT) | instid1(VALU_DEP_2)
	v_dual_mul_f32 v4, v193, v31 :: v_dual_add_f32 v3, v3, v204
	v_fma_f32 v5, v190, v28, -v5
	s_delay_alu instid0(VALU_DEP_3) | instskip(NEXT) | instid1(VALU_DEP_3)
	v_add_f32_e32 v2, v2, v6
	v_fma_f32 v4, v192, v30, -v4
	s_delay_alu instid0(VALU_DEP_4) | instskip(NEXT) | instid1(VALU_DEP_1)
	v_add_f32_e32 v3, v3, v205
	v_dual_add_f32 v2, v2, v5 :: v_dual_add_f32 v3, v3, v206
	s_delay_alu instid0(VALU_DEP_1) | instskip(SKIP_1) | instid1(VALU_DEP_1)
	v_dual_add_f32 v2, v2, v4 :: v_dual_add_f32 v3, v3, v207
	s_wait_loadcnt 0x0
	v_dual_sub_f32 v2, v161, v2 :: v_dual_sub_f32 v3, v162, v3
	scratch_store_b64 off, v[2:3], off offset:384
	v_cmpx_lt_u32_e32 47, v0
	s_cbranch_execz .LBB127_303
; %bb.302:
	scratch_load_b64 v[3:4], off, off offset:376
	v_mov_b32_e32 v2, v1
	scratch_store_b64 off, v[1:2], off offset:376
	s_wait_loadcnt 0x0
	ds_store_b64 v163, v[3:4]
.LBB127_303:
	s_wait_alu 0xfffe
	s_or_b32 exec_lo, exec_lo, s0
	s_wait_storecnt_dscnt 0x0
	s_barrier_signal -1
	s_barrier_wait -1
	global_inv scope:SCOPE_SE
	s_clause 0x8
	scratch_load_b128 v[2:5], off, off offset:384
	scratch_load_b128 v[6:9], off, off offset:400
	;; [unrolled: 1-line block ×8, first 2 shown]
	scratch_load_b64 v[30:31], off, off offset:376
	ds_load_b128 v[168:171], v1 offset:896
	ds_load_b128 v[172:175], v1 offset:912
	;; [unrolled: 1-line block ×8, first 2 shown]
	s_mov_b32 s0, exec_lo
	s_wait_loadcnt_dscnt 0x807
	v_dual_mul_f32 v1, v168, v3 :: v_dual_mul_f32 v32, v170, v5
	v_mul_f32_e32 v3, v169, v3
	v_mul_f32_e32 v5, v171, v5
	s_wait_loadcnt_dscnt 0x706
	v_dual_mul_f32 v161, v172, v7 :: v_dual_mul_f32 v162, v174, v9
	s_wait_loadcnt_dscnt 0x605
	v_dual_mul_f32 v200, v176, v11 :: v_dual_mul_f32 v201, v178, v13
	s_wait_loadcnt_dscnt 0x100
	v_mul_f32_e32 v210, v196, v165
	v_fma_f32 v3, v168, v2, -v3
	v_dual_mul_f32 v211, v198, v167 :: v_dual_fmac_f32 v32, v171, v4
	v_dual_fmac_f32 v1, v169, v2 :: v_dual_fmac_f32 v162, v175, v8
	v_mul_f32_e32 v2, v173, v7
	v_fma_f32 v4, v170, v4, -v5
	v_dual_add_f32 v3, 0, v3 :: v_dual_fmac_f32 v200, v177, v10
	v_dual_mul_f32 v202, v180, v15 :: v_dual_mul_f32 v203, v182, v17
	v_add_f32_e32 v1, 0, v1
	s_delay_alu instid0(VALU_DEP_3) | instskip(SKIP_1) | instid1(VALU_DEP_4)
	v_dual_add_f32 v3, v3, v4 :: v_dual_mul_f32 v4, v177, v11
	v_fma_f32 v2, v172, v6, -v2
	v_fmac_f32_e32 v202, v181, v14
	s_delay_alu instid0(VALU_DEP_4)
	v_dual_add_f32 v1, v1, v32 :: v_dual_mul_f32 v204, v184, v19
	v_mul_f32_e32 v205, v186, v21
	v_fma_f32 v4, v176, v10, -v4
	v_mul_f32_e32 v5, v175, v9
	v_add_f32_e32 v2, v3, v2
	v_dual_mul_f32 v3, v179, v13 :: v_dual_fmac_f32 v204, v185, v18
	v_dual_mul_f32 v206, v188, v23 :: v_dual_mul_f32 v207, v190, v25
	s_delay_alu instid0(VALU_DEP_4) | instskip(SKIP_1) | instid1(VALU_DEP_4)
	v_fma_f32 v5, v174, v8, -v5
	v_fmac_f32_e32 v161, v173, v6
	v_fma_f32 v3, v178, v12, -v3
	v_dual_fmac_f32 v203, v183, v16 :: v_dual_mul_f32 v208, v192, v27
	v_mul_f32_e32 v209, v194, v29
	v_dual_add_f32 v2, v2, v5 :: v_dual_fmac_f32 v205, v187, v20
	v_fmac_f32_e32 v211, v199, v166
	s_delay_alu instid0(VALU_DEP_3) | instskip(NEXT) | instid1(VALU_DEP_3)
	v_dual_fmac_f32 v208, v193, v26 :: v_dual_fmac_f32 v209, v195, v28
	v_dual_add_f32 v2, v2, v4 :: v_dual_add_f32 v1, v1, v161
	v_mul_f32_e32 v4, v183, v17
	v_fmac_f32_e32 v206, v189, v22
	v_fmac_f32_e32 v210, v197, v164
	s_delay_alu instid0(VALU_DEP_4) | instskip(NEXT) | instid1(VALU_DEP_4)
	v_dual_add_f32 v2, v2, v3 :: v_dual_add_f32 v1, v1, v162
	v_fma_f32 v4, v182, v16, -v4
	v_mul_f32_e32 v5, v181, v15
	s_delay_alu instid0(VALU_DEP_1) | instskip(NEXT) | instid1(VALU_DEP_1)
	v_fma_f32 v5, v180, v14, -v5
	v_dual_fmac_f32 v201, v179, v12 :: v_dual_add_f32 v2, v2, v5
	s_delay_alu instid0(VALU_DEP_1) | instskip(NEXT) | instid1(VALU_DEP_1)
	v_dual_mul_f32 v5, v187, v21 :: v_dual_add_f32 v2, v2, v4
	v_fma_f32 v5, v186, v20, -v5
	v_mul_f32_e32 v3, v185, v19
	v_mul_f32_e32 v4, v189, v23
	s_delay_alu instid0(VALU_DEP_2) | instskip(SKIP_1) | instid1(VALU_DEP_3)
	v_fma_f32 v3, v184, v18, -v3
	v_add_f32_e32 v1, v1, v200
	v_fma_f32 v4, v188, v22, -v4
	s_delay_alu instid0(VALU_DEP_3) | instskip(NEXT) | instid1(VALU_DEP_1)
	v_dual_add_f32 v2, v2, v3 :: v_dual_mul_f32 v3, v191, v25
	v_add_f32_e32 v2, v2, v5
	s_delay_alu instid0(VALU_DEP_4) | instskip(NEXT) | instid1(VALU_DEP_3)
	v_add_f32_e32 v1, v1, v201
	v_fma_f32 v3, v190, v24, -v3
	s_delay_alu instid0(VALU_DEP_2) | instskip(SKIP_1) | instid1(VALU_DEP_2)
	v_dual_add_f32 v2, v2, v4 :: v_dual_add_f32 v1, v1, v202
	v_mul_f32_e32 v4, v195, v29
	v_dual_fmac_f32 v207, v191, v24 :: v_dual_add_f32 v2, v2, v3
	v_mul_f32_e32 v3, v197, v165
	s_delay_alu instid0(VALU_DEP_3) | instskip(SKIP_1) | instid1(VALU_DEP_3)
	v_fma_f32 v4, v194, v28, -v4
	v_mul_f32_e32 v5, v193, v27
	v_fma_f32 v3, v196, v164, -v3
	s_delay_alu instid0(VALU_DEP_2) | instskip(NEXT) | instid1(VALU_DEP_1)
	v_fma_f32 v5, v192, v26, -v5
	v_dual_add_f32 v1, v1, v203 :: v_dual_add_f32 v2, v2, v5
	s_delay_alu instid0(VALU_DEP_1) | instskip(NEXT) | instid1(VALU_DEP_2)
	v_dual_mul_f32 v5, v199, v167 :: v_dual_add_f32 v2, v2, v4
	v_add_f32_e32 v1, v1, v204
	s_delay_alu instid0(VALU_DEP_2) | instskip(NEXT) | instid1(VALU_DEP_2)
	v_fma_f32 v4, v198, v166, -v5
	v_dual_add_f32 v2, v2, v3 :: v_dual_add_f32 v1, v1, v205
	s_delay_alu instid0(VALU_DEP_1) | instskip(NEXT) | instid1(VALU_DEP_1)
	v_dual_add_f32 v2, v2, v4 :: v_dual_add_f32 v1, v1, v206
	v_add_f32_e32 v1, v1, v207
	s_delay_alu instid0(VALU_DEP_1) | instskip(NEXT) | instid1(VALU_DEP_1)
	v_add_f32_e32 v1, v1, v208
	v_add_f32_e32 v1, v1, v209
	s_delay_alu instid0(VALU_DEP_1) | instskip(NEXT) | instid1(VALU_DEP_1)
	v_add_f32_e32 v1, v1, v210
	v_add_f32_e32 v3, v1, v211
	s_wait_loadcnt 0x0
	s_delay_alu instid0(VALU_DEP_1)
	v_dual_sub_f32 v1, v30, v2 :: v_dual_sub_f32 v2, v31, v3
	scratch_store_b64 off, v[1:2], off offset:376
	v_cmpx_lt_u32_e32 46, v0
	s_cbranch_execz .LBB127_305
; %bb.304:
	scratch_load_b64 v[1:2], off, off offset:368
	v_mov_b32_e32 v3, 0
	s_delay_alu instid0(VALU_DEP_1)
	v_mov_b32_e32 v4, v3
	scratch_store_b64 off, v[3:4], off offset:368
	s_wait_loadcnt 0x0
	ds_store_b64 v163, v[1:2]
.LBB127_305:
	s_wait_alu 0xfffe
	s_or_b32 exec_lo, exec_lo, s0
	s_wait_storecnt_dscnt 0x0
	s_barrier_signal -1
	s_barrier_wait -1
	global_inv scope:SCOPE_SE
	s_clause 0x9
	scratch_load_b128 v[2:5], off, off offset:376
	scratch_load_b128 v[6:9], off, off offset:392
	;; [unrolled: 1-line block ×8, first 2 shown]
	scratch_load_b64 v[30:31], off, off offset:504
	scratch_load_b64 v[161:162], off, off offset:368
	v_mov_b32_e32 v1, 0
	ds_load_2addr_b64 v[168:171], v1 offset0:111 offset1:112
	ds_load_2addr_b64 v[172:175], v1 offset0:113 offset1:114
	;; [unrolled: 1-line block ×8, first 2 shown]
	ds_load_b64 v[200:201], v1 offset:1016
	s_mov_b32 s0, exec_lo
	s_wait_loadcnt_dscnt 0x908
	v_mul_f32_e32 v32, v168, v3
	s_wait_loadcnt_dscnt 0x807
	v_dual_mul_f32 v202, v170, v5 :: v_dual_mul_f32 v203, v172, v7
	v_mul_f32_e32 v3, v169, v3
	s_delay_alu instid0(VALU_DEP_3)
	v_dual_mul_f32 v5, v171, v5 :: v_dual_fmac_f32 v32, v169, v2
	s_wait_loadcnt_dscnt 0x302
	v_mul_f32_e32 v214, v194, v29
	v_dual_mul_f32 v204, v174, v9 :: v_dual_mul_f32 v205, v176, v11
	v_fma_f32 v3, v168, v2, -v3
	s_wait_loadcnt_dscnt 0x100
	v_mul_f32_e32 v217, v200, v31
	v_mul_f32_e32 v2, v173, v7
	v_fmac_f32_e32 v202, v171, v4
	v_fma_f32 v4, v170, v4, -v5
	v_add_f32_e32 v3, 0, v3
	v_dual_fmac_f32 v203, v173, v6 :: v_dual_fmac_f32 v204, v175, v8
	v_fma_f32 v2, v172, v6, -v2
	v_dual_mul_f32 v206, v178, v13 :: v_dual_mul_f32 v207, v180, v15
	s_delay_alu instid0(VALU_DEP_4) | instskip(SKIP_2) | instid1(VALU_DEP_4)
	v_add_f32_e32 v3, v3, v4
	v_dual_add_f32 v5, 0, v32 :: v_dual_mul_f32 v208, v182, v17
	v_mul_f32_e32 v209, v184, v19
	v_fmac_f32_e32 v207, v181, v14
	s_delay_alu instid0(VALU_DEP_4) | instskip(NEXT) | instid1(VALU_DEP_4)
	v_add_f32_e32 v2, v3, v2
	v_dual_mul_f32 v7, v175, v9 :: v_dual_add_f32 v4, v5, v202
	v_dual_mul_f32 v5, v177, v11 :: v_dual_fmac_f32 v206, v179, v12
	v_fmac_f32_e32 v208, v183, v16
	s_delay_alu instid0(VALU_DEP_3) | instskip(NEXT) | instid1(VALU_DEP_4)
	v_fma_f32 v6, v174, v8, -v7
	v_dual_add_f32 v3, v4, v203 :: v_dual_mul_f32 v4, v179, v13
	s_delay_alu instid0(VALU_DEP_4) | instskip(SKIP_1) | instid1(VALU_DEP_4)
	v_fma_f32 v5, v176, v10, -v5
	v_dual_mul_f32 v210, v186, v21 :: v_dual_mul_f32 v211, v188, v23
	v_add_f32_e32 v2, v2, v6
	v_fmac_f32_e32 v205, v177, v10
	v_dual_add_f32 v3, v3, v204 :: v_dual_mul_f32 v6, v181, v15
	v_fma_f32 v4, v178, v12, -v4
	s_delay_alu instid0(VALU_DEP_4) | instskip(SKIP_1) | instid1(VALU_DEP_4)
	v_add_f32_e32 v2, v2, v5
	v_mul_f32_e32 v5, v183, v17
	v_add_f32_e32 v3, v3, v205
	v_fma_f32 v6, v180, v14, -v6
	v_dual_mul_f32 v212, v190, v25 :: v_dual_mul_f32 v213, v192, v27
	v_add_f32_e32 v2, v2, v4
	v_mul_f32_e32 v4, v185, v19
	v_fma_f32 v5, v182, v16, -v5
	v_dual_fmac_f32 v209, v185, v18 :: v_dual_fmac_f32 v210, v187, v20
	s_delay_alu instid0(VALU_DEP_4) | instskip(SKIP_3) | instid1(VALU_DEP_4)
	v_add_f32_e32 v2, v2, v6
	v_add_f32_e32 v3, v3, v206
	v_mul_f32_e32 v6, v187, v21
	v_fma_f32 v4, v184, v18, -v4
	v_dual_fmac_f32 v211, v189, v22 :: v_dual_add_f32 v2, v2, v5
	s_delay_alu instid0(VALU_DEP_4) | instskip(NEXT) | instid1(VALU_DEP_4)
	v_add_f32_e32 v3, v3, v207
	v_fma_f32 v6, v186, v20, -v6
	v_dual_mul_f32 v5, v189, v23 :: v_dual_fmac_f32 v212, v191, v24
	s_delay_alu instid0(VALU_DEP_4) | instskip(NEXT) | instid1(VALU_DEP_4)
	v_dual_fmac_f32 v213, v193, v26 :: v_dual_add_f32 v2, v2, v4
	v_add_f32_e32 v3, v3, v208
	v_mul_f32_e32 v4, v191, v25
	s_delay_alu instid0(VALU_DEP_4) | instskip(SKIP_1) | instid1(VALU_DEP_4)
	v_fma_f32 v5, v188, v22, -v5
	v_dual_mul_f32 v215, v196, v165 :: v_dual_mul_f32 v216, v198, v167
	v_dual_add_f32 v2, v2, v6 :: v_dual_add_f32 v3, v3, v209
	v_mul_f32_e32 v6, v193, v27
	v_fma_f32 v4, v190, v24, -v4
	v_fmac_f32_e32 v214, v195, v28
	v_fmac_f32_e32 v216, v199, v166
	v_dual_add_f32 v3, v3, v210 :: v_dual_add_f32 v2, v2, v5
	v_fma_f32 v6, v192, v26, -v6
	v_fmac_f32_e32 v215, v197, v164
	s_delay_alu instid0(VALU_DEP_3) | instskip(NEXT) | instid1(VALU_DEP_4)
	v_add_f32_e32 v3, v3, v211
	v_dual_mul_f32 v5, v195, v29 :: v_dual_add_f32 v2, v2, v4
	s_delay_alu instid0(VALU_DEP_2) | instskip(NEXT) | instid1(VALU_DEP_2)
	v_dual_mul_f32 v4, v197, v165 :: v_dual_add_f32 v3, v3, v212
	v_fma_f32 v5, v194, v28, -v5
	s_delay_alu instid0(VALU_DEP_3) | instskip(SKIP_1) | instid1(VALU_DEP_4)
	v_add_f32_e32 v2, v2, v6
	v_mul_f32_e32 v6, v199, v167
	v_fma_f32 v4, v196, v164, -v4
	v_add_f32_e32 v3, v3, v213
	s_delay_alu instid0(VALU_DEP_4) | instskip(NEXT) | instid1(VALU_DEP_4)
	v_dual_add_f32 v2, v2, v5 :: v_dual_mul_f32 v5, v201, v31
	v_fma_f32 v6, v198, v166, -v6
	s_delay_alu instid0(VALU_DEP_2) | instskip(NEXT) | instid1(VALU_DEP_3)
	v_dual_add_f32 v3, v3, v214 :: v_dual_add_f32 v2, v2, v4
	v_fma_f32 v4, v200, v30, -v5
	s_delay_alu instid0(VALU_DEP_2) | instskip(NEXT) | instid1(VALU_DEP_1)
	v_dual_add_f32 v3, v3, v215 :: v_dual_add_f32 v2, v2, v6
	v_add_f32_e32 v3, v3, v216
	s_delay_alu instid0(VALU_DEP_2) | instskip(SKIP_1) | instid1(VALU_DEP_1)
	v_dual_fmac_f32 v217, v201, v30 :: v_dual_add_f32 v2, v2, v4
	s_wait_loadcnt 0x0
	v_dual_add_f32 v3, v3, v217 :: v_dual_sub_f32 v2, v161, v2
	s_delay_alu instid0(VALU_DEP_1)
	v_sub_f32_e32 v3, v162, v3
	scratch_store_b64 off, v[2:3], off offset:368
	v_cmpx_lt_u32_e32 45, v0
	s_cbranch_execz .LBB127_307
; %bb.306:
	scratch_load_b64 v[3:4], off, off offset:360
	v_mov_b32_e32 v2, v1
	scratch_store_b64 off, v[1:2], off offset:360
	s_wait_loadcnt 0x0
	ds_store_b64 v163, v[3:4]
.LBB127_307:
	s_wait_alu 0xfffe
	s_or_b32 exec_lo, exec_lo, s0
	s_wait_storecnt_dscnt 0x0
	s_barrier_signal -1
	s_barrier_wait -1
	global_inv scope:SCOPE_SE
	s_clause 0x9
	scratch_load_b128 v[2:5], off, off offset:368
	scratch_load_b128 v[6:9], off, off offset:384
	;; [unrolled: 1-line block ×9, first 2 shown]
	scratch_load_b64 v[30:31], off, off offset:360
	ds_load_b128 v[172:175], v1 offset:880
	ds_load_b128 v[176:179], v1 offset:896
	;; [unrolled: 1-line block ×9, first 2 shown]
	s_mov_b32 s0, exec_lo
	s_wait_loadcnt_dscnt 0x908
	v_dual_mul_f32 v1, v172, v3 :: v_dual_mul_f32 v32, v174, v5
	v_mul_f32_e32 v5, v175, v5
	v_mul_f32_e32 v3, v173, v3
	s_wait_loadcnt_dscnt 0x807
	v_dual_mul_f32 v161, v176, v7 :: v_dual_mul_f32 v162, v178, v9
	s_wait_loadcnt_dscnt 0x706
	v_dual_mul_f32 v208, v180, v11 :: v_dual_mul_f32 v209, v182, v13
	s_wait_loadcnt_dscnt 0x201
	v_mul_f32_e32 v218, v200, v165
	v_fma_f32 v3, v172, v2, -v3
	s_wait_loadcnt_dscnt 0x100
	v_dual_mul_f32 v221, v206, v171 :: v_dual_fmac_f32 v32, v175, v4
	v_dual_fmac_f32 v1, v173, v2 :: v_dual_fmac_f32 v162, v179, v8
	v_mul_f32_e32 v2, v177, v7
	v_fma_f32 v4, v174, v4, -v5
	v_dual_add_f32 v3, 0, v3 :: v_dual_fmac_f32 v208, v181, v10
	v_dual_mul_f32 v210, v184, v15 :: v_dual_mul_f32 v211, v186, v17
	v_add_f32_e32 v1, 0, v1
	s_delay_alu instid0(VALU_DEP_3) | instskip(SKIP_1) | instid1(VALU_DEP_4)
	v_dual_add_f32 v3, v3, v4 :: v_dual_mul_f32 v4, v181, v11
	v_fma_f32 v2, v176, v6, -v2
	v_fmac_f32_e32 v210, v185, v14
	s_delay_alu instid0(VALU_DEP_4)
	v_dual_add_f32 v1, v1, v32 :: v_dual_mul_f32 v212, v188, v19
	v_mul_f32_e32 v213, v190, v21
	v_fma_f32 v4, v180, v10, -v4
	v_mul_f32_e32 v5, v179, v9
	v_add_f32_e32 v2, v3, v2
	v_dual_mul_f32 v3, v183, v13 :: v_dual_fmac_f32 v212, v189, v18
	v_dual_mul_f32 v214, v192, v23 :: v_dual_mul_f32 v215, v194, v25
	s_delay_alu instid0(VALU_DEP_4) | instskip(SKIP_1) | instid1(VALU_DEP_4)
	v_fma_f32 v5, v178, v8, -v5
	v_fmac_f32_e32 v161, v177, v6
	v_fma_f32 v3, v182, v12, -v3
	v_dual_fmac_f32 v211, v187, v16 :: v_dual_mul_f32 v216, v196, v27
	v_mul_f32_e32 v217, v198, v29
	v_add_f32_e32 v2, v2, v5
	v_dual_mul_f32 v219, v202, v167 :: v_dual_mul_f32 v220, v204, v169
	s_delay_alu instid0(VALU_DEP_4) | instskip(NEXT) | instid1(VALU_DEP_3)
	v_dual_fmac_f32 v213, v191, v20 :: v_dual_fmac_f32 v216, v197, v26
	v_dual_add_f32 v2, v2, v4 :: v_dual_add_f32 v1, v1, v161
	v_mul_f32_e32 v4, v187, v17
	v_fmac_f32_e32 v217, v199, v28
	s_delay_alu instid0(VALU_DEP_3) | instskip(NEXT) | instid1(VALU_DEP_4)
	v_dual_fmac_f32 v221, v207, v170 :: v_dual_add_f32 v2, v2, v3
	v_add_f32_e32 v1, v1, v162
	s_delay_alu instid0(VALU_DEP_4) | instskip(SKIP_4) | instid1(VALU_DEP_4)
	v_fma_f32 v4, v186, v16, -v4
	v_mul_f32_e32 v5, v185, v15
	v_fmac_f32_e32 v214, v193, v22
	v_fmac_f32_e32 v218, v201, v164
	;; [unrolled: 1-line block ×3, first 2 shown]
	v_fma_f32 v5, v184, v14, -v5
	s_delay_alu instid0(VALU_DEP_1) | instskip(NEXT) | instid1(VALU_DEP_1)
	v_dual_fmac_f32 v209, v183, v12 :: v_dual_add_f32 v2, v2, v5
	v_dual_mul_f32 v5, v191, v21 :: v_dual_add_f32 v2, v2, v4
	s_delay_alu instid0(VALU_DEP_1) | instskip(SKIP_2) | instid1(VALU_DEP_2)
	v_fma_f32 v5, v190, v20, -v5
	v_mul_f32_e32 v3, v189, v19
	v_mul_f32_e32 v4, v193, v23
	v_fma_f32 v3, v188, v18, -v3
	v_add_f32_e32 v1, v1, v208
	s_delay_alu instid0(VALU_DEP_3) | instskip(NEXT) | instid1(VALU_DEP_3)
	v_fma_f32 v4, v192, v22, -v4
	v_dual_add_f32 v2, v2, v3 :: v_dual_mul_f32 v3, v195, v25
	s_delay_alu instid0(VALU_DEP_1) | instskip(NEXT) | instid1(VALU_DEP_4)
	v_add_f32_e32 v2, v2, v5
	v_add_f32_e32 v1, v1, v209
	s_delay_alu instid0(VALU_DEP_3) | instskip(NEXT) | instid1(VALU_DEP_2)
	v_fma_f32 v3, v194, v24, -v3
	v_dual_add_f32 v2, v2, v4 :: v_dual_add_f32 v1, v1, v210
	v_mul_f32_e32 v4, v199, v29
	s_delay_alu instid0(VALU_DEP_2) | instskip(SKIP_1) | instid1(VALU_DEP_3)
	v_dual_fmac_f32 v215, v195, v24 :: v_dual_add_f32 v2, v2, v3
	v_mul_f32_e32 v3, v201, v165
	v_fma_f32 v4, v198, v28, -v4
	v_mul_f32_e32 v5, v197, v27
	s_delay_alu instid0(VALU_DEP_3) | instskip(NEXT) | instid1(VALU_DEP_2)
	v_fma_f32 v3, v200, v164, -v3
	v_fma_f32 v5, v196, v26, -v5
	s_delay_alu instid0(VALU_DEP_1) | instskip(NEXT) | instid1(VALU_DEP_1)
	v_dual_add_f32 v1, v1, v211 :: v_dual_add_f32 v2, v2, v5
	v_dual_mul_f32 v5, v203, v167 :: v_dual_add_f32 v2, v2, v4
	s_delay_alu instid0(VALU_DEP_2) | instskip(SKIP_1) | instid1(VALU_DEP_3)
	v_add_f32_e32 v1, v1, v212
	v_mul_f32_e32 v4, v205, v169
	v_fma_f32 v5, v202, v166, -v5
	s_delay_alu instid0(VALU_DEP_4) | instskip(SKIP_1) | instid1(VALU_DEP_4)
	v_dual_add_f32 v2, v2, v3 :: v_dual_fmac_f32 v219, v203, v166
	v_mul_f32_e32 v3, v207, v171
	v_fma_f32 v4, v204, v168, -v4
	s_delay_alu instid0(VALU_DEP_3) | instskip(SKIP_1) | instid1(VALU_DEP_4)
	v_add_f32_e32 v2, v2, v5
	v_add_f32_e32 v1, v1, v213
	v_fma_f32 v3, v206, v170, -v3
	s_delay_alu instid0(VALU_DEP_2) | instskip(NEXT) | instid1(VALU_DEP_1)
	v_dual_add_f32 v2, v2, v4 :: v_dual_add_f32 v1, v1, v214
	v_add_f32_e32 v2, v2, v3
	s_delay_alu instid0(VALU_DEP_2) | instskip(NEXT) | instid1(VALU_DEP_1)
	v_add_f32_e32 v1, v1, v215
	v_add_f32_e32 v1, v1, v216
	s_delay_alu instid0(VALU_DEP_1) | instskip(NEXT) | instid1(VALU_DEP_1)
	v_add_f32_e32 v1, v1, v217
	v_add_f32_e32 v1, v1, v218
	s_delay_alu instid0(VALU_DEP_1) | instskip(NEXT) | instid1(VALU_DEP_1)
	v_add_f32_e32 v1, v1, v219
	v_add_f32_e32 v1, v1, v220
	s_delay_alu instid0(VALU_DEP_1) | instskip(SKIP_1) | instid1(VALU_DEP_1)
	v_add_f32_e32 v3, v1, v221
	s_wait_loadcnt 0x0
	v_dual_sub_f32 v1, v30, v2 :: v_dual_sub_f32 v2, v31, v3
	scratch_store_b64 off, v[1:2], off offset:360
	v_cmpx_lt_u32_e32 44, v0
	s_cbranch_execz .LBB127_309
; %bb.308:
	scratch_load_b64 v[1:2], off, off offset:352
	v_mov_b32_e32 v3, 0
	s_delay_alu instid0(VALU_DEP_1)
	v_mov_b32_e32 v4, v3
	scratch_store_b64 off, v[3:4], off offset:352
	s_wait_loadcnt 0x0
	ds_store_b64 v163, v[1:2]
.LBB127_309:
	s_wait_alu 0xfffe
	s_or_b32 exec_lo, exec_lo, s0
	s_wait_storecnt_dscnt 0x0
	s_barrier_signal -1
	s_barrier_wait -1
	global_inv scope:SCOPE_SE
	s_clause 0xa
	scratch_load_b128 v[2:5], off, off offset:360
	scratch_load_b128 v[6:9], off, off offset:376
	;; [unrolled: 1-line block ×9, first 2 shown]
	scratch_load_b64 v[30:31], off, off offset:504
	scratch_load_b64 v[161:162], off, off offset:352
	v_mov_b32_e32 v1, 0
	ds_load_2addr_b64 v[172:175], v1 offset0:109 offset1:110
	ds_load_2addr_b64 v[176:179], v1 offset0:111 offset1:112
	;; [unrolled: 1-line block ×9, first 2 shown]
	ds_load_b64 v[208:209], v1 offset:1016
	s_mov_b32 s0, exec_lo
	s_wait_loadcnt_dscnt 0xa09
	v_mul_f32_e32 v32, v172, v3
	s_wait_loadcnt_dscnt 0x908
	v_dual_mul_f32 v210, v174, v5 :: v_dual_mul_f32 v211, v176, v7
	v_mul_f32_e32 v3, v173, v3
	s_delay_alu instid0(VALU_DEP_3)
	v_dual_mul_f32 v5, v175, v5 :: v_dual_fmac_f32 v32, v173, v2
	s_wait_loadcnt_dscnt 0x403
	v_mul_f32_e32 v222, v198, v29
	v_dual_mul_f32 v212, v178, v9 :: v_dual_mul_f32 v213, v180, v11
	v_fma_f32 v3, v172, v2, -v3
	s_wait_loadcnt_dscnt 0x100
	v_mul_f32_e32 v227, v208, v31
	v_mul_f32_e32 v2, v177, v7
	v_fmac_f32_e32 v210, v175, v4
	v_fma_f32 v4, v174, v4, -v5
	v_add_f32_e32 v3, 0, v3
	v_dual_fmac_f32 v211, v177, v6 :: v_dual_fmac_f32 v212, v179, v8
	v_fma_f32 v2, v176, v6, -v2
	v_dual_mul_f32 v214, v182, v13 :: v_dual_mul_f32 v215, v184, v15
	s_delay_alu instid0(VALU_DEP_4) | instskip(SKIP_2) | instid1(VALU_DEP_4)
	v_add_f32_e32 v3, v3, v4
	v_dual_add_f32 v5, 0, v32 :: v_dual_mul_f32 v216, v186, v17
	v_mul_f32_e32 v217, v188, v19
	v_fmac_f32_e32 v215, v185, v14
	s_delay_alu instid0(VALU_DEP_4) | instskip(NEXT) | instid1(VALU_DEP_4)
	v_add_f32_e32 v2, v3, v2
	v_dual_mul_f32 v7, v179, v9 :: v_dual_add_f32 v4, v5, v210
	v_dual_mul_f32 v5, v181, v11 :: v_dual_fmac_f32 v214, v183, v12
	v_fmac_f32_e32 v216, v187, v16
	s_delay_alu instid0(VALU_DEP_3) | instskip(NEXT) | instid1(VALU_DEP_4)
	v_fma_f32 v6, v178, v8, -v7
	v_dual_add_f32 v3, v4, v211 :: v_dual_mul_f32 v4, v183, v13
	s_delay_alu instid0(VALU_DEP_4) | instskip(SKIP_1) | instid1(VALU_DEP_4)
	v_fma_f32 v5, v180, v10, -v5
	v_dual_mul_f32 v218, v190, v21 :: v_dual_mul_f32 v219, v192, v23
	v_add_f32_e32 v2, v2, v6
	v_fmac_f32_e32 v213, v181, v10
	v_dual_add_f32 v3, v3, v212 :: v_dual_mul_f32 v6, v185, v15
	v_fma_f32 v4, v182, v12, -v4
	s_delay_alu instid0(VALU_DEP_4) | instskip(SKIP_1) | instid1(VALU_DEP_4)
	v_add_f32_e32 v2, v2, v5
	v_mul_f32_e32 v5, v187, v17
	v_add_f32_e32 v3, v3, v213
	v_fma_f32 v6, v184, v14, -v6
	v_dual_mul_f32 v220, v194, v25 :: v_dual_mul_f32 v221, v196, v27
	v_add_f32_e32 v2, v2, v4
	v_mul_f32_e32 v4, v189, v19
	v_fma_f32 v5, v186, v16, -v5
	v_dual_fmac_f32 v217, v189, v18 :: v_dual_fmac_f32 v218, v191, v20
	s_delay_alu instid0(VALU_DEP_4) | instskip(SKIP_3) | instid1(VALU_DEP_4)
	v_add_f32_e32 v2, v2, v6
	v_add_f32_e32 v3, v3, v214
	v_mul_f32_e32 v6, v191, v21
	v_fma_f32 v4, v188, v18, -v4
	v_dual_fmac_f32 v219, v193, v22 :: v_dual_add_f32 v2, v2, v5
	s_delay_alu instid0(VALU_DEP_4) | instskip(NEXT) | instid1(VALU_DEP_4)
	v_add_f32_e32 v3, v3, v215
	v_fma_f32 v6, v190, v20, -v6
	v_dual_mul_f32 v5, v193, v23 :: v_dual_fmac_f32 v220, v195, v24
	s_delay_alu instid0(VALU_DEP_4) | instskip(NEXT) | instid1(VALU_DEP_4)
	v_dual_fmac_f32 v221, v197, v26 :: v_dual_add_f32 v2, v2, v4
	v_add_f32_e32 v3, v3, v216
	v_mul_f32_e32 v4, v195, v25
	s_delay_alu instid0(VALU_DEP_4) | instskip(SKIP_1) | instid1(VALU_DEP_4)
	v_fma_f32 v5, v192, v22, -v5
	v_dual_mul_f32 v223, v200, v165 :: v_dual_mul_f32 v224, v202, v167
	v_dual_add_f32 v2, v2, v6 :: v_dual_add_f32 v3, v3, v217
	v_mul_f32_e32 v6, v197, v27
	v_fma_f32 v4, v194, v24, -v4
	v_dual_fmac_f32 v222, v199, v28 :: v_dual_mul_f32 v225, v204, v169
	s_delay_alu instid0(VALU_DEP_4)
	v_dual_mul_f32 v226, v206, v171 :: v_dual_add_f32 v3, v3, v218
	v_add_f32_e32 v2, v2, v5
	v_fma_f32 v6, v196, v26, -v6
	v_dual_fmac_f32 v223, v201, v164 :: v_dual_fmac_f32 v224, v203, v166
	v_fmac_f32_e32 v225, v205, v168
	v_add_f32_e32 v3, v3, v219
	v_dual_mul_f32 v5, v199, v29 :: v_dual_add_f32 v2, v2, v4
	v_mul_f32_e32 v4, v201, v165
	v_fmac_f32_e32 v226, v207, v170
	s_delay_alu instid0(VALU_DEP_4) | instskip(NEXT) | instid1(VALU_DEP_4)
	v_add_f32_e32 v3, v3, v220
	v_fma_f32 v5, v198, v28, -v5
	v_add_f32_e32 v2, v2, v6
	v_mul_f32_e32 v6, v203, v167
	v_fma_f32 v4, v200, v164, -v4
	v_add_f32_e32 v3, v3, v221
	s_delay_alu instid0(VALU_DEP_4) | instskip(SKIP_2) | instid1(VALU_DEP_3)
	v_dual_fmac_f32 v227, v209, v30 :: v_dual_add_f32 v2, v2, v5
	v_mul_f32_e32 v5, v205, v169
	v_fma_f32 v6, v202, v166, -v6
	v_dual_add_f32 v3, v3, v222 :: v_dual_add_f32 v2, v2, v4
	v_mul_f32_e32 v4, v207, v171
	s_delay_alu instid0(VALU_DEP_4) | instskip(NEXT) | instid1(VALU_DEP_3)
	v_fma_f32 v5, v204, v168, -v5
	v_dual_add_f32 v3, v3, v223 :: v_dual_add_f32 v2, v2, v6
	s_delay_alu instid0(VALU_DEP_3) | instskip(NEXT) | instid1(VALU_DEP_2)
	v_fma_f32 v4, v206, v170, -v4
	v_dual_add_f32 v3, v3, v224 :: v_dual_mul_f32 v6, v209, v31
	s_delay_alu instid0(VALU_DEP_1) | instskip(NEXT) | instid1(VALU_DEP_4)
	v_add_f32_e32 v3, v3, v225
	v_add_f32_e32 v2, v2, v5
	s_delay_alu instid0(VALU_DEP_3) | instskip(NEXT) | instid1(VALU_DEP_2)
	v_fma_f32 v5, v208, v30, -v6
	v_dual_add_f32 v3, v3, v226 :: v_dual_add_f32 v2, v2, v4
	s_delay_alu instid0(VALU_DEP_1) | instskip(SKIP_1) | instid1(VALU_DEP_1)
	v_dual_add_f32 v3, v3, v227 :: v_dual_add_f32 v2, v2, v5
	s_wait_loadcnt 0x0
	v_dual_sub_f32 v3, v162, v3 :: v_dual_sub_f32 v2, v161, v2
	scratch_store_b64 off, v[2:3], off offset:352
	v_cmpx_lt_u32_e32 43, v0
	s_cbranch_execz .LBB127_311
; %bb.310:
	scratch_load_b64 v[3:4], off, off offset:344
	v_mov_b32_e32 v2, v1
	scratch_store_b64 off, v[1:2], off offset:344
	s_wait_loadcnt 0x0
	ds_store_b64 v163, v[3:4]
.LBB127_311:
	s_wait_alu 0xfffe
	s_or_b32 exec_lo, exec_lo, s0
	s_wait_storecnt_dscnt 0x0
	s_barrier_signal -1
	s_barrier_wait -1
	global_inv scope:SCOPE_SE
	s_clause 0xa
	scratch_load_b128 v[2:5], off, off offset:352
	scratch_load_b128 v[6:9], off, off offset:368
	scratch_load_b128 v[10:13], off, off offset:384
	scratch_load_b128 v[14:17], off, off offset:400
	scratch_load_b128 v[18:21], off, off offset:416
	scratch_load_b128 v[22:25], off, off offset:432
	scratch_load_b128 v[26:29], off, off offset:448
	scratch_load_b128 v[164:167], off, off offset:464
	scratch_load_b128 v[168:171], off, off offset:480
	scratch_load_b128 v[172:175], off, off offset:496
	scratch_load_b64 v[30:31], off, off offset:344
	ds_load_b128 v[176:179], v1 offset:864
	ds_load_b128 v[180:183], v1 offset:880
	;; [unrolled: 1-line block ×10, first 2 shown]
	s_mov_b32 s0, exec_lo
	s_wait_loadcnt_dscnt 0xa09
	v_dual_mul_f32 v1, v176, v3 :: v_dual_mul_f32 v32, v178, v5
	v_mul_f32_e32 v5, v179, v5
	s_wait_loadcnt_dscnt 0x908
	v_dual_mul_f32 v161, v180, v7 :: v_dual_mul_f32 v162, v182, v9
	v_mul_f32_e32 v3, v177, v3
	s_wait_loadcnt_dscnt 0x807
	v_dual_mul_f32 v216, v184, v11 :: v_dual_mul_f32 v217, v186, v13
	s_wait_loadcnt_dscnt 0x100
	v_dual_mul_f32 v228, v208, v169 :: v_dual_mul_f32 v231, v214, v175
	v_fmac_f32_e32 v32, v179, v4
	v_fma_f32 v3, v176, v2, -v3
	v_dual_fmac_f32 v1, v177, v2 :: v_dual_fmac_f32 v162, v183, v8
	v_mul_f32_e32 v2, v181, v7
	v_fma_f32 v4, v178, v4, -v5
	s_delay_alu instid0(VALU_DEP_4) | instskip(SKIP_2) | instid1(VALU_DEP_3)
	v_dual_add_f32 v3, 0, v3 :: v_dual_fmac_f32 v216, v185, v10
	v_dual_mul_f32 v218, v188, v15 :: v_dual_mul_f32 v219, v190, v17
	v_add_f32_e32 v1, 0, v1
	v_dual_add_f32 v3, v3, v4 :: v_dual_mul_f32 v4, v185, v11
	v_fma_f32 v2, v180, v6, -v2
	s_delay_alu instid0(VALU_DEP_4) | instskip(NEXT) | instid1(VALU_DEP_4)
	v_fmac_f32_e32 v218, v189, v14
	v_dual_add_f32 v1, v1, v32 :: v_dual_mul_f32 v220, v192, v19
	v_mul_f32_e32 v221, v194, v21
	v_fma_f32 v4, v184, v10, -v4
	v_mul_f32_e32 v5, v183, v9
	v_add_f32_e32 v2, v3, v2
	v_dual_mul_f32 v3, v187, v13 :: v_dual_fmac_f32 v220, v193, v18
	v_dual_mul_f32 v222, v196, v23 :: v_dual_mul_f32 v223, v198, v25
	s_delay_alu instid0(VALU_DEP_4) | instskip(SKIP_1) | instid1(VALU_DEP_4)
	v_fma_f32 v5, v182, v8, -v5
	v_fmac_f32_e32 v161, v181, v6
	v_fma_f32 v3, v186, v12, -v3
	v_dual_fmac_f32 v219, v191, v16 :: v_dual_mul_f32 v226, v204, v165
	v_mul_f32_e32 v227, v206, v167
	v_add_f32_e32 v2, v2, v5
	v_dual_mul_f32 v224, v200, v27 :: v_dual_mul_f32 v225, v202, v29
	v_fmac_f32_e32 v221, v195, v20
	v_dual_mul_f32 v229, v210, v171 :: v_dual_mul_f32 v230, v212, v173
	s_delay_alu instid0(VALU_DEP_4) | instskip(SKIP_2) | instid1(VALU_DEP_3)
	v_dual_add_f32 v2, v2, v4 :: v_dual_add_f32 v1, v1, v161
	v_mul_f32_e32 v4, v191, v17
	v_dual_fmac_f32 v225, v203, v28 :: v_dual_fmac_f32 v224, v201, v26
	v_dual_add_f32 v2, v2, v3 :: v_dual_add_f32 v1, v1, v162
	s_delay_alu instid0(VALU_DEP_3)
	v_fma_f32 v4, v190, v16, -v4
	v_mul_f32_e32 v5, v189, v15
	v_fmac_f32_e32 v229, v211, v170
	v_fmac_f32_e32 v231, v215, v174
	v_fmac_f32_e32 v222, v197, v22
	v_fmac_f32_e32 v226, v205, v164
	v_fma_f32 v5, v188, v14, -v5
	v_fmac_f32_e32 v217, v187, v12
	v_fmac_f32_e32 v228, v209, v168
	;; [unrolled: 1-line block ×3, first 2 shown]
	s_delay_alu instid0(VALU_DEP_4) | instskip(NEXT) | instid1(VALU_DEP_1)
	v_add_f32_e32 v2, v2, v5
	v_dual_mul_f32 v5, v195, v21 :: v_dual_add_f32 v2, v2, v4
	s_delay_alu instid0(VALU_DEP_1) | instskip(SKIP_2) | instid1(VALU_DEP_2)
	v_fma_f32 v5, v194, v20, -v5
	v_mul_f32_e32 v3, v193, v19
	v_mul_f32_e32 v4, v197, v23
	v_fma_f32 v3, v192, v18, -v3
	v_add_f32_e32 v1, v1, v216
	s_delay_alu instid0(VALU_DEP_3) | instskip(NEXT) | instid1(VALU_DEP_3)
	v_fma_f32 v4, v196, v22, -v4
	v_dual_add_f32 v2, v2, v3 :: v_dual_mul_f32 v3, v199, v25
	s_delay_alu instid0(VALU_DEP_1) | instskip(NEXT) | instid1(VALU_DEP_4)
	v_add_f32_e32 v2, v2, v5
	v_add_f32_e32 v1, v1, v217
	s_delay_alu instid0(VALU_DEP_3) | instskip(NEXT) | instid1(VALU_DEP_2)
	v_fma_f32 v3, v198, v24, -v3
	v_dual_add_f32 v2, v2, v4 :: v_dual_add_f32 v1, v1, v218
	v_mul_f32_e32 v4, v203, v29
	s_delay_alu instid0(VALU_DEP_2) | instskip(SKIP_1) | instid1(VALU_DEP_3)
	v_dual_fmac_f32 v223, v199, v24 :: v_dual_add_f32 v2, v2, v3
	v_mul_f32_e32 v3, v205, v165
	v_fma_f32 v4, v202, v28, -v4
	v_mul_f32_e32 v5, v201, v27
	s_delay_alu instid0(VALU_DEP_3) | instskip(NEXT) | instid1(VALU_DEP_2)
	v_fma_f32 v3, v204, v164, -v3
	v_fma_f32 v5, v200, v26, -v5
	s_delay_alu instid0(VALU_DEP_1) | instskip(NEXT) | instid1(VALU_DEP_1)
	v_dual_add_f32 v1, v1, v219 :: v_dual_add_f32 v2, v2, v5
	v_dual_mul_f32 v5, v207, v167 :: v_dual_add_f32 v2, v2, v4
	s_delay_alu instid0(VALU_DEP_2) | instskip(SKIP_1) | instid1(VALU_DEP_3)
	v_add_f32_e32 v1, v1, v220
	v_mul_f32_e32 v4, v209, v169
	v_fma_f32 v5, v206, v166, -v5
	s_delay_alu instid0(VALU_DEP_4) | instskip(SKIP_1) | instid1(VALU_DEP_4)
	v_dual_add_f32 v2, v2, v3 :: v_dual_fmac_f32 v227, v207, v166
	v_mul_f32_e32 v3, v211, v171
	v_fma_f32 v4, v208, v168, -v4
	s_delay_alu instid0(VALU_DEP_3) | instskip(SKIP_1) | instid1(VALU_DEP_4)
	v_add_f32_e32 v2, v2, v5
	v_add_f32_e32 v1, v1, v221
	v_fma_f32 v3, v210, v170, -v3
	s_delay_alu instid0(VALU_DEP_2) | instskip(SKIP_1) | instid1(VALU_DEP_2)
	v_dual_add_f32 v2, v2, v4 :: v_dual_add_f32 v1, v1, v222
	v_dual_mul_f32 v4, v215, v175 :: v_dual_mul_f32 v5, v213, v173
	v_add_f32_e32 v2, v2, v3
	s_delay_alu instid0(VALU_DEP_2) | instskip(NEXT) | instid1(VALU_DEP_3)
	v_fma_f32 v3, v214, v174, -v4
	v_fma_f32 v5, v212, v172, -v5
	s_delay_alu instid0(VALU_DEP_1) | instskip(NEXT) | instid1(VALU_DEP_1)
	v_dual_add_f32 v1, v1, v223 :: v_dual_add_f32 v2, v2, v5
	v_dual_add_f32 v1, v1, v224 :: v_dual_add_f32 v2, v2, v3
	s_delay_alu instid0(VALU_DEP_1) | instskip(NEXT) | instid1(VALU_DEP_1)
	v_add_f32_e32 v1, v1, v225
	v_add_f32_e32 v1, v1, v226
	s_delay_alu instid0(VALU_DEP_1) | instskip(NEXT) | instid1(VALU_DEP_1)
	v_add_f32_e32 v1, v1, v227
	v_add_f32_e32 v1, v1, v228
	;; [unrolled: 3-line block ×3, first 2 shown]
	s_delay_alu instid0(VALU_DEP_1) | instskip(SKIP_1) | instid1(VALU_DEP_1)
	v_add_f32_e32 v3, v1, v231
	s_wait_loadcnt 0x0
	v_dual_sub_f32 v1, v30, v2 :: v_dual_sub_f32 v2, v31, v3
	scratch_store_b64 off, v[1:2], off offset:344
	v_cmpx_lt_u32_e32 42, v0
	s_cbranch_execz .LBB127_313
; %bb.312:
	scratch_load_b64 v[1:2], off, off offset:336
	v_mov_b32_e32 v3, 0
	s_delay_alu instid0(VALU_DEP_1)
	v_mov_b32_e32 v4, v3
	scratch_store_b64 off, v[3:4], off offset:336
	s_wait_loadcnt 0x0
	ds_store_b64 v163, v[1:2]
.LBB127_313:
	s_wait_alu 0xfffe
	s_or_b32 exec_lo, exec_lo, s0
	s_wait_storecnt_dscnt 0x0
	s_barrier_signal -1
	s_barrier_wait -1
	global_inv scope:SCOPE_SE
	s_clause 0xb
	scratch_load_b128 v[2:5], off, off offset:344
	scratch_load_b128 v[6:9], off, off offset:360
	;; [unrolled: 1-line block ×10, first 2 shown]
	scratch_load_b64 v[30:31], off, off offset:504
	scratch_load_b64 v[161:162], off, off offset:336
	v_mov_b32_e32 v1, 0
	ds_load_2addr_b64 v[176:179], v1 offset0:107 offset1:108
	ds_load_2addr_b64 v[180:183], v1 offset0:109 offset1:110
	;; [unrolled: 1-line block ×10, first 2 shown]
	ds_load_b64 v[216:217], v1 offset:1016
	s_mov_b32 s0, exec_lo
	s_wait_loadcnt_dscnt 0xb0a
	v_mul_f32_e32 v32, v176, v3
	s_wait_loadcnt_dscnt 0xa09
	v_dual_mul_f32 v218, v178, v5 :: v_dual_mul_f32 v219, v180, v7
	v_mul_f32_e32 v3, v177, v3
	v_mul_f32_e32 v5, v179, v5
	s_wait_loadcnt_dscnt 0x908
	v_dual_mul_f32 v220, v182, v9 :: v_dual_mul_f32 v221, v184, v11
	s_wait_loadcnt_dscnt 0x504
	v_mul_f32_e32 v230, v202, v29
	v_fma_f32 v3, v176, v2, -v3
	s_wait_loadcnt_dscnt 0x100
	v_dual_fmac_f32 v32, v177, v2 :: v_dual_mul_f32 v237, v216, v31
	v_mul_f32_e32 v2, v181, v7
	s_delay_alu instid0(VALU_DEP_3) | instskip(SKIP_2) | instid1(VALU_DEP_4)
	v_dual_fmac_f32 v218, v179, v4 :: v_dual_add_f32 v3, 0, v3
	v_fma_f32 v4, v178, v4, -v5
	v_dual_fmac_f32 v219, v181, v6 :: v_dual_fmac_f32 v220, v183, v8
	v_fma_f32 v2, v180, v6, -v2
	v_dual_mul_f32 v222, v186, v13 :: v_dual_mul_f32 v223, v188, v15
	s_delay_alu instid0(VALU_DEP_4) | instskip(SKIP_2) | instid1(VALU_DEP_4)
	v_add_f32_e32 v3, v3, v4
	v_dual_add_f32 v5, 0, v32 :: v_dual_mul_f32 v224, v190, v17
	v_mul_f32_e32 v225, v192, v19
	v_fmac_f32_e32 v223, v189, v14
	s_delay_alu instid0(VALU_DEP_4) | instskip(NEXT) | instid1(VALU_DEP_4)
	v_add_f32_e32 v2, v3, v2
	v_dual_mul_f32 v7, v183, v9 :: v_dual_add_f32 v4, v5, v218
	v_dual_mul_f32 v5, v185, v11 :: v_dual_fmac_f32 v222, v187, v12
	v_fmac_f32_e32 v224, v191, v16
	s_delay_alu instid0(VALU_DEP_3) | instskip(NEXT) | instid1(VALU_DEP_4)
	v_fma_f32 v6, v182, v8, -v7
	v_dual_add_f32 v3, v4, v219 :: v_dual_mul_f32 v4, v187, v13
	s_delay_alu instid0(VALU_DEP_4) | instskip(SKIP_1) | instid1(VALU_DEP_4)
	v_fma_f32 v5, v184, v10, -v5
	v_dual_mul_f32 v226, v194, v21 :: v_dual_mul_f32 v227, v196, v23
	v_add_f32_e32 v2, v2, v6
	v_fmac_f32_e32 v221, v185, v10
	v_dual_add_f32 v3, v3, v220 :: v_dual_mul_f32 v6, v189, v15
	v_fma_f32 v4, v186, v12, -v4
	s_delay_alu instid0(VALU_DEP_4) | instskip(SKIP_1) | instid1(VALU_DEP_4)
	v_add_f32_e32 v2, v2, v5
	v_mul_f32_e32 v5, v191, v17
	v_add_f32_e32 v3, v3, v221
	v_fma_f32 v6, v188, v14, -v6
	v_dual_mul_f32 v228, v198, v25 :: v_dual_mul_f32 v229, v200, v27
	v_add_f32_e32 v2, v2, v4
	v_mul_f32_e32 v4, v193, v19
	v_fma_f32 v5, v190, v16, -v5
	v_dual_fmac_f32 v225, v193, v18 :: v_dual_fmac_f32 v226, v195, v20
	s_delay_alu instid0(VALU_DEP_4) | instskip(SKIP_3) | instid1(VALU_DEP_4)
	v_add_f32_e32 v2, v2, v6
	v_add_f32_e32 v3, v3, v222
	v_mul_f32_e32 v6, v195, v21
	v_fma_f32 v4, v192, v18, -v4
	v_dual_fmac_f32 v227, v197, v22 :: v_dual_add_f32 v2, v2, v5
	s_delay_alu instid0(VALU_DEP_4) | instskip(NEXT) | instid1(VALU_DEP_4)
	v_add_f32_e32 v3, v3, v223
	v_fma_f32 v6, v194, v20, -v6
	v_dual_mul_f32 v5, v197, v23 :: v_dual_fmac_f32 v228, v199, v24
	s_delay_alu instid0(VALU_DEP_4) | instskip(NEXT) | instid1(VALU_DEP_4)
	v_dual_fmac_f32 v229, v201, v26 :: v_dual_add_f32 v2, v2, v4
	v_add_f32_e32 v3, v3, v224
	v_mul_f32_e32 v4, v199, v25
	s_delay_alu instid0(VALU_DEP_4) | instskip(SKIP_1) | instid1(VALU_DEP_4)
	v_fma_f32 v5, v196, v22, -v5
	v_dual_mul_f32 v231, v204, v165 :: v_dual_mul_f32 v232, v206, v167
	v_dual_add_f32 v2, v2, v6 :: v_dual_add_f32 v3, v3, v225
	v_mul_f32_e32 v6, v201, v27
	v_fma_f32 v4, v198, v24, -v4
	v_dual_fmac_f32 v230, v203, v28 :: v_dual_mul_f32 v233, v208, v169
	s_delay_alu instid0(VALU_DEP_4)
	v_dual_mul_f32 v234, v210, v171 :: v_dual_add_f32 v3, v3, v226
	v_add_f32_e32 v2, v2, v5
	v_fma_f32 v6, v200, v26, -v6
	v_dual_fmac_f32 v231, v205, v164 :: v_dual_fmac_f32 v232, v207, v166
	v_fmac_f32_e32 v233, v209, v168
	v_add_f32_e32 v3, v3, v227
	v_dual_mul_f32 v5, v203, v29 :: v_dual_add_f32 v2, v2, v4
	v_mul_f32_e32 v4, v205, v165
	v_dual_mul_f32 v235, v212, v173 :: v_dual_mul_f32 v236, v214, v175
	s_delay_alu instid0(VALU_DEP_4) | instskip(NEXT) | instid1(VALU_DEP_4)
	v_add_f32_e32 v3, v3, v228
	v_fma_f32 v5, v202, v28, -v5
	v_add_f32_e32 v2, v2, v6
	v_mul_f32_e32 v6, v207, v167
	v_fma_f32 v4, v204, v164, -v4
	v_add_f32_e32 v3, v3, v229
	v_fmac_f32_e32 v234, v211, v170
	v_add_f32_e32 v2, v2, v5
	v_mul_f32_e32 v5, v209, v169
	v_fma_f32 v6, v206, v166, -v6
	v_add_f32_e32 v3, v3, v230
	v_fmac_f32_e32 v235, v213, v172
	;; [unrolled: 5-line block ×3, first 2 shown]
	v_add_f32_e32 v2, v2, v6
	v_mul_f32_e32 v6, v213, v173
	v_fma_f32 v4, v210, v170, -v4
	v_add_f32_e32 v3, v3, v232
	s_delay_alu instid0(VALU_DEP_1) | instskip(SKIP_2) | instid1(VALU_DEP_2)
	v_add_f32_e32 v3, v3, v233
	v_dual_add_f32 v2, v2, v5 :: v_dual_mul_f32 v5, v215, v175
	v_fma_f32 v6, v212, v172, -v6
	v_dual_add_f32 v3, v3, v234 :: v_dual_add_f32 v2, v2, v4
	s_delay_alu instid0(VALU_DEP_3) | instskip(NEXT) | instid1(VALU_DEP_2)
	v_fma_f32 v5, v214, v174, -v5
	v_dual_add_f32 v3, v3, v235 :: v_dual_add_f32 v2, v2, v6
	v_mul_f32_e32 v4, v217, v31
	v_fmac_f32_e32 v237, v217, v30
	s_delay_alu instid0(VALU_DEP_3) | instskip(NEXT) | instid1(VALU_DEP_3)
	v_dual_add_f32 v3, v3, v236 :: v_dual_add_f32 v2, v2, v5
	v_fma_f32 v4, v216, v30, -v4
	s_delay_alu instid0(VALU_DEP_1) | instskip(SKIP_1) | instid1(VALU_DEP_1)
	v_dual_add_f32 v3, v3, v237 :: v_dual_add_f32 v2, v2, v4
	s_wait_loadcnt 0x0
	v_dual_sub_f32 v3, v162, v3 :: v_dual_sub_f32 v2, v161, v2
	scratch_store_b64 off, v[2:3], off offset:336
	v_cmpx_lt_u32_e32 41, v0
	s_cbranch_execz .LBB127_315
; %bb.314:
	scratch_load_b64 v[3:4], off, off offset:328
	v_mov_b32_e32 v2, v1
	scratch_store_b64 off, v[1:2], off offset:328
	s_wait_loadcnt 0x0
	ds_store_b64 v163, v[3:4]
.LBB127_315:
	s_wait_alu 0xfffe
	s_or_b32 exec_lo, exec_lo, s0
	s_wait_storecnt_dscnt 0x0
	s_barrier_signal -1
	s_barrier_wait -1
	global_inv scope:SCOPE_SE
	s_clause 0xb
	scratch_load_b128 v[2:5], off, off offset:336
	scratch_load_b128 v[6:9], off, off offset:352
	;; [unrolled: 1-line block ×11, first 2 shown]
	scratch_load_b64 v[30:31], off, off offset:328
	ds_load_b128 v[180:183], v1 offset:848
	ds_load_b128 v[184:187], v1 offset:864
	ds_load_b128 v[188:191], v1 offset:880
	ds_load_b128 v[192:195], v1 offset:896
	ds_load_b128 v[196:199], v1 offset:912
	ds_load_b128 v[200:203], v1 offset:928
	ds_load_b128 v[204:207], v1 offset:944
	ds_load_b128 v[208:211], v1 offset:960
	ds_load_b128 v[212:215], v1 offset:976
	ds_load_b128 v[216:219], v1 offset:992
	ds_load_b128 v[220:223], v1 offset:1008
	s_mov_b32 s0, exec_lo
	s_wait_loadcnt_dscnt 0xb0a
	v_dual_mul_f32 v1, v180, v3 :: v_dual_mul_f32 v32, v182, v5
	v_mul_f32_e32 v5, v183, v5
	s_wait_loadcnt_dscnt 0xa09
	v_dual_mul_f32 v161, v184, v7 :: v_dual_mul_f32 v162, v186, v9
	v_mul_f32_e32 v3, v181, v3
	s_wait_loadcnt_dscnt 0x908
	v_dual_mul_f32 v224, v188, v11 :: v_dual_mul_f32 v225, v190, v13
	s_delay_alu instid0(VALU_DEP_3)
	v_dual_fmac_f32 v1, v181, v2 :: v_dual_fmac_f32 v162, v187, v8
	s_wait_loadcnt_dscnt 0x201
	v_mul_f32_e32 v238, v216, v173
	v_fma_f32 v3, v180, v2, -v3
	s_wait_loadcnt_dscnt 0x100
	v_dual_mul_f32 v241, v222, v179 :: v_dual_fmac_f32 v32, v183, v4
	v_mul_f32_e32 v2, v185, v7
	v_fma_f32 v4, v182, v4, -v5
	v_dual_add_f32 v3, 0, v3 :: v_dual_fmac_f32 v224, v189, v10
	v_dual_mul_f32 v226, v192, v15 :: v_dual_mul_f32 v227, v194, v17
	v_add_f32_e32 v1, 0, v1
	s_delay_alu instid0(VALU_DEP_3) | instskip(SKIP_1) | instid1(VALU_DEP_4)
	v_dual_add_f32 v3, v3, v4 :: v_dual_mul_f32 v4, v189, v11
	v_fma_f32 v2, v184, v6, -v2
	v_fmac_f32_e32 v226, v193, v14
	s_delay_alu instid0(VALU_DEP_4)
	v_dual_add_f32 v1, v1, v32 :: v_dual_mul_f32 v228, v196, v19
	v_mul_f32_e32 v229, v198, v21
	v_fma_f32 v4, v188, v10, -v4
	v_mul_f32_e32 v5, v187, v9
	v_add_f32_e32 v2, v3, v2
	v_dual_mul_f32 v3, v191, v13 :: v_dual_fmac_f32 v228, v197, v18
	v_dual_mul_f32 v230, v200, v23 :: v_dual_mul_f32 v231, v202, v25
	s_delay_alu instid0(VALU_DEP_4) | instskip(SKIP_1) | instid1(VALU_DEP_4)
	v_fma_f32 v5, v186, v8, -v5
	v_fmac_f32_e32 v161, v185, v6
	v_fma_f32 v3, v190, v12, -v3
	v_dual_fmac_f32 v227, v195, v16 :: v_dual_mul_f32 v234, v208, v165
	v_mul_f32_e32 v235, v210, v167
	v_add_f32_e32 v2, v2, v5
	v_dual_mul_f32 v232, v204, v27 :: v_dual_mul_f32 v233, v206, v29
	v_dual_mul_f32 v236, v212, v169 :: v_dual_mul_f32 v237, v214, v171
	s_delay_alu instid0(VALU_DEP_3) | instskip(SKIP_1) | instid1(VALU_DEP_4)
	v_dual_add_f32 v2, v2, v4 :: v_dual_add_f32 v1, v1, v161
	v_mul_f32_e32 v4, v195, v17
	v_fmac_f32_e32 v233, v207, v28
	v_dual_fmac_f32 v229, v199, v20 :: v_dual_fmac_f32 v232, v205, v26
	s_delay_alu instid0(VALU_DEP_4) | instskip(NEXT) | instid1(VALU_DEP_4)
	v_dual_add_f32 v2, v2, v3 :: v_dual_add_f32 v1, v1, v162
	v_fma_f32 v4, v194, v16, -v4
	v_mul_f32_e32 v5, v193, v15
	v_dual_mul_f32 v239, v218, v175 :: v_dual_mul_f32 v240, v220, v177
	v_fmac_f32_e32 v237, v215, v170
	v_fmac_f32_e32 v241, v223, v178
	s_delay_alu instid0(VALU_DEP_4) | instskip(SKIP_2) | instid1(VALU_DEP_3)
	v_fma_f32 v5, v192, v14, -v5
	v_dual_fmac_f32 v225, v191, v12 :: v_dual_fmac_f32 v230, v201, v22
	v_dual_fmac_f32 v240, v221, v176 :: v_dual_fmac_f32 v239, v219, v174
	v_add_f32_e32 v2, v2, v5
	v_dual_mul_f32 v5, v199, v21 :: v_dual_fmac_f32 v234, v209, v164
	v_fmac_f32_e32 v236, v213, v168
	v_fmac_f32_e32 v238, v217, v172
	s_delay_alu instid0(VALU_DEP_4) | instskip(NEXT) | instid1(VALU_DEP_4)
	v_add_f32_e32 v2, v2, v4
	v_fma_f32 v5, v198, v20, -v5
	v_mul_f32_e32 v3, v197, v19
	v_mul_f32_e32 v4, v201, v23
	s_delay_alu instid0(VALU_DEP_2) | instskip(SKIP_1) | instid1(VALU_DEP_3)
	v_fma_f32 v3, v196, v18, -v3
	v_add_f32_e32 v1, v1, v224
	v_fma_f32 v4, v200, v22, -v4
	s_delay_alu instid0(VALU_DEP_3) | instskip(NEXT) | instid1(VALU_DEP_1)
	v_dual_add_f32 v2, v2, v3 :: v_dual_mul_f32 v3, v203, v25
	v_add_f32_e32 v2, v2, v5
	s_delay_alu instid0(VALU_DEP_4) | instskip(NEXT) | instid1(VALU_DEP_3)
	v_add_f32_e32 v1, v1, v225
	v_fma_f32 v3, v202, v24, -v3
	s_delay_alu instid0(VALU_DEP_2) | instskip(SKIP_1) | instid1(VALU_DEP_2)
	v_dual_add_f32 v2, v2, v4 :: v_dual_add_f32 v1, v1, v226
	v_mul_f32_e32 v4, v207, v29
	v_dual_fmac_f32 v231, v203, v24 :: v_dual_add_f32 v2, v2, v3
	v_mul_f32_e32 v3, v209, v165
	s_delay_alu instid0(VALU_DEP_3) | instskip(SKIP_1) | instid1(VALU_DEP_3)
	v_fma_f32 v4, v206, v28, -v4
	v_mul_f32_e32 v5, v205, v27
	v_fma_f32 v3, v208, v164, -v3
	s_delay_alu instid0(VALU_DEP_2) | instskip(NEXT) | instid1(VALU_DEP_1)
	v_fma_f32 v5, v204, v26, -v5
	v_dual_add_f32 v1, v1, v227 :: v_dual_add_f32 v2, v2, v5
	s_delay_alu instid0(VALU_DEP_1) | instskip(NEXT) | instid1(VALU_DEP_2)
	v_dual_mul_f32 v5, v211, v167 :: v_dual_add_f32 v2, v2, v4
	v_add_f32_e32 v1, v1, v228
	v_mul_f32_e32 v4, v213, v169
	s_delay_alu instid0(VALU_DEP_3) | instskip(NEXT) | instid1(VALU_DEP_4)
	v_fma_f32 v5, v210, v166, -v5
	v_dual_add_f32 v2, v2, v3 :: v_dual_fmac_f32 v235, v211, v166
	v_mul_f32_e32 v3, v215, v171
	s_delay_alu instid0(VALU_DEP_4) | instskip(NEXT) | instid1(VALU_DEP_3)
	v_fma_f32 v4, v212, v168, -v4
	v_add_f32_e32 v2, v2, v5
	v_add_f32_e32 v1, v1, v229
	s_delay_alu instid0(VALU_DEP_4) | instskip(NEXT) | instid1(VALU_DEP_3)
	v_fma_f32 v3, v214, v170, -v3
	v_dual_add_f32 v2, v2, v4 :: v_dual_mul_f32 v5, v217, v173
	s_delay_alu instid0(VALU_DEP_3) | instskip(NEXT) | instid1(VALU_DEP_2)
	v_dual_add_f32 v1, v1, v230 :: v_dual_mul_f32 v4, v219, v175
	v_add_f32_e32 v2, v2, v3
	s_delay_alu instid0(VALU_DEP_3) | instskip(NEXT) | instid1(VALU_DEP_3)
	v_fma_f32 v5, v216, v172, -v5
	v_add_f32_e32 v1, v1, v231
	v_mul_f32_e32 v3, v221, v177
	v_fma_f32 v4, v218, v174, -v4
	s_delay_alu instid0(VALU_DEP_4) | instskip(NEXT) | instid1(VALU_DEP_3)
	v_dual_add_f32 v2, v2, v5 :: v_dual_mul_f32 v5, v223, v179
	v_fma_f32 v3, v220, v176, -v3
	s_delay_alu instid0(VALU_DEP_2) | instskip(SKIP_1) | instid1(VALU_DEP_4)
	v_add_f32_e32 v2, v2, v4
	v_add_f32_e32 v1, v1, v232
	v_fma_f32 v4, v222, v178, -v5
	s_delay_alu instid0(VALU_DEP_2) | instskip(NEXT) | instid1(VALU_DEP_1)
	v_dual_add_f32 v2, v2, v3 :: v_dual_add_f32 v1, v1, v233
	v_dual_add_f32 v2, v2, v4 :: v_dual_add_f32 v1, v1, v234
	s_delay_alu instid0(VALU_DEP_1) | instskip(NEXT) | instid1(VALU_DEP_1)
	v_add_f32_e32 v1, v1, v235
	v_add_f32_e32 v1, v1, v236
	s_delay_alu instid0(VALU_DEP_1) | instskip(NEXT) | instid1(VALU_DEP_1)
	v_add_f32_e32 v1, v1, v237
	v_add_f32_e32 v1, v1, v238
	;; [unrolled: 3-line block ×3, first 2 shown]
	s_delay_alu instid0(VALU_DEP_1) | instskip(SKIP_1) | instid1(VALU_DEP_1)
	v_add_f32_e32 v3, v1, v241
	s_wait_loadcnt 0x0
	v_dual_sub_f32 v1, v30, v2 :: v_dual_sub_f32 v2, v31, v3
	scratch_store_b64 off, v[1:2], off offset:328
	v_cmpx_lt_u32_e32 40, v0
	s_cbranch_execz .LBB127_317
; %bb.316:
	scratch_load_b64 v[1:2], off, off offset:320
	v_mov_b32_e32 v3, 0
	s_delay_alu instid0(VALU_DEP_1)
	v_mov_b32_e32 v4, v3
	scratch_store_b64 off, v[3:4], off offset:320
	s_wait_loadcnt 0x0
	ds_store_b64 v163, v[1:2]
.LBB127_317:
	s_wait_alu 0xfffe
	s_or_b32 exec_lo, exec_lo, s0
	s_wait_storecnt_dscnt 0x0
	s_barrier_signal -1
	s_barrier_wait -1
	global_inv scope:SCOPE_SE
	s_clause 0xc
	scratch_load_b128 v[2:5], off, off offset:328
	scratch_load_b128 v[6:9], off, off offset:344
	scratch_load_b128 v[10:13], off, off offset:360
	scratch_load_b128 v[14:17], off, off offset:376
	scratch_load_b128 v[18:21], off, off offset:392
	scratch_load_b128 v[22:25], off, off offset:408
	scratch_load_b128 v[26:29], off, off offset:424
	scratch_load_b128 v[164:167], off, off offset:440
	scratch_load_b128 v[168:171], off, off offset:456
	scratch_load_b128 v[172:175], off, off offset:472
	scratch_load_b128 v[176:179], off, off offset:488
	scratch_load_b64 v[30:31], off, off offset:504
	scratch_load_b64 v[161:162], off, off offset:320
	v_mov_b32_e32 v1, 0
	ds_load_2addr_b64 v[180:183], v1 offset0:105 offset1:106
	ds_load_2addr_b64 v[184:187], v1 offset0:107 offset1:108
	;; [unrolled: 1-line block ×11, first 2 shown]
	ds_load_b64 v[224:225], v1 offset:1016
	s_mov_b32 s0, exec_lo
	s_wait_loadcnt_dscnt 0xc0b
	v_mul_f32_e32 v32, v180, v3
	s_wait_loadcnt_dscnt 0xb0a
	v_dual_mul_f32 v226, v182, v5 :: v_dual_mul_f32 v227, v184, v7
	v_mul_f32_e32 v3, v181, v3
	v_mul_f32_e32 v5, v183, v5
	s_wait_loadcnt_dscnt 0xa09
	v_dual_mul_f32 v228, v186, v9 :: v_dual_mul_f32 v229, v188, v11
	s_wait_loadcnt_dscnt 0x605
	v_mul_f32_e32 v238, v206, v29
	v_fma_f32 v3, v180, v2, -v3
	v_fmac_f32_e32 v32, v181, v2
	v_mul_f32_e32 v2, v185, v7
	s_wait_loadcnt_dscnt 0x100
	v_dual_mul_f32 v247, v224, v31 :: v_dual_fmac_f32 v226, v183, v4
	v_add_f32_e32 v3, 0, v3
	v_fma_f32 v4, v182, v4, -v5
	v_fma_f32 v2, v184, v6, -v2
	v_dual_fmac_f32 v227, v185, v6 :: v_dual_fmac_f32 v228, v187, v8
	v_dual_mul_f32 v230, v190, v13 :: v_dual_mul_f32 v231, v192, v15
	s_delay_alu instid0(VALU_DEP_4) | instskip(SKIP_2) | instid1(VALU_DEP_4)
	v_add_f32_e32 v3, v3, v4
	v_dual_add_f32 v5, 0, v32 :: v_dual_mul_f32 v232, v194, v17
	v_mul_f32_e32 v233, v196, v19
	v_fmac_f32_e32 v231, v193, v14
	s_delay_alu instid0(VALU_DEP_4) | instskip(NEXT) | instid1(VALU_DEP_4)
	v_add_f32_e32 v2, v3, v2
	v_dual_mul_f32 v7, v187, v9 :: v_dual_add_f32 v4, v5, v226
	v_dual_mul_f32 v5, v189, v11 :: v_dual_fmac_f32 v230, v191, v12
	v_fmac_f32_e32 v232, v195, v16
	s_delay_alu instid0(VALU_DEP_3) | instskip(NEXT) | instid1(VALU_DEP_4)
	v_fma_f32 v6, v186, v8, -v7
	v_dual_add_f32 v3, v4, v227 :: v_dual_mul_f32 v4, v191, v13
	s_delay_alu instid0(VALU_DEP_4) | instskip(SKIP_1) | instid1(VALU_DEP_4)
	v_fma_f32 v5, v188, v10, -v5
	v_dual_mul_f32 v234, v198, v21 :: v_dual_mul_f32 v235, v200, v23
	v_add_f32_e32 v2, v2, v6
	v_fmac_f32_e32 v229, v189, v10
	v_dual_add_f32 v3, v3, v228 :: v_dual_mul_f32 v6, v193, v15
	v_fma_f32 v4, v190, v12, -v4
	s_delay_alu instid0(VALU_DEP_4) | instskip(SKIP_1) | instid1(VALU_DEP_4)
	v_add_f32_e32 v2, v2, v5
	v_mul_f32_e32 v5, v195, v17
	v_add_f32_e32 v3, v3, v229
	v_fma_f32 v6, v192, v14, -v6
	v_dual_mul_f32 v236, v202, v25 :: v_dual_mul_f32 v237, v204, v27
	v_add_f32_e32 v2, v2, v4
	v_mul_f32_e32 v4, v197, v19
	v_fma_f32 v5, v194, v16, -v5
	v_dual_fmac_f32 v233, v197, v18 :: v_dual_fmac_f32 v234, v199, v20
	s_delay_alu instid0(VALU_DEP_4) | instskip(SKIP_3) | instid1(VALU_DEP_4)
	v_add_f32_e32 v2, v2, v6
	v_add_f32_e32 v3, v3, v230
	v_mul_f32_e32 v6, v199, v21
	v_fma_f32 v4, v196, v18, -v4
	v_dual_fmac_f32 v235, v201, v22 :: v_dual_add_f32 v2, v2, v5
	s_delay_alu instid0(VALU_DEP_4) | instskip(NEXT) | instid1(VALU_DEP_4)
	v_add_f32_e32 v3, v3, v231
	v_fma_f32 v6, v198, v20, -v6
	v_dual_mul_f32 v5, v201, v23 :: v_dual_fmac_f32 v236, v203, v24
	s_delay_alu instid0(VALU_DEP_4) | instskip(NEXT) | instid1(VALU_DEP_4)
	v_dual_fmac_f32 v237, v205, v26 :: v_dual_add_f32 v2, v2, v4
	v_add_f32_e32 v3, v3, v232
	v_mul_f32_e32 v4, v203, v25
	s_delay_alu instid0(VALU_DEP_4) | instskip(SKIP_1) | instid1(VALU_DEP_4)
	v_fma_f32 v5, v200, v22, -v5
	v_dual_mul_f32 v239, v208, v165 :: v_dual_mul_f32 v240, v210, v167
	v_dual_add_f32 v2, v2, v6 :: v_dual_add_f32 v3, v3, v233
	v_mul_f32_e32 v6, v205, v27
	v_fma_f32 v4, v202, v24, -v4
	v_dual_fmac_f32 v238, v207, v28 :: v_dual_mul_f32 v241, v212, v169
	s_delay_alu instid0(VALU_DEP_4)
	v_dual_mul_f32 v242, v214, v171 :: v_dual_add_f32 v3, v3, v234
	v_add_f32_e32 v2, v2, v5
	v_fma_f32 v6, v204, v26, -v6
	v_dual_fmac_f32 v239, v209, v164 :: v_dual_fmac_f32 v240, v211, v166
	v_fmac_f32_e32 v241, v213, v168
	v_add_f32_e32 v3, v3, v235
	v_dual_mul_f32 v5, v207, v29 :: v_dual_add_f32 v2, v2, v4
	v_mul_f32_e32 v4, v209, v165
	v_dual_mul_f32 v243, v216, v173 :: v_dual_mul_f32 v244, v218, v175
	s_delay_alu instid0(VALU_DEP_4) | instskip(NEXT) | instid1(VALU_DEP_4)
	v_add_f32_e32 v3, v3, v236
	v_fma_f32 v5, v206, v28, -v5
	v_add_f32_e32 v2, v2, v6
	v_mul_f32_e32 v6, v211, v167
	v_fma_f32 v4, v208, v164, -v4
	v_add_f32_e32 v3, v3, v237
	v_dual_mul_f32 v245, v220, v177 :: v_dual_mul_f32 v246, v222, v179
	v_add_f32_e32 v2, v2, v5
	v_mul_f32_e32 v5, v213, v169
	s_delay_alu instid0(VALU_DEP_4) | instskip(SKIP_2) | instid1(VALU_DEP_3)
	v_add_f32_e32 v3, v3, v238
	v_fma_f32 v6, v210, v166, -v6
	v_dual_fmac_f32 v242, v215, v170 :: v_dual_fmac_f32 v245, v221, v176
	v_dual_add_f32 v2, v2, v4 :: v_dual_add_f32 v3, v3, v239
	v_dual_mul_f32 v4, v215, v171 :: v_dual_fmac_f32 v243, v217, v172
	v_fma_f32 v5, v212, v168, -v5
	s_delay_alu instid0(VALU_DEP_3) | instskip(SKIP_1) | instid1(VALU_DEP_4)
	v_dual_add_f32 v2, v2, v6 :: v_dual_add_f32 v3, v3, v240
	v_mul_f32_e32 v6, v217, v173
	v_fma_f32 v4, v214, v170, -v4
	v_fmac_f32_e32 v244, v219, v174
	v_fmac_f32_e32 v246, v223, v178
	v_add_f32_e32 v3, v3, v241
	v_dual_add_f32 v2, v2, v5 :: v_dual_mul_f32 v5, v219, v175
	v_fma_f32 v6, v216, v172, -v6
	v_fmac_f32_e32 v247, v225, v30
	s_delay_alu instid0(VALU_DEP_3) | instskip(SKIP_2) | instid1(VALU_DEP_3)
	v_dual_add_f32 v3, v3, v242 :: v_dual_add_f32 v2, v2, v4
	v_mul_f32_e32 v4, v221, v177
	v_fma_f32 v5, v218, v174, -v5
	v_dual_add_f32 v3, v3, v243 :: v_dual_add_f32 v2, v2, v6
	v_mul_f32_e32 v6, v223, v179
	s_delay_alu instid0(VALU_DEP_4) | instskip(NEXT) | instid1(VALU_DEP_3)
	v_fma_f32 v4, v220, v176, -v4
	v_dual_add_f32 v2, v2, v5 :: v_dual_mul_f32 v5, v225, v31
	s_delay_alu instid0(VALU_DEP_4) | instskip(NEXT) | instid1(VALU_DEP_4)
	v_add_f32_e32 v3, v3, v244
	v_fma_f32 v6, v222, v178, -v6
	s_delay_alu instid0(VALU_DEP_2) | instskip(NEXT) | instid1(VALU_DEP_1)
	v_add_f32_e32 v3, v3, v245
	v_dual_add_f32 v3, v3, v246 :: v_dual_add_f32 v2, v2, v4
	v_fma_f32 v4, v224, v30, -v5
	s_delay_alu instid0(VALU_DEP_2) | instskip(SKIP_1) | instid1(VALU_DEP_1)
	v_dual_add_f32 v3, v3, v247 :: v_dual_add_f32 v2, v2, v6
	s_wait_loadcnt 0x0
	v_sub_f32_e32 v3, v162, v3
	s_delay_alu instid0(VALU_DEP_2) | instskip(NEXT) | instid1(VALU_DEP_1)
	v_add_f32_e32 v2, v2, v4
	v_sub_f32_e32 v2, v161, v2
	scratch_store_b64 off, v[2:3], off offset:320
	v_cmpx_lt_u32_e32 39, v0
	s_cbranch_execz .LBB127_319
; %bb.318:
	scratch_load_b64 v[3:4], off, off offset:312
	v_mov_b32_e32 v2, v1
	scratch_store_b64 off, v[1:2], off offset:312
	s_wait_loadcnt 0x0
	ds_store_b64 v163, v[3:4]
.LBB127_319:
	s_wait_alu 0xfffe
	s_or_b32 exec_lo, exec_lo, s0
	s_wait_storecnt_dscnt 0x0
	s_barrier_signal -1
	s_barrier_wait -1
	global_inv scope:SCOPE_SE
	s_clause 0xc
	scratch_load_b128 v[2:5], off, off offset:320
	scratch_load_b128 v[6:9], off, off offset:336
	;; [unrolled: 1-line block ×12, first 2 shown]
	scratch_load_b64 v[30:31], off, off offset:312
	ds_load_b128 v[184:187], v1 offset:832
	ds_load_b128 v[188:191], v1 offset:848
	;; [unrolled: 1-line block ×12, first 2 shown]
	s_mov_b32 s0, exec_lo
	s_wait_loadcnt_dscnt 0xc0b
	v_dual_mul_f32 v1, v184, v3 :: v_dual_mul_f32 v32, v186, v5
	v_mul_f32_e32 v5, v187, v5
	s_wait_loadcnt_dscnt 0xb0a
	v_dual_mul_f32 v161, v188, v7 :: v_dual_mul_f32 v162, v190, v9
	s_wait_loadcnt_dscnt 0xa09
	v_dual_mul_f32 v232, v192, v11 :: v_dual_mul_f32 v233, v194, v13
	v_mul_f32_e32 v3, v185, v3
	s_delay_alu instid0(VALU_DEP_3)
	v_dual_fmac_f32 v1, v185, v2 :: v_dual_fmac_f32 v162, v191, v8
	s_wait_loadcnt_dscnt 0x100
	v_dual_mul_f32 v248, v224, v177 :: v_dual_mul_f32 v251, v230, v183
	v_fmac_f32_e32 v32, v187, v4
	v_fma_f32 v3, v184, v2, -v3
	v_mul_f32_e32 v2, v189, v7
	v_fma_f32 v4, v186, v4, -v5
	v_dual_mul_f32 v234, v196, v15 :: v_dual_mul_f32 v235, v198, v17
	s_delay_alu instid0(VALU_DEP_4) | instskip(SKIP_2) | instid1(VALU_DEP_3)
	v_dual_add_f32 v3, 0, v3 :: v_dual_fmac_f32 v232, v193, v10
	v_add_f32_e32 v1, 0, v1
	v_fma_f32 v2, v188, v6, -v2
	v_dual_fmac_f32 v234, v197, v14 :: v_dual_add_f32 v3, v3, v4
	v_mul_f32_e32 v4, v193, v11
	s_delay_alu instid0(VALU_DEP_4) | instskip(NEXT) | instid1(VALU_DEP_3)
	v_dual_add_f32 v1, v1, v32 :: v_dual_mul_f32 v236, v200, v19
	v_dual_mul_f32 v237, v202, v21 :: v_dual_add_f32 v2, v3, v2
	s_delay_alu instid0(VALU_DEP_3) | instskip(SKIP_1) | instid1(VALU_DEP_4)
	v_fma_f32 v4, v192, v10, -v4
	v_mul_f32_e32 v5, v191, v9
	v_dual_mul_f32 v3, v195, v13 :: v_dual_fmac_f32 v236, v201, v18
	v_dual_mul_f32 v238, v204, v23 :: v_dual_mul_f32 v239, v206, v25
	s_delay_alu instid0(VALU_DEP_3) | instskip(SKIP_1) | instid1(VALU_DEP_4)
	v_fma_f32 v5, v190, v8, -v5
	v_fmac_f32_e32 v161, v189, v6
	v_fma_f32 v3, v194, v12, -v3
	v_dual_fmac_f32 v235, v199, v16 :: v_dual_mul_f32 v242, v212, v165
	v_mul_f32_e32 v243, v214, v167
	v_add_f32_e32 v2, v2, v5
	v_dual_mul_f32 v240, v208, v27 :: v_dual_mul_f32 v241, v210, v29
	v_dual_mul_f32 v244, v216, v169 :: v_dual_mul_f32 v245, v218, v171
	s_delay_alu instid0(VALU_DEP_3) | instskip(SKIP_1) | instid1(VALU_DEP_4)
	v_dual_add_f32 v2, v2, v4 :: v_dual_add_f32 v1, v1, v161
	v_mul_f32_e32 v4, v199, v17
	v_dual_fmac_f32 v241, v211, v28 :: v_dual_mul_f32 v246, v220, v173
	v_mul_f32_e32 v247, v222, v175
	s_delay_alu instid0(VALU_DEP_4) | instskip(NEXT) | instid1(VALU_DEP_4)
	v_dual_add_f32 v2, v2, v3 :: v_dual_add_f32 v1, v1, v162
	v_fma_f32 v4, v198, v16, -v4
	v_mul_f32_e32 v5, v197, v15
	v_dual_fmac_f32 v237, v203, v20 :: v_dual_fmac_f32 v240, v209, v26
	v_dual_mul_f32 v249, v226, v179 :: v_dual_mul_f32 v250, v228, v181
	s_delay_alu instid0(VALU_DEP_3) | instskip(SKIP_3) | instid1(VALU_DEP_4)
	v_fma_f32 v5, v196, v14, -v5
	v_dual_fmac_f32 v233, v195, v12 :: v_dual_fmac_f32 v238, v205, v22
	v_fmac_f32_e32 v247, v223, v174
	v_dual_fmac_f32 v245, v219, v170 :: v_dual_fmac_f32 v248, v225, v176
	v_add_f32_e32 v2, v2, v5
	v_mul_f32_e32 v5, v203, v21
	v_dual_fmac_f32 v251, v231, v182 :: v_dual_fmac_f32 v242, v213, v164
	v_fmac_f32_e32 v244, v217, v168
	s_delay_alu instid0(VALU_DEP_4) | instskip(NEXT) | instid1(VALU_DEP_4)
	v_add_f32_e32 v2, v2, v4
	v_fma_f32 v5, v202, v20, -v5
	v_mul_f32_e32 v3, v201, v19
	v_mul_f32_e32 v4, v205, v23
	v_fmac_f32_e32 v246, v221, v172
	v_fmac_f32_e32 v250, v229, v180
	s_delay_alu instid0(VALU_DEP_4) | instskip(SKIP_2) | instid1(VALU_DEP_3)
	v_fma_f32 v3, v200, v18, -v3
	v_add_f32_e32 v1, v1, v232
	v_fma_f32 v4, v204, v22, -v4
	v_dual_add_f32 v2, v2, v3 :: v_dual_mul_f32 v3, v207, v25
	s_delay_alu instid0(VALU_DEP_1) | instskip(NEXT) | instid1(VALU_DEP_4)
	v_add_f32_e32 v2, v2, v5
	v_add_f32_e32 v1, v1, v233
	s_delay_alu instid0(VALU_DEP_3) | instskip(NEXT) | instid1(VALU_DEP_2)
	v_fma_f32 v3, v206, v24, -v3
	v_dual_add_f32 v2, v2, v4 :: v_dual_add_f32 v1, v1, v234
	v_mul_f32_e32 v4, v211, v29
	s_delay_alu instid0(VALU_DEP_2) | instskip(SKIP_1) | instid1(VALU_DEP_3)
	v_dual_fmac_f32 v239, v207, v24 :: v_dual_add_f32 v2, v2, v3
	v_mul_f32_e32 v3, v213, v165
	v_fma_f32 v4, v210, v28, -v4
	v_mul_f32_e32 v5, v209, v27
	s_delay_alu instid0(VALU_DEP_3) | instskip(NEXT) | instid1(VALU_DEP_2)
	v_fma_f32 v3, v212, v164, -v3
	v_fma_f32 v5, v208, v26, -v5
	s_delay_alu instid0(VALU_DEP_1) | instskip(NEXT) | instid1(VALU_DEP_1)
	v_dual_add_f32 v1, v1, v235 :: v_dual_add_f32 v2, v2, v5
	v_dual_mul_f32 v5, v215, v167 :: v_dual_add_f32 v2, v2, v4
	s_delay_alu instid0(VALU_DEP_2) | instskip(SKIP_1) | instid1(VALU_DEP_3)
	v_add_f32_e32 v1, v1, v236
	v_mul_f32_e32 v4, v217, v169
	v_fma_f32 v5, v214, v166, -v5
	s_delay_alu instid0(VALU_DEP_4) | instskip(SKIP_1) | instid1(VALU_DEP_4)
	v_dual_add_f32 v2, v2, v3 :: v_dual_fmac_f32 v243, v215, v166
	v_mul_f32_e32 v3, v219, v171
	v_fma_f32 v4, v216, v168, -v4
	s_delay_alu instid0(VALU_DEP_3) | instskip(SKIP_1) | instid1(VALU_DEP_4)
	v_add_f32_e32 v2, v2, v5
	v_add_f32_e32 v1, v1, v237
	v_fma_f32 v3, v218, v170, -v3
	s_delay_alu instid0(VALU_DEP_3) | instskip(NEXT) | instid1(VALU_DEP_3)
	v_dual_add_f32 v2, v2, v4 :: v_dual_mul_f32 v5, v221, v173
	v_dual_add_f32 v1, v1, v238 :: v_dual_mul_f32 v4, v223, v175
	s_delay_alu instid0(VALU_DEP_2) | instskip(NEXT) | instid1(VALU_DEP_3)
	v_add_f32_e32 v2, v2, v3
	v_fma_f32 v5, v220, v172, -v5
	s_delay_alu instid0(VALU_DEP_3) | instskip(SKIP_2) | instid1(VALU_DEP_4)
	v_add_f32_e32 v1, v1, v239
	v_mul_f32_e32 v3, v225, v177
	v_fma_f32 v4, v222, v174, -v4
	v_dual_add_f32 v2, v2, v5 :: v_dual_mul_f32 v5, v227, v179
	s_delay_alu instid0(VALU_DEP_3) | instskip(NEXT) | instid1(VALU_DEP_2)
	v_fma_f32 v3, v224, v176, -v3
	v_add_f32_e32 v2, v2, v4
	v_add_f32_e32 v1, v1, v240
	v_mul_f32_e32 v4, v229, v181
	v_fma_f32 v5, v226, v178, -v5
	s_delay_alu instid0(VALU_DEP_4) | instskip(SKIP_1) | instid1(VALU_DEP_4)
	v_dual_add_f32 v2, v2, v3 :: v_dual_fmac_f32 v249, v227, v178
	v_mul_f32_e32 v3, v231, v183
	v_fma_f32 v4, v228, v180, -v4
	s_delay_alu instid0(VALU_DEP_3) | instskip(SKIP_1) | instid1(VALU_DEP_4)
	v_add_f32_e32 v2, v2, v5
	v_add_f32_e32 v1, v1, v241
	v_fma_f32 v3, v230, v182, -v3
	s_delay_alu instid0(VALU_DEP_2) | instskip(NEXT) | instid1(VALU_DEP_1)
	v_dual_add_f32 v2, v2, v4 :: v_dual_add_f32 v1, v1, v242
	v_add_f32_e32 v2, v2, v3
	s_delay_alu instid0(VALU_DEP_2) | instskip(NEXT) | instid1(VALU_DEP_1)
	v_add_f32_e32 v1, v1, v243
	v_add_f32_e32 v1, v1, v244
	s_delay_alu instid0(VALU_DEP_1) | instskip(NEXT) | instid1(VALU_DEP_1)
	v_add_f32_e32 v1, v1, v245
	v_add_f32_e32 v1, v1, v246
	s_delay_alu instid0(VALU_DEP_1) | instskip(NEXT) | instid1(VALU_DEP_1)
	v_add_f32_e32 v1, v1, v247
	v_add_f32_e32 v1, v1, v248
	s_delay_alu instid0(VALU_DEP_1) | instskip(NEXT) | instid1(VALU_DEP_1)
	v_add_f32_e32 v1, v1, v249
	v_add_f32_e32 v1, v1, v250
	s_delay_alu instid0(VALU_DEP_1) | instskip(SKIP_1) | instid1(VALU_DEP_1)
	v_add_f32_e32 v3, v1, v251
	s_wait_loadcnt 0x0
	v_dual_sub_f32 v1, v30, v2 :: v_dual_sub_f32 v2, v31, v3
	scratch_store_b64 off, v[1:2], off offset:312
	v_cmpx_lt_u32_e32 38, v0
	s_cbranch_execz .LBB127_321
; %bb.320:
	scratch_load_b64 v[1:2], off, off offset:304
	v_mov_b32_e32 v3, 0
	s_delay_alu instid0(VALU_DEP_1)
	v_mov_b32_e32 v4, v3
	scratch_store_b64 off, v[3:4], off offset:304
	s_wait_loadcnt 0x0
	ds_store_b64 v163, v[1:2]
.LBB127_321:
	s_wait_alu 0xfffe
	s_or_b32 exec_lo, exec_lo, s0
	s_wait_storecnt_dscnt 0x0
	s_barrier_signal -1
	s_barrier_wait -1
	global_inv scope:SCOPE_SE
	s_clause 0x4
	scratch_load_b128 v[2:5], off, off offset:312
	scratch_load_b128 v[6:9], off, off offset:328
	scratch_load_b128 v[10:13], off, off offset:344
	scratch_load_b128 v[14:17], off, off offset:360
	scratch_load_b128 v[18:21], off, off offset:376
	v_mov_b32_e32 v1, 0
	ds_load_2addr_b64 v[22:25], v1 offset0:103 offset1:104
	ds_load_2addr_b64 v[26:29], v1 offset0:105 offset1:106
	;; [unrolled: 1-line block ×3, first 2 shown]
	scratch_load_b64 v[30:31], off, off offset:304
	s_mov_b32 s0, exec_lo
	s_wait_loadcnt_dscnt 0x502
	v_mul_f32_e32 v32, v23, v3
	v_dual_mul_f32 v161, v22, v3 :: v_dual_mul_f32 v162, v24, v5
	v_mul_f32_e32 v3, v25, v5
	s_wait_loadcnt_dscnt 0x300
	v_mul_f32_e32 v168, v166, v13
	v_fma_f32 v22, v22, v2, -v32
	v_dual_fmac_f32 v161, v23, v2 :: v_dual_fmac_f32 v162, v25, v4
	v_fma_f32 v23, v24, v4, -v3
	ds_load_2addr_b64 v[2:5], v1 offset0:109 offset1:110
	v_mul_f32_e32 v24, v26, v7
	v_mul_f32_e32 v7, v27, v7
	;; [unrolled: 1-line block ×3, first 2 shown]
	v_dual_mul_f32 v9, v29, v9 :: v_dual_mul_f32 v32, v164, v11
	v_dual_mul_f32 v11, v165, v11 :: v_dual_fmac_f32 v168, v167, v12
	v_mul_f32_e32 v13, v167, v13
	s_delay_alu instid0(VALU_DEP_4) | instskip(NEXT) | instid1(VALU_DEP_4)
	v_dual_fmac_f32 v24, v27, v6 :: v_dual_fmac_f32 v25, v29, v8
	v_fma_f32 v27, v28, v8, -v9
	v_fmac_f32_e32 v32, v165, v10
	v_fma_f32 v28, v164, v10, -v11
	v_fma_f32 v29, v166, v12, -v13
	ds_load_2addr_b64 v[10:13], v1 offset0:111 offset1:112
	v_fma_f32 v26, v26, v6, -v7
	scratch_load_b128 v[6:9], off, off offset:392
	s_wait_loadcnt_dscnt 0x301
	v_mul_f32_e32 v164, v2, v15
	v_mul_f32_e32 v15, v3, v15
	;; [unrolled: 1-line block ×3, first 2 shown]
	s_delay_alu instid0(VALU_DEP_3) | instskip(NEXT) | instid1(VALU_DEP_3)
	v_dual_mul_f32 v17, v5, v17 :: v_dual_fmac_f32 v164, v3, v14
	v_fma_f32 v14, v2, v14, -v15
	s_wait_loadcnt_dscnt 0x200
	s_delay_alu instid0(VALU_DEP_3) | instskip(NEXT) | instid1(VALU_DEP_3)
	v_dual_fmac_f32 v165, v5, v16 :: v_dual_mul_f32 v166, v10, v19
	v_fma_f32 v15, v4, v16, -v17
	v_dual_mul_f32 v16, v11, v19 :: v_dual_mul_f32 v19, v12, v21
	s_delay_alu instid0(VALU_DEP_3)
	v_dual_mul_f32 v17, v13, v21 :: v_dual_fmac_f32 v166, v11, v18
	ds_load_2addr_b64 v[2:5], v1 offset0:113 offset1:114
	v_fma_f32 v18, v10, v18, -v16
	v_fmac_f32_e32 v19, v13, v20
	v_fma_f32 v20, v12, v20, -v17
	scratch_load_b128 v[10:13], off, off offset:408
	s_wait_loadcnt_dscnt 0x100
	v_mul_f32_e32 v21, v2, v7
	v_mul_f32_e32 v7, v3, v7
	;; [unrolled: 1-line block ×4, first 2 shown]
	s_delay_alu instid0(VALU_DEP_4) | instskip(NEXT) | instid1(VALU_DEP_4)
	v_fmac_f32_e32 v21, v3, v6
	v_fma_f32 v169, v2, v6, -v7
	s_delay_alu instid0(VALU_DEP_4) | instskip(NEXT) | instid1(VALU_DEP_4)
	v_fmac_f32_e32 v167, v5, v8
	v_fma_f32 v170, v4, v8, -v9
	ds_load_2addr_b64 v[2:5], v1 offset0:115 offset1:116
	ds_load_2addr_b64 v[6:9], v1 offset0:117 offset1:118
	s_wait_loadcnt_dscnt 0x1
	v_mul_f32_e32 v171, v2, v11
	v_dual_mul_f32 v11, v3, v11 :: v_dual_mul_f32 v172, v4, v13
	s_delay_alu instid0(VALU_DEP_2) | instskip(NEXT) | instid1(VALU_DEP_2)
	v_fmac_f32_e32 v171, v3, v10
	v_fma_f32 v173, v2, v10, -v11
	v_mul_f32_e32 v2, v5, v13
	s_delay_alu instid0(VALU_DEP_4) | instskip(NEXT) | instid1(VALU_DEP_2)
	v_fmac_f32_e32 v172, v5, v12
	v_fma_f32 v174, v4, v12, -v2
	s_clause 0x1
	scratch_load_b128 v[2:5], off, off offset:424
	scratch_load_b128 v[10:13], off, off offset:440
	s_wait_loadcnt_dscnt 0x100
	v_mul_f32_e32 v175, v6, v3
	v_mul_f32_e32 v3, v7, v3
	s_delay_alu instid0(VALU_DEP_2) | instskip(NEXT) | instid1(VALU_DEP_2)
	v_fmac_f32_e32 v175, v7, v2
	v_fma_f32 v176, v6, v2, -v3
	v_mul_f32_e32 v2, v9, v5
	s_delay_alu instid0(VALU_DEP_1) | instskip(SKIP_1) | instid1(VALU_DEP_1)
	v_fma_f32 v178, v8, v4, -v2
	v_add_f32_e32 v2, 0, v22
	v_add_f32_e32 v6, v2, v23
	s_delay_alu instid0(VALU_DEP_1) | instskip(NEXT) | instid1(VALU_DEP_1)
	v_add_f32_e32 v6, v6, v26
	v_add_f32_e32 v16, v6, v27
	scratch_load_b64 v[26:27], off, off offset:504
	v_add_f32_e32 v16, v16, v28
	s_delay_alu instid0(VALU_DEP_1) | instskip(NEXT) | instid1(VALU_DEP_1)
	v_add_f32_e32 v16, v16, v29
	v_add_f32_e32 v14, v16, v14
	s_delay_alu instid0(VALU_DEP_1) | instskip(NEXT) | instid1(VALU_DEP_1)
	v_add_f32_e32 v23, v14, v15
	v_dual_mul_f32 v177, v8, v5 :: v_dual_add_f32 v18, v23, v18
	s_delay_alu instid0(VALU_DEP_1) | instskip(NEXT) | instid1(VALU_DEP_1)
	v_dual_add_f32 v7, 0, v161 :: v_dual_add_f32 v18, v18, v20
	v_dual_add_f32 v7, v7, v162 :: v_dual_add_f32 v18, v18, v169
	s_delay_alu instid0(VALU_DEP_1) | instskip(NEXT) | instid1(VALU_DEP_1)
	v_dual_add_f32 v7, v7, v24 :: v_dual_add_f32 v18, v18, v170
	v_add_f32_e32 v28, v18, v173
	s_delay_alu instid0(VALU_DEP_2) | instskip(NEXT) | instid1(VALU_DEP_1)
	v_add_f32_e32 v17, v7, v25
	v_add_f32_e32 v17, v17, v32
	s_delay_alu instid0(VALU_DEP_1) | instskip(NEXT) | instid1(VALU_DEP_1)
	v_add_f32_e32 v17, v17, v168
	v_add_f32_e32 v22, v17, v164
	scratch_load_b128 v[14:17], off, off offset:488
	v_dual_add_f32 v22, v22, v165 :: v_dual_fmac_f32 v177, v9, v4
	ds_load_2addr_b64 v[2:5], v1 offset0:119 offset1:120
	ds_load_2addr_b64 v[6:9], v1 offset0:121 offset1:122
	v_add_f32_e32 v22, v22, v166
	s_delay_alu instid0(VALU_DEP_1) | instskip(NEXT) | instid1(VALU_DEP_1)
	v_add_f32_e32 v19, v22, v19
	v_add_f32_e32 v19, v19, v21
	s_wait_loadcnt_dscnt 0x201
	v_mul_f32_e32 v32, v4, v13
	s_delay_alu instid0(VALU_DEP_2)
	v_add_f32_e32 v22, v19, v167
	ds_load_2addr_b64 v[18:21], v1 offset0:123 offset1:124
	v_mul_f32_e32 v13, v5, v13
	v_dual_fmac_f32 v32, v5, v12 :: v_dual_add_f32 v29, v22, v171
	ds_load_2addr_b64 v[22:25], v1 offset0:125 offset1:126
	v_fma_f32 v179, v4, v12, -v13
	v_dual_add_f32 v165, v29, v172 :: v_dual_add_f32 v164, v28, v174
	v_mul_f32_e32 v161, v2, v11
	ds_load_b64 v[28:29], v1 offset:1016
	v_dual_add_f32 v164, v164, v176 :: v_dual_mul_f32 v11, v3, v11
	v_fmac_f32_e32 v161, v3, v10
	s_delay_alu instid0(VALU_DEP_2) | instskip(NEXT) | instid1(VALU_DEP_3)
	v_add_f32_e32 v164, v164, v178
	v_fma_f32 v162, v2, v10, -v11
	s_clause 0x1
	scratch_load_b128 v[2:5], off, off offset:456
	scratch_load_b128 v[10:13], off, off offset:472
	v_add_f32_e32 v162, v164, v162
	s_delay_alu instid0(VALU_DEP_1) | instskip(SKIP_2) | instid1(VALU_DEP_1)
	v_add_f32_e32 v162, v162, v179
	s_wait_loadcnt_dscnt 0x201
	v_dual_mul_f32 v168, v22, v15 :: v_dual_mul_f32 v169, v24, v17
	v_fmac_f32_e32 v168, v23, v14
	s_wait_loadcnt 0x1
	v_mul_f32_e32 v166, v6, v3
	v_mul_f32_e32 v3, v7, v3
	s_wait_loadcnt 0x0
	v_mul_f32_e32 v164, v18, v11
	v_add_f32_e32 v165, v165, v175
	v_dual_mul_f32 v167, v8, v5 :: v_dual_fmac_f32 v166, v7, v2
	v_fma_f32 v3, v6, v2, -v3
	s_delay_alu instid0(VALU_DEP_3) | instskip(NEXT) | instid1(VALU_DEP_3)
	v_dual_fmac_f32 v164, v19, v10 :: v_dual_add_f32 v165, v165, v177
	v_fmac_f32_e32 v167, v9, v4
	s_delay_alu instid0(VALU_DEP_3) | instskip(SKIP_1) | instid1(VALU_DEP_4)
	v_dual_mul_f32 v6, v21, v13 :: v_dual_add_f32 v3, v162, v3
	v_mul_f32_e32 v5, v9, v5
	v_add_f32_e32 v161, v165, v161
	s_delay_alu instid0(VALU_DEP_3) | instskip(NEXT) | instid1(VALU_DEP_3)
	v_fma_f32 v6, v20, v12, -v6
	v_fma_f32 v2, v8, v4, -v5
	v_mul_f32_e32 v4, v19, v11
	s_wait_dscnt 0x0
	v_dual_add_f32 v32, v161, v32 :: v_dual_mul_f32 v161, v28, v27
	s_delay_alu instid0(VALU_DEP_3) | instskip(NEXT) | instid1(VALU_DEP_3)
	v_add_f32_e32 v2, v3, v2
	v_fma_f32 v4, v18, v10, -v4
	s_delay_alu instid0(VALU_DEP_1) | instskip(SKIP_3) | instid1(VALU_DEP_4)
	v_add_f32_e32 v2, v2, v4
	v_mul_f32_e32 v4, v25, v17
	v_mul_f32_e32 v165, v20, v13
	v_fmac_f32_e32 v161, v29, v26
	v_add_f32_e32 v2, v2, v6
	s_delay_alu instid0(VALU_DEP_4) | instskip(SKIP_3) | instid1(VALU_DEP_3)
	v_fma_f32 v4, v24, v16, -v4
	v_dual_add_f32 v5, v32, v166 :: v_dual_mul_f32 v6, v29, v27
	v_fmac_f32_e32 v165, v21, v12
	v_fmac_f32_e32 v169, v25, v16
	v_add_f32_e32 v3, v5, v167
	v_mul_f32_e32 v5, v23, v15
	s_delay_alu instid0(VALU_DEP_1) | instskip(NEXT) | instid1(VALU_DEP_1)
	v_fma_f32 v5, v22, v14, -v5
	v_add_f32_e32 v2, v2, v5
	v_fma_f32 v5, v28, v26, -v6
	s_delay_alu instid0(VALU_DEP_2) | instskip(NEXT) | instid1(VALU_DEP_1)
	v_add_f32_e32 v2, v2, v4
	v_dual_add_f32 v2, v2, v5 :: v_dual_add_f32 v3, v3, v164
	s_delay_alu instid0(VALU_DEP_1) | instskip(NEXT) | instid1(VALU_DEP_1)
	v_dual_sub_f32 v2, v30, v2 :: v_dual_add_f32 v3, v3, v165
	v_add_f32_e32 v3, v3, v168
	s_delay_alu instid0(VALU_DEP_1) | instskip(NEXT) | instid1(VALU_DEP_1)
	v_add_f32_e32 v3, v3, v169
	v_add_f32_e32 v3, v3, v161
	s_delay_alu instid0(VALU_DEP_1)
	v_sub_f32_e32 v3, v31, v3
	scratch_store_b64 off, v[2:3], off offset:304
	v_cmpx_lt_u32_e32 37, v0
	s_cbranch_execz .LBB127_323
; %bb.322:
	scratch_load_b64 v[3:4], off, off offset:296
	v_mov_b32_e32 v2, v1
	scratch_store_b64 off, v[1:2], off offset:296
	s_wait_loadcnt 0x0
	ds_store_b64 v163, v[3:4]
.LBB127_323:
	s_wait_alu 0xfffe
	s_or_b32 exec_lo, exec_lo, s0
	s_wait_storecnt_dscnt 0x0
	s_barrier_signal -1
	s_barrier_wait -1
	global_inv scope:SCOPE_SE
	s_clause 0x4
	scratch_load_b128 v[2:5], off, off offset:304
	scratch_load_b128 v[6:9], off, off offset:320
	;; [unrolled: 1-line block ×5, first 2 shown]
	ds_load_b128 v[22:25], v1 offset:816
	ds_load_b128 v[26:29], v1 offset:832
	;; [unrolled: 1-line block ×3, first 2 shown]
	scratch_load_b64 v[30:31], off, off offset:296
	s_mov_b32 s0, exec_lo
	s_wait_loadcnt_dscnt 0x502
	v_mul_f32_e32 v32, v23, v3
	v_dual_mul_f32 v161, v22, v3 :: v_dual_mul_f32 v162, v24, v5
	v_mul_f32_e32 v3, v25, v5
	s_wait_loadcnt_dscnt 0x300
	v_mul_f32_e32 v168, v166, v13
	v_fma_f32 v22, v22, v2, -v32
	v_dual_fmac_f32 v161, v23, v2 :: v_dual_fmac_f32 v162, v25, v4
	v_fma_f32 v23, v24, v4, -v3
	ds_load_b128 v[2:5], v1 offset:864
	v_dual_mul_f32 v24, v26, v7 :: v_dual_mul_f32 v25, v28, v9
	v_mul_f32_e32 v7, v27, v7
	v_dual_mul_f32 v9, v29, v9 :: v_dual_mul_f32 v32, v164, v11
	s_delay_alu instid0(VALU_DEP_3) | instskip(SKIP_2) | instid1(VALU_DEP_4)
	v_dual_mul_f32 v11, v165, v11 :: v_dual_fmac_f32 v24, v27, v6
	v_mul_f32_e32 v13, v167, v13
	v_fmac_f32_e32 v25, v29, v8
	v_fma_f32 v27, v28, v8, -v9
	v_fmac_f32_e32 v32, v165, v10
	v_fma_f32 v28, v164, v10, -v11
	;; [unrolled: 2-line block ×3, first 2 shown]
	ds_load_b128 v[10:13], v1 offset:880
	v_fma_f32 v26, v26, v6, -v7
	scratch_load_b128 v[6:9], off, off offset:384
	s_wait_loadcnt_dscnt 0x301
	v_mul_f32_e32 v164, v2, v15
	v_mul_f32_e32 v15, v3, v15
	;; [unrolled: 1-line block ×3, first 2 shown]
	s_delay_alu instid0(VALU_DEP_3) | instskip(NEXT) | instid1(VALU_DEP_2)
	v_dual_mul_f32 v17, v5, v17 :: v_dual_fmac_f32 v164, v3, v14
	v_fmac_f32_e32 v165, v5, v16
	s_delay_alu instid0(VALU_DEP_2)
	v_fma_f32 v167, v4, v16, -v17
	s_wait_loadcnt_dscnt 0x200
	v_mul_f32_e32 v170, v12, v21
	v_fma_f32 v166, v2, v14, -v15
	v_mul_f32_e32 v169, v10, v19
	v_dual_mul_f32 v14, v11, v19 :: v_dual_mul_f32 v15, v13, v21
	ds_load_b128 v[2:5], v1 offset:896
	v_dual_fmac_f32 v170, v13, v20 :: v_dual_fmac_f32 v169, v11, v18
	v_fma_f32 v18, v10, v18, -v14
	v_fma_f32 v19, v12, v20, -v15
	scratch_load_b128 v[10:13], off, off offset:400
	s_wait_loadcnt_dscnt 0x100
	v_dual_mul_f32 v172, v4, v9 :: v_dual_mul_f32 v171, v2, v7
	v_mul_f32_e32 v7, v3, v7
	v_mul_f32_e32 v9, v5, v9
	s_delay_alu instid0(VALU_DEP_3) | instskip(NEXT) | instid1(VALU_DEP_3)
	v_dual_fmac_f32 v172, v5, v8 :: v_dual_fmac_f32 v171, v3, v6
	v_fma_f32 v173, v2, v6, -v7
	s_delay_alu instid0(VALU_DEP_3)
	v_fma_f32 v174, v4, v8, -v9
	ds_load_b128 v[2:5], v1 offset:912
	ds_load_b128 v[6:9], v1 offset:928
	s_wait_loadcnt_dscnt 0x1
	v_mul_f32_e32 v175, v2, v11
	v_dual_mul_f32 v11, v3, v11 :: v_dual_mul_f32 v176, v4, v13
	s_delay_alu instid0(VALU_DEP_1) | instskip(NEXT) | instid1(VALU_DEP_3)
	v_fma_f32 v177, v2, v10, -v11
	v_dual_mul_f32 v2, v5, v13 :: v_dual_fmac_f32 v175, v3, v10
	s_delay_alu instid0(VALU_DEP_3) | instskip(NEXT) | instid1(VALU_DEP_2)
	v_fmac_f32_e32 v176, v5, v12
	v_fma_f32 v178, v4, v12, -v2
	s_clause 0x1
	scratch_load_b128 v[2:5], off, off offset:416
	scratch_load_b128 v[10:13], off, off offset:432
	s_wait_loadcnt_dscnt 0x100
	v_mul_f32_e32 v179, v6, v3
	v_mul_f32_e32 v3, v7, v3
	;; [unrolled: 1-line block ×3, first 2 shown]
	s_delay_alu instid0(VALU_DEP_2) | instskip(SKIP_1) | instid1(VALU_DEP_1)
	v_fma_f32 v180, v6, v2, -v3
	v_add_f32_e32 v3, 0, v161
	v_add_f32_e32 v6, v3, v162
	s_delay_alu instid0(VALU_DEP_1) | instskip(SKIP_1) | instid1(VALU_DEP_2)
	v_dual_add_f32 v14, v6, v24 :: v_dual_fmac_f32 v179, v7, v2
	v_mul_f32_e32 v2, v9, v5
	v_add_f32_e32 v14, v14, v25
	s_delay_alu instid0(VALU_DEP_2) | instskip(SKIP_1) | instid1(VALU_DEP_3)
	v_fma_f32 v182, v8, v4, -v2
	v_add_f32_e32 v2, 0, v22
	v_add_f32_e32 v14, v14, v32
	s_delay_alu instid0(VALU_DEP_2) | instskip(NEXT) | instid1(VALU_DEP_2)
	v_add_f32_e32 v2, v2, v23
	v_add_f32_e32 v21, v14, v168
	s_delay_alu instid0(VALU_DEP_2) | instskip(NEXT) | instid1(VALU_DEP_2)
	;; [unrolled: 3-line block ×3, first 2 shown]
	v_add_f32_e32 v15, v7, v27
	v_add_f32_e32 v21, v21, v165
	s_delay_alu instid0(VALU_DEP_1)
	v_dual_add_f32 v15, v15, v28 :: v_dual_add_f32 v22, v21, v169
	v_fmac_f32_e32 v181, v9, v4
	ds_load_b128 v[2:5], v1 offset:944
	scratch_load_b128 v[6:9], off, off offset:448
	v_add_f32_e32 v20, v15, v29
	ds_load_b128 v[14:17], v1 offset:960
	v_add_f32_e32 v22, v22, v170
	v_add_f32_e32 v20, v20, v166
	s_delay_alu instid0(VALU_DEP_2) | instskip(NEXT) | instid1(VALU_DEP_2)
	v_add_f32_e32 v22, v22, v171
	v_add_f32_e32 v20, v20, v167
	s_delay_alu instid0(VALU_DEP_1) | instskip(SKIP_4) | instid1(VALU_DEP_3)
	v_add_f32_e32 v18, v20, v18
	s_wait_loadcnt_dscnt 0x101
	v_mul_f32_e32 v26, v2, v11
	v_mul_f32_e32 v11, v3, v11
	;; [unrolled: 1-line block ×3, first 2 shown]
	v_dual_mul_f32 v13, v5, v13 :: v_dual_fmac_f32 v26, v3, v10
	v_add_f32_e32 v23, v18, v19
	s_delay_alu instid0(VALU_DEP_4) | instskip(NEXT) | instid1(VALU_DEP_3)
	v_fma_f32 v28, v2, v10, -v11
	v_fma_f32 v29, v4, v12, -v13
	scratch_load_b128 v[18:21], off, off offset:496
	v_add_f32_e32 v23, v23, v173
	s_delay_alu instid0(VALU_DEP_1)
	v_add_f32_e32 v23, v23, v174
	v_fmac_f32_e32 v27, v5, v12
	s_clause 0x1
	scratch_load_b128 v[2:5], off, off offset:464
	scratch_load_b128 v[10:13], off, off offset:480
	s_wait_loadcnt_dscnt 0x300
	v_mul_f32_e32 v32, v14, v7
	v_mul_f32_e32 v7, v15, v7
	s_delay_alu instid0(VALU_DEP_2) | instskip(NEXT) | instid1(VALU_DEP_2)
	v_fmac_f32_e32 v32, v15, v6
	v_fma_f32 v162, v14, v6, -v7
	v_add_f32_e32 v14, v22, v172
	s_delay_alu instid0(VALU_DEP_1) | instskip(SKIP_1) | instid1(VALU_DEP_2)
	v_dual_add_f32 v22, v23, v177 :: v_dual_add_f32 v23, v14, v175
	v_mul_f32_e32 v161, v16, v9
	v_dual_mul_f32 v9, v17, v9 :: v_dual_add_f32 v166, v23, v176
	s_delay_alu instid0(VALU_DEP_2) | instskip(NEXT) | instid1(VALU_DEP_2)
	v_fmac_f32_e32 v161, v17, v8
	v_fma_f32 v164, v16, v8, -v9
	ds_load_b128 v[6:9], v1 offset:976
	ds_load_b128 v[14:17], v1 offset:992
	v_add_f32_e32 v165, v22, v178
	ds_load_b128 v[22:25], v1 offset:1008
	v_add_f32_e32 v1, v165, v180
	v_add_f32_e32 v165, v166, v179
	s_wait_loadcnt_dscnt 0x102
	v_mul_f32_e32 v166, v6, v3
	s_delay_alu instid0(VALU_DEP_1) | instskip(SKIP_1) | instid1(VALU_DEP_1)
	v_dual_fmac_f32 v166, v7, v2 :: v_dual_add_f32 v165, v165, v181
	s_wait_loadcnt_dscnt 0x1
	v_dual_add_f32 v26, v165, v26 :: v_dual_mul_f32 v165, v14, v11
	s_delay_alu instid0(VALU_DEP_1) | instskip(SKIP_3) | instid1(VALU_DEP_3)
	v_dual_add_f32 v26, v26, v27 :: v_dual_fmac_f32 v165, v15, v10
	v_mul_f32_e32 v3, v7, v3
	s_wait_dscnt 0x0
	v_mul_f32_e32 v27, v22, v19
	v_add_f32_e32 v26, v26, v32
	s_delay_alu instid0(VALU_DEP_3) | instskip(NEXT) | instid1(VALU_DEP_3)
	v_fma_f32 v3, v6, v2, -v3
	v_fmac_f32_e32 v27, v23, v18
	v_mul_f32_e32 v167, v16, v13
	s_delay_alu instid0(VALU_DEP_4) | instskip(NEXT) | instid1(VALU_DEP_2)
	v_add_f32_e32 v2, v26, v161
	v_dual_mul_f32 v6, v15, v11 :: v_dual_fmac_f32 v167, v17, v12
	s_delay_alu instid0(VALU_DEP_2) | instskip(SKIP_1) | instid1(VALU_DEP_1)
	v_add_f32_e32 v2, v2, v166
	v_add_f32_e32 v1, v1, v182
	v_dual_add_f32 v1, v1, v28 :: v_dual_mul_f32 v28, v8, v5
	v_mul_f32_e32 v5, v9, v5
	s_delay_alu instid0(VALU_DEP_2) | instskip(NEXT) | instid1(VALU_DEP_2)
	v_fmac_f32_e32 v28, v9, v4
	v_fma_f32 v4, v8, v4, -v5
	v_fma_f32 v5, v14, v10, -v6
	s_delay_alu instid0(VALU_DEP_3) | instskip(NEXT) | instid1(VALU_DEP_1)
	v_add_f32_e32 v2, v2, v28
	v_add_f32_e32 v2, v2, v165
	;; [unrolled: 1-line block ×3, first 2 shown]
	s_delay_alu instid0(VALU_DEP_2) | instskip(NEXT) | instid1(VALU_DEP_1)
	v_dual_mul_f32 v29, v24, v21 :: v_dual_add_f32 v2, v2, v167
	v_dual_fmac_f32 v29, v25, v20 :: v_dual_add_f32 v2, v2, v27
	s_delay_alu instid0(VALU_DEP_1) | instskip(NEXT) | instid1(VALU_DEP_1)
	v_dual_add_f32 v1, v1, v162 :: v_dual_add_f32 v2, v2, v29
	v_dual_add_f32 v1, v1, v164 :: v_dual_sub_f32 v2, v31, v2
	s_delay_alu instid0(VALU_DEP_1) | instskip(SKIP_1) | instid1(VALU_DEP_2)
	v_add_f32_e32 v1, v1, v3
	v_mul_f32_e32 v3, v17, v13
	v_dual_add_f32 v1, v1, v4 :: v_dual_mul_f32 v4, v23, v19
	s_delay_alu instid0(VALU_DEP_2) | instskip(NEXT) | instid1(VALU_DEP_2)
	v_fma_f32 v3, v16, v12, -v3
	v_add_f32_e32 v1, v1, v5
	v_mul_f32_e32 v5, v25, v21
	s_delay_alu instid0(VALU_DEP_4) | instskip(NEXT) | instid1(VALU_DEP_3)
	v_fma_f32 v4, v22, v18, -v4
	v_add_f32_e32 v1, v1, v3
	s_delay_alu instid0(VALU_DEP_3) | instskip(NEXT) | instid1(VALU_DEP_2)
	v_fma_f32 v3, v24, v20, -v5
	v_add_f32_e32 v1, v1, v4
	s_delay_alu instid0(VALU_DEP_1) | instskip(NEXT) | instid1(VALU_DEP_1)
	v_add_f32_e32 v1, v1, v3
	v_sub_f32_e32 v1, v30, v1
	scratch_store_b64 off, v[1:2], off offset:296
	v_cmpx_lt_u32_e32 36, v0
	s_cbranch_execz .LBB127_325
; %bb.324:
	scratch_load_b64 v[1:2], off, off offset:288
	v_mov_b32_e32 v3, 0
	s_delay_alu instid0(VALU_DEP_1)
	v_mov_b32_e32 v4, v3
	scratch_store_b64 off, v[3:4], off offset:288
	s_wait_loadcnt 0x0
	ds_store_b64 v163, v[1:2]
.LBB127_325:
	s_wait_alu 0xfffe
	s_or_b32 exec_lo, exec_lo, s0
	s_wait_storecnt_dscnt 0x0
	s_barrier_signal -1
	s_barrier_wait -1
	global_inv scope:SCOPE_SE
	s_clause 0x4
	scratch_load_b128 v[2:5], off, off offset:296
	scratch_load_b128 v[6:9], off, off offset:312
	;; [unrolled: 1-line block ×5, first 2 shown]
	v_mov_b32_e32 v1, 0
	ds_load_2addr_b64 v[22:25], v1 offset0:101 offset1:102
	ds_load_2addr_b64 v[26:29], v1 offset0:103 offset1:104
	;; [unrolled: 1-line block ×3, first 2 shown]
	scratch_load_b64 v[30:31], off, off offset:288
	s_mov_b32 s0, exec_lo
	s_wait_loadcnt_dscnt 0x502
	v_mul_f32_e32 v32, v23, v3
	v_dual_mul_f32 v161, v22, v3 :: v_dual_mul_f32 v162, v24, v5
	v_mul_f32_e32 v3, v25, v5
	s_wait_loadcnt_dscnt 0x300
	v_mul_f32_e32 v168, v166, v13
	v_fma_f32 v22, v22, v2, -v32
	v_dual_fmac_f32 v161, v23, v2 :: v_dual_fmac_f32 v162, v25, v4
	v_fma_f32 v23, v24, v4, -v3
	v_mul_f32_e32 v24, v26, v7
	v_mul_f32_e32 v7, v27, v7
	;; [unrolled: 1-line block ×3, first 2 shown]
	v_dual_mul_f32 v9, v29, v9 :: v_dual_mul_f32 v32, v164, v11
	ds_load_2addr_b64 v[2:5], v1 offset0:107 offset1:108
	v_fmac_f32_e32 v24, v27, v6
	v_fma_f32 v26, v26, v6, -v7
	v_fmac_f32_e32 v25, v29, v8
	v_fma_f32 v27, v28, v8, -v9
	scratch_load_b128 v[6:9], off, off offset:376
	v_dual_mul_f32 v11, v165, v11 :: v_dual_fmac_f32 v168, v167, v12
	v_dual_mul_f32 v13, v167, v13 :: v_dual_fmac_f32 v32, v165, v10
	s_delay_alu instid0(VALU_DEP_2) | instskip(NEXT) | instid1(VALU_DEP_2)
	v_fma_f32 v28, v164, v10, -v11
	v_fma_f32 v29, v166, v12, -v13
	ds_load_2addr_b64 v[10:13], v1 offset0:109 offset1:110
	s_wait_loadcnt_dscnt 0x301
	v_mul_f32_e32 v164, v2, v15
	v_mul_f32_e32 v15, v3, v15
	;; [unrolled: 1-line block ×3, first 2 shown]
	s_delay_alu instid0(VALU_DEP_3) | instskip(SKIP_1) | instid1(VALU_DEP_2)
	v_dual_mul_f32 v17, v5, v17 :: v_dual_fmac_f32 v164, v3, v14
	s_wait_loadcnt_dscnt 0x200
	v_dual_fmac_f32 v165, v5, v16 :: v_dual_mul_f32 v170, v12, v21
	v_fma_f32 v166, v2, v14, -v15
	v_mul_f32_e32 v14, v11, v19
	v_fma_f32 v167, v4, v16, -v17
	ds_load_2addr_b64 v[2:5], v1 offset0:111 offset1:112
	v_dual_mul_f32 v169, v10, v19 :: v_dual_fmac_f32 v170, v13, v20
	v_mul_f32_e32 v15, v13, v21
	s_delay_alu instid0(VALU_DEP_1) | instskip(SKIP_1) | instid1(VALU_DEP_3)
	v_fma_f32 v19, v12, v20, -v15
	s_wait_loadcnt_dscnt 0x0
	v_dual_mul_f32 v172, v4, v9 :: v_dual_fmac_f32 v169, v11, v18
	v_fma_f32 v18, v10, v18, -v14
	scratch_load_b128 v[10:13], off, off offset:392
	v_mul_f32_e32 v171, v2, v7
	v_mul_f32_e32 v7, v3, v7
	;; [unrolled: 1-line block ×3, first 2 shown]
	s_delay_alu instid0(VALU_DEP_3) | instskip(NEXT) | instid1(VALU_DEP_3)
	v_dual_fmac_f32 v172, v5, v8 :: v_dual_fmac_f32 v171, v3, v6
	v_fma_f32 v173, v2, v6, -v7
	s_delay_alu instid0(VALU_DEP_3)
	v_fma_f32 v174, v4, v8, -v9
	ds_load_2addr_b64 v[2:5], v1 offset0:113 offset1:114
	ds_load_2addr_b64 v[6:9], v1 offset0:115 offset1:116
	s_wait_loadcnt_dscnt 0x1
	v_mul_f32_e32 v175, v2, v11
	v_dual_mul_f32 v11, v3, v11 :: v_dual_mul_f32 v176, v4, v13
	s_delay_alu instid0(VALU_DEP_2) | instskip(NEXT) | instid1(VALU_DEP_2)
	v_fmac_f32_e32 v175, v3, v10
	v_fma_f32 v177, v2, v10, -v11
	v_mul_f32_e32 v2, v5, v13
	s_delay_alu instid0(VALU_DEP_4) | instskip(NEXT) | instid1(VALU_DEP_2)
	v_fmac_f32_e32 v176, v5, v12
	v_fma_f32 v178, v4, v12, -v2
	s_clause 0x1
	scratch_load_b128 v[2:5], off, off offset:408
	scratch_load_b128 v[10:13], off, off offset:424
	s_wait_loadcnt_dscnt 0x100
	v_mul_f32_e32 v179, v6, v3
	v_mul_f32_e32 v3, v7, v3
	;; [unrolled: 1-line block ×3, first 2 shown]
	s_delay_alu instid0(VALU_DEP_2) | instskip(SKIP_1) | instid1(VALU_DEP_1)
	v_fma_f32 v180, v6, v2, -v3
	v_add_f32_e32 v3, 0, v161
	v_add_f32_e32 v6, v3, v162
	s_delay_alu instid0(VALU_DEP_1) | instskip(NEXT) | instid1(VALU_DEP_1)
	v_add_f32_e32 v14, v6, v24
	v_dual_add_f32 v14, v14, v25 :: v_dual_fmac_f32 v179, v7, v2
	v_mul_f32_e32 v2, v9, v5
	s_delay_alu instid0(VALU_DEP_2) | instskip(NEXT) | instid1(VALU_DEP_2)
	v_add_f32_e32 v14, v14, v32
	v_fma_f32 v182, v8, v4, -v2
	s_delay_alu instid0(VALU_DEP_2) | instskip(NEXT) | instid1(VALU_DEP_1)
	v_dual_add_f32 v2, 0, v22 :: v_dual_add_f32 v21, v14, v168
	v_dual_add_f32 v2, v2, v23 :: v_dual_add_f32 v21, v21, v164
	s_delay_alu instid0(VALU_DEP_1) | instskip(NEXT) | instid1(VALU_DEP_1)
	v_add_f32_e32 v21, v21, v165
	v_dual_add_f32 v7, v2, v26 :: v_dual_add_f32 v22, v21, v169
	s_delay_alu instid0(VALU_DEP_1)
	v_add_f32_e32 v15, v7, v27
	scratch_load_b64 v[26:27], off, off offset:504
	v_dual_add_f32 v22, v22, v170 :: v_dual_add_f32 v15, v15, v28
	v_fmac_f32_e32 v181, v9, v4
	scratch_load_b128 v[2:5], off, off offset:440
	ds_load_2addr_b64 v[6:9], v1 offset0:117 offset1:118
	v_add_f32_e32 v22, v22, v171
	v_add_f32_e32 v20, v15, v29
	ds_load_2addr_b64 v[14:17], v1 offset0:119 offset1:120
	v_add_f32_e32 v22, v22, v172
	v_add_f32_e32 v20, v20, v166
	s_delay_alu instid0(VALU_DEP_1) | instskip(NEXT) | instid1(VALU_DEP_1)
	v_add_f32_e32 v20, v20, v167
	v_add_f32_e32 v18, v20, v18
	s_wait_loadcnt_dscnt 0x201
	v_mul_f32_e32 v32, v6, v11
	v_mul_f32_e32 v11, v7, v11
	;; [unrolled: 1-line block ×4, first 2 shown]
	s_delay_alu instid0(VALU_DEP_4) | instskip(NEXT) | instid1(VALU_DEP_4)
	v_dual_add_f32 v23, v18, v19 :: v_dual_fmac_f32 v32, v7, v10
	v_fma_f32 v162, v6, v10, -v11
	s_delay_alu instid0(VALU_DEP_4) | instskip(NEXT) | instid1(VALU_DEP_4)
	v_fmac_f32_e32 v161, v9, v12
	v_fma_f32 v164, v8, v12, -v13
	s_clause 0x2
	scratch_load_b128 v[6:9], off, off offset:456
	scratch_load_b128 v[10:13], off, off offset:472
	scratch_load_b128 v[18:21], off, off offset:488
	v_add_f32_e32 v23, v23, v173
	s_wait_loadcnt_dscnt 0x300
	v_dual_mul_f32 v166, v16, v5 :: v_dual_mul_f32 v165, v14, v3
	s_delay_alu instid0(VALU_DEP_1) | instskip(NEXT) | instid1(VALU_DEP_1)
	v_dual_mul_f32 v3, v15, v3 :: v_dual_fmac_f32 v166, v17, v4
	v_fma_f32 v167, v14, v2, -v3
	v_add_f32_e32 v14, v22, v175
	s_delay_alu instid0(VALU_DEP_1) | instskip(NEXT) | instid1(VALU_DEP_1)
	v_add_f32_e32 v22, v14, v176
	v_add_f32_e32 v29, v22, v179
	s_delay_alu instid0(VALU_DEP_1) | instskip(NEXT) | instid1(VALU_DEP_1)
	v_dual_add_f32 v23, v23, v174 :: v_dual_add_f32 v170, v29, v181
	v_dual_add_f32 v23, v23, v177 :: v_dual_add_f32 v32, v170, v32
	s_delay_alu instid0(VALU_DEP_1) | instskip(NEXT) | instid1(VALU_DEP_2)
	v_dual_add_f32 v32, v32, v161 :: v_dual_fmac_f32 v165, v15, v2
	v_add_f32_e32 v15, v23, v178
	ds_load_2addr_b64 v[22:25], v1 offset0:125 offset1:126
	v_add_f32_e32 v28, v15, v180
	s_delay_alu instid0(VALU_DEP_1) | instskip(SKIP_2) | instid1(VALU_DEP_1)
	v_add_f32_e32 v169, v28, v182
	ds_load_b64 v[28:29], v1 offset:1016
	v_add_f32_e32 v162, v169, v162
	v_dual_add_f32 v162, v162, v164 :: v_dual_mul_f32 v5, v17, v5
	s_delay_alu instid0(VALU_DEP_1) | instskip(NEXT) | instid1(VALU_DEP_2)
	v_add_f32_e32 v162, v162, v167
	v_fma_f32 v168, v16, v4, -v5
	ds_load_2addr_b64 v[2:5], v1 offset0:121 offset1:122
	ds_load_2addr_b64 v[14:17], v1 offset0:123 offset1:124
	s_wait_loadcnt_dscnt 0x3
	v_mul_f32_e32 v167, v22, v19
	v_add_f32_e32 v162, v162, v168
	v_mul_f32_e32 v168, v24, v21
	s_wait_dscnt 0x1
	s_delay_alu instid0(VALU_DEP_1)
	v_dual_fmac_f32 v168, v25, v20 :: v_dual_mul_f32 v161, v4, v9
	s_wait_dscnt 0x0
	v_mul_f32_e32 v164, v14, v11
	v_dual_add_f32 v32, v32, v165 :: v_dual_mul_f32 v169, v2, v7
	v_mul_f32_e32 v7, v3, v7
	v_mul_f32_e32 v9, v5, v9
	s_delay_alu instid0(VALU_DEP_4) | instskip(NEXT) | instid1(VALU_DEP_4)
	v_dual_mul_f32 v165, v16, v13 :: v_dual_fmac_f32 v164, v15, v10
	v_add_f32_e32 v32, v32, v166
	s_delay_alu instid0(VALU_DEP_4) | instskip(SKIP_1) | instid1(VALU_DEP_2)
	v_fma_f32 v2, v2, v6, -v7
	v_mul_f32_e32 v166, v28, v27
	v_add_f32_e32 v2, v162, v2
	v_fmac_f32_e32 v169, v3, v6
	v_fma_f32 v3, v4, v8, -v9
	v_mul_f32_e32 v4, v15, v11
	v_dual_mul_f32 v6, v17, v13 :: v_dual_fmac_f32 v167, v23, v18
	v_fmac_f32_e32 v166, v29, v26
	s_delay_alu instid0(VALU_DEP_4) | instskip(NEXT) | instid1(VALU_DEP_4)
	v_add_f32_e32 v2, v2, v3
	v_fma_f32 v4, v14, v10, -v4
	s_delay_alu instid0(VALU_DEP_4) | instskip(NEXT) | instid1(VALU_DEP_2)
	v_fma_f32 v6, v16, v12, -v6
	v_add_f32_e32 v2, v2, v4
	v_fmac_f32_e32 v161, v5, v8
	v_add_f32_e32 v5, v32, v169
	v_mul_f32_e32 v4, v25, v21
	s_delay_alu instid0(VALU_DEP_4) | instskip(SKIP_1) | instid1(VALU_DEP_3)
	v_add_f32_e32 v2, v2, v6
	v_mul_f32_e32 v6, v29, v27
	v_fma_f32 v4, v24, v20, -v4
	v_add_f32_e32 v3, v5, v161
	v_mul_f32_e32 v5, v23, v19
	s_delay_alu instid0(VALU_DEP_1) | instskip(NEXT) | instid1(VALU_DEP_1)
	v_fma_f32 v5, v22, v18, -v5
	v_dual_fmac_f32 v165, v17, v12 :: v_dual_add_f32 v2, v2, v5
	v_fma_f32 v5, v28, v26, -v6
	s_delay_alu instid0(VALU_DEP_2) | instskip(NEXT) | instid1(VALU_DEP_1)
	v_add_f32_e32 v2, v2, v4
	v_dual_add_f32 v3, v3, v164 :: v_dual_add_f32 v2, v2, v5
	s_delay_alu instid0(VALU_DEP_1) | instskip(NEXT) | instid1(VALU_DEP_1)
	v_dual_add_f32 v3, v3, v165 :: v_dual_sub_f32 v2, v30, v2
	v_add_f32_e32 v3, v3, v167
	s_delay_alu instid0(VALU_DEP_1) | instskip(NEXT) | instid1(VALU_DEP_1)
	v_add_f32_e32 v3, v3, v168
	v_add_f32_e32 v3, v3, v166
	s_delay_alu instid0(VALU_DEP_1)
	v_sub_f32_e32 v3, v31, v3
	scratch_store_b64 off, v[2:3], off offset:288
	v_cmpx_lt_u32_e32 35, v0
	s_cbranch_execz .LBB127_327
; %bb.326:
	scratch_load_b64 v[3:4], off, off offset:280
	v_mov_b32_e32 v2, v1
	scratch_store_b64 off, v[1:2], off offset:280
	s_wait_loadcnt 0x0
	ds_store_b64 v163, v[3:4]
.LBB127_327:
	s_wait_alu 0xfffe
	s_or_b32 exec_lo, exec_lo, s0
	s_wait_storecnt_dscnt 0x0
	s_barrier_signal -1
	s_barrier_wait -1
	global_inv scope:SCOPE_SE
	s_clause 0x4
	scratch_load_b128 v[2:5], off, off offset:288
	scratch_load_b128 v[6:9], off, off offset:304
	;; [unrolled: 1-line block ×5, first 2 shown]
	ds_load_b128 v[22:25], v1 offset:800
	ds_load_b128 v[26:29], v1 offset:816
	;; [unrolled: 1-line block ×3, first 2 shown]
	scratch_load_b64 v[30:31], off, off offset:280
	s_mov_b32 s0, exec_lo
	s_wait_loadcnt_dscnt 0x502
	v_mul_f32_e32 v32, v23, v3
	v_dual_mul_f32 v161, v22, v3 :: v_dual_mul_f32 v162, v24, v5
	v_mul_f32_e32 v3, v25, v5
	s_wait_loadcnt_dscnt 0x300
	v_mul_f32_e32 v168, v166, v13
	v_fma_f32 v22, v22, v2, -v32
	v_dual_fmac_f32 v161, v23, v2 :: v_dual_fmac_f32 v162, v25, v4
	v_fma_f32 v23, v24, v4, -v3
	ds_load_b128 v[2:5], v1 offset:848
	v_dual_mul_f32 v24, v26, v7 :: v_dual_mul_f32 v25, v28, v9
	v_mul_f32_e32 v7, v27, v7
	v_dual_mul_f32 v9, v29, v9 :: v_dual_mul_f32 v32, v164, v11
	s_delay_alu instid0(VALU_DEP_3) | instskip(SKIP_2) | instid1(VALU_DEP_4)
	v_dual_mul_f32 v11, v165, v11 :: v_dual_fmac_f32 v24, v27, v6
	v_mul_f32_e32 v13, v167, v13
	v_fmac_f32_e32 v25, v29, v8
	v_fma_f32 v27, v28, v8, -v9
	v_fmac_f32_e32 v32, v165, v10
	v_fma_f32 v28, v164, v10, -v11
	;; [unrolled: 2-line block ×3, first 2 shown]
	ds_load_b128 v[10:13], v1 offset:864
	v_fma_f32 v26, v26, v6, -v7
	scratch_load_b128 v[6:9], off, off offset:368
	s_wait_loadcnt_dscnt 0x301
	v_mul_f32_e32 v164, v2, v15
	v_mul_f32_e32 v15, v3, v15
	v_mul_f32_e32 v165, v4, v17
	s_delay_alu instid0(VALU_DEP_3) | instskip(NEXT) | instid1(VALU_DEP_3)
	v_dual_mul_f32 v17, v5, v17 :: v_dual_fmac_f32 v164, v3, v14
	v_fma_f32 v14, v2, v14, -v15
	s_delay_alu instid0(VALU_DEP_3) | instskip(NEXT) | instid1(VALU_DEP_3)
	v_fmac_f32_e32 v165, v5, v16
	v_fma_f32 v15, v4, v16, -v17
	ds_load_b128 v[2:5], v1 offset:880
	s_wait_loadcnt_dscnt 0x201
	v_mul_f32_e32 v16, v10, v19
	v_mul_f32_e32 v17, v11, v19
	;; [unrolled: 1-line block ×3, first 2 shown]
	s_delay_alu instid0(VALU_DEP_3) | instskip(NEXT) | instid1(VALU_DEP_3)
	v_dual_mul_f32 v21, v13, v21 :: v_dual_fmac_f32 v16, v11, v18
	v_fma_f32 v17, v10, v18, -v17
	s_delay_alu instid0(VALU_DEP_3) | instskip(NEXT) | instid1(VALU_DEP_3)
	v_fmac_f32_e32 v19, v13, v20
	v_fma_f32 v18, v12, v20, -v21
	scratch_load_b128 v[10:13], off, off offset:384
	s_wait_loadcnt_dscnt 0x100
	v_mul_f32_e32 v20, v2, v7
	v_mul_f32_e32 v7, v3, v7
	;; [unrolled: 1-line block ×3, first 2 shown]
	s_delay_alu instid0(VALU_DEP_3) | instskip(NEXT) | instid1(VALU_DEP_3)
	v_dual_mul_f32 v9, v5, v9 :: v_dual_fmac_f32 v20, v3, v6
	v_fma_f32 v166, v2, v6, -v7
	s_delay_alu instid0(VALU_DEP_3) | instskip(NEXT) | instid1(VALU_DEP_3)
	v_fmac_f32_e32 v21, v5, v8
	v_fma_f32 v167, v4, v8, -v9
	ds_load_b128 v[2:5], v1 offset:896
	ds_load_b128 v[6:9], v1 offset:912
	s_wait_loadcnt_dscnt 0x1
	v_mul_f32_e32 v169, v2, v11
	v_dual_mul_f32 v11, v3, v11 :: v_dual_mul_f32 v170, v4, v13
	s_delay_alu instid0(VALU_DEP_2) | instskip(NEXT) | instid1(VALU_DEP_2)
	v_fmac_f32_e32 v169, v3, v10
	v_fma_f32 v171, v2, v10, -v11
	v_mul_f32_e32 v2, v5, v13
	s_delay_alu instid0(VALU_DEP_4) | instskip(NEXT) | instid1(VALU_DEP_2)
	v_fmac_f32_e32 v170, v5, v12
	v_fma_f32 v172, v4, v12, -v2
	s_clause 0x1
	scratch_load_b128 v[2:5], off, off offset:400
	scratch_load_b128 v[10:13], off, off offset:416
	s_wait_loadcnt_dscnt 0x100
	v_mul_f32_e32 v173, v6, v3
	v_mul_f32_e32 v3, v7, v3
	;; [unrolled: 1-line block ×3, first 2 shown]
	s_delay_alu instid0(VALU_DEP_3) | instskip(NEXT) | instid1(VALU_DEP_3)
	v_fmac_f32_e32 v173, v7, v2
	v_fma_f32 v174, v6, v2, -v3
	v_mul_f32_e32 v2, v9, v5
	s_delay_alu instid0(VALU_DEP_4) | instskip(NEXT) | instid1(VALU_DEP_2)
	v_fmac_f32_e32 v175, v9, v4
	v_fma_f32 v176, v8, v4, -v2
	ds_load_b128 v[2:5], v1 offset:928
	ds_load_b128 v[6:9], v1 offset:944
	s_wait_loadcnt_dscnt 0x1
	v_mul_f32_e32 v177, v2, v11
	v_mul_f32_e32 v179, v4, v13
	s_delay_alu instid0(VALU_DEP_2) | instskip(SKIP_1) | instid1(VALU_DEP_3)
	v_fmac_f32_e32 v177, v3, v10
	v_mul_f32_e32 v3, v3, v11
	v_fmac_f32_e32 v179, v5, v12
	s_delay_alu instid0(VALU_DEP_2) | instskip(SKIP_1) | instid1(VALU_DEP_1)
	v_fma_f32 v178, v2, v10, -v3
	v_mul_f32_e32 v2, v5, v13
	v_fma_f32 v180, v4, v12, -v2
	s_clause 0x1
	scratch_load_b128 v[2:5], off, off offset:432
	scratch_load_b128 v[10:13], off, off offset:448
	s_wait_loadcnt_dscnt 0x100
	v_mul_f32_e32 v181, v6, v3
	v_mul_f32_e32 v3, v7, v3
	s_delay_alu instid0(VALU_DEP_2) | instskip(NEXT) | instid1(VALU_DEP_2)
	v_fmac_f32_e32 v181, v7, v2
	v_fma_f32 v182, v6, v2, -v3
	v_mul_f32_e32 v2, v9, v5
	v_add_f32_e32 v3, 0, v161
	s_delay_alu instid0(VALU_DEP_2) | instskip(SKIP_1) | instid1(VALU_DEP_1)
	v_fma_f32 v184, v8, v4, -v2
	v_add_f32_e32 v2, 0, v22
	v_dual_add_f32 v3, v3, v162 :: v_dual_add_f32 v2, v2, v23
	s_delay_alu instid0(VALU_DEP_1) | instskip(NEXT) | instid1(VALU_DEP_1)
	v_dual_add_f32 v3, v3, v24 :: v_dual_add_f32 v2, v2, v26
	v_add_f32_e32 v2, v2, v27
	s_delay_alu instid0(VALU_DEP_1) | instskip(NEXT) | instid1(VALU_DEP_1)
	v_add_f32_e32 v2, v2, v28
	v_add_f32_e32 v7, v2, v29
	s_delay_alu instid0(VALU_DEP_1) | instskip(NEXT) | instid1(VALU_DEP_1)
	v_add_f32_e32 v7, v7, v14
	;; [unrolled: 3-line block ×3, first 2 shown]
	v_dual_add_f32 v14, v14, v18 :: v_dual_add_f32 v3, v3, v25
	s_delay_alu instid0(VALU_DEP_1) | instskip(NEXT) | instid1(VALU_DEP_2)
	v_add_f32_e32 v14, v14, v166
	v_add_f32_e32 v6, v3, v32
	s_delay_alu instid0(VALU_DEP_1) | instskip(NEXT) | instid1(VALU_DEP_1)
	v_add_f32_e32 v6, v6, v168
	v_add_f32_e32 v6, v6, v164
	s_delay_alu instid0(VALU_DEP_1) | instskip(NEXT) | instid1(VALU_DEP_1)
	v_add_f32_e32 v15, v6, v165
	v_add_f32_e32 v15, v15, v16
	s_delay_alu instid0(VALU_DEP_1) | instskip(NEXT) | instid1(VALU_DEP_1)
	v_add_f32_e32 v15, v15, v19
	v_dual_add_f32 v19, v14, v167 :: v_dual_add_f32 v18, v15, v20
	scratch_load_b128 v[14:17], off, off offset:496
	v_dual_add_f32 v19, v19, v171 :: v_dual_add_f32 v18, v18, v21
	s_delay_alu instid0(VALU_DEP_1) | instskip(NEXT) | instid1(VALU_DEP_1)
	v_dual_add_f32 v19, v19, v172 :: v_dual_add_f32 v18, v18, v169
	v_dual_mul_f32 v183, v8, v5 :: v_dual_add_f32 v22, v19, v174
	s_delay_alu instid0(VALU_DEP_1)
	v_dual_add_f32 v18, v18, v170 :: v_dual_fmac_f32 v183, v9, v4
	ds_load_b128 v[2:5], v1 offset:960
	ds_load_b128 v[6:9], v1 offset:976
	v_add_f32_e32 v32, v22, v176
	v_add_f32_e32 v23, v18, v173
	ds_load_b128 v[18:21], v1 offset:992
	v_add_f32_e32 v161, v23, v175
	ds_load_b128 v[22:25], v1 offset:1008
	v_dual_add_f32 v1, v32, v178 :: v_dual_add_f32 v32, v161, v177
	s_delay_alu instid0(VALU_DEP_1)
	v_add_f32_e32 v32, v32, v179
	s_wait_loadcnt_dscnt 0x103
	v_dual_mul_f32 v26, v2, v11 :: v_dual_mul_f32 v27, v4, v13
	v_mul_f32_e32 v11, v3, v11
	v_mul_f32_e32 v13, v5, v13
	v_add_f32_e32 v32, v32, v181
	s_delay_alu instid0(VALU_DEP_4) | instskip(NEXT) | instid1(VALU_DEP_4)
	v_dual_fmac_f32 v26, v3, v10 :: v_dual_fmac_f32 v27, v5, v12
	v_fma_f32 v28, v2, v10, -v11
	s_delay_alu instid0(VALU_DEP_3) | instskip(NEXT) | instid1(VALU_DEP_1)
	v_add_f32_e32 v32, v32, v183
	v_add_f32_e32 v26, v32, v26
	s_wait_loadcnt_dscnt 0x0
	v_mul_f32_e32 v166, v22, v15
	v_fma_f32 v29, v4, v12, -v13
	s_clause 0x1
	scratch_load_b128 v[2:5], off, off offset:464
	scratch_load_b128 v[10:13], off, off offset:480
	s_wait_loadcnt 0x1
	v_dual_fmac_f32 v166, v23, v14 :: v_dual_mul_f32 v161, v6, v3
	v_dual_mul_f32 v3, v7, v3 :: v_dual_mul_f32 v162, v8, v5
	s_wait_loadcnt 0x0
	v_dual_mul_f32 v164, v18, v11 :: v_dual_mul_f32 v5, v9, v5
	s_delay_alu instid0(VALU_DEP_3) | instskip(NEXT) | instid1(VALU_DEP_3)
	v_fmac_f32_e32 v161, v7, v2
	v_fma_f32 v3, v6, v2, -v3
	v_mul_f32_e32 v6, v19, v11
	v_add_f32_e32 v2, v26, v27
	v_fmac_f32_e32 v162, v9, v4
	v_fmac_f32_e32 v164, v19, v10
	v_fma_f32 v4, v8, v4, -v5
	v_fma_f32 v5, v18, v10, -v6
	v_add_f32_e32 v2, v2, v161
	s_delay_alu instid0(VALU_DEP_1) | instskip(NEXT) | instid1(VALU_DEP_1)
	v_dual_add_f32 v2, v2, v162 :: v_dual_mul_f32 v165, v20, v13
	v_add_f32_e32 v2, v2, v164
	s_delay_alu instid0(VALU_DEP_2) | instskip(NEXT) | instid1(VALU_DEP_1)
	v_fmac_f32_e32 v165, v21, v12
	v_dual_add_f32 v1, v1, v180 :: v_dual_add_f32 v2, v2, v165
	s_delay_alu instid0(VALU_DEP_1) | instskip(NEXT) | instid1(VALU_DEP_2)
	v_add_f32_e32 v2, v2, v166
	v_add_f32_e32 v1, v1, v182
	s_delay_alu instid0(VALU_DEP_1) | instskip(NEXT) | instid1(VALU_DEP_1)
	v_add_f32_e32 v1, v1, v184
	v_dual_add_f32 v1, v1, v28 :: v_dual_mul_f32 v28, v24, v17
	s_delay_alu instid0(VALU_DEP_1) | instskip(NEXT) | instid1(VALU_DEP_2)
	v_add_f32_e32 v1, v1, v29
	v_fmac_f32_e32 v28, v25, v16
	s_delay_alu instid0(VALU_DEP_2) | instskip(NEXT) | instid1(VALU_DEP_2)
	v_add_f32_e32 v1, v1, v3
	v_dual_mul_f32 v3, v21, v13 :: v_dual_add_f32 v2, v2, v28
	s_delay_alu instid0(VALU_DEP_2) | instskip(NEXT) | instid1(VALU_DEP_2)
	v_dual_add_f32 v1, v1, v4 :: v_dual_mul_f32 v4, v23, v15
	v_fma_f32 v3, v20, v12, -v3
	s_delay_alu instid0(VALU_DEP_2) | instskip(SKIP_1) | instid1(VALU_DEP_4)
	v_dual_sub_f32 v2, v31, v2 :: v_dual_add_f32 v1, v1, v5
	v_mul_f32_e32 v5, v25, v17
	v_fma_f32 v4, v22, v14, -v4
	s_delay_alu instid0(VALU_DEP_3) | instskip(NEXT) | instid1(VALU_DEP_3)
	v_add_f32_e32 v1, v1, v3
	v_fma_f32 v3, v24, v16, -v5
	s_delay_alu instid0(VALU_DEP_2) | instskip(NEXT) | instid1(VALU_DEP_1)
	v_add_f32_e32 v1, v1, v4
	v_add_f32_e32 v1, v1, v3
	s_delay_alu instid0(VALU_DEP_1)
	v_sub_f32_e32 v1, v30, v1
	scratch_store_b64 off, v[1:2], off offset:280
	v_cmpx_lt_u32_e32 34, v0
	s_cbranch_execz .LBB127_329
; %bb.328:
	scratch_load_b64 v[1:2], off, off offset:272
	v_mov_b32_e32 v3, 0
	s_delay_alu instid0(VALU_DEP_1)
	v_mov_b32_e32 v4, v3
	scratch_store_b64 off, v[3:4], off offset:272
	s_wait_loadcnt 0x0
	ds_store_b64 v163, v[1:2]
.LBB127_329:
	s_wait_alu 0xfffe
	s_or_b32 exec_lo, exec_lo, s0
	s_wait_storecnt_dscnt 0x0
	s_barrier_signal -1
	s_barrier_wait -1
	global_inv scope:SCOPE_SE
	s_clause 0x4
	scratch_load_b128 v[2:5], off, off offset:280
	scratch_load_b128 v[6:9], off, off offset:296
	;; [unrolled: 1-line block ×5, first 2 shown]
	v_mov_b32_e32 v1, 0
	ds_load_2addr_b64 v[22:25], v1 offset0:99 offset1:100
	ds_load_2addr_b64 v[26:29], v1 offset0:101 offset1:102
	ds_load_2addr_b64 v[164:167], v1 offset0:103 offset1:104
	scratch_load_b64 v[30:31], off, off offset:272
	s_mov_b32 s0, exec_lo
	s_wait_loadcnt_dscnt 0x502
	v_mul_f32_e32 v32, v23, v3
	v_dual_mul_f32 v161, v22, v3 :: v_dual_mul_f32 v162, v24, v5
	v_mul_f32_e32 v3, v25, v5
	s_wait_loadcnt_dscnt 0x300
	v_mul_f32_e32 v168, v166, v13
	v_fma_f32 v22, v22, v2, -v32
	v_dual_fmac_f32 v161, v23, v2 :: v_dual_fmac_f32 v162, v25, v4
	v_fma_f32 v23, v24, v4, -v3
	ds_load_2addr_b64 v[2:5], v1 offset0:105 offset1:106
	v_mul_f32_e32 v24, v26, v7
	v_mul_f32_e32 v7, v27, v7
	;; [unrolled: 1-line block ×3, first 2 shown]
	v_dual_mul_f32 v9, v29, v9 :: v_dual_mul_f32 v32, v164, v11
	v_dual_mul_f32 v11, v165, v11 :: v_dual_fmac_f32 v168, v167, v12
	v_mul_f32_e32 v13, v167, v13
	s_delay_alu instid0(VALU_DEP_4) | instskip(NEXT) | instid1(VALU_DEP_4)
	v_dual_fmac_f32 v24, v27, v6 :: v_dual_fmac_f32 v25, v29, v8
	v_fma_f32 v27, v28, v8, -v9
	v_fmac_f32_e32 v32, v165, v10
	v_fma_f32 v28, v164, v10, -v11
	v_fma_f32 v29, v166, v12, -v13
	ds_load_2addr_b64 v[10:13], v1 offset0:107 offset1:108
	v_fma_f32 v26, v26, v6, -v7
	scratch_load_b128 v[6:9], off, off offset:360
	s_wait_loadcnt_dscnt 0x301
	v_mul_f32_e32 v164, v2, v15
	v_mul_f32_e32 v15, v3, v15
	;; [unrolled: 1-line block ×3, first 2 shown]
	s_delay_alu instid0(VALU_DEP_3) | instskip(NEXT) | instid1(VALU_DEP_3)
	v_dual_mul_f32 v17, v5, v17 :: v_dual_fmac_f32 v164, v3, v14
	v_fma_f32 v14, v2, v14, -v15
	s_delay_alu instid0(VALU_DEP_3) | instskip(NEXT) | instid1(VALU_DEP_3)
	v_fmac_f32_e32 v165, v5, v16
	v_fma_f32 v15, v4, v16, -v17
	ds_load_2addr_b64 v[2:5], v1 offset0:109 offset1:110
	s_wait_loadcnt_dscnt 0x201
	v_mul_f32_e32 v16, v10, v19
	v_mul_f32_e32 v17, v11, v19
	;; [unrolled: 1-line block ×3, first 2 shown]
	s_delay_alu instid0(VALU_DEP_3) | instskip(NEXT) | instid1(VALU_DEP_3)
	v_dual_mul_f32 v21, v13, v21 :: v_dual_fmac_f32 v16, v11, v18
	v_fma_f32 v17, v10, v18, -v17
	s_delay_alu instid0(VALU_DEP_3) | instskip(NEXT) | instid1(VALU_DEP_3)
	v_fmac_f32_e32 v19, v13, v20
	v_fma_f32 v18, v12, v20, -v21
	scratch_load_b128 v[10:13], off, off offset:376
	s_wait_loadcnt_dscnt 0x100
	v_mul_f32_e32 v20, v2, v7
	v_mul_f32_e32 v7, v3, v7
	;; [unrolled: 1-line block ×3, first 2 shown]
	s_delay_alu instid0(VALU_DEP_3) | instskip(NEXT) | instid1(VALU_DEP_3)
	v_dual_mul_f32 v9, v5, v9 :: v_dual_fmac_f32 v20, v3, v6
	v_fma_f32 v166, v2, v6, -v7
	s_delay_alu instid0(VALU_DEP_3) | instskip(NEXT) | instid1(VALU_DEP_3)
	v_fmac_f32_e32 v21, v5, v8
	v_fma_f32 v167, v4, v8, -v9
	ds_load_2addr_b64 v[2:5], v1 offset0:111 offset1:112
	ds_load_2addr_b64 v[6:9], v1 offset0:113 offset1:114
	s_wait_loadcnt_dscnt 0x1
	v_mul_f32_e32 v169, v2, v11
	v_dual_mul_f32 v11, v3, v11 :: v_dual_mul_f32 v170, v4, v13
	s_delay_alu instid0(VALU_DEP_2) | instskip(NEXT) | instid1(VALU_DEP_2)
	v_fmac_f32_e32 v169, v3, v10
	v_fma_f32 v171, v2, v10, -v11
	v_mul_f32_e32 v2, v5, v13
	s_delay_alu instid0(VALU_DEP_4) | instskip(NEXT) | instid1(VALU_DEP_2)
	v_fmac_f32_e32 v170, v5, v12
	v_fma_f32 v172, v4, v12, -v2
	s_clause 0x1
	scratch_load_b128 v[2:5], off, off offset:392
	scratch_load_b128 v[10:13], off, off offset:408
	s_wait_loadcnt_dscnt 0x100
	v_mul_f32_e32 v173, v6, v3
	v_mul_f32_e32 v3, v7, v3
	;; [unrolled: 1-line block ×3, first 2 shown]
	s_delay_alu instid0(VALU_DEP_3) | instskip(NEXT) | instid1(VALU_DEP_3)
	v_fmac_f32_e32 v173, v7, v2
	v_fma_f32 v174, v6, v2, -v3
	v_mul_f32_e32 v2, v9, v5
	s_delay_alu instid0(VALU_DEP_4) | instskip(NEXT) | instid1(VALU_DEP_2)
	v_fmac_f32_e32 v175, v9, v4
	v_fma_f32 v176, v8, v4, -v2
	ds_load_2addr_b64 v[2:5], v1 offset0:115 offset1:116
	ds_load_2addr_b64 v[6:9], v1 offset0:117 offset1:118
	s_wait_loadcnt_dscnt 0x1
	v_mul_f32_e32 v177, v2, v11
	v_mul_f32_e32 v179, v4, v13
	s_delay_alu instid0(VALU_DEP_2) | instskip(SKIP_1) | instid1(VALU_DEP_3)
	v_fmac_f32_e32 v177, v3, v10
	v_mul_f32_e32 v3, v3, v11
	v_fmac_f32_e32 v179, v5, v12
	s_delay_alu instid0(VALU_DEP_2) | instskip(SKIP_1) | instid1(VALU_DEP_1)
	v_fma_f32 v178, v2, v10, -v3
	v_mul_f32_e32 v2, v5, v13
	v_fma_f32 v180, v4, v12, -v2
	s_clause 0x1
	scratch_load_b128 v[2:5], off, off offset:424
	scratch_load_b128 v[10:13], off, off offset:440
	s_wait_loadcnt_dscnt 0x100
	v_mul_f32_e32 v181, v6, v3
	v_mul_f32_e32 v3, v7, v3
	s_delay_alu instid0(VALU_DEP_2) | instskip(NEXT) | instid1(VALU_DEP_2)
	v_fmac_f32_e32 v181, v7, v2
	v_fma_f32 v182, v6, v2, -v3
	v_mul_f32_e32 v2, v9, v5
	s_delay_alu instid0(VALU_DEP_1) | instskip(SKIP_1) | instid1(VALU_DEP_1)
	v_fma_f32 v184, v8, v4, -v2
	v_add_f32_e32 v2, 0, v22
	v_add_f32_e32 v2, v2, v23
	s_delay_alu instid0(VALU_DEP_1) | instskip(NEXT) | instid1(VALU_DEP_1)
	v_add_f32_e32 v2, v2, v26
	v_add_f32_e32 v2, v2, v27
	scratch_load_b64 v[26:27], off, off offset:504
	v_add_f32_e32 v2, v2, v28
	s_delay_alu instid0(VALU_DEP_1) | instskip(NEXT) | instid1(VALU_DEP_1)
	v_add_f32_e32 v7, v2, v29
	v_add_f32_e32 v7, v7, v14
	s_delay_alu instid0(VALU_DEP_1) | instskip(NEXT) | instid1(VALU_DEP_1)
	v_dual_add_f32 v14, v7, v15 :: v_dual_add_f32 v3, 0, v161
	v_dual_add_f32 v14, v14, v17 :: v_dual_add_f32 v3, v3, v162
	s_delay_alu instid0(VALU_DEP_1) | instskip(NEXT) | instid1(VALU_DEP_1)
	v_dual_add_f32 v14, v14, v18 :: v_dual_add_f32 v3, v3, v24
	v_dual_add_f32 v14, v14, v166 :: v_dual_add_f32 v3, v3, v25
	s_delay_alu instid0(VALU_DEP_1) | instskip(NEXT) | instid1(VALU_DEP_1)
	v_add_f32_e32 v6, v3, v32
	v_add_f32_e32 v6, v6, v168
	s_delay_alu instid0(VALU_DEP_1) | instskip(NEXT) | instid1(VALU_DEP_1)
	v_add_f32_e32 v6, v6, v164
	v_add_f32_e32 v15, v6, v165
	;; [unrolled: 3-line block ×4, first 2 shown]
	s_delay_alu instid0(VALU_DEP_1) | instskip(NEXT) | instid1(VALU_DEP_1)
	v_add_f32_e32 v18, v18, v169
	v_dual_mul_f32 v183, v8, v5 :: v_dual_add_f32 v18, v18, v170
	s_delay_alu instid0(VALU_DEP_1)
	v_fmac_f32_e32 v183, v9, v4
	ds_load_2addr_b64 v[2:5], v1 offset0:119 offset1:120
	ds_load_2addr_b64 v[6:9], v1 offset0:121 offset1:122
	v_add_f32_e32 v19, v14, v167
	scratch_load_b128 v[14:17], off, off offset:488
	v_dual_add_f32 v18, v18, v173 :: v_dual_add_f32 v19, v19, v171
	s_delay_alu instid0(VALU_DEP_1) | instskip(NEXT) | instid1(VALU_DEP_1)
	v_dual_add_f32 v22, v18, v175 :: v_dual_add_f32 v19, v19, v172
	v_add_f32_e32 v29, v22, v177
	ds_load_2addr_b64 v[22:25], v1 offset0:125 offset1:126
	v_dual_add_f32 v19, v19, v174 :: v_dual_add_f32 v166, v29, v179
	s_wait_loadcnt_dscnt 0x202
	s_delay_alu instid0(VALU_DEP_1) | instskip(NEXT) | instid1(VALU_DEP_2)
	v_dual_mul_f32 v32, v2, v11 :: v_dual_add_f32 v19, v19, v176
	v_add_f32_e32 v166, v166, v181
	s_delay_alu instid0(VALU_DEP_2) | instskip(NEXT) | instid1(VALU_DEP_3)
	v_fmac_f32_e32 v32, v3, v10
	v_add_f32_e32 v28, v19, v178
	ds_load_2addr_b64 v[18:21], v1 offset0:123 offset1:124
	v_add_f32_e32 v166, v166, v183
	v_mul_f32_e32 v11, v3, v11
	v_add_f32_e32 v165, v28, v180
	ds_load_b64 v[28:29], v1 offset:1016
	v_add_f32_e32 v32, v166, v32
	v_fma_f32 v162, v2, v10, -v11
	v_add_f32_e32 v165, v165, v182
	s_delay_alu instid0(VALU_DEP_1) | instskip(NEXT) | instid1(VALU_DEP_1)
	v_add_f32_e32 v165, v165, v184
	v_dual_add_f32 v162, v165, v162 :: v_dual_mul_f32 v161, v4, v13
	v_mul_f32_e32 v13, v5, v13
	s_delay_alu instid0(VALU_DEP_1) | instskip(NEXT) | instid1(VALU_DEP_1)
	v_fma_f32 v164, v4, v12, -v13
	v_add_f32_e32 v162, v162, v164
	s_delay_alu instid0(VALU_DEP_4)
	v_fmac_f32_e32 v161, v5, v12
	s_clause 0x1
	scratch_load_b128 v[2:5], off, off offset:456
	scratch_load_b128 v[10:13], off, off offset:472
	s_wait_loadcnt_dscnt 0x202
	v_mul_f32_e32 v164, v24, v17
	v_dual_add_f32 v32, v32, v161 :: v_dual_mul_f32 v169, v22, v15
	s_delay_alu instid0(VALU_DEP_1)
	v_dual_fmac_f32 v164, v25, v16 :: v_dual_fmac_f32 v169, v23, v14
	s_wait_loadcnt 0x1
	v_mul_f32_e32 v167, v6, v3
	v_dual_mul_f32 v3, v7, v3 :: v_dual_mul_f32 v168, v8, v5
	v_mul_f32_e32 v5, v9, v5
	s_wait_loadcnt_dscnt 0x1
	v_mul_f32_e32 v165, v18, v11
	v_fmac_f32_e32 v167, v7, v2
	v_fma_f32 v3, v6, v2, -v3
	v_fmac_f32_e32 v168, v9, v4
	v_fma_f32 v2, v8, v4, -v5
	v_mul_f32_e32 v4, v19, v11
	v_add_f32_e32 v5, v32, v167
	v_dual_add_f32 v3, v162, v3 :: v_dual_mul_f32 v6, v21, v13
	v_mul_f32_e32 v166, v20, v13
	s_delay_alu instid0(VALU_DEP_4) | instskip(SKIP_1) | instid1(VALU_DEP_4)
	v_fma_f32 v4, v18, v10, -v4
	v_fmac_f32_e32 v165, v19, v10
	v_dual_add_f32 v2, v3, v2 :: v_dual_add_f32 v3, v5, v168
	v_mul_f32_e32 v5, v23, v15
	v_fma_f32 v6, v20, v12, -v6
	v_fmac_f32_e32 v166, v21, v12
	s_delay_alu instid0(VALU_DEP_4) | instskip(SKIP_2) | instid1(VALU_DEP_3)
	v_dual_add_f32 v2, v2, v4 :: v_dual_add_f32 v3, v3, v165
	v_mul_f32_e32 v4, v25, v17
	v_fma_f32 v5, v22, v14, -v5
	v_add_f32_e32 v2, v2, v6
	s_wait_dscnt 0x0
	v_dual_add_f32 v3, v3, v166 :: v_dual_mul_f32 v6, v29, v27
	v_fma_f32 v4, v24, v16, -v4
	s_delay_alu instid0(VALU_DEP_3) | instskip(NEXT) | instid1(VALU_DEP_3)
	v_add_f32_e32 v2, v2, v5
	v_add_f32_e32 v3, v3, v169
	s_delay_alu instid0(VALU_DEP_4) | instskip(NEXT) | instid1(VALU_DEP_3)
	v_fma_f32 v5, v28, v26, -v6
	v_dual_add_f32 v2, v2, v4 :: v_dual_mul_f32 v161, v28, v27
	s_delay_alu instid0(VALU_DEP_1) | instskip(NEXT) | instid1(VALU_DEP_2)
	v_dual_add_f32 v3, v3, v164 :: v_dual_add_f32 v2, v2, v5
	v_fmac_f32_e32 v161, v29, v26
	s_delay_alu instid0(VALU_DEP_1) | instskip(NEXT) | instid1(VALU_DEP_1)
	v_dual_sub_f32 v2, v30, v2 :: v_dual_add_f32 v3, v3, v161
	v_sub_f32_e32 v3, v31, v3
	scratch_store_b64 off, v[2:3], off offset:272
	v_cmpx_lt_u32_e32 33, v0
	s_cbranch_execz .LBB127_331
; %bb.330:
	scratch_load_b64 v[3:4], off, off offset:264
	v_mov_b32_e32 v2, v1
	scratch_store_b64 off, v[1:2], off offset:264
	s_wait_loadcnt 0x0
	ds_store_b64 v163, v[3:4]
.LBB127_331:
	s_wait_alu 0xfffe
	s_or_b32 exec_lo, exec_lo, s0
	s_wait_storecnt_dscnt 0x0
	s_barrier_signal -1
	s_barrier_wait -1
	global_inv scope:SCOPE_SE
	s_clause 0x4
	scratch_load_b128 v[2:5], off, off offset:272
	scratch_load_b128 v[6:9], off, off offset:288
	;; [unrolled: 1-line block ×5, first 2 shown]
	ds_load_b128 v[22:25], v1 offset:784
	ds_load_b128 v[26:29], v1 offset:800
	;; [unrolled: 1-line block ×3, first 2 shown]
	scratch_load_b64 v[30:31], off, off offset:264
	s_mov_b32 s0, exec_lo
	s_wait_loadcnt_dscnt 0x502
	v_mul_f32_e32 v32, v23, v3
	v_dual_mul_f32 v161, v22, v3 :: v_dual_mul_f32 v162, v24, v5
	v_mul_f32_e32 v3, v25, v5
	s_wait_loadcnt_dscnt 0x300
	v_mul_f32_e32 v168, v166, v13
	v_fma_f32 v22, v22, v2, -v32
	v_dual_fmac_f32 v161, v23, v2 :: v_dual_fmac_f32 v162, v25, v4
	v_fma_f32 v23, v24, v4, -v3
	ds_load_b128 v[2:5], v1 offset:832
	v_dual_mul_f32 v24, v26, v7 :: v_dual_mul_f32 v25, v28, v9
	v_mul_f32_e32 v7, v27, v7
	v_dual_mul_f32 v9, v29, v9 :: v_dual_mul_f32 v32, v164, v11
	s_delay_alu instid0(VALU_DEP_3) | instskip(SKIP_2) | instid1(VALU_DEP_4)
	v_dual_mul_f32 v11, v165, v11 :: v_dual_fmac_f32 v24, v27, v6
	v_mul_f32_e32 v13, v167, v13
	v_fmac_f32_e32 v25, v29, v8
	v_fma_f32 v27, v28, v8, -v9
	v_fmac_f32_e32 v32, v165, v10
	v_fma_f32 v28, v164, v10, -v11
	;; [unrolled: 2-line block ×3, first 2 shown]
	ds_load_b128 v[10:13], v1 offset:848
	v_fma_f32 v26, v26, v6, -v7
	scratch_load_b128 v[6:9], off, off offset:352
	s_wait_loadcnt_dscnt 0x301
	v_mul_f32_e32 v164, v2, v15
	v_mul_f32_e32 v15, v3, v15
	v_mul_f32_e32 v165, v4, v17
	s_delay_alu instid0(VALU_DEP_3) | instskip(NEXT) | instid1(VALU_DEP_3)
	v_dual_mul_f32 v17, v5, v17 :: v_dual_fmac_f32 v164, v3, v14
	v_fma_f32 v14, v2, v14, -v15
	s_delay_alu instid0(VALU_DEP_3) | instskip(NEXT) | instid1(VALU_DEP_3)
	v_fmac_f32_e32 v165, v5, v16
	v_fma_f32 v15, v4, v16, -v17
	ds_load_b128 v[2:5], v1 offset:864
	s_wait_loadcnt_dscnt 0x201
	v_mul_f32_e32 v16, v10, v19
	v_mul_f32_e32 v17, v11, v19
	;; [unrolled: 1-line block ×3, first 2 shown]
	s_delay_alu instid0(VALU_DEP_3) | instskip(NEXT) | instid1(VALU_DEP_3)
	v_dual_mul_f32 v21, v13, v21 :: v_dual_fmac_f32 v16, v11, v18
	v_fma_f32 v17, v10, v18, -v17
	s_delay_alu instid0(VALU_DEP_3) | instskip(NEXT) | instid1(VALU_DEP_3)
	v_fmac_f32_e32 v19, v13, v20
	v_fma_f32 v18, v12, v20, -v21
	scratch_load_b128 v[10:13], off, off offset:368
	s_wait_loadcnt_dscnt 0x100
	v_mul_f32_e32 v20, v2, v7
	v_mul_f32_e32 v7, v3, v7
	v_mul_f32_e32 v21, v4, v9
	s_delay_alu instid0(VALU_DEP_3) | instskip(NEXT) | instid1(VALU_DEP_3)
	v_dual_mul_f32 v9, v5, v9 :: v_dual_fmac_f32 v20, v3, v6
	v_fma_f32 v166, v2, v6, -v7
	s_delay_alu instid0(VALU_DEP_3) | instskip(NEXT) | instid1(VALU_DEP_3)
	v_fmac_f32_e32 v21, v5, v8
	v_fma_f32 v167, v4, v8, -v9
	ds_load_b128 v[2:5], v1 offset:880
	ds_load_b128 v[6:9], v1 offset:896
	s_wait_loadcnt_dscnt 0x1
	v_mul_f32_e32 v169, v2, v11
	v_dual_mul_f32 v11, v3, v11 :: v_dual_mul_f32 v170, v4, v13
	s_delay_alu instid0(VALU_DEP_2) | instskip(NEXT) | instid1(VALU_DEP_2)
	v_fmac_f32_e32 v169, v3, v10
	v_fma_f32 v171, v2, v10, -v11
	v_mul_f32_e32 v2, v5, v13
	s_delay_alu instid0(VALU_DEP_4) | instskip(NEXT) | instid1(VALU_DEP_2)
	v_fmac_f32_e32 v170, v5, v12
	v_fma_f32 v172, v4, v12, -v2
	s_clause 0x1
	scratch_load_b128 v[2:5], off, off offset:384
	scratch_load_b128 v[10:13], off, off offset:400
	s_wait_loadcnt_dscnt 0x100
	v_mul_f32_e32 v173, v6, v3
	v_mul_f32_e32 v3, v7, v3
	;; [unrolled: 1-line block ×3, first 2 shown]
	s_delay_alu instid0(VALU_DEP_3) | instskip(NEXT) | instid1(VALU_DEP_3)
	v_fmac_f32_e32 v173, v7, v2
	v_fma_f32 v174, v6, v2, -v3
	v_mul_f32_e32 v2, v9, v5
	s_delay_alu instid0(VALU_DEP_4) | instskip(NEXT) | instid1(VALU_DEP_2)
	v_fmac_f32_e32 v175, v9, v4
	v_fma_f32 v176, v8, v4, -v2
	ds_load_b128 v[2:5], v1 offset:912
	ds_load_b128 v[6:9], v1 offset:928
	s_wait_loadcnt_dscnt 0x1
	v_mul_f32_e32 v177, v2, v11
	v_mul_f32_e32 v179, v4, v13
	s_delay_alu instid0(VALU_DEP_2) | instskip(SKIP_1) | instid1(VALU_DEP_3)
	v_fmac_f32_e32 v177, v3, v10
	v_mul_f32_e32 v3, v3, v11
	v_fmac_f32_e32 v179, v5, v12
	s_delay_alu instid0(VALU_DEP_2) | instskip(SKIP_1) | instid1(VALU_DEP_1)
	v_fma_f32 v178, v2, v10, -v3
	v_mul_f32_e32 v2, v5, v13
	v_fma_f32 v180, v4, v12, -v2
	s_clause 0x1
	scratch_load_b128 v[2:5], off, off offset:416
	scratch_load_b128 v[10:13], off, off offset:432
	s_wait_loadcnt_dscnt 0x100
	v_mul_f32_e32 v181, v6, v3
	v_mul_f32_e32 v3, v7, v3
	s_delay_alu instid0(VALU_DEP_2) | instskip(NEXT) | instid1(VALU_DEP_2)
	v_fmac_f32_e32 v181, v7, v2
	v_fma_f32 v182, v6, v2, -v3
	v_mul_f32_e32 v2, v9, v5
	v_add_f32_e32 v3, 0, v161
	s_delay_alu instid0(VALU_DEP_2) | instskip(SKIP_1) | instid1(VALU_DEP_1)
	v_fma_f32 v184, v8, v4, -v2
	v_add_f32_e32 v2, 0, v22
	v_add_f32_e32 v2, v2, v23
	s_delay_alu instid0(VALU_DEP_1) | instskip(NEXT) | instid1(VALU_DEP_1)
	v_add_f32_e32 v2, v2, v26
	v_dual_add_f32 v2, v2, v27 :: v_dual_add_f32 v3, v3, v162
	s_delay_alu instid0(VALU_DEP_1) | instskip(NEXT) | instid1(VALU_DEP_1)
	v_add_f32_e32 v2, v2, v28
	v_dual_add_f32 v2, v2, v29 :: v_dual_add_f32 v3, v3, v24
	s_delay_alu instid0(VALU_DEP_1) | instskip(NEXT) | instid1(VALU_DEP_2)
	v_add_f32_e32 v7, v2, v14
	v_add_f32_e32 v3, v3, v25
	s_delay_alu instid0(VALU_DEP_2) | instskip(NEXT) | instid1(VALU_DEP_2)
	v_add_f32_e32 v15, v7, v15
	v_add_f32_e32 v3, v3, v32
	s_delay_alu instid0(VALU_DEP_2) | instskip(NEXT) | instid1(VALU_DEP_2)
	;; [unrolled: 3-line block ×5, first 2 shown]
	v_add_f32_e32 v18, v18, v167
	v_dual_add_f32 v14, v14, v16 :: v_dual_mul_f32 v183, v8, v5
	s_delay_alu instid0(VALU_DEP_2) | instskip(NEXT) | instid1(VALU_DEP_2)
	v_add_f32_e32 v18, v18, v171
	v_add_f32_e32 v19, v14, v19
	ds_load_b128 v[14:17], v1 offset:960
	v_add_f32_e32 v23, v18, v172
	v_add_f32_e32 v19, v19, v20
	s_delay_alu instid0(VALU_DEP_2) | instskip(NEXT) | instid1(VALU_DEP_2)
	v_add_f32_e32 v23, v23, v174
	v_add_f32_e32 v19, v19, v21
	v_fmac_f32_e32 v183, v9, v4
	scratch_load_b128 v[6:9], off, off offset:448
	ds_load_b128 v[2:5], v1 offset:944
	v_add_f32_e32 v23, v23, v176
	v_add_f32_e32 v22, v19, v169
	scratch_load_b128 v[18:21], off, off offset:496
	v_add_f32_e32 v22, v22, v170
	s_delay_alu instid0(VALU_DEP_1) | instskip(SKIP_4) | instid1(VALU_DEP_3)
	v_add_f32_e32 v22, v22, v173
	s_wait_loadcnt_dscnt 0x200
	v_mul_f32_e32 v26, v2, v11
	v_mul_f32_e32 v11, v3, v11
	;; [unrolled: 1-line block ×3, first 2 shown]
	v_dual_mul_f32 v13, v5, v13 :: v_dual_fmac_f32 v26, v3, v10
	s_delay_alu instid0(VALU_DEP_3) | instskip(NEXT) | instid1(VALU_DEP_3)
	v_fma_f32 v28, v2, v10, -v11
	v_fmac_f32_e32 v27, v5, v12
	s_delay_alu instid0(VALU_DEP_3)
	v_fma_f32 v29, v4, v12, -v13
	s_clause 0x1
	scratch_load_b128 v[2:5], off, off offset:464
	scratch_load_b128 v[10:13], off, off offset:480
	s_wait_loadcnt 0x3
	v_mul_f32_e32 v32, v14, v7
	v_mul_f32_e32 v7, v15, v7
	s_delay_alu instid0(VALU_DEP_2) | instskip(NEXT) | instid1(VALU_DEP_2)
	v_fmac_f32_e32 v32, v15, v6
	v_fma_f32 v162, v14, v6, -v7
	v_add_f32_e32 v14, v22, v175
	s_delay_alu instid0(VALU_DEP_1) | instskip(NEXT) | instid1(VALU_DEP_1)
	v_dual_add_f32 v22, v23, v178 :: v_dual_add_f32 v23, v14, v177
	v_dual_add_f32 v165, v22, v180 :: v_dual_add_f32 v166, v23, v179
	ds_load_b128 v[22:25], v1 offset:1008
	v_mul_f32_e32 v161, v16, v9
	v_mul_f32_e32 v9, v17, v9
	s_delay_alu instid0(VALU_DEP_2) | instskip(NEXT) | instid1(VALU_DEP_2)
	v_fmac_f32_e32 v161, v17, v8
	v_fma_f32 v164, v16, v8, -v9
	ds_load_b128 v[6:9], v1 offset:976
	ds_load_b128 v[14:17], v1 offset:992
	v_add_f32_e32 v1, v165, v182
	v_add_f32_e32 v165, v166, v181
	s_delay_alu instid0(VALU_DEP_2) | instskip(NEXT) | instid1(VALU_DEP_2)
	v_add_f32_e32 v1, v1, v184
	v_add_f32_e32 v165, v165, v183
	s_delay_alu instid0(VALU_DEP_2) | instskip(NEXT) | instid1(VALU_DEP_2)
	v_add_f32_e32 v1, v1, v28
	v_add_f32_e32 v26, v165, v26
	s_delay_alu instid0(VALU_DEP_2) | instskip(SKIP_3) | instid1(VALU_DEP_3)
	v_add_f32_e32 v1, v1, v29
	s_wait_loadcnt_dscnt 0x101
	v_dual_mul_f32 v29, v24, v21 :: v_dual_mul_f32 v166, v6, v3
	v_mul_f32_e32 v3, v7, v3
	v_dual_add_f32 v1, v1, v162 :: v_dual_mul_f32 v28, v8, v5
	s_delay_alu instid0(VALU_DEP_3) | instskip(NEXT) | instid1(VALU_DEP_3)
	v_dual_mul_f32 v5, v9, v5 :: v_dual_fmac_f32 v166, v7, v2
	v_fma_f32 v3, v6, v2, -v3
	s_wait_loadcnt_dscnt 0x0
	v_mul_f32_e32 v6, v15, v11
	v_dual_add_f32 v26, v26, v27 :: v_dual_add_f32 v1, v1, v164
	v_dual_mul_f32 v165, v14, v11 :: v_dual_fmac_f32 v28, v9, v4
	v_fma_f32 v4, v8, v4, -v5
	s_delay_alu instid0(VALU_DEP_3) | instskip(SKIP_2) | instid1(VALU_DEP_3)
	v_dual_add_f32 v26, v26, v32 :: v_dual_add_f32 v1, v1, v3
	v_mul_f32_e32 v167, v16, v13
	v_mul_f32_e32 v3, v17, v13
	v_dual_fmac_f32 v165, v15, v10 :: v_dual_add_f32 v2, v26, v161
	v_fma_f32 v5, v14, v10, -v6
	v_add_f32_e32 v1, v1, v4
	v_mul_f32_e32 v27, v22, v19
	v_mul_f32_e32 v4, v23, v19
	v_dual_add_f32 v2, v2, v166 :: v_dual_fmac_f32 v167, v17, v12
	v_fma_f32 v3, v16, v12, -v3
	v_add_f32_e32 v1, v1, v5
	s_delay_alu instid0(VALU_DEP_3) | instskip(SKIP_2) | instid1(VALU_DEP_4)
	v_dual_mul_f32 v5, v25, v21 :: v_dual_add_f32 v2, v2, v28
	v_fmac_f32_e32 v27, v23, v18
	v_fma_f32 v4, v22, v18, -v4
	v_add_f32_e32 v1, v1, v3
	s_delay_alu instid0(VALU_DEP_4) | instskip(SKIP_1) | instid1(VALU_DEP_2)
	v_dual_fmac_f32 v29, v25, v20 :: v_dual_add_f32 v2, v2, v165
	v_fma_f32 v3, v24, v20, -v5
	v_dual_add_f32 v1, v1, v4 :: v_dual_add_f32 v2, v2, v167
	s_delay_alu instid0(VALU_DEP_1) | instskip(NEXT) | instid1(VALU_DEP_2)
	v_add_f32_e32 v1, v1, v3
	v_add_f32_e32 v2, v2, v27
	s_delay_alu instid0(VALU_DEP_2) | instskip(NEXT) | instid1(VALU_DEP_2)
	v_sub_f32_e32 v1, v30, v1
	v_add_f32_e32 v2, v2, v29
	s_delay_alu instid0(VALU_DEP_1)
	v_sub_f32_e32 v2, v31, v2
	scratch_store_b64 off, v[1:2], off offset:264
	v_cmpx_lt_u32_e32 32, v0
	s_cbranch_execz .LBB127_333
; %bb.332:
	scratch_load_b64 v[1:2], off, off offset:256
	v_mov_b32_e32 v3, 0
	s_delay_alu instid0(VALU_DEP_1)
	v_mov_b32_e32 v4, v3
	scratch_store_b64 off, v[3:4], off offset:256
	s_wait_loadcnt 0x0
	ds_store_b64 v163, v[1:2]
.LBB127_333:
	s_wait_alu 0xfffe
	s_or_b32 exec_lo, exec_lo, s0
	s_wait_storecnt_dscnt 0x0
	s_barrier_signal -1
	s_barrier_wait -1
	global_inv scope:SCOPE_SE
	s_clause 0x4
	scratch_load_b128 v[5:8], off, off offset:264
	scratch_load_b128 v[1:4], off, off offset:280
	scratch_load_b128 v[9:12], off, off offset:296
	scratch_load_b128 v[13:16], off, off offset:312
	scratch_load_b128 v[17:20], off, off offset:328
	v_mov_b32_e32 v21, 0
	ds_load_2addr_b64 v[22:25], v21 offset0:97 offset1:98
	ds_load_2addr_b64 v[26:29], v21 offset0:99 offset1:100
	;; [unrolled: 1-line block ×3, first 2 shown]
	scratch_load_b64 v[30:31], off, off offset:256
	s_mov_b32 s0, exec_lo
	s_wait_loadcnt_dscnt 0x502
	v_mul_f32_e32 v32, v23, v6
	v_dual_mul_f32 v161, v22, v6 :: v_dual_mul_f32 v162, v24, v8
	v_mul_f32_e32 v6, v25, v8
	s_wait_loadcnt_dscnt 0x300
	v_mul_f32_e32 v168, v166, v12
	v_fma_f32 v22, v22, v5, -v32
	v_dual_fmac_f32 v161, v23, v5 :: v_dual_fmac_f32 v162, v25, v7
	v_mul_f32_e32 v25, v28, v4
	v_fma_f32 v23, v24, v7, -v6
	ds_load_2addr_b64 v[5:8], v21 offset0:103 offset1:104
	v_mul_f32_e32 v24, v26, v2
	v_mul_f32_e32 v4, v29, v4
	;; [unrolled: 1-line block ×5, first 2 shown]
	v_dual_mul_f32 v2, v27, v2 :: v_dual_fmac_f32 v25, v29, v3
	v_fmac_f32_e32 v24, v27, v1
	v_fma_f32 v27, v28, v3, -v4
	v_fmac_f32_e32 v32, v165, v9
	v_fma_f32 v28, v164, v9, -v10
	;; [unrolled: 2-line block ×3, first 2 shown]
	ds_load_2addr_b64 v[9:12], v21 offset0:105 offset1:106
	s_wait_loadcnt_dscnt 0x201
	v_dual_mul_f32 v165, v7, v16 :: v_dual_mul_f32 v164, v5, v14
	v_mul_f32_e32 v14, v6, v14
	v_mul_f32_e32 v16, v8, v16
	s_delay_alu instid0(VALU_DEP_3)
	v_fmac_f32_e32 v165, v8, v15
	v_fma_f32 v26, v26, v1, -v2
	scratch_load_b128 v[1:4], off, off offset:344
	v_fmac_f32_e32 v164, v6, v13
	v_fma_f32 v13, v5, v13, -v14
	v_fma_f32 v14, v7, v15, -v16
	ds_load_2addr_b64 v[5:8], v21 offset0:107 offset1:108
	s_wait_loadcnt_dscnt 0x201
	v_mul_f32_e32 v15, v9, v18
	v_mul_f32_e32 v16, v10, v18
	;; [unrolled: 1-line block ×3, first 2 shown]
	s_delay_alu instid0(VALU_DEP_3) | instskip(NEXT) | instid1(VALU_DEP_3)
	v_dual_mul_f32 v20, v12, v20 :: v_dual_fmac_f32 v15, v10, v17
	v_fma_f32 v16, v9, v17, -v16
	s_delay_alu instid0(VALU_DEP_3) | instskip(NEXT) | instid1(VALU_DEP_3)
	v_fmac_f32_e32 v18, v12, v19
	v_fma_f32 v17, v11, v19, -v20
	scratch_load_b128 v[9:12], off, off offset:360
	s_wait_loadcnt_dscnt 0x100
	v_mul_f32_e32 v19, v5, v2
	v_mul_f32_e32 v2, v6, v2
	;; [unrolled: 1-line block ×3, first 2 shown]
	s_delay_alu instid0(VALU_DEP_3) | instskip(NEXT) | instid1(VALU_DEP_3)
	v_dual_mul_f32 v4, v8, v4 :: v_dual_fmac_f32 v19, v6, v1
	v_fma_f32 v166, v5, v1, -v2
	s_delay_alu instid0(VALU_DEP_3) | instskip(NEXT) | instid1(VALU_DEP_3)
	v_fmac_f32_e32 v20, v8, v3
	v_fma_f32 v167, v7, v3, -v4
	ds_load_2addr_b64 v[1:4], v21 offset0:109 offset1:110
	ds_load_2addr_b64 v[5:8], v21 offset0:111 offset1:112
	s_wait_loadcnt_dscnt 0x1
	v_mul_f32_e32 v169, v1, v10
	v_mul_f32_e32 v10, v2, v10
	s_delay_alu instid0(VALU_DEP_2) | instskip(NEXT) | instid1(VALU_DEP_2)
	v_dual_mul_f32 v170, v3, v12 :: v_dual_fmac_f32 v169, v2, v9
	v_fma_f32 v171, v1, v9, -v10
	v_mul_f32_e32 v1, v4, v12
	s_delay_alu instid0(VALU_DEP_3) | instskip(NEXT) | instid1(VALU_DEP_2)
	v_fmac_f32_e32 v170, v4, v11
	v_fma_f32 v172, v3, v11, -v1
	s_clause 0x1
	scratch_load_b128 v[1:4], off, off offset:376
	scratch_load_b128 v[9:12], off, off offset:392
	s_wait_loadcnt_dscnt 0x100
	v_mul_f32_e32 v173, v5, v2
	v_dual_mul_f32 v2, v6, v2 :: v_dual_mul_f32 v175, v7, v4
	s_delay_alu instid0(VALU_DEP_2) | instskip(NEXT) | instid1(VALU_DEP_2)
	v_fmac_f32_e32 v173, v6, v1
	v_fma_f32 v174, v5, v1, -v2
	v_mul_f32_e32 v1, v8, v4
	s_delay_alu instid0(VALU_DEP_4) | instskip(NEXT) | instid1(VALU_DEP_2)
	v_fmac_f32_e32 v175, v8, v3
	v_fma_f32 v176, v7, v3, -v1
	ds_load_2addr_b64 v[1:4], v21 offset0:113 offset1:114
	ds_load_2addr_b64 v[5:8], v21 offset0:115 offset1:116
	s_wait_loadcnt_dscnt 0x1
	v_mul_f32_e32 v177, v1, v10
	v_mul_f32_e32 v179, v3, v12
	s_delay_alu instid0(VALU_DEP_2) | instskip(NEXT) | instid1(VALU_DEP_2)
	v_fmac_f32_e32 v177, v2, v9
	v_dual_mul_f32 v2, v2, v10 :: v_dual_fmac_f32 v179, v4, v11
	s_delay_alu instid0(VALU_DEP_1) | instskip(SKIP_1) | instid1(VALU_DEP_1)
	v_fma_f32 v178, v1, v9, -v2
	v_mul_f32_e32 v1, v4, v12
	v_fma_f32 v180, v3, v11, -v1
	s_clause 0x1
	scratch_load_b128 v[1:4], off, off offset:408
	scratch_load_b128 v[9:12], off, off offset:424
	s_wait_loadcnt_dscnt 0x100
	v_mul_f32_e32 v181, v5, v2
	v_dual_mul_f32 v2, v6, v2 :: v_dual_mul_f32 v183, v7, v4
	s_delay_alu instid0(VALU_DEP_2) | instskip(NEXT) | instid1(VALU_DEP_2)
	v_fmac_f32_e32 v181, v6, v1
	v_fma_f32 v182, v5, v1, -v2
	v_mul_f32_e32 v1, v8, v4
	s_delay_alu instid0(VALU_DEP_4) | instskip(NEXT) | instid1(VALU_DEP_2)
	v_fmac_f32_e32 v183, v8, v3
	v_fma_f32 v184, v7, v3, -v1
	v_add_f32_e32 v1, 0, v22
	s_delay_alu instid0(VALU_DEP_1) | instskip(NEXT) | instid1(VALU_DEP_1)
	v_dual_add_f32 v1, v1, v23 :: v_dual_add_f32 v2, 0, v161
	v_add_f32_e32 v1, v1, v26
	s_delay_alu instid0(VALU_DEP_1) | instskip(SKIP_2) | instid1(VALU_DEP_1)
	v_dual_add_f32 v1, v1, v27 :: v_dual_add_f32 v2, v2, v162
	scratch_load_b64 v[26:27], off, off offset:504
	v_add_f32_e32 v1, v1, v28
	v_dual_add_f32 v2, v2, v24 :: v_dual_add_f32 v1, v1, v29
	s_delay_alu instid0(VALU_DEP_1) | instskip(NEXT) | instid1(VALU_DEP_2)
	v_add_f32_e32 v2, v2, v25
	v_add_f32_e32 v6, v1, v13
	s_delay_alu instid0(VALU_DEP_2) | instskip(NEXT) | instid1(VALU_DEP_1)
	v_add_f32_e32 v2, v2, v32
	v_add_f32_e32 v5, v2, v168
	scratch_load_b128 v[1:4], off, off offset:440
	v_add_f32_e32 v13, v5, v164
	s_delay_alu instid0(VALU_DEP_1) | instskip(SKIP_2) | instid1(VALU_DEP_1)
	v_dual_add_f32 v13, v13, v165 :: v_dual_add_f32 v14, v6, v14
	ds_load_2addr_b64 v[5:8], v21 offset0:117 offset1:118
	v_dual_add_f32 v13, v13, v15 :: v_dual_add_f32 v14, v14, v16
	v_dual_add_f32 v18, v13, v18 :: v_dual_add_f32 v17, v14, v17
	ds_load_2addr_b64 v[13:16], v21 offset0:119 offset1:120
	v_add_f32_e32 v17, v17, v166
	s_delay_alu instid0(VALU_DEP_1) | instskip(SKIP_3) | instid1(VALU_DEP_3)
	v_add_f32_e32 v17, v17, v167
	s_wait_loadcnt_dscnt 0x201
	v_dual_mul_f32 v32, v5, v10 :: v_dual_mul_f32 v161, v7, v12
	v_mul_f32_e32 v10, v6, v10
	v_dual_mul_f32 v12, v8, v12 :: v_dual_add_f32 v17, v17, v171
	s_delay_alu instid0(VALU_DEP_3) | instskip(NEXT) | instid1(VALU_DEP_3)
	v_dual_fmac_f32 v32, v6, v9 :: v_dual_fmac_f32 v161, v8, v11
	v_fma_f32 v162, v5, v9, -v10
	s_delay_alu instid0(VALU_DEP_3) | instskip(SKIP_4) | instid1(VALU_DEP_1)
	v_fma_f32 v164, v7, v11, -v12
	scratch_load_b128 v[5:8], off, off offset:456
	v_dual_add_f32 v18, v18, v19 :: v_dual_add_f32 v23, v17, v172
	scratch_load_b128 v[9:12], off, off offset:472
	v_dual_add_f32 v18, v18, v20 :: v_dual_add_f32 v23, v23, v174
	v_dual_add_f32 v22, v18, v169 :: v_dual_add_f32 v23, v23, v176
	scratch_load_b128 v[17:20], off, off offset:488
	v_add_f32_e32 v23, v23, v178
	s_wait_loadcnt_dscnt 0x300
	v_mul_f32_e32 v165, v13, v2
	v_mul_f32_e32 v2, v14, v2
	;; [unrolled: 1-line block ×3, first 2 shown]
	s_delay_alu instid0(VALU_DEP_3) | instskip(SKIP_1) | instid1(VALU_DEP_4)
	v_dual_mul_f32 v4, v16, v4 :: v_dual_fmac_f32 v165, v14, v1
	v_add_f32_e32 v14, v23, v180
	v_fma_f32 v167, v13, v1, -v2
	s_delay_alu instid0(VALU_DEP_4) | instskip(NEXT) | instid1(VALU_DEP_4)
	v_fmac_f32_e32 v166, v16, v3
	v_fma_f32 v168, v15, v3, -v4
	ds_load_2addr_b64 v[1:4], v21 offset0:121 offset1:122
	v_add_f32_e32 v28, v14, v182
	s_delay_alu instid0(VALU_DEP_1) | instskip(NEXT) | instid1(VALU_DEP_1)
	v_dual_add_f32 v22, v22, v170 :: v_dual_add_f32 v169, v28, v184
	v_add_f32_e32 v22, v22, v173
	s_delay_alu instid0(VALU_DEP_1) | instskip(NEXT) | instid1(VALU_DEP_1)
	v_add_f32_e32 v22, v22, v175
	v_add_f32_e32 v13, v22, v177
	s_delay_alu instid0(VALU_DEP_1)
	v_add_f32_e32 v22, v13, v179
	ds_load_2addr_b64 v[13:16], v21 offset0:123 offset1:124
	v_dual_add_f32 v162, v169, v162 :: v_dual_add_f32 v29, v22, v181
	ds_load_2addr_b64 v[22:25], v21 offset0:125 offset1:126
	s_wait_loadcnt_dscnt 0x202
	v_mul_f32_e32 v169, v1, v6
	v_mul_f32_e32 v6, v2, v6
	v_add_f32_e32 v170, v29, v183
	ds_load_b64 v[28:29], v21 offset:1016
	v_fmac_f32_e32 v169, v2, v5
	v_add_f32_e32 v162, v162, v164
	v_fma_f32 v1, v1, v5, -v6
	s_wait_loadcnt_dscnt 0x102
	s_delay_alu instid0(VALU_DEP_2) | instskip(SKIP_2) | instid1(VALU_DEP_2)
	v_dual_add_f32 v162, v162, v167 :: v_dual_mul_f32 v5, v16, v12
	s_wait_loadcnt_dscnt 0x1
	v_mul_f32_e32 v167, v22, v18
	v_add_f32_e32 v162, v162, v168
	s_delay_alu instid0(VALU_DEP_3) | instskip(NEXT) | instid1(VALU_DEP_3)
	v_fma_f32 v5, v15, v11, -v5
	v_dual_fmac_f32 v167, v23, v17 :: v_dual_mul_f32 v164, v13, v10
	s_delay_alu instid0(VALU_DEP_3) | instskip(SKIP_1) | instid1(VALU_DEP_3)
	v_add_f32_e32 v1, v162, v1
	v_add_f32_e32 v32, v170, v32
	v_fmac_f32_e32 v164, v14, v9
	s_delay_alu instid0(VALU_DEP_2) | instskip(SKIP_1) | instid1(VALU_DEP_2)
	v_dual_add_f32 v32, v32, v161 :: v_dual_mul_f32 v161, v3, v8
	v_mul_f32_e32 v8, v4, v8
	v_fmac_f32_e32 v161, v4, v7
	s_delay_alu instid0(VALU_DEP_2) | instskip(NEXT) | instid1(VALU_DEP_4)
	v_fma_f32 v2, v3, v7, -v8
	v_dual_mul_f32 v3, v14, v10 :: v_dual_add_f32 v32, v32, v165
	v_mul_f32_e32 v165, v15, v12
	s_delay_alu instid0(VALU_DEP_3) | instskip(NEXT) | instid1(VALU_DEP_3)
	v_add_f32_e32 v1, v1, v2
	v_fma_f32 v3, v13, v9, -v3
	s_delay_alu instid0(VALU_DEP_3) | instskip(NEXT) | instid1(VALU_DEP_2)
	v_fmac_f32_e32 v165, v16, v11
	v_dual_add_f32 v1, v1, v3 :: v_dual_mul_f32 v168, v24, v20
	v_mul_f32_e32 v3, v25, v20
	s_delay_alu instid0(VALU_DEP_2) | instskip(SKIP_2) | instid1(VALU_DEP_3)
	v_add_f32_e32 v1, v1, v5
	s_wait_dscnt 0x0
	v_dual_mul_f32 v5, v29, v27 :: v_dual_add_f32 v32, v32, v166
	v_fma_f32 v3, v24, v19, -v3
	v_fmac_f32_e32 v168, v25, v19
	s_delay_alu instid0(VALU_DEP_3) | instskip(NEXT) | instid1(VALU_DEP_1)
	v_add_f32_e32 v4, v32, v169
	v_add_f32_e32 v2, v4, v161
	v_mul_f32_e32 v4, v23, v18
	s_delay_alu instid0(VALU_DEP_2) | instskip(NEXT) | instid1(VALU_DEP_2)
	v_add_f32_e32 v2, v2, v164
	v_fma_f32 v4, v22, v17, -v4
	s_delay_alu instid0(VALU_DEP_1) | instskip(SKIP_1) | instid1(VALU_DEP_2)
	v_dual_add_f32 v2, v2, v165 :: v_dual_add_f32 v1, v1, v4
	v_fma_f32 v4, v28, v26, -v5
	v_add_f32_e32 v2, v2, v167
	s_delay_alu instid0(VALU_DEP_3) | instskip(SKIP_1) | instid1(VALU_DEP_3)
	v_add_f32_e32 v1, v1, v3
	v_mul_f32_e32 v166, v28, v27
	v_add_f32_e32 v2, v2, v168
	s_delay_alu instid0(VALU_DEP_3) | instskip(NEXT) | instid1(VALU_DEP_1)
	v_add_f32_e32 v1, v1, v4
	v_dual_fmac_f32 v166, v29, v26 :: v_dual_sub_f32 v1, v30, v1
	s_delay_alu instid0(VALU_DEP_1) | instskip(NEXT) | instid1(VALU_DEP_1)
	v_add_f32_e32 v2, v2, v166
	v_sub_f32_e32 v2, v31, v2
	scratch_store_b64 off, v[1:2], off offset:256
	v_cmpx_lt_u32_e32 31, v0
	s_cbranch_execz .LBB127_335
; %bb.334:
	scratch_load_b64 v[1:2], off, off offset:248
	v_mov_b32_e32 v22, v21
	scratch_store_b64 off, v[21:22], off offset:248
	s_wait_loadcnt 0x0
	ds_store_b64 v163, v[1:2]
.LBB127_335:
	s_wait_alu 0xfffe
	s_or_b32 exec_lo, exec_lo, s0
	s_wait_storecnt_dscnt 0x0
	s_barrier_signal -1
	s_barrier_wait -1
	global_inv scope:SCOPE_SE
	s_clause 0x4
	scratch_load_b128 v[5:8], off, off offset:256
	scratch_load_b128 v[1:4], off, off offset:272
	scratch_load_b128 v[9:12], off, off offset:288
	scratch_load_b128 v[13:16], off, off offset:304
	scratch_load_b128 v[17:20], off, off offset:320
	ds_load_b128 v[22:25], v21 offset:768
	ds_load_b128 v[26:29], v21 offset:784
	;; [unrolled: 1-line block ×3, first 2 shown]
	scratch_load_b64 v[30:31], off, off offset:248
	s_mov_b32 s0, exec_lo
	s_wait_loadcnt_dscnt 0x502
	v_mul_f32_e32 v32, v23, v6
	v_dual_mul_f32 v161, v22, v6 :: v_dual_mul_f32 v162, v24, v8
	v_mul_f32_e32 v6, v25, v8
	s_wait_loadcnt_dscnt 0x300
	v_mul_f32_e32 v168, v166, v12
	v_mul_f32_e32 v12, v167, v12
	v_dual_fmac_f32 v161, v23, v5 :: v_dual_fmac_f32 v162, v25, v7
	v_fma_f32 v23, v24, v7, -v6
	v_mul_f32_e32 v25, v28, v4
	v_fma_f32 v22, v22, v5, -v32
	ds_load_b128 v[5:8], v21 offset:816
	v_mul_f32_e32 v24, v26, v2
	v_mul_f32_e32 v4, v29, v4
	;; [unrolled: 1-line block ×4, first 2 shown]
	v_dual_mul_f32 v2, v27, v2 :: v_dual_fmac_f32 v25, v29, v3
	v_fmac_f32_e32 v24, v27, v1
	v_fma_f32 v27, v28, v3, -v4
	v_fmac_f32_e32 v32, v165, v9
	v_fma_f32 v28, v164, v9, -v10
	;; [unrolled: 2-line block ×3, first 2 shown]
	ds_load_b128 v[9:12], v21 offset:832
	s_wait_loadcnt_dscnt 0x201
	v_dual_mul_f32 v165, v7, v16 :: v_dual_mul_f32 v164, v5, v14
	v_mul_f32_e32 v14, v6, v14
	v_mul_f32_e32 v16, v8, v16
	s_delay_alu instid0(VALU_DEP_3)
	v_fmac_f32_e32 v165, v8, v15
	v_fma_f32 v26, v26, v1, -v2
	scratch_load_b128 v[1:4], off, off offset:336
	v_fmac_f32_e32 v164, v6, v13
	v_fma_f32 v13, v5, v13, -v14
	v_fma_f32 v14, v7, v15, -v16
	ds_load_b128 v[5:8], v21 offset:848
	s_wait_loadcnt_dscnt 0x201
	v_mul_f32_e32 v15, v9, v18
	v_mul_f32_e32 v16, v10, v18
	;; [unrolled: 1-line block ×3, first 2 shown]
	s_delay_alu instid0(VALU_DEP_3) | instskip(NEXT) | instid1(VALU_DEP_3)
	v_dual_mul_f32 v20, v12, v20 :: v_dual_fmac_f32 v15, v10, v17
	v_fma_f32 v16, v9, v17, -v16
	s_delay_alu instid0(VALU_DEP_3) | instskip(NEXT) | instid1(VALU_DEP_3)
	v_fmac_f32_e32 v18, v12, v19
	v_fma_f32 v17, v11, v19, -v20
	scratch_load_b128 v[9:12], off, off offset:352
	s_wait_loadcnt_dscnt 0x100
	v_mul_f32_e32 v19, v5, v2
	v_mul_f32_e32 v2, v6, v2
	;; [unrolled: 1-line block ×3, first 2 shown]
	s_delay_alu instid0(VALU_DEP_3) | instskip(NEXT) | instid1(VALU_DEP_3)
	v_dual_mul_f32 v4, v8, v4 :: v_dual_fmac_f32 v19, v6, v1
	v_fma_f32 v166, v5, v1, -v2
	s_delay_alu instid0(VALU_DEP_3) | instskip(NEXT) | instid1(VALU_DEP_3)
	v_fmac_f32_e32 v20, v8, v3
	v_fma_f32 v167, v7, v3, -v4
	ds_load_b128 v[1:4], v21 offset:864
	ds_load_b128 v[5:8], v21 offset:880
	s_wait_loadcnt_dscnt 0x1
	v_mul_f32_e32 v169, v1, v10
	v_mul_f32_e32 v10, v2, v10
	s_delay_alu instid0(VALU_DEP_2) | instskip(NEXT) | instid1(VALU_DEP_2)
	v_dual_mul_f32 v170, v3, v12 :: v_dual_fmac_f32 v169, v2, v9
	v_fma_f32 v171, v1, v9, -v10
	v_mul_f32_e32 v1, v4, v12
	s_delay_alu instid0(VALU_DEP_3) | instskip(NEXT) | instid1(VALU_DEP_2)
	v_fmac_f32_e32 v170, v4, v11
	v_fma_f32 v172, v3, v11, -v1
	s_clause 0x1
	scratch_load_b128 v[1:4], off, off offset:368
	scratch_load_b128 v[9:12], off, off offset:384
	s_wait_loadcnt_dscnt 0x100
	v_mul_f32_e32 v173, v5, v2
	v_dual_mul_f32 v2, v6, v2 :: v_dual_mul_f32 v175, v7, v4
	s_delay_alu instid0(VALU_DEP_2) | instskip(NEXT) | instid1(VALU_DEP_2)
	v_fmac_f32_e32 v173, v6, v1
	v_fma_f32 v174, v5, v1, -v2
	v_mul_f32_e32 v1, v8, v4
	s_delay_alu instid0(VALU_DEP_4) | instskip(NEXT) | instid1(VALU_DEP_2)
	v_fmac_f32_e32 v175, v8, v3
	v_fma_f32 v176, v7, v3, -v1
	ds_load_b128 v[1:4], v21 offset:896
	ds_load_b128 v[5:8], v21 offset:912
	s_wait_loadcnt_dscnt 0x1
	v_mul_f32_e32 v177, v1, v10
	v_mul_f32_e32 v179, v3, v12
	s_delay_alu instid0(VALU_DEP_2) | instskip(NEXT) | instid1(VALU_DEP_2)
	v_fmac_f32_e32 v177, v2, v9
	v_dual_mul_f32 v2, v2, v10 :: v_dual_fmac_f32 v179, v4, v11
	s_delay_alu instid0(VALU_DEP_1) | instskip(SKIP_1) | instid1(VALU_DEP_1)
	v_fma_f32 v178, v1, v9, -v2
	v_mul_f32_e32 v1, v4, v12
	v_fma_f32 v180, v3, v11, -v1
	s_clause 0x1
	scratch_load_b128 v[1:4], off, off offset:400
	scratch_load_b128 v[9:12], off, off offset:416
	s_wait_loadcnt_dscnt 0x100
	v_mul_f32_e32 v181, v5, v2
	v_dual_mul_f32 v2, v6, v2 :: v_dual_mul_f32 v183, v7, v4
	s_delay_alu instid0(VALU_DEP_2) | instskip(NEXT) | instid1(VALU_DEP_2)
	v_fmac_f32_e32 v181, v6, v1
	v_fma_f32 v182, v5, v1, -v2
	v_mul_f32_e32 v1, v8, v4
	s_delay_alu instid0(VALU_DEP_4) | instskip(NEXT) | instid1(VALU_DEP_2)
	v_fmac_f32_e32 v183, v8, v3
	v_fma_f32 v184, v7, v3, -v1
	ds_load_b128 v[1:4], v21 offset:928
	ds_load_b128 v[5:8], v21 offset:944
	s_wait_loadcnt_dscnt 0x1
	v_mul_f32_e32 v185, v1, v10
	v_mul_f32_e32 v187, v3, v12
	s_delay_alu instid0(VALU_DEP_2) | instskip(NEXT) | instid1(VALU_DEP_2)
	v_fmac_f32_e32 v185, v2, v9
	v_dual_mul_f32 v2, v2, v10 :: v_dual_fmac_f32 v187, v4, v11
	s_delay_alu instid0(VALU_DEP_1) | instskip(SKIP_1) | instid1(VALU_DEP_1)
	v_fma_f32 v186, v1, v9, -v2
	v_mul_f32_e32 v1, v4, v12
	v_fma_f32 v188, v3, v11, -v1
	s_clause 0x1
	scratch_load_b128 v[1:4], off, off offset:432
	scratch_load_b128 v[9:12], off, off offset:448
	s_wait_loadcnt_dscnt 0x100
	v_mul_f32_e32 v189, v5, v2
	v_dual_mul_f32 v2, v6, v2 :: v_dual_mul_f32 v191, v7, v4
	s_delay_alu instid0(VALU_DEP_1) | instskip(NEXT) | instid1(VALU_DEP_2)
	v_fma_f32 v190, v5, v1, -v2
	v_dual_add_f32 v2, 0, v161 :: v_dual_fmac_f32 v191, v8, v3
	s_delay_alu instid0(VALU_DEP_1) | instskip(NEXT) | instid1(VALU_DEP_1)
	v_add_f32_e32 v2, v2, v162
	v_add_f32_e32 v2, v2, v24
	s_delay_alu instid0(VALU_DEP_1) | instskip(NEXT) | instid1(VALU_DEP_1)
	v_add_f32_e32 v2, v2, v25
	v_add_f32_e32 v2, v2, v32
	s_delay_alu instid0(VALU_DEP_1) | instskip(NEXT) | instid1(VALU_DEP_1)
	v_add_f32_e32 v2, v2, v168
	v_add_f32_e32 v2, v2, v164
	s_delay_alu instid0(VALU_DEP_1) | instskip(NEXT) | instid1(VALU_DEP_1)
	v_add_f32_e32 v2, v2, v165
	v_add_f32_e32 v5, v2, v15
	s_delay_alu instid0(VALU_DEP_1) | instskip(NEXT) | instid1(VALU_DEP_1)
	v_add_f32_e32 v5, v5, v18
	v_add_f32_e32 v5, v5, v19
	v_fmac_f32_e32 v189, v6, v1
	v_mul_f32_e32 v1, v8, v4
	s_delay_alu instid0(VALU_DEP_1) | instskip(SKIP_1) | instid1(VALU_DEP_1)
	v_fma_f32 v192, v7, v3, -v1
	v_add_f32_e32 v1, 0, v22
	v_add_f32_e32 v1, v1, v23
	s_delay_alu instid0(VALU_DEP_1) | instskip(NEXT) | instid1(VALU_DEP_1)
	v_add_f32_e32 v1, v1, v26
	v_add_f32_e32 v1, v1, v27
	s_delay_alu instid0(VALU_DEP_1) | instskip(NEXT) | instid1(VALU_DEP_1)
	;; [unrolled: 3-line block ×3, first 2 shown]
	v_add_f32_e32 v1, v1, v13
	v_add_f32_e32 v1, v1, v14
	;; [unrolled: 1-line block ×3, first 2 shown]
	s_delay_alu instid0(VALU_DEP_1) | instskip(NEXT) | instid1(VALU_DEP_1)
	v_dual_add_f32 v1, v1, v16 :: v_dual_add_f32 v14, v14, v169
	v_add_f32_e32 v6, v1, v17
	s_delay_alu instid0(VALU_DEP_2) | instskip(SKIP_3) | instid1(VALU_DEP_1)
	v_add_f32_e32 v14, v14, v170
	ds_load_b128 v[1:4], v21 offset:960
	v_add_f32_e32 v6, v6, v166
	v_add_f32_e32 v17, v14, v173
	;; [unrolled: 1-line block ×3, first 2 shown]
	s_delay_alu instid0(VALU_DEP_1) | instskip(NEXT) | instid1(VALU_DEP_1)
	v_add_f32_e32 v17, v17, v177
	v_add_f32_e32 v17, v17, v179
	s_delay_alu instid0(VALU_DEP_1) | instskip(NEXT) | instid1(VALU_DEP_1)
	v_add_f32_e32 v23, v17, v181
	v_add_f32_e32 v32, v23, v183
	;; [unrolled: 1-line block ×3, first 2 shown]
	ds_load_b128 v[5:8], v21 offset:976
	s_wait_loadcnt_dscnt 0x1
	v_mul_f32_e32 v26, v3, v12
	v_mul_f32_e32 v12, v4, v12
	v_dual_add_f32 v32, v32, v185 :: v_dual_add_f32 v13, v13, v171
	s_delay_alu instid0(VALU_DEP_3) | instskip(NEXT) | instid1(VALU_DEP_3)
	v_fmac_f32_e32 v26, v4, v11
	v_fma_f32 v28, v3, v11, -v12
	s_delay_alu instid0(VALU_DEP_3) | instskip(NEXT) | instid1(VALU_DEP_1)
	v_dual_add_f32 v32, v32, v187 :: v_dual_add_f32 v13, v13, v172
	v_dual_add_f32 v32, v32, v189 :: v_dual_add_f32 v13, v13, v174
	s_delay_alu instid0(VALU_DEP_1) | instskip(NEXT) | instid1(VALU_DEP_2)
	v_add_f32_e32 v32, v32, v191
	v_add_f32_e32 v18, v13, v176
	scratch_load_b128 v[13:16], off, off offset:496
	v_add_f32_e32 v18, v18, v178
	v_mul_f32_e32 v25, v1, v10
	v_mul_f32_e32 v10, v2, v10
	s_delay_alu instid0(VALU_DEP_3) | instskip(NEXT) | instid1(VALU_DEP_3)
	v_add_f32_e32 v18, v18, v180
	v_fmac_f32_e32 v25, v2, v9
	s_delay_alu instid0(VALU_DEP_3)
	v_fma_f32 v27, v1, v9, -v10
	s_clause 0x1
	scratch_load_b128 v[1:4], off, off offset:464
	scratch_load_b128 v[9:12], off, off offset:480
	v_add_f32_e32 v22, v18, v182
	ds_load_b128 v[17:20], v21 offset:992
	v_add_f32_e32 v29, v22, v184
	ds_load_b128 v[21:24], v21 offset:1008
	s_wait_loadcnt_dscnt 0x200
	v_mul_f32_e32 v166, v21, v14
	s_delay_alu instid0(VALU_DEP_1)
	v_fmac_f32_e32 v166, v22, v13
	s_wait_loadcnt 0x1
	v_mul_f32_e32 v162, v7, v4
	s_wait_loadcnt 0x0
	v_mul_f32_e32 v164, v17, v10
	v_dual_add_f32 v29, v29, v186 :: v_dual_mul_f32 v4, v8, v4
	s_delay_alu instid0(VALU_DEP_3) | instskip(NEXT) | instid1(VALU_DEP_2)
	v_dual_mul_f32 v161, v5, v2 :: v_dual_fmac_f32 v162, v8, v3
	v_dual_mul_f32 v2, v6, v2 :: v_dual_add_f32 v29, v29, v188
	s_delay_alu instid0(VALU_DEP_3)
	v_fma_f32 v3, v7, v3, -v4
	v_mul_f32_e32 v4, v20, v12
	v_add_f32_e32 v25, v32, v25
	v_fmac_f32_e32 v161, v6, v1
	v_add_f32_e32 v29, v29, v190
	v_dual_mul_f32 v6, v18, v10 :: v_dual_mul_f32 v165, v19, v12
	v_fma_f32 v2, v5, v1, -v2
	s_delay_alu instid0(VALU_DEP_3) | instskip(SKIP_1) | instid1(VALU_DEP_4)
	v_dual_fmac_f32 v164, v18, v9 :: v_dual_add_f32 v29, v29, v192
	v_add_f32_e32 v5, v25, v26
	v_fmac_f32_e32 v165, v20, v11
	v_fma_f32 v4, v19, v11, -v4
	s_delay_alu instid0(VALU_DEP_4) | instskip(SKIP_1) | instid1(VALU_DEP_2)
	v_add_f32_e32 v27, v29, v27
	v_mul_f32_e32 v29, v23, v16
	v_add_f32_e32 v1, v27, v28
	s_delay_alu instid0(VALU_DEP_1) | instskip(SKIP_2) | instid1(VALU_DEP_2)
	v_add_f32_e32 v1, v1, v2
	v_add_f32_e32 v2, v5, v161
	v_fma_f32 v5, v17, v9, -v6
	v_dual_fmac_f32 v29, v24, v15 :: v_dual_add_f32 v2, v2, v162
	s_delay_alu instid0(VALU_DEP_1) | instskip(NEXT) | instid1(VALU_DEP_1)
	v_add_f32_e32 v2, v2, v164
	v_dual_add_f32 v2, v2, v165 :: v_dual_add_f32 v1, v1, v3
	v_mul_f32_e32 v3, v22, v14
	s_delay_alu instid0(VALU_DEP_2) | instskip(SKIP_1) | instid1(VALU_DEP_3)
	v_dual_add_f32 v2, v2, v166 :: v_dual_add_f32 v1, v1, v5
	v_mul_f32_e32 v5, v24, v16
	v_fma_f32 v3, v21, v13, -v3
	s_delay_alu instid0(VALU_DEP_3) | instskip(NEXT) | instid1(VALU_DEP_3)
	v_dual_add_f32 v2, v2, v29 :: v_dual_add_f32 v1, v1, v4
	v_fma_f32 v4, v23, v15, -v5
	s_delay_alu instid0(VALU_DEP_2) | instskip(NEXT) | instid1(VALU_DEP_1)
	v_dual_sub_f32 v2, v31, v2 :: v_dual_add_f32 v1, v1, v3
	v_add_f32_e32 v1, v1, v4
	s_delay_alu instid0(VALU_DEP_1)
	v_sub_f32_e32 v1, v30, v1
	scratch_store_b64 off, v[1:2], off offset:248
	v_cmpx_lt_u32_e32 30, v0
	s_cbranch_execz .LBB127_337
; %bb.336:
	scratch_load_b64 v[1:2], off, off offset:240
	v_mov_b32_e32 v3, 0
	s_delay_alu instid0(VALU_DEP_1)
	v_mov_b32_e32 v4, v3
	scratch_store_b64 off, v[3:4], off offset:240
	s_wait_loadcnt 0x0
	ds_store_b64 v163, v[1:2]
.LBB127_337:
	s_wait_alu 0xfffe
	s_or_b32 exec_lo, exec_lo, s0
	s_wait_storecnt_dscnt 0x0
	s_barrier_signal -1
	s_barrier_wait -1
	global_inv scope:SCOPE_SE
	s_clause 0x4
	scratch_load_b128 v[5:8], off, off offset:248
	scratch_load_b128 v[1:4], off, off offset:264
	scratch_load_b128 v[9:12], off, off offset:280
	scratch_load_b128 v[13:16], off, off offset:296
	scratch_load_b128 v[17:20], off, off offset:312
	v_mov_b32_e32 v21, 0
	ds_load_2addr_b64 v[22:25], v21 offset0:95 offset1:96
	ds_load_2addr_b64 v[26:29], v21 offset0:97 offset1:98
	;; [unrolled: 1-line block ×3, first 2 shown]
	scratch_load_b64 v[30:31], off, off offset:240
	s_mov_b32 s0, exec_lo
	s_wait_loadcnt_dscnt 0x502
	v_mul_f32_e32 v32, v23, v6
	v_dual_mul_f32 v161, v22, v6 :: v_dual_mul_f32 v162, v24, v8
	v_mul_f32_e32 v6, v25, v8
	s_wait_loadcnt_dscnt 0x300
	v_mul_f32_e32 v168, v166, v12
	v_fma_f32 v22, v22, v5, -v32
	v_dual_fmac_f32 v161, v23, v5 :: v_dual_fmac_f32 v162, v25, v7
	v_mul_f32_e32 v25, v28, v4
	v_fma_f32 v23, v24, v7, -v6
	ds_load_2addr_b64 v[5:8], v21 offset0:101 offset1:102
	v_mul_f32_e32 v24, v26, v2
	v_mul_f32_e32 v4, v29, v4
	;; [unrolled: 1-line block ×5, first 2 shown]
	v_dual_mul_f32 v2, v27, v2 :: v_dual_fmac_f32 v25, v29, v3
	v_fmac_f32_e32 v24, v27, v1
	v_fma_f32 v27, v28, v3, -v4
	v_fmac_f32_e32 v32, v165, v9
	v_fma_f32 v28, v164, v9, -v10
	;; [unrolled: 2-line block ×3, first 2 shown]
	ds_load_2addr_b64 v[9:12], v21 offset0:103 offset1:104
	s_wait_loadcnt_dscnt 0x201
	v_dual_mul_f32 v165, v7, v16 :: v_dual_mul_f32 v164, v5, v14
	v_mul_f32_e32 v14, v6, v14
	v_mul_f32_e32 v16, v8, v16
	s_delay_alu instid0(VALU_DEP_3)
	v_fmac_f32_e32 v165, v8, v15
	v_fma_f32 v26, v26, v1, -v2
	scratch_load_b128 v[1:4], off, off offset:328
	v_fmac_f32_e32 v164, v6, v13
	v_fma_f32 v13, v5, v13, -v14
	v_fma_f32 v14, v7, v15, -v16
	ds_load_2addr_b64 v[5:8], v21 offset0:105 offset1:106
	s_wait_loadcnt_dscnt 0x201
	v_mul_f32_e32 v15, v9, v18
	v_mul_f32_e32 v16, v10, v18
	;; [unrolled: 1-line block ×3, first 2 shown]
	s_delay_alu instid0(VALU_DEP_3) | instskip(NEXT) | instid1(VALU_DEP_3)
	v_dual_mul_f32 v20, v12, v20 :: v_dual_fmac_f32 v15, v10, v17
	v_fma_f32 v16, v9, v17, -v16
	s_delay_alu instid0(VALU_DEP_3) | instskip(NEXT) | instid1(VALU_DEP_3)
	v_fmac_f32_e32 v18, v12, v19
	v_fma_f32 v17, v11, v19, -v20
	scratch_load_b128 v[9:12], off, off offset:344
	s_wait_loadcnt_dscnt 0x100
	v_mul_f32_e32 v19, v5, v2
	v_mul_f32_e32 v2, v6, v2
	;; [unrolled: 1-line block ×3, first 2 shown]
	s_delay_alu instid0(VALU_DEP_3) | instskip(NEXT) | instid1(VALU_DEP_3)
	v_dual_mul_f32 v4, v8, v4 :: v_dual_fmac_f32 v19, v6, v1
	v_fma_f32 v166, v5, v1, -v2
	s_delay_alu instid0(VALU_DEP_3) | instskip(NEXT) | instid1(VALU_DEP_3)
	v_fmac_f32_e32 v20, v8, v3
	v_fma_f32 v167, v7, v3, -v4
	ds_load_2addr_b64 v[1:4], v21 offset0:107 offset1:108
	ds_load_2addr_b64 v[5:8], v21 offset0:109 offset1:110
	s_wait_loadcnt_dscnt 0x1
	v_mul_f32_e32 v169, v1, v10
	v_mul_f32_e32 v10, v2, v10
	s_delay_alu instid0(VALU_DEP_2) | instskip(NEXT) | instid1(VALU_DEP_2)
	v_dual_mul_f32 v170, v3, v12 :: v_dual_fmac_f32 v169, v2, v9
	v_fma_f32 v171, v1, v9, -v10
	v_mul_f32_e32 v1, v4, v12
	s_delay_alu instid0(VALU_DEP_3) | instskip(NEXT) | instid1(VALU_DEP_2)
	v_fmac_f32_e32 v170, v4, v11
	v_fma_f32 v172, v3, v11, -v1
	s_clause 0x1
	scratch_load_b128 v[1:4], off, off offset:360
	scratch_load_b128 v[9:12], off, off offset:376
	s_wait_loadcnt_dscnt 0x100
	v_mul_f32_e32 v173, v5, v2
	v_dual_mul_f32 v2, v6, v2 :: v_dual_mul_f32 v175, v7, v4
	s_delay_alu instid0(VALU_DEP_2) | instskip(NEXT) | instid1(VALU_DEP_2)
	v_fmac_f32_e32 v173, v6, v1
	v_fma_f32 v174, v5, v1, -v2
	v_mul_f32_e32 v1, v8, v4
	s_delay_alu instid0(VALU_DEP_4) | instskip(NEXT) | instid1(VALU_DEP_2)
	v_fmac_f32_e32 v175, v8, v3
	v_fma_f32 v176, v7, v3, -v1
	ds_load_2addr_b64 v[1:4], v21 offset0:111 offset1:112
	ds_load_2addr_b64 v[5:8], v21 offset0:113 offset1:114
	s_wait_loadcnt_dscnt 0x1
	v_mul_f32_e32 v177, v1, v10
	v_mul_f32_e32 v179, v3, v12
	s_delay_alu instid0(VALU_DEP_2) | instskip(NEXT) | instid1(VALU_DEP_2)
	v_fmac_f32_e32 v177, v2, v9
	v_dual_mul_f32 v2, v2, v10 :: v_dual_fmac_f32 v179, v4, v11
	s_delay_alu instid0(VALU_DEP_1) | instskip(SKIP_1) | instid1(VALU_DEP_1)
	v_fma_f32 v178, v1, v9, -v2
	v_mul_f32_e32 v1, v4, v12
	v_fma_f32 v180, v3, v11, -v1
	s_clause 0x1
	scratch_load_b128 v[1:4], off, off offset:392
	scratch_load_b128 v[9:12], off, off offset:408
	s_wait_loadcnt_dscnt 0x100
	v_mul_f32_e32 v181, v5, v2
	v_dual_mul_f32 v2, v6, v2 :: v_dual_mul_f32 v183, v7, v4
	s_delay_alu instid0(VALU_DEP_2) | instskip(NEXT) | instid1(VALU_DEP_2)
	v_fmac_f32_e32 v181, v6, v1
	v_fma_f32 v182, v5, v1, -v2
	v_mul_f32_e32 v1, v8, v4
	s_delay_alu instid0(VALU_DEP_4) | instskip(NEXT) | instid1(VALU_DEP_2)
	v_fmac_f32_e32 v183, v8, v3
	v_fma_f32 v184, v7, v3, -v1
	ds_load_2addr_b64 v[1:4], v21 offset0:115 offset1:116
	ds_load_2addr_b64 v[5:8], v21 offset0:117 offset1:118
	s_wait_loadcnt_dscnt 0x1
	v_mul_f32_e32 v185, v1, v10
	v_mul_f32_e32 v187, v3, v12
	s_delay_alu instid0(VALU_DEP_2) | instskip(NEXT) | instid1(VALU_DEP_2)
	v_fmac_f32_e32 v185, v2, v9
	v_dual_mul_f32 v2, v2, v10 :: v_dual_fmac_f32 v187, v4, v11
	s_delay_alu instid0(VALU_DEP_1) | instskip(SKIP_1) | instid1(VALU_DEP_1)
	v_fma_f32 v186, v1, v9, -v2
	v_mul_f32_e32 v1, v4, v12
	v_fma_f32 v188, v3, v11, -v1
	s_clause 0x1
	scratch_load_b128 v[1:4], off, off offset:424
	scratch_load_b128 v[9:12], off, off offset:440
	s_wait_loadcnt_dscnt 0x100
	v_mul_f32_e32 v189, v5, v2
	v_dual_mul_f32 v2, v6, v2 :: v_dual_mul_f32 v191, v7, v4
	s_delay_alu instid0(VALU_DEP_1) | instskip(NEXT) | instid1(VALU_DEP_2)
	v_fma_f32 v190, v5, v1, -v2
	v_dual_add_f32 v2, 0, v161 :: v_dual_fmac_f32 v191, v8, v3
	s_delay_alu instid0(VALU_DEP_4) | instskip(NEXT) | instid1(VALU_DEP_2)
	v_fmac_f32_e32 v189, v6, v1
	v_add_f32_e32 v2, v2, v162
	s_delay_alu instid0(VALU_DEP_1) | instskip(NEXT) | instid1(VALU_DEP_1)
	v_add_f32_e32 v2, v2, v24
	v_dual_mul_f32 v1, v8, v4 :: v_dual_add_f32 v2, v2, v25
	s_delay_alu instid0(VALU_DEP_1) | instskip(NEXT) | instid1(VALU_DEP_2)
	v_fma_f32 v192, v7, v3, -v1
	v_dual_add_f32 v1, 0, v22 :: v_dual_add_f32 v2, v2, v32
	s_delay_alu instid0(VALU_DEP_1) | instskip(NEXT) | instid1(VALU_DEP_1)
	v_dual_add_f32 v1, v1, v23 :: v_dual_add_f32 v2, v2, v168
	v_dual_add_f32 v1, v1, v26 :: v_dual_add_f32 v2, v2, v164
	s_delay_alu instid0(VALU_DEP_1) | instskip(SKIP_2) | instid1(VALU_DEP_1)
	v_add_f32_e32 v1, v1, v27
	scratch_load_b64 v[26:27], off, off offset:504
	v_dual_add_f32 v2, v2, v165 :: v_dual_add_f32 v1, v1, v28
	v_add_f32_e32 v5, v2, v15
	s_delay_alu instid0(VALU_DEP_2) | instskip(NEXT) | instid1(VALU_DEP_2)
	v_add_f32_e32 v1, v1, v29
	v_add_f32_e32 v5, v5, v18
	s_delay_alu instid0(VALU_DEP_2) | instskip(NEXT) | instid1(VALU_DEP_2)
	v_add_f32_e32 v1, v1, v13
	;; [unrolled: 3-line block ×3, first 2 shown]
	v_add_f32_e32 v14, v5, v20
	s_delay_alu instid0(VALU_DEP_1) | instskip(NEXT) | instid1(VALU_DEP_1)
	v_dual_add_f32 v14, v14, v169 :: v_dual_add_f32 v1, v1, v16
	v_add_f32_e32 v14, v14, v170
	s_delay_alu instid0(VALU_DEP_2) | instskip(SKIP_3) | instid1(VALU_DEP_1)
	v_add_f32_e32 v6, v1, v17
	ds_load_2addr_b64 v[1:4], v21 offset0:119 offset1:120
	v_add_f32_e32 v17, v14, v173
	v_add_f32_e32 v6, v6, v166
	;; [unrolled: 1-line block ×3, first 2 shown]
	ds_load_2addr_b64 v[5:8], v21 offset0:121 offset1:122
	s_wait_loadcnt_dscnt 0x101
	v_mul_f32_e32 v32, v1, v10
	v_dual_mul_f32 v10, v2, v10 :: v_dual_mul_f32 v161, v3, v12
	v_mul_f32_e32 v12, v4, v12
	s_delay_alu instid0(VALU_DEP_3) | instskip(NEXT) | instid1(VALU_DEP_3)
	v_fmac_f32_e32 v32, v2, v9
	v_fma_f32 v162, v1, v9, -v10
	s_delay_alu instid0(VALU_DEP_4) | instskip(NEXT) | instid1(VALU_DEP_4)
	v_fmac_f32_e32 v161, v4, v11
	v_fma_f32 v164, v3, v11, -v12
	s_clause 0x1
	scratch_load_b128 v[1:4], off, off offset:456
	scratch_load_b128 v[9:12], off, off offset:472
	s_wait_loadcnt_dscnt 0x100
	v_dual_mul_f32 v168, v7, v4 :: v_dual_add_f32 v13, v13, v171
	v_mul_f32_e32 v167, v5, v2
	v_mul_f32_e32 v2, v6, v2
	;; [unrolled: 1-line block ×3, first 2 shown]
	s_delay_alu instid0(VALU_DEP_4) | instskip(NEXT) | instid1(VALU_DEP_3)
	v_dual_fmac_f32 v168, v8, v3 :: v_dual_add_f32 v13, v13, v172
	v_fma_f32 v2, v5, v1, -v2
	s_delay_alu instid0(VALU_DEP_2) | instskip(NEXT) | instid1(VALU_DEP_1)
	v_add_f32_e32 v13, v13, v174
	v_add_f32_e32 v18, v13, v176
	scratch_load_b128 v[13:16], off, off offset:488
	v_add_f32_e32 v18, v18, v178
	s_delay_alu instid0(VALU_DEP_1) | instskip(NEXT) | instid1(VALU_DEP_1)
	v_add_f32_e32 v18, v18, v180
	v_dual_add_f32 v18, v18, v182 :: v_dual_add_f32 v17, v17, v175
	s_delay_alu instid0(VALU_DEP_1) | instskip(NEXT) | instid1(VALU_DEP_1)
	v_dual_add_f32 v18, v18, v184 :: v_dual_add_f32 v17, v17, v177
	v_dual_add_f32 v28, v18, v186 :: v_dual_add_f32 v17, v17, v179
	s_delay_alu instid0(VALU_DEP_1) | instskip(NEXT) | instid1(VALU_DEP_2)
	v_add_f32_e32 v165, v28, v188
	v_add_f32_e32 v17, v17, v181
	s_delay_alu instid0(VALU_DEP_1)
	v_add_f32_e32 v22, v17, v183
	ds_load_2addr_b64 v[17:20], v21 offset0:123 offset1:124
	v_add_f32_e32 v29, v22, v185
	ds_load_2addr_b64 v[22:25], v21 offset0:125 offset1:126
	v_add_f32_e32 v166, v29, v187
	ds_load_b64 v[28:29], v21 offset:1016
	v_add_f32_e32 v166, v166, v189
	s_delay_alu instid0(VALU_DEP_1) | instskip(SKIP_2) | instid1(VALU_DEP_2)
	v_dual_add_f32 v166, v166, v191 :: v_dual_add_f32 v165, v165, v190
	s_wait_loadcnt_dscnt 0x102
	v_mul_f32_e32 v5, v20, v12
	v_add_f32_e32 v32, v166, v32
	s_delay_alu instid0(VALU_DEP_3) | instskip(SKIP_2) | instid1(VALU_DEP_4)
	v_add_f32_e32 v165, v165, v192
	v_dual_mul_f32 v166, v19, v12 :: v_dual_fmac_f32 v167, v6, v1
	v_fma_f32 v1, v7, v3, -v4
	v_add_f32_e32 v32, v32, v161
	s_wait_dscnt 0x0
	v_dual_add_f32 v162, v165, v162 :: v_dual_mul_f32 v161, v28, v27
	v_mul_f32_e32 v165, v17, v10
	s_delay_alu instid0(VALU_DEP_3) | instskip(NEXT) | instid1(VALU_DEP_3)
	v_dual_mul_f32 v3, v18, v10 :: v_dual_add_f32 v4, v32, v167
	v_add_f32_e32 v162, v162, v164
	s_delay_alu instid0(VALU_DEP_3) | instskip(NEXT) | instid1(VALU_DEP_3)
	v_dual_fmac_f32 v166, v20, v11 :: v_dual_fmac_f32 v165, v18, v9
	v_fma_f32 v3, v17, v9, -v3
	v_fma_f32 v5, v19, v11, -v5
	s_delay_alu instid0(VALU_DEP_4) | instskip(SKIP_1) | instid1(VALU_DEP_2)
	v_add_f32_e32 v2, v162, v2
	v_fmac_f32_e32 v161, v29, v26
	v_dual_add_f32 v1, v2, v1 :: v_dual_add_f32 v2, v4, v168
	s_delay_alu instid0(VALU_DEP_1) | instskip(SKIP_2) | instid1(VALU_DEP_3)
	v_add_f32_e32 v2, v2, v165
	s_wait_loadcnt 0x0
	v_dual_mul_f32 v169, v22, v14 :: v_dual_mul_f32 v164, v24, v16
	v_dual_mul_f32 v4, v23, v14 :: v_dual_add_f32 v1, v1, v3
	v_mul_f32_e32 v3, v25, v16
	s_delay_alu instid0(VALU_DEP_3) | instskip(NEXT) | instid1(VALU_DEP_4)
	v_dual_fmac_f32 v169, v23, v13 :: v_dual_add_f32 v2, v2, v166
	v_fmac_f32_e32 v164, v25, v15
	s_delay_alu instid0(VALU_DEP_4) | instskip(NEXT) | instid1(VALU_DEP_4)
	v_fma_f32 v4, v22, v13, -v4
	v_fma_f32 v3, v24, v15, -v3
	s_delay_alu instid0(VALU_DEP_4) | instskip(NEXT) | instid1(VALU_DEP_1)
	v_add_f32_e32 v2, v2, v169
	v_dual_add_f32 v1, v1, v5 :: v_dual_add_f32 v2, v2, v164
	s_delay_alu instid0(VALU_DEP_1) | instskip(NEXT) | instid1(VALU_DEP_2)
	v_dual_mul_f32 v5, v29, v27 :: v_dual_add_f32 v2, v2, v161
	v_add_f32_e32 v1, v1, v4
	s_delay_alu instid0(VALU_DEP_2) | instskip(NEXT) | instid1(VALU_DEP_2)
	v_fma_f32 v4, v28, v26, -v5
	v_dual_sub_f32 v2, v31, v2 :: v_dual_add_f32 v1, v1, v3
	s_delay_alu instid0(VALU_DEP_1) | instskip(NEXT) | instid1(VALU_DEP_1)
	v_add_f32_e32 v1, v1, v4
	v_sub_f32_e32 v1, v30, v1
	scratch_store_b64 off, v[1:2], off offset:240
	v_cmpx_lt_u32_e32 29, v0
	s_cbranch_execz .LBB127_339
; %bb.338:
	scratch_load_b64 v[1:2], off, off offset:232
	v_mov_b32_e32 v22, v21
	scratch_store_b64 off, v[21:22], off offset:232
	s_wait_loadcnt 0x0
	ds_store_b64 v163, v[1:2]
.LBB127_339:
	s_wait_alu 0xfffe
	s_or_b32 exec_lo, exec_lo, s0
	s_wait_storecnt_dscnt 0x0
	s_barrier_signal -1
	s_barrier_wait -1
	global_inv scope:SCOPE_SE
	s_clause 0x4
	scratch_load_b128 v[5:8], off, off offset:240
	scratch_load_b128 v[1:4], off, off offset:256
	;; [unrolled: 1-line block ×5, first 2 shown]
	ds_load_b128 v[22:25], v21 offset:752
	ds_load_b128 v[26:29], v21 offset:768
	;; [unrolled: 1-line block ×3, first 2 shown]
	scratch_load_b64 v[30:31], off, off offset:232
	s_mov_b32 s0, exec_lo
	s_wait_loadcnt_dscnt 0x502
	v_mul_f32_e32 v32, v23, v6
	v_dual_mul_f32 v161, v22, v6 :: v_dual_mul_f32 v162, v24, v8
	v_mul_f32_e32 v6, v25, v8
	s_wait_loadcnt_dscnt 0x300
	v_mul_f32_e32 v168, v166, v12
	v_mul_f32_e32 v12, v167, v12
	v_dual_fmac_f32 v161, v23, v5 :: v_dual_fmac_f32 v162, v25, v7
	v_fma_f32 v23, v24, v7, -v6
	v_mul_f32_e32 v25, v28, v4
	v_fma_f32 v22, v22, v5, -v32
	ds_load_b128 v[5:8], v21 offset:800
	v_mul_f32_e32 v24, v26, v2
	v_mul_f32_e32 v4, v29, v4
	;; [unrolled: 1-line block ×4, first 2 shown]
	v_dual_mul_f32 v2, v27, v2 :: v_dual_fmac_f32 v25, v29, v3
	v_fmac_f32_e32 v24, v27, v1
	v_fma_f32 v27, v28, v3, -v4
	v_fmac_f32_e32 v32, v165, v9
	v_fma_f32 v28, v164, v9, -v10
	;; [unrolled: 2-line block ×3, first 2 shown]
	ds_load_b128 v[9:12], v21 offset:816
	s_wait_loadcnt_dscnt 0x201
	v_dual_mul_f32 v165, v7, v16 :: v_dual_mul_f32 v164, v5, v14
	v_mul_f32_e32 v14, v6, v14
	v_mul_f32_e32 v16, v8, v16
	s_delay_alu instid0(VALU_DEP_3)
	v_fmac_f32_e32 v165, v8, v15
	v_fma_f32 v26, v26, v1, -v2
	scratch_load_b128 v[1:4], off, off offset:320
	v_fmac_f32_e32 v164, v6, v13
	v_fma_f32 v13, v5, v13, -v14
	v_fma_f32 v14, v7, v15, -v16
	ds_load_b128 v[5:8], v21 offset:832
	s_wait_loadcnt_dscnt 0x201
	v_mul_f32_e32 v15, v9, v18
	v_mul_f32_e32 v16, v10, v18
	;; [unrolled: 1-line block ×3, first 2 shown]
	s_delay_alu instid0(VALU_DEP_3) | instskip(NEXT) | instid1(VALU_DEP_3)
	v_dual_mul_f32 v20, v12, v20 :: v_dual_fmac_f32 v15, v10, v17
	v_fma_f32 v16, v9, v17, -v16
	s_delay_alu instid0(VALU_DEP_3) | instskip(NEXT) | instid1(VALU_DEP_3)
	v_fmac_f32_e32 v18, v12, v19
	v_fma_f32 v17, v11, v19, -v20
	scratch_load_b128 v[9:12], off, off offset:336
	s_wait_loadcnt_dscnt 0x100
	v_mul_f32_e32 v19, v5, v2
	v_mul_f32_e32 v2, v6, v2
	;; [unrolled: 1-line block ×3, first 2 shown]
	s_delay_alu instid0(VALU_DEP_3) | instskip(NEXT) | instid1(VALU_DEP_3)
	v_dual_mul_f32 v4, v8, v4 :: v_dual_fmac_f32 v19, v6, v1
	v_fma_f32 v166, v5, v1, -v2
	s_delay_alu instid0(VALU_DEP_3) | instskip(NEXT) | instid1(VALU_DEP_3)
	v_fmac_f32_e32 v20, v8, v3
	v_fma_f32 v167, v7, v3, -v4
	ds_load_b128 v[1:4], v21 offset:848
	ds_load_b128 v[5:8], v21 offset:864
	s_wait_loadcnt_dscnt 0x1
	v_mul_f32_e32 v169, v1, v10
	v_mul_f32_e32 v10, v2, v10
	s_delay_alu instid0(VALU_DEP_2) | instskip(NEXT) | instid1(VALU_DEP_2)
	v_dual_mul_f32 v170, v3, v12 :: v_dual_fmac_f32 v169, v2, v9
	v_fma_f32 v171, v1, v9, -v10
	v_mul_f32_e32 v1, v4, v12
	s_delay_alu instid0(VALU_DEP_3) | instskip(NEXT) | instid1(VALU_DEP_2)
	v_fmac_f32_e32 v170, v4, v11
	v_fma_f32 v172, v3, v11, -v1
	s_clause 0x1
	scratch_load_b128 v[1:4], off, off offset:352
	scratch_load_b128 v[9:12], off, off offset:368
	s_wait_loadcnt_dscnt 0x100
	v_mul_f32_e32 v173, v5, v2
	v_dual_mul_f32 v2, v6, v2 :: v_dual_mul_f32 v175, v7, v4
	s_delay_alu instid0(VALU_DEP_2) | instskip(NEXT) | instid1(VALU_DEP_2)
	v_fmac_f32_e32 v173, v6, v1
	v_fma_f32 v174, v5, v1, -v2
	v_mul_f32_e32 v1, v8, v4
	s_delay_alu instid0(VALU_DEP_4) | instskip(NEXT) | instid1(VALU_DEP_2)
	v_fmac_f32_e32 v175, v8, v3
	v_fma_f32 v176, v7, v3, -v1
	ds_load_b128 v[1:4], v21 offset:880
	ds_load_b128 v[5:8], v21 offset:896
	s_wait_loadcnt_dscnt 0x1
	v_mul_f32_e32 v177, v1, v10
	v_mul_f32_e32 v179, v3, v12
	s_delay_alu instid0(VALU_DEP_2) | instskip(NEXT) | instid1(VALU_DEP_2)
	v_fmac_f32_e32 v177, v2, v9
	v_dual_mul_f32 v2, v2, v10 :: v_dual_fmac_f32 v179, v4, v11
	s_delay_alu instid0(VALU_DEP_1) | instskip(SKIP_1) | instid1(VALU_DEP_1)
	v_fma_f32 v178, v1, v9, -v2
	v_mul_f32_e32 v1, v4, v12
	v_fma_f32 v180, v3, v11, -v1
	s_clause 0x1
	scratch_load_b128 v[1:4], off, off offset:384
	scratch_load_b128 v[9:12], off, off offset:400
	s_wait_loadcnt_dscnt 0x100
	v_mul_f32_e32 v181, v5, v2
	v_dual_mul_f32 v2, v6, v2 :: v_dual_mul_f32 v183, v7, v4
	s_delay_alu instid0(VALU_DEP_2) | instskip(NEXT) | instid1(VALU_DEP_2)
	v_fmac_f32_e32 v181, v6, v1
	v_fma_f32 v182, v5, v1, -v2
	v_mul_f32_e32 v1, v8, v4
	s_delay_alu instid0(VALU_DEP_4) | instskip(NEXT) | instid1(VALU_DEP_2)
	v_fmac_f32_e32 v183, v8, v3
	v_fma_f32 v184, v7, v3, -v1
	ds_load_b128 v[1:4], v21 offset:912
	ds_load_b128 v[5:8], v21 offset:928
	s_wait_loadcnt_dscnt 0x1
	v_mul_f32_e32 v185, v1, v10
	v_mul_f32_e32 v187, v3, v12
	s_delay_alu instid0(VALU_DEP_2) | instskip(NEXT) | instid1(VALU_DEP_2)
	v_fmac_f32_e32 v185, v2, v9
	v_dual_mul_f32 v2, v2, v10 :: v_dual_fmac_f32 v187, v4, v11
	s_delay_alu instid0(VALU_DEP_1) | instskip(SKIP_1) | instid1(VALU_DEP_1)
	v_fma_f32 v186, v1, v9, -v2
	v_mul_f32_e32 v1, v4, v12
	v_fma_f32 v188, v3, v11, -v1
	s_clause 0x1
	scratch_load_b128 v[1:4], off, off offset:416
	scratch_load_b128 v[9:12], off, off offset:432
	s_wait_loadcnt_dscnt 0x100
	v_mul_f32_e32 v189, v5, v2
	v_dual_mul_f32 v2, v6, v2 :: v_dual_mul_f32 v191, v7, v4
	s_delay_alu instid0(VALU_DEP_1) | instskip(NEXT) | instid1(VALU_DEP_2)
	v_fma_f32 v190, v5, v1, -v2
	v_dual_add_f32 v2, 0, v161 :: v_dual_fmac_f32 v191, v8, v3
	s_delay_alu instid0(VALU_DEP_4) | instskip(NEXT) | instid1(VALU_DEP_2)
	v_fmac_f32_e32 v189, v6, v1
	v_add_f32_e32 v2, v2, v162
	s_delay_alu instid0(VALU_DEP_1) | instskip(NEXT) | instid1(VALU_DEP_1)
	v_add_f32_e32 v2, v2, v24
	v_dual_mul_f32 v1, v8, v4 :: v_dual_add_f32 v2, v2, v25
	s_delay_alu instid0(VALU_DEP_1) | instskip(NEXT) | instid1(VALU_DEP_2)
	v_fma_f32 v192, v7, v3, -v1
	v_dual_add_f32 v1, 0, v22 :: v_dual_add_f32 v2, v2, v32
	s_delay_alu instid0(VALU_DEP_1) | instskip(NEXT) | instid1(VALU_DEP_1)
	v_dual_add_f32 v1, v1, v23 :: v_dual_add_f32 v2, v2, v168
	v_dual_add_f32 v1, v1, v26 :: v_dual_add_f32 v2, v2, v164
	s_delay_alu instid0(VALU_DEP_1) | instskip(NEXT) | instid1(VALU_DEP_1)
	v_dual_add_f32 v1, v1, v27 :: v_dual_add_f32 v2, v2, v165
	v_dual_add_f32 v1, v1, v28 :: v_dual_add_f32 v2, v2, v15
	s_delay_alu instid0(VALU_DEP_1) | instskip(NEXT) | instid1(VALU_DEP_2)
	v_add_f32_e32 v1, v1, v29
	v_add_f32_e32 v5, v2, v18
	s_delay_alu instid0(VALU_DEP_2) | instskip(NEXT) | instid1(VALU_DEP_2)
	v_add_f32_e32 v1, v1, v13
	v_add_f32_e32 v13, v5, v19
	s_delay_alu instid0(VALU_DEP_2) | instskip(NEXT) | instid1(VALU_DEP_1)
	v_add_f32_e32 v1, v1, v14
	v_add_f32_e32 v1, v1, v16
	s_delay_alu instid0(VALU_DEP_1) | instskip(NEXT) | instid1(VALU_DEP_1)
	v_add_f32_e32 v1, v1, v17
	v_add_f32_e32 v6, v1, v166
	ds_load_b128 v[1:4], v21 offset:944
	v_dual_add_f32 v13, v13, v20 :: v_dual_add_f32 v14, v6, v167
	scratch_load_b128 v[5:8], off, off offset:448
	v_dual_add_f32 v13, v13, v169 :: v_dual_add_f32 v14, v14, v171
	s_delay_alu instid0(VALU_DEP_1) | instskip(SKIP_4) | instid1(VALU_DEP_2)
	v_dual_add_f32 v18, v13, v170 :: v_dual_add_f32 v17, v14, v172
	ds_load_b128 v[13:16], v21 offset:960
	v_add_f32_e32 v18, v18, v173
	s_wait_loadcnt_dscnt 0x101
	v_mul_f32_e32 v26, v3, v12
	v_dual_add_f32 v18, v18, v175 :: v_dual_add_f32 v17, v17, v174
	v_mul_f32_e32 v12, v4, v12
	s_delay_alu instid0(VALU_DEP_3) | instskip(NEXT) | instid1(VALU_DEP_3)
	v_fmac_f32_e32 v26, v4, v11
	v_dual_add_f32 v22, v18, v177 :: v_dual_mul_f32 v25, v1, v10
	v_mul_f32_e32 v10, v2, v10
	s_delay_alu instid0(VALU_DEP_4) | instskip(NEXT) | instid1(VALU_DEP_3)
	v_fma_f32 v28, v3, v11, -v12
	v_add_f32_e32 v22, v22, v179
	s_delay_alu instid0(VALU_DEP_4) | instskip(NEXT) | instid1(VALU_DEP_4)
	v_fmac_f32_e32 v25, v2, v9
	v_fma_f32 v27, v1, v9, -v10
	scratch_load_b128 v[1:4], off, off offset:464
	v_add_f32_e32 v17, v17, v176
	scratch_load_b128 v[9:12], off, off offset:480
	s_wait_loadcnt_dscnt 0x200
	v_dual_add_f32 v22, v22, v181 :: v_dual_mul_f32 v29, v13, v6
	v_mul_f32_e32 v6, v14, v6
	v_dual_add_f32 v17, v17, v178 :: v_dual_mul_f32 v32, v15, v8
	v_mul_f32_e32 v8, v16, v8
	s_delay_alu instid0(VALU_DEP_3) | instskip(NEXT) | instid1(VALU_DEP_3)
	v_fma_f32 v161, v13, v5, -v6
	v_dual_add_f32 v23, v17, v180 :: v_dual_fmac_f32 v32, v16, v7
	scratch_load_b128 v[17:20], off, off offset:496
	v_fma_f32 v162, v15, v7, -v8
	v_add_f32_e32 v23, v23, v182
	s_delay_alu instid0(VALU_DEP_1) | instskip(NEXT) | instid1(VALU_DEP_1)
	v_add_f32_e32 v23, v23, v184
	v_dual_add_f32 v13, v22, v183 :: v_dual_add_f32 v22, v23, v186
	s_delay_alu instid0(VALU_DEP_1) | instskip(NEXT) | instid1(VALU_DEP_1)
	v_add_f32_e32 v164, v22, v188
	v_dual_add_f32 v164, v164, v190 :: v_dual_fmac_f32 v29, v14, v5
	ds_load_b128 v[5:8], v21 offset:976
	v_add_f32_e32 v23, v13, v185
	ds_load_b128 v[13:16], v21 offset:992
	v_add_f32_e32 v164, v164, v192
	s_wait_loadcnt_dscnt 0x201
	s_delay_alu instid0(VALU_DEP_1)
	v_dual_add_f32 v27, v164, v27 :: v_dual_mul_f32 v164, v7, v4
	v_dual_add_f32 v165, v23, v187 :: v_dual_mul_f32 v166, v5, v2
	ds_load_b128 v[21:24], v21 offset:1008
	v_mul_f32_e32 v2, v6, v2
	v_dual_mul_f32 v4, v8, v4 :: v_dual_add_f32 v165, v165, v189
	s_wait_loadcnt_dscnt 0x101
	v_dual_fmac_f32 v166, v6, v1 :: v_dual_mul_f32 v167, v15, v12
	v_mul_f32_e32 v6, v14, v10
	v_fma_f32 v2, v5, v1, -v2
	v_add_f32_e32 v165, v165, v191
	v_fmac_f32_e32 v164, v8, v3
	v_fma_f32 v3, v7, v3, -v4
	s_delay_alu instid0(VALU_DEP_3) | instskip(SKIP_1) | instid1(VALU_DEP_2)
	v_dual_mul_f32 v4, v16, v12 :: v_dual_add_f32 v25, v165, v25
	v_mul_f32_e32 v165, v13, v10
	v_fma_f32 v4, v15, v11, -v4
	s_delay_alu instid0(VALU_DEP_3) | instskip(NEXT) | instid1(VALU_DEP_1)
	v_add_f32_e32 v25, v25, v26
	v_add_f32_e32 v25, v25, v29
	s_wait_loadcnt_dscnt 0x0
	v_dual_mul_f32 v26, v21, v18 :: v_dual_add_f32 v27, v27, v28
	v_mul_f32_e32 v28, v23, v20
	s_delay_alu instid0(VALU_DEP_3) | instskip(SKIP_1) | instid1(VALU_DEP_4)
	v_add_f32_e32 v5, v25, v32
	v_fmac_f32_e32 v165, v14, v9
	v_fmac_f32_e32 v26, v22, v17
	s_delay_alu instid0(VALU_DEP_4) | instskip(SKIP_1) | instid1(VALU_DEP_2)
	v_dual_add_f32 v27, v27, v161 :: v_dual_fmac_f32 v28, v24, v19
	v_fmac_f32_e32 v167, v16, v11
	v_add_f32_e32 v1, v27, v162
	s_delay_alu instid0(VALU_DEP_1) | instskip(SKIP_2) | instid1(VALU_DEP_2)
	v_add_f32_e32 v1, v1, v2
	v_add_f32_e32 v2, v5, v166
	v_fma_f32 v5, v13, v9, -v6
	v_add_f32_e32 v2, v2, v164
	s_delay_alu instid0(VALU_DEP_1) | instskip(NEXT) | instid1(VALU_DEP_1)
	v_add_f32_e32 v2, v2, v165
	v_add_f32_e32 v2, v2, v167
	;; [unrolled: 1-line block ×3, first 2 shown]
	v_mul_f32_e32 v3, v22, v18
	s_delay_alu instid0(VALU_DEP_3) | instskip(NEXT) | instid1(VALU_DEP_2)
	v_add_f32_e32 v2, v2, v26
	v_fma_f32 v3, v21, v17, -v3
	s_delay_alu instid0(VALU_DEP_2) | instskip(NEXT) | instid1(VALU_DEP_1)
	v_dual_add_f32 v2, v2, v28 :: v_dual_add_f32 v1, v1, v5
	v_dual_mul_f32 v5, v24, v20 :: v_dual_sub_f32 v2, v31, v2
	s_delay_alu instid0(VALU_DEP_2) | instskip(NEXT) | instid1(VALU_DEP_2)
	v_add_f32_e32 v1, v1, v4
	v_fma_f32 v4, v23, v19, -v5
	s_delay_alu instid0(VALU_DEP_2) | instskip(NEXT) | instid1(VALU_DEP_1)
	v_add_f32_e32 v1, v1, v3
	v_add_f32_e32 v1, v1, v4
	s_delay_alu instid0(VALU_DEP_1)
	v_sub_f32_e32 v1, v30, v1
	scratch_store_b64 off, v[1:2], off offset:232
	v_cmpx_lt_u32_e32 28, v0
	s_cbranch_execz .LBB127_341
; %bb.340:
	scratch_load_b64 v[1:2], off, off offset:224
	v_mov_b32_e32 v3, 0
	s_delay_alu instid0(VALU_DEP_1)
	v_mov_b32_e32 v4, v3
	scratch_store_b64 off, v[3:4], off offset:224
	s_wait_loadcnt 0x0
	ds_store_b64 v163, v[1:2]
.LBB127_341:
	s_wait_alu 0xfffe
	s_or_b32 exec_lo, exec_lo, s0
	s_wait_storecnt_dscnt 0x0
	s_barrier_signal -1
	s_barrier_wait -1
	global_inv scope:SCOPE_SE
	s_clause 0x4
	scratch_load_b128 v[5:8], off, off offset:232
	scratch_load_b128 v[1:4], off, off offset:248
	;; [unrolled: 1-line block ×5, first 2 shown]
	v_mov_b32_e32 v21, 0
	ds_load_2addr_b64 v[22:25], v21 offset0:93 offset1:94
	ds_load_2addr_b64 v[26:29], v21 offset0:95 offset1:96
	;; [unrolled: 1-line block ×3, first 2 shown]
	scratch_load_b64 v[30:31], off, off offset:224
	s_mov_b32 s0, exec_lo
	s_wait_loadcnt_dscnt 0x502
	v_mul_f32_e32 v32, v23, v6
	v_dual_mul_f32 v161, v22, v6 :: v_dual_mul_f32 v162, v24, v8
	v_mul_f32_e32 v6, v25, v8
	s_wait_loadcnt_dscnt 0x300
	v_mul_f32_e32 v168, v166, v12
	v_fma_f32 v22, v22, v5, -v32
	v_dual_fmac_f32 v161, v23, v5 :: v_dual_fmac_f32 v162, v25, v7
	v_mul_f32_e32 v25, v28, v4
	v_fma_f32 v23, v24, v7, -v6
	ds_load_2addr_b64 v[5:8], v21 offset0:99 offset1:100
	v_mul_f32_e32 v24, v26, v2
	v_mul_f32_e32 v4, v29, v4
	;; [unrolled: 1-line block ×5, first 2 shown]
	v_dual_mul_f32 v2, v27, v2 :: v_dual_fmac_f32 v25, v29, v3
	v_fmac_f32_e32 v24, v27, v1
	v_fma_f32 v27, v28, v3, -v4
	v_fmac_f32_e32 v32, v165, v9
	v_fma_f32 v28, v164, v9, -v10
	v_fmac_f32_e32 v168, v167, v11
	v_fma_f32 v29, v166, v11, -v12
	ds_load_2addr_b64 v[9:12], v21 offset0:101 offset1:102
	s_wait_loadcnt_dscnt 0x201
	v_dual_mul_f32 v165, v7, v16 :: v_dual_mul_f32 v164, v5, v14
	v_mul_f32_e32 v14, v6, v14
	v_mul_f32_e32 v16, v8, v16
	s_delay_alu instid0(VALU_DEP_3)
	v_fmac_f32_e32 v165, v8, v15
	v_fma_f32 v26, v26, v1, -v2
	scratch_load_b128 v[1:4], off, off offset:312
	v_fmac_f32_e32 v164, v6, v13
	v_fma_f32 v13, v5, v13, -v14
	v_fma_f32 v14, v7, v15, -v16
	ds_load_2addr_b64 v[5:8], v21 offset0:103 offset1:104
	s_wait_loadcnt_dscnt 0x201
	v_mul_f32_e32 v15, v9, v18
	v_mul_f32_e32 v16, v10, v18
	;; [unrolled: 1-line block ×3, first 2 shown]
	s_delay_alu instid0(VALU_DEP_3) | instskip(NEXT) | instid1(VALU_DEP_3)
	v_dual_mul_f32 v20, v12, v20 :: v_dual_fmac_f32 v15, v10, v17
	v_fma_f32 v16, v9, v17, -v16
	s_delay_alu instid0(VALU_DEP_3) | instskip(NEXT) | instid1(VALU_DEP_3)
	v_fmac_f32_e32 v18, v12, v19
	v_fma_f32 v17, v11, v19, -v20
	scratch_load_b128 v[9:12], off, off offset:328
	s_wait_loadcnt_dscnt 0x100
	v_mul_f32_e32 v19, v5, v2
	v_mul_f32_e32 v2, v6, v2
	;; [unrolled: 1-line block ×3, first 2 shown]
	s_delay_alu instid0(VALU_DEP_3) | instskip(NEXT) | instid1(VALU_DEP_3)
	v_dual_mul_f32 v4, v8, v4 :: v_dual_fmac_f32 v19, v6, v1
	v_fma_f32 v166, v5, v1, -v2
	s_delay_alu instid0(VALU_DEP_3) | instskip(NEXT) | instid1(VALU_DEP_3)
	v_fmac_f32_e32 v20, v8, v3
	v_fma_f32 v167, v7, v3, -v4
	ds_load_2addr_b64 v[1:4], v21 offset0:105 offset1:106
	ds_load_2addr_b64 v[5:8], v21 offset0:107 offset1:108
	s_wait_loadcnt_dscnt 0x1
	v_mul_f32_e32 v169, v1, v10
	v_mul_f32_e32 v10, v2, v10
	s_delay_alu instid0(VALU_DEP_2) | instskip(NEXT) | instid1(VALU_DEP_2)
	v_dual_mul_f32 v170, v3, v12 :: v_dual_fmac_f32 v169, v2, v9
	v_fma_f32 v171, v1, v9, -v10
	v_mul_f32_e32 v1, v4, v12
	s_delay_alu instid0(VALU_DEP_3) | instskip(NEXT) | instid1(VALU_DEP_2)
	v_fmac_f32_e32 v170, v4, v11
	v_fma_f32 v172, v3, v11, -v1
	s_clause 0x1
	scratch_load_b128 v[1:4], off, off offset:344
	scratch_load_b128 v[9:12], off, off offset:360
	s_wait_loadcnt_dscnt 0x100
	v_mul_f32_e32 v173, v5, v2
	v_dual_mul_f32 v2, v6, v2 :: v_dual_mul_f32 v175, v7, v4
	s_delay_alu instid0(VALU_DEP_2) | instskip(NEXT) | instid1(VALU_DEP_2)
	v_fmac_f32_e32 v173, v6, v1
	v_fma_f32 v174, v5, v1, -v2
	v_mul_f32_e32 v1, v8, v4
	s_delay_alu instid0(VALU_DEP_4) | instskip(NEXT) | instid1(VALU_DEP_2)
	v_fmac_f32_e32 v175, v8, v3
	v_fma_f32 v176, v7, v3, -v1
	ds_load_2addr_b64 v[1:4], v21 offset0:109 offset1:110
	ds_load_2addr_b64 v[5:8], v21 offset0:111 offset1:112
	s_wait_loadcnt_dscnt 0x1
	v_mul_f32_e32 v177, v1, v10
	v_mul_f32_e32 v179, v3, v12
	s_delay_alu instid0(VALU_DEP_2) | instskip(NEXT) | instid1(VALU_DEP_2)
	v_fmac_f32_e32 v177, v2, v9
	v_dual_mul_f32 v2, v2, v10 :: v_dual_fmac_f32 v179, v4, v11
	s_delay_alu instid0(VALU_DEP_1) | instskip(SKIP_1) | instid1(VALU_DEP_1)
	v_fma_f32 v178, v1, v9, -v2
	v_mul_f32_e32 v1, v4, v12
	v_fma_f32 v180, v3, v11, -v1
	s_clause 0x1
	scratch_load_b128 v[1:4], off, off offset:376
	scratch_load_b128 v[9:12], off, off offset:392
	s_wait_loadcnt_dscnt 0x100
	v_mul_f32_e32 v181, v5, v2
	v_dual_mul_f32 v2, v6, v2 :: v_dual_mul_f32 v183, v7, v4
	s_delay_alu instid0(VALU_DEP_2) | instskip(NEXT) | instid1(VALU_DEP_2)
	v_fmac_f32_e32 v181, v6, v1
	v_fma_f32 v182, v5, v1, -v2
	v_mul_f32_e32 v1, v8, v4
	s_delay_alu instid0(VALU_DEP_4) | instskip(NEXT) | instid1(VALU_DEP_2)
	v_fmac_f32_e32 v183, v8, v3
	v_fma_f32 v184, v7, v3, -v1
	ds_load_2addr_b64 v[1:4], v21 offset0:113 offset1:114
	ds_load_2addr_b64 v[5:8], v21 offset0:115 offset1:116
	s_wait_loadcnt_dscnt 0x1
	v_mul_f32_e32 v185, v1, v10
	v_mul_f32_e32 v187, v3, v12
	s_delay_alu instid0(VALU_DEP_2) | instskip(NEXT) | instid1(VALU_DEP_2)
	v_fmac_f32_e32 v185, v2, v9
	v_dual_mul_f32 v2, v2, v10 :: v_dual_fmac_f32 v187, v4, v11
	s_delay_alu instid0(VALU_DEP_1) | instskip(SKIP_1) | instid1(VALU_DEP_1)
	v_fma_f32 v186, v1, v9, -v2
	v_mul_f32_e32 v1, v4, v12
	v_fma_f32 v188, v3, v11, -v1
	s_clause 0x1
	scratch_load_b128 v[1:4], off, off offset:408
	scratch_load_b128 v[9:12], off, off offset:424
	s_wait_loadcnt_dscnt 0x100
	v_mul_f32_e32 v189, v5, v2
	v_dual_mul_f32 v2, v6, v2 :: v_dual_mul_f32 v191, v7, v4
	s_delay_alu instid0(VALU_DEP_1) | instskip(NEXT) | instid1(VALU_DEP_2)
	v_fma_f32 v190, v5, v1, -v2
	v_dual_add_f32 v2, 0, v161 :: v_dual_fmac_f32 v191, v8, v3
	s_delay_alu instid0(VALU_DEP_4) | instskip(NEXT) | instid1(VALU_DEP_2)
	v_fmac_f32_e32 v189, v6, v1
	v_add_f32_e32 v2, v2, v162
	s_delay_alu instid0(VALU_DEP_1) | instskip(NEXT) | instid1(VALU_DEP_1)
	v_add_f32_e32 v2, v2, v24
	v_dual_mul_f32 v1, v8, v4 :: v_dual_add_f32 v2, v2, v25
	s_delay_alu instid0(VALU_DEP_1) | instskip(NEXT) | instid1(VALU_DEP_2)
	v_fma_f32 v192, v7, v3, -v1
	v_dual_add_f32 v1, 0, v22 :: v_dual_add_f32 v2, v2, v32
	s_delay_alu instid0(VALU_DEP_1) | instskip(NEXT) | instid1(VALU_DEP_1)
	v_dual_add_f32 v1, v1, v23 :: v_dual_add_f32 v2, v2, v168
	v_dual_add_f32 v1, v1, v26 :: v_dual_add_f32 v2, v2, v164
	s_delay_alu instid0(VALU_DEP_1) | instskip(SKIP_2) | instid1(VALU_DEP_1)
	v_add_f32_e32 v1, v1, v27
	scratch_load_b64 v[26:27], off, off offset:504
	v_dual_add_f32 v2, v2, v165 :: v_dual_add_f32 v1, v1, v28
	v_dual_add_f32 v2, v2, v15 :: v_dual_add_f32 v1, v1, v29
	s_delay_alu instid0(VALU_DEP_1) | instskip(NEXT) | instid1(VALU_DEP_2)
	v_add_f32_e32 v5, v2, v18
	v_add_f32_e32 v1, v1, v13
	s_delay_alu instid0(VALU_DEP_2) | instskip(NEXT) | instid1(VALU_DEP_2)
	v_add_f32_e32 v13, v5, v19
	v_add_f32_e32 v1, v1, v14
	s_delay_alu instid0(VALU_DEP_1) | instskip(NEXT) | instid1(VALU_DEP_1)
	v_add_f32_e32 v1, v1, v16
	v_add_f32_e32 v1, v1, v17
	s_delay_alu instid0(VALU_DEP_1) | instskip(SKIP_4) | instid1(VALU_DEP_1)
	v_add_f32_e32 v6, v1, v166
	scratch_load_b128 v[1:4], off, off offset:440
	v_add_f32_e32 v14, v6, v167
	ds_load_2addr_b64 v[5:8], v21 offset0:117 offset1:118
	v_dual_add_f32 v13, v13, v20 :: v_dual_add_f32 v14, v14, v171
	v_add_f32_e32 v13, v13, v169
	s_delay_alu instid0(VALU_DEP_1) | instskip(SKIP_4) | instid1(VALU_DEP_2)
	v_dual_add_f32 v17, v14, v172 :: v_dual_add_f32 v18, v13, v170
	ds_load_2addr_b64 v[13:16], v21 offset0:119 offset1:120
	v_add_f32_e32 v18, v18, v173
	s_wait_loadcnt_dscnt 0x201
	v_mul_f32_e32 v32, v5, v10
	v_dual_add_f32 v18, v18, v175 :: v_dual_add_f32 v17, v17, v174
	v_mul_f32_e32 v10, v6, v10
	s_delay_alu instid0(VALU_DEP_3) | instskip(NEXT) | instid1(VALU_DEP_3)
	v_fmac_f32_e32 v32, v6, v9
	v_dual_add_f32 v22, v18, v177 :: v_dual_mul_f32 v161, v7, v12
	v_mul_f32_e32 v12, v8, v12
	s_delay_alu instid0(VALU_DEP_4) | instskip(NEXT) | instid1(VALU_DEP_3)
	v_fma_f32 v162, v5, v9, -v10
	v_add_f32_e32 v22, v22, v179
	s_delay_alu instid0(VALU_DEP_4) | instskip(NEXT) | instid1(VALU_DEP_4)
	v_fmac_f32_e32 v161, v8, v11
	v_fma_f32 v164, v7, v11, -v12
	scratch_load_b128 v[5:8], off, off offset:456
	v_dual_add_f32 v17, v17, v176 :: v_dual_add_f32 v22, v22, v181
	scratch_load_b128 v[9:12], off, off offset:472
	v_dual_add_f32 v17, v17, v178 :: v_dual_add_f32 v22, v22, v183
	s_wait_loadcnt_dscnt 0x200
	v_mul_f32_e32 v166, v15, v4
	s_delay_alu instid0(VALU_DEP_2)
	v_add_f32_e32 v23, v17, v180
	scratch_load_b128 v[17:20], off, off offset:488
	v_mul_f32_e32 v165, v13, v2
	v_mul_f32_e32 v2, v14, v2
	;; [unrolled: 1-line block ×3, first 2 shown]
	v_dual_fmac_f32 v166, v16, v3 :: v_dual_add_f32 v23, v23, v182
	s_delay_alu instid0(VALU_DEP_4) | instskip(NEXT) | instid1(VALU_DEP_4)
	v_fmac_f32_e32 v165, v14, v1
	v_fma_f32 v167, v13, v1, -v2
	s_delay_alu instid0(VALU_DEP_4) | instskip(SKIP_2) | instid1(VALU_DEP_1)
	v_fma_f32 v168, v15, v3, -v4
	ds_load_2addr_b64 v[1:4], v21 offset0:121 offset1:122
	v_add_f32_e32 v13, v22, v185
	v_dual_add_f32 v23, v23, v184 :: v_dual_add_f32 v22, v13, v187
	s_delay_alu instid0(VALU_DEP_1) | instskip(NEXT) | instid1(VALU_DEP_1)
	v_add_f32_e32 v29, v22, v189
	v_dual_add_f32 v23, v23, v186 :: v_dual_add_f32 v170, v29, v191
	s_delay_alu instid0(VALU_DEP_1)
	v_add_f32_e32 v14, v23, v188
	ds_load_2addr_b64 v[22:25], v21 offset0:125 offset1:126
	v_add_f32_e32 v28, v14, v190
	ds_load_2addr_b64 v[13:16], v21 offset0:123 offset1:124
	v_add_f32_e32 v32, v170, v32
	s_wait_loadcnt_dscnt 0x202
	s_delay_alu instid0(VALU_DEP_1)
	v_dual_add_f32 v32, v32, v161 :: v_dual_mul_f32 v161, v3, v8
	v_add_f32_e32 v169, v28, v192
	ds_load_b64 v[28:29], v21 offset:1016
	v_mul_f32_e32 v8, v4, v8
	v_dual_fmac_f32 v161, v4, v7 :: v_dual_add_f32 v162, v169, v162
	v_mul_f32_e32 v169, v1, v6
	v_mul_f32_e32 v6, v2, v6
	v_add_f32_e32 v32, v32, v165
	s_delay_alu instid0(VALU_DEP_4) | instskip(NEXT) | instid1(VALU_DEP_4)
	v_add_f32_e32 v162, v162, v164
	v_fmac_f32_e32 v169, v2, v5
	s_delay_alu instid0(VALU_DEP_4)
	v_fma_f32 v1, v1, v5, -v6
	v_fma_f32 v2, v3, v7, -v8
	s_wait_loadcnt_dscnt 0x101
	v_dual_mul_f32 v5, v16, v12 :: v_dual_add_f32 v162, v162, v167
	v_mul_f32_e32 v3, v14, v10
	v_dual_mul_f32 v164, v13, v10 :: v_dual_mul_f32 v165, v15, v12
	s_delay_alu instid0(VALU_DEP_3) | instskip(NEXT) | instid1(VALU_DEP_4)
	v_fma_f32 v5, v15, v11, -v5
	v_add_f32_e32 v162, v162, v168
	s_delay_alu instid0(VALU_DEP_4) | instskip(NEXT) | instid1(VALU_DEP_4)
	v_fma_f32 v3, v13, v9, -v3
	v_dual_fmac_f32 v164, v14, v9 :: v_dual_fmac_f32 v165, v16, v11
	s_delay_alu instid0(VALU_DEP_3) | instskip(NEXT) | instid1(VALU_DEP_1)
	v_add_f32_e32 v1, v162, v1
	v_add_f32_e32 v1, v1, v2
	s_delay_alu instid0(VALU_DEP_1) | instskip(NEXT) | instid1(VALU_DEP_1)
	v_add_f32_e32 v1, v1, v3
	v_add_f32_e32 v1, v1, v5
	s_wait_dscnt 0x0
	v_mul_f32_e32 v5, v29, v27
	s_wait_loadcnt 0x0
	v_mul_f32_e32 v167, v22, v18
	v_add_f32_e32 v32, v32, v166
	v_mul_f32_e32 v168, v24, v20
	v_dual_mul_f32 v166, v28, v27 :: v_dual_mul_f32 v3, v25, v20
	s_delay_alu instid0(VALU_DEP_4) | instskip(NEXT) | instid1(VALU_DEP_4)
	v_fmac_f32_e32 v167, v23, v17
	v_add_f32_e32 v4, v32, v169
	s_delay_alu instid0(VALU_DEP_3) | instskip(NEXT) | instid1(VALU_DEP_4)
	v_fmac_f32_e32 v166, v29, v26
	v_fma_f32 v3, v24, v19, -v3
	s_delay_alu instid0(VALU_DEP_3) | instskip(SKIP_1) | instid1(VALU_DEP_2)
	v_add_f32_e32 v2, v4, v161
	v_mul_f32_e32 v4, v23, v18
	v_add_f32_e32 v2, v2, v164
	s_delay_alu instid0(VALU_DEP_2) | instskip(NEXT) | instid1(VALU_DEP_1)
	v_fma_f32 v4, v22, v17, -v4
	v_dual_add_f32 v2, v2, v165 :: v_dual_add_f32 v1, v1, v4
	v_fma_f32 v4, v28, v26, -v5
	s_delay_alu instid0(VALU_DEP_2) | instskip(NEXT) | instid1(VALU_DEP_3)
	v_add_f32_e32 v2, v2, v167
	v_add_f32_e32 v1, v1, v3
	s_delay_alu instid0(VALU_DEP_1) | instskip(NEXT) | instid1(VALU_DEP_1)
	v_add_f32_e32 v1, v1, v4
	v_dual_fmac_f32 v168, v25, v19 :: v_dual_sub_f32 v1, v30, v1
	s_delay_alu instid0(VALU_DEP_1) | instskip(NEXT) | instid1(VALU_DEP_1)
	v_add_f32_e32 v2, v2, v168
	v_add_f32_e32 v2, v2, v166
	s_delay_alu instid0(VALU_DEP_1)
	v_sub_f32_e32 v2, v31, v2
	scratch_store_b64 off, v[1:2], off offset:224
	v_cmpx_lt_u32_e32 27, v0
	s_cbranch_execz .LBB127_343
; %bb.342:
	scratch_load_b64 v[1:2], off, off offset:216
	v_mov_b32_e32 v22, v21
	scratch_store_b64 off, v[21:22], off offset:216
	s_wait_loadcnt 0x0
	ds_store_b64 v163, v[1:2]
.LBB127_343:
	s_wait_alu 0xfffe
	s_or_b32 exec_lo, exec_lo, s0
	s_wait_storecnt_dscnt 0x0
	s_barrier_signal -1
	s_barrier_wait -1
	global_inv scope:SCOPE_SE
	s_clause 0x4
	scratch_load_b128 v[5:8], off, off offset:224
	scratch_load_b128 v[1:4], off, off offset:240
	;; [unrolled: 1-line block ×5, first 2 shown]
	ds_load_b128 v[22:25], v21 offset:736
	ds_load_b128 v[26:29], v21 offset:752
	;; [unrolled: 1-line block ×3, first 2 shown]
	scratch_load_b64 v[30:31], off, off offset:216
	s_mov_b32 s0, exec_lo
	s_wait_loadcnt_dscnt 0x502
	v_mul_f32_e32 v32, v23, v6
	v_dual_mul_f32 v161, v22, v6 :: v_dual_mul_f32 v162, v24, v8
	v_mul_f32_e32 v6, v25, v8
	s_wait_loadcnt_dscnt 0x300
	v_mul_f32_e32 v168, v166, v12
	v_mul_f32_e32 v12, v167, v12
	v_dual_fmac_f32 v161, v23, v5 :: v_dual_fmac_f32 v162, v25, v7
	v_fma_f32 v23, v24, v7, -v6
	v_mul_f32_e32 v25, v28, v4
	v_fma_f32 v22, v22, v5, -v32
	ds_load_b128 v[5:8], v21 offset:784
	v_mul_f32_e32 v24, v26, v2
	v_mul_f32_e32 v4, v29, v4
	;; [unrolled: 1-line block ×4, first 2 shown]
	v_dual_mul_f32 v2, v27, v2 :: v_dual_fmac_f32 v25, v29, v3
	v_fmac_f32_e32 v24, v27, v1
	v_fma_f32 v27, v28, v3, -v4
	v_fmac_f32_e32 v32, v165, v9
	v_fma_f32 v28, v164, v9, -v10
	;; [unrolled: 2-line block ×3, first 2 shown]
	ds_load_b128 v[9:12], v21 offset:800
	s_wait_loadcnt_dscnt 0x201
	v_dual_mul_f32 v165, v7, v16 :: v_dual_mul_f32 v164, v5, v14
	v_mul_f32_e32 v14, v6, v14
	v_mul_f32_e32 v16, v8, v16
	s_delay_alu instid0(VALU_DEP_3)
	v_fmac_f32_e32 v165, v8, v15
	v_fma_f32 v26, v26, v1, -v2
	scratch_load_b128 v[1:4], off, off offset:304
	v_fmac_f32_e32 v164, v6, v13
	v_fma_f32 v13, v5, v13, -v14
	v_fma_f32 v14, v7, v15, -v16
	ds_load_b128 v[5:8], v21 offset:816
	s_wait_loadcnt_dscnt 0x201
	v_mul_f32_e32 v15, v9, v18
	v_mul_f32_e32 v16, v10, v18
	;; [unrolled: 1-line block ×3, first 2 shown]
	s_delay_alu instid0(VALU_DEP_3) | instskip(NEXT) | instid1(VALU_DEP_3)
	v_dual_mul_f32 v20, v12, v20 :: v_dual_fmac_f32 v15, v10, v17
	v_fma_f32 v16, v9, v17, -v16
	s_delay_alu instid0(VALU_DEP_3) | instskip(NEXT) | instid1(VALU_DEP_3)
	v_fmac_f32_e32 v18, v12, v19
	v_fma_f32 v17, v11, v19, -v20
	scratch_load_b128 v[9:12], off, off offset:320
	s_wait_loadcnt_dscnt 0x100
	v_mul_f32_e32 v19, v5, v2
	v_mul_f32_e32 v2, v6, v2
	;; [unrolled: 1-line block ×3, first 2 shown]
	s_delay_alu instid0(VALU_DEP_3) | instskip(NEXT) | instid1(VALU_DEP_3)
	v_dual_mul_f32 v4, v8, v4 :: v_dual_fmac_f32 v19, v6, v1
	v_fma_f32 v166, v5, v1, -v2
	s_delay_alu instid0(VALU_DEP_3) | instskip(NEXT) | instid1(VALU_DEP_3)
	v_fmac_f32_e32 v20, v8, v3
	v_fma_f32 v167, v7, v3, -v4
	ds_load_b128 v[1:4], v21 offset:832
	ds_load_b128 v[5:8], v21 offset:848
	s_wait_loadcnt_dscnt 0x1
	v_mul_f32_e32 v169, v1, v10
	v_mul_f32_e32 v10, v2, v10
	s_delay_alu instid0(VALU_DEP_2) | instskip(NEXT) | instid1(VALU_DEP_2)
	v_dual_mul_f32 v170, v3, v12 :: v_dual_fmac_f32 v169, v2, v9
	v_fma_f32 v171, v1, v9, -v10
	v_mul_f32_e32 v1, v4, v12
	s_delay_alu instid0(VALU_DEP_3) | instskip(NEXT) | instid1(VALU_DEP_2)
	v_fmac_f32_e32 v170, v4, v11
	v_fma_f32 v172, v3, v11, -v1
	s_clause 0x1
	scratch_load_b128 v[1:4], off, off offset:336
	scratch_load_b128 v[9:12], off, off offset:352
	s_wait_loadcnt_dscnt 0x100
	v_mul_f32_e32 v173, v5, v2
	v_dual_mul_f32 v2, v6, v2 :: v_dual_mul_f32 v175, v7, v4
	s_delay_alu instid0(VALU_DEP_2) | instskip(NEXT) | instid1(VALU_DEP_2)
	v_fmac_f32_e32 v173, v6, v1
	v_fma_f32 v174, v5, v1, -v2
	v_mul_f32_e32 v1, v8, v4
	s_delay_alu instid0(VALU_DEP_4) | instskip(NEXT) | instid1(VALU_DEP_2)
	v_fmac_f32_e32 v175, v8, v3
	v_fma_f32 v176, v7, v3, -v1
	ds_load_b128 v[1:4], v21 offset:864
	ds_load_b128 v[5:8], v21 offset:880
	s_wait_loadcnt_dscnt 0x1
	v_mul_f32_e32 v177, v1, v10
	v_mul_f32_e32 v179, v3, v12
	s_delay_alu instid0(VALU_DEP_2) | instskip(NEXT) | instid1(VALU_DEP_2)
	v_fmac_f32_e32 v177, v2, v9
	v_dual_mul_f32 v2, v2, v10 :: v_dual_fmac_f32 v179, v4, v11
	s_delay_alu instid0(VALU_DEP_1) | instskip(SKIP_1) | instid1(VALU_DEP_1)
	v_fma_f32 v178, v1, v9, -v2
	v_mul_f32_e32 v1, v4, v12
	v_fma_f32 v180, v3, v11, -v1
	s_clause 0x1
	scratch_load_b128 v[1:4], off, off offset:368
	scratch_load_b128 v[9:12], off, off offset:384
	s_wait_loadcnt_dscnt 0x100
	v_mul_f32_e32 v181, v5, v2
	v_dual_mul_f32 v2, v6, v2 :: v_dual_mul_f32 v183, v7, v4
	s_delay_alu instid0(VALU_DEP_2) | instskip(NEXT) | instid1(VALU_DEP_2)
	v_fmac_f32_e32 v181, v6, v1
	v_fma_f32 v182, v5, v1, -v2
	v_mul_f32_e32 v1, v8, v4
	s_delay_alu instid0(VALU_DEP_4) | instskip(NEXT) | instid1(VALU_DEP_2)
	v_fmac_f32_e32 v183, v8, v3
	v_fma_f32 v184, v7, v3, -v1
	ds_load_b128 v[1:4], v21 offset:896
	ds_load_b128 v[5:8], v21 offset:912
	s_wait_loadcnt_dscnt 0x1
	v_mul_f32_e32 v185, v1, v10
	v_mul_f32_e32 v187, v3, v12
	s_delay_alu instid0(VALU_DEP_2) | instskip(NEXT) | instid1(VALU_DEP_2)
	v_fmac_f32_e32 v185, v2, v9
	v_dual_mul_f32 v2, v2, v10 :: v_dual_fmac_f32 v187, v4, v11
	s_delay_alu instid0(VALU_DEP_1) | instskip(SKIP_1) | instid1(VALU_DEP_1)
	v_fma_f32 v186, v1, v9, -v2
	v_mul_f32_e32 v1, v4, v12
	;; [unrolled: 25-line block ×3, first 2 shown]
	v_fma_f32 v196, v3, v11, -v1
	s_clause 0x1
	scratch_load_b128 v[1:4], off, off offset:432
	scratch_load_b128 v[9:12], off, off offset:448
	s_wait_loadcnt_dscnt 0x100
	v_mul_f32_e32 v197, v5, v2
	v_mul_f32_e32 v2, v6, v2
	s_delay_alu instid0(VALU_DEP_1) | instskip(SKIP_1) | instid1(VALU_DEP_1)
	v_fma_f32 v198, v5, v1, -v2
	v_add_f32_e32 v2, 0, v161
	v_add_f32_e32 v2, v2, v162
	s_delay_alu instid0(VALU_DEP_1) | instskip(NEXT) | instid1(VALU_DEP_1)
	v_add_f32_e32 v2, v2, v24
	v_add_f32_e32 v2, v2, v25
	s_delay_alu instid0(VALU_DEP_1) | instskip(SKIP_1) | instid1(VALU_DEP_2)
	v_add_f32_e32 v2, v2, v32
	v_fmac_f32_e32 v197, v6, v1
	v_add_f32_e32 v2, v2, v168
	s_delay_alu instid0(VALU_DEP_1) | instskip(NEXT) | instid1(VALU_DEP_1)
	v_add_f32_e32 v2, v2, v164
	v_dual_add_f32 v2, v2, v165 :: v_dual_mul_f32 v199, v7, v4
	s_delay_alu instid0(VALU_DEP_1) | instskip(NEXT) | instid1(VALU_DEP_1)
	v_add_f32_e32 v2, v2, v15
	v_dual_fmac_f32 v199, v8, v3 :: v_dual_add_f32 v2, v2, v18
	s_delay_alu instid0(VALU_DEP_1) | instskip(NEXT) | instid1(VALU_DEP_1)
	v_dual_mul_f32 v1, v8, v4 :: v_dual_add_f32 v2, v2, v19
	v_fma_f32 v200, v7, v3, -v1
	s_delay_alu instid0(VALU_DEP_2) | instskip(NEXT) | instid1(VALU_DEP_1)
	v_dual_add_f32 v1, 0, v22 :: v_dual_add_f32 v2, v2, v20
	v_add_f32_e32 v1, v1, v23
	s_delay_alu instid0(VALU_DEP_2) | instskip(NEXT) | instid1(VALU_DEP_2)
	v_add_f32_e32 v5, v2, v169
	v_add_f32_e32 v1, v1, v26
	s_delay_alu instid0(VALU_DEP_2) | instskip(NEXT) | instid1(VALU_DEP_2)
	v_add_f32_e32 v5, v5, v170
	;; [unrolled: 3-line block ×3, first 2 shown]
	v_add_f32_e32 v1, v1, v28
	s_delay_alu instid0(VALU_DEP_1) | instskip(NEXT) | instid1(VALU_DEP_1)
	v_add_f32_e32 v1, v1, v29
	v_add_f32_e32 v1, v1, v13
	s_delay_alu instid0(VALU_DEP_1) | instskip(SKIP_1) | instid1(VALU_DEP_1)
	v_add_f32_e32 v1, v1, v14
	v_add_f32_e32 v14, v5, v175
	v_dual_add_f32 v14, v14, v177 :: v_dual_add_f32 v1, v1, v16
	s_delay_alu instid0(VALU_DEP_1) | instskip(NEXT) | instid1(VALU_DEP_1)
	v_dual_add_f32 v14, v14, v179 :: v_dual_add_f32 v1, v1, v17
	v_add_f32_e32 v17, v14, v181
	s_delay_alu instid0(VALU_DEP_2) | instskip(NEXT) | instid1(VALU_DEP_2)
	v_add_f32_e32 v1, v1, v166
	v_add_f32_e32 v17, v17, v183
	s_delay_alu instid0(VALU_DEP_2) | instskip(NEXT) | instid1(VALU_DEP_2)
	v_add_f32_e32 v1, v1, v167
	;; [unrolled: 3-line block ×3, first 2 shown]
	v_add_f32_e32 v17, v17, v187
	s_delay_alu instid0(VALU_DEP_2) | instskip(SKIP_2) | instid1(VALU_DEP_1)
	v_add_f32_e32 v6, v1, v172
	ds_load_b128 v[1:4], v21 offset:960
	v_dual_add_f32 v23, v17, v189 :: v_dual_add_f32 v6, v6, v174
	v_add_f32_e32 v32, v23, v191
	s_delay_alu instid0(VALU_DEP_1) | instskip(NEXT) | instid1(VALU_DEP_1)
	v_add_f32_e32 v32, v32, v193
	v_dual_add_f32 v32, v32, v195 :: v_dual_add_f32 v13, v6, v176
	ds_load_b128 v[5:8], v21 offset:976
	s_wait_loadcnt_dscnt 0x1
	v_mul_f32_e32 v26, v3, v12
	v_mul_f32_e32 v12, v4, v12
	v_dual_add_f32 v32, v32, v197 :: v_dual_mul_f32 v25, v1, v10
	v_mul_f32_e32 v10, v2, v10
	s_delay_alu instid0(VALU_DEP_4) | instskip(NEXT) | instid1(VALU_DEP_4)
	v_fmac_f32_e32 v26, v4, v11
	v_fma_f32 v28, v3, v11, -v12
	s_delay_alu instid0(VALU_DEP_4) | instskip(NEXT) | instid1(VALU_DEP_4)
	v_dual_add_f32 v32, v32, v199 :: v_dual_fmac_f32 v25, v2, v9
	v_fma_f32 v27, v1, v9, -v10
	s_clause 0x1
	scratch_load_b128 v[1:4], off, off offset:464
	scratch_load_b128 v[9:12], off, off offset:480
	s_wait_loadcnt_dscnt 0x100
	v_dual_add_f32 v13, v13, v178 :: v_dual_mul_f32 v162, v7, v4
	s_delay_alu instid0(VALU_DEP_1) | instskip(SKIP_3) | instid1(VALU_DEP_4)
	v_add_f32_e32 v13, v13, v180
	v_mul_f32_e32 v161, v5, v2
	v_mul_f32_e32 v2, v6, v2
	;; [unrolled: 1-line block ×3, first 2 shown]
	v_dual_fmac_f32 v162, v8, v3 :: v_dual_add_f32 v13, v13, v182
	s_delay_alu instid0(VALU_DEP_4) | instskip(NEXT) | instid1(VALU_DEP_4)
	v_fmac_f32_e32 v161, v6, v1
	v_fma_f32 v2, v5, v1, -v2
	s_delay_alu instid0(VALU_DEP_4) | instskip(NEXT) | instid1(VALU_DEP_4)
	v_fma_f32 v3, v7, v3, -v4
	v_add_f32_e32 v18, v13, v184
	scratch_load_b128 v[13:16], off, off offset:496
	v_add_f32_e32 v18, v18, v186
	s_delay_alu instid0(VALU_DEP_1) | instskip(NEXT) | instid1(VALU_DEP_1)
	v_add_f32_e32 v18, v18, v188
	v_add_f32_e32 v22, v18, v190
	ds_load_b128 v[17:20], v21 offset:992
	s_wait_loadcnt_dscnt 0x100
	v_dual_mul_f32 v164, v17, v10 :: v_dual_add_f32 v25, v32, v25
	v_mul_f32_e32 v6, v18, v10
	v_mul_f32_e32 v4, v20, v12
	s_delay_alu instid0(VALU_DEP_3)
	v_dual_fmac_f32 v164, v18, v9 :: v_dual_add_f32 v5, v25, v26
	v_add_f32_e32 v29, v22, v192
	ds_load_b128 v[21:24], v21 offset:1008
	v_fma_f32 v4, v19, v11, -v4
	v_add_f32_e32 v29, v29, v194
	s_wait_loadcnt_dscnt 0x0
	v_mul_f32_e32 v166, v21, v14
	s_delay_alu instid0(VALU_DEP_1) | instskip(SKIP_1) | instid1(VALU_DEP_1)
	v_dual_add_f32 v29, v29, v196 :: v_dual_fmac_f32 v166, v22, v13
	v_mul_f32_e32 v165, v19, v12
	v_fmac_f32_e32 v165, v20, v11
	s_delay_alu instid0(VALU_DEP_3) | instskip(NEXT) | instid1(VALU_DEP_1)
	v_add_f32_e32 v29, v29, v198
	v_add_f32_e32 v29, v29, v200
	s_delay_alu instid0(VALU_DEP_1) | instskip(SKIP_1) | instid1(VALU_DEP_2)
	v_add_f32_e32 v27, v29, v27
	v_mul_f32_e32 v29, v23, v16
	v_add_f32_e32 v1, v27, v28
	s_delay_alu instid0(VALU_DEP_2) | instskip(NEXT) | instid1(VALU_DEP_2)
	v_fmac_f32_e32 v29, v24, v15
	v_add_f32_e32 v1, v1, v2
	v_add_f32_e32 v2, v5, v161
	v_fma_f32 v5, v17, v9, -v6
	s_delay_alu instid0(VALU_DEP_2) | instskip(SKIP_1) | instid1(VALU_DEP_2)
	v_dual_add_f32 v1, v1, v3 :: v_dual_add_f32 v2, v2, v162
	v_mul_f32_e32 v3, v22, v14
	v_dual_add_f32 v1, v1, v5 :: v_dual_add_f32 v2, v2, v164
	v_mul_f32_e32 v5, v24, v16
	s_delay_alu instid0(VALU_DEP_3) | instskip(NEXT) | instid1(VALU_DEP_3)
	v_fma_f32 v3, v21, v13, -v3
	v_dual_add_f32 v1, v1, v4 :: v_dual_add_f32 v2, v2, v165
	s_delay_alu instid0(VALU_DEP_3) | instskip(NEXT) | instid1(VALU_DEP_2)
	v_fma_f32 v4, v23, v15, -v5
	v_dual_add_f32 v1, v1, v3 :: v_dual_add_f32 v2, v2, v166
	s_delay_alu instid0(VALU_DEP_1) | instskip(NEXT) | instid1(VALU_DEP_1)
	v_dual_add_f32 v1, v1, v4 :: v_dual_add_f32 v2, v2, v29
	v_dual_sub_f32 v1, v30, v1 :: v_dual_sub_f32 v2, v31, v2
	scratch_store_b64 off, v[1:2], off offset:216
	v_cmpx_lt_u32_e32 26, v0
	s_cbranch_execz .LBB127_345
; %bb.344:
	scratch_load_b64 v[1:2], off, off offset:208
	v_mov_b32_e32 v3, 0
	s_delay_alu instid0(VALU_DEP_1)
	v_mov_b32_e32 v4, v3
	scratch_store_b64 off, v[3:4], off offset:208
	s_wait_loadcnt 0x0
	ds_store_b64 v163, v[1:2]
.LBB127_345:
	s_wait_alu 0xfffe
	s_or_b32 exec_lo, exec_lo, s0
	s_wait_storecnt_dscnt 0x0
	s_barrier_signal -1
	s_barrier_wait -1
	global_inv scope:SCOPE_SE
	s_clause 0x4
	scratch_load_b128 v[5:8], off, off offset:216
	scratch_load_b128 v[1:4], off, off offset:232
	;; [unrolled: 1-line block ×5, first 2 shown]
	v_mov_b32_e32 v21, 0
	ds_load_2addr_b64 v[22:25], v21 offset0:91 offset1:92
	ds_load_2addr_b64 v[26:29], v21 offset0:93 offset1:94
	;; [unrolled: 1-line block ×3, first 2 shown]
	scratch_load_b64 v[30:31], off, off offset:208
	s_mov_b32 s0, exec_lo
	s_wait_loadcnt_dscnt 0x502
	v_mul_f32_e32 v32, v23, v6
	v_dual_mul_f32 v161, v22, v6 :: v_dual_mul_f32 v162, v24, v8
	v_mul_f32_e32 v6, v25, v8
	s_wait_loadcnt_dscnt 0x300
	v_mul_f32_e32 v168, v166, v12
	v_fma_f32 v22, v22, v5, -v32
	v_dual_fmac_f32 v161, v23, v5 :: v_dual_fmac_f32 v162, v25, v7
	v_mul_f32_e32 v25, v28, v4
	v_fma_f32 v23, v24, v7, -v6
	ds_load_2addr_b64 v[5:8], v21 offset0:97 offset1:98
	v_mul_f32_e32 v24, v26, v2
	v_mul_f32_e32 v4, v29, v4
	;; [unrolled: 1-line block ×5, first 2 shown]
	v_dual_mul_f32 v2, v27, v2 :: v_dual_fmac_f32 v25, v29, v3
	v_fmac_f32_e32 v24, v27, v1
	v_fma_f32 v27, v28, v3, -v4
	v_fmac_f32_e32 v32, v165, v9
	v_fma_f32 v28, v164, v9, -v10
	v_fmac_f32_e32 v168, v167, v11
	v_fma_f32 v29, v166, v11, -v12
	ds_load_2addr_b64 v[9:12], v21 offset0:99 offset1:100
	s_wait_loadcnt_dscnt 0x201
	v_dual_mul_f32 v165, v7, v16 :: v_dual_mul_f32 v164, v5, v14
	v_mul_f32_e32 v14, v6, v14
	v_mul_f32_e32 v16, v8, v16
	s_delay_alu instid0(VALU_DEP_3)
	v_fmac_f32_e32 v165, v8, v15
	v_fma_f32 v26, v26, v1, -v2
	scratch_load_b128 v[1:4], off, off offset:296
	v_fmac_f32_e32 v164, v6, v13
	v_fma_f32 v13, v5, v13, -v14
	v_fma_f32 v14, v7, v15, -v16
	ds_load_2addr_b64 v[5:8], v21 offset0:101 offset1:102
	s_wait_loadcnt_dscnt 0x201
	v_mul_f32_e32 v15, v9, v18
	v_mul_f32_e32 v16, v10, v18
	;; [unrolled: 1-line block ×3, first 2 shown]
	s_delay_alu instid0(VALU_DEP_3) | instskip(NEXT) | instid1(VALU_DEP_3)
	v_dual_mul_f32 v20, v12, v20 :: v_dual_fmac_f32 v15, v10, v17
	v_fma_f32 v16, v9, v17, -v16
	s_delay_alu instid0(VALU_DEP_3) | instskip(NEXT) | instid1(VALU_DEP_3)
	v_fmac_f32_e32 v18, v12, v19
	v_fma_f32 v17, v11, v19, -v20
	scratch_load_b128 v[9:12], off, off offset:312
	s_wait_loadcnt_dscnt 0x100
	v_mul_f32_e32 v19, v5, v2
	v_mul_f32_e32 v2, v6, v2
	;; [unrolled: 1-line block ×3, first 2 shown]
	s_delay_alu instid0(VALU_DEP_3) | instskip(NEXT) | instid1(VALU_DEP_3)
	v_dual_mul_f32 v4, v8, v4 :: v_dual_fmac_f32 v19, v6, v1
	v_fma_f32 v166, v5, v1, -v2
	s_delay_alu instid0(VALU_DEP_3) | instskip(NEXT) | instid1(VALU_DEP_3)
	v_fmac_f32_e32 v20, v8, v3
	v_fma_f32 v167, v7, v3, -v4
	ds_load_2addr_b64 v[1:4], v21 offset0:103 offset1:104
	ds_load_2addr_b64 v[5:8], v21 offset0:105 offset1:106
	s_wait_loadcnt_dscnt 0x1
	v_mul_f32_e32 v169, v1, v10
	v_mul_f32_e32 v10, v2, v10
	s_delay_alu instid0(VALU_DEP_2) | instskip(NEXT) | instid1(VALU_DEP_2)
	v_dual_mul_f32 v170, v3, v12 :: v_dual_fmac_f32 v169, v2, v9
	v_fma_f32 v171, v1, v9, -v10
	v_mul_f32_e32 v1, v4, v12
	s_delay_alu instid0(VALU_DEP_3) | instskip(NEXT) | instid1(VALU_DEP_2)
	v_fmac_f32_e32 v170, v4, v11
	v_fma_f32 v172, v3, v11, -v1
	s_clause 0x1
	scratch_load_b128 v[1:4], off, off offset:328
	scratch_load_b128 v[9:12], off, off offset:344
	s_wait_loadcnt_dscnt 0x100
	v_mul_f32_e32 v173, v5, v2
	v_dual_mul_f32 v2, v6, v2 :: v_dual_mul_f32 v175, v7, v4
	s_delay_alu instid0(VALU_DEP_2) | instskip(NEXT) | instid1(VALU_DEP_2)
	v_fmac_f32_e32 v173, v6, v1
	v_fma_f32 v174, v5, v1, -v2
	v_mul_f32_e32 v1, v8, v4
	s_delay_alu instid0(VALU_DEP_4) | instskip(NEXT) | instid1(VALU_DEP_2)
	v_fmac_f32_e32 v175, v8, v3
	v_fma_f32 v176, v7, v3, -v1
	ds_load_2addr_b64 v[1:4], v21 offset0:107 offset1:108
	ds_load_2addr_b64 v[5:8], v21 offset0:109 offset1:110
	s_wait_loadcnt_dscnt 0x1
	v_mul_f32_e32 v177, v1, v10
	v_mul_f32_e32 v179, v3, v12
	s_delay_alu instid0(VALU_DEP_2) | instskip(NEXT) | instid1(VALU_DEP_2)
	v_fmac_f32_e32 v177, v2, v9
	v_dual_mul_f32 v2, v2, v10 :: v_dual_fmac_f32 v179, v4, v11
	s_delay_alu instid0(VALU_DEP_1) | instskip(SKIP_1) | instid1(VALU_DEP_1)
	v_fma_f32 v178, v1, v9, -v2
	v_mul_f32_e32 v1, v4, v12
	v_fma_f32 v180, v3, v11, -v1
	s_clause 0x1
	scratch_load_b128 v[1:4], off, off offset:360
	scratch_load_b128 v[9:12], off, off offset:376
	s_wait_loadcnt_dscnt 0x100
	v_mul_f32_e32 v181, v5, v2
	v_dual_mul_f32 v2, v6, v2 :: v_dual_mul_f32 v183, v7, v4
	s_delay_alu instid0(VALU_DEP_2) | instskip(NEXT) | instid1(VALU_DEP_2)
	v_fmac_f32_e32 v181, v6, v1
	v_fma_f32 v182, v5, v1, -v2
	v_mul_f32_e32 v1, v8, v4
	s_delay_alu instid0(VALU_DEP_4) | instskip(NEXT) | instid1(VALU_DEP_2)
	v_fmac_f32_e32 v183, v8, v3
	v_fma_f32 v184, v7, v3, -v1
	ds_load_2addr_b64 v[1:4], v21 offset0:111 offset1:112
	ds_load_2addr_b64 v[5:8], v21 offset0:113 offset1:114
	s_wait_loadcnt_dscnt 0x1
	v_mul_f32_e32 v185, v1, v10
	v_mul_f32_e32 v187, v3, v12
	s_delay_alu instid0(VALU_DEP_2) | instskip(NEXT) | instid1(VALU_DEP_2)
	v_fmac_f32_e32 v185, v2, v9
	v_dual_mul_f32 v2, v2, v10 :: v_dual_fmac_f32 v187, v4, v11
	s_delay_alu instid0(VALU_DEP_1) | instskip(SKIP_1) | instid1(VALU_DEP_1)
	v_fma_f32 v186, v1, v9, -v2
	v_mul_f32_e32 v1, v4, v12
	v_fma_f32 v188, v3, v11, -v1
	s_clause 0x1
	scratch_load_b128 v[1:4], off, off offset:392
	scratch_load_b128 v[9:12], off, off offset:408
	s_wait_loadcnt_dscnt 0x100
	v_mul_f32_e32 v189, v5, v2
	v_dual_mul_f32 v2, v6, v2 :: v_dual_mul_f32 v191, v7, v4
	s_delay_alu instid0(VALU_DEP_2) | instskip(NEXT) | instid1(VALU_DEP_2)
	v_fmac_f32_e32 v189, v6, v1
	v_fma_f32 v190, v5, v1, -v2
	v_mul_f32_e32 v1, v8, v4
	s_delay_alu instid0(VALU_DEP_4) | instskip(NEXT) | instid1(VALU_DEP_2)
	v_fmac_f32_e32 v191, v8, v3
	v_fma_f32 v192, v7, v3, -v1
	ds_load_2addr_b64 v[1:4], v21 offset0:115 offset1:116
	ds_load_2addr_b64 v[5:8], v21 offset0:117 offset1:118
	s_wait_loadcnt_dscnt 0x1
	v_mul_f32_e32 v193, v1, v10
	v_mul_f32_e32 v195, v3, v12
	s_delay_alu instid0(VALU_DEP_2) | instskip(NEXT) | instid1(VALU_DEP_2)
	v_fmac_f32_e32 v193, v2, v9
	v_dual_mul_f32 v2, v2, v10 :: v_dual_fmac_f32 v195, v4, v11
	s_delay_alu instid0(VALU_DEP_1) | instskip(SKIP_1) | instid1(VALU_DEP_1)
	v_fma_f32 v194, v1, v9, -v2
	v_mul_f32_e32 v1, v4, v12
	v_fma_f32 v196, v3, v11, -v1
	s_clause 0x1
	scratch_load_b128 v[1:4], off, off offset:424
	scratch_load_b128 v[9:12], off, off offset:440
	s_wait_loadcnt_dscnt 0x100
	v_mul_f32_e32 v197, v5, v2
	v_mul_f32_e32 v2, v6, v2
	s_delay_alu instid0(VALU_DEP_1) | instskip(SKIP_1) | instid1(VALU_DEP_1)
	v_fma_f32 v198, v5, v1, -v2
	v_add_f32_e32 v2, 0, v161
	v_add_f32_e32 v2, v2, v162
	s_delay_alu instid0(VALU_DEP_1) | instskip(NEXT) | instid1(VALU_DEP_1)
	v_add_f32_e32 v2, v2, v24
	v_add_f32_e32 v2, v2, v25
	s_delay_alu instid0(VALU_DEP_1) | instskip(SKIP_1) | instid1(VALU_DEP_2)
	v_add_f32_e32 v2, v2, v32
	v_fmac_f32_e32 v197, v6, v1
	v_add_f32_e32 v2, v2, v168
	s_delay_alu instid0(VALU_DEP_1) | instskip(NEXT) | instid1(VALU_DEP_1)
	v_add_f32_e32 v2, v2, v164
	v_dual_add_f32 v2, v2, v165 :: v_dual_mul_f32 v199, v7, v4
	s_delay_alu instid0(VALU_DEP_1) | instskip(NEXT) | instid1(VALU_DEP_1)
	v_add_f32_e32 v2, v2, v15
	v_dual_fmac_f32 v199, v8, v3 :: v_dual_add_f32 v2, v2, v18
	s_delay_alu instid0(VALU_DEP_1) | instskip(NEXT) | instid1(VALU_DEP_1)
	v_dual_mul_f32 v1, v8, v4 :: v_dual_add_f32 v2, v2, v19
	v_fma_f32 v200, v7, v3, -v1
	s_delay_alu instid0(VALU_DEP_2) | instskip(NEXT) | instid1(VALU_DEP_1)
	v_dual_add_f32 v1, 0, v22 :: v_dual_add_f32 v2, v2, v20
	v_add_f32_e32 v1, v1, v23
	s_delay_alu instid0(VALU_DEP_1) | instskip(NEXT) | instid1(VALU_DEP_1)
	v_add_f32_e32 v1, v1, v26
	v_add_f32_e32 v1, v1, v27
	scratch_load_b64 v[26:27], off, off offset:504
	v_add_f32_e32 v1, v1, v28
	s_delay_alu instid0(VALU_DEP_1) | instskip(NEXT) | instid1(VALU_DEP_1)
	v_add_f32_e32 v1, v1, v29
	v_add_f32_e32 v1, v1, v13
	s_delay_alu instid0(VALU_DEP_1) | instskip(NEXT) | instid1(VALU_DEP_1)
	v_add_f32_e32 v1, v1, v14
	v_add_f32_e32 v1, v1, v16
	s_delay_alu instid0(VALU_DEP_1) | instskip(NEXT) | instid1(VALU_DEP_1)
	v_add_f32_e32 v1, v1, v17
	v_add_f32_e32 v1, v1, v166
	s_delay_alu instid0(VALU_DEP_1) | instskip(NEXT) | instid1(VALU_DEP_1)
	v_add_f32_e32 v1, v1, v167
	v_add_f32_e32 v1, v1, v171
	s_delay_alu instid0(VALU_DEP_1) | instskip(NEXT) | instid1(VALU_DEP_1)
	v_add_f32_e32 v6, v1, v172
	v_add_f32_e32 v6, v6, v174
	s_delay_alu instid0(VALU_DEP_1) | instskip(NEXT) | instid1(VALU_DEP_1)
	v_add_f32_e32 v13, v6, v176
	v_add_f32_e32 v13, v13, v178
	s_delay_alu instid0(VALU_DEP_1) | instskip(NEXT) | instid1(VALU_DEP_1)
	v_add_f32_e32 v13, v13, v180
	v_add_f32_e32 v13, v13, v182
	v_add_f32_e32 v5, v2, v169
	ds_load_2addr_b64 v[1:4], v21 offset0:119 offset1:120
	v_add_f32_e32 v18, v13, v184
	v_add_f32_e32 v5, v5, v170
	s_delay_alu instid0(VALU_DEP_1) | instskip(NEXT) | instid1(VALU_DEP_1)
	v_dual_add_f32 v18, v18, v186 :: v_dual_add_f32 v5, v5, v173
	v_add_f32_e32 v18, v18, v188
	s_delay_alu instid0(VALU_DEP_2)
	v_add_f32_e32 v14, v5, v175
	ds_load_2addr_b64 v[5:8], v21 offset0:121 offset1:122
	v_add_f32_e32 v18, v18, v190
	v_add_f32_e32 v14, v14, v177
	s_wait_loadcnt_dscnt 0x101
	v_mul_f32_e32 v32, v1, v10
	v_mul_f32_e32 v10, v2, v10
	v_add_f32_e32 v18, v18, v192
	v_add_f32_e32 v14, v14, v179
	s_delay_alu instid0(VALU_DEP_4) | instskip(NEXT) | instid1(VALU_DEP_4)
	v_fmac_f32_e32 v32, v2, v9
	v_fma_f32 v162, v1, v9, -v10
	s_delay_alu instid0(VALU_DEP_4) | instskip(NEXT) | instid1(VALU_DEP_1)
	v_add_f32_e32 v28, v18, v194
	v_add_f32_e32 v165, v28, v196
	s_delay_alu instid0(VALU_DEP_1) | instskip(NEXT) | instid1(VALU_DEP_1)
	v_add_f32_e32 v165, v165, v198
	v_add_f32_e32 v165, v165, v200
	;; [unrolled: 1-line block ×3, first 2 shown]
	scratch_load_b128 v[13:16], off, off offset:488
	v_add_f32_e32 v162, v165, v162
	v_add_f32_e32 v17, v17, v183
	s_delay_alu instid0(VALU_DEP_1) | instskip(NEXT) | instid1(VALU_DEP_1)
	v_add_f32_e32 v17, v17, v185
	v_add_f32_e32 v17, v17, v187
	s_delay_alu instid0(VALU_DEP_1) | instskip(NEXT) | instid1(VALU_DEP_1)
	v_add_f32_e32 v17, v17, v189
	v_add_f32_e32 v22, v17, v191
	ds_load_2addr_b64 v[17:20], v21 offset0:123 offset1:124
	v_add_f32_e32 v29, v22, v193
	v_mul_f32_e32 v161, v3, v12
	v_mul_f32_e32 v12, v4, v12
	ds_load_2addr_b64 v[22:25], v21 offset0:125 offset1:126
	v_add_f32_e32 v166, v29, v195
	v_fmac_f32_e32 v161, v4, v11
	v_fma_f32 v164, v3, v11, -v12
	s_clause 0x1
	scratch_load_b128 v[1:4], off, off offset:456
	scratch_load_b128 v[9:12], off, off offset:472
	v_add_f32_e32 v166, v166, v197
	ds_load_b64 v[28:29], v21 offset:1016
	v_add_f32_e32 v162, v162, v164
	v_add_f32_e32 v166, v166, v199
	s_delay_alu instid0(VALU_DEP_1) | instskip(SKIP_2) | instid1(VALU_DEP_1)
	v_add_f32_e32 v32, v166, v32
	s_wait_loadcnt_dscnt 0x201
	v_dual_mul_f32 v164, v24, v16 :: v_dual_mul_f32 v169, v22, v14
	v_dual_fmac_f32 v164, v25, v15 :: v_dual_fmac_f32 v169, v23, v13
	s_wait_loadcnt 0x1
	v_mul_f32_e32 v168, v7, v4
	v_mul_f32_e32 v4, v8, v4
	v_add_f32_e32 v32, v32, v161
	s_wait_loadcnt 0x0
	v_dual_mul_f32 v166, v19, v12 :: v_dual_mul_f32 v165, v17, v10
	v_dual_fmac_f32 v168, v8, v3 :: v_dual_mul_f32 v167, v5, v2
	v_mul_f32_e32 v2, v6, v2
	s_delay_alu instid0(VALU_DEP_3) | instskip(NEXT) | instid1(VALU_DEP_3)
	v_dual_fmac_f32 v166, v20, v11 :: v_dual_fmac_f32 v165, v18, v9
	v_fmac_f32_e32 v167, v6, v1
	s_delay_alu instid0(VALU_DEP_3) | instskip(SKIP_1) | instid1(VALU_DEP_3)
	v_fma_f32 v2, v5, v1, -v2
	v_fma_f32 v1, v7, v3, -v4
	v_dual_mul_f32 v3, v18, v10 :: v_dual_add_f32 v4, v32, v167
	s_delay_alu instid0(VALU_DEP_3) | instskip(NEXT) | instid1(VALU_DEP_2)
	v_add_f32_e32 v2, v162, v2
	v_fma_f32 v3, v17, v9, -v3
	s_delay_alu instid0(VALU_DEP_2) | instskip(SKIP_2) | instid1(VALU_DEP_2)
	v_dual_add_f32 v1, v2, v1 :: v_dual_add_f32 v2, v4, v168
	s_wait_dscnt 0x0
	v_dual_mul_f32 v161, v28, v27 :: v_dual_mul_f32 v4, v23, v14
	v_dual_add_f32 v2, v2, v165 :: v_dual_mul_f32 v5, v20, v12
	s_delay_alu instid0(VALU_DEP_2) | instskip(NEXT) | instid1(VALU_DEP_3)
	v_fma_f32 v4, v22, v13, -v4
	v_fmac_f32_e32 v161, v29, v26
	s_delay_alu instid0(VALU_DEP_3) | instskip(NEXT) | instid1(VALU_DEP_4)
	v_add_f32_e32 v2, v2, v166
	v_fma_f32 v5, v19, v11, -v5
	s_delay_alu instid0(VALU_DEP_2) | instskip(NEXT) | instid1(VALU_DEP_1)
	v_dual_add_f32 v1, v1, v3 :: v_dual_add_f32 v2, v2, v169
	v_add_f32_e32 v1, v1, v5
	s_delay_alu instid0(VALU_DEP_2) | instskip(SKIP_1) | instid1(VALU_DEP_3)
	v_dual_mul_f32 v5, v29, v27 :: v_dual_add_f32 v2, v2, v164
	v_mul_f32_e32 v3, v25, v16
	v_add_f32_e32 v1, v1, v4
	s_delay_alu instid0(VALU_DEP_3) | instskip(NEXT) | instid1(VALU_DEP_4)
	v_fma_f32 v4, v28, v26, -v5
	v_add_f32_e32 v2, v2, v161
	s_delay_alu instid0(VALU_DEP_4) | instskip(NEXT) | instid1(VALU_DEP_1)
	v_fma_f32 v3, v24, v15, -v3
	v_dual_sub_f32 v2, v31, v2 :: v_dual_add_f32 v1, v1, v3
	s_delay_alu instid0(VALU_DEP_1) | instskip(NEXT) | instid1(VALU_DEP_1)
	v_add_f32_e32 v1, v1, v4
	v_sub_f32_e32 v1, v30, v1
	scratch_store_b64 off, v[1:2], off offset:208
	v_cmpx_lt_u32_e32 25, v0
	s_cbranch_execz .LBB127_347
; %bb.346:
	scratch_load_b64 v[1:2], off, off offset:200
	v_mov_b32_e32 v22, v21
	scratch_store_b64 off, v[21:22], off offset:200
	s_wait_loadcnt 0x0
	ds_store_b64 v163, v[1:2]
.LBB127_347:
	s_wait_alu 0xfffe
	s_or_b32 exec_lo, exec_lo, s0
	s_wait_storecnt_dscnt 0x0
	s_barrier_signal -1
	s_barrier_wait -1
	global_inv scope:SCOPE_SE
	s_clause 0x4
	scratch_load_b128 v[5:8], off, off offset:208
	scratch_load_b128 v[1:4], off, off offset:224
	;; [unrolled: 1-line block ×5, first 2 shown]
	ds_load_b128 v[22:25], v21 offset:720
	ds_load_b128 v[26:29], v21 offset:736
	;; [unrolled: 1-line block ×3, first 2 shown]
	scratch_load_b64 v[30:31], off, off offset:200
	s_mov_b32 s0, exec_lo
	s_wait_loadcnt_dscnt 0x502
	v_mul_f32_e32 v32, v23, v6
	v_dual_mul_f32 v161, v22, v6 :: v_dual_mul_f32 v162, v24, v8
	v_mul_f32_e32 v6, v25, v8
	s_wait_loadcnt_dscnt 0x300
	v_mul_f32_e32 v168, v166, v12
	v_mul_f32_e32 v12, v167, v12
	v_dual_fmac_f32 v161, v23, v5 :: v_dual_fmac_f32 v162, v25, v7
	v_fma_f32 v23, v24, v7, -v6
	v_mul_f32_e32 v25, v28, v4
	v_fma_f32 v22, v22, v5, -v32
	ds_load_b128 v[5:8], v21 offset:768
	v_mul_f32_e32 v24, v26, v2
	v_mul_f32_e32 v4, v29, v4
	;; [unrolled: 1-line block ×4, first 2 shown]
	v_dual_mul_f32 v2, v27, v2 :: v_dual_fmac_f32 v25, v29, v3
	v_fmac_f32_e32 v24, v27, v1
	v_fma_f32 v27, v28, v3, -v4
	v_fmac_f32_e32 v32, v165, v9
	v_fma_f32 v28, v164, v9, -v10
	;; [unrolled: 2-line block ×3, first 2 shown]
	ds_load_b128 v[9:12], v21 offset:784
	s_wait_loadcnt_dscnt 0x201
	v_dual_mul_f32 v165, v7, v16 :: v_dual_mul_f32 v164, v5, v14
	v_mul_f32_e32 v14, v6, v14
	v_mul_f32_e32 v16, v8, v16
	s_delay_alu instid0(VALU_DEP_3)
	v_fmac_f32_e32 v165, v8, v15
	v_fma_f32 v26, v26, v1, -v2
	scratch_load_b128 v[1:4], off, off offset:288
	v_fmac_f32_e32 v164, v6, v13
	v_fma_f32 v13, v5, v13, -v14
	v_fma_f32 v14, v7, v15, -v16
	ds_load_b128 v[5:8], v21 offset:800
	s_wait_loadcnt_dscnt 0x201
	v_mul_f32_e32 v15, v9, v18
	v_mul_f32_e32 v16, v10, v18
	v_mul_f32_e32 v18, v11, v20
	s_delay_alu instid0(VALU_DEP_3) | instskip(NEXT) | instid1(VALU_DEP_3)
	v_dual_mul_f32 v20, v12, v20 :: v_dual_fmac_f32 v15, v10, v17
	v_fma_f32 v16, v9, v17, -v16
	s_delay_alu instid0(VALU_DEP_3) | instskip(NEXT) | instid1(VALU_DEP_3)
	v_fmac_f32_e32 v18, v12, v19
	v_fma_f32 v17, v11, v19, -v20
	scratch_load_b128 v[9:12], off, off offset:304
	s_wait_loadcnt_dscnt 0x100
	v_mul_f32_e32 v19, v5, v2
	v_mul_f32_e32 v2, v6, v2
	;; [unrolled: 1-line block ×3, first 2 shown]
	s_delay_alu instid0(VALU_DEP_3) | instskip(NEXT) | instid1(VALU_DEP_3)
	v_dual_mul_f32 v4, v8, v4 :: v_dual_fmac_f32 v19, v6, v1
	v_fma_f32 v166, v5, v1, -v2
	s_delay_alu instid0(VALU_DEP_3) | instskip(NEXT) | instid1(VALU_DEP_3)
	v_fmac_f32_e32 v20, v8, v3
	v_fma_f32 v167, v7, v3, -v4
	ds_load_b128 v[1:4], v21 offset:816
	ds_load_b128 v[5:8], v21 offset:832
	s_wait_loadcnt_dscnt 0x1
	v_mul_f32_e32 v169, v1, v10
	v_mul_f32_e32 v10, v2, v10
	s_delay_alu instid0(VALU_DEP_2) | instskip(NEXT) | instid1(VALU_DEP_2)
	v_dual_mul_f32 v170, v3, v12 :: v_dual_fmac_f32 v169, v2, v9
	v_fma_f32 v171, v1, v9, -v10
	v_mul_f32_e32 v1, v4, v12
	s_delay_alu instid0(VALU_DEP_3) | instskip(NEXT) | instid1(VALU_DEP_2)
	v_fmac_f32_e32 v170, v4, v11
	v_fma_f32 v172, v3, v11, -v1
	s_clause 0x1
	scratch_load_b128 v[1:4], off, off offset:320
	scratch_load_b128 v[9:12], off, off offset:336
	s_wait_loadcnt_dscnt 0x100
	v_mul_f32_e32 v173, v5, v2
	v_dual_mul_f32 v2, v6, v2 :: v_dual_mul_f32 v175, v7, v4
	s_delay_alu instid0(VALU_DEP_2) | instskip(NEXT) | instid1(VALU_DEP_2)
	v_fmac_f32_e32 v173, v6, v1
	v_fma_f32 v174, v5, v1, -v2
	v_mul_f32_e32 v1, v8, v4
	s_delay_alu instid0(VALU_DEP_4) | instskip(NEXT) | instid1(VALU_DEP_2)
	v_fmac_f32_e32 v175, v8, v3
	v_fma_f32 v176, v7, v3, -v1
	ds_load_b128 v[1:4], v21 offset:848
	ds_load_b128 v[5:8], v21 offset:864
	s_wait_loadcnt_dscnt 0x1
	v_mul_f32_e32 v177, v1, v10
	v_mul_f32_e32 v179, v3, v12
	s_delay_alu instid0(VALU_DEP_2) | instskip(NEXT) | instid1(VALU_DEP_2)
	v_fmac_f32_e32 v177, v2, v9
	v_dual_mul_f32 v2, v2, v10 :: v_dual_fmac_f32 v179, v4, v11
	s_delay_alu instid0(VALU_DEP_1) | instskip(SKIP_1) | instid1(VALU_DEP_1)
	v_fma_f32 v178, v1, v9, -v2
	v_mul_f32_e32 v1, v4, v12
	v_fma_f32 v180, v3, v11, -v1
	s_clause 0x1
	scratch_load_b128 v[1:4], off, off offset:352
	scratch_load_b128 v[9:12], off, off offset:368
	s_wait_loadcnt_dscnt 0x100
	v_mul_f32_e32 v181, v5, v2
	v_dual_mul_f32 v2, v6, v2 :: v_dual_mul_f32 v183, v7, v4
	s_delay_alu instid0(VALU_DEP_2) | instskip(NEXT) | instid1(VALU_DEP_2)
	v_fmac_f32_e32 v181, v6, v1
	v_fma_f32 v182, v5, v1, -v2
	v_mul_f32_e32 v1, v8, v4
	s_delay_alu instid0(VALU_DEP_4) | instskip(NEXT) | instid1(VALU_DEP_2)
	v_fmac_f32_e32 v183, v8, v3
	v_fma_f32 v184, v7, v3, -v1
	ds_load_b128 v[1:4], v21 offset:880
	ds_load_b128 v[5:8], v21 offset:896
	s_wait_loadcnt_dscnt 0x1
	v_mul_f32_e32 v185, v1, v10
	v_mul_f32_e32 v187, v3, v12
	s_delay_alu instid0(VALU_DEP_2) | instskip(NEXT) | instid1(VALU_DEP_2)
	v_fmac_f32_e32 v185, v2, v9
	v_dual_mul_f32 v2, v2, v10 :: v_dual_fmac_f32 v187, v4, v11
	s_delay_alu instid0(VALU_DEP_1) | instskip(SKIP_1) | instid1(VALU_DEP_1)
	v_fma_f32 v186, v1, v9, -v2
	v_mul_f32_e32 v1, v4, v12
	;; [unrolled: 25-line block ×3, first 2 shown]
	v_fma_f32 v196, v3, v11, -v1
	s_clause 0x1
	scratch_load_b128 v[1:4], off, off offset:416
	scratch_load_b128 v[9:12], off, off offset:432
	s_wait_loadcnt_dscnt 0x100
	v_mul_f32_e32 v197, v5, v2
	v_mul_f32_e32 v2, v6, v2
	s_delay_alu instid0(VALU_DEP_1) | instskip(SKIP_1) | instid1(VALU_DEP_1)
	v_fma_f32 v198, v5, v1, -v2
	v_add_f32_e32 v2, 0, v161
	v_add_f32_e32 v2, v2, v162
	s_delay_alu instid0(VALU_DEP_1) | instskip(NEXT) | instid1(VALU_DEP_1)
	v_add_f32_e32 v2, v2, v24
	v_add_f32_e32 v2, v2, v25
	s_delay_alu instid0(VALU_DEP_1) | instskip(SKIP_1) | instid1(VALU_DEP_2)
	v_add_f32_e32 v2, v2, v32
	v_fmac_f32_e32 v197, v6, v1
	v_add_f32_e32 v2, v2, v168
	s_delay_alu instid0(VALU_DEP_1) | instskip(NEXT) | instid1(VALU_DEP_1)
	v_add_f32_e32 v2, v2, v164
	v_dual_add_f32 v2, v2, v165 :: v_dual_mul_f32 v199, v7, v4
	s_delay_alu instid0(VALU_DEP_1) | instskip(NEXT) | instid1(VALU_DEP_1)
	v_add_f32_e32 v2, v2, v15
	v_dual_fmac_f32 v199, v8, v3 :: v_dual_add_f32 v2, v2, v18
	s_delay_alu instid0(VALU_DEP_1) | instskip(NEXT) | instid1(VALU_DEP_1)
	v_dual_mul_f32 v1, v8, v4 :: v_dual_add_f32 v2, v2, v19
	v_fma_f32 v200, v7, v3, -v1
	s_delay_alu instid0(VALU_DEP_2) | instskip(NEXT) | instid1(VALU_DEP_1)
	v_dual_add_f32 v1, 0, v22 :: v_dual_add_f32 v2, v2, v20
	v_dual_add_f32 v1, v1, v23 :: v_dual_add_f32 v2, v2, v169
	s_delay_alu instid0(VALU_DEP_1) | instskip(NEXT) | instid1(VALU_DEP_2)
	v_add_f32_e32 v1, v1, v26
	v_add_f32_e32 v5, v2, v170
	s_delay_alu instid0(VALU_DEP_2) | instskip(NEXT) | instid1(VALU_DEP_1)
	v_add_f32_e32 v1, v1, v27
	v_add_f32_e32 v1, v1, v28
	s_delay_alu instid0(VALU_DEP_1) | instskip(NEXT) | instid1(VALU_DEP_1)
	v_add_f32_e32 v1, v1, v29
	v_add_f32_e32 v1, v1, v13
	;; [unrolled: 1-line block ×3, first 2 shown]
	s_delay_alu instid0(VALU_DEP_2) | instskip(NEXT) | instid1(VALU_DEP_2)
	v_add_f32_e32 v1, v1, v14
	v_add_f32_e32 v13, v13, v175
	s_delay_alu instid0(VALU_DEP_1) | instskip(NEXT) | instid1(VALU_DEP_1)
	v_add_f32_e32 v13, v13, v177
	v_add_f32_e32 v18, v13, v179
	s_delay_alu instid0(VALU_DEP_1) | instskip(NEXT) | instid1(VALU_DEP_1)
	v_dual_add_f32 v1, v1, v16 :: v_dual_add_f32 v18, v18, v181
	v_dual_add_f32 v1, v1, v17 :: v_dual_add_f32 v18, v18, v183
	s_delay_alu instid0(VALU_DEP_1) | instskip(NEXT) | instid1(VALU_DEP_1)
	v_dual_add_f32 v1, v1, v166 :: v_dual_add_f32 v22, v18, v185
	v_add_f32_e32 v1, v1, v167
	s_delay_alu instid0(VALU_DEP_2) | instskip(NEXT) | instid1(VALU_DEP_2)
	v_add_f32_e32 v22, v22, v187
	v_add_f32_e32 v1, v1, v171
	s_delay_alu instid0(VALU_DEP_1) | instskip(NEXT) | instid1(VALU_DEP_1)
	v_add_f32_e32 v1, v1, v172
	v_add_f32_e32 v6, v1, v174
	ds_load_b128 v[1:4], v21 offset:944
	v_add_f32_e32 v22, v22, v189
	v_add_f32_e32 v14, v6, v176
	scratch_load_b128 v[5:8], off, off offset:448
	v_add_f32_e32 v14, v14, v178
	s_delay_alu instid0(VALU_DEP_1)
	v_add_f32_e32 v17, v14, v180
	ds_load_b128 v[13:16], v21 offset:960
	v_add_f32_e32 v17, v17, v182
	s_wait_loadcnt_dscnt 0x101
	v_mul_f32_e32 v25, v1, v10
	v_mul_f32_e32 v10, v2, v10
	;; [unrolled: 1-line block ×4, first 2 shown]
	v_add_f32_e32 v17, v17, v184
	v_fmac_f32_e32 v25, v2, v9
	v_fma_f32 v27, v1, v9, -v10
	v_fmac_f32_e32 v26, v4, v11
	v_fma_f32 v28, v3, v11, -v12
	s_clause 0x1
	scratch_load_b128 v[1:4], off, off offset:464
	scratch_load_b128 v[9:12], off, off offset:480
	s_wait_loadcnt_dscnt 0x200
	v_mul_f32_e32 v29, v13, v6
	v_mul_f32_e32 v6, v14, v6
	;; [unrolled: 1-line block ×3, first 2 shown]
	s_delay_alu instid0(VALU_DEP_3) | instskip(NEXT) | instid1(VALU_DEP_3)
	v_dual_mul_f32 v8, v16, v8 :: v_dual_fmac_f32 v29, v14, v5
	v_fma_f32 v161, v13, v5, -v6
	s_delay_alu instid0(VALU_DEP_3) | instskip(NEXT) | instid1(VALU_DEP_3)
	v_fmac_f32_e32 v32, v16, v7
	v_fma_f32 v162, v15, v7, -v8
	ds_load_b128 v[5:8], v21 offset:976
	v_add_f32_e32 v17, v17, v186
	v_add_f32_e32 v13, v22, v191
	s_delay_alu instid0(VALU_DEP_2) | instskip(SKIP_2) | instid1(VALU_DEP_1)
	v_add_f32_e32 v23, v17, v188
	scratch_load_b128 v[17:20], off, off offset:496
	v_add_f32_e32 v23, v23, v190
	v_add_f32_e32 v23, v23, v192
	s_delay_alu instid0(VALU_DEP_1)
	v_dual_add_f32 v22, v23, v194 :: v_dual_add_f32 v23, v13, v193
	ds_load_b128 v[13:16], v21 offset:992
	s_wait_loadcnt_dscnt 0x201
	v_mul_f32_e32 v166, v5, v2
	v_mul_f32_e32 v2, v6, v2
	v_add_f32_e32 v164, v22, v196
	s_delay_alu instid0(VALU_DEP_3) | instskip(NEXT) | instid1(VALU_DEP_3)
	v_fmac_f32_e32 v166, v6, v1
	v_fma_f32 v2, v5, v1, -v2
	s_delay_alu instid0(VALU_DEP_3) | instskip(NEXT) | instid1(VALU_DEP_1)
	v_add_f32_e32 v164, v164, v198
	v_add_f32_e32 v164, v164, v200
	s_delay_alu instid0(VALU_DEP_1)
	v_dual_add_f32 v27, v164, v27 :: v_dual_mul_f32 v164, v7, v4
	v_mul_f32_e32 v4, v8, v4
	s_wait_loadcnt_dscnt 0x100
	v_dual_mul_f32 v6, v14, v10 :: v_dual_add_f32 v165, v23, v195
	ds_load_b128 v[21:24], v21 offset:1008
	v_fmac_f32_e32 v164, v8, v3
	v_fma_f32 v3, v7, v3, -v4
	v_dual_mul_f32 v4, v16, v12 :: v_dual_add_f32 v165, v165, v197
	v_mul_f32_e32 v167, v15, v12
	s_delay_alu instid0(VALU_DEP_2) | instskip(NEXT) | instid1(VALU_DEP_3)
	v_fma_f32 v4, v15, v11, -v4
	v_add_f32_e32 v165, v165, v199
	s_delay_alu instid0(VALU_DEP_3) | instskip(NEXT) | instid1(VALU_DEP_2)
	v_fmac_f32_e32 v167, v16, v11
	v_add_f32_e32 v25, v165, v25
	s_delay_alu instid0(VALU_DEP_1) | instskip(NEXT) | instid1(VALU_DEP_1)
	v_add_f32_e32 v25, v25, v26
	v_add_f32_e32 v25, v25, v29
	s_delay_alu instid0(VALU_DEP_1) | instskip(SKIP_2) | instid1(VALU_DEP_1)
	v_add_f32_e32 v5, v25, v32
	s_wait_loadcnt_dscnt 0x0
	v_mul_f32_e32 v26, v21, v18
	v_dual_fmac_f32 v26, v22, v17 :: v_dual_add_f32 v27, v27, v28
	v_dual_mul_f32 v28, v23, v20 :: v_dual_mul_f32 v165, v13, v10
	s_delay_alu instid0(VALU_DEP_1) | instskip(NEXT) | instid1(VALU_DEP_2)
	v_dual_add_f32 v27, v27, v161 :: v_dual_fmac_f32 v28, v24, v19
	v_fmac_f32_e32 v165, v14, v9
	s_delay_alu instid0(VALU_DEP_2) | instskip(NEXT) | instid1(VALU_DEP_1)
	v_add_f32_e32 v1, v27, v162
	v_add_f32_e32 v1, v1, v2
	;; [unrolled: 1-line block ×3, first 2 shown]
	v_fma_f32 v5, v13, v9, -v6
	s_delay_alu instid0(VALU_DEP_2) | instskip(SKIP_1) | instid1(VALU_DEP_2)
	v_dual_add_f32 v1, v1, v3 :: v_dual_add_f32 v2, v2, v164
	v_mul_f32_e32 v3, v22, v18
	v_add_f32_e32 v1, v1, v5
	s_delay_alu instid0(VALU_DEP_3) | instskip(NEXT) | instid1(VALU_DEP_3)
	v_dual_add_f32 v2, v2, v165 :: v_dual_mul_f32 v5, v24, v20
	v_fma_f32 v3, v21, v17, -v3
	s_delay_alu instid0(VALU_DEP_2) | instskip(NEXT) | instid1(VALU_DEP_3)
	v_dual_add_f32 v1, v1, v4 :: v_dual_add_f32 v2, v2, v167
	v_fma_f32 v4, v23, v19, -v5
	s_delay_alu instid0(VALU_DEP_2) | instskip(NEXT) | instid1(VALU_DEP_1)
	v_dual_add_f32 v1, v1, v3 :: v_dual_add_f32 v2, v2, v26
	v_add_f32_e32 v1, v1, v4
	s_delay_alu instid0(VALU_DEP_2) | instskip(NEXT) | instid1(VALU_DEP_1)
	v_add_f32_e32 v2, v2, v28
	v_dual_sub_f32 v1, v30, v1 :: v_dual_sub_f32 v2, v31, v2
	scratch_store_b64 off, v[1:2], off offset:200
	v_cmpx_lt_u32_e32 24, v0
	s_cbranch_execz .LBB127_349
; %bb.348:
	scratch_load_b64 v[1:2], off, off offset:192
	v_mov_b32_e32 v3, 0
	s_delay_alu instid0(VALU_DEP_1)
	v_mov_b32_e32 v4, v3
	scratch_store_b64 off, v[3:4], off offset:192
	s_wait_loadcnt 0x0
	ds_store_b64 v163, v[1:2]
.LBB127_349:
	s_wait_alu 0xfffe
	s_or_b32 exec_lo, exec_lo, s0
	s_wait_storecnt_dscnt 0x0
	s_barrier_signal -1
	s_barrier_wait -1
	global_inv scope:SCOPE_SE
	s_clause 0x4
	scratch_load_b128 v[5:8], off, off offset:200
	scratch_load_b128 v[1:4], off, off offset:216
	;; [unrolled: 1-line block ×5, first 2 shown]
	v_mov_b32_e32 v21, 0
	ds_load_2addr_b64 v[22:25], v21 offset0:89 offset1:90
	ds_load_2addr_b64 v[26:29], v21 offset0:91 offset1:92
	;; [unrolled: 1-line block ×3, first 2 shown]
	scratch_load_b64 v[30:31], off, off offset:192
	s_mov_b32 s0, exec_lo
	s_wait_loadcnt_dscnt 0x502
	v_mul_f32_e32 v32, v23, v6
	v_dual_mul_f32 v161, v22, v6 :: v_dual_mul_f32 v162, v24, v8
	v_mul_f32_e32 v6, v25, v8
	s_wait_loadcnt_dscnt 0x300
	v_mul_f32_e32 v168, v166, v12
	v_fma_f32 v22, v22, v5, -v32
	v_dual_fmac_f32 v161, v23, v5 :: v_dual_fmac_f32 v162, v25, v7
	v_mul_f32_e32 v25, v28, v4
	v_fma_f32 v23, v24, v7, -v6
	ds_load_2addr_b64 v[5:8], v21 offset0:95 offset1:96
	v_mul_f32_e32 v24, v26, v2
	v_mul_f32_e32 v4, v29, v4
	;; [unrolled: 1-line block ×5, first 2 shown]
	v_dual_mul_f32 v2, v27, v2 :: v_dual_fmac_f32 v25, v29, v3
	v_fmac_f32_e32 v24, v27, v1
	v_fma_f32 v27, v28, v3, -v4
	v_fmac_f32_e32 v32, v165, v9
	v_fma_f32 v28, v164, v9, -v10
	;; [unrolled: 2-line block ×3, first 2 shown]
	ds_load_2addr_b64 v[9:12], v21 offset0:97 offset1:98
	s_wait_loadcnt_dscnt 0x201
	v_dual_mul_f32 v165, v7, v16 :: v_dual_mul_f32 v164, v5, v14
	v_mul_f32_e32 v14, v6, v14
	v_mul_f32_e32 v16, v8, v16
	s_delay_alu instid0(VALU_DEP_3)
	v_fmac_f32_e32 v165, v8, v15
	v_fma_f32 v26, v26, v1, -v2
	scratch_load_b128 v[1:4], off, off offset:280
	v_fmac_f32_e32 v164, v6, v13
	v_fma_f32 v13, v5, v13, -v14
	v_fma_f32 v14, v7, v15, -v16
	ds_load_2addr_b64 v[5:8], v21 offset0:99 offset1:100
	s_wait_loadcnt_dscnt 0x201
	v_mul_f32_e32 v15, v9, v18
	v_mul_f32_e32 v16, v10, v18
	;; [unrolled: 1-line block ×3, first 2 shown]
	s_delay_alu instid0(VALU_DEP_3) | instskip(NEXT) | instid1(VALU_DEP_3)
	v_dual_mul_f32 v20, v12, v20 :: v_dual_fmac_f32 v15, v10, v17
	v_fma_f32 v16, v9, v17, -v16
	s_delay_alu instid0(VALU_DEP_3) | instskip(NEXT) | instid1(VALU_DEP_3)
	v_fmac_f32_e32 v18, v12, v19
	v_fma_f32 v17, v11, v19, -v20
	scratch_load_b128 v[9:12], off, off offset:296
	s_wait_loadcnt_dscnt 0x100
	v_mul_f32_e32 v19, v5, v2
	v_mul_f32_e32 v2, v6, v2
	;; [unrolled: 1-line block ×3, first 2 shown]
	s_delay_alu instid0(VALU_DEP_3) | instskip(NEXT) | instid1(VALU_DEP_3)
	v_dual_mul_f32 v4, v8, v4 :: v_dual_fmac_f32 v19, v6, v1
	v_fma_f32 v166, v5, v1, -v2
	s_delay_alu instid0(VALU_DEP_3) | instskip(NEXT) | instid1(VALU_DEP_3)
	v_fmac_f32_e32 v20, v8, v3
	v_fma_f32 v167, v7, v3, -v4
	ds_load_2addr_b64 v[1:4], v21 offset0:101 offset1:102
	ds_load_2addr_b64 v[5:8], v21 offset0:103 offset1:104
	s_wait_loadcnt_dscnt 0x1
	v_mul_f32_e32 v169, v1, v10
	v_mul_f32_e32 v10, v2, v10
	s_delay_alu instid0(VALU_DEP_2) | instskip(NEXT) | instid1(VALU_DEP_2)
	v_dual_mul_f32 v170, v3, v12 :: v_dual_fmac_f32 v169, v2, v9
	v_fma_f32 v171, v1, v9, -v10
	v_mul_f32_e32 v1, v4, v12
	s_delay_alu instid0(VALU_DEP_3) | instskip(NEXT) | instid1(VALU_DEP_2)
	v_fmac_f32_e32 v170, v4, v11
	v_fma_f32 v172, v3, v11, -v1
	s_clause 0x1
	scratch_load_b128 v[1:4], off, off offset:312
	scratch_load_b128 v[9:12], off, off offset:328
	s_wait_loadcnt_dscnt 0x100
	v_mul_f32_e32 v173, v5, v2
	v_dual_mul_f32 v2, v6, v2 :: v_dual_mul_f32 v175, v7, v4
	s_delay_alu instid0(VALU_DEP_2) | instskip(NEXT) | instid1(VALU_DEP_2)
	v_fmac_f32_e32 v173, v6, v1
	v_fma_f32 v174, v5, v1, -v2
	v_mul_f32_e32 v1, v8, v4
	s_delay_alu instid0(VALU_DEP_4) | instskip(NEXT) | instid1(VALU_DEP_2)
	v_fmac_f32_e32 v175, v8, v3
	v_fma_f32 v176, v7, v3, -v1
	ds_load_2addr_b64 v[1:4], v21 offset0:105 offset1:106
	ds_load_2addr_b64 v[5:8], v21 offset0:107 offset1:108
	s_wait_loadcnt_dscnt 0x1
	v_mul_f32_e32 v177, v1, v10
	v_mul_f32_e32 v179, v3, v12
	s_delay_alu instid0(VALU_DEP_2) | instskip(NEXT) | instid1(VALU_DEP_2)
	v_fmac_f32_e32 v177, v2, v9
	v_dual_mul_f32 v2, v2, v10 :: v_dual_fmac_f32 v179, v4, v11
	s_delay_alu instid0(VALU_DEP_1) | instskip(SKIP_1) | instid1(VALU_DEP_1)
	v_fma_f32 v178, v1, v9, -v2
	v_mul_f32_e32 v1, v4, v12
	v_fma_f32 v180, v3, v11, -v1
	s_clause 0x1
	scratch_load_b128 v[1:4], off, off offset:344
	scratch_load_b128 v[9:12], off, off offset:360
	s_wait_loadcnt_dscnt 0x100
	v_mul_f32_e32 v181, v5, v2
	v_dual_mul_f32 v2, v6, v2 :: v_dual_mul_f32 v183, v7, v4
	s_delay_alu instid0(VALU_DEP_2) | instskip(NEXT) | instid1(VALU_DEP_2)
	v_fmac_f32_e32 v181, v6, v1
	v_fma_f32 v182, v5, v1, -v2
	v_mul_f32_e32 v1, v8, v4
	s_delay_alu instid0(VALU_DEP_4) | instskip(NEXT) | instid1(VALU_DEP_2)
	v_fmac_f32_e32 v183, v8, v3
	v_fma_f32 v184, v7, v3, -v1
	ds_load_2addr_b64 v[1:4], v21 offset0:109 offset1:110
	ds_load_2addr_b64 v[5:8], v21 offset0:111 offset1:112
	s_wait_loadcnt_dscnt 0x1
	v_mul_f32_e32 v185, v1, v10
	v_mul_f32_e32 v187, v3, v12
	s_delay_alu instid0(VALU_DEP_2) | instskip(NEXT) | instid1(VALU_DEP_2)
	v_fmac_f32_e32 v185, v2, v9
	v_dual_mul_f32 v2, v2, v10 :: v_dual_fmac_f32 v187, v4, v11
	s_delay_alu instid0(VALU_DEP_1) | instskip(SKIP_1) | instid1(VALU_DEP_1)
	v_fma_f32 v186, v1, v9, -v2
	v_mul_f32_e32 v1, v4, v12
	v_fma_f32 v188, v3, v11, -v1
	s_clause 0x1
	scratch_load_b128 v[1:4], off, off offset:376
	scratch_load_b128 v[9:12], off, off offset:392
	s_wait_loadcnt_dscnt 0x100
	v_mul_f32_e32 v189, v5, v2
	v_dual_mul_f32 v2, v6, v2 :: v_dual_mul_f32 v191, v7, v4
	s_delay_alu instid0(VALU_DEP_2) | instskip(NEXT) | instid1(VALU_DEP_2)
	v_fmac_f32_e32 v189, v6, v1
	v_fma_f32 v190, v5, v1, -v2
	v_mul_f32_e32 v1, v8, v4
	s_delay_alu instid0(VALU_DEP_4) | instskip(NEXT) | instid1(VALU_DEP_2)
	v_fmac_f32_e32 v191, v8, v3
	v_fma_f32 v192, v7, v3, -v1
	ds_load_2addr_b64 v[1:4], v21 offset0:113 offset1:114
	ds_load_2addr_b64 v[5:8], v21 offset0:115 offset1:116
	s_wait_loadcnt_dscnt 0x1
	v_mul_f32_e32 v193, v1, v10
	v_mul_f32_e32 v195, v3, v12
	s_delay_alu instid0(VALU_DEP_2) | instskip(NEXT) | instid1(VALU_DEP_2)
	v_fmac_f32_e32 v193, v2, v9
	v_dual_mul_f32 v2, v2, v10 :: v_dual_fmac_f32 v195, v4, v11
	s_delay_alu instid0(VALU_DEP_1) | instskip(SKIP_1) | instid1(VALU_DEP_1)
	v_fma_f32 v194, v1, v9, -v2
	v_mul_f32_e32 v1, v4, v12
	v_fma_f32 v196, v3, v11, -v1
	s_clause 0x1
	scratch_load_b128 v[1:4], off, off offset:408
	scratch_load_b128 v[9:12], off, off offset:424
	s_wait_loadcnt_dscnt 0x100
	v_mul_f32_e32 v197, v5, v2
	v_mul_f32_e32 v2, v6, v2
	s_delay_alu instid0(VALU_DEP_1) | instskip(SKIP_1) | instid1(VALU_DEP_1)
	v_fma_f32 v198, v5, v1, -v2
	v_add_f32_e32 v2, 0, v161
	v_add_f32_e32 v2, v2, v162
	s_delay_alu instid0(VALU_DEP_1) | instskip(NEXT) | instid1(VALU_DEP_1)
	v_add_f32_e32 v2, v2, v24
	v_add_f32_e32 v2, v2, v25
	s_delay_alu instid0(VALU_DEP_1) | instskip(SKIP_1) | instid1(VALU_DEP_2)
	v_add_f32_e32 v2, v2, v32
	v_fmac_f32_e32 v197, v6, v1
	v_add_f32_e32 v2, v2, v168
	s_delay_alu instid0(VALU_DEP_1) | instskip(NEXT) | instid1(VALU_DEP_1)
	v_add_f32_e32 v2, v2, v164
	v_dual_add_f32 v2, v2, v165 :: v_dual_mul_f32 v199, v7, v4
	s_delay_alu instid0(VALU_DEP_1) | instskip(NEXT) | instid1(VALU_DEP_1)
	v_add_f32_e32 v2, v2, v15
	v_dual_fmac_f32 v199, v8, v3 :: v_dual_add_f32 v2, v2, v18
	s_delay_alu instid0(VALU_DEP_1) | instskip(NEXT) | instid1(VALU_DEP_1)
	v_dual_mul_f32 v1, v8, v4 :: v_dual_add_f32 v2, v2, v19
	v_fma_f32 v200, v7, v3, -v1
	s_delay_alu instid0(VALU_DEP_2) | instskip(NEXT) | instid1(VALU_DEP_1)
	v_dual_add_f32 v1, 0, v22 :: v_dual_add_f32 v2, v2, v20
	v_dual_add_f32 v1, v1, v23 :: v_dual_add_f32 v2, v2, v169
	s_delay_alu instid0(VALU_DEP_1) | instskip(NEXT) | instid1(VALU_DEP_2)
	v_add_f32_e32 v1, v1, v26
	v_add_f32_e32 v5, v2, v170
	s_delay_alu instid0(VALU_DEP_2) | instskip(SKIP_2) | instid1(VALU_DEP_1)
	v_add_f32_e32 v1, v1, v27
	scratch_load_b64 v[26:27], off, off offset:504
	v_add_f32_e32 v1, v1, v28
	v_add_f32_e32 v1, v1, v29
	s_delay_alu instid0(VALU_DEP_1) | instskip(SKIP_1) | instid1(VALU_DEP_2)
	v_add_f32_e32 v1, v1, v13
	v_add_f32_e32 v13, v5, v173
	;; [unrolled: 1-line block ×3, first 2 shown]
	s_delay_alu instid0(VALU_DEP_2) | instskip(NEXT) | instid1(VALU_DEP_1)
	v_add_f32_e32 v13, v13, v175
	v_add_f32_e32 v13, v13, v177
	s_delay_alu instid0(VALU_DEP_1) | instskip(NEXT) | instid1(VALU_DEP_1)
	v_add_f32_e32 v18, v13, v179
	v_dual_add_f32 v1, v1, v16 :: v_dual_add_f32 v18, v18, v181
	s_delay_alu instid0(VALU_DEP_1) | instskip(NEXT) | instid1(VALU_DEP_1)
	v_dual_add_f32 v1, v1, v17 :: v_dual_add_f32 v18, v18, v183
	v_add_f32_e32 v1, v1, v166
	s_delay_alu instid0(VALU_DEP_1) | instskip(NEXT) | instid1(VALU_DEP_1)
	v_add_f32_e32 v1, v1, v167
	v_add_f32_e32 v1, v1, v171
	s_delay_alu instid0(VALU_DEP_1) | instskip(NEXT) | instid1(VALU_DEP_1)
	v_add_f32_e32 v1, v1, v172
	v_add_f32_e32 v6, v1, v174
	scratch_load_b128 v[1:4], off, off offset:440
	v_add_f32_e32 v22, v18, v185
	v_add_f32_e32 v14, v6, v176
	ds_load_2addr_b64 v[5:8], v21 offset0:117 offset1:118
	v_add_f32_e32 v22, v22, v187
	v_add_f32_e32 v14, v14, v178
	s_delay_alu instid0(VALU_DEP_2) | instskip(NEXT) | instid1(VALU_DEP_2)
	v_add_f32_e32 v22, v22, v189
	v_add_f32_e32 v17, v14, v180
	ds_load_2addr_b64 v[13:16], v21 offset0:119 offset1:120
	v_add_f32_e32 v22, v22, v191
	s_wait_loadcnt_dscnt 0x201
	v_mul_f32_e32 v32, v5, v10
	v_dual_mul_f32 v10, v6, v10 :: v_dual_mul_f32 v161, v7, v12
	v_mul_f32_e32 v12, v8, v12
	s_delay_alu instid0(VALU_DEP_3) | instskip(NEXT) | instid1(VALU_DEP_3)
	v_fmac_f32_e32 v32, v6, v9
	v_fma_f32 v162, v5, v9, -v10
	s_delay_alu instid0(VALU_DEP_4) | instskip(NEXT) | instid1(VALU_DEP_4)
	v_fmac_f32_e32 v161, v8, v11
	v_fma_f32 v164, v7, v11, -v12
	s_clause 0x1
	scratch_load_b128 v[5:8], off, off offset:456
	scratch_load_b128 v[9:12], off, off offset:472
	s_wait_loadcnt_dscnt 0x200
	v_mul_f32_e32 v165, v13, v2
	v_mul_f32_e32 v2, v14, v2
	;; [unrolled: 1-line block ×4, first 2 shown]
	s_delay_alu instid0(VALU_DEP_3) | instskip(NEXT) | instid1(VALU_DEP_3)
	v_fma_f32 v167, v13, v1, -v2
	v_dual_add_f32 v13, v22, v193 :: v_dual_fmac_f32 v166, v16, v3
	s_delay_alu instid0(VALU_DEP_3) | instskip(NEXT) | instid1(VALU_DEP_2)
	v_fma_f32 v168, v15, v3, -v4
	v_add_f32_e32 v22, v13, v195
	v_add_f32_e32 v17, v17, v182
	s_delay_alu instid0(VALU_DEP_2) | instskip(SKIP_4) | instid1(VALU_DEP_1)
	v_add_f32_e32 v29, v22, v197
	v_fmac_f32_e32 v165, v14, v1
	ds_load_2addr_b64 v[1:4], v21 offset0:121 offset1:122
	v_add_f32_e32 v17, v17, v184
	v_add_f32_e32 v170, v29, v199
	v_dual_add_f32 v17, v17, v186 :: v_dual_add_f32 v32, v170, v32
	s_delay_alu instid0(VALU_DEP_1) | instskip(SKIP_2) | instid1(VALU_DEP_1)
	v_add_f32_e32 v23, v17, v188
	scratch_load_b128 v[17:20], off, off offset:488
	v_add_f32_e32 v23, v23, v190
	v_add_f32_e32 v23, v23, v192
	s_delay_alu instid0(VALU_DEP_1) | instskip(NEXT) | instid1(VALU_DEP_1)
	v_add_f32_e32 v23, v23, v194
	v_add_f32_e32 v14, v23, v196
	ds_load_2addr_b64 v[22:25], v21 offset0:125 offset1:126
	v_add_f32_e32 v28, v14, v198
	ds_load_2addr_b64 v[13:16], v21 offset0:123 offset1:124
	v_add_f32_e32 v169, v28, v200
	ds_load_b64 v[28:29], v21 offset:1016
	v_add_f32_e32 v162, v169, v162
	v_add_f32_e32 v32, v32, v161
	s_delay_alu instid0(VALU_DEP_2) | instskip(SKIP_1) | instid1(VALU_DEP_2)
	v_add_f32_e32 v162, v162, v164
	s_wait_loadcnt_dscnt 0x203
	v_dual_add_f32 v32, v32, v165 :: v_dual_mul_f32 v161, v3, v8
	v_mul_f32_e32 v8, v4, v8
	s_delay_alu instid0(VALU_DEP_3)
	v_dual_add_f32 v162, v162, v167 :: v_dual_mul_f32 v169, v1, v6
	v_mul_f32_e32 v6, v2, v6
	s_wait_loadcnt_dscnt 0x101
	v_mul_f32_e32 v164, v13, v10
	v_add_f32_e32 v32, v32, v166
	v_add_f32_e32 v162, v162, v168
	v_fmac_f32_e32 v169, v2, v5
	v_fma_f32 v1, v1, v5, -v6
	v_fma_f32 v2, v3, v7, -v8
	v_dual_fmac_f32 v164, v14, v9 :: v_dual_fmac_f32 v161, v4, v7
	s_wait_dscnt 0x0
	v_dual_mul_f32 v165, v15, v12 :: v_dual_mul_f32 v166, v28, v27
	v_dual_add_f32 v4, v32, v169 :: v_dual_mul_f32 v3, v14, v10
	s_delay_alu instid0(VALU_DEP_2) | instskip(SKIP_3) | instid1(VALU_DEP_2)
	v_dual_fmac_f32 v165, v16, v11 :: v_dual_fmac_f32 v166, v29, v26
	s_wait_loadcnt 0x0
	v_dual_mul_f32 v167, v22, v18 :: v_dual_mul_f32 v168, v24, v20
	v_add_f32_e32 v1, v162, v1
	v_dual_fmac_f32 v167, v23, v17 :: v_dual_fmac_f32 v168, v25, v19
	s_delay_alu instid0(VALU_DEP_2) | instskip(SKIP_2) | instid1(VALU_DEP_3)
	v_dual_add_f32 v1, v1, v2 :: v_dual_add_f32 v2, v4, v161
	v_fma_f32 v3, v13, v9, -v3
	v_mul_f32_e32 v4, v23, v18
	v_add_f32_e32 v2, v2, v164
	v_mul_f32_e32 v5, v16, v12
	s_delay_alu instid0(VALU_DEP_3) | instskip(NEXT) | instid1(VALU_DEP_3)
	v_fma_f32 v4, v22, v17, -v4
	v_add_f32_e32 v2, v2, v165
	s_delay_alu instid0(VALU_DEP_3) | instskip(NEXT) | instid1(VALU_DEP_2)
	v_fma_f32 v5, v15, v11, -v5
	v_add_f32_e32 v2, v2, v167
	s_delay_alu instid0(VALU_DEP_1) | instskip(NEXT) | instid1(VALU_DEP_1)
	v_dual_add_f32 v1, v1, v3 :: v_dual_add_f32 v2, v2, v168
	v_dual_mul_f32 v3, v25, v20 :: v_dual_add_f32 v2, v2, v166
	s_delay_alu instid0(VALU_DEP_2) | instskip(SKIP_1) | instid1(VALU_DEP_3)
	v_add_f32_e32 v1, v1, v5
	v_mul_f32_e32 v5, v29, v27
	v_fma_f32 v3, v24, v19, -v3
	s_delay_alu instid0(VALU_DEP_3) | instskip(NEXT) | instid1(VALU_DEP_3)
	v_dual_sub_f32 v2, v31, v2 :: v_dual_add_f32 v1, v1, v4
	v_fma_f32 v4, v28, v26, -v5
	s_delay_alu instid0(VALU_DEP_2) | instskip(NEXT) | instid1(VALU_DEP_1)
	v_add_f32_e32 v1, v1, v3
	v_add_f32_e32 v1, v1, v4
	s_delay_alu instid0(VALU_DEP_1)
	v_sub_f32_e32 v1, v30, v1
	scratch_store_b64 off, v[1:2], off offset:192
	v_cmpx_lt_u32_e32 23, v0
	s_cbranch_execz .LBB127_351
; %bb.350:
	scratch_load_b64 v[1:2], off, off offset:184
	v_mov_b32_e32 v22, v21
	scratch_store_b64 off, v[21:22], off offset:184
	s_wait_loadcnt 0x0
	ds_store_b64 v163, v[1:2]
.LBB127_351:
	s_wait_alu 0xfffe
	s_or_b32 exec_lo, exec_lo, s0
	s_wait_storecnt_dscnt 0x0
	s_barrier_signal -1
	s_barrier_wait -1
	global_inv scope:SCOPE_SE
	s_clause 0x4
	scratch_load_b128 v[5:8], off, off offset:192
	scratch_load_b128 v[1:4], off, off offset:208
	;; [unrolled: 1-line block ×5, first 2 shown]
	ds_load_b128 v[22:25], v21 offset:704
	ds_load_b128 v[26:29], v21 offset:720
	;; [unrolled: 1-line block ×3, first 2 shown]
	scratch_load_b64 v[30:31], off, off offset:184
	s_mov_b32 s0, exec_lo
	s_wait_loadcnt_dscnt 0x502
	v_mul_f32_e32 v32, v23, v6
	v_dual_mul_f32 v161, v22, v6 :: v_dual_mul_f32 v162, v24, v8
	v_mul_f32_e32 v6, v25, v8
	s_wait_loadcnt_dscnt 0x300
	v_mul_f32_e32 v168, v166, v12
	v_mul_f32_e32 v12, v167, v12
	v_dual_fmac_f32 v161, v23, v5 :: v_dual_fmac_f32 v162, v25, v7
	v_fma_f32 v23, v24, v7, -v6
	v_mul_f32_e32 v25, v28, v4
	v_fma_f32 v22, v22, v5, -v32
	ds_load_b128 v[5:8], v21 offset:752
	v_mul_f32_e32 v24, v26, v2
	v_mul_f32_e32 v4, v29, v4
	;; [unrolled: 1-line block ×4, first 2 shown]
	v_dual_mul_f32 v2, v27, v2 :: v_dual_fmac_f32 v25, v29, v3
	v_fmac_f32_e32 v24, v27, v1
	v_fma_f32 v27, v28, v3, -v4
	v_fmac_f32_e32 v32, v165, v9
	v_fma_f32 v28, v164, v9, -v10
	;; [unrolled: 2-line block ×3, first 2 shown]
	ds_load_b128 v[9:12], v21 offset:768
	s_wait_loadcnt_dscnt 0x201
	v_dual_mul_f32 v165, v7, v16 :: v_dual_mul_f32 v164, v5, v14
	v_mul_f32_e32 v14, v6, v14
	v_mul_f32_e32 v16, v8, v16
	s_delay_alu instid0(VALU_DEP_3)
	v_fmac_f32_e32 v165, v8, v15
	v_fma_f32 v26, v26, v1, -v2
	scratch_load_b128 v[1:4], off, off offset:272
	v_fmac_f32_e32 v164, v6, v13
	v_fma_f32 v13, v5, v13, -v14
	v_fma_f32 v14, v7, v15, -v16
	ds_load_b128 v[5:8], v21 offset:784
	s_wait_loadcnt_dscnt 0x201
	v_mul_f32_e32 v15, v9, v18
	v_mul_f32_e32 v16, v10, v18
	;; [unrolled: 1-line block ×3, first 2 shown]
	s_delay_alu instid0(VALU_DEP_3) | instskip(NEXT) | instid1(VALU_DEP_3)
	v_dual_mul_f32 v20, v12, v20 :: v_dual_fmac_f32 v15, v10, v17
	v_fma_f32 v16, v9, v17, -v16
	s_delay_alu instid0(VALU_DEP_3) | instskip(NEXT) | instid1(VALU_DEP_3)
	v_fmac_f32_e32 v18, v12, v19
	v_fma_f32 v17, v11, v19, -v20
	scratch_load_b128 v[9:12], off, off offset:288
	s_wait_loadcnt_dscnt 0x100
	v_mul_f32_e32 v19, v5, v2
	v_mul_f32_e32 v2, v6, v2
	;; [unrolled: 1-line block ×3, first 2 shown]
	s_delay_alu instid0(VALU_DEP_3) | instskip(NEXT) | instid1(VALU_DEP_3)
	v_dual_mul_f32 v4, v8, v4 :: v_dual_fmac_f32 v19, v6, v1
	v_fma_f32 v166, v5, v1, -v2
	s_delay_alu instid0(VALU_DEP_3) | instskip(NEXT) | instid1(VALU_DEP_3)
	v_fmac_f32_e32 v20, v8, v3
	v_fma_f32 v167, v7, v3, -v4
	ds_load_b128 v[1:4], v21 offset:800
	ds_load_b128 v[5:8], v21 offset:816
	s_wait_loadcnt_dscnt 0x1
	v_mul_f32_e32 v169, v1, v10
	v_mul_f32_e32 v10, v2, v10
	s_delay_alu instid0(VALU_DEP_2) | instskip(NEXT) | instid1(VALU_DEP_2)
	v_dual_mul_f32 v170, v3, v12 :: v_dual_fmac_f32 v169, v2, v9
	v_fma_f32 v171, v1, v9, -v10
	v_mul_f32_e32 v1, v4, v12
	s_delay_alu instid0(VALU_DEP_3) | instskip(NEXT) | instid1(VALU_DEP_2)
	v_fmac_f32_e32 v170, v4, v11
	v_fma_f32 v172, v3, v11, -v1
	s_clause 0x1
	scratch_load_b128 v[1:4], off, off offset:304
	scratch_load_b128 v[9:12], off, off offset:320
	s_wait_loadcnt_dscnt 0x100
	v_mul_f32_e32 v173, v5, v2
	v_dual_mul_f32 v2, v6, v2 :: v_dual_mul_f32 v175, v7, v4
	s_delay_alu instid0(VALU_DEP_2) | instskip(NEXT) | instid1(VALU_DEP_2)
	v_fmac_f32_e32 v173, v6, v1
	v_fma_f32 v174, v5, v1, -v2
	v_mul_f32_e32 v1, v8, v4
	s_delay_alu instid0(VALU_DEP_4) | instskip(NEXT) | instid1(VALU_DEP_2)
	v_fmac_f32_e32 v175, v8, v3
	v_fma_f32 v176, v7, v3, -v1
	ds_load_b128 v[1:4], v21 offset:832
	ds_load_b128 v[5:8], v21 offset:848
	s_wait_loadcnt_dscnt 0x1
	v_mul_f32_e32 v177, v1, v10
	v_mul_f32_e32 v179, v3, v12
	s_delay_alu instid0(VALU_DEP_2) | instskip(NEXT) | instid1(VALU_DEP_2)
	v_fmac_f32_e32 v177, v2, v9
	v_dual_mul_f32 v2, v2, v10 :: v_dual_fmac_f32 v179, v4, v11
	s_delay_alu instid0(VALU_DEP_1) | instskip(SKIP_1) | instid1(VALU_DEP_1)
	v_fma_f32 v178, v1, v9, -v2
	v_mul_f32_e32 v1, v4, v12
	v_fma_f32 v180, v3, v11, -v1
	s_clause 0x1
	scratch_load_b128 v[1:4], off, off offset:336
	scratch_load_b128 v[9:12], off, off offset:352
	s_wait_loadcnt_dscnt 0x100
	v_mul_f32_e32 v181, v5, v2
	v_dual_mul_f32 v2, v6, v2 :: v_dual_mul_f32 v183, v7, v4
	s_delay_alu instid0(VALU_DEP_2) | instskip(NEXT) | instid1(VALU_DEP_2)
	v_fmac_f32_e32 v181, v6, v1
	v_fma_f32 v182, v5, v1, -v2
	v_mul_f32_e32 v1, v8, v4
	s_delay_alu instid0(VALU_DEP_4) | instskip(NEXT) | instid1(VALU_DEP_2)
	v_fmac_f32_e32 v183, v8, v3
	v_fma_f32 v184, v7, v3, -v1
	ds_load_b128 v[1:4], v21 offset:864
	ds_load_b128 v[5:8], v21 offset:880
	s_wait_loadcnt_dscnt 0x1
	v_mul_f32_e32 v185, v1, v10
	v_mul_f32_e32 v187, v3, v12
	s_delay_alu instid0(VALU_DEP_2) | instskip(NEXT) | instid1(VALU_DEP_2)
	v_fmac_f32_e32 v185, v2, v9
	v_dual_mul_f32 v2, v2, v10 :: v_dual_fmac_f32 v187, v4, v11
	s_delay_alu instid0(VALU_DEP_1) | instskip(SKIP_1) | instid1(VALU_DEP_1)
	v_fma_f32 v186, v1, v9, -v2
	v_mul_f32_e32 v1, v4, v12
	;; [unrolled: 25-line block ×4, first 2 shown]
	v_fma_f32 v204, v3, v11, -v1
	s_clause 0x1
	scratch_load_b128 v[1:4], off, off offset:432
	scratch_load_b128 v[9:12], off, off offset:448
	s_wait_loadcnt_dscnt 0x100
	v_mul_f32_e32 v205, v5, v2
	v_mul_f32_e32 v2, v6, v2
	s_delay_alu instid0(VALU_DEP_1) | instskip(SKIP_1) | instid1(VALU_DEP_1)
	v_fma_f32 v206, v5, v1, -v2
	v_add_f32_e32 v2, 0, v161
	v_add_f32_e32 v2, v2, v162
	s_delay_alu instid0(VALU_DEP_1) | instskip(NEXT) | instid1(VALU_DEP_1)
	v_add_f32_e32 v2, v2, v24
	v_add_f32_e32 v2, v2, v25
	s_delay_alu instid0(VALU_DEP_1) | instskip(NEXT) | instid1(VALU_DEP_1)
	;; [unrolled: 3-line block ×5, first 2 shown]
	v_add_f32_e32 v2, v2, v19
	v_add_f32_e32 v2, v2, v20
	v_mul_f32_e32 v207, v7, v4
	v_fmac_f32_e32 v205, v6, v1
	s_delay_alu instid0(VALU_DEP_2) | instskip(NEXT) | instid1(VALU_DEP_1)
	v_dual_add_f32 v2, v2, v169 :: v_dual_fmac_f32 v207, v8, v3
	v_dual_add_f32 v2, v2, v170 :: v_dual_mul_f32 v1, v8, v4
	s_delay_alu instid0(VALU_DEP_1) | instskip(NEXT) | instid1(VALU_DEP_2)
	v_add_f32_e32 v2, v2, v173
	v_fma_f32 v208, v7, v3, -v1
	s_delay_alu instid0(VALU_DEP_2) | instskip(NEXT) | instid1(VALU_DEP_1)
	v_dual_add_f32 v1, 0, v22 :: v_dual_add_f32 v2, v2, v175
	v_add_f32_e32 v1, v1, v23
	s_delay_alu instid0(VALU_DEP_1) | instskip(NEXT) | instid1(VALU_DEP_1)
	v_add_f32_e32 v1, v1, v26
	v_add_f32_e32 v1, v1, v27
	s_delay_alu instid0(VALU_DEP_1) | instskip(NEXT) | instid1(VALU_DEP_1)
	v_add_f32_e32 v1, v1, v28
	;; [unrolled: 3-line block ×10, first 2 shown]
	v_add_f32_e32 v13, v13, v188
	s_delay_alu instid0(VALU_DEP_1) | instskip(SKIP_3) | instid1(VALU_DEP_1)
	v_add_f32_e32 v13, v13, v190
	v_add_f32_e32 v5, v2, v177
	ds_load_b128 v[1:4], v21 offset:960
	v_add_f32_e32 v18, v13, v192
	v_dual_add_f32 v5, v5, v179 :: v_dual_add_f32 v18, v18, v194
	s_delay_alu instid0(VALU_DEP_1) | instskip(NEXT) | instid1(VALU_DEP_1)
	v_dual_add_f32 v5, v5, v181 :: v_dual_add_f32 v18, v18, v196
	v_add_f32_e32 v14, v5, v183
	ds_load_b128 v[5:8], v21 offset:976
	v_add_f32_e32 v22, v18, v198
	s_wait_loadcnt_dscnt 0x1
	v_dual_add_f32 v14, v14, v185 :: v_dual_mul_f32 v25, v1, v10
	v_mul_f32_e32 v26, v3, v12
	v_mul_f32_e32 v10, v2, v10
	;; [unrolled: 1-line block ×3, first 2 shown]
	s_delay_alu instid0(VALU_DEP_4) | instskip(NEXT) | instid1(VALU_DEP_4)
	v_add_f32_e32 v14, v14, v187
	v_dual_add_f32 v29, v22, v200 :: v_dual_fmac_f32 v26, v4, v11
	s_delay_alu instid0(VALU_DEP_4) | instskip(NEXT) | instid1(VALU_DEP_4)
	v_fma_f32 v27, v1, v9, -v10
	v_fma_f32 v28, v3, v11, -v12
	s_delay_alu instid0(VALU_DEP_4) | instskip(SKIP_3) | instid1(VALU_DEP_2)
	v_add_f32_e32 v17, v14, v189
	scratch_load_b128 v[13:16], off, off offset:496
	v_add_f32_e32 v29, v29, v202
	v_add_f32_e32 v17, v17, v191
	;; [unrolled: 1-line block ×3, first 2 shown]
	s_delay_alu instid0(VALU_DEP_2) | instskip(NEXT) | instid1(VALU_DEP_2)
	v_add_f32_e32 v17, v17, v193
	v_add_f32_e32 v29, v29, v206
	s_delay_alu instid0(VALU_DEP_2) | instskip(NEXT) | instid1(VALU_DEP_2)
	v_add_f32_e32 v17, v17, v195
	v_add_f32_e32 v29, v29, v208
	s_delay_alu instid0(VALU_DEP_2)
	v_add_f32_e32 v23, v17, v197
	ds_load_b128 v[17:20], v21 offset:992
	v_add_f32_e32 v27, v29, v27
	v_add_f32_e32 v32, v23, v199
	ds_load_b128 v[21:24], v21 offset:1008
	v_fmac_f32_e32 v25, v2, v9
	s_clause 0x1
	scratch_load_b128 v[1:4], off, off offset:464
	scratch_load_b128 v[9:12], off, off offset:480
	v_add_f32_e32 v32, v32, v201
	s_delay_alu instid0(VALU_DEP_1) | instskip(NEXT) | instid1(VALU_DEP_1)
	v_add_f32_e32 v32, v32, v203
	v_add_f32_e32 v32, v32, v205
	s_delay_alu instid0(VALU_DEP_1) | instskip(SKIP_1) | instid1(VALU_DEP_1)
	v_add_f32_e32 v32, v32, v207
	s_wait_loadcnt_dscnt 0x200
	v_dual_mul_f32 v166, v21, v14 :: v_dual_add_f32 v25, v32, v25
	s_delay_alu instid0(VALU_DEP_1) | instskip(NEXT) | instid1(VALU_DEP_1)
	v_dual_mul_f32 v29, v23, v16 :: v_dual_fmac_f32 v166, v22, v13
	v_fmac_f32_e32 v29, v24, v15
	s_wait_loadcnt 0x1
	v_mul_f32_e32 v161, v5, v2
	v_mul_f32_e32 v2, v6, v2
	;; [unrolled: 1-line block ×4, first 2 shown]
	s_wait_loadcnt 0x0
	v_dual_mul_f32 v164, v17, v10 :: v_dual_fmac_f32 v161, v6, v1
	v_fma_f32 v2, v5, v1, -v2
	v_add_f32_e32 v1, v27, v28
	v_add_f32_e32 v5, v25, v26
	v_mul_f32_e32 v6, v18, v10
	v_fmac_f32_e32 v162, v8, v3
	v_fma_f32 v3, v7, v3, -v4
	v_add_f32_e32 v1, v1, v2
	v_dual_add_f32 v2, v5, v161 :: v_dual_mul_f32 v165, v19, v12
	v_mul_f32_e32 v4, v20, v12
	v_fmac_f32_e32 v164, v18, v9
	v_fma_f32 v5, v17, v9, -v6
	s_delay_alu instid0(VALU_DEP_4) | instskip(SKIP_3) | instid1(VALU_DEP_4)
	v_dual_add_f32 v1, v1, v3 :: v_dual_add_f32 v2, v2, v162
	v_mul_f32_e32 v3, v22, v14
	v_fmac_f32_e32 v165, v20, v11
	v_fma_f32 v4, v19, v11, -v4
	v_dual_add_f32 v1, v1, v5 :: v_dual_add_f32 v2, v2, v164
	v_mul_f32_e32 v5, v24, v16
	v_fma_f32 v3, v21, v13, -v3
	s_delay_alu instid0(VALU_DEP_3) | instskip(NEXT) | instid1(VALU_DEP_3)
	v_dual_add_f32 v1, v1, v4 :: v_dual_add_f32 v2, v2, v165
	v_fma_f32 v4, v23, v15, -v5
	s_delay_alu instid0(VALU_DEP_2) | instskip(NEXT) | instid1(VALU_DEP_1)
	v_dual_add_f32 v1, v1, v3 :: v_dual_add_f32 v2, v2, v166
	v_dual_add_f32 v1, v1, v4 :: v_dual_add_f32 v2, v2, v29
	s_delay_alu instid0(VALU_DEP_1)
	v_dual_sub_f32 v1, v30, v1 :: v_dual_sub_f32 v2, v31, v2
	scratch_store_b64 off, v[1:2], off offset:184
	v_cmpx_lt_u32_e32 22, v0
	s_cbranch_execz .LBB127_353
; %bb.352:
	scratch_load_b64 v[1:2], off, off offset:176
	v_mov_b32_e32 v3, 0
	s_delay_alu instid0(VALU_DEP_1)
	v_mov_b32_e32 v4, v3
	scratch_store_b64 off, v[3:4], off offset:176
	s_wait_loadcnt 0x0
	ds_store_b64 v163, v[1:2]
.LBB127_353:
	s_wait_alu 0xfffe
	s_or_b32 exec_lo, exec_lo, s0
	s_wait_storecnt_dscnt 0x0
	s_barrier_signal -1
	s_barrier_wait -1
	global_inv scope:SCOPE_SE
	s_clause 0x4
	scratch_load_b128 v[5:8], off, off offset:184
	scratch_load_b128 v[1:4], off, off offset:200
	;; [unrolled: 1-line block ×5, first 2 shown]
	v_mov_b32_e32 v21, 0
	ds_load_2addr_b64 v[22:25], v21 offset0:87 offset1:88
	ds_load_2addr_b64 v[26:29], v21 offset0:89 offset1:90
	;; [unrolled: 1-line block ×3, first 2 shown]
	scratch_load_b64 v[30:31], off, off offset:176
	s_mov_b32 s0, exec_lo
	s_wait_loadcnt_dscnt 0x502
	v_mul_f32_e32 v32, v23, v6
	v_dual_mul_f32 v161, v22, v6 :: v_dual_mul_f32 v162, v24, v8
	v_mul_f32_e32 v6, v25, v8
	s_wait_loadcnt_dscnt 0x300
	v_mul_f32_e32 v168, v166, v12
	v_fma_f32 v22, v22, v5, -v32
	v_dual_fmac_f32 v161, v23, v5 :: v_dual_fmac_f32 v162, v25, v7
	v_mul_f32_e32 v25, v28, v4
	v_fma_f32 v23, v24, v7, -v6
	ds_load_2addr_b64 v[5:8], v21 offset0:93 offset1:94
	v_mul_f32_e32 v24, v26, v2
	v_mul_f32_e32 v4, v29, v4
	;; [unrolled: 1-line block ×5, first 2 shown]
	v_dual_mul_f32 v2, v27, v2 :: v_dual_fmac_f32 v25, v29, v3
	v_fmac_f32_e32 v24, v27, v1
	v_fma_f32 v27, v28, v3, -v4
	v_fmac_f32_e32 v32, v165, v9
	v_fma_f32 v28, v164, v9, -v10
	;; [unrolled: 2-line block ×3, first 2 shown]
	ds_load_2addr_b64 v[9:12], v21 offset0:95 offset1:96
	s_wait_loadcnt_dscnt 0x201
	v_dual_mul_f32 v165, v7, v16 :: v_dual_mul_f32 v164, v5, v14
	v_mul_f32_e32 v14, v6, v14
	v_mul_f32_e32 v16, v8, v16
	s_delay_alu instid0(VALU_DEP_3)
	v_fmac_f32_e32 v165, v8, v15
	v_fma_f32 v26, v26, v1, -v2
	scratch_load_b128 v[1:4], off, off offset:264
	v_fmac_f32_e32 v164, v6, v13
	v_fma_f32 v13, v5, v13, -v14
	v_fma_f32 v14, v7, v15, -v16
	ds_load_2addr_b64 v[5:8], v21 offset0:97 offset1:98
	s_wait_loadcnt_dscnt 0x201
	v_mul_f32_e32 v15, v9, v18
	v_mul_f32_e32 v16, v10, v18
	;; [unrolled: 1-line block ×3, first 2 shown]
	s_delay_alu instid0(VALU_DEP_3) | instskip(NEXT) | instid1(VALU_DEP_3)
	v_dual_mul_f32 v20, v12, v20 :: v_dual_fmac_f32 v15, v10, v17
	v_fma_f32 v16, v9, v17, -v16
	s_delay_alu instid0(VALU_DEP_3) | instskip(NEXT) | instid1(VALU_DEP_3)
	v_fmac_f32_e32 v18, v12, v19
	v_fma_f32 v17, v11, v19, -v20
	scratch_load_b128 v[9:12], off, off offset:280
	s_wait_loadcnt_dscnt 0x100
	v_mul_f32_e32 v19, v5, v2
	v_mul_f32_e32 v2, v6, v2
	;; [unrolled: 1-line block ×3, first 2 shown]
	s_delay_alu instid0(VALU_DEP_3) | instskip(NEXT) | instid1(VALU_DEP_3)
	v_dual_mul_f32 v4, v8, v4 :: v_dual_fmac_f32 v19, v6, v1
	v_fma_f32 v166, v5, v1, -v2
	s_delay_alu instid0(VALU_DEP_3) | instskip(NEXT) | instid1(VALU_DEP_3)
	v_fmac_f32_e32 v20, v8, v3
	v_fma_f32 v167, v7, v3, -v4
	ds_load_2addr_b64 v[1:4], v21 offset0:99 offset1:100
	ds_load_2addr_b64 v[5:8], v21 offset0:101 offset1:102
	s_wait_loadcnt_dscnt 0x1
	v_mul_f32_e32 v169, v1, v10
	v_mul_f32_e32 v10, v2, v10
	s_delay_alu instid0(VALU_DEP_2) | instskip(NEXT) | instid1(VALU_DEP_2)
	v_dual_mul_f32 v170, v3, v12 :: v_dual_fmac_f32 v169, v2, v9
	v_fma_f32 v171, v1, v9, -v10
	v_mul_f32_e32 v1, v4, v12
	s_delay_alu instid0(VALU_DEP_3) | instskip(NEXT) | instid1(VALU_DEP_2)
	v_fmac_f32_e32 v170, v4, v11
	v_fma_f32 v172, v3, v11, -v1
	s_clause 0x1
	scratch_load_b128 v[1:4], off, off offset:296
	scratch_load_b128 v[9:12], off, off offset:312
	s_wait_loadcnt_dscnt 0x100
	v_mul_f32_e32 v173, v5, v2
	v_dual_mul_f32 v2, v6, v2 :: v_dual_mul_f32 v175, v7, v4
	s_delay_alu instid0(VALU_DEP_2) | instskip(NEXT) | instid1(VALU_DEP_2)
	v_fmac_f32_e32 v173, v6, v1
	v_fma_f32 v174, v5, v1, -v2
	v_mul_f32_e32 v1, v8, v4
	s_delay_alu instid0(VALU_DEP_4) | instskip(NEXT) | instid1(VALU_DEP_2)
	v_fmac_f32_e32 v175, v8, v3
	v_fma_f32 v176, v7, v3, -v1
	ds_load_2addr_b64 v[1:4], v21 offset0:103 offset1:104
	ds_load_2addr_b64 v[5:8], v21 offset0:105 offset1:106
	s_wait_loadcnt_dscnt 0x1
	v_mul_f32_e32 v177, v1, v10
	v_mul_f32_e32 v179, v3, v12
	s_delay_alu instid0(VALU_DEP_2) | instskip(NEXT) | instid1(VALU_DEP_2)
	v_fmac_f32_e32 v177, v2, v9
	v_dual_mul_f32 v2, v2, v10 :: v_dual_fmac_f32 v179, v4, v11
	s_delay_alu instid0(VALU_DEP_1) | instskip(SKIP_1) | instid1(VALU_DEP_1)
	v_fma_f32 v178, v1, v9, -v2
	v_mul_f32_e32 v1, v4, v12
	v_fma_f32 v180, v3, v11, -v1
	s_clause 0x1
	scratch_load_b128 v[1:4], off, off offset:328
	scratch_load_b128 v[9:12], off, off offset:344
	s_wait_loadcnt_dscnt 0x100
	v_mul_f32_e32 v181, v5, v2
	v_dual_mul_f32 v2, v6, v2 :: v_dual_mul_f32 v183, v7, v4
	s_delay_alu instid0(VALU_DEP_2) | instskip(NEXT) | instid1(VALU_DEP_2)
	v_fmac_f32_e32 v181, v6, v1
	v_fma_f32 v182, v5, v1, -v2
	v_mul_f32_e32 v1, v8, v4
	s_delay_alu instid0(VALU_DEP_4) | instskip(NEXT) | instid1(VALU_DEP_2)
	v_fmac_f32_e32 v183, v8, v3
	v_fma_f32 v184, v7, v3, -v1
	ds_load_2addr_b64 v[1:4], v21 offset0:107 offset1:108
	ds_load_2addr_b64 v[5:8], v21 offset0:109 offset1:110
	s_wait_loadcnt_dscnt 0x1
	v_mul_f32_e32 v185, v1, v10
	v_mul_f32_e32 v187, v3, v12
	s_delay_alu instid0(VALU_DEP_2) | instskip(NEXT) | instid1(VALU_DEP_2)
	v_fmac_f32_e32 v185, v2, v9
	v_dual_mul_f32 v2, v2, v10 :: v_dual_fmac_f32 v187, v4, v11
	s_delay_alu instid0(VALU_DEP_1) | instskip(SKIP_1) | instid1(VALU_DEP_1)
	v_fma_f32 v186, v1, v9, -v2
	v_mul_f32_e32 v1, v4, v12
	;; [unrolled: 25-line block ×4, first 2 shown]
	v_fma_f32 v204, v3, v11, -v1
	s_clause 0x1
	scratch_load_b128 v[1:4], off, off offset:424
	scratch_load_b128 v[9:12], off, off offset:440
	s_wait_loadcnt_dscnt 0x100
	v_mul_f32_e32 v205, v5, v2
	v_mul_f32_e32 v2, v6, v2
	s_delay_alu instid0(VALU_DEP_1) | instskip(SKIP_1) | instid1(VALU_DEP_1)
	v_fma_f32 v206, v5, v1, -v2
	v_add_f32_e32 v2, 0, v161
	v_add_f32_e32 v2, v2, v162
	s_delay_alu instid0(VALU_DEP_1) | instskip(NEXT) | instid1(VALU_DEP_1)
	v_add_f32_e32 v2, v2, v24
	v_add_f32_e32 v2, v2, v25
	s_delay_alu instid0(VALU_DEP_1) | instskip(NEXT) | instid1(VALU_DEP_1)
	;; [unrolled: 3-line block ×5, first 2 shown]
	v_add_f32_e32 v2, v2, v19
	v_add_f32_e32 v2, v2, v20
	v_mul_f32_e32 v207, v7, v4
	v_fmac_f32_e32 v205, v6, v1
	s_delay_alu instid0(VALU_DEP_2) | instskip(NEXT) | instid1(VALU_DEP_1)
	v_dual_add_f32 v2, v2, v169 :: v_dual_fmac_f32 v207, v8, v3
	v_dual_add_f32 v2, v2, v170 :: v_dual_mul_f32 v1, v8, v4
	s_delay_alu instid0(VALU_DEP_1) | instskip(NEXT) | instid1(VALU_DEP_2)
	v_add_f32_e32 v2, v2, v173
	v_fma_f32 v208, v7, v3, -v1
	s_delay_alu instid0(VALU_DEP_2) | instskip(NEXT) | instid1(VALU_DEP_1)
	v_dual_add_f32 v1, 0, v22 :: v_dual_add_f32 v2, v2, v175
	v_add_f32_e32 v1, v1, v23
	s_delay_alu instid0(VALU_DEP_2) | instskip(NEXT) | instid1(VALU_DEP_2)
	v_add_f32_e32 v5, v2, v177
	v_add_f32_e32 v1, v1, v26
	s_delay_alu instid0(VALU_DEP_2) | instskip(NEXT) | instid1(VALU_DEP_2)
	v_add_f32_e32 v5, v5, v179
	v_add_f32_e32 v1, v1, v27
	scratch_load_b64 v[26:27], off, off offset:504
	v_add_f32_e32 v5, v5, v181
	v_add_f32_e32 v1, v1, v28
	s_delay_alu instid0(VALU_DEP_1) | instskip(NEXT) | instid1(VALU_DEP_1)
	v_add_f32_e32 v1, v1, v29
	v_add_f32_e32 v1, v1, v13
	s_delay_alu instid0(VALU_DEP_1) | instskip(SKIP_1) | instid1(VALU_DEP_2)
	v_add_f32_e32 v1, v1, v14
	v_add_f32_e32 v14, v5, v183
	;; [unrolled: 1-line block ×3, first 2 shown]
	s_delay_alu instid0(VALU_DEP_1) | instskip(NEXT) | instid1(VALU_DEP_1)
	v_add_f32_e32 v1, v1, v17
	v_add_f32_e32 v1, v1, v166
	s_delay_alu instid0(VALU_DEP_1) | instskip(NEXT) | instid1(VALU_DEP_1)
	v_add_f32_e32 v1, v1, v167
	v_add_f32_e32 v1, v1, v171
	;; [unrolled: 3-line block ×4, first 2 shown]
	s_delay_alu instid0(VALU_DEP_1) | instskip(SKIP_3) | instid1(VALU_DEP_2)
	v_add_f32_e32 v6, v1, v180
	ds_load_2addr_b64 v[1:4], v21 offset0:119 offset1:120
	v_add_f32_e32 v14, v14, v185
	v_add_f32_e32 v6, v6, v182
	;; [unrolled: 1-line block ×3, first 2 shown]
	s_delay_alu instid0(VALU_DEP_2)
	v_add_f32_e32 v13, v6, v184
	ds_load_2addr_b64 v[5:8], v21 offset0:121 offset1:122
	s_wait_loadcnt_dscnt 0x101
	v_mul_f32_e32 v32, v1, v10
	v_dual_mul_f32 v10, v2, v10 :: v_dual_mul_f32 v161, v3, v12
	v_mul_f32_e32 v12, v4, v12
	s_delay_alu instid0(VALU_DEP_3) | instskip(NEXT) | instid1(VALU_DEP_3)
	v_fmac_f32_e32 v32, v2, v9
	v_fma_f32 v162, v1, v9, -v10
	s_delay_alu instid0(VALU_DEP_4) | instskip(NEXT) | instid1(VALU_DEP_4)
	v_fmac_f32_e32 v161, v4, v11
	v_fma_f32 v164, v3, v11, -v12
	s_clause 0x1
	scratch_load_b128 v[1:4], off, off offset:456
	scratch_load_b128 v[9:12], off, off offset:472
	v_add_f32_e32 v13, v13, v186
	s_wait_loadcnt_dscnt 0x100
	v_mul_f32_e32 v167, v5, v2
	v_mul_f32_e32 v2, v6, v2
	;; [unrolled: 1-line block ×3, first 2 shown]
	s_delay_alu instid0(VALU_DEP_3) | instskip(NEXT) | instid1(VALU_DEP_3)
	v_dual_mul_f32 v4, v8, v4 :: v_dual_fmac_f32 v167, v6, v1
	v_fma_f32 v2, v5, v1, -v2
	v_add_f32_e32 v13, v13, v188
	s_delay_alu instid0(VALU_DEP_4) | instskip(NEXT) | instid1(VALU_DEP_4)
	v_dual_add_f32 v17, v14, v189 :: v_dual_fmac_f32 v168, v8, v3
	v_fma_f32 v1, v7, v3, -v4
	s_delay_alu instid0(VALU_DEP_3) | instskip(NEXT) | instid1(VALU_DEP_3)
	v_add_f32_e32 v13, v13, v190
	v_add_f32_e32 v17, v17, v191
	s_delay_alu instid0(VALU_DEP_2) | instskip(SKIP_2) | instid1(VALU_DEP_1)
	v_add_f32_e32 v18, v13, v192
	scratch_load_b128 v[13:16], off, off offset:488
	v_dual_add_f32 v17, v17, v193 :: v_dual_add_f32 v18, v18, v194
	v_dual_add_f32 v17, v17, v195 :: v_dual_add_f32 v18, v18, v196
	s_delay_alu instid0(VALU_DEP_1) | instskip(NEXT) | instid1(VALU_DEP_1)
	v_dual_add_f32 v17, v17, v197 :: v_dual_add_f32 v18, v18, v198
	v_add_f32_e32 v22, v17, v199
	s_delay_alu instid0(VALU_DEP_2) | instskip(NEXT) | instid1(VALU_DEP_2)
	v_add_f32_e32 v18, v18, v200
	v_add_f32_e32 v29, v22, v201
	ds_load_2addr_b64 v[22:25], v21 offset0:125 offset1:126
	v_add_f32_e32 v28, v18, v202
	ds_load_2addr_b64 v[17:20], v21 offset0:123 offset1:124
	s_wait_loadcnt_dscnt 0x100
	v_mul_f32_e32 v3, v18, v10
	v_mul_f32_e32 v5, v20, v12
	s_delay_alu instid0(VALU_DEP_2) | instskip(NEXT) | instid1(VALU_DEP_2)
	v_fma_f32 v3, v17, v9, -v3
	v_fma_f32 v5, v19, v11, -v5
	s_wait_loadcnt 0x0
	v_mul_f32_e32 v169, v22, v14
	s_delay_alu instid0(VALU_DEP_1) | instskip(SKIP_1) | instid1(VALU_DEP_1)
	v_fmac_f32_e32 v169, v23, v13
	v_add_f32_e32 v165, v28, v204
	v_add_f32_e32 v165, v165, v206
	s_delay_alu instid0(VALU_DEP_1) | instskip(NEXT) | instid1(VALU_DEP_1)
	v_add_f32_e32 v165, v165, v208
	v_add_f32_e32 v162, v165, v162
	s_delay_alu instid0(VALU_DEP_1) | instskip(NEXT) | instid1(VALU_DEP_1)
	v_dual_mul_f32 v165, v17, v10 :: v_dual_add_f32 v162, v162, v164
	v_dual_mul_f32 v164, v24, v16 :: v_dual_fmac_f32 v165, v18, v9
	s_delay_alu instid0(VALU_DEP_2) | instskip(NEXT) | instid1(VALU_DEP_2)
	v_add_f32_e32 v2, v162, v2
	v_fmac_f32_e32 v164, v25, v15
	v_add_f32_e32 v166, v29, v203
	ds_load_b64 v[28:29], v21 offset:1016
	v_add_f32_e32 v1, v2, v1
	s_delay_alu instid0(VALU_DEP_1) | instskip(NEXT) | instid1(VALU_DEP_1)
	v_dual_add_f32 v166, v166, v205 :: v_dual_add_f32 v1, v1, v3
	v_dual_mul_f32 v3, v25, v16 :: v_dual_add_f32 v166, v166, v207
	s_delay_alu instid0(VALU_DEP_2) | instskip(NEXT) | instid1(VALU_DEP_2)
	v_add_f32_e32 v1, v1, v5
	v_fma_f32 v3, v24, v15, -v3
	s_delay_alu instid0(VALU_DEP_3) | instskip(SKIP_1) | instid1(VALU_DEP_2)
	v_add_f32_e32 v32, v166, v32
	v_mul_f32_e32 v166, v19, v12
	v_add_f32_e32 v32, v32, v161
	s_delay_alu instid0(VALU_DEP_2) | instskip(SKIP_3) | instid1(VALU_DEP_2)
	v_fmac_f32_e32 v166, v20, v11
	s_wait_dscnt 0x0
	v_mul_f32_e32 v161, v28, v27
	v_mul_f32_e32 v5, v29, v27
	v_dual_add_f32 v4, v32, v167 :: v_dual_fmac_f32 v161, v29, v26
	s_delay_alu instid0(VALU_DEP_1) | instskip(SKIP_1) | instid1(VALU_DEP_2)
	v_add_f32_e32 v2, v4, v168
	v_mul_f32_e32 v4, v23, v14
	v_add_f32_e32 v2, v2, v165
	s_delay_alu instid0(VALU_DEP_2) | instskip(NEXT) | instid1(VALU_DEP_1)
	v_fma_f32 v4, v22, v13, -v4
	v_dual_add_f32 v2, v2, v166 :: v_dual_add_f32 v1, v1, v4
	v_fma_f32 v4, v28, v26, -v5
	s_delay_alu instid0(VALU_DEP_2) | instskip(NEXT) | instid1(VALU_DEP_1)
	v_dual_add_f32 v2, v2, v169 :: v_dual_add_f32 v1, v1, v3
	v_add_f32_e32 v2, v2, v164
	s_delay_alu instid0(VALU_DEP_1) | instskip(NEXT) | instid1(VALU_DEP_1)
	v_dual_add_f32 v1, v1, v4 :: v_dual_add_f32 v2, v2, v161
	v_dual_sub_f32 v1, v30, v1 :: v_dual_sub_f32 v2, v31, v2
	scratch_store_b64 off, v[1:2], off offset:176
	v_cmpx_lt_u32_e32 21, v0
	s_cbranch_execz .LBB127_355
; %bb.354:
	scratch_load_b64 v[1:2], off, off offset:168
	v_mov_b32_e32 v22, v21
	scratch_store_b64 off, v[21:22], off offset:168
	s_wait_loadcnt 0x0
	ds_store_b64 v163, v[1:2]
.LBB127_355:
	s_wait_alu 0xfffe
	s_or_b32 exec_lo, exec_lo, s0
	s_wait_storecnt_dscnt 0x0
	s_barrier_signal -1
	s_barrier_wait -1
	global_inv scope:SCOPE_SE
	s_clause 0x4
	scratch_load_b128 v[5:8], off, off offset:176
	scratch_load_b128 v[1:4], off, off offset:192
	;; [unrolled: 1-line block ×5, first 2 shown]
	ds_load_b128 v[22:25], v21 offset:688
	ds_load_b128 v[26:29], v21 offset:704
	;; [unrolled: 1-line block ×3, first 2 shown]
	scratch_load_b64 v[30:31], off, off offset:168
	s_mov_b32 s0, exec_lo
	s_wait_loadcnt_dscnt 0x502
	v_mul_f32_e32 v32, v23, v6
	v_dual_mul_f32 v161, v22, v6 :: v_dual_mul_f32 v162, v24, v8
	v_mul_f32_e32 v6, v25, v8
	s_wait_loadcnt_dscnt 0x300
	v_mul_f32_e32 v168, v166, v12
	v_mul_f32_e32 v12, v167, v12
	v_dual_fmac_f32 v161, v23, v5 :: v_dual_fmac_f32 v162, v25, v7
	v_fma_f32 v23, v24, v7, -v6
	v_mul_f32_e32 v25, v28, v4
	v_fma_f32 v22, v22, v5, -v32
	ds_load_b128 v[5:8], v21 offset:736
	v_mul_f32_e32 v24, v26, v2
	v_mul_f32_e32 v4, v29, v4
	v_mul_f32_e32 v32, v164, v10
	v_mul_f32_e32 v10, v165, v10
	v_dual_mul_f32 v2, v27, v2 :: v_dual_fmac_f32 v25, v29, v3
	v_fmac_f32_e32 v24, v27, v1
	v_fma_f32 v27, v28, v3, -v4
	v_fmac_f32_e32 v32, v165, v9
	v_fma_f32 v28, v164, v9, -v10
	;; [unrolled: 2-line block ×3, first 2 shown]
	ds_load_b128 v[9:12], v21 offset:752
	s_wait_loadcnt_dscnt 0x201
	v_dual_mul_f32 v165, v7, v16 :: v_dual_mul_f32 v164, v5, v14
	v_mul_f32_e32 v14, v6, v14
	v_mul_f32_e32 v16, v8, v16
	s_delay_alu instid0(VALU_DEP_3)
	v_fmac_f32_e32 v165, v8, v15
	v_fma_f32 v26, v26, v1, -v2
	scratch_load_b128 v[1:4], off, off offset:256
	v_fmac_f32_e32 v164, v6, v13
	v_fma_f32 v13, v5, v13, -v14
	v_fma_f32 v14, v7, v15, -v16
	ds_load_b128 v[5:8], v21 offset:768
	s_wait_loadcnt_dscnt 0x201
	v_mul_f32_e32 v15, v9, v18
	v_mul_f32_e32 v16, v10, v18
	;; [unrolled: 1-line block ×3, first 2 shown]
	s_delay_alu instid0(VALU_DEP_3) | instskip(NEXT) | instid1(VALU_DEP_3)
	v_dual_mul_f32 v20, v12, v20 :: v_dual_fmac_f32 v15, v10, v17
	v_fma_f32 v16, v9, v17, -v16
	s_delay_alu instid0(VALU_DEP_3) | instskip(NEXT) | instid1(VALU_DEP_3)
	v_fmac_f32_e32 v18, v12, v19
	v_fma_f32 v17, v11, v19, -v20
	scratch_load_b128 v[9:12], off, off offset:272
	s_wait_loadcnt_dscnt 0x100
	v_mul_f32_e32 v19, v5, v2
	v_mul_f32_e32 v2, v6, v2
	;; [unrolled: 1-line block ×3, first 2 shown]
	s_delay_alu instid0(VALU_DEP_3) | instskip(NEXT) | instid1(VALU_DEP_3)
	v_dual_mul_f32 v4, v8, v4 :: v_dual_fmac_f32 v19, v6, v1
	v_fma_f32 v166, v5, v1, -v2
	s_delay_alu instid0(VALU_DEP_3) | instskip(NEXT) | instid1(VALU_DEP_3)
	v_fmac_f32_e32 v20, v8, v3
	v_fma_f32 v167, v7, v3, -v4
	ds_load_b128 v[1:4], v21 offset:784
	ds_load_b128 v[5:8], v21 offset:800
	s_wait_loadcnt_dscnt 0x1
	v_mul_f32_e32 v169, v1, v10
	v_mul_f32_e32 v10, v2, v10
	s_delay_alu instid0(VALU_DEP_2) | instskip(NEXT) | instid1(VALU_DEP_2)
	v_dual_mul_f32 v170, v3, v12 :: v_dual_fmac_f32 v169, v2, v9
	v_fma_f32 v171, v1, v9, -v10
	v_mul_f32_e32 v1, v4, v12
	s_delay_alu instid0(VALU_DEP_3) | instskip(NEXT) | instid1(VALU_DEP_2)
	v_fmac_f32_e32 v170, v4, v11
	v_fma_f32 v172, v3, v11, -v1
	s_clause 0x1
	scratch_load_b128 v[1:4], off, off offset:288
	scratch_load_b128 v[9:12], off, off offset:304
	s_wait_loadcnt_dscnt 0x100
	v_mul_f32_e32 v173, v5, v2
	v_dual_mul_f32 v2, v6, v2 :: v_dual_mul_f32 v175, v7, v4
	s_delay_alu instid0(VALU_DEP_2) | instskip(NEXT) | instid1(VALU_DEP_2)
	v_fmac_f32_e32 v173, v6, v1
	v_fma_f32 v174, v5, v1, -v2
	v_mul_f32_e32 v1, v8, v4
	s_delay_alu instid0(VALU_DEP_4) | instskip(NEXT) | instid1(VALU_DEP_2)
	v_fmac_f32_e32 v175, v8, v3
	v_fma_f32 v176, v7, v3, -v1
	ds_load_b128 v[1:4], v21 offset:816
	ds_load_b128 v[5:8], v21 offset:832
	s_wait_loadcnt_dscnt 0x1
	v_mul_f32_e32 v177, v1, v10
	v_mul_f32_e32 v179, v3, v12
	s_delay_alu instid0(VALU_DEP_2) | instskip(NEXT) | instid1(VALU_DEP_2)
	v_fmac_f32_e32 v177, v2, v9
	v_dual_mul_f32 v2, v2, v10 :: v_dual_fmac_f32 v179, v4, v11
	s_delay_alu instid0(VALU_DEP_1) | instskip(SKIP_1) | instid1(VALU_DEP_1)
	v_fma_f32 v178, v1, v9, -v2
	v_mul_f32_e32 v1, v4, v12
	v_fma_f32 v180, v3, v11, -v1
	s_clause 0x1
	scratch_load_b128 v[1:4], off, off offset:320
	scratch_load_b128 v[9:12], off, off offset:336
	s_wait_loadcnt_dscnt 0x100
	v_mul_f32_e32 v181, v5, v2
	v_dual_mul_f32 v2, v6, v2 :: v_dual_mul_f32 v183, v7, v4
	s_delay_alu instid0(VALU_DEP_2) | instskip(NEXT) | instid1(VALU_DEP_2)
	v_fmac_f32_e32 v181, v6, v1
	v_fma_f32 v182, v5, v1, -v2
	v_mul_f32_e32 v1, v8, v4
	s_delay_alu instid0(VALU_DEP_4) | instskip(NEXT) | instid1(VALU_DEP_2)
	v_fmac_f32_e32 v183, v8, v3
	v_fma_f32 v184, v7, v3, -v1
	ds_load_b128 v[1:4], v21 offset:848
	ds_load_b128 v[5:8], v21 offset:864
	s_wait_loadcnt_dscnt 0x1
	v_mul_f32_e32 v185, v1, v10
	v_mul_f32_e32 v187, v3, v12
	s_delay_alu instid0(VALU_DEP_2) | instskip(NEXT) | instid1(VALU_DEP_2)
	v_fmac_f32_e32 v185, v2, v9
	v_dual_mul_f32 v2, v2, v10 :: v_dual_fmac_f32 v187, v4, v11
	s_delay_alu instid0(VALU_DEP_1) | instskip(SKIP_1) | instid1(VALU_DEP_1)
	v_fma_f32 v186, v1, v9, -v2
	v_mul_f32_e32 v1, v4, v12
	;; [unrolled: 25-line block ×4, first 2 shown]
	v_fma_f32 v204, v3, v11, -v1
	s_clause 0x1
	scratch_load_b128 v[1:4], off, off offset:416
	scratch_load_b128 v[9:12], off, off offset:432
	s_wait_loadcnt_dscnt 0x100
	v_mul_f32_e32 v205, v5, v2
	v_mul_f32_e32 v2, v6, v2
	s_delay_alu instid0(VALU_DEP_1) | instskip(SKIP_1) | instid1(VALU_DEP_1)
	v_fma_f32 v206, v5, v1, -v2
	v_add_f32_e32 v2, 0, v161
	v_add_f32_e32 v2, v2, v162
	s_delay_alu instid0(VALU_DEP_1) | instskip(NEXT) | instid1(VALU_DEP_1)
	v_add_f32_e32 v2, v2, v24
	v_add_f32_e32 v2, v2, v25
	s_delay_alu instid0(VALU_DEP_1) | instskip(NEXT) | instid1(VALU_DEP_1)
	;; [unrolled: 3-line block ×5, first 2 shown]
	v_add_f32_e32 v2, v2, v19
	v_add_f32_e32 v2, v2, v20
	v_mul_f32_e32 v207, v7, v4
	v_fmac_f32_e32 v205, v6, v1
	s_delay_alu instid0(VALU_DEP_2) | instskip(NEXT) | instid1(VALU_DEP_1)
	v_dual_add_f32 v2, v2, v169 :: v_dual_fmac_f32 v207, v8, v3
	v_dual_add_f32 v2, v2, v170 :: v_dual_mul_f32 v1, v8, v4
	s_delay_alu instid0(VALU_DEP_1) | instskip(NEXT) | instid1(VALU_DEP_2)
	v_add_f32_e32 v2, v2, v173
	v_fma_f32 v208, v7, v3, -v1
	s_delay_alu instid0(VALU_DEP_2) | instskip(NEXT) | instid1(VALU_DEP_1)
	v_dual_add_f32 v1, 0, v22 :: v_dual_add_f32 v2, v2, v175
	v_dual_add_f32 v1, v1, v23 :: v_dual_add_f32 v2, v2, v177
	s_delay_alu instid0(VALU_DEP_1) | instskip(NEXT) | instid1(VALU_DEP_2)
	v_add_f32_e32 v1, v1, v26
	v_add_f32_e32 v5, v2, v179
	s_delay_alu instid0(VALU_DEP_2) | instskip(NEXT) | instid1(VALU_DEP_1)
	v_add_f32_e32 v1, v1, v27
	v_add_f32_e32 v1, v1, v28
	s_delay_alu instid0(VALU_DEP_1) | instskip(NEXT) | instid1(VALU_DEP_1)
	v_add_f32_e32 v1, v1, v29
	v_add_f32_e32 v1, v1, v13
	;; [unrolled: 1-line block ×3, first 2 shown]
	s_delay_alu instid0(VALU_DEP_1) | instskip(NEXT) | instid1(VALU_DEP_1)
	v_add_f32_e32 v13, v13, v183
	v_add_f32_e32 v13, v13, v185
	s_delay_alu instid0(VALU_DEP_1) | instskip(SKIP_1) | instid1(VALU_DEP_1)
	v_add_f32_e32 v18, v13, v187
	v_add_f32_e32 v1, v1, v14
	;; [unrolled: 1-line block ×3, first 2 shown]
	s_delay_alu instid0(VALU_DEP_1) | instskip(NEXT) | instid1(VALU_DEP_1)
	v_add_f32_e32 v1, v1, v17
	v_add_f32_e32 v1, v1, v166
	s_delay_alu instid0(VALU_DEP_1) | instskip(NEXT) | instid1(VALU_DEP_1)
	v_add_f32_e32 v1, v1, v167
	v_add_f32_e32 v1, v1, v171
	s_delay_alu instid0(VALU_DEP_1) | instskip(NEXT) | instid1(VALU_DEP_1)
	v_add_f32_e32 v1, v1, v172
	v_add_f32_e32 v1, v1, v174
	s_delay_alu instid0(VALU_DEP_1) | instskip(NEXT) | instid1(VALU_DEP_1)
	v_add_f32_e32 v1, v1, v176
	v_add_f32_e32 v1, v1, v178
	s_delay_alu instid0(VALU_DEP_1) | instskip(NEXT) | instid1(VALU_DEP_1)
	v_add_f32_e32 v1, v1, v180
	v_add_f32_e32 v6, v1, v182
	ds_load_b128 v[1:4], v21 offset:944
	v_add_f32_e32 v18, v18, v189
	v_add_f32_e32 v14, v6, v184
	scratch_load_b128 v[5:8], off, off offset:448
	v_add_f32_e32 v18, v18, v191
	v_add_f32_e32 v14, v14, v186
	s_delay_alu instid0(VALU_DEP_2) | instskip(NEXT) | instid1(VALU_DEP_2)
	v_add_f32_e32 v22, v18, v193
	v_add_f32_e32 v17, v14, v188
	ds_load_b128 v[13:16], v21 offset:960
	s_wait_loadcnt_dscnt 0x101
	v_dual_add_f32 v22, v22, v195 :: v_dual_mul_f32 v25, v1, v10
	v_mul_f32_e32 v10, v2, v10
	v_mul_f32_e32 v26, v3, v12
	;; [unrolled: 1-line block ×3, first 2 shown]
	s_delay_alu instid0(VALU_DEP_4)
	v_add_f32_e32 v22, v22, v197
	v_fmac_f32_e32 v25, v2, v9
	v_fma_f32 v27, v1, v9, -v10
	v_fmac_f32_e32 v26, v4, v11
	v_fma_f32 v28, v3, v11, -v12
	s_clause 0x1
	scratch_load_b128 v[1:4], off, off offset:464
	scratch_load_b128 v[9:12], off, off offset:480
	s_wait_loadcnt_dscnt 0x200
	v_mul_f32_e32 v29, v13, v6
	v_mul_f32_e32 v6, v14, v6
	v_mul_f32_e32 v32, v15, v8
	s_delay_alu instid0(VALU_DEP_3) | instskip(NEXT) | instid1(VALU_DEP_3)
	v_dual_mul_f32 v8, v16, v8 :: v_dual_fmac_f32 v29, v14, v5
	v_fma_f32 v161, v13, v5, -v6
	s_delay_alu instid0(VALU_DEP_3) | instskip(NEXT) | instid1(VALU_DEP_3)
	v_fmac_f32_e32 v32, v16, v7
	v_fma_f32 v162, v15, v7, -v8
	ds_load_b128 v[5:8], v21 offset:976
	v_add_f32_e32 v17, v17, v190
	v_add_f32_e32 v13, v22, v199
	s_delay_alu instid0(VALU_DEP_2) | instskip(NEXT) | instid1(VALU_DEP_1)
	v_add_f32_e32 v17, v17, v192
	v_add_f32_e32 v17, v17, v194
	s_delay_alu instid0(VALU_DEP_1) | instskip(SKIP_2) | instid1(VALU_DEP_1)
	v_add_f32_e32 v23, v17, v196
	scratch_load_b128 v[17:20], off, off offset:496
	v_add_f32_e32 v23, v23, v198
	v_add_f32_e32 v23, v23, v200
	s_delay_alu instid0(VALU_DEP_1)
	v_dual_add_f32 v22, v23, v202 :: v_dual_add_f32 v23, v13, v201
	ds_load_b128 v[13:16], v21 offset:992
	s_wait_loadcnt_dscnt 0x201
	v_mul_f32_e32 v166, v5, v2
	v_mul_f32_e32 v2, v6, v2
	v_dual_add_f32 v164, v22, v204 :: v_dual_add_f32 v165, v23, v203
	ds_load_b128 v[21:24], v21 offset:1008
	v_fmac_f32_e32 v166, v6, v1
	v_fma_f32 v2, v5, v1, -v2
	v_add_f32_e32 v164, v164, v206
	s_delay_alu instid0(VALU_DEP_1) | instskip(NEXT) | instid1(VALU_DEP_1)
	v_add_f32_e32 v164, v164, v208
	v_dual_add_f32 v27, v164, v27 :: v_dual_mul_f32 v164, v7, v4
	v_mul_f32_e32 v4, v8, v4
	s_wait_loadcnt_dscnt 0x101
	v_dual_mul_f32 v6, v14, v10 :: v_dual_mul_f32 v167, v15, v12
	s_delay_alu instid0(VALU_DEP_3) | instskip(NEXT) | instid1(VALU_DEP_3)
	v_dual_add_f32 v27, v27, v28 :: v_dual_fmac_f32 v164, v8, v3
	v_fma_f32 v3, v7, v3, -v4
	v_mul_f32_e32 v4, v16, v12
	s_delay_alu instid0(VALU_DEP_4) | instskip(NEXT) | instid1(VALU_DEP_4)
	v_fmac_f32_e32 v167, v16, v11
	v_add_f32_e32 v27, v27, v161
	s_delay_alu instid0(VALU_DEP_3) | instskip(NEXT) | instid1(VALU_DEP_2)
	v_fma_f32 v4, v15, v11, -v4
	v_add_f32_e32 v1, v27, v162
	s_delay_alu instid0(VALU_DEP_1) | instskip(SKIP_1) | instid1(VALU_DEP_1)
	v_add_f32_e32 v1, v1, v2
	s_wait_loadcnt_dscnt 0x0
	v_dual_add_f32 v1, v1, v3 :: v_dual_mul_f32 v28, v23, v20
	s_delay_alu instid0(VALU_DEP_1) | instskip(SKIP_1) | instid1(VALU_DEP_2)
	v_dual_mul_f32 v3, v22, v18 :: v_dual_fmac_f32 v28, v24, v19
	v_add_f32_e32 v165, v165, v205
	v_fma_f32 v3, v21, v17, -v3
	s_delay_alu instid0(VALU_DEP_2) | instskip(NEXT) | instid1(VALU_DEP_1)
	v_add_f32_e32 v165, v165, v207
	v_add_f32_e32 v25, v165, v25
	v_mul_f32_e32 v165, v13, v10
	s_delay_alu instid0(VALU_DEP_2) | instskip(NEXT) | instid1(VALU_DEP_2)
	v_add_f32_e32 v25, v25, v26
	v_dual_fmac_f32 v165, v14, v9 :: v_dual_mul_f32 v26, v21, v18
	s_delay_alu instid0(VALU_DEP_2) | instskip(NEXT) | instid1(VALU_DEP_1)
	v_add_f32_e32 v25, v25, v29
	v_dual_fmac_f32 v26, v22, v17 :: v_dual_add_f32 v5, v25, v32
	s_delay_alu instid0(VALU_DEP_1) | instskip(SKIP_1) | instid1(VALU_DEP_1)
	v_add_f32_e32 v2, v5, v166
	v_fma_f32 v5, v13, v9, -v6
	v_dual_add_f32 v2, v2, v164 :: v_dual_add_f32 v1, v1, v5
	s_delay_alu instid0(VALU_DEP_1) | instskip(NEXT) | instid1(VALU_DEP_2)
	v_dual_mul_f32 v5, v24, v20 :: v_dual_add_f32 v2, v2, v165
	v_add_f32_e32 v1, v1, v4
	s_delay_alu instid0(VALU_DEP_2) | instskip(NEXT) | instid1(VALU_DEP_3)
	v_fma_f32 v4, v23, v19, -v5
	v_add_f32_e32 v2, v2, v167
	s_delay_alu instid0(VALU_DEP_1) | instskip(NEXT) | instid1(VALU_DEP_1)
	v_dual_add_f32 v1, v1, v3 :: v_dual_add_f32 v2, v2, v26
	v_add_f32_e32 v1, v1, v4
	s_delay_alu instid0(VALU_DEP_2) | instskip(NEXT) | instid1(VALU_DEP_1)
	v_add_f32_e32 v2, v2, v28
	v_dual_sub_f32 v1, v30, v1 :: v_dual_sub_f32 v2, v31, v2
	scratch_store_b64 off, v[1:2], off offset:168
	v_cmpx_lt_u32_e32 20, v0
	s_cbranch_execz .LBB127_357
; %bb.356:
	scratch_load_b64 v[1:2], off, off offset:160
	v_mov_b32_e32 v3, 0
	s_delay_alu instid0(VALU_DEP_1)
	v_mov_b32_e32 v4, v3
	scratch_store_b64 off, v[3:4], off offset:160
	s_wait_loadcnt 0x0
	ds_store_b64 v163, v[1:2]
.LBB127_357:
	s_wait_alu 0xfffe
	s_or_b32 exec_lo, exec_lo, s0
	s_wait_storecnt_dscnt 0x0
	s_barrier_signal -1
	s_barrier_wait -1
	global_inv scope:SCOPE_SE
	s_clause 0x4
	scratch_load_b128 v[5:8], off, off offset:168
	scratch_load_b128 v[1:4], off, off offset:184
	;; [unrolled: 1-line block ×5, first 2 shown]
	v_mov_b32_e32 v21, 0
	ds_load_2addr_b64 v[22:25], v21 offset0:85 offset1:86
	ds_load_2addr_b64 v[26:29], v21 offset0:87 offset1:88
	;; [unrolled: 1-line block ×3, first 2 shown]
	scratch_load_b64 v[30:31], off, off offset:160
	s_mov_b32 s0, exec_lo
	s_wait_loadcnt_dscnt 0x502
	v_mul_f32_e32 v32, v23, v6
	v_dual_mul_f32 v161, v22, v6 :: v_dual_mul_f32 v162, v24, v8
	v_mul_f32_e32 v6, v25, v8
	s_wait_loadcnt_dscnt 0x300
	v_mul_f32_e32 v168, v166, v12
	v_fma_f32 v22, v22, v5, -v32
	v_dual_fmac_f32 v161, v23, v5 :: v_dual_fmac_f32 v162, v25, v7
	v_mul_f32_e32 v25, v28, v4
	v_fma_f32 v23, v24, v7, -v6
	ds_load_2addr_b64 v[5:8], v21 offset0:91 offset1:92
	v_mul_f32_e32 v24, v26, v2
	v_mul_f32_e32 v4, v29, v4
	;; [unrolled: 1-line block ×5, first 2 shown]
	v_dual_mul_f32 v2, v27, v2 :: v_dual_fmac_f32 v25, v29, v3
	v_fmac_f32_e32 v24, v27, v1
	v_fma_f32 v27, v28, v3, -v4
	v_fmac_f32_e32 v32, v165, v9
	v_fma_f32 v28, v164, v9, -v10
	;; [unrolled: 2-line block ×3, first 2 shown]
	ds_load_2addr_b64 v[9:12], v21 offset0:93 offset1:94
	s_wait_loadcnt_dscnt 0x201
	v_dual_mul_f32 v165, v7, v16 :: v_dual_mul_f32 v164, v5, v14
	v_mul_f32_e32 v14, v6, v14
	v_mul_f32_e32 v16, v8, v16
	s_delay_alu instid0(VALU_DEP_3)
	v_fmac_f32_e32 v165, v8, v15
	v_fma_f32 v26, v26, v1, -v2
	scratch_load_b128 v[1:4], off, off offset:248
	v_fmac_f32_e32 v164, v6, v13
	v_fma_f32 v13, v5, v13, -v14
	v_fma_f32 v14, v7, v15, -v16
	ds_load_2addr_b64 v[5:8], v21 offset0:95 offset1:96
	s_wait_loadcnt_dscnt 0x201
	v_mul_f32_e32 v15, v9, v18
	v_mul_f32_e32 v16, v10, v18
	;; [unrolled: 1-line block ×3, first 2 shown]
	s_delay_alu instid0(VALU_DEP_3) | instskip(NEXT) | instid1(VALU_DEP_3)
	v_dual_mul_f32 v20, v12, v20 :: v_dual_fmac_f32 v15, v10, v17
	v_fma_f32 v16, v9, v17, -v16
	s_delay_alu instid0(VALU_DEP_3) | instskip(NEXT) | instid1(VALU_DEP_3)
	v_fmac_f32_e32 v18, v12, v19
	v_fma_f32 v17, v11, v19, -v20
	scratch_load_b128 v[9:12], off, off offset:264
	s_wait_loadcnt_dscnt 0x100
	v_mul_f32_e32 v19, v5, v2
	v_mul_f32_e32 v2, v6, v2
	v_mul_f32_e32 v20, v7, v4
	s_delay_alu instid0(VALU_DEP_3) | instskip(NEXT) | instid1(VALU_DEP_3)
	v_dual_mul_f32 v4, v8, v4 :: v_dual_fmac_f32 v19, v6, v1
	v_fma_f32 v166, v5, v1, -v2
	s_delay_alu instid0(VALU_DEP_3) | instskip(NEXT) | instid1(VALU_DEP_3)
	v_fmac_f32_e32 v20, v8, v3
	v_fma_f32 v167, v7, v3, -v4
	ds_load_2addr_b64 v[1:4], v21 offset0:97 offset1:98
	ds_load_2addr_b64 v[5:8], v21 offset0:99 offset1:100
	s_wait_loadcnt_dscnt 0x1
	v_mul_f32_e32 v169, v1, v10
	v_mul_f32_e32 v10, v2, v10
	s_delay_alu instid0(VALU_DEP_2) | instskip(NEXT) | instid1(VALU_DEP_2)
	v_dual_mul_f32 v170, v3, v12 :: v_dual_fmac_f32 v169, v2, v9
	v_fma_f32 v171, v1, v9, -v10
	v_mul_f32_e32 v1, v4, v12
	s_delay_alu instid0(VALU_DEP_3) | instskip(NEXT) | instid1(VALU_DEP_2)
	v_fmac_f32_e32 v170, v4, v11
	v_fma_f32 v172, v3, v11, -v1
	s_clause 0x1
	scratch_load_b128 v[1:4], off, off offset:280
	scratch_load_b128 v[9:12], off, off offset:296
	s_wait_loadcnt_dscnt 0x100
	v_mul_f32_e32 v173, v5, v2
	v_dual_mul_f32 v2, v6, v2 :: v_dual_mul_f32 v175, v7, v4
	s_delay_alu instid0(VALU_DEP_2) | instskip(NEXT) | instid1(VALU_DEP_2)
	v_fmac_f32_e32 v173, v6, v1
	v_fma_f32 v174, v5, v1, -v2
	v_mul_f32_e32 v1, v8, v4
	s_delay_alu instid0(VALU_DEP_4) | instskip(NEXT) | instid1(VALU_DEP_2)
	v_fmac_f32_e32 v175, v8, v3
	v_fma_f32 v176, v7, v3, -v1
	ds_load_2addr_b64 v[1:4], v21 offset0:101 offset1:102
	ds_load_2addr_b64 v[5:8], v21 offset0:103 offset1:104
	s_wait_loadcnt_dscnt 0x1
	v_mul_f32_e32 v177, v1, v10
	v_mul_f32_e32 v179, v3, v12
	s_delay_alu instid0(VALU_DEP_2) | instskip(NEXT) | instid1(VALU_DEP_2)
	v_fmac_f32_e32 v177, v2, v9
	v_dual_mul_f32 v2, v2, v10 :: v_dual_fmac_f32 v179, v4, v11
	s_delay_alu instid0(VALU_DEP_1) | instskip(SKIP_1) | instid1(VALU_DEP_1)
	v_fma_f32 v178, v1, v9, -v2
	v_mul_f32_e32 v1, v4, v12
	v_fma_f32 v180, v3, v11, -v1
	s_clause 0x1
	scratch_load_b128 v[1:4], off, off offset:312
	scratch_load_b128 v[9:12], off, off offset:328
	s_wait_loadcnt_dscnt 0x100
	v_mul_f32_e32 v181, v5, v2
	v_dual_mul_f32 v2, v6, v2 :: v_dual_mul_f32 v183, v7, v4
	s_delay_alu instid0(VALU_DEP_2) | instskip(NEXT) | instid1(VALU_DEP_2)
	v_fmac_f32_e32 v181, v6, v1
	v_fma_f32 v182, v5, v1, -v2
	v_mul_f32_e32 v1, v8, v4
	s_delay_alu instid0(VALU_DEP_4) | instskip(NEXT) | instid1(VALU_DEP_2)
	v_fmac_f32_e32 v183, v8, v3
	v_fma_f32 v184, v7, v3, -v1
	ds_load_2addr_b64 v[1:4], v21 offset0:105 offset1:106
	ds_load_2addr_b64 v[5:8], v21 offset0:107 offset1:108
	s_wait_loadcnt_dscnt 0x1
	v_mul_f32_e32 v185, v1, v10
	v_mul_f32_e32 v187, v3, v12
	s_delay_alu instid0(VALU_DEP_2) | instskip(NEXT) | instid1(VALU_DEP_2)
	v_fmac_f32_e32 v185, v2, v9
	v_dual_mul_f32 v2, v2, v10 :: v_dual_fmac_f32 v187, v4, v11
	s_delay_alu instid0(VALU_DEP_1) | instskip(SKIP_1) | instid1(VALU_DEP_1)
	v_fma_f32 v186, v1, v9, -v2
	v_mul_f32_e32 v1, v4, v12
	v_fma_f32 v188, v3, v11, -v1
	s_clause 0x1
	scratch_load_b128 v[1:4], off, off offset:344
	scratch_load_b128 v[9:12], off, off offset:360
	s_wait_loadcnt_dscnt 0x100
	v_mul_f32_e32 v189, v5, v2
	v_dual_mul_f32 v2, v6, v2 :: v_dual_mul_f32 v191, v7, v4
	s_delay_alu instid0(VALU_DEP_2) | instskip(NEXT) | instid1(VALU_DEP_2)
	v_fmac_f32_e32 v189, v6, v1
	v_fma_f32 v190, v5, v1, -v2
	v_mul_f32_e32 v1, v8, v4
	s_delay_alu instid0(VALU_DEP_4) | instskip(NEXT) | instid1(VALU_DEP_2)
	v_fmac_f32_e32 v191, v8, v3
	v_fma_f32 v192, v7, v3, -v1
	ds_load_2addr_b64 v[1:4], v21 offset0:109 offset1:110
	ds_load_2addr_b64 v[5:8], v21 offset0:111 offset1:112
	s_wait_loadcnt_dscnt 0x1
	v_mul_f32_e32 v193, v1, v10
	v_mul_f32_e32 v195, v3, v12
	s_delay_alu instid0(VALU_DEP_2) | instskip(NEXT) | instid1(VALU_DEP_2)
	v_fmac_f32_e32 v193, v2, v9
	v_dual_mul_f32 v2, v2, v10 :: v_dual_fmac_f32 v195, v4, v11
	s_delay_alu instid0(VALU_DEP_1) | instskip(SKIP_1) | instid1(VALU_DEP_1)
	v_fma_f32 v194, v1, v9, -v2
	v_mul_f32_e32 v1, v4, v12
	v_fma_f32 v196, v3, v11, -v1
	s_clause 0x1
	scratch_load_b128 v[1:4], off, off offset:376
	scratch_load_b128 v[9:12], off, off offset:392
	s_wait_loadcnt_dscnt 0x100
	v_mul_f32_e32 v197, v5, v2
	v_dual_mul_f32 v2, v6, v2 :: v_dual_mul_f32 v199, v7, v4
	s_delay_alu instid0(VALU_DEP_2) | instskip(NEXT) | instid1(VALU_DEP_2)
	v_fmac_f32_e32 v197, v6, v1
	v_fma_f32 v198, v5, v1, -v2
	v_mul_f32_e32 v1, v8, v4
	s_delay_alu instid0(VALU_DEP_4) | instskip(NEXT) | instid1(VALU_DEP_2)
	v_fmac_f32_e32 v199, v8, v3
	v_fma_f32 v200, v7, v3, -v1
	ds_load_2addr_b64 v[1:4], v21 offset0:113 offset1:114
	ds_load_2addr_b64 v[5:8], v21 offset0:115 offset1:116
	s_wait_loadcnt_dscnt 0x1
	v_mul_f32_e32 v201, v1, v10
	v_mul_f32_e32 v203, v3, v12
	s_delay_alu instid0(VALU_DEP_2) | instskip(NEXT) | instid1(VALU_DEP_2)
	v_fmac_f32_e32 v201, v2, v9
	v_dual_mul_f32 v2, v2, v10 :: v_dual_fmac_f32 v203, v4, v11
	s_delay_alu instid0(VALU_DEP_1) | instskip(SKIP_1) | instid1(VALU_DEP_1)
	v_fma_f32 v202, v1, v9, -v2
	v_mul_f32_e32 v1, v4, v12
	v_fma_f32 v204, v3, v11, -v1
	s_clause 0x1
	scratch_load_b128 v[1:4], off, off offset:408
	scratch_load_b128 v[9:12], off, off offset:424
	s_wait_loadcnt_dscnt 0x100
	v_mul_f32_e32 v205, v5, v2
	v_mul_f32_e32 v2, v6, v2
	s_delay_alu instid0(VALU_DEP_1) | instskip(SKIP_1) | instid1(VALU_DEP_1)
	v_fma_f32 v206, v5, v1, -v2
	v_add_f32_e32 v2, 0, v161
	v_add_f32_e32 v2, v2, v162
	s_delay_alu instid0(VALU_DEP_1) | instskip(NEXT) | instid1(VALU_DEP_1)
	v_add_f32_e32 v2, v2, v24
	v_add_f32_e32 v2, v2, v25
	s_delay_alu instid0(VALU_DEP_1) | instskip(NEXT) | instid1(VALU_DEP_1)
	;; [unrolled: 3-line block ×5, first 2 shown]
	v_add_f32_e32 v2, v2, v19
	v_add_f32_e32 v2, v2, v20
	v_mul_f32_e32 v207, v7, v4
	v_fmac_f32_e32 v205, v6, v1
	s_delay_alu instid0(VALU_DEP_2) | instskip(NEXT) | instid1(VALU_DEP_1)
	v_dual_add_f32 v2, v2, v169 :: v_dual_fmac_f32 v207, v8, v3
	v_dual_add_f32 v2, v2, v170 :: v_dual_mul_f32 v1, v8, v4
	s_delay_alu instid0(VALU_DEP_1) | instskip(NEXT) | instid1(VALU_DEP_2)
	v_add_f32_e32 v2, v2, v173
	v_fma_f32 v208, v7, v3, -v1
	s_delay_alu instid0(VALU_DEP_2) | instskip(NEXT) | instid1(VALU_DEP_1)
	v_dual_add_f32 v1, 0, v22 :: v_dual_add_f32 v2, v2, v175
	v_dual_add_f32 v1, v1, v23 :: v_dual_add_f32 v2, v2, v177
	s_delay_alu instid0(VALU_DEP_1) | instskip(NEXT) | instid1(VALU_DEP_2)
	v_add_f32_e32 v1, v1, v26
	v_add_f32_e32 v5, v2, v179
	s_delay_alu instid0(VALU_DEP_2) | instskip(SKIP_2) | instid1(VALU_DEP_1)
	v_add_f32_e32 v1, v1, v27
	scratch_load_b64 v[26:27], off, off offset:504
	v_add_f32_e32 v1, v1, v28
	v_add_f32_e32 v1, v1, v29
	s_delay_alu instid0(VALU_DEP_1) | instskip(SKIP_1) | instid1(VALU_DEP_2)
	v_add_f32_e32 v1, v1, v13
	v_add_f32_e32 v13, v5, v181
	;; [unrolled: 1-line block ×3, first 2 shown]
	s_delay_alu instid0(VALU_DEP_2) | instskip(NEXT) | instid1(VALU_DEP_2)
	v_add_f32_e32 v13, v13, v183
	v_add_f32_e32 v1, v1, v16
	s_delay_alu instid0(VALU_DEP_1) | instskip(NEXT) | instid1(VALU_DEP_1)
	v_add_f32_e32 v1, v1, v17
	v_add_f32_e32 v1, v1, v166
	s_delay_alu instid0(VALU_DEP_1) | instskip(NEXT) | instid1(VALU_DEP_1)
	;; [unrolled: 3-line block ×5, first 2 shown]
	v_add_f32_e32 v1, v1, v180
	v_add_f32_e32 v6, v1, v182
	scratch_load_b128 v[1:4], off, off offset:440
	v_dual_add_f32 v13, v13, v185 :: v_dual_add_f32 v14, v6, v184
	ds_load_2addr_b64 v[5:8], v21 offset0:117 offset1:118
	v_add_f32_e32 v18, v13, v187
	v_add_f32_e32 v14, v14, v186
	s_delay_alu instid0(VALU_DEP_2) | instskip(NEXT) | instid1(VALU_DEP_2)
	v_add_f32_e32 v18, v18, v189
	v_add_f32_e32 v17, v14, v188
	ds_load_2addr_b64 v[13:16], v21 offset0:119 offset1:120
	v_add_f32_e32 v18, v18, v191
	s_wait_loadcnt_dscnt 0x201
	v_mul_f32_e32 v32, v5, v10
	s_delay_alu instid0(VALU_DEP_2) | instskip(SKIP_2) | instid1(VALU_DEP_4)
	v_add_f32_e32 v22, v18, v193
	v_dual_mul_f32 v10, v6, v10 :: v_dual_mul_f32 v161, v7, v12
	v_mul_f32_e32 v12, v8, v12
	v_fmac_f32_e32 v32, v6, v9
	s_delay_alu instid0(VALU_DEP_4) | instskip(NEXT) | instid1(VALU_DEP_4)
	v_add_f32_e32 v22, v22, v195
	v_fma_f32 v162, v5, v9, -v10
	v_fmac_f32_e32 v161, v8, v11
	v_fma_f32 v164, v7, v11, -v12
	scratch_load_b128 v[5:8], off, off offset:456
	v_add_f32_e32 v22, v22, v197
	scratch_load_b128 v[9:12], off, off offset:472
	s_wait_loadcnt_dscnt 0x200
	v_dual_add_f32 v22, v22, v199 :: v_dual_mul_f32 v165, v13, v2
	v_mul_f32_e32 v2, v14, v2
	v_mul_f32_e32 v166, v15, v4
	s_delay_alu instid0(VALU_DEP_3) | instskip(NEXT) | instid1(VALU_DEP_3)
	v_dual_mul_f32 v4, v16, v4 :: v_dual_fmac_f32 v165, v14, v1
	v_fma_f32 v167, v13, v1, -v2
	v_add_f32_e32 v13, v22, v201
	s_delay_alu instid0(VALU_DEP_3) | instskip(SKIP_4) | instid1(VALU_DEP_2)
	v_fma_f32 v168, v15, v3, -v4
	v_fmac_f32_e32 v166, v16, v3
	ds_load_2addr_b64 v[1:4], v21 offset0:121 offset1:122
	v_add_f32_e32 v22, v13, v203
	v_add_f32_e32 v17, v17, v190
	;; [unrolled: 1-line block ×3, first 2 shown]
	s_delay_alu instid0(VALU_DEP_1) | instskip(NEXT) | instid1(VALU_DEP_1)
	v_add_f32_e32 v170, v29, v207
	v_add_f32_e32 v32, v170, v32
	s_delay_alu instid0(VALU_DEP_1) | instskip(NEXT) | instid1(VALU_DEP_1)
	v_dual_add_f32 v32, v32, v161 :: v_dual_add_f32 v17, v17, v192
	v_dual_add_f32 v32, v32, v165 :: v_dual_add_f32 v17, v17, v194
	s_delay_alu instid0(VALU_DEP_1) | instskip(SKIP_2) | instid1(VALU_DEP_1)
	v_dual_add_f32 v32, v32, v166 :: v_dual_add_f32 v23, v17, v196
	scratch_load_b128 v[17:20], off, off offset:488
	v_add_f32_e32 v23, v23, v198
	v_add_f32_e32 v23, v23, v200
	s_delay_alu instid0(VALU_DEP_1) | instskip(NEXT) | instid1(VALU_DEP_1)
	v_add_f32_e32 v23, v23, v202
	v_add_f32_e32 v14, v23, v204
	ds_load_2addr_b64 v[22:25], v21 offset0:125 offset1:126
	v_add_f32_e32 v28, v14, v206
	ds_load_2addr_b64 v[13:16], v21 offset0:123 offset1:124
	s_wait_loadcnt_dscnt 0x100
	v_mul_f32_e32 v165, v15, v12
	s_delay_alu instid0(VALU_DEP_1) | instskip(SKIP_3) | instid1(VALU_DEP_1)
	v_fmac_f32_e32 v165, v16, v11
	v_add_f32_e32 v169, v28, v208
	ds_load_b64 v[28:29], v21 offset:1016
	v_add_f32_e32 v162, v169, v162
	v_add_f32_e32 v162, v162, v164
	v_mul_f32_e32 v164, v13, v10
	s_delay_alu instid0(VALU_DEP_2) | instskip(NEXT) | instid1(VALU_DEP_2)
	v_add_f32_e32 v162, v162, v167
	v_fmac_f32_e32 v164, v14, v9
	s_delay_alu instid0(VALU_DEP_2) | instskip(SKIP_2) | instid1(VALU_DEP_1)
	v_add_f32_e32 v162, v162, v168
	s_wait_dscnt 0x0
	v_mul_f32_e32 v166, v28, v27
	v_fmac_f32_e32 v166, v29, v26
	s_wait_loadcnt 0x0
	v_dual_mul_f32 v167, v22, v18 :: v_dual_mul_f32 v168, v24, v20
	s_delay_alu instid0(VALU_DEP_1) | instskip(SKIP_2) | instid1(VALU_DEP_4)
	v_fmac_f32_e32 v167, v23, v17
	v_mul_f32_e32 v161, v3, v8
	v_mul_f32_e32 v8, v4, v8
	v_fmac_f32_e32 v168, v25, v19
	s_delay_alu instid0(VALU_DEP_3) | instskip(SKIP_2) | instid1(VALU_DEP_2)
	v_fmac_f32_e32 v161, v4, v7
	v_mul_f32_e32 v169, v1, v6
	v_mul_f32_e32 v6, v2, v6
	v_fmac_f32_e32 v169, v2, v5
	s_delay_alu instid0(VALU_DEP_2) | instskip(SKIP_1) | instid1(VALU_DEP_3)
	v_fma_f32 v1, v1, v5, -v6
	v_fma_f32 v2, v3, v7, -v8
	v_dual_mul_f32 v3, v14, v10 :: v_dual_add_f32 v4, v32, v169
	s_delay_alu instid0(VALU_DEP_3) | instskip(NEXT) | instid1(VALU_DEP_2)
	v_add_f32_e32 v1, v162, v1
	v_fma_f32 v3, v13, v9, -v3
	s_delay_alu instid0(VALU_DEP_2) | instskip(SKIP_1) | instid1(VALU_DEP_2)
	v_dual_add_f32 v1, v1, v2 :: v_dual_add_f32 v2, v4, v161
	v_mul_f32_e32 v4, v23, v18
	v_add_f32_e32 v2, v2, v164
	s_delay_alu instid0(VALU_DEP_2) | instskip(NEXT) | instid1(VALU_DEP_2)
	v_fma_f32 v4, v22, v17, -v4
	v_add_f32_e32 v2, v2, v165
	s_delay_alu instid0(VALU_DEP_1) | instskip(NEXT) | instid1(VALU_DEP_1)
	v_add_f32_e32 v2, v2, v167
	v_add_f32_e32 v2, v2, v168
	v_mul_f32_e32 v5, v16, v12
	v_add_f32_e32 v1, v1, v3
	s_delay_alu instid0(VALU_DEP_3) | instskip(NEXT) | instid1(VALU_DEP_3)
	v_dual_mul_f32 v3, v25, v20 :: v_dual_add_f32 v2, v2, v166
	v_fma_f32 v5, v15, v11, -v5
	s_delay_alu instid0(VALU_DEP_2) | instskip(NEXT) | instid1(VALU_DEP_2)
	v_fma_f32 v3, v24, v19, -v3
	v_dual_sub_f32 v2, v31, v2 :: v_dual_add_f32 v1, v1, v5
	v_mul_f32_e32 v5, v29, v27
	s_delay_alu instid0(VALU_DEP_2) | instskip(NEXT) | instid1(VALU_DEP_2)
	v_add_f32_e32 v1, v1, v4
	v_fma_f32 v4, v28, v26, -v5
	s_delay_alu instid0(VALU_DEP_2) | instskip(NEXT) | instid1(VALU_DEP_1)
	v_add_f32_e32 v1, v1, v3
	v_add_f32_e32 v1, v1, v4
	s_delay_alu instid0(VALU_DEP_1)
	v_sub_f32_e32 v1, v30, v1
	scratch_store_b64 off, v[1:2], off offset:160
	v_cmpx_lt_u32_e32 19, v0
	s_cbranch_execz .LBB127_359
; %bb.358:
	scratch_load_b64 v[1:2], off, off offset:152
	v_mov_b32_e32 v22, v21
	scratch_store_b64 off, v[21:22], off offset:152
	s_wait_loadcnt 0x0
	ds_store_b64 v163, v[1:2]
.LBB127_359:
	s_wait_alu 0xfffe
	s_or_b32 exec_lo, exec_lo, s0
	s_wait_storecnt_dscnt 0x0
	s_barrier_signal -1
	s_barrier_wait -1
	global_inv scope:SCOPE_SE
	s_clause 0x4
	scratch_load_b128 v[5:8], off, off offset:160
	scratch_load_b128 v[1:4], off, off offset:176
	;; [unrolled: 1-line block ×5, first 2 shown]
	ds_load_b128 v[22:25], v21 offset:672
	ds_load_b128 v[26:29], v21 offset:688
	;; [unrolled: 1-line block ×3, first 2 shown]
	scratch_load_b64 v[30:31], off, off offset:152
	s_mov_b32 s0, exec_lo
	s_wait_loadcnt_dscnt 0x502
	v_mul_f32_e32 v32, v23, v6
	v_dual_mul_f32 v161, v22, v6 :: v_dual_mul_f32 v162, v24, v8
	v_mul_f32_e32 v6, v25, v8
	s_wait_loadcnt_dscnt 0x300
	v_mul_f32_e32 v168, v166, v12
	v_mul_f32_e32 v12, v167, v12
	v_dual_fmac_f32 v161, v23, v5 :: v_dual_fmac_f32 v162, v25, v7
	v_fma_f32 v23, v24, v7, -v6
	v_mul_f32_e32 v25, v28, v4
	v_fma_f32 v22, v22, v5, -v32
	ds_load_b128 v[5:8], v21 offset:720
	v_mul_f32_e32 v24, v26, v2
	v_mul_f32_e32 v4, v29, v4
	;; [unrolled: 1-line block ×4, first 2 shown]
	v_dual_mul_f32 v2, v27, v2 :: v_dual_fmac_f32 v25, v29, v3
	v_fmac_f32_e32 v24, v27, v1
	v_fma_f32 v27, v28, v3, -v4
	v_fmac_f32_e32 v32, v165, v9
	v_fma_f32 v28, v164, v9, -v10
	;; [unrolled: 2-line block ×3, first 2 shown]
	ds_load_b128 v[9:12], v21 offset:736
	s_wait_loadcnt_dscnt 0x201
	v_dual_mul_f32 v165, v7, v16 :: v_dual_mul_f32 v164, v5, v14
	v_mul_f32_e32 v14, v6, v14
	v_mul_f32_e32 v16, v8, v16
	s_delay_alu instid0(VALU_DEP_3)
	v_fmac_f32_e32 v165, v8, v15
	v_fma_f32 v26, v26, v1, -v2
	scratch_load_b128 v[1:4], off, off offset:240
	v_fmac_f32_e32 v164, v6, v13
	v_fma_f32 v13, v5, v13, -v14
	v_fma_f32 v14, v7, v15, -v16
	ds_load_b128 v[5:8], v21 offset:752
	s_wait_loadcnt_dscnt 0x201
	v_mul_f32_e32 v15, v9, v18
	v_mul_f32_e32 v16, v10, v18
	;; [unrolled: 1-line block ×3, first 2 shown]
	s_delay_alu instid0(VALU_DEP_3) | instskip(NEXT) | instid1(VALU_DEP_3)
	v_dual_mul_f32 v20, v12, v20 :: v_dual_fmac_f32 v15, v10, v17
	v_fma_f32 v16, v9, v17, -v16
	s_delay_alu instid0(VALU_DEP_3) | instskip(NEXT) | instid1(VALU_DEP_3)
	v_fmac_f32_e32 v18, v12, v19
	v_fma_f32 v17, v11, v19, -v20
	scratch_load_b128 v[9:12], off, off offset:256
	s_wait_loadcnt_dscnt 0x100
	v_mul_f32_e32 v19, v5, v2
	v_mul_f32_e32 v2, v6, v2
	;; [unrolled: 1-line block ×3, first 2 shown]
	s_delay_alu instid0(VALU_DEP_3) | instskip(NEXT) | instid1(VALU_DEP_3)
	v_dual_mul_f32 v4, v8, v4 :: v_dual_fmac_f32 v19, v6, v1
	v_fma_f32 v166, v5, v1, -v2
	s_delay_alu instid0(VALU_DEP_3) | instskip(NEXT) | instid1(VALU_DEP_3)
	v_fmac_f32_e32 v20, v8, v3
	v_fma_f32 v167, v7, v3, -v4
	ds_load_b128 v[1:4], v21 offset:768
	ds_load_b128 v[5:8], v21 offset:784
	s_wait_loadcnt_dscnt 0x1
	v_mul_f32_e32 v169, v1, v10
	v_mul_f32_e32 v10, v2, v10
	s_delay_alu instid0(VALU_DEP_2) | instskip(NEXT) | instid1(VALU_DEP_2)
	v_dual_mul_f32 v170, v3, v12 :: v_dual_fmac_f32 v169, v2, v9
	v_fma_f32 v171, v1, v9, -v10
	v_mul_f32_e32 v1, v4, v12
	s_delay_alu instid0(VALU_DEP_3) | instskip(NEXT) | instid1(VALU_DEP_2)
	v_fmac_f32_e32 v170, v4, v11
	v_fma_f32 v172, v3, v11, -v1
	s_clause 0x1
	scratch_load_b128 v[1:4], off, off offset:272
	scratch_load_b128 v[9:12], off, off offset:288
	s_wait_loadcnt_dscnt 0x100
	v_mul_f32_e32 v173, v5, v2
	v_dual_mul_f32 v2, v6, v2 :: v_dual_mul_f32 v175, v7, v4
	s_delay_alu instid0(VALU_DEP_2) | instskip(NEXT) | instid1(VALU_DEP_2)
	v_fmac_f32_e32 v173, v6, v1
	v_fma_f32 v174, v5, v1, -v2
	v_mul_f32_e32 v1, v8, v4
	s_delay_alu instid0(VALU_DEP_4) | instskip(NEXT) | instid1(VALU_DEP_2)
	v_fmac_f32_e32 v175, v8, v3
	v_fma_f32 v176, v7, v3, -v1
	ds_load_b128 v[1:4], v21 offset:800
	ds_load_b128 v[5:8], v21 offset:816
	s_wait_loadcnt_dscnt 0x1
	v_mul_f32_e32 v177, v1, v10
	v_mul_f32_e32 v179, v3, v12
	s_delay_alu instid0(VALU_DEP_2) | instskip(NEXT) | instid1(VALU_DEP_2)
	v_fmac_f32_e32 v177, v2, v9
	v_dual_mul_f32 v2, v2, v10 :: v_dual_fmac_f32 v179, v4, v11
	s_delay_alu instid0(VALU_DEP_1) | instskip(SKIP_1) | instid1(VALU_DEP_1)
	v_fma_f32 v178, v1, v9, -v2
	v_mul_f32_e32 v1, v4, v12
	v_fma_f32 v180, v3, v11, -v1
	s_clause 0x1
	scratch_load_b128 v[1:4], off, off offset:304
	scratch_load_b128 v[9:12], off, off offset:320
	s_wait_loadcnt_dscnt 0x100
	v_mul_f32_e32 v181, v5, v2
	v_dual_mul_f32 v2, v6, v2 :: v_dual_mul_f32 v183, v7, v4
	s_delay_alu instid0(VALU_DEP_2) | instskip(NEXT) | instid1(VALU_DEP_2)
	v_fmac_f32_e32 v181, v6, v1
	v_fma_f32 v182, v5, v1, -v2
	v_mul_f32_e32 v1, v8, v4
	s_delay_alu instid0(VALU_DEP_4) | instskip(NEXT) | instid1(VALU_DEP_2)
	v_fmac_f32_e32 v183, v8, v3
	v_fma_f32 v184, v7, v3, -v1
	ds_load_b128 v[1:4], v21 offset:832
	ds_load_b128 v[5:8], v21 offset:848
	s_wait_loadcnt_dscnt 0x1
	v_mul_f32_e32 v185, v1, v10
	v_mul_f32_e32 v187, v3, v12
	s_delay_alu instid0(VALU_DEP_2) | instskip(NEXT) | instid1(VALU_DEP_2)
	v_fmac_f32_e32 v185, v2, v9
	v_dual_mul_f32 v2, v2, v10 :: v_dual_fmac_f32 v187, v4, v11
	s_delay_alu instid0(VALU_DEP_1) | instskip(SKIP_1) | instid1(VALU_DEP_1)
	v_fma_f32 v186, v1, v9, -v2
	v_mul_f32_e32 v1, v4, v12
	;; [unrolled: 25-line block ×5, first 2 shown]
	v_fma_f32 v212, v3, v11, -v1
	s_clause 0x1
	scratch_load_b128 v[1:4], off, off offset:432
	scratch_load_b128 v[9:12], off, off offset:448
	s_wait_loadcnt_dscnt 0x100
	v_mul_f32_e32 v213, v5, v2
	v_mul_f32_e32 v2, v6, v2
	s_delay_alu instid0(VALU_DEP_1) | instskip(SKIP_1) | instid1(VALU_DEP_1)
	v_fma_f32 v214, v5, v1, -v2
	v_add_f32_e32 v2, 0, v161
	v_add_f32_e32 v2, v2, v162
	s_delay_alu instid0(VALU_DEP_1) | instskip(NEXT) | instid1(VALU_DEP_1)
	v_add_f32_e32 v2, v2, v24
	v_add_f32_e32 v2, v2, v25
	s_delay_alu instid0(VALU_DEP_1) | instskip(NEXT) | instid1(VALU_DEP_1)
	;; [unrolled: 3-line block ×8, first 2 shown]
	v_add_f32_e32 v2, v2, v177
	v_add_f32_e32 v2, v2, v179
	v_fmac_f32_e32 v213, v6, v1
	s_delay_alu instid0(VALU_DEP_2) | instskip(NEXT) | instid1(VALU_DEP_1)
	v_dual_mul_f32 v215, v7, v4 :: v_dual_add_f32 v2, v2, v181
	v_dual_mul_f32 v1, v8, v4 :: v_dual_add_f32 v2, v2, v183
	s_delay_alu instid0(VALU_DEP_1) | instskip(SKIP_1) | instid1(VALU_DEP_3)
	v_fma_f32 v216, v7, v3, -v1
	v_add_f32_e32 v1, 0, v22
	v_add_f32_e32 v5, v2, v185
	s_delay_alu instid0(VALU_DEP_2) | instskip(NEXT) | instid1(VALU_DEP_2)
	v_add_f32_e32 v1, v1, v23
	v_add_f32_e32 v5, v5, v187
	s_delay_alu instid0(VALU_DEP_2) | instskip(NEXT) | instid1(VALU_DEP_1)
	v_add_f32_e32 v1, v1, v26
	v_add_f32_e32 v1, v1, v27
	s_delay_alu instid0(VALU_DEP_1) | instskip(NEXT) | instid1(VALU_DEP_1)
	v_add_f32_e32 v1, v1, v28
	v_add_f32_e32 v1, v1, v29
	s_delay_alu instid0(VALU_DEP_1) | instskip(NEXT) | instid1(VALU_DEP_1)
	;; [unrolled: 3-line block ×9, first 2 shown]
	v_add_f32_e32 v1, v1, v186
	v_dual_add_f32 v6, v1, v188 :: v_dual_fmac_f32 v215, v8, v3
	ds_load_b128 v[1:4], v21 offset:960
	v_dual_add_f32 v5, v5, v189 :: v_dual_add_f32 v6, v6, v190
	s_delay_alu instid0(VALU_DEP_1) | instskip(SKIP_2) | instid1(VALU_DEP_1)
	v_dual_add_f32 v14, v5, v191 :: v_dual_add_f32 v13, v6, v192
	ds_load_b128 v[5:8], v21 offset:976
	v_dual_add_f32 v14, v14, v193 :: v_dual_add_f32 v13, v13, v194
	v_dual_add_f32 v14, v14, v195 :: v_dual_add_f32 v13, v13, v196
	s_wait_loadcnt_dscnt 0x1
	v_dual_mul_f32 v25, v1, v10 :: v_dual_mul_f32 v26, v3, v12
	v_mul_f32_e32 v10, v2, v10
	s_delay_alu instid0(VALU_DEP_3) | instskip(NEXT) | instid1(VALU_DEP_3)
	v_dual_mul_f32 v12, v4, v12 :: v_dual_add_f32 v13, v13, v198
	v_dual_fmac_f32 v25, v2, v9 :: v_dual_fmac_f32 v26, v4, v11
	s_delay_alu instid0(VALU_DEP_3) | instskip(NEXT) | instid1(VALU_DEP_3)
	v_fma_f32 v27, v1, v9, -v10
	v_fma_f32 v28, v3, v11, -v12
	s_clause 0x1
	scratch_load_b128 v[1:4], off, off offset:464
	scratch_load_b128 v[9:12], off, off offset:480
	v_dual_add_f32 v17, v14, v197 :: v_dual_add_f32 v18, v13, v200
	scratch_load_b128 v[13:16], off, off offset:496
	v_dual_add_f32 v17, v17, v199 :: v_dual_add_f32 v18, v18, v202
	s_delay_alu instid0(VALU_DEP_1) | instskip(NEXT) | instid1(VALU_DEP_1)
	v_dual_add_f32 v17, v17, v201 :: v_dual_add_f32 v18, v18, v204
	v_dual_add_f32 v17, v17, v203 :: v_dual_add_f32 v22, v18, v206
	s_delay_alu instid0(VALU_DEP_1) | instskip(SKIP_2) | instid1(VALU_DEP_1)
	v_add_f32_e32 v23, v17, v205
	ds_load_b128 v[17:20], v21 offset:992
	v_add_f32_e32 v32, v23, v207
	v_add_f32_e32 v32, v32, v209
	s_delay_alu instid0(VALU_DEP_1) | instskip(NEXT) | instid1(VALU_DEP_1)
	v_add_f32_e32 v32, v32, v211
	v_add_f32_e32 v32, v32, v213
	s_delay_alu instid0(VALU_DEP_1) | instskip(NEXT) | instid1(VALU_DEP_1)
	v_add_f32_e32 v32, v32, v215
	v_add_f32_e32 v25, v32, v25
	s_wait_loadcnt_dscnt 0x201
	v_mul_f32_e32 v161, v5, v2
	v_mul_f32_e32 v2, v6, v2
	;; [unrolled: 1-line block ×4, first 2 shown]
	s_wait_loadcnt_dscnt 0x100
	v_dual_mul_f32 v164, v17, v10 :: v_dual_fmac_f32 v161, v6, v1
	v_fma_f32 v2, v5, v1, -v2
	v_add_f32_e32 v5, v25, v26
	v_add_f32_e32 v29, v22, v208
	ds_load_b128 v[21:24], v21 offset:1008
	v_mul_f32_e32 v6, v18, v10
	v_fmac_f32_e32 v162, v8, v3
	v_fma_f32 v3, v7, v3, -v4
	v_add_f32_e32 v29, v29, v210
	v_mul_f32_e32 v165, v19, v12
	v_mul_f32_e32 v4, v20, v12
	s_delay_alu instid0(VALU_DEP_3) | instskip(NEXT) | instid1(VALU_DEP_3)
	v_dual_fmac_f32 v164, v18, v9 :: v_dual_add_f32 v29, v29, v212
	v_fmac_f32_e32 v165, v20, v11
	s_delay_alu instid0(VALU_DEP_3) | instskip(NEXT) | instid1(VALU_DEP_3)
	v_fma_f32 v4, v19, v11, -v4
	v_add_f32_e32 v29, v29, v214
	s_delay_alu instid0(VALU_DEP_1) | instskip(SKIP_2) | instid1(VALU_DEP_2)
	v_add_f32_e32 v29, v29, v216
	s_wait_loadcnt_dscnt 0x0
	v_mul_f32_e32 v166, v21, v14
	v_add_f32_e32 v27, v29, v27
	s_delay_alu instid0(VALU_DEP_2) | instskip(NEXT) | instid1(VALU_DEP_2)
	v_dual_mul_f32 v29, v23, v16 :: v_dual_fmac_f32 v166, v22, v13
	v_add_f32_e32 v1, v27, v28
	s_delay_alu instid0(VALU_DEP_2) | instskip(NEXT) | instid1(VALU_DEP_2)
	v_fmac_f32_e32 v29, v24, v15
	v_add_f32_e32 v1, v1, v2
	v_add_f32_e32 v2, v5, v161
	v_fma_f32 v5, v17, v9, -v6
	s_delay_alu instid0(VALU_DEP_2) | instskip(SKIP_1) | instid1(VALU_DEP_2)
	v_dual_add_f32 v1, v1, v3 :: v_dual_add_f32 v2, v2, v162
	v_mul_f32_e32 v3, v22, v14
	v_dual_add_f32 v1, v1, v5 :: v_dual_add_f32 v2, v2, v164
	v_mul_f32_e32 v5, v24, v16
	s_delay_alu instid0(VALU_DEP_3) | instskip(NEXT) | instid1(VALU_DEP_3)
	v_fma_f32 v3, v21, v13, -v3
	v_dual_add_f32 v1, v1, v4 :: v_dual_add_f32 v2, v2, v165
	s_delay_alu instid0(VALU_DEP_3) | instskip(NEXT) | instid1(VALU_DEP_2)
	v_fma_f32 v4, v23, v15, -v5
	v_dual_add_f32 v1, v1, v3 :: v_dual_add_f32 v2, v2, v166
	s_delay_alu instid0(VALU_DEP_1) | instskip(NEXT) | instid1(VALU_DEP_1)
	v_dual_add_f32 v1, v1, v4 :: v_dual_add_f32 v2, v2, v29
	v_dual_sub_f32 v1, v30, v1 :: v_dual_sub_f32 v2, v31, v2
	scratch_store_b64 off, v[1:2], off offset:152
	v_cmpx_lt_u32_e32 18, v0
	s_cbranch_execz .LBB127_361
; %bb.360:
	scratch_load_b64 v[1:2], off, off offset:144
	v_mov_b32_e32 v3, 0
	s_delay_alu instid0(VALU_DEP_1)
	v_mov_b32_e32 v4, v3
	scratch_store_b64 off, v[3:4], off offset:144
	s_wait_loadcnt 0x0
	ds_store_b64 v163, v[1:2]
.LBB127_361:
	s_wait_alu 0xfffe
	s_or_b32 exec_lo, exec_lo, s0
	s_wait_storecnt_dscnt 0x0
	s_barrier_signal -1
	s_barrier_wait -1
	global_inv scope:SCOPE_SE
	s_clause 0x4
	scratch_load_b128 v[5:8], off, off offset:152
	scratch_load_b128 v[1:4], off, off offset:168
	;; [unrolled: 1-line block ×5, first 2 shown]
	v_mov_b32_e32 v21, 0
	ds_load_2addr_b64 v[22:25], v21 offset0:83 offset1:84
	ds_load_2addr_b64 v[26:29], v21 offset0:85 offset1:86
	;; [unrolled: 1-line block ×3, first 2 shown]
	scratch_load_b64 v[30:31], off, off offset:144
	s_mov_b32 s0, exec_lo
	s_wait_loadcnt_dscnt 0x502
	v_mul_f32_e32 v32, v23, v6
	v_dual_mul_f32 v161, v22, v6 :: v_dual_mul_f32 v162, v24, v8
	v_mul_f32_e32 v6, v25, v8
	s_wait_loadcnt_dscnt 0x300
	v_mul_f32_e32 v168, v166, v12
	v_fma_f32 v22, v22, v5, -v32
	v_dual_fmac_f32 v161, v23, v5 :: v_dual_fmac_f32 v162, v25, v7
	v_mul_f32_e32 v25, v28, v4
	v_fma_f32 v23, v24, v7, -v6
	ds_load_2addr_b64 v[5:8], v21 offset0:89 offset1:90
	v_mul_f32_e32 v24, v26, v2
	v_mul_f32_e32 v4, v29, v4
	;; [unrolled: 1-line block ×5, first 2 shown]
	v_dual_mul_f32 v2, v27, v2 :: v_dual_fmac_f32 v25, v29, v3
	v_fmac_f32_e32 v24, v27, v1
	v_fma_f32 v27, v28, v3, -v4
	v_fmac_f32_e32 v32, v165, v9
	v_fma_f32 v28, v164, v9, -v10
	v_fmac_f32_e32 v168, v167, v11
	v_fma_f32 v29, v166, v11, -v12
	ds_load_2addr_b64 v[9:12], v21 offset0:91 offset1:92
	s_wait_loadcnt_dscnt 0x201
	v_dual_mul_f32 v165, v7, v16 :: v_dual_mul_f32 v164, v5, v14
	v_mul_f32_e32 v14, v6, v14
	v_mul_f32_e32 v16, v8, v16
	s_delay_alu instid0(VALU_DEP_3)
	v_fmac_f32_e32 v165, v8, v15
	v_fma_f32 v26, v26, v1, -v2
	scratch_load_b128 v[1:4], off, off offset:232
	v_fmac_f32_e32 v164, v6, v13
	v_fma_f32 v13, v5, v13, -v14
	v_fma_f32 v14, v7, v15, -v16
	ds_load_2addr_b64 v[5:8], v21 offset0:93 offset1:94
	s_wait_loadcnt_dscnt 0x201
	v_mul_f32_e32 v15, v9, v18
	v_mul_f32_e32 v16, v10, v18
	;; [unrolled: 1-line block ×3, first 2 shown]
	s_delay_alu instid0(VALU_DEP_3) | instskip(NEXT) | instid1(VALU_DEP_3)
	v_dual_mul_f32 v20, v12, v20 :: v_dual_fmac_f32 v15, v10, v17
	v_fma_f32 v16, v9, v17, -v16
	s_delay_alu instid0(VALU_DEP_3) | instskip(NEXT) | instid1(VALU_DEP_3)
	v_fmac_f32_e32 v18, v12, v19
	v_fma_f32 v17, v11, v19, -v20
	scratch_load_b128 v[9:12], off, off offset:248
	s_wait_loadcnt_dscnt 0x100
	v_mul_f32_e32 v19, v5, v2
	v_mul_f32_e32 v2, v6, v2
	;; [unrolled: 1-line block ×3, first 2 shown]
	s_delay_alu instid0(VALU_DEP_3) | instskip(NEXT) | instid1(VALU_DEP_3)
	v_dual_mul_f32 v4, v8, v4 :: v_dual_fmac_f32 v19, v6, v1
	v_fma_f32 v166, v5, v1, -v2
	s_delay_alu instid0(VALU_DEP_3) | instskip(NEXT) | instid1(VALU_DEP_3)
	v_fmac_f32_e32 v20, v8, v3
	v_fma_f32 v167, v7, v3, -v4
	ds_load_2addr_b64 v[1:4], v21 offset0:95 offset1:96
	ds_load_2addr_b64 v[5:8], v21 offset0:97 offset1:98
	s_wait_loadcnt_dscnt 0x1
	v_mul_f32_e32 v169, v1, v10
	v_mul_f32_e32 v10, v2, v10
	s_delay_alu instid0(VALU_DEP_2) | instskip(NEXT) | instid1(VALU_DEP_2)
	v_dual_mul_f32 v170, v3, v12 :: v_dual_fmac_f32 v169, v2, v9
	v_fma_f32 v171, v1, v9, -v10
	v_mul_f32_e32 v1, v4, v12
	s_delay_alu instid0(VALU_DEP_3) | instskip(NEXT) | instid1(VALU_DEP_2)
	v_fmac_f32_e32 v170, v4, v11
	v_fma_f32 v172, v3, v11, -v1
	s_clause 0x1
	scratch_load_b128 v[1:4], off, off offset:264
	scratch_load_b128 v[9:12], off, off offset:280
	s_wait_loadcnt_dscnt 0x100
	v_mul_f32_e32 v173, v5, v2
	v_dual_mul_f32 v2, v6, v2 :: v_dual_mul_f32 v175, v7, v4
	s_delay_alu instid0(VALU_DEP_2) | instskip(NEXT) | instid1(VALU_DEP_2)
	v_fmac_f32_e32 v173, v6, v1
	v_fma_f32 v174, v5, v1, -v2
	v_mul_f32_e32 v1, v8, v4
	s_delay_alu instid0(VALU_DEP_4) | instskip(NEXT) | instid1(VALU_DEP_2)
	v_fmac_f32_e32 v175, v8, v3
	v_fma_f32 v176, v7, v3, -v1
	ds_load_2addr_b64 v[1:4], v21 offset0:99 offset1:100
	ds_load_2addr_b64 v[5:8], v21 offset0:101 offset1:102
	s_wait_loadcnt_dscnt 0x1
	v_mul_f32_e32 v177, v1, v10
	v_mul_f32_e32 v179, v3, v12
	s_delay_alu instid0(VALU_DEP_2) | instskip(NEXT) | instid1(VALU_DEP_2)
	v_fmac_f32_e32 v177, v2, v9
	v_dual_mul_f32 v2, v2, v10 :: v_dual_fmac_f32 v179, v4, v11
	s_delay_alu instid0(VALU_DEP_1) | instskip(SKIP_1) | instid1(VALU_DEP_1)
	v_fma_f32 v178, v1, v9, -v2
	v_mul_f32_e32 v1, v4, v12
	v_fma_f32 v180, v3, v11, -v1
	s_clause 0x1
	scratch_load_b128 v[1:4], off, off offset:296
	scratch_load_b128 v[9:12], off, off offset:312
	s_wait_loadcnt_dscnt 0x100
	v_mul_f32_e32 v181, v5, v2
	v_dual_mul_f32 v2, v6, v2 :: v_dual_mul_f32 v183, v7, v4
	s_delay_alu instid0(VALU_DEP_2) | instskip(NEXT) | instid1(VALU_DEP_2)
	v_fmac_f32_e32 v181, v6, v1
	v_fma_f32 v182, v5, v1, -v2
	v_mul_f32_e32 v1, v8, v4
	s_delay_alu instid0(VALU_DEP_4) | instskip(NEXT) | instid1(VALU_DEP_2)
	v_fmac_f32_e32 v183, v8, v3
	v_fma_f32 v184, v7, v3, -v1
	ds_load_2addr_b64 v[1:4], v21 offset0:103 offset1:104
	ds_load_2addr_b64 v[5:8], v21 offset0:105 offset1:106
	s_wait_loadcnt_dscnt 0x1
	v_mul_f32_e32 v185, v1, v10
	v_mul_f32_e32 v187, v3, v12
	s_delay_alu instid0(VALU_DEP_2) | instskip(NEXT) | instid1(VALU_DEP_2)
	v_fmac_f32_e32 v185, v2, v9
	v_dual_mul_f32 v2, v2, v10 :: v_dual_fmac_f32 v187, v4, v11
	s_delay_alu instid0(VALU_DEP_1) | instskip(SKIP_1) | instid1(VALU_DEP_1)
	v_fma_f32 v186, v1, v9, -v2
	v_mul_f32_e32 v1, v4, v12
	v_fma_f32 v188, v3, v11, -v1
	s_clause 0x1
	scratch_load_b128 v[1:4], off, off offset:328
	scratch_load_b128 v[9:12], off, off offset:344
	s_wait_loadcnt_dscnt 0x100
	v_mul_f32_e32 v189, v5, v2
	v_dual_mul_f32 v2, v6, v2 :: v_dual_mul_f32 v191, v7, v4
	s_delay_alu instid0(VALU_DEP_1) | instskip(NEXT) | instid1(VALU_DEP_2)
	v_fma_f32 v190, v5, v1, -v2
	v_fmac_f32_e32 v191, v8, v3
	s_delay_alu instid0(VALU_DEP_4) | instskip(SKIP_1) | instid1(VALU_DEP_1)
	v_fmac_f32_e32 v189, v6, v1
	v_mul_f32_e32 v1, v8, v4
	v_fma_f32 v192, v7, v3, -v1
	ds_load_2addr_b64 v[1:4], v21 offset0:107 offset1:108
	ds_load_2addr_b64 v[5:8], v21 offset0:109 offset1:110
	s_wait_loadcnt_dscnt 0x1
	v_mul_f32_e32 v193, v1, v10
	v_mul_f32_e32 v195, v3, v12
	s_delay_alu instid0(VALU_DEP_2) | instskip(NEXT) | instid1(VALU_DEP_2)
	v_fmac_f32_e32 v193, v2, v9
	v_dual_mul_f32 v2, v2, v10 :: v_dual_fmac_f32 v195, v4, v11
	s_delay_alu instid0(VALU_DEP_1) | instskip(SKIP_1) | instid1(VALU_DEP_1)
	v_fma_f32 v194, v1, v9, -v2
	v_mul_f32_e32 v1, v4, v12
	v_fma_f32 v196, v3, v11, -v1
	s_clause 0x1
	scratch_load_b128 v[1:4], off, off offset:360
	scratch_load_b128 v[9:12], off, off offset:376
	s_wait_loadcnt_dscnt 0x100
	v_mul_f32_e32 v197, v5, v2
	v_dual_mul_f32 v2, v6, v2 :: v_dual_mul_f32 v199, v7, v4
	s_delay_alu instid0(VALU_DEP_2) | instskip(NEXT) | instid1(VALU_DEP_2)
	v_fmac_f32_e32 v197, v6, v1
	v_fma_f32 v198, v5, v1, -v2
	v_mul_f32_e32 v1, v8, v4
	s_delay_alu instid0(VALU_DEP_4) | instskip(NEXT) | instid1(VALU_DEP_2)
	v_fmac_f32_e32 v199, v8, v3
	v_fma_f32 v200, v7, v3, -v1
	ds_load_2addr_b64 v[1:4], v21 offset0:111 offset1:112
	ds_load_2addr_b64 v[5:8], v21 offset0:113 offset1:114
	s_wait_loadcnt_dscnt 0x1
	v_mul_f32_e32 v201, v1, v10
	v_mul_f32_e32 v203, v3, v12
	s_delay_alu instid0(VALU_DEP_2) | instskip(NEXT) | instid1(VALU_DEP_2)
	v_fmac_f32_e32 v201, v2, v9
	v_dual_mul_f32 v2, v2, v10 :: v_dual_fmac_f32 v203, v4, v11
	s_delay_alu instid0(VALU_DEP_1) | instskip(SKIP_1) | instid1(VALU_DEP_1)
	v_fma_f32 v202, v1, v9, -v2
	v_mul_f32_e32 v1, v4, v12
	v_fma_f32 v204, v3, v11, -v1
	s_clause 0x1
	scratch_load_b128 v[1:4], off, off offset:392
	scratch_load_b128 v[9:12], off, off offset:408
	s_wait_loadcnt_dscnt 0x100
	v_mul_f32_e32 v205, v5, v2
	v_dual_mul_f32 v2, v6, v2 :: v_dual_mul_f32 v207, v7, v4
	s_delay_alu instid0(VALU_DEP_1) | instskip(NEXT) | instid1(VALU_DEP_2)
	v_fma_f32 v206, v5, v1, -v2
	v_fmac_f32_e32 v207, v8, v3
	s_delay_alu instid0(VALU_DEP_4) | instskip(SKIP_1) | instid1(VALU_DEP_1)
	v_fmac_f32_e32 v205, v6, v1
	v_mul_f32_e32 v1, v8, v4
	v_fma_f32 v208, v7, v3, -v1
	ds_load_2addr_b64 v[1:4], v21 offset0:115 offset1:116
	ds_load_2addr_b64 v[5:8], v21 offset0:117 offset1:118
	s_wait_loadcnt_dscnt 0x1
	v_mul_f32_e32 v209, v1, v10
	v_mul_f32_e32 v211, v3, v12
	s_delay_alu instid0(VALU_DEP_1) | instskip(NEXT) | instid1(VALU_DEP_3)
	v_fmac_f32_e32 v211, v4, v11
	v_fmac_f32_e32 v209, v2, v9
	v_mul_f32_e32 v2, v2, v10
	s_delay_alu instid0(VALU_DEP_1) | instskip(SKIP_1) | instid1(VALU_DEP_1)
	v_fma_f32 v210, v1, v9, -v2
	v_mul_f32_e32 v1, v4, v12
	v_fma_f32 v212, v3, v11, -v1
	s_clause 0x1
	scratch_load_b128 v[1:4], off, off offset:424
	scratch_load_b128 v[9:12], off, off offset:440
	s_wait_loadcnt_dscnt 0x100
	v_mul_f32_e32 v213, v5, v2
	v_mul_f32_e32 v2, v6, v2
	s_delay_alu instid0(VALU_DEP_1) | instskip(SKIP_1) | instid1(VALU_DEP_1)
	v_fma_f32 v214, v5, v1, -v2
	v_add_f32_e32 v2, 0, v161
	v_add_f32_e32 v2, v2, v162
	s_delay_alu instid0(VALU_DEP_1) | instskip(NEXT) | instid1(VALU_DEP_1)
	v_add_f32_e32 v2, v2, v24
	v_add_f32_e32 v2, v2, v25
	s_delay_alu instid0(VALU_DEP_1) | instskip(NEXT) | instid1(VALU_DEP_1)
	;; [unrolled: 3-line block ×8, first 2 shown]
	v_add_f32_e32 v2, v2, v177
	v_add_f32_e32 v2, v2, v179
	v_fmac_f32_e32 v213, v6, v1
	s_delay_alu instid0(VALU_DEP_2) | instskip(NEXT) | instid1(VALU_DEP_1)
	v_dual_mul_f32 v215, v7, v4 :: v_dual_add_f32 v2, v2, v181
	v_dual_mul_f32 v1, v8, v4 :: v_dual_add_f32 v2, v2, v183
	s_delay_alu instid0(VALU_DEP_1) | instskip(SKIP_1) | instid1(VALU_DEP_1)
	v_fma_f32 v216, v7, v3, -v1
	v_add_f32_e32 v1, 0, v22
	v_add_f32_e32 v1, v1, v23
	s_delay_alu instid0(VALU_DEP_1) | instskip(NEXT) | instid1(VALU_DEP_1)
	v_add_f32_e32 v1, v1, v26
	v_add_f32_e32 v1, v1, v27
	scratch_load_b64 v[26:27], off, off offset:504
	v_add_f32_e32 v1, v1, v28
	s_delay_alu instid0(VALU_DEP_1) | instskip(NEXT) | instid1(VALU_DEP_1)
	v_add_f32_e32 v1, v1, v29
	v_add_f32_e32 v1, v1, v13
	s_delay_alu instid0(VALU_DEP_1) | instskip(NEXT) | instid1(VALU_DEP_1)
	v_add_f32_e32 v1, v1, v14
	v_add_f32_e32 v1, v1, v16
	s_delay_alu instid0(VALU_DEP_1) | instskip(NEXT) | instid1(VALU_DEP_1)
	v_add_f32_e32 v1, v1, v17
	v_add_f32_e32 v1, v1, v166
	s_delay_alu instid0(VALU_DEP_1) | instskip(NEXT) | instid1(VALU_DEP_1)
	v_add_f32_e32 v1, v1, v167
	v_add_f32_e32 v1, v1, v171
	s_delay_alu instid0(VALU_DEP_1) | instskip(NEXT) | instid1(VALU_DEP_1)
	v_add_f32_e32 v1, v1, v172
	v_add_f32_e32 v1, v1, v174
	s_delay_alu instid0(VALU_DEP_1) | instskip(NEXT) | instid1(VALU_DEP_1)
	v_add_f32_e32 v1, v1, v176
	v_add_f32_e32 v1, v1, v178
	s_delay_alu instid0(VALU_DEP_1) | instskip(NEXT) | instid1(VALU_DEP_1)
	v_add_f32_e32 v1, v1, v180
	v_add_f32_e32 v1, v1, v182
	s_delay_alu instid0(VALU_DEP_1) | instskip(NEXT) | instid1(VALU_DEP_1)
	v_add_f32_e32 v1, v1, v184
	v_add_f32_e32 v1, v1, v186
	s_delay_alu instid0(VALU_DEP_1) | instskip(NEXT) | instid1(VALU_DEP_1)
	v_dual_add_f32 v6, v1, v188 :: v_dual_fmac_f32 v215, v8, v3
	v_add_f32_e32 v6, v6, v190
	s_delay_alu instid0(VALU_DEP_1) | instskip(NEXT) | instid1(VALU_DEP_1)
	v_add_f32_e32 v13, v6, v192
	v_add_f32_e32 v13, v13, v194
	s_delay_alu instid0(VALU_DEP_1) | instskip(NEXT) | instid1(VALU_DEP_1)
	v_add_f32_e32 v13, v13, v196
	;; [unrolled: 3-line block ×6, first 2 shown]
	v_add_f32_e32 v165, v165, v214
	s_delay_alu instid0(VALU_DEP_1) | instskip(SKIP_3) | instid1(VALU_DEP_1)
	v_add_f32_e32 v165, v165, v216
	v_add_f32_e32 v5, v2, v185
	ds_load_2addr_b64 v[1:4], v21 offset0:119 offset1:120
	v_add_f32_e32 v5, v5, v187
	v_add_f32_e32 v5, v5, v189
	s_delay_alu instid0(VALU_DEP_1)
	v_add_f32_e32 v14, v5, v191
	ds_load_2addr_b64 v[5:8], v21 offset0:121 offset1:122
	s_wait_loadcnt_dscnt 0x101
	v_mul_f32_e32 v32, v1, v10
	v_dual_add_f32 v14, v14, v193 :: v_dual_mul_f32 v161, v3, v12
	v_mul_f32_e32 v12, v4, v12
	v_mul_f32_e32 v10, v2, v10
	s_delay_alu instid0(VALU_DEP_4) | instskip(NEXT) | instid1(VALU_DEP_4)
	v_fmac_f32_e32 v32, v2, v9
	v_add_f32_e32 v14, v14, v195
	s_delay_alu instid0(VALU_DEP_4) | instskip(NEXT) | instid1(VALU_DEP_4)
	v_fma_f32 v164, v3, v11, -v12
	v_fma_f32 v162, v1, v9, -v10
	s_delay_alu instid0(VALU_DEP_3) | instskip(SKIP_2) | instid1(VALU_DEP_1)
	v_add_f32_e32 v17, v14, v197
	scratch_load_b128 v[13:16], off, off offset:488
	v_add_f32_e32 v162, v165, v162
	v_dual_add_f32 v17, v17, v199 :: v_dual_add_f32 v162, v162, v164
	s_delay_alu instid0(VALU_DEP_1) | instskip(NEXT) | instid1(VALU_DEP_1)
	v_add_f32_e32 v17, v17, v201
	v_add_f32_e32 v17, v17, v203
	s_delay_alu instid0(VALU_DEP_1) | instskip(NEXT) | instid1(VALU_DEP_1)
	v_add_f32_e32 v17, v17, v205
	v_add_f32_e32 v22, v17, v207
	ds_load_2addr_b64 v[17:20], v21 offset0:123 offset1:124
	v_add_f32_e32 v29, v22, v209
	ds_load_2addr_b64 v[22:25], v21 offset0:125 offset1:126
	v_add_f32_e32 v166, v29, v211
	ds_load_b64 v[28:29], v21 offset:1016
	s_wait_loadcnt_dscnt 0x1
	v_dual_mul_f32 v164, v24, v16 :: v_dual_mul_f32 v169, v22, v14
	s_delay_alu instid0(VALU_DEP_1)
	v_fmac_f32_e32 v164, v25, v15
	v_fmac_f32_e32 v161, v4, v11
	s_clause 0x1
	scratch_load_b128 v[1:4], off, off offset:456
	scratch_load_b128 v[9:12], off, off offset:472
	v_fmac_f32_e32 v169, v23, v13
	s_wait_loadcnt 0x1
	v_mul_f32_e32 v168, v7, v4
	v_dual_add_f32 v166, v166, v213 :: v_dual_mul_f32 v167, v5, v2
	v_mul_f32_e32 v2, v6, v2
	s_wait_loadcnt 0x0
	v_dual_mul_f32 v4, v8, v4 :: v_dual_mul_f32 v165, v17, v10
	s_delay_alu instid0(VALU_DEP_3)
	v_add_f32_e32 v166, v166, v215
	v_fmac_f32_e32 v167, v6, v1
	v_fma_f32 v2, v5, v1, -v2
	v_fmac_f32_e32 v168, v8, v3
	v_fma_f32 v1, v7, v3, -v4
	v_add_f32_e32 v32, v166, v32
	v_mul_f32_e32 v3, v18, v10
	v_add_f32_e32 v2, v162, v2
	v_mul_f32_e32 v166, v19, v12
	v_mul_f32_e32 v5, v20, v12
	v_add_f32_e32 v32, v32, v161
	v_fmac_f32_e32 v165, v18, v9
	v_fma_f32 v3, v17, v9, -v3
	v_dual_add_f32 v1, v2, v1 :: v_dual_fmac_f32 v166, v20, v11
	s_delay_alu instid0(VALU_DEP_4)
	v_add_f32_e32 v4, v32, v167
	v_fma_f32 v5, v19, v11, -v5
	s_wait_dscnt 0x0
	v_mul_f32_e32 v161, v28, v27
	v_add_f32_e32 v1, v1, v3
	v_mul_f32_e32 v3, v25, v16
	v_add_f32_e32 v2, v4, v168
	v_mul_f32_e32 v4, v23, v14
	v_fmac_f32_e32 v161, v29, v26
	v_add_f32_e32 v1, v1, v5
	s_delay_alu instid0(VALU_DEP_4) | instskip(NEXT) | instid1(VALU_DEP_4)
	v_dual_mul_f32 v5, v29, v27 :: v_dual_add_f32 v2, v2, v165
	v_fma_f32 v4, v22, v13, -v4
	v_fma_f32 v3, v24, v15, -v3
	s_delay_alu instid0(VALU_DEP_2) | instskip(NEXT) | instid1(VALU_DEP_4)
	v_dual_add_f32 v2, v2, v166 :: v_dual_add_f32 v1, v1, v4
	v_fma_f32 v4, v28, v26, -v5
	s_delay_alu instid0(VALU_DEP_2) | instskip(NEXT) | instid1(VALU_DEP_1)
	v_dual_add_f32 v2, v2, v169 :: v_dual_add_f32 v1, v1, v3
	v_add_f32_e32 v2, v2, v164
	s_delay_alu instid0(VALU_DEP_1) | instskip(NEXT) | instid1(VALU_DEP_1)
	v_dual_add_f32 v1, v1, v4 :: v_dual_add_f32 v2, v2, v161
	v_dual_sub_f32 v1, v30, v1 :: v_dual_sub_f32 v2, v31, v2
	scratch_store_b64 off, v[1:2], off offset:144
	v_cmpx_lt_u32_e32 17, v0
	s_cbranch_execz .LBB127_363
; %bb.362:
	scratch_load_b64 v[1:2], off, off offset:136
	v_mov_b32_e32 v22, v21
	scratch_store_b64 off, v[21:22], off offset:136
	s_wait_loadcnt 0x0
	ds_store_b64 v163, v[1:2]
.LBB127_363:
	s_wait_alu 0xfffe
	s_or_b32 exec_lo, exec_lo, s0
	s_wait_storecnt_dscnt 0x0
	s_barrier_signal -1
	s_barrier_wait -1
	global_inv scope:SCOPE_SE
	s_clause 0x4
	scratch_load_b128 v[5:8], off, off offset:144
	scratch_load_b128 v[1:4], off, off offset:160
	;; [unrolled: 1-line block ×5, first 2 shown]
	ds_load_b128 v[22:25], v21 offset:656
	ds_load_b128 v[26:29], v21 offset:672
	;; [unrolled: 1-line block ×3, first 2 shown]
	scratch_load_b64 v[30:31], off, off offset:136
	s_mov_b32 s0, exec_lo
	s_wait_loadcnt_dscnt 0x502
	v_mul_f32_e32 v32, v23, v6
	v_dual_mul_f32 v161, v22, v6 :: v_dual_mul_f32 v162, v24, v8
	v_mul_f32_e32 v6, v25, v8
	s_wait_loadcnt_dscnt 0x300
	v_mul_f32_e32 v168, v166, v12
	v_mul_f32_e32 v12, v167, v12
	v_dual_fmac_f32 v161, v23, v5 :: v_dual_fmac_f32 v162, v25, v7
	v_fma_f32 v23, v24, v7, -v6
	v_mul_f32_e32 v25, v28, v4
	v_fma_f32 v22, v22, v5, -v32
	ds_load_b128 v[5:8], v21 offset:704
	v_mul_f32_e32 v24, v26, v2
	v_mul_f32_e32 v4, v29, v4
	;; [unrolled: 1-line block ×4, first 2 shown]
	v_dual_mul_f32 v2, v27, v2 :: v_dual_fmac_f32 v25, v29, v3
	v_fmac_f32_e32 v24, v27, v1
	v_fma_f32 v27, v28, v3, -v4
	v_fmac_f32_e32 v32, v165, v9
	v_fma_f32 v28, v164, v9, -v10
	;; [unrolled: 2-line block ×3, first 2 shown]
	ds_load_b128 v[9:12], v21 offset:720
	s_wait_loadcnt_dscnt 0x201
	v_dual_mul_f32 v165, v7, v16 :: v_dual_mul_f32 v164, v5, v14
	v_mul_f32_e32 v14, v6, v14
	v_mul_f32_e32 v16, v8, v16
	s_delay_alu instid0(VALU_DEP_3)
	v_fmac_f32_e32 v165, v8, v15
	v_fma_f32 v26, v26, v1, -v2
	scratch_load_b128 v[1:4], off, off offset:224
	v_fmac_f32_e32 v164, v6, v13
	v_fma_f32 v13, v5, v13, -v14
	v_fma_f32 v14, v7, v15, -v16
	ds_load_b128 v[5:8], v21 offset:736
	s_wait_loadcnt_dscnt 0x201
	v_mul_f32_e32 v15, v9, v18
	v_mul_f32_e32 v16, v10, v18
	v_mul_f32_e32 v18, v11, v20
	s_delay_alu instid0(VALU_DEP_3) | instskip(NEXT) | instid1(VALU_DEP_3)
	v_dual_mul_f32 v20, v12, v20 :: v_dual_fmac_f32 v15, v10, v17
	v_fma_f32 v16, v9, v17, -v16
	s_delay_alu instid0(VALU_DEP_3) | instskip(NEXT) | instid1(VALU_DEP_3)
	v_fmac_f32_e32 v18, v12, v19
	v_fma_f32 v17, v11, v19, -v20
	scratch_load_b128 v[9:12], off, off offset:240
	s_wait_loadcnt_dscnt 0x100
	v_mul_f32_e32 v19, v5, v2
	v_mul_f32_e32 v2, v6, v2
	v_mul_f32_e32 v20, v7, v4
	s_delay_alu instid0(VALU_DEP_3) | instskip(NEXT) | instid1(VALU_DEP_3)
	v_dual_mul_f32 v4, v8, v4 :: v_dual_fmac_f32 v19, v6, v1
	v_fma_f32 v166, v5, v1, -v2
	s_delay_alu instid0(VALU_DEP_3) | instskip(NEXT) | instid1(VALU_DEP_3)
	v_fmac_f32_e32 v20, v8, v3
	v_fma_f32 v167, v7, v3, -v4
	ds_load_b128 v[1:4], v21 offset:752
	ds_load_b128 v[5:8], v21 offset:768
	s_wait_loadcnt_dscnt 0x1
	v_mul_f32_e32 v169, v1, v10
	v_mul_f32_e32 v10, v2, v10
	s_delay_alu instid0(VALU_DEP_2) | instskip(NEXT) | instid1(VALU_DEP_2)
	v_dual_mul_f32 v170, v3, v12 :: v_dual_fmac_f32 v169, v2, v9
	v_fma_f32 v171, v1, v9, -v10
	v_mul_f32_e32 v1, v4, v12
	s_delay_alu instid0(VALU_DEP_3) | instskip(NEXT) | instid1(VALU_DEP_2)
	v_fmac_f32_e32 v170, v4, v11
	v_fma_f32 v172, v3, v11, -v1
	s_clause 0x1
	scratch_load_b128 v[1:4], off, off offset:256
	scratch_load_b128 v[9:12], off, off offset:272
	s_wait_loadcnt_dscnt 0x100
	v_mul_f32_e32 v173, v5, v2
	v_dual_mul_f32 v2, v6, v2 :: v_dual_mul_f32 v175, v7, v4
	s_delay_alu instid0(VALU_DEP_2) | instskip(NEXT) | instid1(VALU_DEP_2)
	v_fmac_f32_e32 v173, v6, v1
	v_fma_f32 v174, v5, v1, -v2
	v_mul_f32_e32 v1, v8, v4
	s_delay_alu instid0(VALU_DEP_4) | instskip(NEXT) | instid1(VALU_DEP_2)
	v_fmac_f32_e32 v175, v8, v3
	v_fma_f32 v176, v7, v3, -v1
	ds_load_b128 v[1:4], v21 offset:784
	ds_load_b128 v[5:8], v21 offset:800
	s_wait_loadcnt_dscnt 0x1
	v_mul_f32_e32 v177, v1, v10
	v_mul_f32_e32 v179, v3, v12
	s_delay_alu instid0(VALU_DEP_2) | instskip(NEXT) | instid1(VALU_DEP_2)
	v_fmac_f32_e32 v177, v2, v9
	v_dual_mul_f32 v2, v2, v10 :: v_dual_fmac_f32 v179, v4, v11
	s_delay_alu instid0(VALU_DEP_1) | instskip(SKIP_1) | instid1(VALU_DEP_1)
	v_fma_f32 v178, v1, v9, -v2
	v_mul_f32_e32 v1, v4, v12
	v_fma_f32 v180, v3, v11, -v1
	s_clause 0x1
	scratch_load_b128 v[1:4], off, off offset:288
	scratch_load_b128 v[9:12], off, off offset:304
	s_wait_loadcnt_dscnt 0x100
	v_mul_f32_e32 v181, v5, v2
	v_dual_mul_f32 v2, v6, v2 :: v_dual_mul_f32 v183, v7, v4
	s_delay_alu instid0(VALU_DEP_2) | instskip(NEXT) | instid1(VALU_DEP_2)
	v_fmac_f32_e32 v181, v6, v1
	v_fma_f32 v182, v5, v1, -v2
	v_mul_f32_e32 v1, v8, v4
	s_delay_alu instid0(VALU_DEP_4) | instskip(NEXT) | instid1(VALU_DEP_2)
	v_fmac_f32_e32 v183, v8, v3
	v_fma_f32 v184, v7, v3, -v1
	ds_load_b128 v[1:4], v21 offset:816
	ds_load_b128 v[5:8], v21 offset:832
	s_wait_loadcnt_dscnt 0x1
	v_mul_f32_e32 v185, v1, v10
	v_mul_f32_e32 v187, v3, v12
	s_delay_alu instid0(VALU_DEP_2) | instskip(NEXT) | instid1(VALU_DEP_2)
	v_fmac_f32_e32 v185, v2, v9
	v_dual_mul_f32 v2, v2, v10 :: v_dual_fmac_f32 v187, v4, v11
	s_delay_alu instid0(VALU_DEP_1) | instskip(SKIP_1) | instid1(VALU_DEP_1)
	v_fma_f32 v186, v1, v9, -v2
	v_mul_f32_e32 v1, v4, v12
	v_fma_f32 v188, v3, v11, -v1
	s_clause 0x1
	scratch_load_b128 v[1:4], off, off offset:320
	scratch_load_b128 v[9:12], off, off offset:336
	s_wait_loadcnt_dscnt 0x100
	v_mul_f32_e32 v189, v5, v2
	v_dual_mul_f32 v2, v6, v2 :: v_dual_mul_f32 v191, v7, v4
	s_delay_alu instid0(VALU_DEP_1) | instskip(NEXT) | instid1(VALU_DEP_3)
	v_fma_f32 v190, v5, v1, -v2
	v_fmac_f32_e32 v189, v6, v1
	v_mul_f32_e32 v1, v8, v4
	s_delay_alu instid0(VALU_DEP_4) | instskip(NEXT) | instid1(VALU_DEP_2)
	v_fmac_f32_e32 v191, v8, v3
	v_fma_f32 v192, v7, v3, -v1
	ds_load_b128 v[1:4], v21 offset:848
	ds_load_b128 v[5:8], v21 offset:864
	s_wait_loadcnt_dscnt 0x1
	v_mul_f32_e32 v193, v1, v10
	v_mul_f32_e32 v195, v3, v12
	s_delay_alu instid0(VALU_DEP_1) | instskip(NEXT) | instid1(VALU_DEP_3)
	v_fmac_f32_e32 v195, v4, v11
	v_fmac_f32_e32 v193, v2, v9
	v_mul_f32_e32 v2, v2, v10
	s_delay_alu instid0(VALU_DEP_1) | instskip(SKIP_1) | instid1(VALU_DEP_1)
	v_fma_f32 v194, v1, v9, -v2
	v_mul_f32_e32 v1, v4, v12
	v_fma_f32 v196, v3, v11, -v1
	s_clause 0x1
	scratch_load_b128 v[1:4], off, off offset:352
	scratch_load_b128 v[9:12], off, off offset:368
	s_wait_loadcnt_dscnt 0x100
	v_mul_f32_e32 v197, v5, v2
	v_dual_mul_f32 v2, v6, v2 :: v_dual_mul_f32 v199, v7, v4
	s_delay_alu instid0(VALU_DEP_2) | instskip(NEXT) | instid1(VALU_DEP_2)
	v_fmac_f32_e32 v197, v6, v1
	v_fma_f32 v198, v5, v1, -v2
	v_mul_f32_e32 v1, v8, v4
	s_delay_alu instid0(VALU_DEP_4) | instskip(NEXT) | instid1(VALU_DEP_2)
	v_fmac_f32_e32 v199, v8, v3
	v_fma_f32 v200, v7, v3, -v1
	ds_load_b128 v[1:4], v21 offset:880
	ds_load_b128 v[5:8], v21 offset:896
	s_wait_loadcnt_dscnt 0x1
	v_mul_f32_e32 v201, v1, v10
	v_mul_f32_e32 v203, v3, v12
	s_delay_alu instid0(VALU_DEP_2) | instskip(NEXT) | instid1(VALU_DEP_2)
	v_fmac_f32_e32 v201, v2, v9
	v_dual_mul_f32 v2, v2, v10 :: v_dual_fmac_f32 v203, v4, v11
	s_delay_alu instid0(VALU_DEP_1) | instskip(SKIP_1) | instid1(VALU_DEP_1)
	v_fma_f32 v202, v1, v9, -v2
	v_mul_f32_e32 v1, v4, v12
	v_fma_f32 v204, v3, v11, -v1
	s_clause 0x1
	scratch_load_b128 v[1:4], off, off offset:384
	scratch_load_b128 v[9:12], off, off offset:400
	s_wait_loadcnt_dscnt 0x100
	v_mul_f32_e32 v205, v5, v2
	v_dual_mul_f32 v2, v6, v2 :: v_dual_mul_f32 v207, v7, v4
	s_delay_alu instid0(VALU_DEP_2) | instskip(NEXT) | instid1(VALU_DEP_2)
	v_fmac_f32_e32 v205, v6, v1
	v_fma_f32 v206, v5, v1, -v2
	v_mul_f32_e32 v1, v8, v4
	s_delay_alu instid0(VALU_DEP_4) | instskip(NEXT) | instid1(VALU_DEP_2)
	v_fmac_f32_e32 v207, v8, v3
	v_fma_f32 v208, v7, v3, -v1
	ds_load_b128 v[1:4], v21 offset:912
	ds_load_b128 v[5:8], v21 offset:928
	s_wait_loadcnt_dscnt 0x1
	v_mul_f32_e32 v209, v1, v10
	v_mul_f32_e32 v211, v3, v12
	s_delay_alu instid0(VALU_DEP_2) | instskip(NEXT) | instid1(VALU_DEP_2)
	v_fmac_f32_e32 v209, v2, v9
	v_dual_mul_f32 v2, v2, v10 :: v_dual_fmac_f32 v211, v4, v11
	s_delay_alu instid0(VALU_DEP_1) | instskip(SKIP_1) | instid1(VALU_DEP_1)
	v_fma_f32 v210, v1, v9, -v2
	v_mul_f32_e32 v1, v4, v12
	v_fma_f32 v212, v3, v11, -v1
	s_clause 0x1
	scratch_load_b128 v[1:4], off, off offset:416
	scratch_load_b128 v[9:12], off, off offset:432
	s_wait_loadcnt_dscnt 0x100
	v_mul_f32_e32 v213, v5, v2
	v_mul_f32_e32 v2, v6, v2
	s_delay_alu instid0(VALU_DEP_1) | instskip(SKIP_1) | instid1(VALU_DEP_1)
	v_fma_f32 v214, v5, v1, -v2
	v_add_f32_e32 v2, 0, v161
	v_add_f32_e32 v2, v2, v162
	s_delay_alu instid0(VALU_DEP_1) | instskip(NEXT) | instid1(VALU_DEP_1)
	v_add_f32_e32 v2, v2, v24
	v_add_f32_e32 v2, v2, v25
	s_delay_alu instid0(VALU_DEP_1) | instskip(NEXT) | instid1(VALU_DEP_1)
	;; [unrolled: 3-line block ×8, first 2 shown]
	v_add_f32_e32 v2, v2, v177
	v_add_f32_e32 v2, v2, v179
	v_fmac_f32_e32 v213, v6, v1
	s_delay_alu instid0(VALU_DEP_2) | instskip(NEXT) | instid1(VALU_DEP_1)
	v_dual_mul_f32 v215, v7, v4 :: v_dual_add_f32 v2, v2, v181
	v_dual_mul_f32 v1, v8, v4 :: v_dual_add_f32 v2, v2, v183
	s_delay_alu instid0(VALU_DEP_1) | instskip(SKIP_1) | instid1(VALU_DEP_3)
	v_fma_f32 v216, v7, v3, -v1
	v_add_f32_e32 v1, 0, v22
	v_dual_fmac_f32 v215, v8, v3 :: v_dual_add_f32 v2, v2, v185
	s_delay_alu instid0(VALU_DEP_2) | instskip(NEXT) | instid1(VALU_DEP_2)
	v_add_f32_e32 v1, v1, v23
	v_add_f32_e32 v5, v2, v187
	s_delay_alu instid0(VALU_DEP_2) | instskip(NEXT) | instid1(VALU_DEP_1)
	v_add_f32_e32 v1, v1, v26
	v_add_f32_e32 v1, v1, v27
	s_delay_alu instid0(VALU_DEP_1) | instskip(NEXT) | instid1(VALU_DEP_1)
	v_add_f32_e32 v1, v1, v28
	v_add_f32_e32 v1, v1, v29
	s_delay_alu instid0(VALU_DEP_1) | instskip(NEXT) | instid1(VALU_DEP_1)
	;; [unrolled: 3-line block ×9, first 2 shown]
	v_add_f32_e32 v1, v1, v186
	v_add_f32_e32 v1, v1, v188
	s_delay_alu instid0(VALU_DEP_1)
	v_add_f32_e32 v6, v1, v190
	v_add_f32_e32 v13, v5, v189
	ds_load_b128 v[1:4], v21 offset:944
	v_add_f32_e32 v14, v6, v192
	scratch_load_b128 v[5:8], off, off offset:448
	v_dual_add_f32 v13, v13, v191 :: v_dual_add_f32 v14, v14, v194
	s_delay_alu instid0(VALU_DEP_1) | instskip(NEXT) | instid1(VALU_DEP_1)
	v_add_f32_e32 v13, v13, v193
	v_dual_add_f32 v17, v14, v196 :: v_dual_add_f32 v18, v13, v195
	ds_load_b128 v[13:16], v21 offset:960
	v_add_f32_e32 v17, v17, v198
	s_wait_loadcnt_dscnt 0x101
	v_mul_f32_e32 v25, v1, v10
	v_mul_f32_e32 v10, v2, v10
	;; [unrolled: 1-line block ×4, first 2 shown]
	v_add_f32_e32 v18, v18, v197
	v_fmac_f32_e32 v25, v2, v9
	v_fma_f32 v27, v1, v9, -v10
	v_fmac_f32_e32 v26, v4, v11
	v_fma_f32 v28, v3, v11, -v12
	scratch_load_b128 v[1:4], off, off offset:464
	v_add_f32_e32 v17, v17, v200
	scratch_load_b128 v[9:12], off, off offset:480
	v_dual_add_f32 v18, v18, v199 :: v_dual_add_f32 v17, v17, v202
	s_delay_alu instid0(VALU_DEP_1) | instskip(SKIP_2) | instid1(VALU_DEP_1)
	v_dual_add_f32 v22, v18, v201 :: v_dual_add_f32 v23, v17, v204
	scratch_load_b128 v[17:20], off, off offset:496
	v_dual_add_f32 v22, v22, v203 :: v_dual_add_f32 v23, v23, v206
	v_dual_add_f32 v22, v22, v205 :: v_dual_add_f32 v23, v23, v208
	s_wait_loadcnt_dscnt 0x300
	v_mul_f32_e32 v29, v13, v6
	v_mul_f32_e32 v6, v14, v6
	;; [unrolled: 1-line block ×3, first 2 shown]
	s_delay_alu instid0(VALU_DEP_3) | instskip(NEXT) | instid1(VALU_DEP_3)
	v_dual_mul_f32 v8, v16, v8 :: v_dual_fmac_f32 v29, v14, v5
	v_fma_f32 v161, v13, v5, -v6
	v_dual_add_f32 v13, v22, v207 :: v_dual_add_f32 v22, v23, v210
	s_delay_alu instid0(VALU_DEP_4) | instskip(NEXT) | instid1(VALU_DEP_4)
	v_fmac_f32_e32 v32, v16, v7
	v_fma_f32 v162, v15, v7, -v8
	ds_load_b128 v[5:8], v21 offset:976
	v_dual_add_f32 v23, v13, v209 :: v_dual_add_f32 v164, v22, v212
	ds_load_b128 v[13:16], v21 offset:992
	v_dual_add_f32 v165, v23, v211 :: v_dual_add_f32 v164, v164, v214
	;; [unrolled: 2-line block ×3, first 2 shown]
	s_delay_alu instid0(VALU_DEP_1) | instskip(SKIP_1) | instid1(VALU_DEP_2)
	v_add_f32_e32 v165, v165, v215
	s_wait_loadcnt_dscnt 0x202
	v_dual_add_f32 v27, v164, v27 :: v_dual_mul_f32 v166, v5, v2
	s_delay_alu instid0(VALU_DEP_2) | instskip(NEXT) | instid1(VALU_DEP_2)
	v_add_f32_e32 v25, v165, v25
	v_dual_add_f32 v27, v27, v28 :: v_dual_mul_f32 v2, v6, v2
	v_mul_f32_e32 v164, v7, v4
	s_delay_alu instid0(VALU_DEP_3) | instskip(NEXT) | instid1(VALU_DEP_3)
	v_dual_mul_f32 v4, v8, v4 :: v_dual_add_f32 v25, v25, v26
	v_add_f32_e32 v27, v27, v161
	s_delay_alu instid0(VALU_DEP_4)
	v_fma_f32 v2, v5, v1, -v2
	s_wait_loadcnt_dscnt 0x101
	v_dual_fmac_f32 v166, v6, v1 :: v_dual_mul_f32 v165, v13, v10
	v_add_f32_e32 v25, v25, v29
	v_add_f32_e32 v1, v27, v162
	v_mul_f32_e32 v6, v14, v10
	v_fmac_f32_e32 v164, v8, v3
	v_fma_f32 v3, v7, v3, -v4
	v_add_f32_e32 v5, v25, v32
	v_add_f32_e32 v1, v1, v2
	v_mul_f32_e32 v167, v15, v12
	v_dual_mul_f32 v4, v16, v12 :: v_dual_fmac_f32 v165, v14, v9
	s_delay_alu instid0(VALU_DEP_4)
	v_add_f32_e32 v2, v5, v166
	v_fma_f32 v5, v13, v9, -v6
	v_add_f32_e32 v1, v1, v3
	s_wait_loadcnt_dscnt 0x0
	v_mul_f32_e32 v26, v21, v18
	v_mul_f32_e32 v3, v22, v18
	v_dual_add_f32 v2, v2, v164 :: v_dual_fmac_f32 v167, v16, v11
	v_fma_f32 v4, v15, v11, -v4
	v_dual_add_f32 v1, v1, v5 :: v_dual_mul_f32 v28, v23, v20
	s_delay_alu instid0(VALU_DEP_3) | instskip(SKIP_2) | instid1(VALU_DEP_3)
	v_dual_add_f32 v2, v2, v165 :: v_dual_mul_f32 v5, v24, v20
	v_fmac_f32_e32 v26, v22, v17
	v_fma_f32 v3, v21, v17, -v3
	v_dual_add_f32 v1, v1, v4 :: v_dual_add_f32 v2, v2, v167
	v_fmac_f32_e32 v28, v24, v19
	v_fma_f32 v4, v23, v19, -v5
	s_delay_alu instid0(VALU_DEP_3) | instskip(NEXT) | instid1(VALU_DEP_1)
	v_dual_add_f32 v1, v1, v3 :: v_dual_add_f32 v2, v2, v26
	v_add_f32_e32 v1, v1, v4
	s_delay_alu instid0(VALU_DEP_2) | instskip(NEXT) | instid1(VALU_DEP_1)
	v_add_f32_e32 v2, v2, v28
	v_dual_sub_f32 v1, v30, v1 :: v_dual_sub_f32 v2, v31, v2
	scratch_store_b64 off, v[1:2], off offset:136
	v_cmpx_lt_u32_e32 16, v0
	s_cbranch_execz .LBB127_365
; %bb.364:
	scratch_load_b64 v[1:2], off, off offset:128
	v_mov_b32_e32 v3, 0
	s_delay_alu instid0(VALU_DEP_1)
	v_mov_b32_e32 v4, v3
	scratch_store_b64 off, v[3:4], off offset:128
	s_wait_loadcnt 0x0
	ds_store_b64 v163, v[1:2]
.LBB127_365:
	s_wait_alu 0xfffe
	s_or_b32 exec_lo, exec_lo, s0
	s_wait_storecnt_dscnt 0x0
	s_barrier_signal -1
	s_barrier_wait -1
	global_inv scope:SCOPE_SE
	s_clause 0x4
	scratch_load_b128 v[5:8], off, off offset:136
	scratch_load_b128 v[1:4], off, off offset:152
	;; [unrolled: 1-line block ×5, first 2 shown]
	v_mov_b32_e32 v21, 0
	ds_load_2addr_b64 v[22:25], v21 offset0:81 offset1:82
	ds_load_2addr_b64 v[26:29], v21 offset0:83 offset1:84
	;; [unrolled: 1-line block ×3, first 2 shown]
	scratch_load_b64 v[30:31], off, off offset:128
	s_mov_b32 s0, exec_lo
	s_wait_loadcnt_dscnt 0x502
	v_mul_f32_e32 v32, v23, v6
	v_dual_mul_f32 v161, v22, v6 :: v_dual_mul_f32 v162, v24, v8
	v_mul_f32_e32 v6, v25, v8
	s_wait_loadcnt_dscnt 0x300
	v_mul_f32_e32 v168, v166, v12
	v_fma_f32 v22, v22, v5, -v32
	v_dual_fmac_f32 v161, v23, v5 :: v_dual_fmac_f32 v162, v25, v7
	v_mul_f32_e32 v25, v28, v4
	v_fma_f32 v23, v24, v7, -v6
	ds_load_2addr_b64 v[5:8], v21 offset0:87 offset1:88
	v_mul_f32_e32 v24, v26, v2
	v_mul_f32_e32 v4, v29, v4
	;; [unrolled: 1-line block ×5, first 2 shown]
	v_dual_mul_f32 v2, v27, v2 :: v_dual_fmac_f32 v25, v29, v3
	v_fmac_f32_e32 v24, v27, v1
	v_fma_f32 v27, v28, v3, -v4
	v_fmac_f32_e32 v32, v165, v9
	v_fma_f32 v28, v164, v9, -v10
	;; [unrolled: 2-line block ×3, first 2 shown]
	ds_load_2addr_b64 v[9:12], v21 offset0:89 offset1:90
	s_wait_loadcnt_dscnt 0x201
	v_dual_mul_f32 v165, v7, v16 :: v_dual_mul_f32 v164, v5, v14
	v_mul_f32_e32 v14, v6, v14
	v_mul_f32_e32 v16, v8, v16
	s_delay_alu instid0(VALU_DEP_3)
	v_fmac_f32_e32 v165, v8, v15
	v_fma_f32 v26, v26, v1, -v2
	scratch_load_b128 v[1:4], off, off offset:216
	v_fmac_f32_e32 v164, v6, v13
	v_fma_f32 v13, v5, v13, -v14
	v_fma_f32 v14, v7, v15, -v16
	ds_load_2addr_b64 v[5:8], v21 offset0:91 offset1:92
	s_wait_loadcnt_dscnt 0x201
	v_mul_f32_e32 v15, v9, v18
	v_mul_f32_e32 v16, v10, v18
	;; [unrolled: 1-line block ×3, first 2 shown]
	s_delay_alu instid0(VALU_DEP_3) | instskip(NEXT) | instid1(VALU_DEP_3)
	v_dual_mul_f32 v20, v12, v20 :: v_dual_fmac_f32 v15, v10, v17
	v_fma_f32 v16, v9, v17, -v16
	s_delay_alu instid0(VALU_DEP_3) | instskip(NEXT) | instid1(VALU_DEP_3)
	v_fmac_f32_e32 v18, v12, v19
	v_fma_f32 v17, v11, v19, -v20
	scratch_load_b128 v[9:12], off, off offset:232
	s_wait_loadcnt_dscnt 0x100
	v_mul_f32_e32 v19, v5, v2
	v_mul_f32_e32 v2, v6, v2
	;; [unrolled: 1-line block ×3, first 2 shown]
	s_delay_alu instid0(VALU_DEP_3) | instskip(NEXT) | instid1(VALU_DEP_3)
	v_dual_mul_f32 v4, v8, v4 :: v_dual_fmac_f32 v19, v6, v1
	v_fma_f32 v166, v5, v1, -v2
	s_delay_alu instid0(VALU_DEP_3) | instskip(NEXT) | instid1(VALU_DEP_3)
	v_fmac_f32_e32 v20, v8, v3
	v_fma_f32 v167, v7, v3, -v4
	ds_load_2addr_b64 v[1:4], v21 offset0:93 offset1:94
	ds_load_2addr_b64 v[5:8], v21 offset0:95 offset1:96
	s_wait_loadcnt_dscnt 0x1
	v_mul_f32_e32 v169, v1, v10
	v_mul_f32_e32 v10, v2, v10
	s_delay_alu instid0(VALU_DEP_2) | instskip(NEXT) | instid1(VALU_DEP_2)
	v_dual_mul_f32 v170, v3, v12 :: v_dual_fmac_f32 v169, v2, v9
	v_fma_f32 v171, v1, v9, -v10
	v_mul_f32_e32 v1, v4, v12
	s_delay_alu instid0(VALU_DEP_3) | instskip(NEXT) | instid1(VALU_DEP_2)
	v_fmac_f32_e32 v170, v4, v11
	v_fma_f32 v172, v3, v11, -v1
	s_clause 0x1
	scratch_load_b128 v[1:4], off, off offset:248
	scratch_load_b128 v[9:12], off, off offset:264
	s_wait_loadcnt_dscnt 0x100
	v_mul_f32_e32 v173, v5, v2
	v_dual_mul_f32 v2, v6, v2 :: v_dual_mul_f32 v175, v7, v4
	s_delay_alu instid0(VALU_DEP_2) | instskip(NEXT) | instid1(VALU_DEP_2)
	v_fmac_f32_e32 v173, v6, v1
	v_fma_f32 v174, v5, v1, -v2
	v_mul_f32_e32 v1, v8, v4
	s_delay_alu instid0(VALU_DEP_4) | instskip(NEXT) | instid1(VALU_DEP_2)
	v_fmac_f32_e32 v175, v8, v3
	v_fma_f32 v176, v7, v3, -v1
	ds_load_2addr_b64 v[1:4], v21 offset0:97 offset1:98
	ds_load_2addr_b64 v[5:8], v21 offset0:99 offset1:100
	s_wait_loadcnt_dscnt 0x1
	v_mul_f32_e32 v177, v1, v10
	v_mul_f32_e32 v179, v3, v12
	s_delay_alu instid0(VALU_DEP_2) | instskip(NEXT) | instid1(VALU_DEP_2)
	v_fmac_f32_e32 v177, v2, v9
	v_dual_mul_f32 v2, v2, v10 :: v_dual_fmac_f32 v179, v4, v11
	s_delay_alu instid0(VALU_DEP_1) | instskip(SKIP_1) | instid1(VALU_DEP_1)
	v_fma_f32 v178, v1, v9, -v2
	v_mul_f32_e32 v1, v4, v12
	v_fma_f32 v180, v3, v11, -v1
	s_clause 0x1
	scratch_load_b128 v[1:4], off, off offset:280
	scratch_load_b128 v[9:12], off, off offset:296
	s_wait_loadcnt_dscnt 0x100
	v_mul_f32_e32 v181, v5, v2
	v_dual_mul_f32 v2, v6, v2 :: v_dual_mul_f32 v183, v7, v4
	s_delay_alu instid0(VALU_DEP_2) | instskip(NEXT) | instid1(VALU_DEP_2)
	v_fmac_f32_e32 v181, v6, v1
	v_fma_f32 v182, v5, v1, -v2
	v_mul_f32_e32 v1, v8, v4
	s_delay_alu instid0(VALU_DEP_4) | instskip(NEXT) | instid1(VALU_DEP_2)
	v_fmac_f32_e32 v183, v8, v3
	v_fma_f32 v184, v7, v3, -v1
	ds_load_2addr_b64 v[1:4], v21 offset0:101 offset1:102
	ds_load_2addr_b64 v[5:8], v21 offset0:103 offset1:104
	s_wait_loadcnt_dscnt 0x1
	v_mul_f32_e32 v185, v1, v10
	v_mul_f32_e32 v187, v3, v12
	s_delay_alu instid0(VALU_DEP_2) | instskip(NEXT) | instid1(VALU_DEP_2)
	v_fmac_f32_e32 v185, v2, v9
	v_dual_mul_f32 v2, v2, v10 :: v_dual_fmac_f32 v187, v4, v11
	s_delay_alu instid0(VALU_DEP_1) | instskip(SKIP_1) | instid1(VALU_DEP_1)
	v_fma_f32 v186, v1, v9, -v2
	v_mul_f32_e32 v1, v4, v12
	;; [unrolled: 25-line block ×5, first 2 shown]
	v_fma_f32 v212, v3, v11, -v1
	s_clause 0x1
	scratch_load_b128 v[1:4], off, off offset:408
	scratch_load_b128 v[9:12], off, off offset:424
	s_wait_loadcnt_dscnt 0x100
	v_mul_f32_e32 v213, v5, v2
	v_mul_f32_e32 v2, v6, v2
	s_delay_alu instid0(VALU_DEP_1) | instskip(SKIP_1) | instid1(VALU_DEP_1)
	v_fma_f32 v214, v5, v1, -v2
	v_add_f32_e32 v2, 0, v161
	v_add_f32_e32 v2, v2, v162
	s_delay_alu instid0(VALU_DEP_1) | instskip(NEXT) | instid1(VALU_DEP_1)
	v_add_f32_e32 v2, v2, v24
	v_add_f32_e32 v2, v2, v25
	s_delay_alu instid0(VALU_DEP_1) | instskip(NEXT) | instid1(VALU_DEP_1)
	v_add_f32_e32 v2, v2, v32
	v_add_f32_e32 v2, v2, v168
	s_delay_alu instid0(VALU_DEP_1) | instskip(NEXT) | instid1(VALU_DEP_1)
	v_add_f32_e32 v2, v2, v164
	v_add_f32_e32 v2, v2, v165
	s_delay_alu instid0(VALU_DEP_1) | instskip(NEXT) | instid1(VALU_DEP_1)
	v_add_f32_e32 v2, v2, v15
	v_add_f32_e32 v2, v2, v18
	s_delay_alu instid0(VALU_DEP_1) | instskip(NEXT) | instid1(VALU_DEP_1)
	v_add_f32_e32 v2, v2, v19
	v_add_f32_e32 v2, v2, v20
	s_delay_alu instid0(VALU_DEP_1) | instskip(NEXT) | instid1(VALU_DEP_1)
	v_add_f32_e32 v2, v2, v169
	v_add_f32_e32 v2, v2, v170
	s_delay_alu instid0(VALU_DEP_1) | instskip(NEXT) | instid1(VALU_DEP_1)
	v_add_f32_e32 v2, v2, v173
	v_add_f32_e32 v2, v2, v175
	s_delay_alu instid0(VALU_DEP_1) | instskip(NEXT) | instid1(VALU_DEP_1)
	v_add_f32_e32 v2, v2, v177
	v_add_f32_e32 v2, v2, v179
	v_fmac_f32_e32 v213, v6, v1
	s_delay_alu instid0(VALU_DEP_2) | instskip(NEXT) | instid1(VALU_DEP_1)
	v_dual_mul_f32 v215, v7, v4 :: v_dual_add_f32 v2, v2, v181
	v_dual_mul_f32 v1, v8, v4 :: v_dual_add_f32 v2, v2, v183
	s_delay_alu instid0(VALU_DEP_1) | instskip(SKIP_1) | instid1(VALU_DEP_1)
	v_fma_f32 v216, v7, v3, -v1
	v_add_f32_e32 v1, 0, v22
	v_add_f32_e32 v1, v1, v23
	s_delay_alu instid0(VALU_DEP_1) | instskip(NEXT) | instid1(VALU_DEP_1)
	v_add_f32_e32 v1, v1, v26
	v_add_f32_e32 v1, v1, v27
	scratch_load_b64 v[26:27], off, off offset:504
	v_add_f32_e32 v1, v1, v28
	s_delay_alu instid0(VALU_DEP_1) | instskip(NEXT) | instid1(VALU_DEP_1)
	v_add_f32_e32 v1, v1, v29
	v_add_f32_e32 v1, v1, v13
	s_delay_alu instid0(VALU_DEP_1) | instskip(NEXT) | instid1(VALU_DEP_1)
	v_add_f32_e32 v1, v1, v14
	;; [unrolled: 3-line block ×9, first 2 shown]
	v_dual_add_f32 v6, v1, v190 :: v_dual_fmac_f32 v215, v8, v3
	v_add_f32_e32 v2, v2, v185
	s_delay_alu instid0(VALU_DEP_2) | instskip(NEXT) | instid1(VALU_DEP_2)
	v_add_f32_e32 v14, v6, v192
	v_add_f32_e32 v5, v2, v187
	scratch_load_b128 v[1:4], off, off offset:440
	v_dual_add_f32 v14, v14, v194 :: v_dual_add_f32 v13, v5, v189
	ds_load_2addr_b64 v[5:8], v21 offset0:117 offset1:118
	v_add_f32_e32 v17, v14, v196
	v_add_f32_e32 v13, v13, v191
	s_delay_alu instid0(VALU_DEP_1) | instskip(NEXT) | instid1(VALU_DEP_1)
	v_add_f32_e32 v13, v13, v193
	v_add_f32_e32 v18, v13, v195
	ds_load_2addr_b64 v[13:16], v21 offset0:119 offset1:120
	s_wait_loadcnt_dscnt 0x201
	v_mul_f32_e32 v161, v7, v12
	v_mul_f32_e32 v12, v8, v12
	v_add_f32_e32 v18, v18, v197
	v_mul_f32_e32 v32, v5, v10
	s_delay_alu instid0(VALU_DEP_4) | instskip(NEXT) | instid1(VALU_DEP_4)
	v_dual_mul_f32 v10, v6, v10 :: v_dual_fmac_f32 v161, v8, v11
	v_fma_f32 v164, v7, v11, -v12
	s_delay_alu instid0(VALU_DEP_4) | instskip(NEXT) | instid1(VALU_DEP_4)
	v_add_f32_e32 v18, v18, v199
	v_fmac_f32_e32 v32, v6, v9
	s_delay_alu instid0(VALU_DEP_4)
	v_fma_f32 v162, v5, v9, -v10
	s_clause 0x1
	scratch_load_b128 v[5:8], off, off offset:456
	scratch_load_b128 v[9:12], off, off offset:472
	s_wait_loadcnt_dscnt 0x200
	v_mul_f32_e32 v166, v15, v4
	v_add_f32_e32 v22, v18, v201
	v_dual_mul_f32 v4, v16, v4 :: v_dual_mul_f32 v165, v13, v2
	v_mul_f32_e32 v2, v14, v2
	s_delay_alu instid0(VALU_DEP_4) | instskip(NEXT) | instid1(VALU_DEP_4)
	v_fmac_f32_e32 v166, v16, v3
	v_add_f32_e32 v22, v22, v203
	s_delay_alu instid0(VALU_DEP_4) | instskip(SKIP_4) | instid1(VALU_DEP_1)
	v_fma_f32 v168, v15, v3, -v4
	v_fmac_f32_e32 v165, v14, v1
	v_fma_f32 v167, v13, v1, -v2
	ds_load_2addr_b64 v[1:4], v21 offset0:121 offset1:122
	v_add_f32_e32 v22, v22, v205
	v_add_f32_e32 v22, v22, v207
	s_delay_alu instid0(VALU_DEP_1) | instskip(NEXT) | instid1(VALU_DEP_1)
	v_add_f32_e32 v13, v22, v209
	v_add_f32_e32 v22, v13, v211
	;; [unrolled: 1-line block ×3, first 2 shown]
	s_delay_alu instid0(VALU_DEP_1) | instskip(NEXT) | instid1(VALU_DEP_1)
	v_add_f32_e32 v17, v17, v200
	v_add_f32_e32 v17, v17, v202
	s_delay_alu instid0(VALU_DEP_1) | instskip(SKIP_2) | instid1(VALU_DEP_1)
	v_add_f32_e32 v23, v17, v204
	scratch_load_b128 v[17:20], off, off offset:488
	v_add_f32_e32 v23, v23, v206
	v_add_f32_e32 v23, v23, v208
	s_delay_alu instid0(VALU_DEP_1) | instskip(NEXT) | instid1(VALU_DEP_1)
	v_add_f32_e32 v23, v23, v210
	v_dual_add_f32 v14, v23, v212 :: v_dual_add_f32 v29, v22, v213
	ds_load_2addr_b64 v[22:25], v21 offset0:125 offset1:126
	v_add_f32_e32 v28, v14, v214
	ds_load_2addr_b64 v[13:16], v21 offset0:123 offset1:124
	v_dual_add_f32 v170, v29, v215 :: v_dual_add_f32 v169, v28, v216
	ds_load_b64 v[28:29], v21 offset:1016
	v_add_f32_e32 v32, v170, v32
	v_add_f32_e32 v162, v169, v162
	s_wait_loadcnt_dscnt 0x203
	v_mul_f32_e32 v169, v1, v6
	v_mul_f32_e32 v6, v2, v6
	s_delay_alu instid0(VALU_DEP_3) | instskip(NEXT) | instid1(VALU_DEP_3)
	v_add_f32_e32 v162, v162, v164
	v_fmac_f32_e32 v169, v2, v5
	s_delay_alu instid0(VALU_DEP_3) | instskip(NEXT) | instid1(VALU_DEP_3)
	v_fma_f32 v1, v1, v5, -v6
	v_add_f32_e32 v162, v162, v167
	s_wait_loadcnt_dscnt 0x101
	v_mul_f32_e32 v164, v13, v10
	v_dual_add_f32 v32, v32, v161 :: v_dual_mul_f32 v161, v3, v8
	v_mul_f32_e32 v8, v4, v8
	v_add_f32_e32 v162, v162, v168
	v_mul_f32_e32 v5, v16, v12
	s_delay_alu instid0(VALU_DEP_4) | instskip(SKIP_3) | instid1(VALU_DEP_4)
	v_add_f32_e32 v32, v32, v165
	v_fmac_f32_e32 v161, v4, v7
	v_fma_f32 v2, v3, v7, -v8
	v_mul_f32_e32 v3, v14, v10
	v_dual_add_f32 v1, v162, v1 :: v_dual_add_f32 v32, v32, v166
	v_dual_mul_f32 v165, v15, v12 :: v_dual_fmac_f32 v164, v14, v9
	s_delay_alu instid0(VALU_DEP_3) | instskip(NEXT) | instid1(VALU_DEP_3)
	v_fma_f32 v3, v13, v9, -v3
	v_dual_add_f32 v1, v1, v2 :: v_dual_add_f32 v4, v32, v169
	s_delay_alu instid0(VALU_DEP_3) | instskip(SKIP_4) | instid1(VALU_DEP_2)
	v_fmac_f32_e32 v165, v16, v11
	v_fma_f32 v5, v15, v11, -v5
	s_wait_dscnt 0x0
	v_mul_f32_e32 v166, v28, v27
	v_dual_add_f32 v1, v1, v3 :: v_dual_add_f32 v2, v4, v161
	v_fmac_f32_e32 v166, v29, v26
	s_delay_alu instid0(VALU_DEP_2) | instskip(NEXT) | instid1(VALU_DEP_1)
	v_dual_add_f32 v1, v1, v5 :: v_dual_add_f32 v2, v2, v164
	v_dual_mul_f32 v5, v29, v27 :: v_dual_add_f32 v2, v2, v165
	s_wait_loadcnt 0x0
	v_mul_f32_e32 v167, v22, v18
	v_mul_f32_e32 v4, v23, v18
	v_mul_f32_e32 v168, v24, v20
	v_mul_f32_e32 v3, v25, v20
	s_delay_alu instid0(VALU_DEP_4) | instskip(NEXT) | instid1(VALU_DEP_4)
	v_fmac_f32_e32 v167, v23, v17
	v_fma_f32 v4, v22, v17, -v4
	s_delay_alu instid0(VALU_DEP_4) | instskip(NEXT) | instid1(VALU_DEP_4)
	v_fmac_f32_e32 v168, v25, v19
	v_fma_f32 v3, v24, v19, -v3
	s_delay_alu instid0(VALU_DEP_3) | instskip(SKIP_1) | instid1(VALU_DEP_2)
	v_dual_add_f32 v2, v2, v167 :: v_dual_add_f32 v1, v1, v4
	v_fma_f32 v4, v28, v26, -v5
	v_dual_add_f32 v2, v2, v168 :: v_dual_add_f32 v1, v1, v3
	s_delay_alu instid0(VALU_DEP_1) | instskip(NEXT) | instid1(VALU_DEP_1)
	v_dual_add_f32 v2, v2, v166 :: v_dual_add_f32 v1, v1, v4
	v_dual_sub_f32 v2, v31, v2 :: v_dual_sub_f32 v1, v30, v1
	scratch_store_b64 off, v[1:2], off offset:128
	v_cmpx_lt_u32_e32 15, v0
	s_cbranch_execz .LBB127_367
; %bb.366:
	scratch_load_b64 v[1:2], off, off offset:120
	v_mov_b32_e32 v22, v21
	scratch_store_b64 off, v[21:22], off offset:120
	s_wait_loadcnt 0x0
	ds_store_b64 v163, v[1:2]
.LBB127_367:
	s_wait_alu 0xfffe
	s_or_b32 exec_lo, exec_lo, s0
	s_wait_storecnt_dscnt 0x0
	s_barrier_signal -1
	s_barrier_wait -1
	global_inv scope:SCOPE_SE
	s_clause 0x4
	scratch_load_b128 v[5:8], off, off offset:128
	scratch_load_b128 v[1:4], off, off offset:144
	;; [unrolled: 1-line block ×5, first 2 shown]
	ds_load_b128 v[22:25], v21 offset:640
	ds_load_b128 v[26:29], v21 offset:656
	;; [unrolled: 1-line block ×3, first 2 shown]
	scratch_load_b64 v[30:31], off, off offset:120
	s_mov_b32 s0, exec_lo
	s_wait_loadcnt_dscnt 0x502
	v_mul_f32_e32 v32, v23, v6
	v_dual_mul_f32 v161, v22, v6 :: v_dual_mul_f32 v162, v24, v8
	v_mul_f32_e32 v6, v25, v8
	s_wait_loadcnt_dscnt 0x300
	v_mul_f32_e32 v168, v166, v12
	v_mul_f32_e32 v12, v167, v12
	v_dual_fmac_f32 v161, v23, v5 :: v_dual_fmac_f32 v162, v25, v7
	v_fma_f32 v23, v24, v7, -v6
	v_mul_f32_e32 v25, v28, v4
	v_fma_f32 v22, v22, v5, -v32
	ds_load_b128 v[5:8], v21 offset:688
	v_mul_f32_e32 v24, v26, v2
	v_mul_f32_e32 v4, v29, v4
	;; [unrolled: 1-line block ×4, first 2 shown]
	v_dual_mul_f32 v2, v27, v2 :: v_dual_fmac_f32 v25, v29, v3
	v_fmac_f32_e32 v24, v27, v1
	v_fma_f32 v27, v28, v3, -v4
	v_fmac_f32_e32 v32, v165, v9
	v_fma_f32 v28, v164, v9, -v10
	;; [unrolled: 2-line block ×3, first 2 shown]
	ds_load_b128 v[9:12], v21 offset:704
	s_wait_loadcnt_dscnt 0x201
	v_dual_mul_f32 v165, v7, v16 :: v_dual_mul_f32 v164, v5, v14
	v_mul_f32_e32 v14, v6, v14
	v_mul_f32_e32 v16, v8, v16
	s_delay_alu instid0(VALU_DEP_3)
	v_fmac_f32_e32 v165, v8, v15
	v_fma_f32 v26, v26, v1, -v2
	scratch_load_b128 v[1:4], off, off offset:208
	v_fmac_f32_e32 v164, v6, v13
	v_fma_f32 v13, v5, v13, -v14
	v_fma_f32 v14, v7, v15, -v16
	ds_load_b128 v[5:8], v21 offset:720
	s_wait_loadcnt_dscnt 0x201
	v_mul_f32_e32 v15, v9, v18
	v_mul_f32_e32 v16, v10, v18
	;; [unrolled: 1-line block ×3, first 2 shown]
	s_delay_alu instid0(VALU_DEP_3) | instskip(NEXT) | instid1(VALU_DEP_3)
	v_dual_mul_f32 v20, v12, v20 :: v_dual_fmac_f32 v15, v10, v17
	v_fma_f32 v16, v9, v17, -v16
	s_delay_alu instid0(VALU_DEP_3) | instskip(NEXT) | instid1(VALU_DEP_3)
	v_fmac_f32_e32 v18, v12, v19
	v_fma_f32 v17, v11, v19, -v20
	scratch_load_b128 v[9:12], off, off offset:224
	s_wait_loadcnt_dscnt 0x100
	v_mul_f32_e32 v19, v5, v2
	v_mul_f32_e32 v2, v6, v2
	v_mul_f32_e32 v20, v7, v4
	s_delay_alu instid0(VALU_DEP_3) | instskip(NEXT) | instid1(VALU_DEP_3)
	v_dual_mul_f32 v4, v8, v4 :: v_dual_fmac_f32 v19, v6, v1
	v_fma_f32 v166, v5, v1, -v2
	s_delay_alu instid0(VALU_DEP_3) | instskip(NEXT) | instid1(VALU_DEP_3)
	v_fmac_f32_e32 v20, v8, v3
	v_fma_f32 v167, v7, v3, -v4
	ds_load_b128 v[1:4], v21 offset:736
	ds_load_b128 v[5:8], v21 offset:752
	s_wait_loadcnt_dscnt 0x1
	v_mul_f32_e32 v169, v1, v10
	v_mul_f32_e32 v10, v2, v10
	s_delay_alu instid0(VALU_DEP_2) | instskip(NEXT) | instid1(VALU_DEP_2)
	v_dual_mul_f32 v170, v3, v12 :: v_dual_fmac_f32 v169, v2, v9
	v_fma_f32 v171, v1, v9, -v10
	v_mul_f32_e32 v1, v4, v12
	s_delay_alu instid0(VALU_DEP_3) | instskip(NEXT) | instid1(VALU_DEP_2)
	v_fmac_f32_e32 v170, v4, v11
	v_fma_f32 v172, v3, v11, -v1
	s_clause 0x1
	scratch_load_b128 v[1:4], off, off offset:240
	scratch_load_b128 v[9:12], off, off offset:256
	s_wait_loadcnt_dscnt 0x100
	v_mul_f32_e32 v173, v5, v2
	v_dual_mul_f32 v2, v6, v2 :: v_dual_mul_f32 v175, v7, v4
	s_delay_alu instid0(VALU_DEP_2) | instskip(NEXT) | instid1(VALU_DEP_2)
	v_fmac_f32_e32 v173, v6, v1
	v_fma_f32 v174, v5, v1, -v2
	v_mul_f32_e32 v1, v8, v4
	s_delay_alu instid0(VALU_DEP_4) | instskip(NEXT) | instid1(VALU_DEP_2)
	v_fmac_f32_e32 v175, v8, v3
	v_fma_f32 v176, v7, v3, -v1
	ds_load_b128 v[1:4], v21 offset:768
	ds_load_b128 v[5:8], v21 offset:784
	s_wait_loadcnt_dscnt 0x1
	v_mul_f32_e32 v177, v1, v10
	v_mul_f32_e32 v179, v3, v12
	s_delay_alu instid0(VALU_DEP_2) | instskip(NEXT) | instid1(VALU_DEP_2)
	v_fmac_f32_e32 v177, v2, v9
	v_dual_mul_f32 v2, v2, v10 :: v_dual_fmac_f32 v179, v4, v11
	s_delay_alu instid0(VALU_DEP_1) | instskip(SKIP_1) | instid1(VALU_DEP_1)
	v_fma_f32 v178, v1, v9, -v2
	v_mul_f32_e32 v1, v4, v12
	v_fma_f32 v180, v3, v11, -v1
	s_clause 0x1
	scratch_load_b128 v[1:4], off, off offset:272
	scratch_load_b128 v[9:12], off, off offset:288
	s_wait_loadcnt_dscnt 0x100
	v_mul_f32_e32 v181, v5, v2
	v_dual_mul_f32 v2, v6, v2 :: v_dual_mul_f32 v183, v7, v4
	s_delay_alu instid0(VALU_DEP_2) | instskip(NEXT) | instid1(VALU_DEP_2)
	v_fmac_f32_e32 v181, v6, v1
	v_fma_f32 v182, v5, v1, -v2
	v_mul_f32_e32 v1, v8, v4
	s_delay_alu instid0(VALU_DEP_4) | instskip(NEXT) | instid1(VALU_DEP_2)
	v_fmac_f32_e32 v183, v8, v3
	v_fma_f32 v184, v7, v3, -v1
	ds_load_b128 v[1:4], v21 offset:800
	ds_load_b128 v[5:8], v21 offset:816
	s_wait_loadcnt_dscnt 0x1
	v_mul_f32_e32 v185, v1, v10
	v_mul_f32_e32 v187, v3, v12
	s_delay_alu instid0(VALU_DEP_2) | instskip(NEXT) | instid1(VALU_DEP_2)
	v_fmac_f32_e32 v185, v2, v9
	v_dual_mul_f32 v2, v2, v10 :: v_dual_fmac_f32 v187, v4, v11
	s_delay_alu instid0(VALU_DEP_1) | instskip(SKIP_1) | instid1(VALU_DEP_1)
	v_fma_f32 v186, v1, v9, -v2
	v_mul_f32_e32 v1, v4, v12
	;; [unrolled: 25-line block ×5, first 2 shown]
	v_fma_f32 v212, v3, v11, -v1
	s_clause 0x1
	scratch_load_b128 v[1:4], off, off offset:400
	scratch_load_b128 v[9:12], off, off offset:416
	s_wait_loadcnt_dscnt 0x100
	v_mul_f32_e32 v213, v5, v2
	v_dual_mul_f32 v2, v6, v2 :: v_dual_mul_f32 v215, v7, v4
	s_delay_alu instid0(VALU_DEP_1) | instskip(NEXT) | instid1(VALU_DEP_2)
	v_fma_f32 v214, v5, v1, -v2
	v_fmac_f32_e32 v215, v8, v3
	s_delay_alu instid0(VALU_DEP_4) | instskip(SKIP_1) | instid1(VALU_DEP_1)
	v_fmac_f32_e32 v213, v6, v1
	v_mul_f32_e32 v1, v8, v4
	v_fma_f32 v216, v7, v3, -v1
	ds_load_b128 v[1:4], v21 offset:928
	ds_load_b128 v[5:8], v21 offset:944
	s_wait_loadcnt_dscnt 0x1
	v_mul_f32_e32 v217, v1, v10
	v_mul_f32_e32 v219, v3, v12
	s_delay_alu instid0(VALU_DEP_1) | instskip(NEXT) | instid1(VALU_DEP_3)
	v_fmac_f32_e32 v219, v4, v11
	v_fmac_f32_e32 v217, v2, v9
	v_mul_f32_e32 v2, v2, v10
	s_delay_alu instid0(VALU_DEP_1) | instskip(SKIP_1) | instid1(VALU_DEP_1)
	v_fma_f32 v218, v1, v9, -v2
	v_mul_f32_e32 v1, v4, v12
	v_fma_f32 v220, v3, v11, -v1
	s_clause 0x1
	scratch_load_b128 v[1:4], off, off offset:432
	scratch_load_b128 v[9:12], off, off offset:448
	s_wait_loadcnt_dscnt 0x100
	v_mul_f32_e32 v221, v5, v2
	v_mul_f32_e32 v2, v6, v2
	s_delay_alu instid0(VALU_DEP_2) | instskip(NEXT) | instid1(VALU_DEP_2)
	v_fmac_f32_e32 v221, v6, v1
	v_fma_f32 v222, v5, v1, -v2
	v_dual_add_f32 v2, 0, v161 :: v_dual_mul_f32 v1, v8, v4
	s_delay_alu instid0(VALU_DEP_1) | instskip(NEXT) | instid1(VALU_DEP_2)
	v_add_f32_e32 v2, v2, v162
	v_fma_f32 v224, v7, v3, -v1
	s_delay_alu instid0(VALU_DEP_2) | instskip(NEXT) | instid1(VALU_DEP_1)
	v_add_f32_e32 v2, v2, v24
	v_add_f32_e32 v2, v2, v25
	s_delay_alu instid0(VALU_DEP_1) | instskip(NEXT) | instid1(VALU_DEP_1)
	v_add_f32_e32 v2, v2, v32
	v_dual_add_f32 v2, v2, v168 :: v_dual_add_f32 v1, 0, v22
	s_delay_alu instid0(VALU_DEP_1) | instskip(NEXT) | instid1(VALU_DEP_1)
	v_dual_add_f32 v2, v2, v164 :: v_dual_add_f32 v1, v1, v23
	v_dual_add_f32 v2, v2, v165 :: v_dual_add_f32 v1, v1, v26
	s_delay_alu instid0(VALU_DEP_1) | instskip(NEXT) | instid1(VALU_DEP_1)
	v_add_f32_e32 v2, v2, v15
	v_dual_add_f32 v1, v1, v27 :: v_dual_add_f32 v2, v2, v18
	s_delay_alu instid0(VALU_DEP_1) | instskip(NEXT) | instid1(VALU_DEP_1)
	v_dual_add_f32 v1, v1, v28 :: v_dual_add_f32 v2, v2, v19
	v_dual_add_f32 v1, v1, v29 :: v_dual_add_f32 v2, v2, v20
	s_delay_alu instid0(VALU_DEP_1) | instskip(NEXT) | instid1(VALU_DEP_1)
	v_add_f32_e32 v1, v1, v13
	v_dual_add_f32 v2, v2, v169 :: v_dual_add_f32 v1, v1, v14
	s_delay_alu instid0(VALU_DEP_1) | instskip(NEXT) | instid1(VALU_DEP_1)
	v_dual_add_f32 v2, v2, v170 :: v_dual_add_f32 v1, v1, v16
	v_add_f32_e32 v2, v2, v173
	s_delay_alu instid0(VALU_DEP_1) | instskip(NEXT) | instid1(VALU_DEP_1)
	v_dual_add_f32 v1, v1, v17 :: v_dual_add_f32 v2, v2, v175
	v_dual_add_f32 v1, v1, v166 :: v_dual_add_f32 v2, v2, v177
	s_delay_alu instid0(VALU_DEP_1) | instskip(NEXT) | instid1(VALU_DEP_2)
	v_add_f32_e32 v1, v1, v167
	v_add_f32_e32 v2, v2, v179
	s_delay_alu instid0(VALU_DEP_1) | instskip(NEXT) | instid1(VALU_DEP_1)
	v_dual_add_f32 v1, v1, v171 :: v_dual_add_f32 v2, v2, v181
	v_dual_add_f32 v1, v1, v172 :: v_dual_add_f32 v2, v2, v183
	s_delay_alu instid0(VALU_DEP_1) | instskip(NEXT) | instid1(VALU_DEP_1)
	v_dual_add_f32 v1, v1, v174 :: v_dual_add_f32 v2, v2, v185
	v_dual_add_f32 v1, v1, v176 :: v_dual_add_f32 v2, v2, v187
	s_delay_alu instid0(VALU_DEP_1) | instskip(NEXT) | instid1(VALU_DEP_1)
	v_add_f32_e32 v1, v1, v178
	v_add_f32_e32 v1, v1, v180
	s_delay_alu instid0(VALU_DEP_1) | instskip(NEXT) | instid1(VALU_DEP_1)
	v_add_f32_e32 v1, v1, v182
	v_add_f32_e32 v1, v1, v184
	;; [unrolled: 3-line block ×5, first 2 shown]
	v_dual_add_f32 v2, v2, v189 :: v_dual_mul_f32 v223, v7, v4
	s_delay_alu instid0(VALU_DEP_2) | instskip(NEXT) | instid1(VALU_DEP_2)
	v_add_f32_e32 v6, v6, v198
	v_add_f32_e32 v2, v2, v191
	s_delay_alu instid0(VALU_DEP_2) | instskip(NEXT) | instid1(VALU_DEP_2)
	v_add_f32_e32 v13, v6, v200
	v_add_f32_e32 v5, v2, v193
	;; [unrolled: 3-line block ×5, first 2 shown]
	v_fmac_f32_e32 v223, v8, v3
	ds_load_b128 v[1:4], v21 offset:960
	ds_load_b128 v[5:8], v21 offset:976
	v_add_f32_e32 v18, v13, v208
	s_delay_alu instid0(VALU_DEP_1) | instskip(NEXT) | instid1(VALU_DEP_1)
	v_add_f32_e32 v18, v18, v210
	v_add_f32_e32 v18, v18, v212
	s_delay_alu instid0(VALU_DEP_1)
	v_add_f32_e32 v22, v18, v214
	s_wait_loadcnt_dscnt 0x1
	v_dual_mul_f32 v25, v1, v10 :: v_dual_mul_f32 v26, v3, v12
	v_mul_f32_e32 v10, v2, v10
	v_mul_f32_e32 v12, v4, v12
	v_add_f32_e32 v14, v14, v201
	s_delay_alu instid0(VALU_DEP_4) | instskip(NEXT) | instid1(VALU_DEP_4)
	v_dual_fmac_f32 v25, v2, v9 :: v_dual_fmac_f32 v26, v4, v11
	v_fma_f32 v27, v1, v9, -v10
	s_delay_alu instid0(VALU_DEP_4) | instskip(SKIP_4) | instid1(VALU_DEP_1)
	v_fma_f32 v28, v3, v11, -v12
	s_clause 0x1
	scratch_load_b128 v[1:4], off, off offset:464
	scratch_load_b128 v[9:12], off, off offset:480
	v_add_f32_e32 v14, v14, v203
	v_add_f32_e32 v17, v14, v205
	scratch_load_b128 v[13:16], off, off offset:496
	v_add_f32_e32 v17, v17, v207
	s_delay_alu instid0(VALU_DEP_1) | instskip(NEXT) | instid1(VALU_DEP_1)
	v_add_f32_e32 v17, v17, v209
	v_add_f32_e32 v17, v17, v211
	s_delay_alu instid0(VALU_DEP_1) | instskip(SKIP_2) | instid1(VALU_DEP_1)
	v_add_f32_e32 v23, v17, v213
	ds_load_b128 v[17:20], v21 offset:992
	v_add_f32_e32 v32, v23, v215
	v_add_f32_e32 v32, v32, v217
	s_delay_alu instid0(VALU_DEP_1) | instskip(SKIP_2) | instid1(VALU_DEP_2)
	v_add_f32_e32 v32, v32, v219
	s_wait_loadcnt_dscnt 0x201
	v_mul_f32_e32 v162, v7, v4
	v_dual_add_f32 v32, v32, v221 :: v_dual_mul_f32 v161, v5, v2
	v_mul_f32_e32 v2, v6, v2
	v_mul_f32_e32 v4, v8, v4
	s_wait_loadcnt_dscnt 0x100
	v_mul_f32_e32 v164, v17, v10
	v_dual_add_f32 v32, v32, v223 :: v_dual_fmac_f32 v161, v6, v1
	v_fma_f32 v2, v5, v1, -v2
	v_mul_f32_e32 v6, v18, v10
	v_fmac_f32_e32 v162, v8, v3
	s_delay_alu instid0(VALU_DEP_4) | instskip(SKIP_3) | instid1(VALU_DEP_4)
	v_add_f32_e32 v25, v32, v25
	v_fma_f32 v3, v7, v3, -v4
	v_mul_f32_e32 v165, v19, v12
	v_mul_f32_e32 v4, v20, v12
	v_dual_fmac_f32 v164, v18, v9 :: v_dual_add_f32 v5, v25, v26
	v_add_f32_e32 v29, v22, v216
	ds_load_b128 v[21:24], v21 offset:1008
	v_fmac_f32_e32 v165, v20, v11
	v_fma_f32 v4, v19, v11, -v4
	v_add_f32_e32 v29, v29, v218
	s_delay_alu instid0(VALU_DEP_1) | instskip(NEXT) | instid1(VALU_DEP_1)
	v_add_f32_e32 v29, v29, v220
	v_add_f32_e32 v29, v29, v222
	s_delay_alu instid0(VALU_DEP_1) | instskip(SKIP_2) | instid1(VALU_DEP_2)
	v_add_f32_e32 v29, v29, v224
	s_wait_loadcnt_dscnt 0x0
	v_mul_f32_e32 v166, v21, v14
	v_add_f32_e32 v27, v29, v27
	s_delay_alu instid0(VALU_DEP_2) | instskip(NEXT) | instid1(VALU_DEP_2)
	v_dual_mul_f32 v29, v23, v16 :: v_dual_fmac_f32 v166, v22, v13
	v_add_f32_e32 v1, v27, v28
	s_delay_alu instid0(VALU_DEP_2) | instskip(NEXT) | instid1(VALU_DEP_2)
	v_fmac_f32_e32 v29, v24, v15
	v_add_f32_e32 v1, v1, v2
	v_add_f32_e32 v2, v5, v161
	v_fma_f32 v5, v17, v9, -v6
	s_delay_alu instid0(VALU_DEP_2) | instskip(SKIP_1) | instid1(VALU_DEP_2)
	v_dual_add_f32 v1, v1, v3 :: v_dual_add_f32 v2, v2, v162
	v_mul_f32_e32 v3, v22, v14
	v_dual_add_f32 v1, v1, v5 :: v_dual_add_f32 v2, v2, v164
	v_mul_f32_e32 v5, v24, v16
	s_delay_alu instid0(VALU_DEP_3) | instskip(NEXT) | instid1(VALU_DEP_3)
	v_fma_f32 v3, v21, v13, -v3
	v_dual_add_f32 v1, v1, v4 :: v_dual_add_f32 v2, v2, v165
	s_delay_alu instid0(VALU_DEP_3) | instskip(NEXT) | instid1(VALU_DEP_2)
	v_fma_f32 v4, v23, v15, -v5
	v_dual_add_f32 v1, v1, v3 :: v_dual_add_f32 v2, v2, v166
	s_delay_alu instid0(VALU_DEP_1) | instskip(NEXT) | instid1(VALU_DEP_1)
	v_dual_add_f32 v1, v1, v4 :: v_dual_add_f32 v2, v2, v29
	v_dual_sub_f32 v1, v30, v1 :: v_dual_sub_f32 v2, v31, v2
	scratch_store_b64 off, v[1:2], off offset:120
	v_cmpx_lt_u32_e32 14, v0
	s_cbranch_execz .LBB127_369
; %bb.368:
	scratch_load_b64 v[1:2], off, off offset:112
	v_mov_b32_e32 v3, 0
	s_delay_alu instid0(VALU_DEP_1)
	v_mov_b32_e32 v4, v3
	scratch_store_b64 off, v[3:4], off offset:112
	s_wait_loadcnt 0x0
	ds_store_b64 v163, v[1:2]
.LBB127_369:
	s_wait_alu 0xfffe
	s_or_b32 exec_lo, exec_lo, s0
	s_wait_storecnt_dscnt 0x0
	s_barrier_signal -1
	s_barrier_wait -1
	global_inv scope:SCOPE_SE
	s_clause 0x4
	scratch_load_b128 v[5:8], off, off offset:120
	scratch_load_b128 v[1:4], off, off offset:136
	;; [unrolled: 1-line block ×5, first 2 shown]
	v_mov_b32_e32 v25, 0
	ds_load_2addr_b64 v[21:24], v25 offset0:79 offset1:80
	ds_load_2addr_b64 v[26:29], v25 offset0:81 offset1:82
	;; [unrolled: 1-line block ×3, first 2 shown]
	scratch_load_b64 v[30:31], off, off offset:112
	s_mov_b32 s0, exec_lo
	s_wait_loadcnt_dscnt 0x502
	v_mul_f32_e32 v32, v22, v6
	v_dual_mul_f32 v161, v21, v6 :: v_dual_mul_f32 v162, v23, v8
	v_mul_f32_e32 v6, v24, v8
	s_wait_loadcnt_dscnt 0x300
	v_mul_f32_e32 v168, v166, v12
	v_fma_f32 v21, v21, v5, -v32
	v_dual_fmac_f32 v161, v22, v5 :: v_dual_fmac_f32 v162, v24, v7
	v_fma_f32 v22, v23, v7, -v6
	ds_load_2addr_b64 v[5:8], v25 offset0:85 offset1:86
	v_dual_mul_f32 v23, v26, v2 :: v_dual_mul_f32 v24, v28, v4
	v_mul_f32_e32 v4, v29, v4
	v_mul_f32_e32 v32, v164, v10
	;; [unrolled: 1-line block ×5, first 2 shown]
	v_dual_fmac_f32 v23, v27, v1 :: v_dual_fmac_f32 v24, v29, v3
	v_fma_f32 v27, v28, v3, -v4
	v_fmac_f32_e32 v32, v165, v9
	v_fma_f32 v28, v164, v9, -v10
	v_fmac_f32_e32 v168, v167, v11
	v_fma_f32 v29, v166, v11, -v12
	ds_load_2addr_b64 v[9:12], v25 offset0:87 offset1:88
	s_wait_loadcnt_dscnt 0x201
	v_dual_mul_f32 v165, v7, v16 :: v_dual_mul_f32 v164, v5, v14
	v_mul_f32_e32 v14, v6, v14
	v_mul_f32_e32 v16, v8, v16
	s_delay_alu instid0(VALU_DEP_3)
	v_fmac_f32_e32 v165, v8, v15
	v_fma_f32 v26, v26, v1, -v2
	scratch_load_b128 v[1:4], off, off offset:200
	v_fmac_f32_e32 v164, v6, v13
	v_fma_f32 v13, v5, v13, -v14
	v_fma_f32 v14, v7, v15, -v16
	ds_load_2addr_b64 v[5:8], v25 offset0:89 offset1:90
	s_wait_loadcnt_dscnt 0x201
	v_mul_f32_e32 v15, v9, v18
	v_mul_f32_e32 v16, v10, v18
	;; [unrolled: 1-line block ×3, first 2 shown]
	s_delay_alu instid0(VALU_DEP_3) | instskip(NEXT) | instid1(VALU_DEP_3)
	v_dual_mul_f32 v20, v12, v20 :: v_dual_fmac_f32 v15, v10, v17
	v_fma_f32 v16, v9, v17, -v16
	s_delay_alu instid0(VALU_DEP_3) | instskip(NEXT) | instid1(VALU_DEP_3)
	v_fmac_f32_e32 v18, v12, v19
	v_fma_f32 v17, v11, v19, -v20
	scratch_load_b128 v[9:12], off, off offset:216
	s_wait_loadcnt_dscnt 0x100
	v_mul_f32_e32 v19, v5, v2
	v_mul_f32_e32 v2, v6, v2
	;; [unrolled: 1-line block ×3, first 2 shown]
	s_delay_alu instid0(VALU_DEP_3) | instskip(NEXT) | instid1(VALU_DEP_3)
	v_dual_mul_f32 v4, v8, v4 :: v_dual_fmac_f32 v19, v6, v1
	v_fma_f32 v166, v5, v1, -v2
	s_delay_alu instid0(VALU_DEP_3) | instskip(NEXT) | instid1(VALU_DEP_3)
	v_fmac_f32_e32 v20, v8, v3
	v_fma_f32 v167, v7, v3, -v4
	ds_load_2addr_b64 v[1:4], v25 offset0:91 offset1:92
	ds_load_2addr_b64 v[5:8], v25 offset0:93 offset1:94
	s_wait_loadcnt_dscnt 0x1
	v_mul_f32_e32 v169, v1, v10
	v_mul_f32_e32 v10, v2, v10
	s_delay_alu instid0(VALU_DEP_2) | instskip(NEXT) | instid1(VALU_DEP_2)
	v_dual_mul_f32 v170, v3, v12 :: v_dual_fmac_f32 v169, v2, v9
	v_fma_f32 v171, v1, v9, -v10
	v_mul_f32_e32 v1, v4, v12
	s_delay_alu instid0(VALU_DEP_3) | instskip(NEXT) | instid1(VALU_DEP_2)
	v_fmac_f32_e32 v170, v4, v11
	v_fma_f32 v172, v3, v11, -v1
	s_clause 0x1
	scratch_load_b128 v[1:4], off, off offset:232
	scratch_load_b128 v[9:12], off, off offset:248
	s_wait_loadcnt_dscnt 0x100
	v_mul_f32_e32 v173, v5, v2
	v_dual_mul_f32 v2, v6, v2 :: v_dual_mul_f32 v175, v7, v4
	s_delay_alu instid0(VALU_DEP_2) | instskip(NEXT) | instid1(VALU_DEP_2)
	v_fmac_f32_e32 v173, v6, v1
	v_fma_f32 v174, v5, v1, -v2
	v_mul_f32_e32 v1, v8, v4
	s_delay_alu instid0(VALU_DEP_4) | instskip(NEXT) | instid1(VALU_DEP_2)
	v_fmac_f32_e32 v175, v8, v3
	v_fma_f32 v176, v7, v3, -v1
	ds_load_2addr_b64 v[1:4], v25 offset0:95 offset1:96
	ds_load_2addr_b64 v[5:8], v25 offset0:97 offset1:98
	s_wait_loadcnt_dscnt 0x1
	v_mul_f32_e32 v177, v1, v10
	v_mul_f32_e32 v179, v3, v12
	s_delay_alu instid0(VALU_DEP_2) | instskip(NEXT) | instid1(VALU_DEP_2)
	v_fmac_f32_e32 v177, v2, v9
	v_dual_mul_f32 v2, v2, v10 :: v_dual_fmac_f32 v179, v4, v11
	s_delay_alu instid0(VALU_DEP_1) | instskip(SKIP_1) | instid1(VALU_DEP_1)
	v_fma_f32 v178, v1, v9, -v2
	v_mul_f32_e32 v1, v4, v12
	v_fma_f32 v180, v3, v11, -v1
	s_clause 0x1
	scratch_load_b128 v[1:4], off, off offset:264
	scratch_load_b128 v[9:12], off, off offset:280
	s_wait_loadcnt_dscnt 0x100
	v_mul_f32_e32 v181, v5, v2
	v_dual_mul_f32 v2, v6, v2 :: v_dual_mul_f32 v183, v7, v4
	s_delay_alu instid0(VALU_DEP_2) | instskip(NEXT) | instid1(VALU_DEP_2)
	v_fmac_f32_e32 v181, v6, v1
	v_fma_f32 v182, v5, v1, -v2
	v_mul_f32_e32 v1, v8, v4
	s_delay_alu instid0(VALU_DEP_4) | instskip(NEXT) | instid1(VALU_DEP_2)
	v_fmac_f32_e32 v183, v8, v3
	v_fma_f32 v184, v7, v3, -v1
	ds_load_2addr_b64 v[1:4], v25 offset0:99 offset1:100
	ds_load_2addr_b64 v[5:8], v25 offset0:101 offset1:102
	s_wait_loadcnt_dscnt 0x1
	v_mul_f32_e32 v185, v1, v10
	v_mul_f32_e32 v187, v3, v12
	s_delay_alu instid0(VALU_DEP_2) | instskip(NEXT) | instid1(VALU_DEP_2)
	v_fmac_f32_e32 v185, v2, v9
	v_dual_mul_f32 v2, v2, v10 :: v_dual_fmac_f32 v187, v4, v11
	s_delay_alu instid0(VALU_DEP_1) | instskip(SKIP_1) | instid1(VALU_DEP_1)
	v_fma_f32 v186, v1, v9, -v2
	v_mul_f32_e32 v1, v4, v12
	v_fma_f32 v188, v3, v11, -v1
	s_clause 0x1
	scratch_load_b128 v[1:4], off, off offset:296
	scratch_load_b128 v[9:12], off, off offset:312
	s_wait_loadcnt_dscnt 0x100
	v_mul_f32_e32 v189, v5, v2
	v_dual_mul_f32 v2, v6, v2 :: v_dual_mul_f32 v191, v7, v4
	s_delay_alu instid0(VALU_DEP_2) | instskip(NEXT) | instid1(VALU_DEP_2)
	v_fmac_f32_e32 v189, v6, v1
	v_fma_f32 v190, v5, v1, -v2
	v_mul_f32_e32 v1, v8, v4
	s_delay_alu instid0(VALU_DEP_4) | instskip(NEXT) | instid1(VALU_DEP_2)
	v_fmac_f32_e32 v191, v8, v3
	v_fma_f32 v192, v7, v3, -v1
	ds_load_2addr_b64 v[1:4], v25 offset0:103 offset1:104
	ds_load_2addr_b64 v[5:8], v25 offset0:105 offset1:106
	s_wait_loadcnt_dscnt 0x1
	v_mul_f32_e32 v193, v1, v10
	v_mul_f32_e32 v195, v3, v12
	s_delay_alu instid0(VALU_DEP_2) | instskip(NEXT) | instid1(VALU_DEP_2)
	v_fmac_f32_e32 v193, v2, v9
	v_dual_mul_f32 v2, v2, v10 :: v_dual_fmac_f32 v195, v4, v11
	s_delay_alu instid0(VALU_DEP_1) | instskip(SKIP_1) | instid1(VALU_DEP_1)
	v_fma_f32 v194, v1, v9, -v2
	v_mul_f32_e32 v1, v4, v12
	v_fma_f32 v196, v3, v11, -v1
	s_clause 0x1
	scratch_load_b128 v[1:4], off, off offset:328
	scratch_load_b128 v[9:12], off, off offset:344
	s_wait_loadcnt_dscnt 0x100
	v_mul_f32_e32 v197, v5, v2
	v_dual_mul_f32 v2, v6, v2 :: v_dual_mul_f32 v199, v7, v4
	s_delay_alu instid0(VALU_DEP_2) | instskip(NEXT) | instid1(VALU_DEP_2)
	v_fmac_f32_e32 v197, v6, v1
	v_fma_f32 v198, v5, v1, -v2
	v_mul_f32_e32 v1, v8, v4
	s_delay_alu instid0(VALU_DEP_4) | instskip(NEXT) | instid1(VALU_DEP_2)
	v_fmac_f32_e32 v199, v8, v3
	v_fma_f32 v200, v7, v3, -v1
	ds_load_2addr_b64 v[1:4], v25 offset0:107 offset1:108
	ds_load_2addr_b64 v[5:8], v25 offset0:109 offset1:110
	s_wait_loadcnt_dscnt 0x1
	v_mul_f32_e32 v201, v1, v10
	v_mul_f32_e32 v203, v3, v12
	s_delay_alu instid0(VALU_DEP_2) | instskip(NEXT) | instid1(VALU_DEP_2)
	v_fmac_f32_e32 v201, v2, v9
	v_dual_mul_f32 v2, v2, v10 :: v_dual_fmac_f32 v203, v4, v11
	s_delay_alu instid0(VALU_DEP_1) | instskip(SKIP_1) | instid1(VALU_DEP_1)
	v_fma_f32 v202, v1, v9, -v2
	v_mul_f32_e32 v1, v4, v12
	v_fma_f32 v204, v3, v11, -v1
	s_clause 0x1
	scratch_load_b128 v[1:4], off, off offset:360
	scratch_load_b128 v[9:12], off, off offset:376
	s_wait_loadcnt_dscnt 0x100
	v_mul_f32_e32 v205, v5, v2
	v_dual_mul_f32 v2, v6, v2 :: v_dual_mul_f32 v207, v7, v4
	s_delay_alu instid0(VALU_DEP_2) | instskip(NEXT) | instid1(VALU_DEP_2)
	v_fmac_f32_e32 v205, v6, v1
	v_fma_f32 v206, v5, v1, -v2
	v_mul_f32_e32 v1, v8, v4
	s_delay_alu instid0(VALU_DEP_4) | instskip(NEXT) | instid1(VALU_DEP_2)
	v_fmac_f32_e32 v207, v8, v3
	v_fma_f32 v208, v7, v3, -v1
	ds_load_2addr_b64 v[1:4], v25 offset0:111 offset1:112
	ds_load_2addr_b64 v[5:8], v25 offset0:113 offset1:114
	s_wait_loadcnt_dscnt 0x1
	v_mul_f32_e32 v209, v1, v10
	v_mul_f32_e32 v211, v3, v12
	s_delay_alu instid0(VALU_DEP_2) | instskip(NEXT) | instid1(VALU_DEP_2)
	v_fmac_f32_e32 v209, v2, v9
	v_dual_mul_f32 v2, v2, v10 :: v_dual_fmac_f32 v211, v4, v11
	s_delay_alu instid0(VALU_DEP_1) | instskip(SKIP_1) | instid1(VALU_DEP_1)
	v_fma_f32 v210, v1, v9, -v2
	v_mul_f32_e32 v1, v4, v12
	v_fma_f32 v212, v3, v11, -v1
	s_clause 0x1
	scratch_load_b128 v[1:4], off, off offset:392
	scratch_load_b128 v[9:12], off, off offset:408
	s_wait_loadcnt_dscnt 0x100
	v_mul_f32_e32 v213, v5, v2
	v_dual_mul_f32 v2, v6, v2 :: v_dual_mul_f32 v215, v7, v4
	s_delay_alu instid0(VALU_DEP_2) | instskip(NEXT) | instid1(VALU_DEP_2)
	v_fmac_f32_e32 v213, v6, v1
	v_fma_f32 v214, v5, v1, -v2
	v_mul_f32_e32 v1, v8, v4
	s_delay_alu instid0(VALU_DEP_4) | instskip(NEXT) | instid1(VALU_DEP_2)
	v_fmac_f32_e32 v215, v8, v3
	v_fma_f32 v216, v7, v3, -v1
	ds_load_2addr_b64 v[1:4], v25 offset0:115 offset1:116
	ds_load_2addr_b64 v[5:8], v25 offset0:117 offset1:118
	s_wait_loadcnt_dscnt 0x1
	v_mul_f32_e32 v217, v1, v10
	v_mul_f32_e32 v219, v3, v12
	s_delay_alu instid0(VALU_DEP_2) | instskip(NEXT) | instid1(VALU_DEP_2)
	v_fmac_f32_e32 v217, v2, v9
	v_dual_mul_f32 v2, v2, v10 :: v_dual_fmac_f32 v219, v4, v11
	s_delay_alu instid0(VALU_DEP_1) | instskip(SKIP_1) | instid1(VALU_DEP_1)
	v_fma_f32 v218, v1, v9, -v2
	v_mul_f32_e32 v1, v4, v12
	v_fma_f32 v220, v3, v11, -v1
	s_clause 0x1
	scratch_load_b128 v[1:4], off, off offset:424
	scratch_load_b128 v[9:12], off, off offset:440
	s_wait_loadcnt_dscnt 0x100
	v_mul_f32_e32 v221, v5, v2
	v_mul_f32_e32 v2, v6, v2
	s_delay_alu instid0(VALU_DEP_2) | instskip(NEXT) | instid1(VALU_DEP_2)
	v_fmac_f32_e32 v221, v6, v1
	v_fma_f32 v222, v5, v1, -v2
	v_dual_add_f32 v2, 0, v161 :: v_dual_mul_f32 v1, v8, v4
	s_delay_alu instid0(VALU_DEP_1) | instskip(NEXT) | instid1(VALU_DEP_2)
	v_add_f32_e32 v2, v2, v162
	v_fma_f32 v224, v7, v3, -v1
	s_delay_alu instid0(VALU_DEP_2) | instskip(NEXT) | instid1(VALU_DEP_1)
	v_add_f32_e32 v2, v2, v23
	v_add_f32_e32 v2, v2, v24
	s_delay_alu instid0(VALU_DEP_1) | instskip(NEXT) | instid1(VALU_DEP_1)
	v_add_f32_e32 v2, v2, v32
	v_dual_add_f32 v2, v2, v168 :: v_dual_add_f32 v1, 0, v21
	s_delay_alu instid0(VALU_DEP_1) | instskip(NEXT) | instid1(VALU_DEP_1)
	v_dual_add_f32 v2, v2, v164 :: v_dual_add_f32 v1, v1, v22
	v_dual_add_f32 v2, v2, v165 :: v_dual_add_f32 v1, v1, v26
	s_delay_alu instid0(VALU_DEP_1) | instskip(NEXT) | instid1(VALU_DEP_2)
	v_add_f32_e32 v2, v2, v15
	v_add_f32_e32 v1, v1, v27
	scratch_load_b64 v[26:27], off, off offset:504
	v_dual_add_f32 v2, v2, v18 :: v_dual_add_f32 v1, v1, v28
	s_delay_alu instid0(VALU_DEP_1) | instskip(NEXT) | instid1(VALU_DEP_1)
	v_dual_add_f32 v2, v2, v19 :: v_dual_add_f32 v1, v1, v29
	v_dual_add_f32 v2, v2, v20 :: v_dual_add_f32 v1, v1, v13
	s_delay_alu instid0(VALU_DEP_1) | instskip(NEXT) | instid1(VALU_DEP_1)
	v_dual_add_f32 v2, v2, v169 :: v_dual_add_f32 v1, v1, v14
	v_dual_add_f32 v2, v2, v170 :: v_dual_add_f32 v1, v1, v16
	s_delay_alu instid0(VALU_DEP_1) | instskip(NEXT) | instid1(VALU_DEP_1)
	v_add_f32_e32 v2, v2, v173
	v_dual_add_f32 v1, v1, v17 :: v_dual_add_f32 v2, v2, v175
	s_delay_alu instid0(VALU_DEP_1) | instskip(NEXT) | instid1(VALU_DEP_1)
	v_dual_add_f32 v1, v1, v166 :: v_dual_add_f32 v2, v2, v177
	v_add_f32_e32 v1, v1, v167
	s_delay_alu instid0(VALU_DEP_2) | instskip(NEXT) | instid1(VALU_DEP_1)
	v_add_f32_e32 v2, v2, v179
	v_dual_add_f32 v1, v1, v171 :: v_dual_add_f32 v2, v2, v181
	s_delay_alu instid0(VALU_DEP_1) | instskip(NEXT) | instid1(VALU_DEP_1)
	v_dual_add_f32 v1, v1, v172 :: v_dual_add_f32 v2, v2, v183
	v_add_f32_e32 v1, v1, v174
	s_delay_alu instid0(VALU_DEP_1) | instskip(NEXT) | instid1(VALU_DEP_1)
	v_add_f32_e32 v1, v1, v176
	v_add_f32_e32 v1, v1, v178
	s_delay_alu instid0(VALU_DEP_1) | instskip(NEXT) | instid1(VALU_DEP_1)
	v_add_f32_e32 v1, v1, v180
	;; [unrolled: 3-line block ×5, first 2 shown]
	v_add_f32_e32 v1, v1, v194
	s_delay_alu instid0(VALU_DEP_1) | instskip(SKIP_1) | instid1(VALU_DEP_2)
	v_add_f32_e32 v6, v1, v196
	v_dual_add_f32 v2, v2, v185 :: v_dual_mul_f32 v223, v7, v4
	v_add_f32_e32 v6, v6, v198
	s_delay_alu instid0(VALU_DEP_2) | instskip(NEXT) | instid1(VALU_DEP_3)
	v_add_f32_e32 v2, v2, v187
	v_fmac_f32_e32 v223, v8, v3
	s_delay_alu instid0(VALU_DEP_3) | instskip(NEXT) | instid1(VALU_DEP_1)
	v_add_f32_e32 v13, v6, v200
	v_dual_add_f32 v2, v2, v189 :: v_dual_add_f32 v13, v13, v202
	s_delay_alu instid0(VALU_DEP_1) | instskip(NEXT) | instid1(VALU_DEP_1)
	v_dual_add_f32 v2, v2, v191 :: v_dual_add_f32 v13, v13, v204
	v_add_f32_e32 v5, v2, v193
	ds_load_2addr_b64 v[1:4], v25 offset0:119 offset1:120
	v_add_f32_e32 v13, v13, v206
	v_add_f32_e32 v5, v5, v195
	s_delay_alu instid0(VALU_DEP_2) | instskip(NEXT) | instid1(VALU_DEP_1)
	v_add_f32_e32 v18, v13, v208
	v_dual_add_f32 v5, v5, v197 :: v_dual_add_f32 v18, v18, v210
	s_delay_alu instid0(VALU_DEP_1)
	v_add_f32_e32 v14, v5, v199
	ds_load_2addr_b64 v[5:8], v25 offset0:121 offset1:122
	v_add_f32_e32 v18, v18, v212
	v_add_f32_e32 v14, v14, v201
	s_wait_loadcnt_dscnt 0x101
	v_mul_f32_e32 v32, v1, v10
	v_dual_mul_f32 v10, v2, v10 :: v_dual_mul_f32 v161, v3, v12
	v_mul_f32_e32 v12, v4, v12
	v_add_f32_e32 v14, v14, v203
	s_delay_alu instid0(VALU_DEP_4) | instskip(NEXT) | instid1(VALU_DEP_4)
	v_fmac_f32_e32 v32, v2, v9
	v_fma_f32 v162, v1, v9, -v10
	v_fmac_f32_e32 v161, v4, v11
	v_fma_f32 v164, v3, v11, -v12
	s_clause 0x1
	scratch_load_b128 v[1:4], off, off offset:456
	scratch_load_b128 v[9:12], off, off offset:472
	v_add_f32_e32 v17, v14, v205
	scratch_load_b128 v[13:16], off, off offset:488
	v_dual_add_f32 v18, v18, v214 :: v_dual_add_f32 v17, v17, v207
	s_delay_alu instid0(VALU_DEP_1) | instskip(NEXT) | instid1(VALU_DEP_1)
	v_add_f32_e32 v18, v18, v216
	v_add_f32_e32 v28, v18, v218
	s_delay_alu instid0(VALU_DEP_1) | instskip(NEXT) | instid1(VALU_DEP_1)
	v_add_f32_e32 v165, v28, v220
	v_add_f32_e32 v165, v165, v222
	s_delay_alu instid0(VALU_DEP_1) | instskip(NEXT) | instid1(VALU_DEP_1)
	v_add_f32_e32 v165, v165, v224
	v_add_f32_e32 v162, v165, v162
	s_delay_alu instid0(VALU_DEP_1) | instskip(SKIP_4) | instid1(VALU_DEP_3)
	v_add_f32_e32 v162, v162, v164
	s_wait_loadcnt_dscnt 0x200
	v_dual_mul_f32 v168, v7, v4 :: v_dual_add_f32 v17, v17, v209
	v_dual_mul_f32 v4, v8, v4 :: v_dual_mul_f32 v167, v5, v2
	v_mul_f32_e32 v2, v6, v2
	v_fmac_f32_e32 v168, v8, v3
	s_delay_alu instid0(VALU_DEP_4) | instskip(NEXT) | instid1(VALU_DEP_4)
	v_add_f32_e32 v17, v17, v211
	v_fmac_f32_e32 v167, v6, v1
	s_delay_alu instid0(VALU_DEP_4) | instskip(SKIP_1) | instid1(VALU_DEP_2)
	v_fma_f32 v2, v5, v1, -v2
	v_fma_f32 v1, v7, v3, -v4
	v_dual_add_f32 v17, v17, v213 :: v_dual_add_f32 v2, v162, v2
	s_delay_alu instid0(VALU_DEP_1)
	v_add_f32_e32 v21, v17, v215
	ds_load_2addr_b64 v[17:20], v25 offset0:123 offset1:124
	v_add_f32_e32 v1, v2, v1
	v_add_f32_e32 v29, v21, v217
	ds_load_2addr_b64 v[21:24], v25 offset0:125 offset1:126
	v_add_f32_e32 v166, v29, v219
	ds_load_b64 v[28:29], v25 offset:1016
	v_add_f32_e32 v166, v166, v221
	s_wait_loadcnt_dscnt 0x102
	s_delay_alu instid0(VALU_DEP_1) | instskip(SKIP_2) | instid1(VALU_DEP_3)
	v_dual_add_f32 v166, v166, v223 :: v_dual_mul_f32 v165, v17, v10
	v_mul_f32_e32 v3, v18, v10
	v_mul_f32_e32 v5, v20, v12
	v_add_f32_e32 v32, v166, v32
	s_delay_alu instid0(VALU_DEP_4) | instskip(NEXT) | instid1(VALU_DEP_4)
	v_dual_mul_f32 v166, v19, v12 :: v_dual_fmac_f32 v165, v18, v9
	v_fma_f32 v3, v17, v9, -v3
	s_wait_loadcnt_dscnt 0x1
	s_delay_alu instid0(VALU_DEP_3) | instskip(NEXT) | instid1(VALU_DEP_3)
	v_dual_mul_f32 v169, v21, v14 :: v_dual_add_f32 v32, v32, v161
	v_fmac_f32_e32 v166, v20, v11
	v_fma_f32 v5, v19, v11, -v5
	v_dual_add_f32 v1, v1, v3 :: v_dual_mul_f32 v164, v23, v16
	s_delay_alu instid0(VALU_DEP_4) | instskip(SKIP_2) | instid1(VALU_DEP_4)
	v_add_f32_e32 v4, v32, v167
	v_mul_f32_e32 v3, v24, v16
	v_fmac_f32_e32 v169, v22, v13
	v_add_f32_e32 v1, v1, v5
	s_wait_dscnt 0x0
	v_mul_f32_e32 v161, v28, v27
	v_add_f32_e32 v2, v4, v168
	v_dual_mul_f32 v4, v22, v14 :: v_dual_mul_f32 v5, v29, v27
	v_fmac_f32_e32 v164, v24, v15
	v_fma_f32 v3, v23, v15, -v3
	s_delay_alu instid0(VALU_DEP_4) | instskip(NEXT) | instid1(VALU_DEP_4)
	v_add_f32_e32 v2, v2, v165
	v_fma_f32 v4, v21, v13, -v4
	v_fmac_f32_e32 v161, v29, v26
	s_delay_alu instid0(VALU_DEP_2) | instskip(SKIP_1) | instid1(VALU_DEP_2)
	v_dual_add_f32 v2, v2, v166 :: v_dual_add_f32 v1, v1, v4
	v_fma_f32 v4, v28, v26, -v5
	v_dual_add_f32 v2, v2, v169 :: v_dual_add_f32 v1, v1, v3
	s_delay_alu instid0(VALU_DEP_1) | instskip(NEXT) | instid1(VALU_DEP_1)
	v_add_f32_e32 v2, v2, v164
	v_dual_add_f32 v1, v1, v4 :: v_dual_add_f32 v2, v2, v161
	s_delay_alu instid0(VALU_DEP_1)
	v_dual_sub_f32 v1, v30, v1 :: v_dual_sub_f32 v2, v31, v2
	scratch_store_b64 off, v[1:2], off offset:112
	v_cmpx_lt_u32_e32 13, v0
	s_cbranch_execz .LBB127_371
; %bb.370:
	scratch_load_b64 v[1:2], off, off offset:104
	v_mov_b32_e32 v26, v25
	scratch_store_b64 off, v[25:26], off offset:104
	s_wait_loadcnt 0x0
	ds_store_b64 v163, v[1:2]
.LBB127_371:
	s_wait_alu 0xfffe
	s_or_b32 exec_lo, exec_lo, s0
	s_wait_storecnt_dscnt 0x0
	s_barrier_signal -1
	s_barrier_wait -1
	global_inv scope:SCOPE_SE
	s_clause 0x4
	scratch_load_b128 v[5:8], off, off offset:112
	scratch_load_b128 v[1:4], off, off offset:128
	;; [unrolled: 1-line block ×5, first 2 shown]
	ds_load_b128 v[21:24], v25 offset:624
	ds_load_b128 v[26:29], v25 offset:640
	;; [unrolled: 1-line block ×3, first 2 shown]
	scratch_load_b64 v[30:31], off, off offset:104
	s_mov_b32 s0, exec_lo
	s_wait_loadcnt_dscnt 0x502
	v_dual_mul_f32 v32, v21, v6 :: v_dual_mul_f32 v161, v23, v8
	v_mul_f32_e32 v6, v22, v6
	v_mul_f32_e32 v8, v24, v8
	s_wait_loadcnt_dscnt 0x300
	v_mul_f32_e32 v162, v164, v10
	v_dual_fmac_f32 v32, v22, v5 :: v_dual_fmac_f32 v161, v24, v7
	v_fma_f32 v21, v21, v5, -v6
	v_fma_f32 v22, v23, v7, -v8
	ds_load_b128 v[5:8], v25 offset:672
	v_dual_mul_f32 v23, v26, v2 :: v_dual_mul_f32 v24, v28, v4
	v_mul_f32_e32 v4, v29, v4
	v_mul_f32_e32 v10, v165, v10
	;; [unrolled: 1-line block ×5, first 2 shown]
	v_dual_fmac_f32 v23, v27, v1 :: v_dual_fmac_f32 v24, v29, v3
	v_fma_f32 v27, v28, v3, -v4
	v_fmac_f32_e32 v162, v165, v9
	v_fma_f32 v28, v164, v9, -v10
	v_fmac_f32_e32 v168, v167, v11
	v_fma_f32 v29, v166, v11, -v12
	ds_load_b128 v[9:12], v25 offset:688
	s_wait_loadcnt_dscnt 0x201
	v_dual_mul_f32 v165, v7, v16 :: v_dual_mul_f32 v164, v5, v14
	v_mul_f32_e32 v14, v6, v14
	v_mul_f32_e32 v16, v8, v16
	s_delay_alu instid0(VALU_DEP_3)
	v_fmac_f32_e32 v165, v8, v15
	v_fma_f32 v26, v26, v1, -v2
	scratch_load_b128 v[1:4], off, off offset:192
	v_fmac_f32_e32 v164, v6, v13
	v_fma_f32 v13, v5, v13, -v14
	v_fma_f32 v14, v7, v15, -v16
	ds_load_b128 v[5:8], v25 offset:704
	s_wait_loadcnt_dscnt 0x201
	v_mul_f32_e32 v15, v9, v18
	v_mul_f32_e32 v16, v10, v18
	;; [unrolled: 1-line block ×3, first 2 shown]
	s_delay_alu instid0(VALU_DEP_3) | instskip(NEXT) | instid1(VALU_DEP_3)
	v_dual_mul_f32 v20, v12, v20 :: v_dual_fmac_f32 v15, v10, v17
	v_fma_f32 v16, v9, v17, -v16
	s_delay_alu instid0(VALU_DEP_3) | instskip(NEXT) | instid1(VALU_DEP_3)
	v_fmac_f32_e32 v18, v12, v19
	v_fma_f32 v17, v11, v19, -v20
	scratch_load_b128 v[9:12], off, off offset:208
	s_wait_loadcnt_dscnt 0x100
	v_mul_f32_e32 v19, v5, v2
	v_mul_f32_e32 v2, v6, v2
	v_mul_f32_e32 v20, v7, v4
	s_delay_alu instid0(VALU_DEP_3) | instskip(NEXT) | instid1(VALU_DEP_3)
	v_dual_mul_f32 v4, v8, v4 :: v_dual_fmac_f32 v19, v6, v1
	v_fma_f32 v166, v5, v1, -v2
	s_delay_alu instid0(VALU_DEP_3) | instskip(NEXT) | instid1(VALU_DEP_3)
	v_fmac_f32_e32 v20, v8, v3
	v_fma_f32 v167, v7, v3, -v4
	ds_load_b128 v[1:4], v25 offset:720
	ds_load_b128 v[5:8], v25 offset:736
	s_wait_loadcnt_dscnt 0x1
	v_mul_f32_e32 v169, v1, v10
	v_mul_f32_e32 v10, v2, v10
	s_delay_alu instid0(VALU_DEP_2) | instskip(NEXT) | instid1(VALU_DEP_2)
	v_dual_mul_f32 v170, v3, v12 :: v_dual_fmac_f32 v169, v2, v9
	v_fma_f32 v171, v1, v9, -v10
	v_mul_f32_e32 v1, v4, v12
	s_delay_alu instid0(VALU_DEP_3) | instskip(NEXT) | instid1(VALU_DEP_2)
	v_fmac_f32_e32 v170, v4, v11
	v_fma_f32 v172, v3, v11, -v1
	s_clause 0x1
	scratch_load_b128 v[1:4], off, off offset:224
	scratch_load_b128 v[9:12], off, off offset:240
	s_wait_loadcnt_dscnt 0x100
	v_mul_f32_e32 v173, v5, v2
	v_dual_mul_f32 v2, v6, v2 :: v_dual_mul_f32 v175, v7, v4
	s_delay_alu instid0(VALU_DEP_2) | instskip(NEXT) | instid1(VALU_DEP_2)
	v_fmac_f32_e32 v173, v6, v1
	v_fma_f32 v174, v5, v1, -v2
	v_mul_f32_e32 v1, v8, v4
	s_delay_alu instid0(VALU_DEP_4) | instskip(NEXT) | instid1(VALU_DEP_2)
	v_fmac_f32_e32 v175, v8, v3
	v_fma_f32 v176, v7, v3, -v1
	ds_load_b128 v[1:4], v25 offset:752
	ds_load_b128 v[5:8], v25 offset:768
	s_wait_loadcnt_dscnt 0x1
	v_mul_f32_e32 v177, v1, v10
	v_mul_f32_e32 v179, v3, v12
	s_delay_alu instid0(VALU_DEP_2) | instskip(NEXT) | instid1(VALU_DEP_2)
	v_fmac_f32_e32 v177, v2, v9
	v_dual_mul_f32 v2, v2, v10 :: v_dual_fmac_f32 v179, v4, v11
	s_delay_alu instid0(VALU_DEP_1) | instskip(SKIP_1) | instid1(VALU_DEP_1)
	v_fma_f32 v178, v1, v9, -v2
	v_mul_f32_e32 v1, v4, v12
	v_fma_f32 v180, v3, v11, -v1
	s_clause 0x1
	scratch_load_b128 v[1:4], off, off offset:256
	scratch_load_b128 v[9:12], off, off offset:272
	s_wait_loadcnt_dscnt 0x100
	v_mul_f32_e32 v181, v5, v2
	v_dual_mul_f32 v2, v6, v2 :: v_dual_mul_f32 v183, v7, v4
	s_delay_alu instid0(VALU_DEP_2) | instskip(NEXT) | instid1(VALU_DEP_2)
	v_fmac_f32_e32 v181, v6, v1
	v_fma_f32 v182, v5, v1, -v2
	v_mul_f32_e32 v1, v8, v4
	s_delay_alu instid0(VALU_DEP_4) | instskip(NEXT) | instid1(VALU_DEP_2)
	v_fmac_f32_e32 v183, v8, v3
	v_fma_f32 v184, v7, v3, -v1
	ds_load_b128 v[1:4], v25 offset:784
	ds_load_b128 v[5:8], v25 offset:800
	s_wait_loadcnt_dscnt 0x1
	v_mul_f32_e32 v185, v1, v10
	v_mul_f32_e32 v187, v3, v12
	s_delay_alu instid0(VALU_DEP_2) | instskip(NEXT) | instid1(VALU_DEP_2)
	v_fmac_f32_e32 v185, v2, v9
	v_dual_mul_f32 v2, v2, v10 :: v_dual_fmac_f32 v187, v4, v11
	s_delay_alu instid0(VALU_DEP_1) | instskip(SKIP_1) | instid1(VALU_DEP_1)
	v_fma_f32 v186, v1, v9, -v2
	v_mul_f32_e32 v1, v4, v12
	;; [unrolled: 25-line block ×6, first 2 shown]
	v_fma_f32 v220, v3, v11, -v1
	s_clause 0x1
	scratch_load_b128 v[1:4], off, off offset:416
	scratch_load_b128 v[9:12], off, off offset:432
	s_wait_loadcnt_dscnt 0x100
	v_mul_f32_e32 v221, v5, v2
	v_mul_f32_e32 v2, v6, v2
	s_delay_alu instid0(VALU_DEP_2) | instskip(NEXT) | instid1(VALU_DEP_2)
	v_fmac_f32_e32 v221, v6, v1
	v_fma_f32 v222, v5, v1, -v2
	v_add_f32_e32 v2, 0, v32
	s_delay_alu instid0(VALU_DEP_1) | instskip(NEXT) | instid1(VALU_DEP_1)
	v_dual_mul_f32 v1, v8, v4 :: v_dual_add_f32 v2, v2, v161
	v_fma_f32 v224, v7, v3, -v1
	s_delay_alu instid0(VALU_DEP_2) | instskip(NEXT) | instid1(VALU_DEP_1)
	v_dual_add_f32 v1, 0, v21 :: v_dual_add_f32 v2, v2, v23
	v_dual_add_f32 v1, v1, v22 :: v_dual_add_f32 v2, v2, v24
	s_delay_alu instid0(VALU_DEP_1) | instskip(NEXT) | instid1(VALU_DEP_1)
	v_add_f32_e32 v1, v1, v26
	v_dual_add_f32 v2, v2, v162 :: v_dual_add_f32 v1, v1, v27
	s_delay_alu instid0(VALU_DEP_1) | instskip(NEXT) | instid1(VALU_DEP_1)
	v_add_f32_e32 v2, v2, v168
	v_add_f32_e32 v2, v2, v164
	s_delay_alu instid0(VALU_DEP_1) | instskip(NEXT) | instid1(VALU_DEP_1)
	v_add_f32_e32 v2, v2, v165
	v_add_f32_e32 v2, v2, v15
	s_delay_alu instid0(VALU_DEP_1) | instskip(NEXT) | instid1(VALU_DEP_1)
	v_dual_add_f32 v2, v2, v18 :: v_dual_add_f32 v1, v1, v28
	v_dual_add_f32 v2, v2, v19 :: v_dual_add_f32 v1, v1, v29
	s_delay_alu instid0(VALU_DEP_1) | instskip(NEXT) | instid1(VALU_DEP_1)
	v_dual_add_f32 v2, v2, v20 :: v_dual_add_f32 v1, v1, v13
	v_dual_add_f32 v2, v2, v169 :: v_dual_add_f32 v1, v1, v14
	s_delay_alu instid0(VALU_DEP_1) | instskip(NEXT) | instid1(VALU_DEP_1)
	v_dual_add_f32 v2, v2, v170 :: v_dual_add_f32 v1, v1, v16
	v_add_f32_e32 v2, v2, v173
	s_delay_alu instid0(VALU_DEP_1) | instskip(NEXT) | instid1(VALU_DEP_1)
	v_dual_add_f32 v1, v1, v17 :: v_dual_add_f32 v2, v2, v175
	v_dual_add_f32 v1, v1, v166 :: v_dual_add_f32 v2, v2, v177
	s_delay_alu instid0(VALU_DEP_1) | instskip(NEXT) | instid1(VALU_DEP_2)
	v_add_f32_e32 v1, v1, v167
	v_add_f32_e32 v2, v2, v179
	s_delay_alu instid0(VALU_DEP_1) | instskip(NEXT) | instid1(VALU_DEP_1)
	v_dual_add_f32 v1, v1, v171 :: v_dual_add_f32 v2, v2, v181
	v_dual_add_f32 v1, v1, v172 :: v_dual_add_f32 v2, v2, v183
	s_delay_alu instid0(VALU_DEP_1) | instskip(NEXT) | instid1(VALU_DEP_1)
	v_dual_add_f32 v1, v1, v174 :: v_dual_add_f32 v2, v2, v185
	v_dual_add_f32 v1, v1, v176 :: v_dual_add_f32 v2, v2, v187
	s_delay_alu instid0(VALU_DEP_1) | instskip(NEXT) | instid1(VALU_DEP_1)
	v_add_f32_e32 v1, v1, v178
	v_add_f32_e32 v1, v1, v180
	s_delay_alu instid0(VALU_DEP_1) | instskip(NEXT) | instid1(VALU_DEP_1)
	v_add_f32_e32 v1, v1, v182
	v_add_f32_e32 v1, v1, v184
	;; [unrolled: 3-line block ×5, first 2 shown]
	s_delay_alu instid0(VALU_DEP_1) | instskip(SKIP_1) | instid1(VALU_DEP_2)
	v_add_f32_e32 v6, v1, v198
	v_add_f32_e32 v2, v2, v189
	;; [unrolled: 1-line block ×3, first 2 shown]
	s_delay_alu instid0(VALU_DEP_2) | instskip(NEXT) | instid1(VALU_DEP_2)
	v_dual_add_f32 v2, v2, v191 :: v_dual_mul_f32 v223, v7, v4
	v_add_f32_e32 v14, v14, v202
	s_delay_alu instid0(VALU_DEP_2) | instskip(NEXT) | instid1(VALU_DEP_2)
	v_dual_add_f32 v2, v2, v193 :: v_dual_fmac_f32 v223, v8, v3
	v_add_f32_e32 v17, v14, v204
	s_delay_alu instid0(VALU_DEP_2)
	v_add_f32_e32 v5, v2, v195
	ds_load_b128 v[1:4], v25 offset:944
	v_add_f32_e32 v17, v17, v206
	v_add_f32_e32 v13, v5, v197
	scratch_load_b128 v[5:8], off, off offset:448
	v_add_f32_e32 v17, v17, v208
	v_add_f32_e32 v13, v13, v199
	s_delay_alu instid0(VALU_DEP_2) | instskip(NEXT) | instid1(VALU_DEP_2)
	v_add_f32_e32 v17, v17, v210
	v_add_f32_e32 v13, v13, v201
	s_delay_alu instid0(VALU_DEP_2) | instskip(NEXT) | instid1(VALU_DEP_2)
	v_add_f32_e32 v22, v17, v212
	v_add_f32_e32 v18, v13, v203
	ds_load_b128 v[13:16], v25 offset:960
	s_wait_loadcnt_dscnt 0x101
	v_mul_f32_e32 v26, v1, v10
	v_dual_mul_f32 v10, v2, v10 :: v_dual_mul_f32 v27, v3, v12
	v_mul_f32_e32 v12, v4, v12
	v_add_f32_e32 v18, v18, v205
	s_delay_alu instid0(VALU_DEP_4) | instskip(NEXT) | instid1(VALU_DEP_4)
	v_fmac_f32_e32 v26, v2, v9
	v_fma_f32 v28, v1, v9, -v10
	v_fmac_f32_e32 v27, v4, v11
	v_fma_f32 v29, v3, v11, -v12
	s_clause 0x1
	scratch_load_b128 v[1:4], off, off offset:464
	scratch_load_b128 v[9:12], off, off offset:480
	v_add_f32_e32 v18, v18, v207
	v_add_f32_e32 v22, v22, v214
	s_delay_alu instid0(VALU_DEP_1) | instskip(SKIP_1) | instid1(VALU_DEP_3)
	v_add_f32_e32 v22, v22, v216
	s_wait_loadcnt_dscnt 0x200
	v_dual_mul_f32 v32, v13, v6 :: v_dual_add_f32 v21, v18, v209
	scratch_load_b128 v[17:20], off, off offset:496
	v_dual_mul_f32 v6, v14, v6 :: v_dual_mul_f32 v161, v15, v8
	v_dual_mul_f32 v8, v16, v8 :: v_dual_add_f32 v21, v21, v211
	v_fmac_f32_e32 v32, v14, v5
	s_delay_alu instid0(VALU_DEP_3) | instskip(NEXT) | instid1(VALU_DEP_4)
	v_fma_f32 v162, v13, v5, -v6
	v_fmac_f32_e32 v161, v16, v7
	s_delay_alu instid0(VALU_DEP_4) | instskip(SKIP_3) | instid1(VALU_DEP_1)
	v_fma_f32 v164, v15, v7, -v8
	v_add_f32_e32 v21, v21, v213
	ds_load_b128 v[5:8], v25 offset:976
	v_add_f32_e32 v13, v21, v215
	v_dual_add_f32 v21, v22, v218 :: v_dual_add_f32 v22, v13, v217
	s_delay_alu instid0(VALU_DEP_1)
	v_add_f32_e32 v165, v21, v220
	ds_load_b128 v[13:16], v25 offset:992
	v_add_f32_e32 v166, v22, v219
	ds_load_b128 v[21:24], v25 offset:1008
	v_add_f32_e32 v25, v165, v222
	s_wait_loadcnt_dscnt 0x202
	v_dual_add_f32 v165, v166, v221 :: v_dual_mul_f32 v166, v5, v2
	s_delay_alu instid0(VALU_DEP_2) | instskip(NEXT) | instid1(VALU_DEP_2)
	v_dual_add_f32 v25, v25, v224 :: v_dual_mul_f32 v2, v6, v2
	v_dual_add_f32 v165, v165, v223 :: v_dual_fmac_f32 v166, v6, v1
	s_delay_alu instid0(VALU_DEP_2) | instskip(SKIP_2) | instid1(VALU_DEP_4)
	v_add_f32_e32 v25, v25, v28
	v_mul_f32_e32 v28, v7, v4
	v_mul_f32_e32 v4, v8, v4
	v_add_f32_e32 v26, v165, v26
	v_fma_f32 v2, v5, v1, -v2
	v_add_f32_e32 v25, v25, v29
	s_wait_loadcnt_dscnt 0x101
	v_mul_f32_e32 v165, v13, v10
	v_mul_f32_e32 v6, v14, v10
	v_add_f32_e32 v26, v26, v27
	v_dual_fmac_f32 v28, v8, v3 :: v_dual_add_f32 v25, v25, v162
	v_fma_f32 v3, v7, v3, -v4
	v_mul_f32_e32 v167, v15, v12
	s_delay_alu instid0(VALU_DEP_4)
	v_add_f32_e32 v26, v26, v32
	v_mul_f32_e32 v4, v16, v12
	v_add_f32_e32 v1, v25, v164
	v_fmac_f32_e32 v165, v14, v9
	v_fmac_f32_e32 v167, v16, v11
	v_add_f32_e32 v5, v26, v161
	v_fma_f32 v4, v15, v11, -v4
	v_add_f32_e32 v1, v1, v2
	s_delay_alu instid0(VALU_DEP_3) | instskip(SKIP_1) | instid1(VALU_DEP_2)
	v_add_f32_e32 v2, v5, v166
	v_fma_f32 v5, v13, v9, -v6
	v_dual_add_f32 v1, v1, v3 :: v_dual_add_f32 v2, v2, v28
	s_delay_alu instid0(VALU_DEP_1) | instskip(NEXT) | instid1(VALU_DEP_1)
	v_add_f32_e32 v1, v1, v5
	v_dual_add_f32 v2, v2, v165 :: v_dual_add_f32 v1, v1, v4
	s_wait_loadcnt_dscnt 0x0
	s_delay_alu instid0(VALU_DEP_1) | instskip(SKIP_3) | instid1(VALU_DEP_4)
	v_dual_add_f32 v2, v2, v167 :: v_dual_mul_f32 v27, v21, v18
	v_mul_f32_e32 v3, v22, v18
	v_mul_f32_e32 v29, v23, v20
	;; [unrolled: 1-line block ×3, first 2 shown]
	v_fmac_f32_e32 v27, v22, v17
	s_delay_alu instid0(VALU_DEP_4) | instskip(NEXT) | instid1(VALU_DEP_4)
	v_fma_f32 v3, v21, v17, -v3
	v_fmac_f32_e32 v29, v24, v19
	s_delay_alu instid0(VALU_DEP_4) | instskip(NEXT) | instid1(VALU_DEP_4)
	v_fma_f32 v4, v23, v19, -v5
	v_add_f32_e32 v2, v2, v27
	s_delay_alu instid0(VALU_DEP_1) | instskip(NEXT) | instid1(VALU_DEP_1)
	v_dual_add_f32 v1, v1, v3 :: v_dual_add_f32 v2, v2, v29
	v_dual_add_f32 v1, v1, v4 :: v_dual_sub_f32 v2, v31, v2
	s_delay_alu instid0(VALU_DEP_1)
	v_sub_f32_e32 v1, v30, v1
	scratch_store_b64 off, v[1:2], off offset:104
	v_cmpx_lt_u32_e32 12, v0
	s_cbranch_execz .LBB127_373
; %bb.372:
	scratch_load_b64 v[1:2], off, off offset:96
	v_mov_b32_e32 v3, 0
	s_delay_alu instid0(VALU_DEP_1)
	v_mov_b32_e32 v4, v3
	scratch_store_b64 off, v[3:4], off offset:96
	s_wait_loadcnt 0x0
	ds_store_b64 v163, v[1:2]
.LBB127_373:
	s_wait_alu 0xfffe
	s_or_b32 exec_lo, exec_lo, s0
	s_wait_storecnt_dscnt 0x0
	s_barrier_signal -1
	s_barrier_wait -1
	global_inv scope:SCOPE_SE
	s_clause 0x4
	scratch_load_b128 v[5:8], off, off offset:104
	scratch_load_b128 v[1:4], off, off offset:120
	;; [unrolled: 1-line block ×5, first 2 shown]
	v_mov_b32_e32 v25, 0
	ds_load_2addr_b64 v[21:24], v25 offset0:77 offset1:78
	ds_load_2addr_b64 v[26:29], v25 offset0:79 offset1:80
	;; [unrolled: 1-line block ×3, first 2 shown]
	scratch_load_b64 v[30:31], off, off offset:96
	s_mov_b32 s0, exec_lo
	s_wait_loadcnt_dscnt 0x502
	v_dual_mul_f32 v32, v21, v6 :: v_dual_mul_f32 v161, v23, v8
	v_mul_f32_e32 v6, v22, v6
	v_mul_f32_e32 v8, v24, v8
	s_wait_loadcnt_dscnt 0x300
	v_mul_f32_e32 v168, v166, v12
	v_dual_fmac_f32 v32, v22, v5 :: v_dual_fmac_f32 v161, v24, v7
	v_fma_f32 v21, v21, v5, -v6
	v_fma_f32 v22, v23, v7, -v8
	ds_load_2addr_b64 v[5:8], v25 offset0:83 offset1:84
	v_dual_mul_f32 v23, v26, v2 :: v_dual_mul_f32 v24, v28, v4
	v_mul_f32_e32 v4, v29, v4
	v_mul_f32_e32 v162, v164, v10
	;; [unrolled: 1-line block ×5, first 2 shown]
	v_dual_fmac_f32 v23, v27, v1 :: v_dual_fmac_f32 v24, v29, v3
	v_fma_f32 v27, v28, v3, -v4
	v_fmac_f32_e32 v162, v165, v9
	v_fma_f32 v28, v164, v9, -v10
	v_fmac_f32_e32 v168, v167, v11
	v_fma_f32 v29, v166, v11, -v12
	ds_load_2addr_b64 v[9:12], v25 offset0:85 offset1:86
	s_wait_loadcnt_dscnt 0x201
	v_dual_mul_f32 v165, v7, v16 :: v_dual_mul_f32 v164, v5, v14
	v_mul_f32_e32 v14, v6, v14
	v_mul_f32_e32 v16, v8, v16
	s_delay_alu instid0(VALU_DEP_3)
	v_fmac_f32_e32 v165, v8, v15
	v_fma_f32 v26, v26, v1, -v2
	scratch_load_b128 v[1:4], off, off offset:184
	v_fmac_f32_e32 v164, v6, v13
	v_fma_f32 v13, v5, v13, -v14
	v_fma_f32 v14, v7, v15, -v16
	ds_load_2addr_b64 v[5:8], v25 offset0:87 offset1:88
	s_wait_loadcnt_dscnt 0x201
	v_mul_f32_e32 v15, v9, v18
	v_mul_f32_e32 v16, v10, v18
	;; [unrolled: 1-line block ×3, first 2 shown]
	s_delay_alu instid0(VALU_DEP_3) | instskip(NEXT) | instid1(VALU_DEP_3)
	v_dual_mul_f32 v20, v12, v20 :: v_dual_fmac_f32 v15, v10, v17
	v_fma_f32 v16, v9, v17, -v16
	s_delay_alu instid0(VALU_DEP_3) | instskip(NEXT) | instid1(VALU_DEP_3)
	v_fmac_f32_e32 v18, v12, v19
	v_fma_f32 v17, v11, v19, -v20
	scratch_load_b128 v[9:12], off, off offset:200
	s_wait_loadcnt_dscnt 0x100
	v_mul_f32_e32 v19, v5, v2
	v_mul_f32_e32 v2, v6, v2
	;; [unrolled: 1-line block ×3, first 2 shown]
	s_delay_alu instid0(VALU_DEP_3) | instskip(NEXT) | instid1(VALU_DEP_3)
	v_dual_mul_f32 v4, v8, v4 :: v_dual_fmac_f32 v19, v6, v1
	v_fma_f32 v166, v5, v1, -v2
	s_delay_alu instid0(VALU_DEP_3) | instskip(NEXT) | instid1(VALU_DEP_3)
	v_fmac_f32_e32 v20, v8, v3
	v_fma_f32 v167, v7, v3, -v4
	ds_load_2addr_b64 v[1:4], v25 offset0:89 offset1:90
	ds_load_2addr_b64 v[5:8], v25 offset0:91 offset1:92
	s_wait_loadcnt_dscnt 0x1
	v_mul_f32_e32 v169, v1, v10
	v_mul_f32_e32 v10, v2, v10
	s_delay_alu instid0(VALU_DEP_2) | instskip(NEXT) | instid1(VALU_DEP_2)
	v_dual_mul_f32 v170, v3, v12 :: v_dual_fmac_f32 v169, v2, v9
	v_fma_f32 v171, v1, v9, -v10
	v_mul_f32_e32 v1, v4, v12
	s_delay_alu instid0(VALU_DEP_3) | instskip(NEXT) | instid1(VALU_DEP_2)
	v_fmac_f32_e32 v170, v4, v11
	v_fma_f32 v172, v3, v11, -v1
	s_clause 0x1
	scratch_load_b128 v[1:4], off, off offset:216
	scratch_load_b128 v[9:12], off, off offset:232
	s_wait_loadcnt_dscnt 0x100
	v_mul_f32_e32 v173, v5, v2
	v_dual_mul_f32 v2, v6, v2 :: v_dual_mul_f32 v175, v7, v4
	s_delay_alu instid0(VALU_DEP_2) | instskip(NEXT) | instid1(VALU_DEP_2)
	v_fmac_f32_e32 v173, v6, v1
	v_fma_f32 v174, v5, v1, -v2
	v_mul_f32_e32 v1, v8, v4
	s_delay_alu instid0(VALU_DEP_4) | instskip(NEXT) | instid1(VALU_DEP_2)
	v_fmac_f32_e32 v175, v8, v3
	v_fma_f32 v176, v7, v3, -v1
	ds_load_2addr_b64 v[1:4], v25 offset0:93 offset1:94
	ds_load_2addr_b64 v[5:8], v25 offset0:95 offset1:96
	s_wait_loadcnt_dscnt 0x1
	v_mul_f32_e32 v177, v1, v10
	v_mul_f32_e32 v179, v3, v12
	s_delay_alu instid0(VALU_DEP_2) | instskip(NEXT) | instid1(VALU_DEP_2)
	v_fmac_f32_e32 v177, v2, v9
	v_dual_mul_f32 v2, v2, v10 :: v_dual_fmac_f32 v179, v4, v11
	s_delay_alu instid0(VALU_DEP_1) | instskip(SKIP_1) | instid1(VALU_DEP_1)
	v_fma_f32 v178, v1, v9, -v2
	v_mul_f32_e32 v1, v4, v12
	v_fma_f32 v180, v3, v11, -v1
	s_clause 0x1
	scratch_load_b128 v[1:4], off, off offset:248
	scratch_load_b128 v[9:12], off, off offset:264
	s_wait_loadcnt_dscnt 0x100
	v_mul_f32_e32 v181, v5, v2
	v_dual_mul_f32 v2, v6, v2 :: v_dual_mul_f32 v183, v7, v4
	s_delay_alu instid0(VALU_DEP_2) | instskip(NEXT) | instid1(VALU_DEP_2)
	v_fmac_f32_e32 v181, v6, v1
	v_fma_f32 v182, v5, v1, -v2
	v_mul_f32_e32 v1, v8, v4
	s_delay_alu instid0(VALU_DEP_4) | instskip(NEXT) | instid1(VALU_DEP_2)
	v_fmac_f32_e32 v183, v8, v3
	v_fma_f32 v184, v7, v3, -v1
	ds_load_2addr_b64 v[1:4], v25 offset0:97 offset1:98
	ds_load_2addr_b64 v[5:8], v25 offset0:99 offset1:100
	s_wait_loadcnt_dscnt 0x1
	v_mul_f32_e32 v185, v1, v10
	v_mul_f32_e32 v187, v3, v12
	s_delay_alu instid0(VALU_DEP_2) | instskip(NEXT) | instid1(VALU_DEP_2)
	v_fmac_f32_e32 v185, v2, v9
	v_dual_mul_f32 v2, v2, v10 :: v_dual_fmac_f32 v187, v4, v11
	s_delay_alu instid0(VALU_DEP_1) | instskip(SKIP_1) | instid1(VALU_DEP_1)
	v_fma_f32 v186, v1, v9, -v2
	v_mul_f32_e32 v1, v4, v12
	;; [unrolled: 25-line block ×6, first 2 shown]
	v_fma_f32 v220, v3, v11, -v1
	s_clause 0x1
	scratch_load_b128 v[1:4], off, off offset:408
	scratch_load_b128 v[9:12], off, off offset:424
	s_wait_loadcnt_dscnt 0x100
	v_mul_f32_e32 v221, v5, v2
	v_dual_mul_f32 v2, v6, v2 :: v_dual_mul_f32 v223, v7, v4
	s_delay_alu instid0(VALU_DEP_1) | instskip(NEXT) | instid1(VALU_DEP_2)
	v_fma_f32 v222, v5, v1, -v2
	v_dual_add_f32 v2, 0, v32 :: v_dual_fmac_f32 v223, v8, v3
	s_delay_alu instid0(VALU_DEP_4) | instskip(NEXT) | instid1(VALU_DEP_2)
	v_fmac_f32_e32 v221, v6, v1
	v_dual_mul_f32 v1, v8, v4 :: v_dual_add_f32 v2, v2, v161
	s_delay_alu instid0(VALU_DEP_1) | instskip(NEXT) | instid1(VALU_DEP_2)
	v_fma_f32 v224, v7, v3, -v1
	v_add_f32_e32 v2, v2, v23
	s_delay_alu instid0(VALU_DEP_1) | instskip(NEXT) | instid1(VALU_DEP_1)
	v_add_f32_e32 v2, v2, v24
	v_add_f32_e32 v2, v2, v162
	s_delay_alu instid0(VALU_DEP_1) | instskip(NEXT) | instid1(VALU_DEP_1)
	v_add_f32_e32 v2, v2, v168
	;; [unrolled: 3-line block ×4, first 2 shown]
	v_add_f32_e32 v2, v2, v19
	s_delay_alu instid0(VALU_DEP_1) | instskip(NEXT) | instid1(VALU_DEP_1)
	v_dual_add_f32 v2, v2, v20 :: v_dual_add_f32 v1, 0, v21
	v_dual_add_f32 v2, v2, v169 :: v_dual_add_f32 v1, v1, v22
	s_delay_alu instid0(VALU_DEP_1) | instskip(NEXT) | instid1(VALU_DEP_1)
	v_add_f32_e32 v2, v2, v170
	v_dual_add_f32 v1, v1, v26 :: v_dual_add_f32 v2, v2, v173
	s_delay_alu instid0(VALU_DEP_1) | instskip(SKIP_2) | instid1(VALU_DEP_1)
	v_add_f32_e32 v1, v1, v27
	scratch_load_b64 v[26:27], off, off offset:504
	v_dual_add_f32 v2, v2, v175 :: v_dual_add_f32 v1, v1, v28
	v_add_f32_e32 v2, v2, v177
	s_delay_alu instid0(VALU_DEP_1) | instskip(NEXT) | instid1(VALU_DEP_1)
	v_dual_add_f32 v1, v1, v29 :: v_dual_add_f32 v2, v2, v179
	v_add_f32_e32 v1, v1, v13
	s_delay_alu instid0(VALU_DEP_1) | instskip(NEXT) | instid1(VALU_DEP_1)
	v_dual_add_f32 v2, v2, v181 :: v_dual_add_f32 v1, v1, v14
	v_dual_add_f32 v2, v2, v183 :: v_dual_add_f32 v1, v1, v16
	s_delay_alu instid0(VALU_DEP_1) | instskip(NEXT) | instid1(VALU_DEP_1)
	v_add_f32_e32 v2, v2, v185
	v_dual_add_f32 v1, v1, v17 :: v_dual_add_f32 v2, v2, v187
	s_delay_alu instid0(VALU_DEP_1) | instskip(NEXT) | instid1(VALU_DEP_1)
	v_add_f32_e32 v1, v1, v166
	v_add_f32_e32 v1, v1, v167
	s_delay_alu instid0(VALU_DEP_1) | instskip(NEXT) | instid1(VALU_DEP_1)
	v_add_f32_e32 v1, v1, v171
	v_add_f32_e32 v1, v1, v172
	;; [unrolled: 3-line block ×8, first 2 shown]
	s_delay_alu instid0(VALU_DEP_1) | instskip(SKIP_1) | instid1(VALU_DEP_2)
	v_add_f32_e32 v6, v1, v198
	v_add_f32_e32 v2, v2, v189
	;; [unrolled: 1-line block ×3, first 2 shown]
	s_delay_alu instid0(VALU_DEP_2) | instskip(NEXT) | instid1(VALU_DEP_2)
	v_add_f32_e32 v2, v2, v191
	v_add_f32_e32 v14, v14, v202
	s_delay_alu instid0(VALU_DEP_2) | instskip(NEXT) | instid1(VALU_DEP_2)
	v_add_f32_e32 v2, v2, v193
	v_add_f32_e32 v17, v14, v204
	s_delay_alu instid0(VALU_DEP_2)
	v_add_f32_e32 v5, v2, v195
	scratch_load_b128 v[1:4], off, off offset:440
	v_add_f32_e32 v17, v17, v206
	v_add_f32_e32 v13, v5, v197
	ds_load_2addr_b64 v[5:8], v25 offset0:117 offset1:118
	v_add_f32_e32 v17, v17, v208
	v_add_f32_e32 v13, v13, v199
	s_delay_alu instid0(VALU_DEP_2) | instskip(NEXT) | instid1(VALU_DEP_2)
	v_add_f32_e32 v17, v17, v210
	v_add_f32_e32 v13, v13, v201
	s_delay_alu instid0(VALU_DEP_2) | instskip(NEXT) | instid1(VALU_DEP_2)
	v_add_f32_e32 v22, v17, v212
	v_add_f32_e32 v18, v13, v203
	ds_load_2addr_b64 v[13:16], v25 offset0:119 offset1:120
	v_add_f32_e32 v22, v22, v214
	v_add_f32_e32 v18, v18, v205
	s_wait_loadcnt_dscnt 0x201
	v_mul_f32_e32 v32, v5, v10
	v_dual_mul_f32 v10, v6, v10 :: v_dual_mul_f32 v161, v7, v12
	v_mul_f32_e32 v12, v8, v12
	v_add_f32_e32 v18, v18, v207
	s_delay_alu instid0(VALU_DEP_4) | instskip(NEXT) | instid1(VALU_DEP_4)
	v_fmac_f32_e32 v32, v6, v9
	v_fma_f32 v162, v5, v9, -v10
	v_fmac_f32_e32 v161, v8, v11
	v_fma_f32 v164, v7, v11, -v12
	s_clause 0x1
	scratch_load_b128 v[5:8], off, off offset:456
	scratch_load_b128 v[9:12], off, off offset:472
	v_add_f32_e32 v22, v22, v216
	s_delay_alu instid0(VALU_DEP_1)
	v_add_f32_e32 v22, v22, v218
	s_wait_loadcnt_dscnt 0x200
	v_dual_mul_f32 v166, v15, v4 :: v_dual_add_f32 v21, v18, v209
	scratch_load_b128 v[17:20], off, off offset:488
	v_dual_mul_f32 v4, v16, v4 :: v_dual_mul_f32 v165, v13, v2
	v_dual_mul_f32 v2, v14, v2 :: v_dual_add_f32 v21, v21, v211
	v_fmac_f32_e32 v166, v16, v3
	s_delay_alu instid0(VALU_DEP_3) | instskip(NEXT) | instid1(VALU_DEP_4)
	v_fma_f32 v168, v15, v3, -v4
	v_fmac_f32_e32 v165, v14, v1
	s_delay_alu instid0(VALU_DEP_4) | instskip(SKIP_3) | instid1(VALU_DEP_1)
	v_fma_f32 v167, v13, v1, -v2
	v_dual_add_f32 v21, v21, v213 :: v_dual_add_f32 v14, v22, v220
	ds_load_2addr_b64 v[1:4], v25 offset0:121 offset1:122
	v_dual_add_f32 v21, v21, v215 :: v_dual_add_f32 v28, v14, v222
	v_add_f32_e32 v13, v21, v217
	s_delay_alu instid0(VALU_DEP_2) | instskip(NEXT) | instid1(VALU_DEP_2)
	v_add_f32_e32 v169, v28, v224
	v_add_f32_e32 v21, v13, v219
	ds_load_2addr_b64 v[13:16], v25 offset0:123 offset1:124
	v_add_f32_e32 v162, v169, v162
	v_add_f32_e32 v29, v21, v221
	ds_load_2addr_b64 v[21:24], v25 offset0:125 offset1:126
	s_wait_loadcnt_dscnt 0x202
	v_dual_add_f32 v162, v162, v164 :: v_dual_mul_f32 v169, v1, v6
	v_mul_f32_e32 v6, v2, v6
	v_add_f32_e32 v170, v29, v223
	ds_load_b64 v[28:29], v25 offset:1016
	v_add_f32_e32 v162, v162, v167
	v_fmac_f32_e32 v169, v2, v5
	v_fma_f32 v1, v1, v5, -v6
	v_add_f32_e32 v32, v170, v32
	s_delay_alu instid0(VALU_DEP_4) | instskip(NEXT) | instid1(VALU_DEP_2)
	v_add_f32_e32 v162, v162, v168
	v_dual_add_f32 v32, v32, v161 :: v_dual_mul_f32 v161, v3, v8
	v_mul_f32_e32 v8, v4, v8
	s_wait_loadcnt_dscnt 0x102
	s_delay_alu instid0(VALU_DEP_3) | instskip(NEXT) | instid1(VALU_DEP_3)
	v_dual_mul_f32 v164, v13, v10 :: v_dual_add_f32 v1, v162, v1
	v_add_f32_e32 v32, v32, v165
	v_fmac_f32_e32 v161, v4, v7
	v_fma_f32 v2, v3, v7, -v8
	v_mul_f32_e32 v3, v14, v10
	s_delay_alu instid0(VALU_DEP_4) | instskip(SKIP_1) | instid1(VALU_DEP_3)
	v_dual_mul_f32 v165, v15, v12 :: v_dual_add_f32 v32, v32, v166
	v_dual_mul_f32 v5, v16, v12 :: v_dual_fmac_f32 v164, v14, v9
	v_fma_f32 v3, v13, v9, -v3
	s_delay_alu instid0(VALU_DEP_3) | instskip(NEXT) | instid1(VALU_DEP_4)
	v_dual_add_f32 v1, v1, v2 :: v_dual_add_f32 v4, v32, v169
	v_fmac_f32_e32 v165, v16, v11
	s_delay_alu instid0(VALU_DEP_4) | instskip(SKIP_3) | instid1(VALU_DEP_2)
	v_fma_f32 v5, v15, v11, -v5
	s_wait_dscnt 0x0
	v_mul_f32_e32 v166, v28, v27
	v_dual_add_f32 v1, v1, v3 :: v_dual_add_f32 v2, v4, v161
	v_fmac_f32_e32 v166, v29, v26
	s_delay_alu instid0(VALU_DEP_2) | instskip(NEXT) | instid1(VALU_DEP_1)
	v_dual_add_f32 v1, v1, v5 :: v_dual_add_f32 v2, v2, v164
	v_dual_mul_f32 v5, v29, v27 :: v_dual_add_f32 v2, v2, v165
	s_wait_loadcnt 0x0
	v_mul_f32_e32 v167, v21, v18
	v_mul_f32_e32 v4, v22, v18
	;; [unrolled: 1-line block ×4, first 2 shown]
	s_delay_alu instid0(VALU_DEP_4) | instskip(NEXT) | instid1(VALU_DEP_4)
	v_fmac_f32_e32 v167, v22, v17
	v_fma_f32 v4, v21, v17, -v4
	s_delay_alu instid0(VALU_DEP_4) | instskip(NEXT) | instid1(VALU_DEP_4)
	v_fmac_f32_e32 v168, v24, v19
	v_fma_f32 v3, v23, v19, -v3
	s_delay_alu instid0(VALU_DEP_3) | instskip(SKIP_1) | instid1(VALU_DEP_2)
	v_dual_add_f32 v2, v2, v167 :: v_dual_add_f32 v1, v1, v4
	v_fma_f32 v4, v28, v26, -v5
	v_dual_add_f32 v2, v2, v168 :: v_dual_add_f32 v1, v1, v3
	s_delay_alu instid0(VALU_DEP_1) | instskip(NEXT) | instid1(VALU_DEP_1)
	v_dual_add_f32 v2, v2, v166 :: v_dual_add_f32 v1, v1, v4
	v_dual_sub_f32 v2, v31, v2 :: v_dual_sub_f32 v1, v30, v1
	scratch_store_b64 off, v[1:2], off offset:96
	v_cmpx_lt_u32_e32 11, v0
	s_cbranch_execz .LBB127_375
; %bb.374:
	scratch_load_b64 v[1:2], off, off offset:88
	v_mov_b32_e32 v26, v25
	scratch_store_b64 off, v[25:26], off offset:88
	s_wait_loadcnt 0x0
	ds_store_b64 v163, v[1:2]
.LBB127_375:
	s_wait_alu 0xfffe
	s_or_b32 exec_lo, exec_lo, s0
	s_wait_storecnt_dscnt 0x0
	s_barrier_signal -1
	s_barrier_wait -1
	global_inv scope:SCOPE_SE
	s_clause 0x4
	scratch_load_b128 v[5:8], off, off offset:96
	scratch_load_b128 v[1:4], off, off offset:112
	scratch_load_b128 v[9:12], off, off offset:128
	scratch_load_b128 v[13:16], off, off offset:144
	scratch_load_b128 v[17:20], off, off offset:160
	ds_load_b128 v[21:24], v25 offset:608
	ds_load_b128 v[26:29], v25 offset:624
	;; [unrolled: 1-line block ×3, first 2 shown]
	scratch_load_b64 v[30:31], off, off offset:88
	s_mov_b32 s0, exec_lo
	s_wait_loadcnt_dscnt 0x502
	v_dual_mul_f32 v32, v21, v6 :: v_dual_mul_f32 v161, v23, v8
	v_mul_f32_e32 v6, v22, v6
	v_mul_f32_e32 v8, v24, v8
	s_wait_loadcnt_dscnt 0x300
	v_mul_f32_e32 v162, v164, v10
	v_dual_fmac_f32 v32, v22, v5 :: v_dual_fmac_f32 v161, v24, v7
	v_fma_f32 v21, v21, v5, -v6
	v_fma_f32 v22, v23, v7, -v8
	ds_load_b128 v[5:8], v25 offset:656
	v_dual_mul_f32 v23, v26, v2 :: v_dual_mul_f32 v24, v28, v4
	v_mul_f32_e32 v4, v29, v4
	v_mul_f32_e32 v10, v165, v10
	;; [unrolled: 1-line block ×5, first 2 shown]
	v_dual_fmac_f32 v23, v27, v1 :: v_dual_fmac_f32 v24, v29, v3
	v_fma_f32 v27, v28, v3, -v4
	v_fmac_f32_e32 v162, v165, v9
	v_fma_f32 v28, v164, v9, -v10
	v_fmac_f32_e32 v168, v167, v11
	v_fma_f32 v29, v166, v11, -v12
	ds_load_b128 v[9:12], v25 offset:672
	s_wait_loadcnt_dscnt 0x201
	v_dual_mul_f32 v165, v7, v16 :: v_dual_mul_f32 v164, v5, v14
	v_mul_f32_e32 v14, v6, v14
	v_mul_f32_e32 v16, v8, v16
	s_delay_alu instid0(VALU_DEP_3)
	v_fmac_f32_e32 v165, v8, v15
	v_fma_f32 v26, v26, v1, -v2
	scratch_load_b128 v[1:4], off, off offset:176
	v_fmac_f32_e32 v164, v6, v13
	v_fma_f32 v13, v5, v13, -v14
	v_fma_f32 v14, v7, v15, -v16
	ds_load_b128 v[5:8], v25 offset:688
	s_wait_loadcnt_dscnt 0x201
	v_mul_f32_e32 v15, v9, v18
	v_mul_f32_e32 v16, v10, v18
	;; [unrolled: 1-line block ×3, first 2 shown]
	s_delay_alu instid0(VALU_DEP_3) | instskip(NEXT) | instid1(VALU_DEP_3)
	v_dual_mul_f32 v20, v12, v20 :: v_dual_fmac_f32 v15, v10, v17
	v_fma_f32 v16, v9, v17, -v16
	s_delay_alu instid0(VALU_DEP_3) | instskip(NEXT) | instid1(VALU_DEP_3)
	v_fmac_f32_e32 v18, v12, v19
	v_fma_f32 v17, v11, v19, -v20
	scratch_load_b128 v[9:12], off, off offset:192
	s_wait_loadcnt_dscnt 0x100
	v_mul_f32_e32 v19, v5, v2
	v_mul_f32_e32 v2, v6, v2
	;; [unrolled: 1-line block ×3, first 2 shown]
	s_delay_alu instid0(VALU_DEP_3) | instskip(NEXT) | instid1(VALU_DEP_3)
	v_dual_mul_f32 v4, v8, v4 :: v_dual_fmac_f32 v19, v6, v1
	v_fma_f32 v166, v5, v1, -v2
	s_delay_alu instid0(VALU_DEP_3) | instskip(NEXT) | instid1(VALU_DEP_3)
	v_fmac_f32_e32 v20, v8, v3
	v_fma_f32 v167, v7, v3, -v4
	ds_load_b128 v[1:4], v25 offset:704
	ds_load_b128 v[5:8], v25 offset:720
	s_wait_loadcnt_dscnt 0x1
	v_mul_f32_e32 v169, v1, v10
	v_mul_f32_e32 v10, v2, v10
	s_delay_alu instid0(VALU_DEP_2) | instskip(NEXT) | instid1(VALU_DEP_2)
	v_dual_mul_f32 v170, v3, v12 :: v_dual_fmac_f32 v169, v2, v9
	v_fma_f32 v171, v1, v9, -v10
	v_mul_f32_e32 v1, v4, v12
	s_delay_alu instid0(VALU_DEP_3) | instskip(NEXT) | instid1(VALU_DEP_2)
	v_fmac_f32_e32 v170, v4, v11
	v_fma_f32 v172, v3, v11, -v1
	s_clause 0x1
	scratch_load_b128 v[1:4], off, off offset:208
	scratch_load_b128 v[9:12], off, off offset:224
	s_wait_loadcnt_dscnt 0x100
	v_mul_f32_e32 v173, v5, v2
	v_dual_mul_f32 v2, v6, v2 :: v_dual_mul_f32 v175, v7, v4
	s_delay_alu instid0(VALU_DEP_2) | instskip(NEXT) | instid1(VALU_DEP_2)
	v_fmac_f32_e32 v173, v6, v1
	v_fma_f32 v174, v5, v1, -v2
	v_mul_f32_e32 v1, v8, v4
	s_delay_alu instid0(VALU_DEP_4) | instskip(NEXT) | instid1(VALU_DEP_2)
	v_fmac_f32_e32 v175, v8, v3
	v_fma_f32 v176, v7, v3, -v1
	ds_load_b128 v[1:4], v25 offset:736
	ds_load_b128 v[5:8], v25 offset:752
	s_wait_loadcnt_dscnt 0x1
	v_mul_f32_e32 v177, v1, v10
	v_mul_f32_e32 v179, v3, v12
	s_delay_alu instid0(VALU_DEP_2) | instskip(NEXT) | instid1(VALU_DEP_2)
	v_fmac_f32_e32 v177, v2, v9
	v_dual_mul_f32 v2, v2, v10 :: v_dual_fmac_f32 v179, v4, v11
	s_delay_alu instid0(VALU_DEP_1) | instskip(SKIP_1) | instid1(VALU_DEP_1)
	v_fma_f32 v178, v1, v9, -v2
	v_mul_f32_e32 v1, v4, v12
	v_fma_f32 v180, v3, v11, -v1
	s_clause 0x1
	scratch_load_b128 v[1:4], off, off offset:240
	scratch_load_b128 v[9:12], off, off offset:256
	s_wait_loadcnt_dscnt 0x100
	v_mul_f32_e32 v181, v5, v2
	v_dual_mul_f32 v2, v6, v2 :: v_dual_mul_f32 v183, v7, v4
	s_delay_alu instid0(VALU_DEP_2) | instskip(NEXT) | instid1(VALU_DEP_2)
	v_fmac_f32_e32 v181, v6, v1
	v_fma_f32 v182, v5, v1, -v2
	v_mul_f32_e32 v1, v8, v4
	s_delay_alu instid0(VALU_DEP_4) | instskip(NEXT) | instid1(VALU_DEP_2)
	v_fmac_f32_e32 v183, v8, v3
	v_fma_f32 v184, v7, v3, -v1
	ds_load_b128 v[1:4], v25 offset:768
	ds_load_b128 v[5:8], v25 offset:784
	s_wait_loadcnt_dscnt 0x1
	v_mul_f32_e32 v185, v1, v10
	v_mul_f32_e32 v187, v3, v12
	s_delay_alu instid0(VALU_DEP_2) | instskip(NEXT) | instid1(VALU_DEP_2)
	v_fmac_f32_e32 v185, v2, v9
	v_dual_mul_f32 v2, v2, v10 :: v_dual_fmac_f32 v187, v4, v11
	s_delay_alu instid0(VALU_DEP_1) | instskip(SKIP_1) | instid1(VALU_DEP_1)
	v_fma_f32 v186, v1, v9, -v2
	v_mul_f32_e32 v1, v4, v12
	;; [unrolled: 25-line block ×7, first 2 shown]
	v_fma_f32 v228, v3, v11, -v1
	s_clause 0x1
	scratch_load_b128 v[1:4], off, off offset:432
	scratch_load_b128 v[9:12], off, off offset:448
	s_wait_loadcnt_dscnt 0x100
	v_mul_f32_e32 v229, v5, v2
	v_dual_mul_f32 v2, v6, v2 :: v_dual_mul_f32 v231, v7, v4
	s_delay_alu instid0(VALU_DEP_2) | instskip(NEXT) | instid1(VALU_DEP_2)
	v_fmac_f32_e32 v229, v6, v1
	v_fma_f32 v230, v5, v1, -v2
	s_delay_alu instid0(VALU_DEP_3) | instskip(NEXT) | instid1(VALU_DEP_1)
	v_dual_add_f32 v2, 0, v32 :: v_dual_fmac_f32 v231, v8, v3
	v_add_f32_e32 v2, v2, v161
	s_delay_alu instid0(VALU_DEP_1) | instskip(NEXT) | instid1(VALU_DEP_1)
	v_add_f32_e32 v2, v2, v23
	v_add_f32_e32 v2, v2, v24
	s_delay_alu instid0(VALU_DEP_1) | instskip(NEXT) | instid1(VALU_DEP_1)
	v_add_f32_e32 v2, v2, v162
	;; [unrolled: 3-line block ×5, first 2 shown]
	v_add_f32_e32 v2, v2, v20
	s_delay_alu instid0(VALU_DEP_1) | instskip(NEXT) | instid1(VALU_DEP_1)
	v_dual_mul_f32 v1, v8, v4 :: v_dual_add_f32 v2, v2, v169
	v_fma_f32 v232, v7, v3, -v1
	s_delay_alu instid0(VALU_DEP_2) | instskip(NEXT) | instid1(VALU_DEP_1)
	v_dual_add_f32 v1, 0, v21 :: v_dual_add_f32 v2, v2, v170
	v_dual_add_f32 v1, v1, v22 :: v_dual_add_f32 v2, v2, v173
	s_delay_alu instid0(VALU_DEP_1) | instskip(NEXT) | instid1(VALU_DEP_1)
	v_dual_add_f32 v1, v1, v26 :: v_dual_add_f32 v2, v2, v175
	v_dual_add_f32 v1, v1, v27 :: v_dual_add_f32 v2, v2, v177
	s_delay_alu instid0(VALU_DEP_1) | instskip(NEXT) | instid1(VALU_DEP_1)
	v_dual_add_f32 v1, v1, v28 :: v_dual_add_f32 v2, v2, v179
	v_add_f32_e32 v1, v1, v29
	s_delay_alu instid0(VALU_DEP_2) | instskip(NEXT) | instid1(VALU_DEP_1)
	v_add_f32_e32 v2, v2, v181
	v_dual_add_f32 v1, v1, v13 :: v_dual_add_f32 v2, v2, v183
	s_delay_alu instid0(VALU_DEP_1) | instskip(NEXT) | instid1(VALU_DEP_1)
	v_dual_add_f32 v1, v1, v14 :: v_dual_add_f32 v2, v2, v185
	v_dual_add_f32 v1, v1, v16 :: v_dual_add_f32 v2, v2, v187
	s_delay_alu instid0(VALU_DEP_1) | instskip(NEXT) | instid1(VALU_DEP_1)
	v_add_f32_e32 v1, v1, v17
	v_add_f32_e32 v1, v1, v166
	s_delay_alu instid0(VALU_DEP_1) | instskip(NEXT) | instid1(VALU_DEP_1)
	v_add_f32_e32 v1, v1, v167
	v_add_f32_e32 v1, v1, v171
	;; [unrolled: 3-line block ×10, first 2 shown]
	s_delay_alu instid0(VALU_DEP_1) | instskip(SKIP_1) | instid1(VALU_DEP_2)
	v_add_f32_e32 v6, v1, v204
	v_add_f32_e32 v2, v2, v189
	;; [unrolled: 1-line block ×3, first 2 shown]
	s_delay_alu instid0(VALU_DEP_2) | instskip(NEXT) | instid1(VALU_DEP_2)
	v_add_f32_e32 v2, v2, v191
	v_add_f32_e32 v13, v6, v208
	s_delay_alu instid0(VALU_DEP_1) | instskip(NEXT) | instid1(VALU_DEP_1)
	v_dual_add_f32 v2, v2, v193 :: v_dual_add_f32 v13, v13, v210
	v_dual_add_f32 v2, v2, v195 :: v_dual_add_f32 v13, v13, v212
	s_delay_alu instid0(VALU_DEP_1) | instskip(NEXT) | instid1(VALU_DEP_1)
	v_dual_add_f32 v2, v2, v197 :: v_dual_add_f32 v13, v13, v214
	v_add_f32_e32 v2, v2, v199
	s_delay_alu instid0(VALU_DEP_1) | instskip(SKIP_2) | instid1(VALU_DEP_1)
	v_dual_add_f32 v18, v13, v216 :: v_dual_add_f32 v5, v2, v201
	ds_load_b128 v[1:4], v25 offset:960
	v_dual_add_f32 v18, v18, v218 :: v_dual_add_f32 v5, v5, v203
	v_dual_add_f32 v18, v18, v220 :: v_dual_add_f32 v5, v5, v205
	s_delay_alu instid0(VALU_DEP_1)
	v_dual_add_f32 v21, v18, v222 :: v_dual_add_f32 v14, v5, v207
	ds_load_b128 v[5:8], v25 offset:976
	v_add_f32_e32 v32, v21, v224
	v_add_f32_e32 v14, v14, v209
	s_wait_loadcnt_dscnt 0x1
	v_dual_mul_f32 v26, v1, v10 :: v_dual_mul_f32 v27, v3, v12
	v_mul_f32_e32 v10, v2, v10
	v_mul_f32_e32 v12, v4, v12
	v_add_f32_e32 v14, v14, v211
	s_delay_alu instid0(VALU_DEP_4) | instskip(NEXT) | instid1(VALU_DEP_4)
	v_dual_fmac_f32 v26, v2, v9 :: v_dual_fmac_f32 v27, v4, v11
	v_fma_f32 v28, v1, v9, -v10
	s_delay_alu instid0(VALU_DEP_4)
	v_fma_f32 v29, v3, v11, -v12
	s_clause 0x1
	scratch_load_b128 v[1:4], off, off offset:464
	scratch_load_b128 v[9:12], off, off offset:480
	v_add_f32_e32 v17, v14, v213
	scratch_load_b128 v[13:16], off, off offset:496
	s_wait_loadcnt_dscnt 0x200
	v_dual_add_f32 v17, v17, v215 :: v_dual_mul_f32 v162, v7, v4
	s_delay_alu instid0(VALU_DEP_1) | instskip(NEXT) | instid1(VALU_DEP_2)
	v_dual_add_f32 v17, v17, v217 :: v_dual_mul_f32 v4, v8, v4
	v_fmac_f32_e32 v162, v8, v3
	s_delay_alu instid0(VALU_DEP_2) | instskip(NEXT) | instid1(VALU_DEP_3)
	v_add_f32_e32 v17, v17, v219
	v_fma_f32 v3, v7, v3, -v4
	s_delay_alu instid0(VALU_DEP_2)
	v_add_f32_e32 v22, v17, v221
	ds_load_b128 v[17:20], v25 offset:992
	v_add_f32_e32 v161, v22, v223
	ds_load_b128 v[21:24], v25 offset:1008
	v_dual_add_f32 v25, v32, v226 :: v_dual_add_f32 v32, v161, v225
	v_mul_f32_e32 v161, v5, v2
	s_delay_alu instid0(VALU_DEP_2) | instskip(NEXT) | instid1(VALU_DEP_2)
	v_dual_add_f32 v25, v25, v228 :: v_dual_mul_f32 v2, v6, v2
	v_dual_add_f32 v32, v32, v227 :: v_dual_fmac_f32 v161, v6, v1
	s_delay_alu instid0(VALU_DEP_2) | instskip(NEXT) | instid1(VALU_DEP_3)
	v_add_f32_e32 v25, v25, v230
	v_fma_f32 v2, v5, v1, -v2
	s_wait_loadcnt_dscnt 0x101
	v_mul_f32_e32 v164, v17, v10
	s_delay_alu instid0(VALU_DEP_3)
	v_dual_add_f32 v25, v25, v232 :: v_dual_mul_f32 v6, v18, v10
	v_mul_f32_e32 v165, v19, v12
	v_mul_f32_e32 v4, v20, v12
	s_wait_loadcnt_dscnt 0x0
	v_mul_f32_e32 v166, v21, v14
	v_dual_add_f32 v32, v32, v229 :: v_dual_add_f32 v25, v25, v28
	v_dual_fmac_f32 v164, v18, v9 :: v_dual_fmac_f32 v165, v20, v11
	v_fma_f32 v4, v19, v11, -v4
	s_delay_alu instid0(VALU_DEP_3) | instskip(SKIP_2) | instid1(VALU_DEP_3)
	v_dual_add_f32 v32, v32, v231 :: v_dual_add_f32 v1, v25, v29
	v_mul_f32_e32 v28, v23, v16
	v_fmac_f32_e32 v166, v22, v13
	v_add_f32_e32 v26, v32, v26
	s_delay_alu instid0(VALU_DEP_3) | instskip(NEXT) | instid1(VALU_DEP_2)
	v_dual_add_f32 v1, v1, v2 :: v_dual_fmac_f32 v28, v24, v15
	v_add_f32_e32 v5, v26, v27
	s_delay_alu instid0(VALU_DEP_2) | instskip(NEXT) | instid1(VALU_DEP_2)
	v_add_f32_e32 v1, v1, v3
	v_dual_mul_f32 v3, v22, v14 :: v_dual_add_f32 v2, v5, v161
	v_fma_f32 v5, v17, v9, -v6
	s_delay_alu instid0(VALU_DEP_2) | instskip(NEXT) | instid1(VALU_DEP_2)
	v_fma_f32 v3, v21, v13, -v3
	v_dual_add_f32 v2, v2, v162 :: v_dual_add_f32 v1, v1, v5
	v_mul_f32_e32 v5, v24, v16
	s_delay_alu instid0(VALU_DEP_2) | instskip(NEXT) | instid1(VALU_DEP_3)
	v_add_f32_e32 v2, v2, v164
	v_add_f32_e32 v1, v1, v4
	s_delay_alu instid0(VALU_DEP_3) | instskip(NEXT) | instid1(VALU_DEP_2)
	v_fma_f32 v4, v23, v15, -v5
	v_dual_add_f32 v2, v2, v165 :: v_dual_add_f32 v1, v1, v3
	s_delay_alu instid0(VALU_DEP_1) | instskip(NEXT) | instid1(VALU_DEP_1)
	v_dual_add_f32 v2, v2, v166 :: v_dual_add_f32 v1, v1, v4
	v_add_f32_e32 v2, v2, v28
	s_delay_alu instid0(VALU_DEP_1)
	v_dual_sub_f32 v1, v30, v1 :: v_dual_sub_f32 v2, v31, v2
	scratch_store_b64 off, v[1:2], off offset:88
	v_cmpx_lt_u32_e32 10, v0
	s_cbranch_execz .LBB127_377
; %bb.376:
	scratch_load_b64 v[1:2], off, off offset:80
	v_mov_b32_e32 v3, 0
	s_delay_alu instid0(VALU_DEP_1)
	v_mov_b32_e32 v4, v3
	scratch_store_b64 off, v[3:4], off offset:80
	s_wait_loadcnt 0x0
	ds_store_b64 v163, v[1:2]
.LBB127_377:
	s_wait_alu 0xfffe
	s_or_b32 exec_lo, exec_lo, s0
	s_wait_storecnt_dscnt 0x0
	s_barrier_signal -1
	s_barrier_wait -1
	global_inv scope:SCOPE_SE
	s_clause 0x4
	scratch_load_b128 v[5:8], off, off offset:88
	scratch_load_b128 v[1:4], off, off offset:104
	;; [unrolled: 1-line block ×5, first 2 shown]
	v_mov_b32_e32 v25, 0
	ds_load_2addr_b64 v[21:24], v25 offset0:75 offset1:76
	ds_load_2addr_b64 v[26:29], v25 offset0:77 offset1:78
	ds_load_2addr_b64 v[164:167], v25 offset0:79 offset1:80
	scratch_load_b64 v[30:31], off, off offset:80
	s_mov_b32 s0, exec_lo
	s_wait_loadcnt_dscnt 0x502
	v_dual_mul_f32 v32, v21, v6 :: v_dual_mul_f32 v161, v23, v8
	v_mul_f32_e32 v6, v22, v6
	v_mul_f32_e32 v8, v24, v8
	s_wait_loadcnt_dscnt 0x300
	v_mul_f32_e32 v168, v166, v12
	v_dual_fmac_f32 v32, v22, v5 :: v_dual_fmac_f32 v161, v24, v7
	v_fma_f32 v21, v21, v5, -v6
	v_fma_f32 v22, v23, v7, -v8
	ds_load_2addr_b64 v[5:8], v25 offset0:81 offset1:82
	v_dual_mul_f32 v23, v26, v2 :: v_dual_mul_f32 v24, v28, v4
	v_mul_f32_e32 v4, v29, v4
	v_mul_f32_e32 v162, v164, v10
	v_mul_f32_e32 v10, v165, v10
	v_mul_f32_e32 v12, v167, v12
	v_mul_f32_e32 v2, v27, v2
	v_dual_fmac_f32 v23, v27, v1 :: v_dual_fmac_f32 v24, v29, v3
	v_fma_f32 v27, v28, v3, -v4
	v_fmac_f32_e32 v162, v165, v9
	v_fmac_f32_e32 v168, v167, v11
	v_fma_f32 v28, v164, v9, -v10
	v_fma_f32 v29, v166, v11, -v12
	ds_load_2addr_b64 v[9:12], v25 offset0:83 offset1:84
	s_wait_loadcnt_dscnt 0x201
	v_dual_mul_f32 v165, v7, v16 :: v_dual_mul_f32 v164, v5, v14
	v_mul_f32_e32 v14, v6, v14
	v_mul_f32_e32 v16, v8, v16
	s_delay_alu instid0(VALU_DEP_3)
	v_fmac_f32_e32 v165, v8, v15
	v_fma_f32 v26, v26, v1, -v2
	scratch_load_b128 v[1:4], off, off offset:168
	v_fmac_f32_e32 v164, v6, v13
	v_fma_f32 v13, v5, v13, -v14
	v_fma_f32 v14, v7, v15, -v16
	ds_load_2addr_b64 v[5:8], v25 offset0:85 offset1:86
	s_wait_loadcnt_dscnt 0x201
	v_mul_f32_e32 v15, v9, v18
	v_mul_f32_e32 v16, v10, v18
	;; [unrolled: 1-line block ×3, first 2 shown]
	s_delay_alu instid0(VALU_DEP_3) | instskip(NEXT) | instid1(VALU_DEP_3)
	v_dual_mul_f32 v20, v12, v20 :: v_dual_fmac_f32 v15, v10, v17
	v_fma_f32 v16, v9, v17, -v16
	s_delay_alu instid0(VALU_DEP_3) | instskip(NEXT) | instid1(VALU_DEP_3)
	v_fmac_f32_e32 v18, v12, v19
	v_fma_f32 v17, v11, v19, -v20
	scratch_load_b128 v[9:12], off, off offset:184
	s_wait_loadcnt_dscnt 0x100
	v_mul_f32_e32 v19, v5, v2
	v_mul_f32_e32 v2, v6, v2
	;; [unrolled: 1-line block ×3, first 2 shown]
	s_delay_alu instid0(VALU_DEP_3) | instskip(NEXT) | instid1(VALU_DEP_3)
	v_dual_mul_f32 v4, v8, v4 :: v_dual_fmac_f32 v19, v6, v1
	v_fma_f32 v166, v5, v1, -v2
	s_delay_alu instid0(VALU_DEP_3) | instskip(NEXT) | instid1(VALU_DEP_3)
	v_fmac_f32_e32 v20, v8, v3
	v_fma_f32 v167, v7, v3, -v4
	ds_load_2addr_b64 v[1:4], v25 offset0:87 offset1:88
	ds_load_2addr_b64 v[5:8], v25 offset0:89 offset1:90
	s_wait_loadcnt_dscnt 0x1
	v_mul_f32_e32 v169, v1, v10
	v_mul_f32_e32 v10, v2, v10
	s_delay_alu instid0(VALU_DEP_2) | instskip(NEXT) | instid1(VALU_DEP_2)
	v_dual_mul_f32 v170, v3, v12 :: v_dual_fmac_f32 v169, v2, v9
	v_fma_f32 v171, v1, v9, -v10
	v_mul_f32_e32 v1, v4, v12
	s_delay_alu instid0(VALU_DEP_3) | instskip(NEXT) | instid1(VALU_DEP_2)
	v_fmac_f32_e32 v170, v4, v11
	v_fma_f32 v172, v3, v11, -v1
	s_clause 0x1
	scratch_load_b128 v[1:4], off, off offset:200
	scratch_load_b128 v[9:12], off, off offset:216
	s_wait_loadcnt_dscnt 0x100
	v_mul_f32_e32 v173, v5, v2
	v_dual_mul_f32 v2, v6, v2 :: v_dual_mul_f32 v175, v7, v4
	s_delay_alu instid0(VALU_DEP_2) | instskip(NEXT) | instid1(VALU_DEP_2)
	v_fmac_f32_e32 v173, v6, v1
	v_fma_f32 v174, v5, v1, -v2
	v_mul_f32_e32 v1, v8, v4
	s_delay_alu instid0(VALU_DEP_4) | instskip(NEXT) | instid1(VALU_DEP_2)
	v_fmac_f32_e32 v175, v8, v3
	v_fma_f32 v176, v7, v3, -v1
	ds_load_2addr_b64 v[1:4], v25 offset0:91 offset1:92
	ds_load_2addr_b64 v[5:8], v25 offset0:93 offset1:94
	s_wait_loadcnt_dscnt 0x1
	v_mul_f32_e32 v177, v1, v10
	v_mul_f32_e32 v179, v3, v12
	s_delay_alu instid0(VALU_DEP_2) | instskip(NEXT) | instid1(VALU_DEP_2)
	v_fmac_f32_e32 v177, v2, v9
	v_dual_mul_f32 v2, v2, v10 :: v_dual_fmac_f32 v179, v4, v11
	s_delay_alu instid0(VALU_DEP_1) | instskip(SKIP_1) | instid1(VALU_DEP_1)
	v_fma_f32 v178, v1, v9, -v2
	v_mul_f32_e32 v1, v4, v12
	v_fma_f32 v180, v3, v11, -v1
	s_clause 0x1
	scratch_load_b128 v[1:4], off, off offset:232
	scratch_load_b128 v[9:12], off, off offset:248
	s_wait_loadcnt_dscnt 0x100
	v_mul_f32_e32 v181, v5, v2
	v_dual_mul_f32 v2, v6, v2 :: v_dual_mul_f32 v183, v7, v4
	s_delay_alu instid0(VALU_DEP_2) | instskip(NEXT) | instid1(VALU_DEP_2)
	v_fmac_f32_e32 v181, v6, v1
	v_fma_f32 v182, v5, v1, -v2
	v_mul_f32_e32 v1, v8, v4
	s_delay_alu instid0(VALU_DEP_4) | instskip(NEXT) | instid1(VALU_DEP_2)
	v_fmac_f32_e32 v183, v8, v3
	v_fma_f32 v184, v7, v3, -v1
	ds_load_2addr_b64 v[1:4], v25 offset0:95 offset1:96
	ds_load_2addr_b64 v[5:8], v25 offset0:97 offset1:98
	s_wait_loadcnt_dscnt 0x1
	v_mul_f32_e32 v185, v1, v10
	v_mul_f32_e32 v187, v3, v12
	s_delay_alu instid0(VALU_DEP_2) | instskip(NEXT) | instid1(VALU_DEP_2)
	v_fmac_f32_e32 v185, v2, v9
	v_dual_mul_f32 v2, v2, v10 :: v_dual_fmac_f32 v187, v4, v11
	s_delay_alu instid0(VALU_DEP_1) | instskip(SKIP_1) | instid1(VALU_DEP_1)
	v_fma_f32 v186, v1, v9, -v2
	v_mul_f32_e32 v1, v4, v12
	;; [unrolled: 25-line block ×7, first 2 shown]
	v_fma_f32 v228, v3, v11, -v1
	s_clause 0x1
	scratch_load_b128 v[1:4], off, off offset:424
	scratch_load_b128 v[9:12], off, off offset:440
	s_wait_loadcnt_dscnt 0x100
	v_mul_f32_e32 v229, v5, v2
	v_dual_mul_f32 v2, v6, v2 :: v_dual_mul_f32 v231, v7, v4
	s_delay_alu instid0(VALU_DEP_2) | instskip(NEXT) | instid1(VALU_DEP_2)
	v_fmac_f32_e32 v229, v6, v1
	v_fma_f32 v230, v5, v1, -v2
	v_add_f32_e32 v2, 0, v32
	s_delay_alu instid0(VALU_DEP_1) | instskip(NEXT) | instid1(VALU_DEP_1)
	v_add_f32_e32 v2, v2, v161
	v_add_f32_e32 v2, v2, v23
	s_delay_alu instid0(VALU_DEP_1) | instskip(NEXT) | instid1(VALU_DEP_1)
	v_add_f32_e32 v2, v2, v24
	;; [unrolled: 3-line block ×6, first 2 shown]
	v_dual_mul_f32 v1, v8, v4 :: v_dual_add_f32 v2, v2, v169
	s_delay_alu instid0(VALU_DEP_1) | instskip(NEXT) | instid1(VALU_DEP_2)
	v_fma_f32 v232, v7, v3, -v1
	v_dual_add_f32 v1, 0, v21 :: v_dual_add_f32 v2, v2, v170
	s_delay_alu instid0(VALU_DEP_1) | instskip(NEXT) | instid1(VALU_DEP_1)
	v_dual_add_f32 v1, v1, v22 :: v_dual_add_f32 v2, v2, v173
	v_dual_add_f32 v1, v1, v26 :: v_dual_add_f32 v2, v2, v175
	s_delay_alu instid0(VALU_DEP_1) | instskip(SKIP_2) | instid1(VALU_DEP_1)
	v_add_f32_e32 v1, v1, v27
	scratch_load_b64 v[26:27], off, off offset:504
	v_dual_add_f32 v2, v2, v177 :: v_dual_add_f32 v1, v1, v28
	v_dual_add_f32 v2, v2, v179 :: v_dual_add_f32 v1, v1, v29
	s_delay_alu instid0(VALU_DEP_1) | instskip(NEXT) | instid1(VALU_DEP_1)
	v_add_f32_e32 v2, v2, v181
	v_dual_add_f32 v1, v1, v13 :: v_dual_add_f32 v2, v2, v183
	s_delay_alu instid0(VALU_DEP_1) | instskip(NEXT) | instid1(VALU_DEP_1)
	v_dual_add_f32 v1, v1, v14 :: v_dual_add_f32 v2, v2, v185
	v_dual_add_f32 v1, v1, v16 :: v_dual_add_f32 v2, v2, v187
	s_delay_alu instid0(VALU_DEP_1) | instskip(NEXT) | instid1(VALU_DEP_1)
	v_add_f32_e32 v1, v1, v17
	v_add_f32_e32 v1, v1, v166
	s_delay_alu instid0(VALU_DEP_1) | instskip(NEXT) | instid1(VALU_DEP_1)
	v_add_f32_e32 v1, v1, v167
	v_add_f32_e32 v1, v1, v171
	;; [unrolled: 3-line block ×10, first 2 shown]
	s_delay_alu instid0(VALU_DEP_1) | instskip(SKIP_1) | instid1(VALU_DEP_2)
	v_add_f32_e32 v6, v1, v204
	v_add_f32_e32 v2, v2, v189
	;; [unrolled: 1-line block ×3, first 2 shown]
	s_delay_alu instid0(VALU_DEP_2) | instskip(NEXT) | instid1(VALU_DEP_2)
	v_add_f32_e32 v2, v2, v191
	v_add_f32_e32 v13, v6, v208
	s_delay_alu instid0(VALU_DEP_1) | instskip(NEXT) | instid1(VALU_DEP_1)
	v_dual_add_f32 v2, v2, v193 :: v_dual_add_f32 v13, v13, v210
	v_dual_add_f32 v2, v2, v195 :: v_dual_add_f32 v13, v13, v212
	s_delay_alu instid0(VALU_DEP_1) | instskip(NEXT) | instid1(VALU_DEP_1)
	v_dual_add_f32 v2, v2, v197 :: v_dual_add_f32 v13, v13, v214
	v_add_f32_e32 v2, v2, v199
	s_delay_alu instid0(VALU_DEP_2) | instskip(NEXT) | instid1(VALU_DEP_2)
	v_dual_add_f32 v18, v13, v216 :: v_dual_fmac_f32 v231, v8, v3
	v_add_f32_e32 v5, v2, v201
	ds_load_2addr_b64 v[1:4], v25 offset0:119 offset1:120
	v_dual_add_f32 v18, v18, v218 :: v_dual_add_f32 v5, v5, v203
	s_delay_alu instid0(VALU_DEP_1) | instskip(NEXT) | instid1(VALU_DEP_1)
	v_dual_add_f32 v18, v18, v220 :: v_dual_add_f32 v5, v5, v205
	v_add_f32_e32 v18, v18, v222
	s_delay_alu instid0(VALU_DEP_2)
	v_add_f32_e32 v14, v5, v207
	ds_load_2addr_b64 v[5:8], v25 offset0:121 offset1:122
	v_add_f32_e32 v18, v18, v224
	v_add_f32_e32 v14, v14, v209
	s_wait_loadcnt_dscnt 0x101
	v_mul_f32_e32 v32, v1, v10
	v_dual_mul_f32 v10, v2, v10 :: v_dual_mul_f32 v161, v3, v12
	v_mul_f32_e32 v12, v4, v12
	v_add_f32_e32 v14, v14, v211
	s_delay_alu instid0(VALU_DEP_4) | instskip(NEXT) | instid1(VALU_DEP_4)
	v_fmac_f32_e32 v32, v2, v9
	v_fma_f32 v162, v1, v9, -v10
	v_fmac_f32_e32 v161, v4, v11
	v_fma_f32 v164, v3, v11, -v12
	s_clause 0x1
	scratch_load_b128 v[1:4], off, off offset:456
	scratch_load_b128 v[9:12], off, off offset:472
	v_add_f32_e32 v28, v18, v226
	s_delay_alu instid0(VALU_DEP_1) | instskip(NEXT) | instid1(VALU_DEP_1)
	v_add_f32_e32 v165, v28, v228
	v_add_f32_e32 v165, v165, v230
	s_delay_alu instid0(VALU_DEP_1) | instskip(NEXT) | instid1(VALU_DEP_1)
	v_add_f32_e32 v165, v165, v232
	v_add_f32_e32 v162, v165, v162
	s_delay_alu instid0(VALU_DEP_1)
	v_add_f32_e32 v162, v162, v164
	s_wait_loadcnt_dscnt 0x100
	v_dual_mul_f32 v168, v7, v4 :: v_dual_add_f32 v17, v14, v213
	scratch_load_b128 v[13:16], off, off offset:488
	v_dual_mul_f32 v4, v8, v4 :: v_dual_mul_f32 v167, v5, v2
	v_dual_mul_f32 v2, v6, v2 :: v_dual_add_f32 v17, v17, v215
	s_delay_alu instid0(VALU_DEP_2) | instskip(NEXT) | instid1(VALU_DEP_2)
	v_dual_fmac_f32 v168, v8, v3 :: v_dual_fmac_f32 v167, v6, v1
	v_fma_f32 v2, v5, v1, -v2
	s_delay_alu instid0(VALU_DEP_3) | instskip(SKIP_1) | instid1(VALU_DEP_2)
	v_add_f32_e32 v17, v17, v217
	v_fma_f32 v1, v7, v3, -v4
	v_dual_add_f32 v2, v162, v2 :: v_dual_add_f32 v17, v17, v219
	s_delay_alu instid0(VALU_DEP_1) | instskip(NEXT) | instid1(VALU_DEP_2)
	v_add_f32_e32 v1, v2, v1
	v_add_f32_e32 v17, v17, v221
	s_delay_alu instid0(VALU_DEP_1)
	v_add_f32_e32 v21, v17, v223
	ds_load_2addr_b64 v[17:20], v25 offset0:123 offset1:124
	v_add_f32_e32 v29, v21, v225
	ds_load_2addr_b64 v[21:24], v25 offset0:125 offset1:126
	v_add_f32_e32 v166, v29, v227
	ds_load_b64 v[28:29], v25 offset:1016
	s_wait_loadcnt_dscnt 0x102
	v_mul_f32_e32 v165, v17, v10
	v_mul_f32_e32 v3, v18, v10
	;; [unrolled: 1-line block ×3, first 2 shown]
	s_delay_alu instid0(VALU_DEP_3) | instskip(NEXT) | instid1(VALU_DEP_3)
	v_fmac_f32_e32 v165, v18, v9
	v_fma_f32 v3, v17, v9, -v3
	s_delay_alu instid0(VALU_DEP_3) | instskip(NEXT) | instid1(VALU_DEP_2)
	v_fma_f32 v5, v19, v11, -v5
	v_add_f32_e32 v1, v1, v3
	s_delay_alu instid0(VALU_DEP_1) | instskip(SKIP_4) | instid1(VALU_DEP_3)
	v_add_f32_e32 v1, v1, v5
	s_wait_loadcnt_dscnt 0x0
	v_dual_mul_f32 v5, v29, v27 :: v_dual_mul_f32 v164, v23, v16
	v_dual_add_f32 v166, v166, v229 :: v_dual_mul_f32 v169, v21, v14
	v_mul_f32_e32 v3, v24, v16
	v_fmac_f32_e32 v164, v24, v15
	s_delay_alu instid0(VALU_DEP_3) | instskip(NEXT) | instid1(VALU_DEP_4)
	v_add_f32_e32 v166, v166, v231
	v_fmac_f32_e32 v169, v22, v13
	s_delay_alu instid0(VALU_DEP_4) | instskip(NEXT) | instid1(VALU_DEP_3)
	v_fma_f32 v3, v23, v15, -v3
	v_add_f32_e32 v32, v166, v32
	v_mul_f32_e32 v166, v19, v12
	s_delay_alu instid0(VALU_DEP_2) | instskip(NEXT) | instid1(VALU_DEP_2)
	v_add_f32_e32 v32, v32, v161
	v_fmac_f32_e32 v166, v20, v11
	v_mul_f32_e32 v161, v28, v27
	s_delay_alu instid0(VALU_DEP_1) | instskip(NEXT) | instid1(VALU_DEP_1)
	v_dual_add_f32 v4, v32, v167 :: v_dual_fmac_f32 v161, v29, v26
	v_add_f32_e32 v2, v4, v168
	v_mul_f32_e32 v4, v22, v14
	s_delay_alu instid0(VALU_DEP_2) | instskip(NEXT) | instid1(VALU_DEP_2)
	v_add_f32_e32 v2, v2, v165
	v_fma_f32 v4, v21, v13, -v4
	s_delay_alu instid0(VALU_DEP_1) | instskip(SKIP_1) | instid1(VALU_DEP_2)
	v_dual_add_f32 v2, v2, v166 :: v_dual_add_f32 v1, v1, v4
	v_fma_f32 v4, v28, v26, -v5
	v_dual_add_f32 v2, v2, v169 :: v_dual_add_f32 v1, v1, v3
	s_delay_alu instid0(VALU_DEP_1) | instskip(NEXT) | instid1(VALU_DEP_1)
	v_add_f32_e32 v2, v2, v164
	v_dual_add_f32 v1, v1, v4 :: v_dual_add_f32 v2, v2, v161
	s_delay_alu instid0(VALU_DEP_1)
	v_dual_sub_f32 v1, v30, v1 :: v_dual_sub_f32 v2, v31, v2
	scratch_store_b64 off, v[1:2], off offset:80
	v_cmpx_lt_u32_e32 9, v0
	s_cbranch_execz .LBB127_379
; %bb.378:
	scratch_load_b64 v[1:2], off, off offset:72
	v_mov_b32_e32 v26, v25
	scratch_store_b64 off, v[25:26], off offset:72
	s_wait_loadcnt 0x0
	ds_store_b64 v163, v[1:2]
.LBB127_379:
	s_wait_alu 0xfffe
	s_or_b32 exec_lo, exec_lo, s0
	s_wait_storecnt_dscnt 0x0
	s_barrier_signal -1
	s_barrier_wait -1
	global_inv scope:SCOPE_SE
	s_clause 0x4
	scratch_load_b128 v[5:8], off, off offset:80
	scratch_load_b128 v[1:4], off, off offset:96
	;; [unrolled: 1-line block ×5, first 2 shown]
	ds_load_b128 v[21:24], v25 offset:592
	ds_load_b128 v[26:29], v25 offset:608
	ds_load_b128 v[164:167], v25 offset:624
	scratch_load_b64 v[30:31], off, off offset:72
	s_mov_b32 s0, exec_lo
	s_wait_loadcnt_dscnt 0x502
	v_dual_mul_f32 v32, v21, v6 :: v_dual_mul_f32 v161, v23, v8
	v_mul_f32_e32 v6, v22, v6
	v_mul_f32_e32 v8, v24, v8
	s_wait_loadcnt_dscnt 0x300
	v_mul_f32_e32 v162, v164, v10
	v_dual_fmac_f32 v32, v22, v5 :: v_dual_fmac_f32 v161, v24, v7
	v_fma_f32 v21, v21, v5, -v6
	v_fma_f32 v22, v23, v7, -v8
	ds_load_b128 v[5:8], v25 offset:640
	v_dual_mul_f32 v23, v26, v2 :: v_dual_mul_f32 v24, v28, v4
	v_mul_f32_e32 v4, v29, v4
	v_mul_f32_e32 v168, v166, v12
	v_mul_f32_e32 v10, v165, v10
	v_mul_f32_e32 v12, v167, v12
	v_mul_f32_e32 v2, v27, v2
	v_dual_fmac_f32 v23, v27, v1 :: v_dual_fmac_f32 v24, v29, v3
	v_fma_f32 v27, v28, v3, -v4
	v_fmac_f32_e32 v162, v165, v9
	v_fmac_f32_e32 v168, v167, v11
	v_fma_f32 v28, v164, v9, -v10
	v_fma_f32 v29, v166, v11, -v12
	ds_load_b128 v[9:12], v25 offset:656
	s_wait_loadcnt_dscnt 0x201
	v_dual_mul_f32 v165, v7, v16 :: v_dual_mul_f32 v164, v5, v14
	v_mul_f32_e32 v14, v6, v14
	v_mul_f32_e32 v16, v8, v16
	s_delay_alu instid0(VALU_DEP_3)
	v_fmac_f32_e32 v165, v8, v15
	v_fma_f32 v26, v26, v1, -v2
	scratch_load_b128 v[1:4], off, off offset:160
	v_fmac_f32_e32 v164, v6, v13
	v_fma_f32 v13, v5, v13, -v14
	v_fma_f32 v14, v7, v15, -v16
	ds_load_b128 v[5:8], v25 offset:672
	s_wait_loadcnt_dscnt 0x201
	v_mul_f32_e32 v15, v9, v18
	v_mul_f32_e32 v16, v10, v18
	;; [unrolled: 1-line block ×3, first 2 shown]
	s_delay_alu instid0(VALU_DEP_3) | instskip(NEXT) | instid1(VALU_DEP_3)
	v_dual_mul_f32 v20, v12, v20 :: v_dual_fmac_f32 v15, v10, v17
	v_fma_f32 v16, v9, v17, -v16
	s_delay_alu instid0(VALU_DEP_3) | instskip(NEXT) | instid1(VALU_DEP_3)
	v_fmac_f32_e32 v18, v12, v19
	v_fma_f32 v17, v11, v19, -v20
	scratch_load_b128 v[9:12], off, off offset:176
	s_wait_loadcnt_dscnt 0x100
	v_mul_f32_e32 v19, v5, v2
	v_mul_f32_e32 v2, v6, v2
	;; [unrolled: 1-line block ×3, first 2 shown]
	s_delay_alu instid0(VALU_DEP_3) | instskip(NEXT) | instid1(VALU_DEP_3)
	v_dual_mul_f32 v4, v8, v4 :: v_dual_fmac_f32 v19, v6, v1
	v_fma_f32 v166, v5, v1, -v2
	s_delay_alu instid0(VALU_DEP_3) | instskip(NEXT) | instid1(VALU_DEP_3)
	v_fmac_f32_e32 v20, v8, v3
	v_fma_f32 v167, v7, v3, -v4
	ds_load_b128 v[1:4], v25 offset:688
	ds_load_b128 v[5:8], v25 offset:704
	s_wait_loadcnt_dscnt 0x1
	v_mul_f32_e32 v169, v1, v10
	v_mul_f32_e32 v10, v2, v10
	s_delay_alu instid0(VALU_DEP_2) | instskip(NEXT) | instid1(VALU_DEP_2)
	v_dual_mul_f32 v170, v3, v12 :: v_dual_fmac_f32 v169, v2, v9
	v_fma_f32 v171, v1, v9, -v10
	v_mul_f32_e32 v1, v4, v12
	s_delay_alu instid0(VALU_DEP_3) | instskip(NEXT) | instid1(VALU_DEP_2)
	v_fmac_f32_e32 v170, v4, v11
	v_fma_f32 v172, v3, v11, -v1
	s_clause 0x1
	scratch_load_b128 v[1:4], off, off offset:192
	scratch_load_b128 v[9:12], off, off offset:208
	s_wait_loadcnt_dscnt 0x100
	v_mul_f32_e32 v173, v5, v2
	v_dual_mul_f32 v2, v6, v2 :: v_dual_mul_f32 v175, v7, v4
	s_delay_alu instid0(VALU_DEP_2) | instskip(NEXT) | instid1(VALU_DEP_2)
	v_fmac_f32_e32 v173, v6, v1
	v_fma_f32 v174, v5, v1, -v2
	v_mul_f32_e32 v1, v8, v4
	s_delay_alu instid0(VALU_DEP_4) | instskip(NEXT) | instid1(VALU_DEP_2)
	v_fmac_f32_e32 v175, v8, v3
	v_fma_f32 v176, v7, v3, -v1
	ds_load_b128 v[1:4], v25 offset:720
	ds_load_b128 v[5:8], v25 offset:736
	s_wait_loadcnt_dscnt 0x1
	v_mul_f32_e32 v177, v1, v10
	v_mul_f32_e32 v179, v3, v12
	s_delay_alu instid0(VALU_DEP_2) | instskip(NEXT) | instid1(VALU_DEP_2)
	v_fmac_f32_e32 v177, v2, v9
	v_dual_mul_f32 v2, v2, v10 :: v_dual_fmac_f32 v179, v4, v11
	s_delay_alu instid0(VALU_DEP_1) | instskip(SKIP_1) | instid1(VALU_DEP_1)
	v_fma_f32 v178, v1, v9, -v2
	v_mul_f32_e32 v1, v4, v12
	v_fma_f32 v180, v3, v11, -v1
	s_clause 0x1
	scratch_load_b128 v[1:4], off, off offset:224
	scratch_load_b128 v[9:12], off, off offset:240
	s_wait_loadcnt_dscnt 0x100
	v_mul_f32_e32 v181, v5, v2
	v_dual_mul_f32 v2, v6, v2 :: v_dual_mul_f32 v183, v7, v4
	s_delay_alu instid0(VALU_DEP_2) | instskip(NEXT) | instid1(VALU_DEP_2)
	v_fmac_f32_e32 v181, v6, v1
	v_fma_f32 v182, v5, v1, -v2
	v_mul_f32_e32 v1, v8, v4
	s_delay_alu instid0(VALU_DEP_4) | instskip(NEXT) | instid1(VALU_DEP_2)
	v_fmac_f32_e32 v183, v8, v3
	v_fma_f32 v184, v7, v3, -v1
	ds_load_b128 v[1:4], v25 offset:752
	ds_load_b128 v[5:8], v25 offset:768
	s_wait_loadcnt_dscnt 0x1
	v_mul_f32_e32 v185, v1, v10
	v_mul_f32_e32 v187, v3, v12
	s_delay_alu instid0(VALU_DEP_2) | instskip(NEXT) | instid1(VALU_DEP_2)
	v_fmac_f32_e32 v185, v2, v9
	v_dual_mul_f32 v2, v2, v10 :: v_dual_fmac_f32 v187, v4, v11
	s_delay_alu instid0(VALU_DEP_1) | instskip(SKIP_1) | instid1(VALU_DEP_1)
	v_fma_f32 v186, v1, v9, -v2
	v_mul_f32_e32 v1, v4, v12
	;; [unrolled: 25-line block ×7, first 2 shown]
	v_fma_f32 v228, v3, v11, -v1
	s_clause 0x1
	scratch_load_b128 v[1:4], off, off offset:416
	scratch_load_b128 v[9:12], off, off offset:432
	s_wait_loadcnt_dscnt 0x100
	v_mul_f32_e32 v229, v5, v2
	v_mul_f32_e32 v2, v6, v2
	s_delay_alu instid0(VALU_DEP_2) | instskip(NEXT) | instid1(VALU_DEP_2)
	v_fmac_f32_e32 v229, v6, v1
	v_fma_f32 v230, v5, v1, -v2
	v_add_f32_e32 v2, 0, v32
	s_delay_alu instid0(VALU_DEP_1) | instskip(NEXT) | instid1(VALU_DEP_1)
	v_dual_mul_f32 v1, v8, v4 :: v_dual_add_f32 v2, v2, v161
	v_fma_f32 v232, v7, v3, -v1
	s_delay_alu instid0(VALU_DEP_2) | instskip(NEXT) | instid1(VALU_DEP_1)
	v_add_f32_e32 v2, v2, v23
	v_add_f32_e32 v2, v2, v24
	s_delay_alu instid0(VALU_DEP_1) | instskip(NEXT) | instid1(VALU_DEP_1)
	v_add_f32_e32 v2, v2, v162
	v_add_f32_e32 v2, v2, v168
	s_delay_alu instid0(VALU_DEP_1) | instskip(NEXT) | instid1(VALU_DEP_1)
	;; [unrolled: 3-line block ×7, first 2 shown]
	v_add_f32_e32 v2, v2, v177
	v_dual_add_f32 v1, 0, v21 :: v_dual_add_f32 v2, v2, v179
	s_delay_alu instid0(VALU_DEP_1) | instskip(NEXT) | instid1(VALU_DEP_1)
	v_dual_add_f32 v1, v1, v22 :: v_dual_add_f32 v2, v2, v181
	v_dual_add_f32 v1, v1, v26 :: v_dual_add_f32 v2, v2, v183
	s_delay_alu instid0(VALU_DEP_1) | instskip(NEXT) | instid1(VALU_DEP_1)
	v_dual_add_f32 v1, v1, v27 :: v_dual_add_f32 v2, v2, v185
	v_dual_add_f32 v1, v1, v28 :: v_dual_add_f32 v2, v2, v187
	s_delay_alu instid0(VALU_DEP_1) | instskip(NEXT) | instid1(VALU_DEP_1)
	v_add_f32_e32 v1, v1, v29
	v_add_f32_e32 v1, v1, v13
	s_delay_alu instid0(VALU_DEP_1) | instskip(NEXT) | instid1(VALU_DEP_1)
	v_add_f32_e32 v1, v1, v14
	v_add_f32_e32 v1, v1, v16
	;; [unrolled: 3-line block ×13, first 2 shown]
	v_add_f32_e32 v2, v2, v189
	s_delay_alu instid0(VALU_DEP_2) | instskip(NEXT) | instid1(VALU_DEP_2)
	v_add_f32_e32 v14, v6, v208
	v_dual_add_f32 v2, v2, v191 :: v_dual_mul_f32 v231, v7, v4
	s_delay_alu instid0(VALU_DEP_2) | instskip(NEXT) | instid1(VALU_DEP_2)
	v_add_f32_e32 v14, v14, v210
	v_dual_add_f32 v2, v2, v193 :: v_dual_fmac_f32 v231, v8, v3
	s_delay_alu instid0(VALU_DEP_2) | instskip(NEXT) | instid1(VALU_DEP_1)
	v_add_f32_e32 v17, v14, v212
	v_dual_add_f32 v2, v2, v195 :: v_dual_add_f32 v17, v17, v214
	s_delay_alu instid0(VALU_DEP_1) | instskip(NEXT) | instid1(VALU_DEP_1)
	v_dual_add_f32 v2, v2, v197 :: v_dual_add_f32 v17, v17, v216
	v_dual_add_f32 v2, v2, v199 :: v_dual_add_f32 v17, v17, v218
	s_delay_alu instid0(VALU_DEP_1) | instskip(NEXT) | instid1(VALU_DEP_1)
	v_add_f32_e32 v2, v2, v201
	v_dual_add_f32 v22, v17, v220 :: v_dual_add_f32 v5, v2, v203
	ds_load_b128 v[1:4], v25 offset:944
	v_dual_add_f32 v22, v22, v222 :: v_dual_add_f32 v13, v5, v205
	scratch_load_b128 v[5:8], off, off offset:448
	v_dual_add_f32 v22, v22, v224 :: v_dual_add_f32 v13, v13, v207
	s_delay_alu instid0(VALU_DEP_1) | instskip(NEXT) | instid1(VALU_DEP_1)
	v_add_f32_e32 v13, v13, v209
	v_add_f32_e32 v18, v13, v211
	ds_load_b128 v[13:16], v25 offset:960
	s_wait_loadcnt_dscnt 0x101
	v_mul_f32_e32 v26, v1, v10
	v_dual_mul_f32 v10, v2, v10 :: v_dual_mul_f32 v27, v3, v12
	v_mul_f32_e32 v12, v4, v12
	s_delay_alu instid0(VALU_DEP_3) | instskip(NEXT) | instid1(VALU_DEP_3)
	v_fmac_f32_e32 v26, v2, v9
	v_fma_f32 v28, v1, v9, -v10
	s_delay_alu instid0(VALU_DEP_4) | instskip(NEXT) | instid1(VALU_DEP_4)
	v_fmac_f32_e32 v27, v4, v11
	v_fma_f32 v29, v3, v11, -v12
	s_clause 0x1
	scratch_load_b128 v[1:4], off, off offset:464
	scratch_load_b128 v[9:12], off, off offset:480
	s_wait_loadcnt_dscnt 0x200
	v_mul_f32_e32 v161, v15, v8
	v_mul_f32_e32 v8, v16, v8
	v_add_f32_e32 v18, v18, v213
	v_mul_f32_e32 v32, v13, v6
	s_delay_alu instid0(VALU_DEP_4) | instskip(NEXT) | instid1(VALU_DEP_4)
	v_dual_mul_f32 v6, v14, v6 :: v_dual_fmac_f32 v161, v16, v7
	v_fma_f32 v164, v15, v7, -v8
	s_delay_alu instid0(VALU_DEP_4) | instskip(NEXT) | instid1(VALU_DEP_4)
	v_add_f32_e32 v18, v18, v215
	v_fmac_f32_e32 v32, v14, v5
	s_delay_alu instid0(VALU_DEP_4) | instskip(SKIP_4) | instid1(VALU_DEP_1)
	v_fma_f32 v162, v13, v5, -v6
	ds_load_b128 v[5:8], v25 offset:976
	v_add_f32_e32 v21, v18, v217
	scratch_load_b128 v[17:20], off, off offset:496
	v_add_f32_e32 v21, v21, v219
	v_add_f32_e32 v21, v21, v221
	s_delay_alu instid0(VALU_DEP_1) | instskip(NEXT) | instid1(VALU_DEP_1)
	v_add_f32_e32 v13, v21, v223
	v_dual_add_f32 v21, v22, v226 :: v_dual_add_f32 v22, v13, v225
	s_delay_alu instid0(VALU_DEP_1) | instskip(SKIP_4) | instid1(VALU_DEP_1)
	v_add_f32_e32 v165, v21, v228
	ds_load_b128 v[13:16], v25 offset:992
	v_add_f32_e32 v166, v22, v227
	ds_load_b128 v[21:24], v25 offset:1008
	v_add_f32_e32 v25, v165, v230
	v_add_f32_e32 v25, v25, v232
	s_delay_alu instid0(VALU_DEP_1)
	v_add_f32_e32 v25, v25, v28
	s_wait_loadcnt_dscnt 0x202
	v_mul_f32_e32 v28, v7, v4
	v_dual_mul_f32 v4, v8, v4 :: v_dual_add_f32 v165, v166, v229
	v_mul_f32_e32 v166, v5, v2
	v_dual_add_f32 v25, v25, v29 :: v_dual_mul_f32 v2, v6, v2
	s_delay_alu instid0(VALU_DEP_4) | instskip(NEXT) | instid1(VALU_DEP_3)
	v_fmac_f32_e32 v28, v8, v3
	v_dual_add_f32 v165, v165, v231 :: v_dual_fmac_f32 v166, v6, v1
	s_delay_alu instid0(VALU_DEP_3) | instskip(NEXT) | instid1(VALU_DEP_4)
	v_add_f32_e32 v25, v25, v162
	v_fma_f32 v2, v5, v1, -v2
	s_wait_loadcnt_dscnt 0x101
	v_mul_f32_e32 v6, v14, v10
	v_add_f32_e32 v26, v165, v26
	v_mul_f32_e32 v165, v13, v10
	v_add_f32_e32 v1, v25, v164
	v_fma_f32 v3, v7, v3, -v4
	s_delay_alu instid0(VALU_DEP_4) | instskip(NEXT) | instid1(VALU_DEP_3)
	v_dual_mul_f32 v167, v15, v12 :: v_dual_add_f32 v26, v26, v27
	v_dual_mul_f32 v4, v16, v12 :: v_dual_add_f32 v1, v1, v2
	v_fmac_f32_e32 v165, v14, v9
	s_delay_alu instid0(VALU_DEP_3) | instskip(NEXT) | instid1(VALU_DEP_3)
	v_dual_fmac_f32 v167, v16, v11 :: v_dual_add_f32 v26, v26, v32
	v_fma_f32 v4, v15, v11, -v4
	s_delay_alu instid0(VALU_DEP_4) | instskip(NEXT) | instid1(VALU_DEP_3)
	v_add_f32_e32 v1, v1, v3
	v_add_f32_e32 v5, v26, v161
	s_delay_alu instid0(VALU_DEP_1) | instskip(SKIP_1) | instid1(VALU_DEP_1)
	v_add_f32_e32 v2, v5, v166
	v_fma_f32 v5, v13, v9, -v6
	v_dual_add_f32 v2, v2, v28 :: v_dual_add_f32 v1, v1, v5
	s_delay_alu instid0(VALU_DEP_1) | instskip(SKIP_1) | instid1(VALU_DEP_1)
	v_dual_add_f32 v2, v2, v165 :: v_dual_add_f32 v1, v1, v4
	s_wait_loadcnt_dscnt 0x0
	v_dual_add_f32 v2, v2, v167 :: v_dual_mul_f32 v27, v21, v18
	v_mul_f32_e32 v3, v22, v18
	v_mul_f32_e32 v29, v23, v20
	;; [unrolled: 1-line block ×3, first 2 shown]
	s_delay_alu instid0(VALU_DEP_4) | instskip(NEXT) | instid1(VALU_DEP_4)
	v_fmac_f32_e32 v27, v22, v17
	v_fma_f32 v3, v21, v17, -v3
	s_delay_alu instid0(VALU_DEP_4) | instskip(NEXT) | instid1(VALU_DEP_4)
	v_fmac_f32_e32 v29, v24, v19
	v_fma_f32 v4, v23, v19, -v5
	s_delay_alu instid0(VALU_DEP_4) | instskip(NEXT) | instid1(VALU_DEP_1)
	v_add_f32_e32 v2, v2, v27
	v_dual_add_f32 v1, v1, v3 :: v_dual_add_f32 v2, v2, v29
	s_delay_alu instid0(VALU_DEP_1) | instskip(NEXT) | instid1(VALU_DEP_1)
	v_dual_add_f32 v1, v1, v4 :: v_dual_sub_f32 v2, v31, v2
	v_sub_f32_e32 v1, v30, v1
	scratch_store_b64 off, v[1:2], off offset:72
	v_cmpx_lt_u32_e32 8, v0
	s_cbranch_execz .LBB127_381
; %bb.380:
	scratch_load_b64 v[1:2], off, off offset:64
	v_mov_b32_e32 v3, 0
	s_delay_alu instid0(VALU_DEP_1)
	v_mov_b32_e32 v4, v3
	scratch_store_b64 off, v[3:4], off offset:64
	s_wait_loadcnt 0x0
	ds_store_b64 v163, v[1:2]
.LBB127_381:
	s_wait_alu 0xfffe
	s_or_b32 exec_lo, exec_lo, s0
	s_wait_storecnt_dscnt 0x0
	s_barrier_signal -1
	s_barrier_wait -1
	global_inv scope:SCOPE_SE
	s_clause 0x4
	scratch_load_b128 v[5:8], off, off offset:72
	scratch_load_b128 v[1:4], off, off offset:88
	;; [unrolled: 1-line block ×5, first 2 shown]
	v_mov_b32_e32 v29, 0
	ds_load_2addr_b64 v[21:24], v29 offset0:73 offset1:74
	ds_load_2addr_b64 v[25:28], v29 offset0:75 offset1:76
	;; [unrolled: 1-line block ×3, first 2 shown]
	scratch_load_b64 v[30:31], off, off offset:64
	s_mov_b32 s0, exec_lo
	s_wait_loadcnt_dscnt 0x502
	v_dual_mul_f32 v32, v21, v6 :: v_dual_mul_f32 v161, v23, v8
	v_mul_f32_e32 v6, v22, v6
	v_mul_f32_e32 v8, v24, v8
	s_wait_loadcnt_dscnt 0x300
	v_mul_f32_e32 v162, v164, v10
	v_dual_fmac_f32 v32, v22, v5 :: v_dual_fmac_f32 v161, v24, v7
	v_fma_f32 v21, v21, v5, -v6
	v_fma_f32 v22, v23, v7, -v8
	ds_load_2addr_b64 v[5:8], v29 offset0:79 offset1:80
	v_dual_mul_f32 v23, v25, v2 :: v_dual_mul_f32 v24, v27, v4
	v_mul_f32_e32 v4, v28, v4
	v_mul_f32_e32 v168, v166, v12
	;; [unrolled: 1-line block ×5, first 2 shown]
	v_dual_fmac_f32 v23, v26, v1 :: v_dual_fmac_f32 v24, v28, v3
	v_fma_f32 v26, v27, v3, -v4
	v_fmac_f32_e32 v162, v165, v9
	v_fmac_f32_e32 v168, v167, v11
	v_fma_f32 v27, v164, v9, -v10
	v_fma_f32 v28, v166, v11, -v12
	ds_load_2addr_b64 v[9:12], v29 offset0:81 offset1:82
	s_wait_loadcnt_dscnt 0x201
	v_mul_f32_e32 v165, v7, v16
	v_fma_f32 v25, v25, v1, -v2
	scratch_load_b128 v[1:4], off, off offset:152
	v_mul_f32_e32 v164, v5, v14
	v_mul_f32_e32 v14, v6, v14
	;; [unrolled: 1-line block ×3, first 2 shown]
	s_delay_alu instid0(VALU_DEP_3) | instskip(NEXT) | instid1(VALU_DEP_3)
	v_dual_fmac_f32 v165, v8, v15 :: v_dual_fmac_f32 v164, v6, v13
	v_fma_f32 v13, v5, v13, -v14
	s_delay_alu instid0(VALU_DEP_3)
	v_fma_f32 v14, v7, v15, -v16
	ds_load_2addr_b64 v[5:8], v29 offset0:83 offset1:84
	s_wait_loadcnt_dscnt 0x201
	v_mul_f32_e32 v15, v9, v18
	v_mul_f32_e32 v16, v10, v18
	;; [unrolled: 1-line block ×3, first 2 shown]
	s_delay_alu instid0(VALU_DEP_3) | instskip(NEXT) | instid1(VALU_DEP_3)
	v_dual_mul_f32 v20, v12, v20 :: v_dual_fmac_f32 v15, v10, v17
	v_fma_f32 v16, v9, v17, -v16
	s_delay_alu instid0(VALU_DEP_3) | instskip(NEXT) | instid1(VALU_DEP_3)
	v_fmac_f32_e32 v18, v12, v19
	v_fma_f32 v17, v11, v19, -v20
	scratch_load_b128 v[9:12], off, off offset:168
	s_wait_loadcnt_dscnt 0x100
	v_mul_f32_e32 v19, v5, v2
	v_mul_f32_e32 v2, v6, v2
	;; [unrolled: 1-line block ×3, first 2 shown]
	s_delay_alu instid0(VALU_DEP_3) | instskip(NEXT) | instid1(VALU_DEP_3)
	v_dual_mul_f32 v4, v8, v4 :: v_dual_fmac_f32 v19, v6, v1
	v_fma_f32 v166, v5, v1, -v2
	s_delay_alu instid0(VALU_DEP_3) | instskip(NEXT) | instid1(VALU_DEP_3)
	v_fmac_f32_e32 v20, v8, v3
	v_fma_f32 v167, v7, v3, -v4
	ds_load_2addr_b64 v[1:4], v29 offset0:85 offset1:86
	ds_load_2addr_b64 v[5:8], v29 offset0:87 offset1:88
	s_wait_loadcnt_dscnt 0x1
	v_mul_f32_e32 v169, v1, v10
	v_mul_f32_e32 v10, v2, v10
	s_delay_alu instid0(VALU_DEP_2) | instskip(NEXT) | instid1(VALU_DEP_2)
	v_dual_mul_f32 v170, v3, v12 :: v_dual_fmac_f32 v169, v2, v9
	v_fma_f32 v171, v1, v9, -v10
	v_mul_f32_e32 v1, v4, v12
	s_delay_alu instid0(VALU_DEP_3) | instskip(NEXT) | instid1(VALU_DEP_2)
	v_fmac_f32_e32 v170, v4, v11
	v_fma_f32 v172, v3, v11, -v1
	s_clause 0x1
	scratch_load_b128 v[1:4], off, off offset:184
	scratch_load_b128 v[9:12], off, off offset:200
	s_wait_loadcnt_dscnt 0x100
	v_mul_f32_e32 v173, v5, v2
	v_dual_mul_f32 v2, v6, v2 :: v_dual_mul_f32 v175, v7, v4
	s_delay_alu instid0(VALU_DEP_2) | instskip(NEXT) | instid1(VALU_DEP_2)
	v_fmac_f32_e32 v173, v6, v1
	v_fma_f32 v174, v5, v1, -v2
	v_mul_f32_e32 v1, v8, v4
	s_delay_alu instid0(VALU_DEP_4) | instskip(NEXT) | instid1(VALU_DEP_2)
	v_fmac_f32_e32 v175, v8, v3
	v_fma_f32 v176, v7, v3, -v1
	ds_load_2addr_b64 v[1:4], v29 offset0:89 offset1:90
	ds_load_2addr_b64 v[5:8], v29 offset0:91 offset1:92
	s_wait_loadcnt_dscnt 0x1
	v_mul_f32_e32 v177, v1, v10
	v_mul_f32_e32 v179, v3, v12
	s_delay_alu instid0(VALU_DEP_2) | instskip(NEXT) | instid1(VALU_DEP_2)
	v_fmac_f32_e32 v177, v2, v9
	v_dual_mul_f32 v2, v2, v10 :: v_dual_fmac_f32 v179, v4, v11
	s_delay_alu instid0(VALU_DEP_1) | instskip(SKIP_1) | instid1(VALU_DEP_1)
	v_fma_f32 v178, v1, v9, -v2
	v_mul_f32_e32 v1, v4, v12
	v_fma_f32 v180, v3, v11, -v1
	s_clause 0x1
	scratch_load_b128 v[1:4], off, off offset:216
	scratch_load_b128 v[9:12], off, off offset:232
	s_wait_loadcnt_dscnt 0x100
	v_mul_f32_e32 v181, v5, v2
	v_dual_mul_f32 v2, v6, v2 :: v_dual_mul_f32 v183, v7, v4
	s_delay_alu instid0(VALU_DEP_2) | instskip(NEXT) | instid1(VALU_DEP_2)
	v_fmac_f32_e32 v181, v6, v1
	v_fma_f32 v182, v5, v1, -v2
	v_mul_f32_e32 v1, v8, v4
	s_delay_alu instid0(VALU_DEP_4) | instskip(NEXT) | instid1(VALU_DEP_2)
	v_fmac_f32_e32 v183, v8, v3
	v_fma_f32 v184, v7, v3, -v1
	ds_load_2addr_b64 v[1:4], v29 offset0:93 offset1:94
	ds_load_2addr_b64 v[5:8], v29 offset0:95 offset1:96
	s_wait_loadcnt_dscnt 0x1
	v_mul_f32_e32 v185, v1, v10
	v_mul_f32_e32 v187, v3, v12
	s_delay_alu instid0(VALU_DEP_2) | instskip(NEXT) | instid1(VALU_DEP_2)
	v_fmac_f32_e32 v185, v2, v9
	v_dual_mul_f32 v2, v2, v10 :: v_dual_fmac_f32 v187, v4, v11
	s_delay_alu instid0(VALU_DEP_1) | instskip(SKIP_1) | instid1(VALU_DEP_1)
	v_fma_f32 v186, v1, v9, -v2
	v_mul_f32_e32 v1, v4, v12
	;; [unrolled: 25-line block ×7, first 2 shown]
	v_fma_f32 v228, v3, v11, -v1
	s_clause 0x1
	scratch_load_b128 v[1:4], off, off offset:408
	scratch_load_b128 v[9:12], off, off offset:424
	s_wait_loadcnt_dscnt 0x100
	v_mul_f32_e32 v229, v5, v2
	v_dual_mul_f32 v2, v6, v2 :: v_dual_mul_f32 v231, v7, v4
	s_delay_alu instid0(VALU_DEP_2) | instskip(NEXT) | instid1(VALU_DEP_2)
	v_fmac_f32_e32 v229, v6, v1
	v_fma_f32 v230, v5, v1, -v2
	v_add_f32_e32 v2, 0, v32
	s_delay_alu instid0(VALU_DEP_1) | instskip(NEXT) | instid1(VALU_DEP_1)
	v_dual_mul_f32 v1, v8, v4 :: v_dual_add_f32 v2, v2, v161
	v_fma_f32 v232, v7, v3, -v1
	s_delay_alu instid0(VALU_DEP_2) | instskip(NEXT) | instid1(VALU_DEP_1)
	v_add_f32_e32 v2, v2, v23
	v_add_f32_e32 v2, v2, v24
	s_delay_alu instid0(VALU_DEP_1) | instskip(NEXT) | instid1(VALU_DEP_1)
	v_add_f32_e32 v2, v2, v162
	v_add_f32_e32 v2, v2, v168
	s_delay_alu instid0(VALU_DEP_1) | instskip(NEXT) | instid1(VALU_DEP_1)
	;; [unrolled: 3-line block ×7, first 2 shown]
	v_add_f32_e32 v2, v2, v177
	v_dual_add_f32 v1, 0, v21 :: v_dual_add_f32 v2, v2, v179
	s_delay_alu instid0(VALU_DEP_1) | instskip(NEXT) | instid1(VALU_DEP_1)
	v_dual_add_f32 v1, v1, v22 :: v_dual_add_f32 v2, v2, v181
	v_dual_add_f32 v1, v1, v25 :: v_dual_add_f32 v2, v2, v183
	s_delay_alu instid0(VALU_DEP_1) | instskip(SKIP_2) | instid1(VALU_DEP_1)
	v_add_f32_e32 v1, v1, v26
	scratch_load_b64 v[25:26], off, off offset:504
	v_dual_add_f32 v2, v2, v185 :: v_dual_add_f32 v1, v1, v27
	v_dual_add_f32 v2, v2, v187 :: v_dual_add_f32 v1, v1, v28
	s_delay_alu instid0(VALU_DEP_1) | instskip(NEXT) | instid1(VALU_DEP_1)
	v_add_f32_e32 v1, v1, v13
	v_add_f32_e32 v1, v1, v14
	s_delay_alu instid0(VALU_DEP_1) | instskip(NEXT) | instid1(VALU_DEP_1)
	v_add_f32_e32 v1, v1, v16
	v_add_f32_e32 v1, v1, v17
	;; [unrolled: 3-line block ×12, first 2 shown]
	s_delay_alu instid0(VALU_DEP_1) | instskip(SKIP_1) | instid1(VALU_DEP_2)
	v_add_f32_e32 v6, v1, v206
	v_add_f32_e32 v2, v2, v189
	;; [unrolled: 1-line block ×3, first 2 shown]
	s_delay_alu instid0(VALU_DEP_2) | instskip(NEXT) | instid1(VALU_DEP_2)
	v_add_f32_e32 v2, v2, v191
	v_add_f32_e32 v14, v14, v210
	s_delay_alu instid0(VALU_DEP_2) | instskip(NEXT) | instid1(VALU_DEP_2)
	v_add_f32_e32 v2, v2, v193
	v_add_f32_e32 v17, v14, v212
	s_delay_alu instid0(VALU_DEP_1) | instskip(NEXT) | instid1(VALU_DEP_1)
	v_dual_add_f32 v2, v2, v195 :: v_dual_add_f32 v17, v17, v214
	v_dual_add_f32 v2, v2, v197 :: v_dual_add_f32 v17, v17, v216
	s_delay_alu instid0(VALU_DEP_1) | instskip(NEXT) | instid1(VALU_DEP_1)
	v_dual_add_f32 v2, v2, v199 :: v_dual_add_f32 v17, v17, v218
	v_add_f32_e32 v2, v2, v201
	s_delay_alu instid0(VALU_DEP_1) | instskip(NEXT) | instid1(VALU_DEP_1)
	v_dual_add_f32 v22, v17, v220 :: v_dual_add_f32 v5, v2, v203
	v_dual_add_f32 v22, v22, v222 :: v_dual_add_f32 v13, v5, v205
	s_delay_alu instid0(VALU_DEP_1) | instskip(NEXT) | instid1(VALU_DEP_1)
	v_dual_add_f32 v22, v22, v224 :: v_dual_add_f32 v13, v13, v207
	v_dual_add_f32 v22, v22, v226 :: v_dual_add_f32 v13, v13, v209
	s_delay_alu instid0(VALU_DEP_1)
	v_add_f32_e32 v18, v13, v211
	v_fmac_f32_e32 v231, v8, v3
	scratch_load_b128 v[1:4], off, off offset:440
	ds_load_2addr_b64 v[5:8], v29 offset0:117 offset1:118
	ds_load_2addr_b64 v[13:16], v29 offset0:119 offset1:120
	s_wait_loadcnt_dscnt 0x201
	v_mul_f32_e32 v32, v5, v10
	v_dual_mul_f32 v10, v6, v10 :: v_dual_mul_f32 v161, v7, v12
	v_mul_f32_e32 v12, v8, v12
	s_delay_alu instid0(VALU_DEP_3) | instskip(NEXT) | instid1(VALU_DEP_3)
	v_fmac_f32_e32 v32, v6, v9
	v_fma_f32 v162, v5, v9, -v10
	s_delay_alu instid0(VALU_DEP_4) | instskip(NEXT) | instid1(VALU_DEP_4)
	v_fmac_f32_e32 v161, v8, v11
	v_fma_f32 v164, v7, v11, -v12
	s_clause 0x1
	scratch_load_b128 v[5:8], off, off offset:456
	scratch_load_b128 v[9:12], off, off offset:472
	s_wait_loadcnt_dscnt 0x200
	v_mul_f32_e32 v166, v15, v4
	v_mul_f32_e32 v4, v16, v4
	v_dual_add_f32 v18, v18, v213 :: v_dual_mul_f32 v165, v13, v2
	v_mul_f32_e32 v2, v14, v2
	s_delay_alu instid0(VALU_DEP_4) | instskip(NEXT) | instid1(VALU_DEP_4)
	v_fmac_f32_e32 v166, v16, v3
	v_fma_f32 v168, v15, v3, -v4
	s_delay_alu instid0(VALU_DEP_4)
	v_add_f32_e32 v18, v18, v215
	v_fmac_f32_e32 v165, v14, v1
	v_add_f32_e32 v14, v22, v228
	v_fma_f32 v167, v13, v1, -v2
	ds_load_2addr_b64 v[1:4], v29 offset0:121 offset1:122
	v_add_f32_e32 v21, v18, v217
	scratch_load_b128 v[17:20], off, off offset:488
	v_add_f32_e32 v27, v14, v230
	v_add_f32_e32 v21, v21, v219
	s_delay_alu instid0(VALU_DEP_2) | instskip(NEXT) | instid1(VALU_DEP_2)
	v_add_f32_e32 v169, v27, v232
	v_add_f32_e32 v21, v21, v221
	s_delay_alu instid0(VALU_DEP_2) | instskip(NEXT) | instid1(VALU_DEP_1)
	v_add_f32_e32 v162, v169, v162
	v_dual_add_f32 v21, v21, v223 :: v_dual_add_f32 v162, v162, v164
	s_delay_alu instid0(VALU_DEP_1) | instskip(NEXT) | instid1(VALU_DEP_1)
	v_dual_add_f32 v13, v21, v225 :: v_dual_add_f32 v162, v162, v167
	v_add_f32_e32 v21, v13, v227
	ds_load_2addr_b64 v[13:16], v29 offset0:123 offset1:124
	s_wait_loadcnt_dscnt 0x201
	v_mul_f32_e32 v169, v1, v6
	v_mul_f32_e32 v6, v2, v6
	v_add_f32_e32 v162, v162, v168
	v_add_f32_e32 v28, v21, v229
	ds_load_2addr_b64 v[21:24], v29 offset0:125 offset1:126
	v_fmac_f32_e32 v169, v2, v5
	v_fma_f32 v1, v1, v5, -v6
	v_add_f32_e32 v170, v28, v231
	ds_load_b64 v[27:28], v29 offset:1016
	v_add_f32_e32 v1, v162, v1
	v_add_f32_e32 v32, v170, v32
	s_delay_alu instid0(VALU_DEP_1) | instskip(SKIP_3) | instid1(VALU_DEP_3)
	v_dual_add_f32 v32, v32, v161 :: v_dual_mul_f32 v161, v3, v8
	v_mul_f32_e32 v8, v4, v8
	s_wait_loadcnt_dscnt 0x102
	v_dual_mul_f32 v164, v13, v10 :: v_dual_mul_f32 v5, v16, v12
	v_add_f32_e32 v32, v32, v165
	v_fmac_f32_e32 v161, v4, v7
	v_fma_f32 v2, v3, v7, -v8
	v_mul_f32_e32 v3, v14, v10
	s_delay_alu instid0(VALU_DEP_4) | instskip(NEXT) | instid1(VALU_DEP_3)
	v_dual_mul_f32 v165, v15, v12 :: v_dual_add_f32 v32, v32, v166
	v_dual_fmac_f32 v164, v14, v9 :: v_dual_add_f32 v1, v1, v2
	s_delay_alu instid0(VALU_DEP_3) | instskip(NEXT) | instid1(VALU_DEP_3)
	v_fma_f32 v3, v13, v9, -v3
	v_fmac_f32_e32 v165, v16, v11
	s_delay_alu instid0(VALU_DEP_4) | instskip(SKIP_3) | instid1(VALU_DEP_3)
	v_add_f32_e32 v4, v32, v169
	v_fma_f32 v5, v15, v11, -v5
	s_wait_dscnt 0x0
	v_dual_mul_f32 v166, v27, v26 :: v_dual_add_f32 v1, v1, v3
	v_add_f32_e32 v2, v4, v161
	s_delay_alu instid0(VALU_DEP_2) | instskip(NEXT) | instid1(VALU_DEP_3)
	v_fmac_f32_e32 v166, v28, v25
	v_add_f32_e32 v1, v1, v5
	s_delay_alu instid0(VALU_DEP_3) | instskip(SKIP_1) | instid1(VALU_DEP_1)
	v_dual_mul_f32 v5, v28, v26 :: v_dual_add_f32 v2, v2, v164
	s_wait_loadcnt 0x0
	v_dual_add_f32 v2, v2, v165 :: v_dual_mul_f32 v167, v21, v18
	v_mul_f32_e32 v4, v22, v18
	v_mul_f32_e32 v168, v23, v20
	;; [unrolled: 1-line block ×3, first 2 shown]
	s_delay_alu instid0(VALU_DEP_4) | instskip(NEXT) | instid1(VALU_DEP_4)
	v_fmac_f32_e32 v167, v22, v17
	v_fma_f32 v4, v21, v17, -v4
	s_delay_alu instid0(VALU_DEP_4) | instskip(NEXT) | instid1(VALU_DEP_4)
	v_fmac_f32_e32 v168, v24, v19
	v_fma_f32 v3, v23, v19, -v3
	s_delay_alu instid0(VALU_DEP_3) | instskip(SKIP_1) | instid1(VALU_DEP_2)
	v_dual_add_f32 v2, v2, v167 :: v_dual_add_f32 v1, v1, v4
	v_fma_f32 v4, v27, v25, -v5
	v_dual_add_f32 v2, v2, v168 :: v_dual_add_f32 v1, v1, v3
	s_delay_alu instid0(VALU_DEP_1) | instskip(NEXT) | instid1(VALU_DEP_1)
	v_dual_add_f32 v2, v2, v166 :: v_dual_add_f32 v1, v1, v4
	v_dual_sub_f32 v2, v31, v2 :: v_dual_sub_f32 v1, v30, v1
	scratch_store_b64 off, v[1:2], off offset:64
	v_cmpx_lt_u32_e32 7, v0
	s_cbranch_execz .LBB127_383
; %bb.382:
	scratch_load_b64 v[1:2], off, off offset:56
	v_mov_b32_e32 v30, v29
	scratch_store_b64 off, v[29:30], off offset:56
	s_wait_loadcnt 0x0
	ds_store_b64 v163, v[1:2]
.LBB127_383:
	s_wait_alu 0xfffe
	s_or_b32 exec_lo, exec_lo, s0
	s_wait_storecnt_dscnt 0x0
	s_barrier_signal -1
	s_barrier_wait -1
	global_inv scope:SCOPE_SE
	s_clause 0x4
	scratch_load_b128 v[5:8], off, off offset:64
	scratch_load_b128 v[1:4], off, off offset:80
	;; [unrolled: 1-line block ×5, first 2 shown]
	ds_load_b128 v[21:24], v29 offset:576
	ds_load_b128 v[25:28], v29 offset:592
	;; [unrolled: 1-line block ×3, first 2 shown]
	scratch_load_b64 v[30:31], off, off offset:56
	s_mov_b32 s0, exec_lo
	s_wait_loadcnt_dscnt 0x502
	v_dual_mul_f32 v32, v21, v6 :: v_dual_mul_f32 v161, v23, v8
	v_mul_f32_e32 v6, v22, v6
	v_mul_f32_e32 v8, v24, v8
	s_wait_loadcnt_dscnt 0x300
	v_mul_f32_e32 v162, v164, v10
	v_dual_fmac_f32 v32, v22, v5 :: v_dual_fmac_f32 v161, v24, v7
	v_fma_f32 v21, v21, v5, -v6
	v_fma_f32 v22, v23, v7, -v8
	ds_load_b128 v[5:8], v29 offset:624
	v_dual_mul_f32 v23, v25, v2 :: v_dual_mul_f32 v24, v27, v4
	v_mul_f32_e32 v4, v28, v4
	v_mul_f32_e32 v168, v166, v12
	;; [unrolled: 1-line block ×5, first 2 shown]
	v_dual_fmac_f32 v23, v26, v1 :: v_dual_fmac_f32 v24, v28, v3
	v_fma_f32 v26, v27, v3, -v4
	v_fmac_f32_e32 v162, v165, v9
	v_fmac_f32_e32 v168, v167, v11
	v_fma_f32 v27, v164, v9, -v10
	v_fma_f32 v28, v166, v11, -v12
	ds_load_b128 v[9:12], v29 offset:640
	s_wait_loadcnt_dscnt 0x201
	v_dual_mul_f32 v165, v7, v16 :: v_dual_mul_f32 v164, v5, v14
	v_mul_f32_e32 v14, v6, v14
	v_mul_f32_e32 v16, v8, v16
	s_delay_alu instid0(VALU_DEP_3)
	v_fmac_f32_e32 v165, v8, v15
	v_fma_f32 v25, v25, v1, -v2
	scratch_load_b128 v[1:4], off, off offset:144
	v_fmac_f32_e32 v164, v6, v13
	v_fma_f32 v13, v5, v13, -v14
	v_fma_f32 v14, v7, v15, -v16
	ds_load_b128 v[5:8], v29 offset:656
	s_wait_loadcnt_dscnt 0x201
	v_mul_f32_e32 v15, v9, v18
	v_mul_f32_e32 v16, v10, v18
	;; [unrolled: 1-line block ×3, first 2 shown]
	s_delay_alu instid0(VALU_DEP_3) | instskip(NEXT) | instid1(VALU_DEP_3)
	v_dual_mul_f32 v20, v12, v20 :: v_dual_fmac_f32 v15, v10, v17
	v_fma_f32 v16, v9, v17, -v16
	s_delay_alu instid0(VALU_DEP_3) | instskip(NEXT) | instid1(VALU_DEP_3)
	v_fmac_f32_e32 v18, v12, v19
	v_fma_f32 v17, v11, v19, -v20
	scratch_load_b128 v[9:12], off, off offset:160
	s_wait_loadcnt_dscnt 0x100
	v_mul_f32_e32 v19, v5, v2
	v_mul_f32_e32 v2, v6, v2
	;; [unrolled: 1-line block ×3, first 2 shown]
	s_delay_alu instid0(VALU_DEP_3) | instskip(NEXT) | instid1(VALU_DEP_3)
	v_dual_mul_f32 v4, v8, v4 :: v_dual_fmac_f32 v19, v6, v1
	v_fma_f32 v166, v5, v1, -v2
	s_delay_alu instid0(VALU_DEP_3) | instskip(NEXT) | instid1(VALU_DEP_3)
	v_fmac_f32_e32 v20, v8, v3
	v_fma_f32 v167, v7, v3, -v4
	ds_load_b128 v[1:4], v29 offset:672
	ds_load_b128 v[5:8], v29 offset:688
	s_wait_loadcnt_dscnt 0x1
	v_mul_f32_e32 v169, v1, v10
	v_mul_f32_e32 v10, v2, v10
	s_delay_alu instid0(VALU_DEP_2) | instskip(NEXT) | instid1(VALU_DEP_2)
	v_dual_mul_f32 v170, v3, v12 :: v_dual_fmac_f32 v169, v2, v9
	v_fma_f32 v171, v1, v9, -v10
	v_mul_f32_e32 v1, v4, v12
	s_delay_alu instid0(VALU_DEP_3) | instskip(NEXT) | instid1(VALU_DEP_2)
	v_fmac_f32_e32 v170, v4, v11
	v_fma_f32 v172, v3, v11, -v1
	s_clause 0x1
	scratch_load_b128 v[1:4], off, off offset:176
	scratch_load_b128 v[9:12], off, off offset:192
	s_wait_loadcnt_dscnt 0x100
	v_mul_f32_e32 v173, v5, v2
	v_dual_mul_f32 v2, v6, v2 :: v_dual_mul_f32 v175, v7, v4
	s_delay_alu instid0(VALU_DEP_2) | instskip(NEXT) | instid1(VALU_DEP_2)
	v_fmac_f32_e32 v173, v6, v1
	v_fma_f32 v174, v5, v1, -v2
	v_mul_f32_e32 v1, v8, v4
	s_delay_alu instid0(VALU_DEP_4) | instskip(NEXT) | instid1(VALU_DEP_2)
	v_fmac_f32_e32 v175, v8, v3
	v_fma_f32 v176, v7, v3, -v1
	ds_load_b128 v[1:4], v29 offset:704
	ds_load_b128 v[5:8], v29 offset:720
	s_wait_loadcnt_dscnt 0x1
	v_mul_f32_e32 v177, v1, v10
	v_mul_f32_e32 v179, v3, v12
	s_delay_alu instid0(VALU_DEP_2) | instskip(NEXT) | instid1(VALU_DEP_2)
	v_fmac_f32_e32 v177, v2, v9
	v_dual_mul_f32 v2, v2, v10 :: v_dual_fmac_f32 v179, v4, v11
	s_delay_alu instid0(VALU_DEP_1) | instskip(SKIP_1) | instid1(VALU_DEP_1)
	v_fma_f32 v178, v1, v9, -v2
	v_mul_f32_e32 v1, v4, v12
	v_fma_f32 v180, v3, v11, -v1
	s_clause 0x1
	scratch_load_b128 v[1:4], off, off offset:208
	scratch_load_b128 v[9:12], off, off offset:224
	s_wait_loadcnt_dscnt 0x100
	v_mul_f32_e32 v181, v5, v2
	v_dual_mul_f32 v2, v6, v2 :: v_dual_mul_f32 v183, v7, v4
	s_delay_alu instid0(VALU_DEP_2) | instskip(NEXT) | instid1(VALU_DEP_2)
	v_fmac_f32_e32 v181, v6, v1
	v_fma_f32 v182, v5, v1, -v2
	v_mul_f32_e32 v1, v8, v4
	s_delay_alu instid0(VALU_DEP_4) | instskip(NEXT) | instid1(VALU_DEP_2)
	v_fmac_f32_e32 v183, v8, v3
	v_fma_f32 v184, v7, v3, -v1
	ds_load_b128 v[1:4], v29 offset:736
	ds_load_b128 v[5:8], v29 offset:752
	s_wait_loadcnt_dscnt 0x1
	v_mul_f32_e32 v185, v1, v10
	v_mul_f32_e32 v187, v3, v12
	s_delay_alu instid0(VALU_DEP_2) | instskip(NEXT) | instid1(VALU_DEP_2)
	v_fmac_f32_e32 v185, v2, v9
	v_dual_mul_f32 v2, v2, v10 :: v_dual_fmac_f32 v187, v4, v11
	s_delay_alu instid0(VALU_DEP_1) | instskip(SKIP_1) | instid1(VALU_DEP_1)
	v_fma_f32 v186, v1, v9, -v2
	v_mul_f32_e32 v1, v4, v12
	;; [unrolled: 25-line block ×8, first 2 shown]
	v_fma_f32 v236, v3, v11, -v1
	s_clause 0x1
	scratch_load_b128 v[1:4], off, off offset:432
	scratch_load_b128 v[9:12], off, off offset:448
	s_wait_loadcnt_dscnt 0x100
	v_mul_f32_e32 v237, v5, v2
	v_mul_f32_e32 v2, v6, v2
	s_delay_alu instid0(VALU_DEP_2) | instskip(NEXT) | instid1(VALU_DEP_2)
	v_fmac_f32_e32 v237, v6, v1
	v_fma_f32 v238, v5, v1, -v2
	v_mul_f32_e32 v1, v8, v4
	v_add_f32_e32 v2, 0, v32
	s_delay_alu instid0(VALU_DEP_2) | instskip(SKIP_1) | instid1(VALU_DEP_1)
	v_fma_f32 v240, v7, v3, -v1
	v_add_f32_e32 v1, 0, v21
	v_dual_add_f32 v2, v2, v161 :: v_dual_add_f32 v1, v1, v22
	s_delay_alu instid0(VALU_DEP_1) | instskip(NEXT) | instid1(VALU_DEP_1)
	v_dual_add_f32 v2, v2, v23 :: v_dual_add_f32 v1, v1, v25
	v_dual_add_f32 v2, v2, v24 :: v_dual_add_f32 v1, v1, v26
	s_delay_alu instid0(VALU_DEP_1) | instskip(NEXT) | instid1(VALU_DEP_1)
	v_dual_add_f32 v2, v2, v162 :: v_dual_add_f32 v1, v1, v27
	v_add_f32_e32 v2, v2, v168
	s_delay_alu instid0(VALU_DEP_2) | instskip(NEXT) | instid1(VALU_DEP_1)
	v_add_f32_e32 v1, v1, v28
	v_dual_add_f32 v2, v2, v164 :: v_dual_add_f32 v1, v1, v13
	s_delay_alu instid0(VALU_DEP_1) | instskip(NEXT) | instid1(VALU_DEP_1)
	v_dual_add_f32 v2, v2, v165 :: v_dual_add_f32 v1, v1, v14
	v_dual_add_f32 v2, v2, v15 :: v_dual_add_f32 v1, v1, v16
	s_delay_alu instid0(VALU_DEP_1) | instskip(NEXT) | instid1(VALU_DEP_1)
	v_dual_add_f32 v2, v2, v18 :: v_dual_add_f32 v1, v1, v17
	v_dual_add_f32 v2, v2, v19 :: v_dual_add_f32 v1, v1, v166
	s_delay_alu instid0(VALU_DEP_1) | instskip(NEXT) | instid1(VALU_DEP_1)
	v_dual_add_f32 v2, v2, v20 :: v_dual_add_f32 v1, v1, v167
	v_dual_add_f32 v2, v2, v169 :: v_dual_add_f32 v1, v1, v171
	s_delay_alu instid0(VALU_DEP_1) | instskip(NEXT) | instid1(VALU_DEP_1)
	v_dual_add_f32 v2, v2, v170 :: v_dual_add_f32 v1, v1, v172
	v_dual_add_f32 v2, v2, v173 :: v_dual_add_f32 v1, v1, v174
	s_delay_alu instid0(VALU_DEP_1) | instskip(NEXT) | instid1(VALU_DEP_1)
	v_dual_add_f32 v2, v2, v175 :: v_dual_add_f32 v1, v1, v176
	v_dual_add_f32 v2, v2, v177 :: v_dual_add_f32 v1, v1, v178
	s_delay_alu instid0(VALU_DEP_1) | instskip(NEXT) | instid1(VALU_DEP_1)
	v_dual_add_f32 v2, v2, v179 :: v_dual_add_f32 v1, v1, v180
	v_dual_add_f32 v2, v2, v181 :: v_dual_add_f32 v1, v1, v182
	s_delay_alu instid0(VALU_DEP_1) | instskip(NEXT) | instid1(VALU_DEP_1)
	v_dual_add_f32 v2, v2, v183 :: v_dual_add_f32 v1, v1, v184
	v_dual_add_f32 v2, v2, v185 :: v_dual_add_f32 v1, v1, v186
	s_delay_alu instid0(VALU_DEP_1) | instskip(NEXT) | instid1(VALU_DEP_1)
	v_dual_add_f32 v2, v2, v187 :: v_dual_add_f32 v1, v1, v188
	v_add_f32_e32 v1, v1, v190
	s_delay_alu instid0(VALU_DEP_1) | instskip(NEXT) | instid1(VALU_DEP_1)
	v_add_f32_e32 v1, v1, v192
	v_add_f32_e32 v1, v1, v194
	s_delay_alu instid0(VALU_DEP_1) | instskip(NEXT) | instid1(VALU_DEP_1)
	v_add_f32_e32 v1, v1, v196
	;; [unrolled: 3-line block ×5, first 2 shown]
	v_add_f32_e32 v1, v1, v210
	s_delay_alu instid0(VALU_DEP_1) | instskip(SKIP_1) | instid1(VALU_DEP_2)
	v_add_f32_e32 v6, v1, v212
	v_add_f32_e32 v2, v2, v189
	;; [unrolled: 1-line block ×3, first 2 shown]
	s_delay_alu instid0(VALU_DEP_2) | instskip(NEXT) | instid1(VALU_DEP_2)
	v_add_f32_e32 v2, v2, v191
	v_add_f32_e32 v13, v6, v216
	s_delay_alu instid0(VALU_DEP_1) | instskip(NEXT) | instid1(VALU_DEP_1)
	v_dual_add_f32 v2, v2, v193 :: v_dual_add_f32 v13, v13, v218
	v_dual_add_f32 v2, v2, v195 :: v_dual_add_f32 v13, v13, v220
	s_delay_alu instid0(VALU_DEP_1) | instskip(NEXT) | instid1(VALU_DEP_1)
	v_dual_add_f32 v2, v2, v197 :: v_dual_add_f32 v13, v13, v222
	v_add_f32_e32 v2, v2, v199
	s_delay_alu instid0(VALU_DEP_2) | instskip(NEXT) | instid1(VALU_DEP_2)
	v_add_f32_e32 v18, v13, v224
	v_dual_add_f32 v2, v2, v201 :: v_dual_mul_f32 v239, v7, v4
	s_delay_alu instid0(VALU_DEP_2) | instskip(NEXT) | instid1(VALU_DEP_2)
	v_add_f32_e32 v18, v18, v226
	v_add_f32_e32 v2, v2, v203
	s_delay_alu instid0(VALU_DEP_2) | instskip(NEXT) | instid1(VALU_DEP_2)
	v_dual_fmac_f32 v239, v8, v3 :: v_dual_add_f32 v18, v18, v228
	v_add_f32_e32 v2, v2, v205
	s_delay_alu instid0(VALU_DEP_2) | instskip(NEXT) | instid1(VALU_DEP_2)
	v_add_f32_e32 v21, v18, v230
	v_add_f32_e32 v2, v2, v207
	s_delay_alu instid0(VALU_DEP_1) | instskip(SKIP_2) | instid1(VALU_DEP_1)
	v_dual_add_f32 v32, v21, v232 :: v_dual_add_f32 v5, v2, v209
	ds_load_b128 v[1:4], v29 offset:960
	v_add_f32_e32 v5, v5, v211
	v_add_f32_e32 v5, v5, v213
	s_delay_alu instid0(VALU_DEP_1)
	v_add_f32_e32 v14, v5, v215
	ds_load_b128 v[5:8], v29 offset:976
	s_wait_loadcnt_dscnt 0x1
	v_dual_add_f32 v14, v14, v217 :: v_dual_mul_f32 v25, v1, v10
	v_mul_f32_e32 v26, v3, v12
	v_mul_f32_e32 v10, v2, v10
	;; [unrolled: 1-line block ×3, first 2 shown]
	s_delay_alu instid0(VALU_DEP_4) | instskip(NEXT) | instid1(VALU_DEP_4)
	v_add_f32_e32 v14, v14, v219
	v_dual_fmac_f32 v25, v2, v9 :: v_dual_fmac_f32 v26, v4, v11
	s_delay_alu instid0(VALU_DEP_4) | instskip(NEXT) | instid1(VALU_DEP_4)
	v_fma_f32 v27, v1, v9, -v10
	v_fma_f32 v28, v3, v11, -v12
	s_clause 0x1
	scratch_load_b128 v[1:4], off, off offset:464
	scratch_load_b128 v[9:12], off, off offset:480
	s_wait_loadcnt_dscnt 0x100
	v_dual_mul_f32 v162, v7, v4 :: v_dual_add_f32 v17, v14, v221
	scratch_load_b128 v[13:16], off, off offset:496
	v_mul_f32_e32 v4, v8, v4
	v_fmac_f32_e32 v162, v8, v3
	v_add_f32_e32 v17, v17, v223
	s_delay_alu instid0(VALU_DEP_3) | instskip(NEXT) | instid1(VALU_DEP_2)
	v_fma_f32 v3, v7, v3, -v4
	v_add_f32_e32 v17, v17, v225
	s_delay_alu instid0(VALU_DEP_1) | instskip(NEXT) | instid1(VALU_DEP_1)
	v_add_f32_e32 v17, v17, v227
	v_add_f32_e32 v22, v17, v229
	ds_load_b128 v[17:20], v29 offset:992
	v_add_f32_e32 v161, v22, v231
	ds_load_b128 v[21:24], v29 offset:1008
	v_add_f32_e32 v29, v32, v234
	s_delay_alu instid0(VALU_DEP_1) | instskip(NEXT) | instid1(VALU_DEP_1)
	v_add_f32_e32 v29, v29, v236
	v_add_f32_e32 v29, v29, v238
	s_wait_loadcnt_dscnt 0x101
	v_mul_f32_e32 v164, v17, v10
	s_delay_alu instid0(VALU_DEP_2) | instskip(SKIP_2) | instid1(VALU_DEP_3)
	v_add_f32_e32 v29, v29, v240
	v_mul_f32_e32 v165, v19, v12
	v_mul_f32_e32 v4, v20, v12
	v_dual_fmac_f32 v164, v18, v9 :: v_dual_add_f32 v27, v29, v27
	s_delay_alu instid0(VALU_DEP_3) | instskip(NEXT) | instid1(VALU_DEP_3)
	v_fmac_f32_e32 v165, v20, v11
	v_fma_f32 v4, v19, v11, -v4
	s_wait_loadcnt_dscnt 0x0
	v_mul_f32_e32 v166, v21, v14
	v_add_f32_e32 v32, v161, v233
	v_mul_f32_e32 v161, v5, v2
	v_dual_mul_f32 v2, v6, v2 :: v_dual_mul_f32 v29, v23, v16
	s_delay_alu instid0(VALU_DEP_4) | instskip(NEXT) | instid1(VALU_DEP_3)
	v_fmac_f32_e32 v166, v22, v13
	v_dual_add_f32 v32, v32, v235 :: v_dual_fmac_f32 v161, v6, v1
	s_delay_alu instid0(VALU_DEP_3) | instskip(SKIP_1) | instid1(VALU_DEP_3)
	v_fma_f32 v2, v5, v1, -v2
	v_dual_add_f32 v1, v27, v28 :: v_dual_mul_f32 v6, v18, v10
	v_add_f32_e32 v32, v32, v237
	v_fmac_f32_e32 v29, v24, v15
	s_delay_alu instid0(VALU_DEP_2) | instskip(NEXT) | instid1(VALU_DEP_1)
	v_dual_add_f32 v1, v1, v2 :: v_dual_add_f32 v32, v32, v239
	v_add_f32_e32 v1, v1, v3
	v_mul_f32_e32 v3, v22, v14
	s_delay_alu instid0(VALU_DEP_3) | instskip(NEXT) | instid1(VALU_DEP_2)
	v_add_f32_e32 v25, v32, v25
	v_fma_f32 v3, v21, v13, -v3
	s_delay_alu instid0(VALU_DEP_2) | instskip(NEXT) | instid1(VALU_DEP_1)
	v_add_f32_e32 v5, v25, v26
	v_add_f32_e32 v2, v5, v161
	v_fma_f32 v5, v17, v9, -v6
	s_delay_alu instid0(VALU_DEP_1) | instskip(SKIP_1) | instid1(VALU_DEP_2)
	v_dual_add_f32 v2, v2, v162 :: v_dual_add_f32 v1, v1, v5
	v_mul_f32_e32 v5, v24, v16
	v_add_f32_e32 v2, v2, v164
	s_delay_alu instid0(VALU_DEP_3) | instskip(NEXT) | instid1(VALU_DEP_3)
	v_add_f32_e32 v1, v1, v4
	v_fma_f32 v4, v23, v15, -v5
	s_delay_alu instid0(VALU_DEP_2) | instskip(NEXT) | instid1(VALU_DEP_1)
	v_dual_add_f32 v2, v2, v165 :: v_dual_add_f32 v1, v1, v3
	v_dual_add_f32 v2, v2, v166 :: v_dual_add_f32 v1, v1, v4
	s_delay_alu instid0(VALU_DEP_1) | instskip(NEXT) | instid1(VALU_DEP_1)
	v_add_f32_e32 v2, v2, v29
	v_dual_sub_f32 v1, v30, v1 :: v_dual_sub_f32 v2, v31, v2
	scratch_store_b64 off, v[1:2], off offset:56
	v_cmpx_lt_u32_e32 6, v0
	s_cbranch_execz .LBB127_385
; %bb.384:
	scratch_load_b64 v[1:2], off, off offset:48
	v_mov_b32_e32 v3, 0
	s_delay_alu instid0(VALU_DEP_1)
	v_mov_b32_e32 v4, v3
	scratch_store_b64 off, v[3:4], off offset:48
	s_wait_loadcnt 0x0
	ds_store_b64 v163, v[1:2]
.LBB127_385:
	s_wait_alu 0xfffe
	s_or_b32 exec_lo, exec_lo, s0
	s_wait_storecnt_dscnt 0x0
	s_barrier_signal -1
	s_barrier_wait -1
	global_inv scope:SCOPE_SE
	s_clause 0x4
	scratch_load_b128 v[5:8], off, off offset:56
	scratch_load_b128 v[1:4], off, off offset:72
	;; [unrolled: 1-line block ×5, first 2 shown]
	v_mov_b32_e32 v161, 0
	ds_load_2addr_b64 v[21:24], v161 offset0:71 offset1:72
	ds_load_2addr_b64 v[25:28], v161 offset0:73 offset1:74
	;; [unrolled: 1-line block ×3, first 2 shown]
	scratch_load_b64 v[164:165], off, off offset:48
	s_mov_b32 s0, exec_lo
	s_wait_loadcnt_dscnt 0x502
	v_mul_f32_e32 v162, v21, v6
	v_mul_f32_e32 v166, v23, v8
	;; [unrolled: 1-line block ×3, first 2 shown]
	s_wait_loadcnt_dscnt 0x300
	v_dual_mul_f32 v8, v24, v8 :: v_dual_mul_f32 v167, v29, v10
	v_fmac_f32_e32 v162, v22, v5
	v_mul_f32_e32 v168, v31, v12
	v_fma_f32 v21, v21, v5, -v6
	s_delay_alu instid0(VALU_DEP_4)
	v_fma_f32 v22, v23, v7, -v8
	v_dual_mul_f32 v23, v25, v2 :: v_dual_fmac_f32 v166, v24, v7
	ds_load_2addr_b64 v[5:8], v161 offset0:77 offset1:78
	v_dual_mul_f32 v24, v27, v4 :: v_dual_fmac_f32 v167, v30, v9
	v_mul_f32_e32 v2, v26, v2
	v_mul_f32_e32 v4, v28, v4
	;; [unrolled: 1-line block ×3, first 2 shown]
	s_delay_alu instid0(VALU_DEP_4) | instskip(NEXT) | instid1(VALU_DEP_4)
	v_dual_fmac_f32 v23, v26, v1 :: v_dual_fmac_f32 v24, v28, v3
	v_fma_f32 v25, v25, v1, -v2
	s_delay_alu instid0(VALU_DEP_4) | instskip(SKIP_4) | instid1(VALU_DEP_3)
	v_fma_f32 v26, v27, v3, -v4
	scratch_load_b128 v[1:4], off, off offset:136
	v_mul_f32_e32 v12, v32, v12
	v_fmac_f32_e32 v168, v32, v11
	v_fma_f32 v27, v29, v9, -v10
	v_fma_f32 v28, v31, v11, -v12
	ds_load_2addr_b64 v[9:12], v161 offset0:79 offset1:80
	s_wait_loadcnt_dscnt 0x301
	v_dual_mul_f32 v29, v5, v14 :: v_dual_mul_f32 v30, v7, v16
	v_mul_f32_e32 v14, v6, v14
	s_delay_alu instid0(VALU_DEP_2) | instskip(NEXT) | instid1(VALU_DEP_3)
	v_dual_mul_f32 v16, v8, v16 :: v_dual_fmac_f32 v29, v6, v13
	v_fmac_f32_e32 v30, v8, v15
	s_delay_alu instid0(VALU_DEP_3) | instskip(NEXT) | instid1(VALU_DEP_3)
	v_fma_f32 v13, v5, v13, -v14
	v_fma_f32 v14, v7, v15, -v16
	ds_load_2addr_b64 v[5:8], v161 offset0:81 offset1:82
	s_wait_loadcnt_dscnt 0x201
	v_dual_mul_f32 v15, v9, v18 :: v_dual_mul_f32 v16, v11, v20
	v_mul_f32_e32 v18, v10, v18
	s_delay_alu instid0(VALU_DEP_2) | instskip(NEXT) | instid1(VALU_DEP_3)
	v_dual_mul_f32 v20, v12, v20 :: v_dual_fmac_f32 v15, v10, v17
	v_fmac_f32_e32 v16, v12, v19
	s_delay_alu instid0(VALU_DEP_3) | instskip(NEXT) | instid1(VALU_DEP_3)
	v_fma_f32 v17, v9, v17, -v18
	v_fma_f32 v18, v11, v19, -v20
	scratch_load_b128 v[9:12], off, off offset:152
	s_wait_loadcnt_dscnt 0x100
	v_mul_f32_e32 v19, v5, v2
	v_mul_f32_e32 v2, v6, v2
	;; [unrolled: 1-line block ×3, first 2 shown]
	s_delay_alu instid0(VALU_DEP_3) | instskip(NEXT) | instid1(VALU_DEP_3)
	v_dual_mul_f32 v4, v8, v4 :: v_dual_fmac_f32 v19, v6, v1
	v_fma_f32 v31, v5, v1, -v2
	s_delay_alu instid0(VALU_DEP_3) | instskip(NEXT) | instid1(VALU_DEP_3)
	v_fmac_f32_e32 v20, v8, v3
	v_fma_f32 v32, v7, v3, -v4
	ds_load_2addr_b64 v[1:4], v161 offset0:83 offset1:84
	ds_load_2addr_b64 v[5:8], v161 offset0:85 offset1:86
	s_wait_loadcnt_dscnt 0x1
	v_mul_f32_e32 v169, v1, v10
	v_mul_f32_e32 v10, v2, v10
	s_delay_alu instid0(VALU_DEP_2) | instskip(NEXT) | instid1(VALU_DEP_2)
	v_dual_mul_f32 v170, v3, v12 :: v_dual_fmac_f32 v169, v2, v9
	v_fma_f32 v171, v1, v9, -v10
	v_mul_f32_e32 v1, v4, v12
	s_delay_alu instid0(VALU_DEP_3) | instskip(NEXT) | instid1(VALU_DEP_2)
	v_fmac_f32_e32 v170, v4, v11
	v_fma_f32 v172, v3, v11, -v1
	s_clause 0x1
	scratch_load_b128 v[1:4], off, off offset:168
	scratch_load_b128 v[9:12], off, off offset:184
	s_wait_loadcnt_dscnt 0x100
	v_mul_f32_e32 v173, v5, v2
	v_dual_mul_f32 v2, v6, v2 :: v_dual_mul_f32 v175, v7, v4
	s_delay_alu instid0(VALU_DEP_2) | instskip(NEXT) | instid1(VALU_DEP_2)
	v_fmac_f32_e32 v173, v6, v1
	v_fma_f32 v174, v5, v1, -v2
	v_mul_f32_e32 v1, v8, v4
	s_delay_alu instid0(VALU_DEP_4) | instskip(NEXT) | instid1(VALU_DEP_2)
	v_fmac_f32_e32 v175, v8, v3
	v_fma_f32 v176, v7, v3, -v1
	ds_load_2addr_b64 v[1:4], v161 offset0:87 offset1:88
	ds_load_2addr_b64 v[5:8], v161 offset0:89 offset1:90
	s_wait_loadcnt_dscnt 0x1
	v_mul_f32_e32 v177, v1, v10
	v_mul_f32_e32 v179, v3, v12
	s_delay_alu instid0(VALU_DEP_2) | instskip(NEXT) | instid1(VALU_DEP_2)
	v_fmac_f32_e32 v177, v2, v9
	v_dual_mul_f32 v2, v2, v10 :: v_dual_fmac_f32 v179, v4, v11
	s_delay_alu instid0(VALU_DEP_1) | instskip(SKIP_1) | instid1(VALU_DEP_1)
	v_fma_f32 v178, v1, v9, -v2
	v_mul_f32_e32 v1, v4, v12
	v_fma_f32 v180, v3, v11, -v1
	s_clause 0x1
	scratch_load_b128 v[1:4], off, off offset:200
	scratch_load_b128 v[9:12], off, off offset:216
	s_wait_loadcnt_dscnt 0x100
	v_mul_f32_e32 v181, v5, v2
	v_dual_mul_f32 v2, v6, v2 :: v_dual_mul_f32 v183, v7, v4
	s_delay_alu instid0(VALU_DEP_2) | instskip(NEXT) | instid1(VALU_DEP_2)
	v_fmac_f32_e32 v181, v6, v1
	v_fma_f32 v182, v5, v1, -v2
	v_mul_f32_e32 v1, v8, v4
	s_delay_alu instid0(VALU_DEP_4) | instskip(NEXT) | instid1(VALU_DEP_2)
	v_fmac_f32_e32 v183, v8, v3
	v_fma_f32 v184, v7, v3, -v1
	ds_load_2addr_b64 v[1:4], v161 offset0:91 offset1:92
	ds_load_2addr_b64 v[5:8], v161 offset0:93 offset1:94
	s_wait_loadcnt_dscnt 0x1
	v_mul_f32_e32 v185, v1, v10
	v_mul_f32_e32 v187, v3, v12
	s_delay_alu instid0(VALU_DEP_2) | instskip(NEXT) | instid1(VALU_DEP_2)
	v_fmac_f32_e32 v185, v2, v9
	v_dual_mul_f32 v2, v2, v10 :: v_dual_fmac_f32 v187, v4, v11
	s_delay_alu instid0(VALU_DEP_1) | instskip(SKIP_1) | instid1(VALU_DEP_1)
	v_fma_f32 v186, v1, v9, -v2
	v_mul_f32_e32 v1, v4, v12
	;; [unrolled: 25-line block ×8, first 2 shown]
	v_fma_f32 v236, v3, v11, -v1
	s_clause 0x1
	scratch_load_b128 v[1:4], off, off offset:424
	scratch_load_b128 v[9:12], off, off offset:440
	s_wait_loadcnt_dscnt 0x100
	v_mul_f32_e32 v237, v5, v2
	v_mul_f32_e32 v2, v6, v2
	s_delay_alu instid0(VALU_DEP_2) | instskip(NEXT) | instid1(VALU_DEP_2)
	v_fmac_f32_e32 v237, v6, v1
	v_fma_f32 v238, v5, v1, -v2
	v_dual_mul_f32 v1, v8, v4 :: v_dual_add_f32 v2, 0, v162
	s_delay_alu instid0(VALU_DEP_1) | instskip(NEXT) | instid1(VALU_DEP_2)
	v_fma_f32 v240, v7, v3, -v1
	v_dual_add_f32 v1, 0, v21 :: v_dual_add_f32 v2, v2, v166
	s_delay_alu instid0(VALU_DEP_1) | instskip(NEXT) | instid1(VALU_DEP_1)
	v_dual_add_f32 v1, v1, v22 :: v_dual_add_f32 v2, v2, v23
	v_dual_add_f32 v1, v1, v25 :: v_dual_add_f32 v2, v2, v24
	s_delay_alu instid0(VALU_DEP_1) | instskip(SKIP_2) | instid1(VALU_DEP_1)
	v_dual_add_f32 v1, v1, v26 :: v_dual_add_f32 v2, v2, v167
	scratch_load_b64 v[25:26], off, off offset:504
	v_dual_add_f32 v1, v1, v27 :: v_dual_add_f32 v2, v2, v168
	v_dual_add_f32 v1, v1, v28 :: v_dual_add_f32 v2, v2, v29
	s_delay_alu instid0(VALU_DEP_1) | instskip(NEXT) | instid1(VALU_DEP_1)
	v_dual_add_f32 v1, v1, v13 :: v_dual_add_f32 v2, v2, v30
	v_dual_add_f32 v1, v1, v14 :: v_dual_add_f32 v2, v2, v15
	s_delay_alu instid0(VALU_DEP_1) | instskip(NEXT) | instid1(VALU_DEP_1)
	;; [unrolled: 3-line block ×8, first 2 shown]
	v_dual_add_f32 v1, v1, v186 :: v_dual_add_f32 v2, v2, v187
	v_add_f32_e32 v1, v1, v188
	s_delay_alu instid0(VALU_DEP_1) | instskip(NEXT) | instid1(VALU_DEP_1)
	v_add_f32_e32 v1, v1, v190
	v_add_f32_e32 v1, v1, v192
	s_delay_alu instid0(VALU_DEP_1) | instskip(NEXT) | instid1(VALU_DEP_1)
	v_add_f32_e32 v1, v1, v194
	;; [unrolled: 3-line block ×6, first 2 shown]
	v_add_f32_e32 v6, v1, v212
	v_add_f32_e32 v2, v2, v189
	s_delay_alu instid0(VALU_DEP_2) | instskip(NEXT) | instid1(VALU_DEP_2)
	v_add_f32_e32 v6, v6, v214
	v_add_f32_e32 v2, v2, v191
	s_delay_alu instid0(VALU_DEP_2) | instskip(NEXT) | instid1(VALU_DEP_1)
	v_add_f32_e32 v13, v6, v216
	v_dual_add_f32 v2, v2, v193 :: v_dual_add_f32 v13, v13, v218
	s_delay_alu instid0(VALU_DEP_1) | instskip(NEXT) | instid1(VALU_DEP_1)
	v_dual_add_f32 v2, v2, v195 :: v_dual_add_f32 v13, v13, v220
	v_dual_add_f32 v2, v2, v197 :: v_dual_add_f32 v13, v13, v222
	s_delay_alu instid0(VALU_DEP_1) | instskip(NEXT) | instid1(VALU_DEP_2)
	v_add_f32_e32 v2, v2, v199
	v_add_f32_e32 v18, v13, v224
	s_delay_alu instid0(VALU_DEP_2) | instskip(NEXT) | instid1(VALU_DEP_2)
	v_dual_add_f32 v2, v2, v201 :: v_dual_mul_f32 v239, v7, v4
	v_add_f32_e32 v18, v18, v226
	s_delay_alu instid0(VALU_DEP_2) | instskip(NEXT) | instid1(VALU_DEP_2)
	v_add_f32_e32 v2, v2, v203
	v_add_f32_e32 v18, v18, v228
	s_delay_alu instid0(VALU_DEP_2) | instskip(NEXT) | instid1(VALU_DEP_2)
	v_dual_add_f32 v2, v2, v205 :: v_dual_fmac_f32 v239, v8, v3
	v_add_f32_e32 v18, v18, v230
	s_delay_alu instid0(VALU_DEP_2) | instskip(NEXT) | instid1(VALU_DEP_2)
	v_add_f32_e32 v2, v2, v207
	v_add_f32_e32 v18, v18, v232
	s_delay_alu instid0(VALU_DEP_2) | instskip(SKIP_2) | instid1(VALU_DEP_1)
	v_add_f32_e32 v5, v2, v209
	ds_load_2addr_b64 v[1:4], v161 offset0:119 offset1:120
	v_add_f32_e32 v27, v18, v234
	v_dual_add_f32 v5, v5, v211 :: v_dual_add_f32 v162, v27, v236
	s_delay_alu instid0(VALU_DEP_1) | instskip(NEXT) | instid1(VALU_DEP_1)
	v_dual_add_f32 v5, v5, v213 :: v_dual_add_f32 v162, v162, v238
	v_add_f32_e32 v14, v5, v215
	ds_load_2addr_b64 v[5:8], v161 offset0:121 offset1:122
	v_add_f32_e32 v162, v162, v240
	s_wait_loadcnt_dscnt 0x101
	v_dual_add_f32 v14, v14, v217 :: v_dual_mul_f32 v29, v1, v10
	v_mul_f32_e32 v10, v2, v10
	v_mul_f32_e32 v30, v3, v12
	;; [unrolled: 1-line block ×3, first 2 shown]
	s_delay_alu instid0(VALU_DEP_4)
	v_add_f32_e32 v14, v14, v219
	v_fmac_f32_e32 v29, v2, v9
	v_fma_f32 v31, v1, v9, -v10
	v_fmac_f32_e32 v30, v4, v11
	v_fma_f32 v32, v3, v11, -v12
	s_clause 0x1
	scratch_load_b128 v[1:4], off, off offset:456
	scratch_load_b128 v[9:12], off, off offset:472
	v_add_f32_e32 v31, v162, v31
	s_delay_alu instid0(VALU_DEP_1)
	v_add_f32_e32 v31, v31, v32
	s_wait_loadcnt_dscnt 0x100
	v_dual_mul_f32 v168, v7, v4 :: v_dual_add_f32 v17, v14, v221
	scratch_load_b128 v[13:16], off, off offset:488
	v_dual_mul_f32 v4, v8, v4 :: v_dual_mul_f32 v167, v5, v2
	v_dual_mul_f32 v2, v6, v2 :: v_dual_add_f32 v17, v17, v223
	s_delay_alu instid0(VALU_DEP_2) | instskip(NEXT) | instid1(VALU_DEP_2)
	v_dual_fmac_f32 v168, v8, v3 :: v_dual_fmac_f32 v167, v6, v1
	v_fma_f32 v2, v5, v1, -v2
	s_delay_alu instid0(VALU_DEP_3) | instskip(SKIP_1) | instid1(VALU_DEP_2)
	v_add_f32_e32 v17, v17, v225
	v_fma_f32 v1, v7, v3, -v4
	v_dual_add_f32 v2, v31, v2 :: v_dual_add_f32 v17, v17, v227
	s_delay_alu instid0(VALU_DEP_1) | instskip(NEXT) | instid1(VALU_DEP_2)
	v_add_f32_e32 v1, v2, v1
	v_add_f32_e32 v17, v17, v229
	s_delay_alu instid0(VALU_DEP_1)
	v_add_f32_e32 v21, v17, v231
	ds_load_2addr_b64 v[17:20], v161 offset0:123 offset1:124
	v_add_f32_e32 v28, v21, v233
	ds_load_2addr_b64 v[21:24], v161 offset0:125 offset1:126
	v_add_f32_e32 v166, v28, v235
	ds_load_b64 v[27:28], v161 offset:1016
	s_wait_loadcnt_dscnt 0x102
	v_mul_f32_e32 v162, v17, v10
	v_mul_f32_e32 v3, v18, v10
	s_delay_alu instid0(VALU_DEP_2) | instskip(NEXT) | instid1(VALU_DEP_2)
	v_dual_mul_f32 v5, v20, v12 :: v_dual_fmac_f32 v162, v18, v9
	v_fma_f32 v3, v17, v9, -v3
	s_delay_alu instid0(VALU_DEP_2) | instskip(NEXT) | instid1(VALU_DEP_2)
	v_fma_f32 v5, v19, v11, -v5
	v_add_f32_e32 v1, v1, v3
	s_delay_alu instid0(VALU_DEP_1) | instskip(SKIP_4) | instid1(VALU_DEP_3)
	v_add_f32_e32 v1, v1, v5
	s_wait_loadcnt_dscnt 0x0
	v_dual_mul_f32 v5, v28, v26 :: v_dual_mul_f32 v32, v23, v16
	v_dual_add_f32 v166, v166, v237 :: v_dual_mul_f32 v169, v21, v14
	v_mul_f32_e32 v3, v24, v16
	v_fmac_f32_e32 v32, v24, v15
	s_delay_alu instid0(VALU_DEP_3) | instskip(NEXT) | instid1(VALU_DEP_4)
	v_add_f32_e32 v166, v166, v239
	v_fmac_f32_e32 v169, v22, v13
	s_delay_alu instid0(VALU_DEP_4) | instskip(NEXT) | instid1(VALU_DEP_3)
	v_fma_f32 v3, v23, v15, -v3
	v_dual_add_f32 v29, v166, v29 :: v_dual_mul_f32 v166, v19, v12
	s_delay_alu instid0(VALU_DEP_1) | instskip(SKIP_1) | instid1(VALU_DEP_2)
	v_dual_add_f32 v29, v29, v30 :: v_dual_fmac_f32 v166, v20, v11
	v_mul_f32_e32 v30, v27, v26
	v_add_f32_e32 v4, v29, v167
	s_delay_alu instid0(VALU_DEP_2) | instskip(NEXT) | instid1(VALU_DEP_2)
	v_fmac_f32_e32 v30, v28, v25
	v_add_f32_e32 v2, v4, v168
	v_mul_f32_e32 v4, v22, v14
	s_delay_alu instid0(VALU_DEP_2) | instskip(NEXT) | instid1(VALU_DEP_2)
	v_add_f32_e32 v2, v2, v162
	v_fma_f32 v4, v21, v13, -v4
	s_delay_alu instid0(VALU_DEP_1) | instskip(SKIP_1) | instid1(VALU_DEP_2)
	v_dual_add_f32 v2, v2, v166 :: v_dual_add_f32 v1, v1, v4
	v_fma_f32 v4, v27, v25, -v5
	v_dual_add_f32 v2, v2, v169 :: v_dual_add_f32 v1, v1, v3
	s_delay_alu instid0(VALU_DEP_1) | instskip(NEXT) | instid1(VALU_DEP_1)
	v_add_f32_e32 v2, v2, v32
	v_dual_add_f32 v1, v1, v4 :: v_dual_add_f32 v2, v2, v30
	s_delay_alu instid0(VALU_DEP_1)
	v_dual_sub_f32 v1, v164, v1 :: v_dual_sub_f32 v2, v165, v2
	scratch_store_b64 off, v[1:2], off offset:48
	v_cmpx_lt_u32_e32 5, v0
	s_cbranch_execz .LBB127_387
; %bb.386:
	scratch_load_b64 v[1:2], off, off offset:40
	v_mov_b32_e32 v162, v161
	scratch_store_b64 off, v[161:162], off offset:40
	s_wait_loadcnt 0x0
	ds_store_b64 v163, v[1:2]
.LBB127_387:
	s_wait_alu 0xfffe
	s_or_b32 exec_lo, exec_lo, s0
	s_wait_storecnt_dscnt 0x0
	s_barrier_signal -1
	s_barrier_wait -1
	global_inv scope:SCOPE_SE
	s_clause 0x4
	scratch_load_b128 v[5:8], off, off offset:48
	scratch_load_b128 v[1:4], off, off offset:64
	;; [unrolled: 1-line block ×5, first 2 shown]
	ds_load_b128 v[21:24], v161 offset:560
	ds_load_b128 v[25:28], v161 offset:576
	;; [unrolled: 1-line block ×3, first 2 shown]
	scratch_load_b64 v[164:165], off, off offset:40
	s_mov_b32 s0, exec_lo
	s_wait_loadcnt_dscnt 0x502
	v_mul_f32_e32 v162, v21, v6
	v_mul_f32_e32 v166, v23, v8
	;; [unrolled: 1-line block ×3, first 2 shown]
	s_wait_loadcnt_dscnt 0x300
	v_dual_mul_f32 v8, v24, v8 :: v_dual_mul_f32 v167, v29, v10
	v_fmac_f32_e32 v162, v22, v5
	v_mul_f32_e32 v168, v31, v12
	v_fma_f32 v21, v21, v5, -v6
	s_delay_alu instid0(VALU_DEP_4)
	v_fma_f32 v22, v23, v7, -v8
	v_dual_mul_f32 v23, v25, v2 :: v_dual_fmac_f32 v166, v24, v7
	v_fmac_f32_e32 v167, v30, v9
	ds_load_b128 v[5:8], v161 offset:608
	v_mul_f32_e32 v24, v27, v4
	v_mul_f32_e32 v2, v26, v2
	;; [unrolled: 1-line block ×4, first 2 shown]
	s_delay_alu instid0(VALU_DEP_4) | instskip(NEXT) | instid1(VALU_DEP_4)
	v_dual_fmac_f32 v23, v26, v1 :: v_dual_fmac_f32 v24, v28, v3
	v_fma_f32 v25, v25, v1, -v2
	s_delay_alu instid0(VALU_DEP_4) | instskip(SKIP_4) | instid1(VALU_DEP_3)
	v_fma_f32 v26, v27, v3, -v4
	scratch_load_b128 v[1:4], off, off offset:128
	v_mul_f32_e32 v12, v32, v12
	v_fmac_f32_e32 v168, v32, v11
	v_fma_f32 v27, v29, v9, -v10
	v_fma_f32 v28, v31, v11, -v12
	ds_load_b128 v[9:12], v161 offset:624
	s_wait_loadcnt_dscnt 0x301
	v_dual_mul_f32 v29, v5, v14 :: v_dual_mul_f32 v30, v7, v16
	v_mul_f32_e32 v14, v6, v14
	s_delay_alu instid0(VALU_DEP_2) | instskip(NEXT) | instid1(VALU_DEP_3)
	v_dual_mul_f32 v16, v8, v16 :: v_dual_fmac_f32 v29, v6, v13
	v_fmac_f32_e32 v30, v8, v15
	s_delay_alu instid0(VALU_DEP_3) | instskip(NEXT) | instid1(VALU_DEP_3)
	v_fma_f32 v13, v5, v13, -v14
	v_fma_f32 v14, v7, v15, -v16
	ds_load_b128 v[5:8], v161 offset:640
	s_wait_loadcnt_dscnt 0x201
	v_dual_mul_f32 v15, v9, v18 :: v_dual_mul_f32 v16, v11, v20
	v_mul_f32_e32 v18, v10, v18
	s_delay_alu instid0(VALU_DEP_2) | instskip(NEXT) | instid1(VALU_DEP_3)
	v_dual_mul_f32 v20, v12, v20 :: v_dual_fmac_f32 v15, v10, v17
	v_fmac_f32_e32 v16, v12, v19
	s_delay_alu instid0(VALU_DEP_3) | instskip(NEXT) | instid1(VALU_DEP_3)
	v_fma_f32 v17, v9, v17, -v18
	v_fma_f32 v18, v11, v19, -v20
	scratch_load_b128 v[9:12], off, off offset:144
	s_wait_loadcnt_dscnt 0x100
	v_mul_f32_e32 v19, v5, v2
	v_mul_f32_e32 v2, v6, v2
	v_mul_f32_e32 v20, v7, v4
	s_delay_alu instid0(VALU_DEP_3) | instskip(NEXT) | instid1(VALU_DEP_3)
	v_dual_mul_f32 v4, v8, v4 :: v_dual_fmac_f32 v19, v6, v1
	v_fma_f32 v31, v5, v1, -v2
	s_delay_alu instid0(VALU_DEP_3) | instskip(NEXT) | instid1(VALU_DEP_3)
	v_fmac_f32_e32 v20, v8, v3
	v_fma_f32 v32, v7, v3, -v4
	ds_load_b128 v[1:4], v161 offset:656
	ds_load_b128 v[5:8], v161 offset:672
	s_wait_loadcnt_dscnt 0x1
	v_mul_f32_e32 v169, v1, v10
	v_mul_f32_e32 v10, v2, v10
	s_delay_alu instid0(VALU_DEP_2) | instskip(NEXT) | instid1(VALU_DEP_2)
	v_dual_mul_f32 v170, v3, v12 :: v_dual_fmac_f32 v169, v2, v9
	v_fma_f32 v171, v1, v9, -v10
	v_mul_f32_e32 v1, v4, v12
	s_delay_alu instid0(VALU_DEP_3) | instskip(NEXT) | instid1(VALU_DEP_2)
	v_fmac_f32_e32 v170, v4, v11
	v_fma_f32 v172, v3, v11, -v1
	s_clause 0x1
	scratch_load_b128 v[1:4], off, off offset:160
	scratch_load_b128 v[9:12], off, off offset:176
	s_wait_loadcnt_dscnt 0x100
	v_mul_f32_e32 v173, v5, v2
	v_dual_mul_f32 v2, v6, v2 :: v_dual_mul_f32 v175, v7, v4
	s_delay_alu instid0(VALU_DEP_2) | instskip(NEXT) | instid1(VALU_DEP_2)
	v_fmac_f32_e32 v173, v6, v1
	v_fma_f32 v174, v5, v1, -v2
	v_mul_f32_e32 v1, v8, v4
	s_delay_alu instid0(VALU_DEP_4) | instskip(NEXT) | instid1(VALU_DEP_2)
	v_fmac_f32_e32 v175, v8, v3
	v_fma_f32 v176, v7, v3, -v1
	ds_load_b128 v[1:4], v161 offset:688
	ds_load_b128 v[5:8], v161 offset:704
	s_wait_loadcnt_dscnt 0x1
	v_mul_f32_e32 v177, v1, v10
	v_mul_f32_e32 v179, v3, v12
	s_delay_alu instid0(VALU_DEP_2) | instskip(NEXT) | instid1(VALU_DEP_2)
	v_fmac_f32_e32 v177, v2, v9
	v_dual_mul_f32 v2, v2, v10 :: v_dual_fmac_f32 v179, v4, v11
	s_delay_alu instid0(VALU_DEP_1) | instskip(SKIP_1) | instid1(VALU_DEP_1)
	v_fma_f32 v178, v1, v9, -v2
	v_mul_f32_e32 v1, v4, v12
	v_fma_f32 v180, v3, v11, -v1
	s_clause 0x1
	scratch_load_b128 v[1:4], off, off offset:192
	scratch_load_b128 v[9:12], off, off offset:208
	s_wait_loadcnt_dscnt 0x100
	v_mul_f32_e32 v181, v5, v2
	v_dual_mul_f32 v2, v6, v2 :: v_dual_mul_f32 v183, v7, v4
	s_delay_alu instid0(VALU_DEP_2) | instskip(NEXT) | instid1(VALU_DEP_2)
	v_fmac_f32_e32 v181, v6, v1
	v_fma_f32 v182, v5, v1, -v2
	v_mul_f32_e32 v1, v8, v4
	s_delay_alu instid0(VALU_DEP_4) | instskip(NEXT) | instid1(VALU_DEP_2)
	v_fmac_f32_e32 v183, v8, v3
	v_fma_f32 v184, v7, v3, -v1
	ds_load_b128 v[1:4], v161 offset:720
	ds_load_b128 v[5:8], v161 offset:736
	s_wait_loadcnt_dscnt 0x1
	v_mul_f32_e32 v185, v1, v10
	v_mul_f32_e32 v187, v3, v12
	s_delay_alu instid0(VALU_DEP_2) | instskip(NEXT) | instid1(VALU_DEP_2)
	v_fmac_f32_e32 v185, v2, v9
	v_dual_mul_f32 v2, v2, v10 :: v_dual_fmac_f32 v187, v4, v11
	s_delay_alu instid0(VALU_DEP_1) | instskip(SKIP_1) | instid1(VALU_DEP_1)
	v_fma_f32 v186, v1, v9, -v2
	v_mul_f32_e32 v1, v4, v12
	;; [unrolled: 25-line block ×8, first 2 shown]
	v_fma_f32 v236, v3, v11, -v1
	s_clause 0x1
	scratch_load_b128 v[1:4], off, off offset:416
	scratch_load_b128 v[9:12], off, off offset:432
	s_wait_loadcnt_dscnt 0x100
	v_mul_f32_e32 v237, v5, v2
	v_mul_f32_e32 v2, v6, v2
	s_delay_alu instid0(VALU_DEP_2) | instskip(NEXT) | instid1(VALU_DEP_2)
	v_fmac_f32_e32 v237, v6, v1
	v_fma_f32 v238, v5, v1, -v2
	v_dual_mul_f32 v1, v8, v4 :: v_dual_add_f32 v2, 0, v162
	s_delay_alu instid0(VALU_DEP_1) | instskip(NEXT) | instid1(VALU_DEP_2)
	v_fma_f32 v240, v7, v3, -v1
	v_dual_add_f32 v1, 0, v21 :: v_dual_add_f32 v2, v2, v166
	s_delay_alu instid0(VALU_DEP_1) | instskip(NEXT) | instid1(VALU_DEP_1)
	v_dual_add_f32 v1, v1, v22 :: v_dual_add_f32 v2, v2, v23
	v_dual_add_f32 v1, v1, v25 :: v_dual_add_f32 v2, v2, v24
	s_delay_alu instid0(VALU_DEP_1) | instskip(NEXT) | instid1(VALU_DEP_1)
	v_dual_add_f32 v1, v1, v26 :: v_dual_add_f32 v2, v2, v167
	;; [unrolled: 3-line block ×10, first 2 shown]
	v_dual_add_f32 v1, v1, v186 :: v_dual_add_f32 v2, v2, v187
	s_delay_alu instid0(VALU_DEP_1) | instskip(SKIP_1) | instid1(VALU_DEP_2)
	v_dual_add_f32 v1, v1, v188 :: v_dual_add_f32 v2, v2, v189
	v_mul_f32_e32 v239, v7, v4
	v_dual_add_f32 v1, v1, v190 :: v_dual_add_f32 v2, v2, v191
	s_delay_alu instid0(VALU_DEP_1) | instskip(NEXT) | instid1(VALU_DEP_1)
	v_add_f32_e32 v1, v1, v192
	v_add_f32_e32 v1, v1, v194
	s_delay_alu instid0(VALU_DEP_1) | instskip(NEXT) | instid1(VALU_DEP_1)
	v_add_f32_e32 v1, v1, v196
	v_add_f32_e32 v1, v1, v198
	;; [unrolled: 3-line block ×6, first 2 shown]
	v_add_f32_e32 v2, v2, v193
	s_delay_alu instid0(VALU_DEP_2) | instskip(NEXT) | instid1(VALU_DEP_2)
	v_add_f32_e32 v14, v6, v216
	v_add_f32_e32 v2, v2, v195
	s_delay_alu instid0(VALU_DEP_2) | instskip(NEXT) | instid1(VALU_DEP_2)
	v_add_f32_e32 v14, v14, v218
	v_add_f32_e32 v2, v2, v197
	s_delay_alu instid0(VALU_DEP_2) | instskip(NEXT) | instid1(VALU_DEP_1)
	v_add_f32_e32 v17, v14, v220
	v_dual_add_f32 v2, v2, v199 :: v_dual_add_f32 v17, v17, v222
	s_delay_alu instid0(VALU_DEP_1) | instskip(NEXT) | instid1(VALU_DEP_1)
	v_dual_add_f32 v2, v2, v201 :: v_dual_add_f32 v17, v17, v224
	v_dual_add_f32 v2, v2, v203 :: v_dual_add_f32 v17, v17, v226
	s_delay_alu instid0(VALU_DEP_1) | instskip(NEXT) | instid1(VALU_DEP_2)
	v_add_f32_e32 v2, v2, v205
	v_add_f32_e32 v22, v17, v228
	s_delay_alu instid0(VALU_DEP_2) | instskip(NEXT) | instid1(VALU_DEP_2)
	v_add_f32_e32 v2, v2, v207
	v_dual_fmac_f32 v239, v8, v3 :: v_dual_add_f32 v22, v22, v230
	s_delay_alu instid0(VALU_DEP_2) | instskip(NEXT) | instid1(VALU_DEP_2)
	v_add_f32_e32 v2, v2, v209
	v_add_f32_e32 v22, v22, v232
	s_delay_alu instid0(VALU_DEP_2) | instskip(SKIP_4) | instid1(VALU_DEP_1)
	v_add_f32_e32 v5, v2, v211
	ds_load_b128 v[1:4], v161 offset:944
	v_add_f32_e32 v13, v5, v213
	scratch_load_b128 v[5:8], off, off offset:448
	v_add_f32_e32 v13, v13, v215
	v_add_f32_e32 v13, v13, v217
	s_delay_alu instid0(VALU_DEP_1)
	v_add_f32_e32 v18, v13, v219
	ds_load_b128 v[13:16], v161 offset:960
	s_wait_loadcnt_dscnt 0x101
	v_mul_f32_e32 v25, v1, v10
	v_mul_f32_e32 v10, v2, v10
	;; [unrolled: 1-line block ×3, first 2 shown]
	s_delay_alu instid0(VALU_DEP_3) | instskip(NEXT) | instid1(VALU_DEP_3)
	v_dual_mul_f32 v12, v4, v12 :: v_dual_fmac_f32 v25, v2, v9
	v_fma_f32 v27, v1, v9, -v10
	s_delay_alu instid0(VALU_DEP_3) | instskip(NEXT) | instid1(VALU_DEP_3)
	v_fmac_f32_e32 v26, v4, v11
	v_fma_f32 v28, v3, v11, -v12
	s_clause 0x1
	scratch_load_b128 v[1:4], off, off offset:464
	scratch_load_b128 v[9:12], off, off offset:480
	s_wait_loadcnt_dscnt 0x200
	v_mul_f32_e32 v30, v15, v8
	v_mul_f32_e32 v8, v16, v8
	v_dual_add_f32 v18, v18, v221 :: v_dual_mul_f32 v29, v13, v6
	v_mul_f32_e32 v6, v14, v6
	s_delay_alu instid0(VALU_DEP_4) | instskip(NEXT) | instid1(VALU_DEP_4)
	v_fmac_f32_e32 v30, v16, v7
	v_fma_f32 v32, v15, v7, -v8
	s_delay_alu instid0(VALU_DEP_4)
	v_add_f32_e32 v18, v18, v223
	v_fmac_f32_e32 v29, v14, v5
	v_fma_f32 v31, v13, v5, -v6
	ds_load_b128 v[5:8], v161 offset:976
	v_add_f32_e32 v21, v18, v225
	scratch_load_b128 v[17:20], off, off offset:496
	v_add_f32_e32 v21, v21, v227
	s_delay_alu instid0(VALU_DEP_1) | instskip(NEXT) | instid1(VALU_DEP_1)
	v_add_f32_e32 v21, v21, v229
	v_add_f32_e32 v13, v21, v231
	s_delay_alu instid0(VALU_DEP_1) | instskip(NEXT) | instid1(VALU_DEP_1)
	v_dual_add_f32 v21, v22, v234 :: v_dual_add_f32 v22, v13, v233
	v_add_f32_e32 v162, v21, v236
	ds_load_b128 v[13:16], v161 offset:992
	v_add_f32_e32 v166, v22, v235
	ds_load_b128 v[21:24], v161 offset:1008
	v_add_f32_e32 v161, v162, v238
	v_add_f32_e32 v162, v166, v237
	s_wait_loadcnt_dscnt 0x202
	v_mul_f32_e32 v166, v5, v2
	s_delay_alu instid0(VALU_DEP_3) | instskip(NEXT) | instid1(VALU_DEP_3)
	v_dual_add_f32 v161, v161, v240 :: v_dual_mul_f32 v2, v6, v2
	v_add_f32_e32 v162, v162, v239
	s_delay_alu instid0(VALU_DEP_2) | instskip(SKIP_1) | instid1(VALU_DEP_3)
	v_dual_fmac_f32 v166, v6, v1 :: v_dual_add_f32 v27, v161, v27
	v_mul_f32_e32 v161, v7, v4
	v_dual_mul_f32 v4, v8, v4 :: v_dual_add_f32 v25, v162, v25
	v_fma_f32 v2, v5, v1, -v2
	s_wait_loadcnt_dscnt 0x101
	v_dual_add_f32 v27, v27, v28 :: v_dual_mul_f32 v162, v13, v10
	v_mul_f32_e32 v6, v14, v10
	v_add_f32_e32 v25, v25, v26
	v_fmac_f32_e32 v161, v8, v3
	s_delay_alu instid0(VALU_DEP_4) | instskip(SKIP_3) | instid1(VALU_DEP_4)
	v_add_f32_e32 v27, v27, v31
	v_fma_f32 v3, v7, v3, -v4
	v_mul_f32_e32 v167, v15, v12
	v_dual_add_f32 v25, v25, v29 :: v_dual_mul_f32 v4, v16, v12
	v_dual_add_f32 v1, v27, v32 :: v_dual_fmac_f32 v162, v14, v9
	s_delay_alu instid0(VALU_DEP_3) | instskip(NEXT) | instid1(VALU_DEP_3)
	v_fmac_f32_e32 v167, v16, v11
	v_add_f32_e32 v5, v25, v30
	s_delay_alu instid0(VALU_DEP_4) | instskip(NEXT) | instid1(VALU_DEP_4)
	v_fma_f32 v4, v15, v11, -v4
	v_add_f32_e32 v1, v1, v2
	s_delay_alu instid0(VALU_DEP_3) | instskip(SKIP_1) | instid1(VALU_DEP_2)
	v_add_f32_e32 v2, v5, v166
	v_fma_f32 v5, v13, v9, -v6
	v_dual_add_f32 v1, v1, v3 :: v_dual_add_f32 v2, v2, v161
	s_delay_alu instid0(VALU_DEP_1) | instskip(NEXT) | instid1(VALU_DEP_1)
	v_dual_add_f32 v1, v1, v5 :: v_dual_add_f32 v2, v2, v162
	v_dual_add_f32 v1, v1, v4 :: v_dual_add_f32 v2, v2, v167
	s_wait_loadcnt_dscnt 0x0
	v_mul_f32_e32 v26, v21, v18
	v_dual_mul_f32 v3, v22, v18 :: v_dual_mul_f32 v28, v23, v20
	s_delay_alu instid0(VALU_DEP_2) | instskip(NEXT) | instid1(VALU_DEP_2)
	v_dual_mul_f32 v5, v24, v20 :: v_dual_fmac_f32 v26, v22, v17
	v_fma_f32 v3, v21, v17, -v3
	s_delay_alu instid0(VALU_DEP_3) | instskip(NEXT) | instid1(VALU_DEP_3)
	v_fmac_f32_e32 v28, v24, v19
	v_fma_f32 v4, v23, v19, -v5
	s_delay_alu instid0(VALU_DEP_3) | instskip(NEXT) | instid1(VALU_DEP_1)
	v_dual_add_f32 v2, v2, v26 :: v_dual_add_f32 v1, v1, v3
	v_add_f32_e32 v2, v2, v28
	s_delay_alu instid0(VALU_DEP_2) | instskip(NEXT) | instid1(VALU_DEP_1)
	v_add_f32_e32 v1, v1, v4
	v_dual_sub_f32 v2, v165, v2 :: v_dual_sub_f32 v1, v164, v1
	scratch_store_b64 off, v[1:2], off offset:40
	v_cmpx_lt_u32_e32 4, v0
	s_cbranch_execz .LBB127_389
; %bb.388:
	scratch_load_b64 v[1:2], off, off offset:32
	v_mov_b32_e32 v3, 0
	s_delay_alu instid0(VALU_DEP_1)
	v_mov_b32_e32 v4, v3
	scratch_store_b64 off, v[3:4], off offset:32
	s_wait_loadcnt 0x0
	ds_store_b64 v163, v[1:2]
.LBB127_389:
	s_wait_alu 0xfffe
	s_or_b32 exec_lo, exec_lo, s0
	s_wait_storecnt_dscnt 0x0
	s_barrier_signal -1
	s_barrier_wait -1
	global_inv scope:SCOPE_SE
	s_clause 0x4
	scratch_load_b128 v[5:8], off, off offset:40
	scratch_load_b128 v[1:4], off, off offset:56
	;; [unrolled: 1-line block ×5, first 2 shown]
	v_mov_b32_e32 v161, 0
	ds_load_2addr_b64 v[21:24], v161 offset0:69 offset1:70
	ds_load_2addr_b64 v[25:28], v161 offset0:71 offset1:72
	;; [unrolled: 1-line block ×3, first 2 shown]
	scratch_load_b64 v[164:165], off, off offset:32
	s_mov_b32 s0, exec_lo
	s_wait_loadcnt_dscnt 0x502
	v_mul_f32_e32 v162, v21, v6
	v_mul_f32_e32 v166, v23, v8
	;; [unrolled: 1-line block ×3, first 2 shown]
	s_wait_loadcnt_dscnt 0x300
	v_dual_mul_f32 v8, v24, v8 :: v_dual_mul_f32 v167, v29, v10
	v_fmac_f32_e32 v162, v22, v5
	v_mul_f32_e32 v168, v31, v12
	v_fma_f32 v21, v21, v5, -v6
	s_delay_alu instid0(VALU_DEP_4)
	v_fma_f32 v22, v23, v7, -v8
	v_dual_mul_f32 v23, v25, v2 :: v_dual_fmac_f32 v166, v24, v7
	ds_load_2addr_b64 v[5:8], v161 offset0:75 offset1:76
	v_dual_mul_f32 v24, v27, v4 :: v_dual_fmac_f32 v167, v30, v9
	v_mul_f32_e32 v2, v26, v2
	v_mul_f32_e32 v4, v28, v4
	v_mul_f32_e32 v10, v30, v10
	s_delay_alu instid0(VALU_DEP_4) | instskip(NEXT) | instid1(VALU_DEP_4)
	v_dual_fmac_f32 v23, v26, v1 :: v_dual_fmac_f32 v24, v28, v3
	v_fma_f32 v25, v25, v1, -v2
	s_delay_alu instid0(VALU_DEP_4) | instskip(SKIP_4) | instid1(VALU_DEP_3)
	v_fma_f32 v26, v27, v3, -v4
	scratch_load_b128 v[1:4], off, off offset:120
	v_mul_f32_e32 v12, v32, v12
	v_fmac_f32_e32 v168, v32, v11
	v_fma_f32 v27, v29, v9, -v10
	v_fma_f32 v28, v31, v11, -v12
	ds_load_2addr_b64 v[9:12], v161 offset0:77 offset1:78
	s_wait_loadcnt_dscnt 0x301
	v_dual_mul_f32 v29, v5, v14 :: v_dual_mul_f32 v30, v7, v16
	v_mul_f32_e32 v14, v6, v14
	s_delay_alu instid0(VALU_DEP_2) | instskip(NEXT) | instid1(VALU_DEP_3)
	v_dual_mul_f32 v16, v8, v16 :: v_dual_fmac_f32 v29, v6, v13
	v_fmac_f32_e32 v30, v8, v15
	s_delay_alu instid0(VALU_DEP_3) | instskip(NEXT) | instid1(VALU_DEP_3)
	v_fma_f32 v13, v5, v13, -v14
	v_fma_f32 v14, v7, v15, -v16
	ds_load_2addr_b64 v[5:8], v161 offset0:79 offset1:80
	s_wait_loadcnt_dscnt 0x201
	v_dual_mul_f32 v15, v9, v18 :: v_dual_mul_f32 v16, v11, v20
	v_mul_f32_e32 v18, v10, v18
	s_delay_alu instid0(VALU_DEP_2) | instskip(NEXT) | instid1(VALU_DEP_3)
	v_dual_mul_f32 v20, v12, v20 :: v_dual_fmac_f32 v15, v10, v17
	v_fmac_f32_e32 v16, v12, v19
	s_delay_alu instid0(VALU_DEP_3) | instskip(NEXT) | instid1(VALU_DEP_3)
	v_fma_f32 v17, v9, v17, -v18
	v_fma_f32 v18, v11, v19, -v20
	scratch_load_b128 v[9:12], off, off offset:136
	s_wait_loadcnt_dscnt 0x100
	v_dual_mul_f32 v19, v5, v2 :: v_dual_mul_f32 v20, v7, v4
	v_mul_f32_e32 v2, v6, v2
	s_delay_alu instid0(VALU_DEP_2) | instskip(NEXT) | instid1(VALU_DEP_3)
	v_dual_mul_f32 v4, v8, v4 :: v_dual_fmac_f32 v19, v6, v1
	v_fmac_f32_e32 v20, v8, v3
	s_delay_alu instid0(VALU_DEP_3) | instskip(NEXT) | instid1(VALU_DEP_3)
	v_fma_f32 v31, v5, v1, -v2
	v_fma_f32 v32, v7, v3, -v4
	ds_load_2addr_b64 v[1:4], v161 offset0:81 offset1:82
	ds_load_2addr_b64 v[5:8], v161 offset0:83 offset1:84
	s_wait_loadcnt_dscnt 0x1
	v_mul_f32_e32 v169, v1, v10
	v_mul_f32_e32 v10, v2, v10
	s_delay_alu instid0(VALU_DEP_2) | instskip(NEXT) | instid1(VALU_DEP_2)
	v_dual_mul_f32 v170, v3, v12 :: v_dual_fmac_f32 v169, v2, v9
	v_fma_f32 v171, v1, v9, -v10
	v_mul_f32_e32 v1, v4, v12
	s_delay_alu instid0(VALU_DEP_3) | instskip(NEXT) | instid1(VALU_DEP_2)
	v_fmac_f32_e32 v170, v4, v11
	v_fma_f32 v172, v3, v11, -v1
	s_clause 0x1
	scratch_load_b128 v[1:4], off, off offset:152
	scratch_load_b128 v[9:12], off, off offset:168
	s_wait_loadcnt_dscnt 0x100
	v_mul_f32_e32 v173, v5, v2
	v_dual_mul_f32 v2, v6, v2 :: v_dual_mul_f32 v175, v7, v4
	s_delay_alu instid0(VALU_DEP_2) | instskip(NEXT) | instid1(VALU_DEP_2)
	v_fmac_f32_e32 v173, v6, v1
	v_fma_f32 v174, v5, v1, -v2
	v_mul_f32_e32 v1, v8, v4
	s_delay_alu instid0(VALU_DEP_4) | instskip(NEXT) | instid1(VALU_DEP_2)
	v_fmac_f32_e32 v175, v8, v3
	v_fma_f32 v176, v7, v3, -v1
	ds_load_2addr_b64 v[1:4], v161 offset0:85 offset1:86
	ds_load_2addr_b64 v[5:8], v161 offset0:87 offset1:88
	s_wait_loadcnt_dscnt 0x1
	v_mul_f32_e32 v177, v1, v10
	v_mul_f32_e32 v179, v3, v12
	s_delay_alu instid0(VALU_DEP_2) | instskip(NEXT) | instid1(VALU_DEP_2)
	v_fmac_f32_e32 v177, v2, v9
	v_dual_mul_f32 v2, v2, v10 :: v_dual_fmac_f32 v179, v4, v11
	s_delay_alu instid0(VALU_DEP_1) | instskip(SKIP_1) | instid1(VALU_DEP_1)
	v_fma_f32 v178, v1, v9, -v2
	v_mul_f32_e32 v1, v4, v12
	v_fma_f32 v180, v3, v11, -v1
	s_clause 0x1
	scratch_load_b128 v[1:4], off, off offset:184
	scratch_load_b128 v[9:12], off, off offset:200
	s_wait_loadcnt_dscnt 0x100
	v_mul_f32_e32 v181, v5, v2
	v_dual_mul_f32 v2, v6, v2 :: v_dual_mul_f32 v183, v7, v4
	s_delay_alu instid0(VALU_DEP_2) | instskip(NEXT) | instid1(VALU_DEP_2)
	v_fmac_f32_e32 v181, v6, v1
	v_fma_f32 v182, v5, v1, -v2
	v_mul_f32_e32 v1, v8, v4
	s_delay_alu instid0(VALU_DEP_4) | instskip(NEXT) | instid1(VALU_DEP_2)
	v_fmac_f32_e32 v183, v8, v3
	v_fma_f32 v184, v7, v3, -v1
	ds_load_2addr_b64 v[1:4], v161 offset0:89 offset1:90
	ds_load_2addr_b64 v[5:8], v161 offset0:91 offset1:92
	s_wait_loadcnt_dscnt 0x1
	v_mul_f32_e32 v185, v1, v10
	v_mul_f32_e32 v187, v3, v12
	s_delay_alu instid0(VALU_DEP_2) | instskip(NEXT) | instid1(VALU_DEP_2)
	v_fmac_f32_e32 v185, v2, v9
	v_dual_mul_f32 v2, v2, v10 :: v_dual_fmac_f32 v187, v4, v11
	s_delay_alu instid0(VALU_DEP_1) | instskip(SKIP_1) | instid1(VALU_DEP_1)
	v_fma_f32 v186, v1, v9, -v2
	v_mul_f32_e32 v1, v4, v12
	;; [unrolled: 25-line block ×8, first 2 shown]
	v_fma_f32 v236, v3, v11, -v1
	s_clause 0x1
	scratch_load_b128 v[1:4], off, off offset:408
	scratch_load_b128 v[9:12], off, off offset:424
	s_wait_loadcnt_dscnt 0x100
	v_mul_f32_e32 v237, v5, v2
	v_mul_f32_e32 v2, v6, v2
	s_delay_alu instid0(VALU_DEP_2) | instskip(NEXT) | instid1(VALU_DEP_2)
	v_fmac_f32_e32 v237, v6, v1
	v_fma_f32 v238, v5, v1, -v2
	v_dual_mul_f32 v1, v8, v4 :: v_dual_add_f32 v2, 0, v162
	s_delay_alu instid0(VALU_DEP_1) | instskip(NEXT) | instid1(VALU_DEP_2)
	v_fma_f32 v240, v7, v3, -v1
	v_dual_add_f32 v1, 0, v21 :: v_dual_add_f32 v2, v2, v166
	s_delay_alu instid0(VALU_DEP_1) | instskip(NEXT) | instid1(VALU_DEP_1)
	v_dual_add_f32 v1, v1, v22 :: v_dual_add_f32 v2, v2, v23
	v_dual_add_f32 v1, v1, v25 :: v_dual_add_f32 v2, v2, v24
	s_delay_alu instid0(VALU_DEP_1) | instskip(SKIP_2) | instid1(VALU_DEP_1)
	v_add_f32_e32 v1, v1, v26
	scratch_load_b64 v[25:26], off, off offset:504
	v_add_f32_e32 v2, v2, v167
	v_dual_add_f32 v1, v1, v27 :: v_dual_add_f32 v2, v2, v168
	s_delay_alu instid0(VALU_DEP_1) | instskip(NEXT) | instid1(VALU_DEP_1)
	v_dual_add_f32 v1, v1, v28 :: v_dual_add_f32 v2, v2, v29
	v_dual_add_f32 v1, v1, v13 :: v_dual_add_f32 v2, v2, v30
	s_delay_alu instid0(VALU_DEP_1) | instskip(NEXT) | instid1(VALU_DEP_1)
	v_dual_add_f32 v1, v1, v14 :: v_dual_add_f32 v2, v2, v15
	;; [unrolled: 3-line block ×8, first 2 shown]
	v_dual_add_f32 v1, v1, v186 :: v_dual_add_f32 v2, v2, v187
	s_delay_alu instid0(VALU_DEP_1) | instskip(NEXT) | instid1(VALU_DEP_1)
	v_add_f32_e32 v1, v1, v188
	v_add_f32_e32 v1, v1, v190
	s_delay_alu instid0(VALU_DEP_1) | instskip(NEXT) | instid1(VALU_DEP_1)
	v_add_f32_e32 v1, v1, v192
	v_add_f32_e32 v1, v1, v194
	;; [unrolled: 3-line block ×7, first 2 shown]
	v_dual_add_f32 v2, v2, v189 :: v_dual_mul_f32 v239, v7, v4
	s_delay_alu instid0(VALU_DEP_2) | instskip(NEXT) | instid1(VALU_DEP_2)
	v_add_f32_e32 v14, v6, v216
	v_add_f32_e32 v2, v2, v191
	s_delay_alu instid0(VALU_DEP_2) | instskip(NEXT) | instid1(VALU_DEP_2)
	v_add_f32_e32 v14, v14, v218
	v_add_f32_e32 v2, v2, v193
	s_delay_alu instid0(VALU_DEP_2) | instskip(NEXT) | instid1(VALU_DEP_1)
	v_add_f32_e32 v17, v14, v220
	v_dual_add_f32 v2, v2, v195 :: v_dual_add_f32 v17, v17, v222
	s_delay_alu instid0(VALU_DEP_1) | instskip(NEXT) | instid1(VALU_DEP_1)
	v_dual_add_f32 v2, v2, v197 :: v_dual_add_f32 v17, v17, v224
	v_dual_add_f32 v2, v2, v199 :: v_dual_add_f32 v17, v17, v226
	s_delay_alu instid0(VALU_DEP_1) | instskip(NEXT) | instid1(VALU_DEP_2)
	v_add_f32_e32 v2, v2, v201
	v_add_f32_e32 v22, v17, v228
	s_delay_alu instid0(VALU_DEP_2) | instskip(NEXT) | instid1(VALU_DEP_2)
	v_add_f32_e32 v2, v2, v203
	v_dual_fmac_f32 v239, v8, v3 :: v_dual_add_f32 v22, v22, v230
	s_delay_alu instid0(VALU_DEP_2) | instskip(NEXT) | instid1(VALU_DEP_2)
	v_add_f32_e32 v2, v2, v205
	v_add_f32_e32 v22, v22, v232
	s_delay_alu instid0(VALU_DEP_2) | instskip(NEXT) | instid1(VALU_DEP_2)
	v_add_f32_e32 v2, v2, v207
	v_add_f32_e32 v22, v22, v234
	s_delay_alu instid0(VALU_DEP_2) | instskip(NEXT) | instid1(VALU_DEP_1)
	v_add_f32_e32 v2, v2, v209
	v_add_f32_e32 v5, v2, v211
	scratch_load_b128 v[1:4], off, off offset:440
	v_add_f32_e32 v13, v5, v213
	ds_load_2addr_b64 v[5:8], v161 offset0:117 offset1:118
	v_add_f32_e32 v13, v13, v215
	s_delay_alu instid0(VALU_DEP_1) | instskip(NEXT) | instid1(VALU_DEP_1)
	v_add_f32_e32 v13, v13, v217
	v_add_f32_e32 v18, v13, v219
	ds_load_2addr_b64 v[13:16], v161 offset0:119 offset1:120
	s_wait_loadcnt_dscnt 0x201
	v_mul_f32_e32 v29, v5, v10
	v_mul_f32_e32 v10, v6, v10
	;; [unrolled: 1-line block ×3, first 2 shown]
	s_delay_alu instid0(VALU_DEP_3) | instskip(NEXT) | instid1(VALU_DEP_3)
	v_dual_mul_f32 v12, v8, v12 :: v_dual_fmac_f32 v29, v6, v9
	v_fma_f32 v31, v5, v9, -v10
	s_delay_alu instid0(VALU_DEP_3) | instskip(NEXT) | instid1(VALU_DEP_3)
	v_fmac_f32_e32 v30, v8, v11
	v_fma_f32 v32, v7, v11, -v12
	s_clause 0x1
	scratch_load_b128 v[5:8], off, off offset:456
	scratch_load_b128 v[9:12], off, off offset:472
	s_wait_loadcnt_dscnt 0x200
	v_mul_f32_e32 v166, v15, v4
	v_mul_f32_e32 v4, v16, v4
	v_add_f32_e32 v18, v18, v221
	v_mul_f32_e32 v162, v13, v2
	v_mul_f32_e32 v2, v14, v2
	v_fmac_f32_e32 v166, v16, v3
	v_fma_f32 v168, v15, v3, -v4
	v_add_f32_e32 v18, v18, v223
	v_fmac_f32_e32 v162, v14, v1
	v_fma_f32 v167, v13, v1, -v2
	v_add_f32_e32 v14, v22, v236
	ds_load_2addr_b64 v[1:4], v161 offset0:121 offset1:122
	v_add_f32_e32 v21, v18, v225
	scratch_load_b128 v[17:20], off, off offset:488
	v_add_f32_e32 v21, v21, v227
	s_delay_alu instid0(VALU_DEP_1) | instskip(NEXT) | instid1(VALU_DEP_1)
	v_add_f32_e32 v21, v21, v229
	v_add_f32_e32 v21, v21, v231
	s_delay_alu instid0(VALU_DEP_1) | instskip(NEXT) | instid1(VALU_DEP_1)
	v_add_f32_e32 v13, v21, v233
	v_add_f32_e32 v21, v13, v235
	s_delay_alu instid0(VALU_DEP_1) | instskip(SKIP_2) | instid1(VALU_DEP_1)
	v_add_f32_e32 v28, v21, v237
	ds_load_2addr_b64 v[21:24], v161 offset0:125 offset1:126
	v_add_f32_e32 v170, v28, v239
	v_add_f32_e32 v29, v170, v29
	s_delay_alu instid0(VALU_DEP_1) | instskip(NEXT) | instid1(VALU_DEP_1)
	v_add_f32_e32 v29, v29, v30
	v_add_f32_e32 v29, v29, v162
	s_delay_alu instid0(VALU_DEP_1)
	v_add_f32_e32 v29, v29, v166
	v_add_f32_e32 v27, v14, v238
	ds_load_2addr_b64 v[13:16], v161 offset0:123 offset1:124
	s_wait_loadcnt_dscnt 0x202
	v_mul_f32_e32 v30, v3, v8
	v_mul_f32_e32 v8, v4, v8
	v_add_f32_e32 v169, v27, v240
	ds_load_b64 v[27:28], v161 offset:1016
	v_fmac_f32_e32 v30, v4, v7
	v_add_f32_e32 v31, v169, v31
	v_mul_f32_e32 v169, v1, v6
	s_delay_alu instid0(VALU_DEP_2) | instskip(NEXT) | instid1(VALU_DEP_2)
	v_dual_mul_f32 v6, v2, v6 :: v_dual_add_f32 v31, v31, v32
	v_fmac_f32_e32 v169, v2, v5
	s_delay_alu instid0(VALU_DEP_2)
	v_fma_f32 v1, v1, v5, -v6
	v_fma_f32 v2, v3, v7, -v8
	s_wait_loadcnt_dscnt 0x101
	v_dual_add_f32 v31, v31, v167 :: v_dual_mul_f32 v32, v13, v10
	v_dual_mul_f32 v3, v14, v10 :: v_dual_add_f32 v4, v29, v169
	v_mul_f32_e32 v162, v15, v12
	s_delay_alu instid0(VALU_DEP_3) | instskip(NEXT) | instid1(VALU_DEP_4)
	v_add_f32_e32 v31, v31, v168
	v_dual_mul_f32 v5, v16, v12 :: v_dual_fmac_f32 v32, v14, v9
	s_delay_alu instid0(VALU_DEP_4) | instskip(NEXT) | instid1(VALU_DEP_3)
	v_fma_f32 v3, v13, v9, -v3
	v_dual_fmac_f32 v162, v16, v11 :: v_dual_add_f32 v1, v31, v1
	s_delay_alu instid0(VALU_DEP_3) | instskip(SKIP_2) | instid1(VALU_DEP_3)
	v_fma_f32 v5, v15, v11, -v5
	s_wait_dscnt 0x0
	v_mul_f32_e32 v166, v27, v26
	v_add_f32_e32 v1, v1, v2
	v_add_f32_e32 v2, v4, v30
	s_delay_alu instid0(VALU_DEP_2) | instskip(NEXT) | instid1(VALU_DEP_1)
	v_dual_fmac_f32 v166, v28, v25 :: v_dual_add_f32 v1, v1, v3
	v_dual_add_f32 v2, v2, v32 :: v_dual_add_f32 v1, v1, v5
	s_delay_alu instid0(VALU_DEP_1)
	v_add_f32_e32 v2, v2, v162
	v_mul_f32_e32 v5, v28, v26
	s_wait_loadcnt 0x0
	v_mul_f32_e32 v167, v21, v18
	v_mul_f32_e32 v4, v22, v18
	;; [unrolled: 1-line block ×4, first 2 shown]
	s_delay_alu instid0(VALU_DEP_4) | instskip(NEXT) | instid1(VALU_DEP_4)
	v_fmac_f32_e32 v167, v22, v17
	v_fma_f32 v4, v21, v17, -v4
	s_delay_alu instid0(VALU_DEP_4) | instskip(NEXT) | instid1(VALU_DEP_4)
	v_fmac_f32_e32 v168, v24, v19
	v_fma_f32 v3, v23, v19, -v3
	s_delay_alu instid0(VALU_DEP_3) | instskip(SKIP_1) | instid1(VALU_DEP_2)
	v_dual_add_f32 v2, v2, v167 :: v_dual_add_f32 v1, v1, v4
	v_fma_f32 v4, v27, v25, -v5
	v_dual_add_f32 v2, v2, v168 :: v_dual_add_f32 v1, v1, v3
	s_delay_alu instid0(VALU_DEP_1) | instskip(NEXT) | instid1(VALU_DEP_1)
	v_dual_add_f32 v2, v2, v166 :: v_dual_add_f32 v1, v1, v4
	v_dual_sub_f32 v2, v165, v2 :: v_dual_sub_f32 v1, v164, v1
	scratch_store_b64 off, v[1:2], off offset:32
	v_cmpx_lt_u32_e32 3, v0
	s_cbranch_execz .LBB127_391
; %bb.390:
	scratch_load_b64 v[1:2], off, off offset:24
	v_mov_b32_e32 v162, v161
	scratch_store_b64 off, v[161:162], off offset:24
	s_wait_loadcnt 0x0
	ds_store_b64 v163, v[1:2]
.LBB127_391:
	s_wait_alu 0xfffe
	s_or_b32 exec_lo, exec_lo, s0
	s_wait_storecnt_dscnt 0x0
	s_barrier_signal -1
	s_barrier_wait -1
	global_inv scope:SCOPE_SE
	s_clause 0x4
	scratch_load_b128 v[5:8], off, off offset:32
	scratch_load_b128 v[1:4], off, off offset:48
	;; [unrolled: 1-line block ×5, first 2 shown]
	ds_load_b128 v[21:24], v161 offset:544
	ds_load_b128 v[25:28], v161 offset:560
	;; [unrolled: 1-line block ×3, first 2 shown]
	scratch_load_b64 v[164:165], off, off offset:24
	s_mov_b32 s0, exec_lo
	s_wait_loadcnt_dscnt 0x502
	v_mul_f32_e32 v162, v21, v6
	v_mul_f32_e32 v166, v23, v8
	;; [unrolled: 1-line block ×3, first 2 shown]
	s_wait_loadcnt_dscnt 0x300
	v_dual_mul_f32 v8, v24, v8 :: v_dual_mul_f32 v167, v29, v10
	v_fmac_f32_e32 v162, v22, v5
	v_mul_f32_e32 v168, v31, v12
	v_fma_f32 v21, v21, v5, -v6
	s_delay_alu instid0(VALU_DEP_4)
	v_fma_f32 v22, v23, v7, -v8
	v_dual_mul_f32 v23, v25, v2 :: v_dual_fmac_f32 v166, v24, v7
	v_fmac_f32_e32 v167, v30, v9
	ds_load_b128 v[5:8], v161 offset:592
	v_mul_f32_e32 v24, v27, v4
	v_mul_f32_e32 v2, v26, v2
	;; [unrolled: 1-line block ×4, first 2 shown]
	s_delay_alu instid0(VALU_DEP_4) | instskip(NEXT) | instid1(VALU_DEP_4)
	v_dual_fmac_f32 v23, v26, v1 :: v_dual_fmac_f32 v24, v28, v3
	v_fma_f32 v25, v25, v1, -v2
	s_delay_alu instid0(VALU_DEP_4) | instskip(SKIP_4) | instid1(VALU_DEP_3)
	v_fma_f32 v26, v27, v3, -v4
	scratch_load_b128 v[1:4], off, off offset:112
	v_mul_f32_e32 v12, v32, v12
	v_fmac_f32_e32 v168, v32, v11
	v_fma_f32 v27, v29, v9, -v10
	v_fma_f32 v28, v31, v11, -v12
	ds_load_b128 v[9:12], v161 offset:608
	s_wait_loadcnt_dscnt 0x301
	v_dual_mul_f32 v29, v5, v14 :: v_dual_mul_f32 v30, v7, v16
	v_mul_f32_e32 v14, v6, v14
	s_delay_alu instid0(VALU_DEP_2) | instskip(NEXT) | instid1(VALU_DEP_3)
	v_dual_mul_f32 v16, v8, v16 :: v_dual_fmac_f32 v29, v6, v13
	v_fmac_f32_e32 v30, v8, v15
	s_delay_alu instid0(VALU_DEP_3) | instskip(NEXT) | instid1(VALU_DEP_3)
	v_fma_f32 v13, v5, v13, -v14
	v_fma_f32 v14, v7, v15, -v16
	ds_load_b128 v[5:8], v161 offset:624
	s_wait_loadcnt_dscnt 0x201
	v_dual_mul_f32 v15, v9, v18 :: v_dual_mul_f32 v16, v11, v20
	v_mul_f32_e32 v18, v10, v18
	s_delay_alu instid0(VALU_DEP_2) | instskip(NEXT) | instid1(VALU_DEP_3)
	v_dual_mul_f32 v20, v12, v20 :: v_dual_fmac_f32 v15, v10, v17
	v_fmac_f32_e32 v16, v12, v19
	s_delay_alu instid0(VALU_DEP_3) | instskip(NEXT) | instid1(VALU_DEP_3)
	v_fma_f32 v17, v9, v17, -v18
	v_fma_f32 v18, v11, v19, -v20
	scratch_load_b128 v[9:12], off, off offset:128
	s_wait_loadcnt_dscnt 0x100
	v_dual_mul_f32 v19, v5, v2 :: v_dual_mul_f32 v20, v7, v4
	v_mul_f32_e32 v2, v6, v2
	s_delay_alu instid0(VALU_DEP_2) | instskip(NEXT) | instid1(VALU_DEP_3)
	v_dual_mul_f32 v4, v8, v4 :: v_dual_fmac_f32 v19, v6, v1
	v_fmac_f32_e32 v20, v8, v3
	s_delay_alu instid0(VALU_DEP_3) | instskip(NEXT) | instid1(VALU_DEP_3)
	v_fma_f32 v31, v5, v1, -v2
	v_fma_f32 v32, v7, v3, -v4
	ds_load_b128 v[1:4], v161 offset:640
	ds_load_b128 v[5:8], v161 offset:656
	s_wait_loadcnt_dscnt 0x1
	v_mul_f32_e32 v169, v1, v10
	v_mul_f32_e32 v10, v2, v10
	s_delay_alu instid0(VALU_DEP_2) | instskip(NEXT) | instid1(VALU_DEP_2)
	v_dual_mul_f32 v170, v3, v12 :: v_dual_fmac_f32 v169, v2, v9
	v_fma_f32 v171, v1, v9, -v10
	v_mul_f32_e32 v1, v4, v12
	s_delay_alu instid0(VALU_DEP_3) | instskip(NEXT) | instid1(VALU_DEP_2)
	v_fmac_f32_e32 v170, v4, v11
	v_fma_f32 v172, v3, v11, -v1
	s_clause 0x1
	scratch_load_b128 v[1:4], off, off offset:144
	scratch_load_b128 v[9:12], off, off offset:160
	s_wait_loadcnt_dscnt 0x100
	v_mul_f32_e32 v173, v5, v2
	v_dual_mul_f32 v2, v6, v2 :: v_dual_mul_f32 v175, v7, v4
	s_delay_alu instid0(VALU_DEP_2) | instskip(NEXT) | instid1(VALU_DEP_2)
	v_fmac_f32_e32 v173, v6, v1
	v_fma_f32 v174, v5, v1, -v2
	v_mul_f32_e32 v1, v8, v4
	s_delay_alu instid0(VALU_DEP_4) | instskip(NEXT) | instid1(VALU_DEP_2)
	v_fmac_f32_e32 v175, v8, v3
	v_fma_f32 v176, v7, v3, -v1
	ds_load_b128 v[1:4], v161 offset:672
	ds_load_b128 v[5:8], v161 offset:688
	s_wait_loadcnt_dscnt 0x1
	v_mul_f32_e32 v177, v1, v10
	v_mul_f32_e32 v179, v3, v12
	s_delay_alu instid0(VALU_DEP_2) | instskip(NEXT) | instid1(VALU_DEP_2)
	v_fmac_f32_e32 v177, v2, v9
	v_dual_mul_f32 v2, v2, v10 :: v_dual_fmac_f32 v179, v4, v11
	s_delay_alu instid0(VALU_DEP_1) | instskip(SKIP_1) | instid1(VALU_DEP_1)
	v_fma_f32 v178, v1, v9, -v2
	v_mul_f32_e32 v1, v4, v12
	v_fma_f32 v180, v3, v11, -v1
	s_clause 0x1
	scratch_load_b128 v[1:4], off, off offset:176
	scratch_load_b128 v[9:12], off, off offset:192
	s_wait_loadcnt_dscnt 0x100
	v_mul_f32_e32 v181, v5, v2
	v_dual_mul_f32 v2, v6, v2 :: v_dual_mul_f32 v183, v7, v4
	s_delay_alu instid0(VALU_DEP_2) | instskip(NEXT) | instid1(VALU_DEP_2)
	v_fmac_f32_e32 v181, v6, v1
	v_fma_f32 v182, v5, v1, -v2
	v_mul_f32_e32 v1, v8, v4
	s_delay_alu instid0(VALU_DEP_4) | instskip(NEXT) | instid1(VALU_DEP_2)
	v_fmac_f32_e32 v183, v8, v3
	v_fma_f32 v184, v7, v3, -v1
	ds_load_b128 v[1:4], v161 offset:704
	ds_load_b128 v[5:8], v161 offset:720
	s_wait_loadcnt_dscnt 0x1
	v_mul_f32_e32 v185, v1, v10
	v_mul_f32_e32 v187, v3, v12
	s_delay_alu instid0(VALU_DEP_2) | instskip(NEXT) | instid1(VALU_DEP_2)
	v_fmac_f32_e32 v185, v2, v9
	v_dual_mul_f32 v2, v2, v10 :: v_dual_fmac_f32 v187, v4, v11
	s_delay_alu instid0(VALU_DEP_1) | instskip(SKIP_1) | instid1(VALU_DEP_1)
	v_fma_f32 v186, v1, v9, -v2
	v_mul_f32_e32 v1, v4, v12
	;; [unrolled: 25-line block ×9, first 2 shown]
	v_fma_f32 v244, v3, v11, -v1
	s_clause 0x1
	scratch_load_b128 v[1:4], off, off offset:432
	scratch_load_b128 v[9:12], off, off offset:448
	s_wait_loadcnt_dscnt 0x100
	v_mul_f32_e32 v245, v5, v2
	v_mul_f32_e32 v2, v6, v2
	s_delay_alu instid0(VALU_DEP_2) | instskip(NEXT) | instid1(VALU_DEP_2)
	v_fmac_f32_e32 v245, v6, v1
	v_fma_f32 v246, v5, v1, -v2
	v_dual_mul_f32 v1, v8, v4 :: v_dual_add_f32 v2, 0, v162
	s_delay_alu instid0(VALU_DEP_1) | instskip(NEXT) | instid1(VALU_DEP_2)
	v_fma_f32 v248, v7, v3, -v1
	v_dual_add_f32 v1, 0, v21 :: v_dual_add_f32 v2, v2, v166
	s_delay_alu instid0(VALU_DEP_1) | instskip(NEXT) | instid1(VALU_DEP_1)
	v_dual_add_f32 v1, v1, v22 :: v_dual_add_f32 v2, v2, v23
	v_dual_add_f32 v1, v1, v25 :: v_dual_add_f32 v2, v2, v24
	s_delay_alu instid0(VALU_DEP_1) | instskip(NEXT) | instid1(VALU_DEP_1)
	v_dual_add_f32 v1, v1, v26 :: v_dual_add_f32 v2, v2, v167
	;; [unrolled: 3-line block ×11, first 2 shown]
	v_dual_add_f32 v1, v1, v190 :: v_dual_add_f32 v2, v2, v191
	s_delay_alu instid0(VALU_DEP_1) | instskip(NEXT) | instid1(VALU_DEP_1)
	v_add_f32_e32 v1, v1, v192
	v_add_f32_e32 v1, v1, v194
	s_delay_alu instid0(VALU_DEP_1) | instskip(NEXT) | instid1(VALU_DEP_1)
	v_add_f32_e32 v1, v1, v196
	v_add_f32_e32 v1, v1, v198
	;; [unrolled: 3-line block ×7, first 2 shown]
	s_delay_alu instid0(VALU_DEP_1) | instskip(SKIP_1) | instid1(VALU_DEP_2)
	v_add_f32_e32 v6, v1, v220
	v_add_f32_e32 v2, v2, v193
	v_add_f32_e32 v6, v6, v222
	s_delay_alu instid0(VALU_DEP_2) | instskip(NEXT) | instid1(VALU_DEP_2)
	v_dual_add_f32 v2, v2, v195 :: v_dual_mul_f32 v247, v7, v4
	v_add_f32_e32 v13, v6, v224
	s_delay_alu instid0(VALU_DEP_2) | instskip(NEXT) | instid1(VALU_DEP_1)
	v_dual_add_f32 v2, v2, v197 :: v_dual_fmac_f32 v247, v8, v3
	v_dual_add_f32 v13, v13, v226 :: v_dual_add_f32 v2, v2, v199
	s_delay_alu instid0(VALU_DEP_1) | instskip(NEXT) | instid1(VALU_DEP_1)
	v_dual_add_f32 v13, v13, v228 :: v_dual_add_f32 v2, v2, v201
	v_dual_add_f32 v13, v13, v230 :: v_dual_add_f32 v2, v2, v203
	s_delay_alu instid0(VALU_DEP_1) | instskip(NEXT) | instid1(VALU_DEP_2)
	v_add_f32_e32 v18, v13, v232
	v_add_f32_e32 v2, v2, v205
	s_delay_alu instid0(VALU_DEP_2) | instskip(NEXT) | instid1(VALU_DEP_2)
	v_add_f32_e32 v18, v18, v234
	v_add_f32_e32 v2, v2, v207
	s_delay_alu instid0(VALU_DEP_2) | instskip(NEXT) | instid1(VALU_DEP_2)
	v_add_f32_e32 v18, v18, v236
	v_add_f32_e32 v2, v2, v209
	s_delay_alu instid0(VALU_DEP_2) | instskip(NEXT) | instid1(VALU_DEP_1)
	v_add_f32_e32 v21, v18, v238
	v_dual_add_f32 v2, v2, v211 :: v_dual_add_f32 v29, v21, v240
	s_delay_alu instid0(VALU_DEP_1) | instskip(NEXT) | instid1(VALU_DEP_1)
	v_dual_add_f32 v2, v2, v213 :: v_dual_add_f32 v29, v29, v242
	v_dual_add_f32 v2, v2, v215 :: v_dual_add_f32 v29, v29, v244
	s_delay_alu instid0(VALU_DEP_1) | instskip(SKIP_3) | instid1(VALU_DEP_2)
	v_add_f32_e32 v5, v2, v217
	ds_load_b128 v[1:4], v161 offset:960
	v_add_f32_e32 v29, v29, v246
	v_add_f32_e32 v5, v5, v219
	;; [unrolled: 1-line block ×3, first 2 shown]
	s_delay_alu instid0(VALU_DEP_2) | instskip(NEXT) | instid1(VALU_DEP_1)
	v_add_f32_e32 v5, v5, v221
	v_add_f32_e32 v14, v5, v223
	ds_load_b128 v[5:8], v161 offset:976
	s_wait_loadcnt_dscnt 0x1
	v_dual_add_f32 v14, v14, v225 :: v_dual_mul_f32 v25, v1, v10
	v_mul_f32_e32 v26, v3, v12
	v_mul_f32_e32 v10, v2, v10
	;; [unrolled: 1-line block ×3, first 2 shown]
	s_delay_alu instid0(VALU_DEP_4) | instskip(NEXT) | instid1(VALU_DEP_4)
	v_add_f32_e32 v14, v14, v227
	v_dual_fmac_f32 v25, v2, v9 :: v_dual_fmac_f32 v26, v4, v11
	s_delay_alu instid0(VALU_DEP_4) | instskip(NEXT) | instid1(VALU_DEP_4)
	v_fma_f32 v27, v1, v9, -v10
	v_fma_f32 v28, v3, v11, -v12
	s_clause 0x1
	scratch_load_b128 v[1:4], off, off offset:464
	scratch_load_b128 v[9:12], off, off offset:480
	s_wait_loadcnt_dscnt 0x100
	v_dual_add_f32 v27, v29, v27 :: v_dual_mul_f32 v32, v7, v4
	v_dual_mul_f32 v4, v8, v4 :: v_dual_add_f32 v17, v14, v229
	scratch_load_b128 v[13:16], off, off offset:496
	v_dual_mul_f32 v31, v5, v2 :: v_dual_fmac_f32 v32, v8, v3
	v_fma_f32 v3, v7, v3, -v4
	v_dual_add_f32 v17, v17, v231 :: v_dual_mul_f32 v2, v6, v2
	s_delay_alu instid0(VALU_DEP_3) | instskip(NEXT) | instid1(VALU_DEP_2)
	v_fmac_f32_e32 v31, v6, v1
	v_add_f32_e32 v17, v17, v233
	s_delay_alu instid0(VALU_DEP_3) | instskip(SKIP_1) | instid1(VALU_DEP_3)
	v_fma_f32 v2, v5, v1, -v2
	v_add_f32_e32 v1, v27, v28
	v_add_f32_e32 v17, v17, v235
	s_delay_alu instid0(VALU_DEP_2) | instskip(NEXT) | instid1(VALU_DEP_2)
	v_add_f32_e32 v1, v1, v2
	v_add_f32_e32 v22, v17, v237
	ds_load_b128 v[17:20], v161 offset:992
	v_add_f32_e32 v1, v1, v3
	v_add_f32_e32 v30, v22, v239
	ds_load_b128 v[21:24], v161 offset:1008
	s_wait_loadcnt_dscnt 0x101
	v_mul_f32_e32 v4, v20, v12
	v_add_f32_e32 v30, v30, v241
	v_dual_mul_f32 v162, v19, v12 :: v_dual_mul_f32 v161, v17, v10
	v_mul_f32_e32 v6, v18, v10
	s_delay_alu instid0(VALU_DEP_4) | instskip(NEXT) | instid1(VALU_DEP_4)
	v_fma_f32 v4, v19, v11, -v4
	v_add_f32_e32 v30, v30, v243
	s_delay_alu instid0(VALU_DEP_4) | instskip(NEXT) | instid1(VALU_DEP_2)
	v_dual_fmac_f32 v162, v20, v11 :: v_dual_fmac_f32 v161, v18, v9
	v_add_f32_e32 v30, v30, v245
	s_delay_alu instid0(VALU_DEP_1) | instskip(NEXT) | instid1(VALU_DEP_1)
	v_add_f32_e32 v30, v30, v247
	v_add_f32_e32 v25, v30, v25
	s_delay_alu instid0(VALU_DEP_1) | instskip(NEXT) | instid1(VALU_DEP_1)
	v_add_f32_e32 v5, v25, v26
	v_add_f32_e32 v2, v5, v31
	v_fma_f32 v5, v17, v9, -v6
	s_delay_alu instid0(VALU_DEP_1) | instskip(NEXT) | instid1(VALU_DEP_1)
	v_dual_add_f32 v2, v2, v32 :: v_dual_add_f32 v1, v1, v5
	v_dual_add_f32 v2, v2, v161 :: v_dual_add_f32 v1, v1, v4
	s_delay_alu instid0(VALU_DEP_1) | instskip(SKIP_4) | instid1(VALU_DEP_3)
	v_add_f32_e32 v2, v2, v162
	s_wait_loadcnt_dscnt 0x0
	v_mul_f32_e32 v166, v21, v14
	v_mul_f32_e32 v3, v22, v14
	;; [unrolled: 1-line block ×3, first 2 shown]
	v_dual_mul_f32 v5, v24, v16 :: v_dual_fmac_f32 v166, v22, v13
	s_delay_alu instid0(VALU_DEP_3) | instskip(NEXT) | instid1(VALU_DEP_3)
	v_fma_f32 v3, v21, v13, -v3
	v_fmac_f32_e32 v29, v24, v15
	s_delay_alu instid0(VALU_DEP_3) | instskip(NEXT) | instid1(VALU_DEP_3)
	v_fma_f32 v4, v23, v15, -v5
	v_dual_add_f32 v2, v2, v166 :: v_dual_add_f32 v1, v1, v3
	s_delay_alu instid0(VALU_DEP_1) | instskip(NEXT) | instid1(VALU_DEP_1)
	v_dual_add_f32 v2, v2, v29 :: v_dual_add_f32 v1, v1, v4
	v_dual_sub_f32 v2, v165, v2 :: v_dual_sub_f32 v1, v164, v1
	scratch_store_b64 off, v[1:2], off offset:24
	v_cmpx_lt_u32_e32 2, v0
	s_cbranch_execz .LBB127_393
; %bb.392:
	scratch_load_b64 v[1:2], off, off offset:16
	v_mov_b32_e32 v3, 0
	s_delay_alu instid0(VALU_DEP_1)
	v_mov_b32_e32 v4, v3
	scratch_store_b64 off, v[3:4], off offset:16
	s_wait_loadcnt 0x0
	ds_store_b64 v163, v[1:2]
.LBB127_393:
	s_wait_alu 0xfffe
	s_or_b32 exec_lo, exec_lo, s0
	s_wait_storecnt_dscnt 0x0
	s_barrier_signal -1
	s_barrier_wait -1
	global_inv scope:SCOPE_SE
	s_clause 0x4
	scratch_load_b128 v[5:8], off, off offset:24
	scratch_load_b128 v[1:4], off, off offset:40
	;; [unrolled: 1-line block ×5, first 2 shown]
	v_mov_b32_e32 v161, 0
	ds_load_2addr_b64 v[21:24], v161 offset0:67 offset1:68
	ds_load_2addr_b64 v[25:28], v161 offset0:69 offset1:70
	;; [unrolled: 1-line block ×3, first 2 shown]
	scratch_load_b64 v[164:165], off, off offset:16
	s_mov_b32 s0, exec_lo
	s_wait_loadcnt_dscnt 0x502
	v_mul_f32_e32 v162, v21, v6
	v_mul_f32_e32 v166, v23, v8
	;; [unrolled: 1-line block ×3, first 2 shown]
	s_wait_loadcnt_dscnt 0x300
	v_dual_mul_f32 v8, v24, v8 :: v_dual_mul_f32 v167, v29, v10
	v_fmac_f32_e32 v162, v22, v5
	v_mul_f32_e32 v168, v31, v12
	v_fma_f32 v21, v21, v5, -v6
	s_delay_alu instid0(VALU_DEP_4)
	v_fma_f32 v22, v23, v7, -v8
	v_dual_mul_f32 v23, v25, v2 :: v_dual_fmac_f32 v166, v24, v7
	ds_load_2addr_b64 v[5:8], v161 offset0:73 offset1:74
	v_dual_mul_f32 v24, v27, v4 :: v_dual_fmac_f32 v167, v30, v9
	v_mul_f32_e32 v2, v26, v2
	v_mul_f32_e32 v4, v28, v4
	;; [unrolled: 1-line block ×3, first 2 shown]
	s_delay_alu instid0(VALU_DEP_4) | instskip(NEXT) | instid1(VALU_DEP_4)
	v_dual_fmac_f32 v23, v26, v1 :: v_dual_fmac_f32 v24, v28, v3
	v_fma_f32 v25, v25, v1, -v2
	s_delay_alu instid0(VALU_DEP_4) | instskip(SKIP_4) | instid1(VALU_DEP_3)
	v_fma_f32 v26, v27, v3, -v4
	scratch_load_b128 v[1:4], off, off offset:104
	v_mul_f32_e32 v12, v32, v12
	v_fmac_f32_e32 v168, v32, v11
	v_fma_f32 v27, v29, v9, -v10
	v_fma_f32 v28, v31, v11, -v12
	ds_load_2addr_b64 v[9:12], v161 offset0:75 offset1:76
	s_wait_loadcnt_dscnt 0x301
	v_dual_mul_f32 v29, v5, v14 :: v_dual_mul_f32 v30, v7, v16
	v_mul_f32_e32 v14, v6, v14
	s_delay_alu instid0(VALU_DEP_2) | instskip(NEXT) | instid1(VALU_DEP_3)
	v_dual_mul_f32 v16, v8, v16 :: v_dual_fmac_f32 v29, v6, v13
	v_fmac_f32_e32 v30, v8, v15
	s_delay_alu instid0(VALU_DEP_3) | instskip(NEXT) | instid1(VALU_DEP_3)
	v_fma_f32 v13, v5, v13, -v14
	v_fma_f32 v14, v7, v15, -v16
	ds_load_2addr_b64 v[5:8], v161 offset0:77 offset1:78
	s_wait_loadcnt_dscnt 0x201
	v_dual_mul_f32 v15, v9, v18 :: v_dual_mul_f32 v16, v11, v20
	v_mul_f32_e32 v18, v10, v18
	s_delay_alu instid0(VALU_DEP_2) | instskip(NEXT) | instid1(VALU_DEP_3)
	v_dual_mul_f32 v20, v12, v20 :: v_dual_fmac_f32 v15, v10, v17
	v_fmac_f32_e32 v16, v12, v19
	s_delay_alu instid0(VALU_DEP_3) | instskip(NEXT) | instid1(VALU_DEP_3)
	v_fma_f32 v17, v9, v17, -v18
	v_fma_f32 v18, v11, v19, -v20
	scratch_load_b128 v[9:12], off, off offset:120
	s_wait_loadcnt_dscnt 0x100
	v_dual_mul_f32 v19, v5, v2 :: v_dual_mul_f32 v20, v7, v4
	v_mul_f32_e32 v2, v6, v2
	s_delay_alu instid0(VALU_DEP_2) | instskip(NEXT) | instid1(VALU_DEP_3)
	v_dual_mul_f32 v4, v8, v4 :: v_dual_fmac_f32 v19, v6, v1
	v_fmac_f32_e32 v20, v8, v3
	s_delay_alu instid0(VALU_DEP_3) | instskip(NEXT) | instid1(VALU_DEP_3)
	v_fma_f32 v31, v5, v1, -v2
	v_fma_f32 v32, v7, v3, -v4
	ds_load_2addr_b64 v[1:4], v161 offset0:79 offset1:80
	ds_load_2addr_b64 v[5:8], v161 offset0:81 offset1:82
	s_wait_loadcnt_dscnt 0x1
	v_mul_f32_e32 v169, v1, v10
	v_mul_f32_e32 v10, v2, v10
	s_delay_alu instid0(VALU_DEP_2) | instskip(NEXT) | instid1(VALU_DEP_2)
	v_dual_mul_f32 v170, v3, v12 :: v_dual_fmac_f32 v169, v2, v9
	v_fma_f32 v171, v1, v9, -v10
	v_mul_f32_e32 v1, v4, v12
	s_delay_alu instid0(VALU_DEP_3) | instskip(NEXT) | instid1(VALU_DEP_2)
	v_fmac_f32_e32 v170, v4, v11
	v_fma_f32 v172, v3, v11, -v1
	s_clause 0x1
	scratch_load_b128 v[1:4], off, off offset:136
	scratch_load_b128 v[9:12], off, off offset:152
	s_wait_loadcnt_dscnt 0x100
	v_mul_f32_e32 v173, v5, v2
	v_dual_mul_f32 v2, v6, v2 :: v_dual_mul_f32 v175, v7, v4
	s_delay_alu instid0(VALU_DEP_2) | instskip(NEXT) | instid1(VALU_DEP_2)
	v_fmac_f32_e32 v173, v6, v1
	v_fma_f32 v174, v5, v1, -v2
	v_mul_f32_e32 v1, v8, v4
	s_delay_alu instid0(VALU_DEP_4) | instskip(NEXT) | instid1(VALU_DEP_2)
	v_fmac_f32_e32 v175, v8, v3
	v_fma_f32 v176, v7, v3, -v1
	ds_load_2addr_b64 v[1:4], v161 offset0:83 offset1:84
	ds_load_2addr_b64 v[5:8], v161 offset0:85 offset1:86
	s_wait_loadcnt_dscnt 0x1
	v_mul_f32_e32 v177, v1, v10
	v_mul_f32_e32 v179, v3, v12
	s_delay_alu instid0(VALU_DEP_2) | instskip(NEXT) | instid1(VALU_DEP_2)
	v_fmac_f32_e32 v177, v2, v9
	v_dual_mul_f32 v2, v2, v10 :: v_dual_fmac_f32 v179, v4, v11
	s_delay_alu instid0(VALU_DEP_1) | instskip(SKIP_1) | instid1(VALU_DEP_1)
	v_fma_f32 v178, v1, v9, -v2
	v_mul_f32_e32 v1, v4, v12
	v_fma_f32 v180, v3, v11, -v1
	s_clause 0x1
	scratch_load_b128 v[1:4], off, off offset:168
	scratch_load_b128 v[9:12], off, off offset:184
	s_wait_loadcnt_dscnt 0x100
	v_mul_f32_e32 v181, v5, v2
	v_dual_mul_f32 v2, v6, v2 :: v_dual_mul_f32 v183, v7, v4
	s_delay_alu instid0(VALU_DEP_2) | instskip(NEXT) | instid1(VALU_DEP_2)
	v_fmac_f32_e32 v181, v6, v1
	v_fma_f32 v182, v5, v1, -v2
	v_mul_f32_e32 v1, v8, v4
	s_delay_alu instid0(VALU_DEP_4) | instskip(NEXT) | instid1(VALU_DEP_2)
	v_fmac_f32_e32 v183, v8, v3
	v_fma_f32 v184, v7, v3, -v1
	ds_load_2addr_b64 v[1:4], v161 offset0:87 offset1:88
	ds_load_2addr_b64 v[5:8], v161 offset0:89 offset1:90
	s_wait_loadcnt_dscnt 0x1
	v_mul_f32_e32 v185, v1, v10
	v_mul_f32_e32 v187, v3, v12
	s_delay_alu instid0(VALU_DEP_2) | instskip(NEXT) | instid1(VALU_DEP_2)
	v_fmac_f32_e32 v185, v2, v9
	v_dual_mul_f32 v2, v2, v10 :: v_dual_fmac_f32 v187, v4, v11
	s_delay_alu instid0(VALU_DEP_1) | instskip(SKIP_1) | instid1(VALU_DEP_1)
	v_fma_f32 v186, v1, v9, -v2
	v_mul_f32_e32 v1, v4, v12
	;; [unrolled: 25-line block ×9, first 2 shown]
	v_fma_f32 v244, v3, v11, -v1
	s_clause 0x1
	scratch_load_b128 v[1:4], off, off offset:424
	scratch_load_b128 v[9:12], off, off offset:440
	s_wait_loadcnt_dscnt 0x100
	v_mul_f32_e32 v245, v5, v2
	v_dual_mul_f32 v2, v6, v2 :: v_dual_mul_f32 v247, v7, v4
	s_delay_alu instid0(VALU_DEP_2) | instskip(NEXT) | instid1(VALU_DEP_2)
	v_fmac_f32_e32 v245, v6, v1
	v_fma_f32 v246, v5, v1, -v2
	v_dual_mul_f32 v1, v8, v4 :: v_dual_add_f32 v2, 0, v162
	s_delay_alu instid0(VALU_DEP_1) | instskip(NEXT) | instid1(VALU_DEP_2)
	v_fma_f32 v248, v7, v3, -v1
	v_dual_add_f32 v1, 0, v21 :: v_dual_add_f32 v2, v2, v166
	s_delay_alu instid0(VALU_DEP_1) | instskip(NEXT) | instid1(VALU_DEP_1)
	v_dual_add_f32 v1, v1, v22 :: v_dual_add_f32 v2, v2, v23
	v_dual_add_f32 v1, v1, v25 :: v_dual_add_f32 v2, v2, v24
	s_delay_alu instid0(VALU_DEP_1) | instskip(SKIP_2) | instid1(VALU_DEP_1)
	v_dual_add_f32 v1, v1, v26 :: v_dual_add_f32 v2, v2, v167
	scratch_load_b64 v[25:26], off, off offset:504
	v_dual_add_f32 v1, v1, v27 :: v_dual_add_f32 v2, v2, v168
	v_dual_add_f32 v1, v1, v28 :: v_dual_add_f32 v2, v2, v29
	s_delay_alu instid0(VALU_DEP_1) | instskip(NEXT) | instid1(VALU_DEP_1)
	v_dual_add_f32 v1, v1, v13 :: v_dual_add_f32 v2, v2, v30
	v_dual_add_f32 v1, v1, v14 :: v_dual_add_f32 v2, v2, v15
	s_delay_alu instid0(VALU_DEP_1) | instskip(NEXT) | instid1(VALU_DEP_1)
	;; [unrolled: 3-line block ×8, first 2 shown]
	v_dual_add_f32 v1, v1, v186 :: v_dual_add_f32 v2, v2, v187
	v_add_f32_e32 v1, v1, v188
	s_delay_alu instid0(VALU_DEP_1) | instskip(NEXT) | instid1(VALU_DEP_1)
	v_add_f32_e32 v1, v1, v190
	v_add_f32_e32 v1, v1, v192
	s_delay_alu instid0(VALU_DEP_1) | instskip(NEXT) | instid1(VALU_DEP_1)
	v_add_f32_e32 v1, v1, v194
	;; [unrolled: 3-line block ×8, first 2 shown]
	v_add_f32_e32 v6, v1, v220
	v_add_f32_e32 v2, v2, v189
	s_delay_alu instid0(VALU_DEP_2) | instskip(NEXT) | instid1(VALU_DEP_2)
	v_add_f32_e32 v6, v6, v222
	v_add_f32_e32 v2, v2, v191
	s_delay_alu instid0(VALU_DEP_2) | instskip(NEXT) | instid1(VALU_DEP_1)
	v_add_f32_e32 v13, v6, v224
	v_dual_add_f32 v2, v2, v193 :: v_dual_add_f32 v13, v13, v226
	s_delay_alu instid0(VALU_DEP_1) | instskip(NEXT) | instid1(VALU_DEP_1)
	v_dual_add_f32 v2, v2, v195 :: v_dual_add_f32 v13, v13, v228
	v_dual_add_f32 v2, v2, v197 :: v_dual_add_f32 v13, v13, v230
	s_delay_alu instid0(VALU_DEP_1) | instskip(NEXT) | instid1(VALU_DEP_2)
	v_add_f32_e32 v2, v2, v199
	v_add_f32_e32 v18, v13, v232
	s_delay_alu instid0(VALU_DEP_2) | instskip(NEXT) | instid1(VALU_DEP_2)
	v_add_f32_e32 v2, v2, v201
	v_add_f32_e32 v18, v18, v234
	s_delay_alu instid0(VALU_DEP_2) | instskip(NEXT) | instid1(VALU_DEP_2)
	;; [unrolled: 3-line block ×4, first 2 shown]
	v_add_f32_e32 v2, v2, v207
	v_dual_fmac_f32 v247, v8, v3 :: v_dual_add_f32 v18, v18, v240
	s_delay_alu instid0(VALU_DEP_2) | instskip(NEXT) | instid1(VALU_DEP_2)
	v_add_f32_e32 v2, v2, v209
	v_add_f32_e32 v27, v18, v242
	s_delay_alu instid0(VALU_DEP_2) | instskip(NEXT) | instid1(VALU_DEP_2)
	v_add_f32_e32 v2, v2, v211
	v_add_f32_e32 v162, v27, v244
	;; [unrolled: 3-line block ×4, first 2 shown]
	s_delay_alu instid0(VALU_DEP_2) | instskip(SKIP_2) | instid1(VALU_DEP_1)
	v_add_f32_e32 v5, v2, v217
	ds_load_2addr_b64 v[1:4], v161 offset0:119 offset1:120
	v_add_f32_e32 v5, v5, v219
	v_add_f32_e32 v5, v5, v221
	s_delay_alu instid0(VALU_DEP_1)
	v_add_f32_e32 v14, v5, v223
	ds_load_2addr_b64 v[5:8], v161 offset0:121 offset1:122
	s_wait_loadcnt_dscnt 0x101
	v_mul_f32_e32 v29, v1, v10
	v_mul_f32_e32 v10, v2, v10
	;; [unrolled: 1-line block ×3, first 2 shown]
	s_delay_alu instid0(VALU_DEP_3) | instskip(NEXT) | instid1(VALU_DEP_3)
	v_dual_mul_f32 v12, v4, v12 :: v_dual_fmac_f32 v29, v2, v9
	v_fma_f32 v31, v1, v9, -v10
	s_delay_alu instid0(VALU_DEP_3) | instskip(NEXT) | instid1(VALU_DEP_3)
	v_fmac_f32_e32 v30, v4, v11
	v_fma_f32 v32, v3, v11, -v12
	s_clause 0x1
	scratch_load_b128 v[1:4], off, off offset:456
	scratch_load_b128 v[9:12], off, off offset:472
	v_add_f32_e32 v31, v162, v31
	s_delay_alu instid0(VALU_DEP_1)
	v_add_f32_e32 v31, v31, v32
	s_wait_loadcnt_dscnt 0x100
	v_mul_f32_e32 v168, v7, v4
	v_mul_f32_e32 v4, v8, v4
	v_dual_add_f32 v14, v14, v225 :: v_dual_mul_f32 v167, v5, v2
	v_mul_f32_e32 v2, v6, v2
	s_delay_alu instid0(VALU_DEP_4) | instskip(NEXT) | instid1(VALU_DEP_3)
	v_fmac_f32_e32 v168, v8, v3
	v_add_f32_e32 v14, v14, v227
	s_delay_alu instid0(VALU_DEP_4) | instskip(NEXT) | instid1(VALU_DEP_4)
	v_fmac_f32_e32 v167, v6, v1
	v_fma_f32 v2, v5, v1, -v2
	v_fma_f32 v1, v7, v3, -v4
	s_delay_alu instid0(VALU_DEP_4) | instskip(SKIP_2) | instid1(VALU_DEP_1)
	v_add_f32_e32 v17, v14, v229
	scratch_load_b128 v[13:16], off, off offset:488
	v_dual_add_f32 v2, v31, v2 :: v_dual_add_f32 v17, v17, v231
	v_add_f32_e32 v1, v2, v1
	s_delay_alu instid0(VALU_DEP_2) | instskip(NEXT) | instid1(VALU_DEP_1)
	v_add_f32_e32 v17, v17, v233
	v_add_f32_e32 v17, v17, v235
	s_delay_alu instid0(VALU_DEP_1) | instskip(NEXT) | instid1(VALU_DEP_1)
	v_add_f32_e32 v17, v17, v237
	v_add_f32_e32 v21, v17, v239
	ds_load_2addr_b64 v[17:20], v161 offset0:123 offset1:124
	v_add_f32_e32 v28, v21, v241
	ds_load_2addr_b64 v[21:24], v161 offset0:125 offset1:126
	v_add_f32_e32 v166, v28, v243
	ds_load_b64 v[27:28], v161 offset:1016
	v_add_f32_e32 v166, v166, v245
	s_delay_alu instid0(VALU_DEP_1)
	v_add_f32_e32 v166, v166, v247
	s_wait_loadcnt_dscnt 0x102
	v_mul_f32_e32 v162, v17, v10
	v_mul_f32_e32 v3, v18, v10
	;; [unrolled: 1-line block ×3, first 2 shown]
	v_dual_add_f32 v29, v166, v29 :: v_dual_mul_f32 v166, v19, v12
	s_delay_alu instid0(VALU_DEP_4) | instskip(NEXT) | instid1(VALU_DEP_4)
	v_fmac_f32_e32 v162, v18, v9
	v_fma_f32 v3, v17, v9, -v3
	s_delay_alu instid0(VALU_DEP_4) | instskip(NEXT) | instid1(VALU_DEP_4)
	v_fma_f32 v5, v19, v11, -v5
	v_dual_add_f32 v29, v29, v30 :: v_dual_fmac_f32 v166, v20, v11
	s_wait_dscnt 0x0
	s_delay_alu instid0(VALU_DEP_3) | instskip(NEXT) | instid1(VALU_DEP_2)
	v_dual_mul_f32 v30, v27, v26 :: v_dual_add_f32 v1, v1, v3
	v_add_f32_e32 v4, v29, v167
	s_delay_alu instid0(VALU_DEP_2) | instskip(NEXT) | instid1(VALU_DEP_3)
	v_fmac_f32_e32 v30, v28, v25
	v_add_f32_e32 v1, v1, v5
	v_mul_f32_e32 v5, v28, v26
	s_delay_alu instid0(VALU_DEP_4) | instskip(NEXT) | instid1(VALU_DEP_1)
	v_add_f32_e32 v2, v4, v168
	v_add_f32_e32 v2, v2, v162
	s_delay_alu instid0(VALU_DEP_1)
	v_add_f32_e32 v2, v2, v166
	s_wait_loadcnt 0x0
	v_mul_f32_e32 v169, v21, v14
	v_mul_f32_e32 v4, v22, v14
	v_mul_f32_e32 v32, v23, v16
	v_mul_f32_e32 v3, v24, v16
	s_delay_alu instid0(VALU_DEP_4) | instskip(NEXT) | instid1(VALU_DEP_4)
	v_fmac_f32_e32 v169, v22, v13
	v_fma_f32 v4, v21, v13, -v4
	s_delay_alu instid0(VALU_DEP_4) | instskip(NEXT) | instid1(VALU_DEP_4)
	v_fmac_f32_e32 v32, v24, v15
	v_fma_f32 v3, v23, v15, -v3
	s_delay_alu instid0(VALU_DEP_3) | instskip(SKIP_1) | instid1(VALU_DEP_2)
	v_dual_add_f32 v2, v2, v169 :: v_dual_add_f32 v1, v1, v4
	v_fma_f32 v4, v27, v25, -v5
	v_dual_add_f32 v2, v2, v32 :: v_dual_add_f32 v1, v1, v3
	s_delay_alu instid0(VALU_DEP_1) | instskip(NEXT) | instid1(VALU_DEP_1)
	v_dual_add_f32 v2, v2, v30 :: v_dual_add_f32 v1, v1, v4
	v_dual_sub_f32 v2, v165, v2 :: v_dual_sub_f32 v1, v164, v1
	scratch_store_b64 off, v[1:2], off offset:16
	v_cmpx_lt_u32_e32 1, v0
	s_cbranch_execz .LBB127_395
; %bb.394:
	scratch_load_b64 v[1:2], off, off offset:8
	v_mov_b32_e32 v162, v161
	scratch_store_b64 off, v[161:162], off offset:8
	s_wait_loadcnt 0x0
	ds_store_b64 v163, v[1:2]
.LBB127_395:
	s_wait_alu 0xfffe
	s_or_b32 exec_lo, exec_lo, s0
	s_wait_storecnt_dscnt 0x0
	s_barrier_signal -1
	s_barrier_wait -1
	global_inv scope:SCOPE_SE
	s_clause 0x4
	scratch_load_b128 v[5:8], off, off offset:16
	scratch_load_b128 v[1:4], off, off offset:32
	;; [unrolled: 1-line block ×5, first 2 shown]
	ds_load_b128 v[21:24], v161 offset:528
	ds_load_b128 v[25:28], v161 offset:544
	;; [unrolled: 1-line block ×3, first 2 shown]
	scratch_load_b64 v[164:165], off, off offset:8
	s_mov_b32 s0, exec_lo
	s_wait_loadcnt_dscnt 0x502
	v_mul_f32_e32 v162, v21, v6
	v_mul_f32_e32 v166, v23, v8
	;; [unrolled: 1-line block ×3, first 2 shown]
	s_wait_loadcnt_dscnt 0x300
	v_dual_mul_f32 v8, v24, v8 :: v_dual_mul_f32 v167, v29, v10
	v_fmac_f32_e32 v162, v22, v5
	v_mul_f32_e32 v168, v31, v12
	v_fma_f32 v21, v21, v5, -v6
	s_delay_alu instid0(VALU_DEP_4)
	v_fma_f32 v22, v23, v7, -v8
	v_dual_mul_f32 v23, v25, v2 :: v_dual_fmac_f32 v166, v24, v7
	v_fmac_f32_e32 v167, v30, v9
	ds_load_b128 v[5:8], v161 offset:576
	v_mul_f32_e32 v24, v27, v4
	v_mul_f32_e32 v2, v26, v2
	;; [unrolled: 1-line block ×4, first 2 shown]
	s_delay_alu instid0(VALU_DEP_4) | instskip(NEXT) | instid1(VALU_DEP_4)
	v_dual_fmac_f32 v23, v26, v1 :: v_dual_fmac_f32 v24, v28, v3
	v_fma_f32 v25, v25, v1, -v2
	s_delay_alu instid0(VALU_DEP_4) | instskip(SKIP_4) | instid1(VALU_DEP_3)
	v_fma_f32 v26, v27, v3, -v4
	scratch_load_b128 v[1:4], off, off offset:96
	v_mul_f32_e32 v12, v32, v12
	v_fmac_f32_e32 v168, v32, v11
	v_fma_f32 v27, v29, v9, -v10
	v_fma_f32 v28, v31, v11, -v12
	ds_load_b128 v[9:12], v161 offset:592
	s_wait_loadcnt_dscnt 0x301
	v_dual_mul_f32 v29, v5, v14 :: v_dual_mul_f32 v30, v7, v16
	v_mul_f32_e32 v14, v6, v14
	s_delay_alu instid0(VALU_DEP_2) | instskip(NEXT) | instid1(VALU_DEP_3)
	v_dual_mul_f32 v16, v8, v16 :: v_dual_fmac_f32 v29, v6, v13
	v_fmac_f32_e32 v30, v8, v15
	s_delay_alu instid0(VALU_DEP_3) | instskip(NEXT) | instid1(VALU_DEP_3)
	v_fma_f32 v13, v5, v13, -v14
	v_fma_f32 v14, v7, v15, -v16
	ds_load_b128 v[5:8], v161 offset:608
	s_wait_loadcnt_dscnt 0x201
	v_dual_mul_f32 v15, v9, v18 :: v_dual_mul_f32 v16, v11, v20
	v_mul_f32_e32 v18, v10, v18
	s_delay_alu instid0(VALU_DEP_2) | instskip(NEXT) | instid1(VALU_DEP_3)
	v_dual_mul_f32 v20, v12, v20 :: v_dual_fmac_f32 v15, v10, v17
	v_fmac_f32_e32 v16, v12, v19
	s_delay_alu instid0(VALU_DEP_3) | instskip(NEXT) | instid1(VALU_DEP_3)
	v_fma_f32 v17, v9, v17, -v18
	v_fma_f32 v18, v11, v19, -v20
	scratch_load_b128 v[9:12], off, off offset:112
	s_wait_loadcnt_dscnt 0x100
	v_dual_mul_f32 v19, v5, v2 :: v_dual_mul_f32 v20, v7, v4
	v_mul_f32_e32 v2, v6, v2
	s_delay_alu instid0(VALU_DEP_2) | instskip(NEXT) | instid1(VALU_DEP_3)
	v_dual_mul_f32 v4, v8, v4 :: v_dual_fmac_f32 v19, v6, v1
	v_fmac_f32_e32 v20, v8, v3
	s_delay_alu instid0(VALU_DEP_3) | instskip(NEXT) | instid1(VALU_DEP_3)
	v_fma_f32 v31, v5, v1, -v2
	v_fma_f32 v32, v7, v3, -v4
	ds_load_b128 v[1:4], v161 offset:624
	ds_load_b128 v[5:8], v161 offset:640
	s_wait_loadcnt_dscnt 0x1
	v_mul_f32_e32 v169, v1, v10
	v_mul_f32_e32 v10, v2, v10
	s_delay_alu instid0(VALU_DEP_2) | instskip(NEXT) | instid1(VALU_DEP_2)
	v_dual_mul_f32 v170, v3, v12 :: v_dual_fmac_f32 v169, v2, v9
	v_fma_f32 v171, v1, v9, -v10
	v_mul_f32_e32 v1, v4, v12
	s_delay_alu instid0(VALU_DEP_3) | instskip(NEXT) | instid1(VALU_DEP_2)
	v_fmac_f32_e32 v170, v4, v11
	v_fma_f32 v172, v3, v11, -v1
	s_clause 0x1
	scratch_load_b128 v[1:4], off, off offset:128
	scratch_load_b128 v[9:12], off, off offset:144
	s_wait_loadcnt_dscnt 0x100
	v_mul_f32_e32 v173, v5, v2
	v_dual_mul_f32 v2, v6, v2 :: v_dual_mul_f32 v175, v7, v4
	s_delay_alu instid0(VALU_DEP_2) | instskip(NEXT) | instid1(VALU_DEP_2)
	v_fmac_f32_e32 v173, v6, v1
	v_fma_f32 v174, v5, v1, -v2
	v_mul_f32_e32 v1, v8, v4
	s_delay_alu instid0(VALU_DEP_4) | instskip(NEXT) | instid1(VALU_DEP_2)
	v_fmac_f32_e32 v175, v8, v3
	v_fma_f32 v176, v7, v3, -v1
	ds_load_b128 v[1:4], v161 offset:656
	ds_load_b128 v[5:8], v161 offset:672
	s_wait_loadcnt_dscnt 0x1
	v_mul_f32_e32 v177, v1, v10
	v_mul_f32_e32 v179, v3, v12
	s_delay_alu instid0(VALU_DEP_2) | instskip(NEXT) | instid1(VALU_DEP_2)
	v_fmac_f32_e32 v177, v2, v9
	v_dual_mul_f32 v2, v2, v10 :: v_dual_fmac_f32 v179, v4, v11
	s_delay_alu instid0(VALU_DEP_1) | instskip(SKIP_1) | instid1(VALU_DEP_1)
	v_fma_f32 v178, v1, v9, -v2
	v_mul_f32_e32 v1, v4, v12
	v_fma_f32 v180, v3, v11, -v1
	s_clause 0x1
	scratch_load_b128 v[1:4], off, off offset:160
	scratch_load_b128 v[9:12], off, off offset:176
	s_wait_loadcnt_dscnt 0x100
	v_mul_f32_e32 v181, v5, v2
	v_dual_mul_f32 v2, v6, v2 :: v_dual_mul_f32 v183, v7, v4
	s_delay_alu instid0(VALU_DEP_2) | instskip(NEXT) | instid1(VALU_DEP_2)
	v_fmac_f32_e32 v181, v6, v1
	v_fma_f32 v182, v5, v1, -v2
	v_mul_f32_e32 v1, v8, v4
	s_delay_alu instid0(VALU_DEP_4) | instskip(NEXT) | instid1(VALU_DEP_2)
	v_fmac_f32_e32 v183, v8, v3
	v_fma_f32 v184, v7, v3, -v1
	ds_load_b128 v[1:4], v161 offset:688
	ds_load_b128 v[5:8], v161 offset:704
	s_wait_loadcnt_dscnt 0x1
	v_mul_f32_e32 v185, v1, v10
	v_mul_f32_e32 v187, v3, v12
	s_delay_alu instid0(VALU_DEP_2) | instskip(NEXT) | instid1(VALU_DEP_2)
	v_fmac_f32_e32 v185, v2, v9
	v_dual_mul_f32 v2, v2, v10 :: v_dual_fmac_f32 v187, v4, v11
	s_delay_alu instid0(VALU_DEP_1) | instskip(SKIP_1) | instid1(VALU_DEP_1)
	v_fma_f32 v186, v1, v9, -v2
	v_mul_f32_e32 v1, v4, v12
	v_fma_f32 v188, v3, v11, -v1
	s_clause 0x1
	scratch_load_b128 v[1:4], off, off offset:192
	scratch_load_b128 v[9:12], off, off offset:208
	s_wait_loadcnt_dscnt 0x100
	v_mul_f32_e32 v189, v5, v2
	v_dual_mul_f32 v191, v7, v4 :: v_dual_mul_f32 v2, v6, v2
	s_delay_alu instid0(VALU_DEP_2) | instskip(NEXT) | instid1(VALU_DEP_2)
	v_fmac_f32_e32 v189, v6, v1
	v_fmac_f32_e32 v191, v8, v3
	s_delay_alu instid0(VALU_DEP_3) | instskip(SKIP_1) | instid1(VALU_DEP_1)
	v_fma_f32 v190, v5, v1, -v2
	v_mul_f32_e32 v1, v8, v4
	v_fma_f32 v192, v7, v3, -v1
	ds_load_b128 v[1:4], v161 offset:720
	ds_load_b128 v[5:8], v161 offset:736
	s_wait_loadcnt_dscnt 0x1
	v_mul_f32_e32 v193, v1, v10
	v_mul_f32_e32 v195, v3, v12
	s_delay_alu instid0(VALU_DEP_2) | instskip(NEXT) | instid1(VALU_DEP_2)
	v_fmac_f32_e32 v193, v2, v9
	v_dual_mul_f32 v2, v2, v10 :: v_dual_fmac_f32 v195, v4, v11
	s_delay_alu instid0(VALU_DEP_1) | instskip(SKIP_1) | instid1(VALU_DEP_1)
	v_fma_f32 v194, v1, v9, -v2
	v_mul_f32_e32 v1, v4, v12
	v_fma_f32 v196, v3, v11, -v1
	s_clause 0x1
	scratch_load_b128 v[1:4], off, off offset:224
	scratch_load_b128 v[9:12], off, off offset:240
	s_wait_loadcnt_dscnt 0x100
	v_mul_f32_e32 v197, v5, v2
	v_dual_mul_f32 v2, v6, v2 :: v_dual_mul_f32 v199, v7, v4
	s_delay_alu instid0(VALU_DEP_2) | instskip(NEXT) | instid1(VALU_DEP_2)
	v_fmac_f32_e32 v197, v6, v1
	v_fma_f32 v198, v5, v1, -v2
	v_mul_f32_e32 v1, v8, v4
	s_delay_alu instid0(VALU_DEP_4) | instskip(NEXT) | instid1(VALU_DEP_2)
	v_fmac_f32_e32 v199, v8, v3
	v_fma_f32 v200, v7, v3, -v1
	ds_load_b128 v[1:4], v161 offset:752
	ds_load_b128 v[5:8], v161 offset:768
	s_wait_loadcnt_dscnt 0x1
	v_mul_f32_e32 v201, v1, v10
	v_mul_f32_e32 v203, v3, v12
	s_delay_alu instid0(VALU_DEP_2) | instskip(NEXT) | instid1(VALU_DEP_2)
	v_fmac_f32_e32 v201, v2, v9
	v_dual_mul_f32 v2, v2, v10 :: v_dual_fmac_f32 v203, v4, v11
	s_delay_alu instid0(VALU_DEP_1) | instskip(SKIP_1) | instid1(VALU_DEP_1)
	v_fma_f32 v202, v1, v9, -v2
	v_mul_f32_e32 v1, v4, v12
	v_fma_f32 v204, v3, v11, -v1
	s_clause 0x1
	scratch_load_b128 v[1:4], off, off offset:256
	scratch_load_b128 v[9:12], off, off offset:272
	s_wait_loadcnt_dscnt 0x100
	v_mul_f32_e32 v205, v5, v2
	v_dual_mul_f32 v2, v6, v2 :: v_dual_mul_f32 v207, v7, v4
	s_delay_alu instid0(VALU_DEP_2) | instskip(NEXT) | instid1(VALU_DEP_2)
	v_fmac_f32_e32 v205, v6, v1
	v_fma_f32 v206, v5, v1, -v2
	v_mul_f32_e32 v1, v8, v4
	s_delay_alu instid0(VALU_DEP_4) | instskip(NEXT) | instid1(VALU_DEP_2)
	v_fmac_f32_e32 v207, v8, v3
	;; [unrolled: 25-line block ×6, first 2 shown]
	v_fma_f32 v240, v7, v3, -v1
	ds_load_b128 v[1:4], v161 offset:912
	ds_load_b128 v[5:8], v161 offset:928
	s_wait_loadcnt_dscnt 0x1
	v_mul_f32_e32 v241, v1, v10
	v_mul_f32_e32 v243, v3, v12
	s_delay_alu instid0(VALU_DEP_2) | instskip(NEXT) | instid1(VALU_DEP_2)
	v_fmac_f32_e32 v241, v2, v9
	v_dual_mul_f32 v2, v2, v10 :: v_dual_fmac_f32 v243, v4, v11
	s_delay_alu instid0(VALU_DEP_1) | instskip(SKIP_1) | instid1(VALU_DEP_1)
	v_fma_f32 v242, v1, v9, -v2
	v_mul_f32_e32 v1, v4, v12
	v_fma_f32 v244, v3, v11, -v1
	s_clause 0x1
	scratch_load_b128 v[1:4], off, off offset:416
	scratch_load_b128 v[9:12], off, off offset:432
	s_wait_loadcnt_dscnt 0x100
	v_mul_f32_e32 v245, v5, v2
	v_mul_f32_e32 v2, v6, v2
	s_delay_alu instid0(VALU_DEP_2) | instskip(NEXT) | instid1(VALU_DEP_2)
	v_fmac_f32_e32 v245, v6, v1
	v_fma_f32 v246, v5, v1, -v2
	v_dual_mul_f32 v1, v8, v4 :: v_dual_add_f32 v2, 0, v162
	s_delay_alu instid0(VALU_DEP_1) | instskip(NEXT) | instid1(VALU_DEP_2)
	v_fma_f32 v248, v7, v3, -v1
	v_dual_add_f32 v1, 0, v21 :: v_dual_add_f32 v2, v2, v166
	s_delay_alu instid0(VALU_DEP_1) | instskip(NEXT) | instid1(VALU_DEP_1)
	v_dual_add_f32 v1, v1, v22 :: v_dual_add_f32 v2, v2, v23
	v_dual_add_f32 v1, v1, v25 :: v_dual_add_f32 v2, v2, v24
	s_delay_alu instid0(VALU_DEP_1) | instskip(NEXT) | instid1(VALU_DEP_1)
	v_dual_add_f32 v1, v1, v26 :: v_dual_add_f32 v2, v2, v167
	;; [unrolled: 3-line block ×10, first 2 shown]
	v_dual_add_f32 v1, v1, v186 :: v_dual_add_f32 v2, v2, v187
	s_delay_alu instid0(VALU_DEP_1) | instskip(NEXT) | instid1(VALU_DEP_1)
	v_add_f32_e32 v1, v1, v188
	v_add_f32_e32 v1, v1, v190
	s_delay_alu instid0(VALU_DEP_1) | instskip(NEXT) | instid1(VALU_DEP_1)
	v_add_f32_e32 v1, v1, v192
	v_add_f32_e32 v1, v1, v194
	;; [unrolled: 3-line block ×9, first 2 shown]
	v_add_f32_e32 v2, v2, v189
	s_delay_alu instid0(VALU_DEP_2) | instskip(NEXT) | instid1(VALU_DEP_2)
	v_add_f32_e32 v14, v6, v224
	v_add_f32_e32 v2, v2, v191
	s_delay_alu instid0(VALU_DEP_2) | instskip(NEXT) | instid1(VALU_DEP_2)
	v_add_f32_e32 v14, v14, v226
	v_add_f32_e32 v2, v2, v193
	s_delay_alu instid0(VALU_DEP_2) | instskip(NEXT) | instid1(VALU_DEP_1)
	v_add_f32_e32 v17, v14, v228
	v_dual_add_f32 v2, v2, v195 :: v_dual_add_f32 v17, v17, v230
	s_delay_alu instid0(VALU_DEP_1) | instskip(NEXT) | instid1(VALU_DEP_1)
	v_dual_add_f32 v2, v2, v197 :: v_dual_add_f32 v17, v17, v232
	v_dual_add_f32 v2, v2, v199 :: v_dual_add_f32 v17, v17, v234
	s_delay_alu instid0(VALU_DEP_1) | instskip(NEXT) | instid1(VALU_DEP_2)
	v_add_f32_e32 v2, v2, v201
	v_add_f32_e32 v22, v17, v236
	s_delay_alu instid0(VALU_DEP_2) | instskip(NEXT) | instid1(VALU_DEP_2)
	v_dual_add_f32 v2, v2, v203 :: v_dual_mul_f32 v247, v7, v4
	v_add_f32_e32 v22, v22, v238
	s_delay_alu instid0(VALU_DEP_2) | instskip(NEXT) | instid1(VALU_DEP_2)
	v_dual_add_f32 v2, v2, v205 :: v_dual_fmac_f32 v247, v8, v3
	v_add_f32_e32 v22, v22, v240
	s_delay_alu instid0(VALU_DEP_2) | instskip(NEXT) | instid1(VALU_DEP_1)
	v_add_f32_e32 v2, v2, v207
	v_add_f32_e32 v2, v2, v209
	s_delay_alu instid0(VALU_DEP_1) | instskip(NEXT) | instid1(VALU_DEP_1)
	v_add_f32_e32 v2, v2, v211
	v_add_f32_e32 v2, v2, v213
	s_delay_alu instid0(VALU_DEP_1) | instskip(NEXT) | instid1(VALU_DEP_1)
	v_add_f32_e32 v2, v2, v215
	v_add_f32_e32 v2, v2, v217
	s_delay_alu instid0(VALU_DEP_1) | instskip(SKIP_4) | instid1(VALU_DEP_1)
	v_add_f32_e32 v5, v2, v219
	ds_load_b128 v[1:4], v161 offset:944
	v_add_f32_e32 v13, v5, v221
	scratch_load_b128 v[5:8], off, off offset:448
	v_add_f32_e32 v13, v13, v223
	v_add_f32_e32 v13, v13, v225
	s_delay_alu instid0(VALU_DEP_1)
	v_add_f32_e32 v18, v13, v227
	ds_load_b128 v[13:16], v161 offset:960
	s_wait_loadcnt_dscnt 0x101
	v_mul_f32_e32 v25, v1, v10
	v_mul_f32_e32 v10, v2, v10
	v_mul_f32_e32 v26, v3, v12
	v_add_f32_e32 v18, v18, v229
	s_delay_alu instid0(VALU_DEP_4) | instskip(NEXT) | instid1(VALU_DEP_4)
	v_dual_mul_f32 v12, v4, v12 :: v_dual_fmac_f32 v25, v2, v9
	v_fma_f32 v27, v1, v9, -v10
	s_delay_alu instid0(VALU_DEP_4) | instskip(NEXT) | instid1(VALU_DEP_4)
	v_fmac_f32_e32 v26, v4, v11
	v_add_f32_e32 v18, v18, v231
	s_delay_alu instid0(VALU_DEP_4)
	v_fma_f32 v28, v3, v11, -v12
	s_clause 0x1
	scratch_load_b128 v[9:12], off, off offset:480
	scratch_load_b128 v[1:4], off, off offset:464
	v_add_f32_e32 v21, v18, v233
	scratch_load_b128 v[17:20], off, off offset:496
	v_add_f32_e32 v21, v21, v235
	s_delay_alu instid0(VALU_DEP_1) | instskip(SKIP_4) | instid1(VALU_DEP_3)
	v_add_f32_e32 v21, v21, v237
	s_wait_loadcnt_dscnt 0x300
	v_mul_f32_e32 v29, v13, v6
	v_mul_f32_e32 v6, v14, v6
	v_mul_f32_e32 v30, v15, v8
	v_dual_mul_f32 v8, v16, v8 :: v_dual_fmac_f32 v29, v14, v5
	s_delay_alu instid0(VALU_DEP_3) | instskip(SKIP_1) | instid1(VALU_DEP_4)
	v_fma_f32 v31, v13, v5, -v6
	v_add_f32_e32 v13, v21, v239
	v_dual_add_f32 v21, v22, v242 :: v_dual_fmac_f32 v30, v16, v7
	s_delay_alu instid0(VALU_DEP_4)
	v_fma_f32 v32, v15, v7, -v8
	ds_load_b128 v[5:8], v161 offset:976
	v_add_f32_e32 v22, v13, v241
	v_add_f32_e32 v162, v21, v244
	ds_load_b128 v[13:16], v161 offset:992
	v_add_f32_e32 v166, v22, v243
	ds_load_b128 v[21:24], v161 offset:1008
	v_add_f32_e32 v161, v162, v246
	s_delay_alu instid0(VALU_DEP_1) | instskip(NEXT) | instid1(VALU_DEP_1)
	v_add_f32_e32 v161, v161, v248
	v_add_f32_e32 v27, v161, v27
	s_wait_loadcnt_dscnt 0x102
	v_mul_f32_e32 v161, v7, v4
	v_mul_f32_e32 v4, v8, v4
	s_delay_alu instid0(VALU_DEP_3)
	v_add_f32_e32 v27, v27, v28
	s_wait_dscnt 0x1
	v_mul_f32_e32 v167, v15, v12
	v_fmac_f32_e32 v161, v8, v3
	v_fma_f32 v3, v7, v3, -v4
	s_wait_loadcnt_dscnt 0x0
	v_mul_f32_e32 v28, v23, v20
	v_add_f32_e32 v162, v166, v245
	v_mul_f32_e32 v166, v5, v2
	v_dual_mul_f32 v2, v6, v2 :: v_dual_add_f32 v27, v27, v31
	v_mul_f32_e32 v4, v16, v12
	s_delay_alu instid0(VALU_DEP_4) | instskip(NEXT) | instid1(VALU_DEP_4)
	v_add_f32_e32 v162, v162, v247
	v_fmac_f32_e32 v166, v6, v1
	s_delay_alu instid0(VALU_DEP_4) | instskip(SKIP_1) | instid1(VALU_DEP_4)
	v_fma_f32 v2, v5, v1, -v2
	v_dual_add_f32 v1, v27, v32 :: v_dual_mul_f32 v6, v14, v10
	v_dual_add_f32 v25, v162, v25 :: v_dual_mul_f32 v162, v13, v10
	v_fmac_f32_e32 v167, v16, v11
	s_delay_alu instid0(VALU_DEP_3) | instskip(SKIP_1) | instid1(VALU_DEP_4)
	v_add_f32_e32 v1, v1, v2
	v_fma_f32 v4, v15, v11, -v4
	v_dual_add_f32 v25, v25, v26 :: v_dual_fmac_f32 v162, v14, v9
	v_mul_f32_e32 v26, v21, v18
	s_delay_alu instid0(VALU_DEP_4) | instskip(SKIP_1) | instid1(VALU_DEP_4)
	v_add_f32_e32 v1, v1, v3
	v_mul_f32_e32 v3, v22, v18
	v_dual_add_f32 v25, v25, v29 :: v_dual_fmac_f32 v28, v24, v19
	s_delay_alu instid0(VALU_DEP_4) | instskip(NEXT) | instid1(VALU_DEP_3)
	v_fmac_f32_e32 v26, v22, v17
	v_fma_f32 v3, v21, v17, -v3
	s_delay_alu instid0(VALU_DEP_3) | instskip(NEXT) | instid1(VALU_DEP_1)
	v_add_f32_e32 v5, v25, v30
	v_add_f32_e32 v2, v5, v166
	v_fma_f32 v5, v13, v9, -v6
	s_delay_alu instid0(VALU_DEP_2) | instskip(NEXT) | instid1(VALU_DEP_2)
	v_add_f32_e32 v2, v2, v161
	v_add_f32_e32 v1, v1, v5
	s_delay_alu instid0(VALU_DEP_2) | instskip(NEXT) | instid1(VALU_DEP_2)
	v_dual_mul_f32 v5, v24, v20 :: v_dual_add_f32 v2, v2, v162
	v_add_f32_e32 v1, v1, v4
	s_delay_alu instid0(VALU_DEP_2) | instskip(NEXT) | instid1(VALU_DEP_3)
	v_fma_f32 v4, v23, v19, -v5
	v_add_f32_e32 v2, v2, v167
	s_delay_alu instid0(VALU_DEP_1) | instskip(NEXT) | instid1(VALU_DEP_1)
	v_dual_add_f32 v1, v1, v3 :: v_dual_add_f32 v2, v2, v26
	v_add_f32_e32 v1, v1, v4
	s_delay_alu instid0(VALU_DEP_1) | instskip(NEXT) | instid1(VALU_DEP_1)
	v_dual_add_f32 v2, v2, v28 :: v_dual_sub_f32 v1, v164, v1
	v_sub_f32_e32 v2, v165, v2
	scratch_store_b64 off, v[1:2], off offset:8
	v_cmpx_ne_u32_e32 0, v0
	s_cbranch_execz .LBB127_397
; %bb.396:
	scratch_load_b64 v[0:1], off, off
	v_mov_b32_e32 v2, 0
	s_delay_alu instid0(VALU_DEP_1)
	v_mov_b32_e32 v3, v2
	scratch_store_b64 off, v[2:3], off
	s_wait_loadcnt 0x0
	ds_store_b64 v163, v[0:1]
.LBB127_397:
	s_wait_alu 0xfffe
	s_or_b32 exec_lo, exec_lo, s0
	s_wait_storecnt_dscnt 0x0
	s_barrier_signal -1
	s_barrier_wait -1
	global_inv scope:SCOPE_SE
	s_clause 0x6
	scratch_load_b128 v[0:3], off, off offset:8
	scratch_load_b128 v[4:7], off, off offset:24
	;; [unrolled: 1-line block ×7, first 2 shown]
	v_mov_b32_e32 v32, 0
	scratch_load_b64 v[165:166], off, off
	s_and_b32 vcc_lo, exec_lo, s12
	ds_load_2addr_b64 v[28:31], v32 offset0:65 offset1:66
	ds_load_2addr_b64 v[161:164], v32 offset0:67 offset1:68
	s_wait_loadcnt_dscnt 0x701
	v_dual_mul_f32 v167, v28, v1 :: v_dual_mul_f32 v168, v30, v3
	v_mul_f32_e32 v1, v29, v1
	v_mul_f32_e32 v3, v31, v3
	s_delay_alu instid0(VALU_DEP_3) | instskip(NEXT) | instid1(VALU_DEP_3)
	v_dual_fmac_f32 v167, v29, v0 :: v_dual_fmac_f32 v168, v31, v2
	v_fma_f32 v28, v28, v0, -v1
	s_delay_alu instid0(VALU_DEP_3) | instskip(SKIP_4) | instid1(VALU_DEP_2)
	v_fma_f32 v29, v30, v2, -v3
	ds_load_2addr_b64 v[0:3], v32 offset0:69 offset1:70
	s_wait_loadcnt_dscnt 0x601
	v_dual_mul_f32 v30, v161, v5 :: v_dual_mul_f32 v31, v163, v7
	v_mul_f32_e32 v5, v162, v5
	v_dual_mul_f32 v7, v164, v7 :: v_dual_fmac_f32 v30, v162, v4
	s_delay_alu instid0(VALU_DEP_3) | instskip(NEXT) | instid1(VALU_DEP_3)
	v_fmac_f32_e32 v31, v164, v6
	v_fma_f32 v161, v161, v4, -v5
	s_delay_alu instid0(VALU_DEP_3) | instskip(SKIP_4) | instid1(VALU_DEP_2)
	v_fma_f32 v162, v163, v6, -v7
	ds_load_2addr_b64 v[4:7], v32 offset0:71 offset1:72
	s_wait_loadcnt_dscnt 0x501
	v_dual_mul_f32 v163, v0, v9 :: v_dual_mul_f32 v164, v2, v11
	v_mul_f32_e32 v11, v3, v11
	v_fmac_f32_e32 v164, v3, v10
	s_delay_alu instid0(VALU_DEP_2) | instskip(SKIP_2) | instid1(VALU_DEP_1)
	v_fma_f32 v170, v2, v10, -v11
	s_wait_loadcnt_dscnt 0x400
	v_dual_mul_f32 v172, v6, v15 :: v_dual_mul_f32 v9, v1, v9
	v_dual_fmac_f32 v163, v1, v8 :: v_dual_fmac_f32 v172, v7, v14
	s_delay_alu instid0(VALU_DEP_2) | instskip(SKIP_3) | instid1(VALU_DEP_2)
	v_fma_f32 v169, v0, v8, -v9
	ds_load_2addr_b64 v[0:3], v32 offset0:73 offset1:74
	v_mul_f32_e32 v171, v4, v13
	v_dual_mul_f32 v8, v5, v13 :: v_dual_mul_f32 v9, v7, v15
	v_fmac_f32_e32 v171, v5, v12
	s_delay_alu instid0(VALU_DEP_2) | instskip(NEXT) | instid1(VALU_DEP_3)
	v_fma_f32 v12, v4, v12, -v8
	v_fma_f32 v13, v6, v14, -v9
	ds_load_2addr_b64 v[4:7], v32 offset0:75 offset1:76
	s_wait_loadcnt_dscnt 0x301
	v_dual_mul_f32 v14, v0, v17 :: v_dual_mul_f32 v15, v2, v19
	v_dual_mul_f32 v8, v1, v17 :: v_dual_mul_f32 v9, v3, v19
	s_delay_alu instid0(VALU_DEP_2) | instskip(NEXT) | instid1(VALU_DEP_2)
	v_fmac_f32_e32 v14, v1, v16
	v_fma_f32 v16, v0, v16, -v8
	s_delay_alu instid0(VALU_DEP_3) | instskip(SKIP_4) | instid1(VALU_DEP_1)
	v_fma_f32 v17, v2, v18, -v9
	s_wait_loadcnt_dscnt 0x200
	v_dual_mul_f32 v8, v5, v21 :: v_dual_fmac_f32 v15, v3, v18
	ds_load_2addr_b64 v[0:3], v32 offset0:77 offset1:78
	v_dual_mul_f32 v18, v4, v21 :: v_dual_mul_f32 v19, v6, v23
	v_dual_mul_f32 v9, v7, v23 :: v_dual_fmac_f32 v18, v5, v20
	s_delay_alu instid0(VALU_DEP_2) | instskip(SKIP_1) | instid1(VALU_DEP_3)
	v_fmac_f32_e32 v19, v7, v22
	v_fma_f32 v20, v4, v20, -v8
	v_fma_f32 v21, v6, v22, -v9
	ds_load_2addr_b64 v[4:7], v32 offset0:79 offset1:80
	s_wait_loadcnt_dscnt 0x101
	v_dual_mul_f32 v22, v0, v25 :: v_dual_mul_f32 v23, v2, v27
	v_dual_mul_f32 v8, v1, v25 :: v_dual_mul_f32 v9, v3, v27
	s_delay_alu instid0(VALU_DEP_2) | instskip(NEXT) | instid1(VALU_DEP_2)
	v_dual_fmac_f32 v22, v1, v24 :: v_dual_fmac_f32 v23, v3, v26
	v_fma_f32 v24, v0, v24, -v8
	s_delay_alu instid0(VALU_DEP_3)
	v_fma_f32 v25, v2, v26, -v9
	s_clause 0x1
	scratch_load_b128 v[0:3], off, off offset:120
	scratch_load_b128 v[8:11], off, off offset:136
	s_wait_loadcnt_dscnt 0x100
	v_mul_f32_e32 v26, v5, v1
	v_mul_f32_e32 v27, v4, v1
	;; [unrolled: 1-line block ×3, first 2 shown]
	s_delay_alu instid0(VALU_DEP_3) | instskip(NEXT) | instid1(VALU_DEP_3)
	v_fma_f32 v26, v4, v0, -v26
	v_dual_fmac_f32 v27, v5, v0 :: v_dual_mul_f32 v0, v7, v3
	s_delay_alu instid0(VALU_DEP_3) | instskip(NEXT) | instid1(VALU_DEP_2)
	v_fmac_f32_e32 v173, v7, v2
	v_fma_f32 v174, v6, v2, -v0
	ds_load_2addr_b64 v[0:3], v32 offset0:81 offset1:82
	ds_load_2addr_b64 v[4:7], v32 offset0:83 offset1:84
	s_wait_loadcnt_dscnt 0x1
	v_mul_f32_e32 v175, v0, v9
	v_mul_f32_e32 v177, v2, v11
	s_delay_alu instid0(VALU_DEP_2) | instskip(SKIP_1) | instid1(VALU_DEP_3)
	v_fmac_f32_e32 v175, v1, v8
	v_mul_f32_e32 v1, v1, v9
	v_fmac_f32_e32 v177, v3, v10
	s_delay_alu instid0(VALU_DEP_2) | instskip(SKIP_1) | instid1(VALU_DEP_1)
	v_fma_f32 v176, v0, v8, -v1
	v_mul_f32_e32 v0, v3, v11
	v_fma_f32 v178, v2, v10, -v0
	s_clause 0x1
	scratch_load_b128 v[0:3], off, off offset:152
	scratch_load_b128 v[8:11], off, off offset:168
	s_wait_loadcnt_dscnt 0x100
	v_mul_f32_e32 v179, v4, v1
	v_mul_f32_e32 v1, v5, v1
	v_mul_f32_e32 v181, v6, v3
	s_delay_alu instid0(VALU_DEP_3) | instskip(NEXT) | instid1(VALU_DEP_3)
	v_fmac_f32_e32 v179, v5, v0
	v_fma_f32 v180, v4, v0, -v1
	v_mul_f32_e32 v0, v7, v3
	s_delay_alu instid0(VALU_DEP_4) | instskip(NEXT) | instid1(VALU_DEP_2)
	v_fmac_f32_e32 v181, v7, v2
	v_fma_f32 v182, v6, v2, -v0
	ds_load_2addr_b64 v[0:3], v32 offset0:85 offset1:86
	ds_load_2addr_b64 v[4:7], v32 offset0:87 offset1:88
	s_wait_loadcnt_dscnt 0x1
	v_mul_f32_e32 v183, v0, v9
	v_mul_f32_e32 v185, v2, v11
	s_delay_alu instid0(VALU_DEP_2) | instskip(SKIP_1) | instid1(VALU_DEP_3)
	v_fmac_f32_e32 v183, v1, v8
	v_mul_f32_e32 v1, v1, v9
	v_fmac_f32_e32 v185, v3, v10
	s_delay_alu instid0(VALU_DEP_2) | instskip(SKIP_1) | instid1(VALU_DEP_1)
	v_fma_f32 v184, v0, v8, -v1
	v_mul_f32_e32 v0, v3, v11
	v_fma_f32 v186, v2, v10, -v0
	s_clause 0x1
	scratch_load_b128 v[0:3], off, off offset:184
	scratch_load_b128 v[8:11], off, off offset:200
	s_wait_loadcnt_dscnt 0x100
	v_mul_f32_e32 v187, v4, v1
	v_mul_f32_e32 v1, v5, v1
	v_mul_f32_e32 v189, v6, v3
	s_delay_alu instid0(VALU_DEP_3) | instskip(NEXT) | instid1(VALU_DEP_3)
	v_fmac_f32_e32 v187, v5, v0
	v_fma_f32 v188, v4, v0, -v1
	v_mul_f32_e32 v0, v7, v3
	s_delay_alu instid0(VALU_DEP_4) | instskip(NEXT) | instid1(VALU_DEP_2)
	;; [unrolled: 27-line block ×8, first 2 shown]
	v_fmac_f32_e32 v237, v7, v2
	v_fma_f32 v238, v6, v2, -v0
	ds_load_2addr_b64 v[0:3], v32 offset0:113 offset1:114
	ds_load_2addr_b64 v[4:7], v32 offset0:115 offset1:116
	s_wait_loadcnt_dscnt 0x1
	v_mul_f32_e32 v239, v0, v9
	v_mul_f32_e32 v241, v2, v11
	s_delay_alu instid0(VALU_DEP_2) | instskip(SKIP_1) | instid1(VALU_DEP_3)
	v_fmac_f32_e32 v239, v1, v8
	v_mul_f32_e32 v1, v1, v9
	v_fmac_f32_e32 v241, v3, v10
	s_delay_alu instid0(VALU_DEP_2) | instskip(SKIP_1) | instid1(VALU_DEP_1)
	v_fma_f32 v240, v0, v8, -v1
	v_mul_f32_e32 v0, v3, v11
	v_fma_f32 v242, v2, v10, -v0
	s_clause 0x1
	scratch_load_b128 v[0:3], off, off offset:408
	scratch_load_b128 v[8:11], off, off offset:424
	s_wait_loadcnt_dscnt 0x100
	v_mul_f32_e32 v243, v4, v1
	v_mul_f32_e32 v1, v5, v1
	;; [unrolled: 1-line block ×3, first 2 shown]
	s_delay_alu instid0(VALU_DEP_3) | instskip(NEXT) | instid1(VALU_DEP_3)
	v_fmac_f32_e32 v243, v5, v0
	v_fma_f32 v244, v4, v0, -v1
	v_mul_f32_e32 v0, v7, v3
	v_add_f32_e32 v1, 0, v167
	v_fmac_f32_e32 v245, v7, v2
	s_delay_alu instid0(VALU_DEP_3) | instskip(SKIP_1) | instid1(VALU_DEP_1)
	v_fma_f32 v246, v6, v2, -v0
	v_add_f32_e32 v0, 0, v28
	v_dual_add_f32 v1, v1, v168 :: v_dual_add_f32 v0, v0, v29
	s_delay_alu instid0(VALU_DEP_1) | instskip(NEXT) | instid1(VALU_DEP_1)
	v_dual_add_f32 v1, v1, v30 :: v_dual_add_f32 v0, v0, v161
	v_dual_add_f32 v1, v1, v31 :: v_dual_add_f32 v0, v0, v162
	s_delay_alu instid0(VALU_DEP_1) | instskip(NEXT) | instid1(VALU_DEP_1)
	v_dual_add_f32 v1, v1, v163 :: v_dual_add_f32 v0, v0, v169
	;; [unrolled: 3-line block ×6, first 2 shown]
	v_dual_add_f32 v1, v1, v23 :: v_dual_add_f32 v0, v0, v25
	s_delay_alu instid0(VALU_DEP_1) | instskip(SKIP_2) | instid1(VALU_DEP_1)
	v_add_f32_e32 v1, v1, v27
	scratch_load_b64 v[24:25], off, off offset:504
	v_dual_add_f32 v0, v0, v26 :: v_dual_add_f32 v1, v1, v173
	v_dual_add_f32 v0, v0, v174 :: v_dual_add_f32 v1, v1, v175
	s_delay_alu instid0(VALU_DEP_1) | instskip(NEXT) | instid1(VALU_DEP_1)
	v_dual_add_f32 v0, v0, v176 :: v_dual_add_f32 v1, v1, v177
	v_dual_add_f32 v0, v0, v178 :: v_dual_add_f32 v1, v1, v179
	s_delay_alu instid0(VALU_DEP_1) | instskip(NEXT) | instid1(VALU_DEP_1)
	;; [unrolled: 3-line block ×10, first 2 shown]
	v_dual_add_f32 v0, v0, v212 :: v_dual_add_f32 v1, v1, v213
	v_add_f32_e32 v0, v0, v214
	s_delay_alu instid0(VALU_DEP_2) | instskip(NEXT) | instid1(VALU_DEP_2)
	v_add_f32_e32 v4, v1, v215
	v_add_f32_e32 v0, v0, v216
	s_delay_alu instid0(VALU_DEP_2) | instskip(NEXT) | instid1(VALU_DEP_2)
	v_add_f32_e32 v12, v4, v217
	v_add_f32_e32 v5, v0, v218
	scratch_load_b128 v[0:3], off, off offset:440
	v_dual_add_f32 v12, v12, v219 :: v_dual_add_f32 v13, v5, v220
	ds_load_2addr_b64 v[4:7], v32 offset0:117 offset1:118
	v_add_f32_e32 v13, v13, v222
	s_delay_alu instid0(VALU_DEP_1) | instskip(NEXT) | instid1(VALU_DEP_1)
	v_add_f32_e32 v16, v13, v224
	v_add_f32_e32 v16, v16, v226
	s_delay_alu instid0(VALU_DEP_1) | instskip(SKIP_1) | instid1(VALU_DEP_2)
	v_add_f32_e32 v16, v16, v228
	v_add_f32_e32 v12, v12, v221
	;; [unrolled: 1-line block ×3, first 2 shown]
	s_delay_alu instid0(VALU_DEP_2)
	v_add_f32_e32 v17, v12, v223
	ds_load_2addr_b64 v[12:15], v32 offset0:119 offset1:120
	s_wait_loadcnt_dscnt 0x201
	v_mul_f32_e32 v28, v4, v9
	v_mul_f32_e32 v9, v5, v9
	;; [unrolled: 1-line block ×4, first 2 shown]
	v_add_f32_e32 v17, v17, v225
	v_fmac_f32_e32 v28, v5, v8
	v_fma_f32 v30, v4, v8, -v9
	v_fmac_f32_e32 v29, v7, v10
	v_fma_f32 v31, v6, v10, -v11
	s_clause 0x1
	scratch_load_b128 v[4:7], off, off offset:456
	scratch_load_b128 v[8:11], off, off offset:472
	v_add_f32_e32 v17, v17, v227
	s_delay_alu instid0(VALU_DEP_1) | instskip(SKIP_2) | instid1(VALU_DEP_1)
	v_dual_add_f32 v21, v16, v232 :: v_dual_add_f32 v20, v17, v229
	scratch_load_b128 v[16:19], off, off offset:488
	v_dual_add_f32 v21, v21, v234 :: v_dual_add_f32 v20, v20, v231
	v_add_f32_e32 v21, v21, v236
	s_delay_alu instid0(VALU_DEP_1) | instskip(SKIP_4) | instid1(VALU_DEP_3)
	v_add_f32_e32 v21, v21, v238
	s_wait_loadcnt_dscnt 0x300
	v_mul_f32_e32 v161, v12, v1
	v_dual_mul_f32 v1, v13, v1 :: v_dual_mul_f32 v162, v14, v3
	v_mul_f32_e32 v3, v15, v3
	v_fmac_f32_e32 v161, v13, v0
	v_add_f32_e32 v13, v21, v240
	s_delay_alu instid0(VALU_DEP_4) | instskip(SKIP_4) | instid1(VALU_DEP_1)
	v_fma_f32 v163, v12, v0, -v1
	v_fmac_f32_e32 v162, v15, v2
	v_fma_f32 v164, v14, v2, -v3
	ds_load_2addr_b64 v[0:3], v32 offset0:121 offset1:122
	v_add_f32_e32 v26, v13, v242
	v_add_f32_e32 v167, v26, v244
	s_delay_alu instid0(VALU_DEP_1) | instskip(NEXT) | instid1(VALU_DEP_1)
	v_add_f32_e32 v167, v167, v246
	v_add_f32_e32 v30, v167, v30
	s_delay_alu instid0(VALU_DEP_1) | instskip(NEXT) | instid1(VALU_DEP_1)
	v_add_f32_e32 v30, v30, v31
	v_add_f32_e32 v30, v30, v163
	;; [unrolled: 1-line block ×3, first 2 shown]
	s_delay_alu instid0(VALU_DEP_1) | instskip(NEXT) | instid1(VALU_DEP_1)
	v_add_f32_e32 v20, v20, v235
	v_add_f32_e32 v12, v20, v237
	s_delay_alu instid0(VALU_DEP_1)
	v_add_f32_e32 v20, v12, v239
	ds_load_2addr_b64 v[12:15], v32 offset0:123 offset1:124
	s_wait_loadcnt_dscnt 0x201
	v_mul_f32_e32 v169, v0, v5
	v_mul_f32_e32 v5, v1, v5
	v_mul_f32_e32 v167, v2, v7
	v_add_f32_e32 v27, v20, v241
	ds_load_2addr_b64 v[20:23], v32 offset0:125 offset1:126
	v_mul_f32_e32 v7, v3, v7
	v_fmac_f32_e32 v169, v1, v4
	v_fma_f32 v0, v0, v4, -v5
	v_dual_add_f32 v168, v27, v243 :: v_dual_add_f32 v1, v30, v164
	ds_load_b64 v[26:27], v32 offset:1016
	v_fmac_f32_e32 v167, v3, v6
	v_fma_f32 v2, v2, v6, -v7
	v_add_f32_e32 v168, v168, v245
	v_add_f32_e32 v0, v1, v0
	s_delay_alu instid0(VALU_DEP_2)
	v_add_f32_e32 v28, v168, v28
	s_wait_loadcnt_dscnt 0x102
	v_mul_f32_e32 v31, v12, v9
	v_mul_f32_e32 v5, v13, v9
	v_dual_mul_f32 v3, v15, v11 :: v_dual_add_f32 v0, v0, v2
	v_dual_add_f32 v28, v28, v29 :: v_dual_mul_f32 v29, v14, v11
	s_wait_loadcnt_dscnt 0x1
	v_dual_fmac_f32 v31, v13, v8 :: v_dual_mul_f32 v168, v20, v17
	v_mul_f32_e32 v2, v21, v17
	s_delay_alu instid0(VALU_DEP_3) | instskip(SKIP_1) | instid1(VALU_DEP_4)
	v_dual_add_f32 v28, v28, v161 :: v_dual_fmac_f32 v29, v15, v10
	v_fma_f32 v3, v14, v10, -v3
	v_dual_mul_f32 v163, v22, v19 :: v_dual_fmac_f32 v168, v21, v16
	s_delay_alu instid0(VALU_DEP_3)
	v_add_f32_e32 v4, v28, v162
	v_fma_f32 v2, v20, v16, -v2
	s_wait_dscnt 0x0
	v_mul_f32_e32 v161, v26, v25
	v_fmac_f32_e32 v163, v23, v18
	v_add_f32_e32 v1, v4, v169
	v_fma_f32 v4, v12, v8, -v5
	s_delay_alu instid0(VALU_DEP_4) | instskip(NEXT) | instid1(VALU_DEP_2)
	v_fmac_f32_e32 v161, v27, v24
	v_dual_add_f32 v1, v1, v167 :: v_dual_add_f32 v0, v0, v4
	v_mul_f32_e32 v4, v23, v19
	s_delay_alu instid0(VALU_DEP_2) | instskip(NEXT) | instid1(VALU_DEP_3)
	v_add_f32_e32 v1, v1, v31
	v_dual_add_f32 v0, v0, v3 :: v_dual_mul_f32 v3, v27, v25
	s_delay_alu instid0(VALU_DEP_3) | instskip(NEXT) | instid1(VALU_DEP_2)
	v_fma_f32 v4, v22, v18, -v4
	v_dual_add_f32 v1, v1, v29 :: v_dual_add_f32 v0, v0, v2
	s_delay_alu instid0(VALU_DEP_3) | instskip(NEXT) | instid1(VALU_DEP_2)
	v_fma_f32 v2, v26, v24, -v3
	v_add_f32_e32 v1, v1, v168
	s_delay_alu instid0(VALU_DEP_1) | instskip(NEXT) | instid1(VALU_DEP_1)
	v_dual_add_f32 v0, v0, v4 :: v_dual_add_f32 v1, v1, v163
	v_dual_add_f32 v0, v0, v2 :: v_dual_add_f32 v1, v1, v161
	s_delay_alu instid0(VALU_DEP_1)
	v_dual_sub_f32 v0, v165, v0 :: v_dual_sub_f32 v1, v166, v1
	scratch_store_b64 off, v[0:1], off
	s_wait_alu 0xfffe
	s_cbranch_vccz .LBB127_524
; %bb.398:
	global_load_b32 v0, v32, s[2:3] offset:248
	s_wait_loadcnt 0x0
	v_cmp_ne_u32_e32 vcc_lo, 63, v0
	s_cbranch_vccz .LBB127_400
; %bb.399:
	v_lshlrev_b32_e32 v0, 3, v0
	s_delay_alu instid0(VALU_DEP_1)
	v_mov_b32_e32 v4, v0
	scratch_load_b64 v[0:1], v4, off offset:-8
	scratch_load_b64 v[2:3], off, off offset:496
	s_wait_loadcnt 0x1
	scratch_store_b64 off, v[0:1], off offset:496
	s_wait_loadcnt 0x0
	scratch_store_b64 v4, v[2:3], off offset:-8
.LBB127_400:
	v_mov_b32_e32 v0, 0
	global_load_b32 v1, v0, s[2:3] offset:244
	s_wait_loadcnt 0x0
	v_cmp_eq_u32_e32 vcc_lo, 62, v1
	s_cbranch_vccnz .LBB127_402
; %bb.401:
	v_lshlrev_b32_e32 v1, 3, v1
	s_delay_alu instid0(VALU_DEP_1)
	v_mov_b32_e32 v5, v1
	scratch_load_b64 v[1:2], v5, off offset:-8
	scratch_load_b64 v[3:4], off, off offset:488
	s_wait_loadcnt 0x1
	scratch_store_b64 off, v[1:2], off offset:488
	s_wait_loadcnt 0x0
	scratch_store_b64 v5, v[3:4], off offset:-8
.LBB127_402:
	global_load_b32 v0, v0, s[2:3] offset:240
	s_wait_loadcnt 0x0
	v_cmp_eq_u32_e32 vcc_lo, 61, v0
	s_cbranch_vccnz .LBB127_404
; %bb.403:
	v_lshlrev_b32_e32 v0, 3, v0
	s_delay_alu instid0(VALU_DEP_1)
	v_mov_b32_e32 v4, v0
	scratch_load_b64 v[0:1], v4, off offset:-8
	scratch_load_b64 v[2:3], off, off offset:480
	s_wait_loadcnt 0x1
	scratch_store_b64 off, v[0:1], off offset:480
	s_wait_loadcnt 0x0
	scratch_store_b64 v4, v[2:3], off offset:-8
.LBB127_404:
	v_mov_b32_e32 v0, 0
	global_load_b32 v1, v0, s[2:3] offset:236
	s_wait_loadcnt 0x0
	v_cmp_eq_u32_e32 vcc_lo, 60, v1
	s_cbranch_vccnz .LBB127_406
; %bb.405:
	v_lshlrev_b32_e32 v1, 3, v1
	s_delay_alu instid0(VALU_DEP_1)
	v_mov_b32_e32 v5, v1
	scratch_load_b64 v[1:2], v5, off offset:-8
	scratch_load_b64 v[3:4], off, off offset:472
	s_wait_loadcnt 0x1
	scratch_store_b64 off, v[1:2], off offset:472
	s_wait_loadcnt 0x0
	scratch_store_b64 v5, v[3:4], off offset:-8
.LBB127_406:
	global_load_b32 v0, v0, s[2:3] offset:232
	s_wait_loadcnt 0x0
	v_cmp_eq_u32_e32 vcc_lo, 59, v0
	s_cbranch_vccnz .LBB127_408
; %bb.407:
	v_lshlrev_b32_e32 v0, 3, v0
	s_delay_alu instid0(VALU_DEP_1)
	v_mov_b32_e32 v4, v0
	scratch_load_b64 v[0:1], v4, off offset:-8
	scratch_load_b64 v[2:3], off, off offset:464
	s_wait_loadcnt 0x1
	scratch_store_b64 off, v[0:1], off offset:464
	s_wait_loadcnt 0x0
	scratch_store_b64 v4, v[2:3], off offset:-8
.LBB127_408:
	v_mov_b32_e32 v0, 0
	global_load_b32 v1, v0, s[2:3] offset:228
	s_wait_loadcnt 0x0
	v_cmp_eq_u32_e32 vcc_lo, 58, v1
	s_cbranch_vccnz .LBB127_410
; %bb.409:
	v_lshlrev_b32_e32 v1, 3, v1
	s_delay_alu instid0(VALU_DEP_1)
	v_mov_b32_e32 v5, v1
	scratch_load_b64 v[1:2], v5, off offset:-8
	scratch_load_b64 v[3:4], off, off offset:456
	s_wait_loadcnt 0x1
	scratch_store_b64 off, v[1:2], off offset:456
	s_wait_loadcnt 0x0
	scratch_store_b64 v5, v[3:4], off offset:-8
.LBB127_410:
	global_load_b32 v0, v0, s[2:3] offset:224
	s_wait_loadcnt 0x0
	v_cmp_eq_u32_e32 vcc_lo, 57, v0
	s_cbranch_vccnz .LBB127_412
; %bb.411:
	v_lshlrev_b32_e32 v0, 3, v0
	s_delay_alu instid0(VALU_DEP_1)
	v_mov_b32_e32 v4, v0
	scratch_load_b64 v[0:1], v4, off offset:-8
	scratch_load_b64 v[2:3], off, off offset:448
	s_wait_loadcnt 0x1
	scratch_store_b64 off, v[0:1], off offset:448
	s_wait_loadcnt 0x0
	scratch_store_b64 v4, v[2:3], off offset:-8
.LBB127_412:
	v_mov_b32_e32 v0, 0
	global_load_b32 v1, v0, s[2:3] offset:220
	s_wait_loadcnt 0x0
	v_cmp_eq_u32_e32 vcc_lo, 56, v1
	s_cbranch_vccnz .LBB127_414
; %bb.413:
	v_lshlrev_b32_e32 v1, 3, v1
	s_delay_alu instid0(VALU_DEP_1)
	v_mov_b32_e32 v5, v1
	scratch_load_b64 v[1:2], v5, off offset:-8
	scratch_load_b64 v[3:4], off, off offset:440
	s_wait_loadcnt 0x1
	scratch_store_b64 off, v[1:2], off offset:440
	s_wait_loadcnt 0x0
	scratch_store_b64 v5, v[3:4], off offset:-8
.LBB127_414:
	global_load_b32 v0, v0, s[2:3] offset:216
	s_wait_loadcnt 0x0
	v_cmp_eq_u32_e32 vcc_lo, 55, v0
	s_cbranch_vccnz .LBB127_416
; %bb.415:
	v_lshlrev_b32_e32 v0, 3, v0
	s_delay_alu instid0(VALU_DEP_1)
	v_mov_b32_e32 v4, v0
	scratch_load_b64 v[0:1], v4, off offset:-8
	scratch_load_b64 v[2:3], off, off offset:432
	s_wait_loadcnt 0x1
	scratch_store_b64 off, v[0:1], off offset:432
	s_wait_loadcnt 0x0
	scratch_store_b64 v4, v[2:3], off offset:-8
.LBB127_416:
	v_mov_b32_e32 v0, 0
	global_load_b32 v1, v0, s[2:3] offset:212
	s_wait_loadcnt 0x0
	v_cmp_eq_u32_e32 vcc_lo, 54, v1
	s_cbranch_vccnz .LBB127_418
; %bb.417:
	v_lshlrev_b32_e32 v1, 3, v1
	s_delay_alu instid0(VALU_DEP_1)
	v_mov_b32_e32 v5, v1
	scratch_load_b64 v[1:2], v5, off offset:-8
	scratch_load_b64 v[3:4], off, off offset:424
	s_wait_loadcnt 0x1
	scratch_store_b64 off, v[1:2], off offset:424
	s_wait_loadcnt 0x0
	scratch_store_b64 v5, v[3:4], off offset:-8
.LBB127_418:
	global_load_b32 v0, v0, s[2:3] offset:208
	s_wait_loadcnt 0x0
	v_cmp_eq_u32_e32 vcc_lo, 53, v0
	s_cbranch_vccnz .LBB127_420
; %bb.419:
	v_lshlrev_b32_e32 v0, 3, v0
	s_delay_alu instid0(VALU_DEP_1)
	v_mov_b32_e32 v4, v0
	scratch_load_b64 v[0:1], v4, off offset:-8
	scratch_load_b64 v[2:3], off, off offset:416
	s_wait_loadcnt 0x1
	scratch_store_b64 off, v[0:1], off offset:416
	s_wait_loadcnt 0x0
	scratch_store_b64 v4, v[2:3], off offset:-8
.LBB127_420:
	v_mov_b32_e32 v0, 0
	global_load_b32 v1, v0, s[2:3] offset:204
	s_wait_loadcnt 0x0
	v_cmp_eq_u32_e32 vcc_lo, 52, v1
	s_cbranch_vccnz .LBB127_422
; %bb.421:
	v_lshlrev_b32_e32 v1, 3, v1
	s_delay_alu instid0(VALU_DEP_1)
	v_mov_b32_e32 v5, v1
	scratch_load_b64 v[1:2], v5, off offset:-8
	scratch_load_b64 v[3:4], off, off offset:408
	s_wait_loadcnt 0x1
	scratch_store_b64 off, v[1:2], off offset:408
	s_wait_loadcnt 0x0
	scratch_store_b64 v5, v[3:4], off offset:-8
.LBB127_422:
	global_load_b32 v0, v0, s[2:3] offset:200
	s_wait_loadcnt 0x0
	v_cmp_eq_u32_e32 vcc_lo, 51, v0
	s_cbranch_vccnz .LBB127_424
; %bb.423:
	v_lshlrev_b32_e32 v0, 3, v0
	s_delay_alu instid0(VALU_DEP_1)
	v_mov_b32_e32 v4, v0
	scratch_load_b64 v[0:1], v4, off offset:-8
	scratch_load_b64 v[2:3], off, off offset:400
	s_wait_loadcnt 0x1
	scratch_store_b64 off, v[0:1], off offset:400
	s_wait_loadcnt 0x0
	scratch_store_b64 v4, v[2:3], off offset:-8
.LBB127_424:
	v_mov_b32_e32 v0, 0
	global_load_b32 v1, v0, s[2:3] offset:196
	s_wait_loadcnt 0x0
	v_cmp_eq_u32_e32 vcc_lo, 50, v1
	s_cbranch_vccnz .LBB127_426
; %bb.425:
	v_lshlrev_b32_e32 v1, 3, v1
	s_delay_alu instid0(VALU_DEP_1)
	v_mov_b32_e32 v5, v1
	scratch_load_b64 v[1:2], v5, off offset:-8
	scratch_load_b64 v[3:4], off, off offset:392
	s_wait_loadcnt 0x1
	scratch_store_b64 off, v[1:2], off offset:392
	s_wait_loadcnt 0x0
	scratch_store_b64 v5, v[3:4], off offset:-8
.LBB127_426:
	global_load_b32 v0, v0, s[2:3] offset:192
	s_wait_loadcnt 0x0
	v_cmp_eq_u32_e32 vcc_lo, 49, v0
	s_cbranch_vccnz .LBB127_428
; %bb.427:
	v_lshlrev_b32_e32 v0, 3, v0
	s_delay_alu instid0(VALU_DEP_1)
	v_mov_b32_e32 v4, v0
	scratch_load_b64 v[0:1], v4, off offset:-8
	scratch_load_b64 v[2:3], off, off offset:384
	s_wait_loadcnt 0x1
	scratch_store_b64 off, v[0:1], off offset:384
	s_wait_loadcnt 0x0
	scratch_store_b64 v4, v[2:3], off offset:-8
.LBB127_428:
	v_mov_b32_e32 v0, 0
	global_load_b32 v1, v0, s[2:3] offset:188
	s_wait_loadcnt 0x0
	v_cmp_eq_u32_e32 vcc_lo, 48, v1
	s_cbranch_vccnz .LBB127_430
; %bb.429:
	v_lshlrev_b32_e32 v1, 3, v1
	s_delay_alu instid0(VALU_DEP_1)
	v_mov_b32_e32 v5, v1
	scratch_load_b64 v[1:2], v5, off offset:-8
	scratch_load_b64 v[3:4], off, off offset:376
	s_wait_loadcnt 0x1
	scratch_store_b64 off, v[1:2], off offset:376
	s_wait_loadcnt 0x0
	scratch_store_b64 v5, v[3:4], off offset:-8
.LBB127_430:
	global_load_b32 v0, v0, s[2:3] offset:184
	s_wait_loadcnt 0x0
	v_cmp_eq_u32_e32 vcc_lo, 47, v0
	s_cbranch_vccnz .LBB127_432
; %bb.431:
	v_lshlrev_b32_e32 v0, 3, v0
	s_delay_alu instid0(VALU_DEP_1)
	v_mov_b32_e32 v4, v0
	scratch_load_b64 v[0:1], v4, off offset:-8
	scratch_load_b64 v[2:3], off, off offset:368
	s_wait_loadcnt 0x1
	scratch_store_b64 off, v[0:1], off offset:368
	s_wait_loadcnt 0x0
	scratch_store_b64 v4, v[2:3], off offset:-8
.LBB127_432:
	v_mov_b32_e32 v0, 0
	global_load_b32 v1, v0, s[2:3] offset:180
	s_wait_loadcnt 0x0
	v_cmp_eq_u32_e32 vcc_lo, 46, v1
	s_cbranch_vccnz .LBB127_434
; %bb.433:
	v_lshlrev_b32_e32 v1, 3, v1
	s_delay_alu instid0(VALU_DEP_1)
	v_mov_b32_e32 v5, v1
	scratch_load_b64 v[1:2], v5, off offset:-8
	scratch_load_b64 v[3:4], off, off offset:360
	s_wait_loadcnt 0x1
	scratch_store_b64 off, v[1:2], off offset:360
	s_wait_loadcnt 0x0
	scratch_store_b64 v5, v[3:4], off offset:-8
.LBB127_434:
	global_load_b32 v0, v0, s[2:3] offset:176
	s_wait_loadcnt 0x0
	v_cmp_eq_u32_e32 vcc_lo, 45, v0
	s_cbranch_vccnz .LBB127_436
; %bb.435:
	v_lshlrev_b32_e32 v0, 3, v0
	s_delay_alu instid0(VALU_DEP_1)
	v_mov_b32_e32 v4, v0
	scratch_load_b64 v[0:1], v4, off offset:-8
	scratch_load_b64 v[2:3], off, off offset:352
	s_wait_loadcnt 0x1
	scratch_store_b64 off, v[0:1], off offset:352
	s_wait_loadcnt 0x0
	scratch_store_b64 v4, v[2:3], off offset:-8
.LBB127_436:
	v_mov_b32_e32 v0, 0
	global_load_b32 v1, v0, s[2:3] offset:172
	s_wait_loadcnt 0x0
	v_cmp_eq_u32_e32 vcc_lo, 44, v1
	s_cbranch_vccnz .LBB127_438
; %bb.437:
	v_lshlrev_b32_e32 v1, 3, v1
	s_delay_alu instid0(VALU_DEP_1)
	v_mov_b32_e32 v5, v1
	scratch_load_b64 v[1:2], v5, off offset:-8
	scratch_load_b64 v[3:4], off, off offset:344
	s_wait_loadcnt 0x1
	scratch_store_b64 off, v[1:2], off offset:344
	s_wait_loadcnt 0x0
	scratch_store_b64 v5, v[3:4], off offset:-8
.LBB127_438:
	global_load_b32 v0, v0, s[2:3] offset:168
	s_wait_loadcnt 0x0
	v_cmp_eq_u32_e32 vcc_lo, 43, v0
	s_cbranch_vccnz .LBB127_440
; %bb.439:
	v_lshlrev_b32_e32 v0, 3, v0
	s_delay_alu instid0(VALU_DEP_1)
	v_mov_b32_e32 v4, v0
	scratch_load_b64 v[0:1], v4, off offset:-8
	scratch_load_b64 v[2:3], off, off offset:336
	s_wait_loadcnt 0x1
	scratch_store_b64 off, v[0:1], off offset:336
	s_wait_loadcnt 0x0
	scratch_store_b64 v4, v[2:3], off offset:-8
.LBB127_440:
	v_mov_b32_e32 v0, 0
	global_load_b32 v1, v0, s[2:3] offset:164
	s_wait_loadcnt 0x0
	v_cmp_eq_u32_e32 vcc_lo, 42, v1
	s_cbranch_vccnz .LBB127_442
; %bb.441:
	v_lshlrev_b32_e32 v1, 3, v1
	s_delay_alu instid0(VALU_DEP_1)
	v_mov_b32_e32 v5, v1
	scratch_load_b64 v[1:2], v5, off offset:-8
	scratch_load_b64 v[3:4], off, off offset:328
	s_wait_loadcnt 0x1
	scratch_store_b64 off, v[1:2], off offset:328
	s_wait_loadcnt 0x0
	scratch_store_b64 v5, v[3:4], off offset:-8
.LBB127_442:
	global_load_b32 v0, v0, s[2:3] offset:160
	s_wait_loadcnt 0x0
	v_cmp_eq_u32_e32 vcc_lo, 41, v0
	s_cbranch_vccnz .LBB127_444
; %bb.443:
	v_lshlrev_b32_e32 v0, 3, v0
	s_delay_alu instid0(VALU_DEP_1)
	v_mov_b32_e32 v4, v0
	scratch_load_b64 v[0:1], v4, off offset:-8
	scratch_load_b64 v[2:3], off, off offset:320
	s_wait_loadcnt 0x1
	scratch_store_b64 off, v[0:1], off offset:320
	s_wait_loadcnt 0x0
	scratch_store_b64 v4, v[2:3], off offset:-8
.LBB127_444:
	v_mov_b32_e32 v0, 0
	global_load_b32 v1, v0, s[2:3] offset:156
	s_wait_loadcnt 0x0
	v_cmp_eq_u32_e32 vcc_lo, 40, v1
	s_cbranch_vccnz .LBB127_446
; %bb.445:
	v_lshlrev_b32_e32 v1, 3, v1
	s_delay_alu instid0(VALU_DEP_1)
	v_mov_b32_e32 v5, v1
	scratch_load_b64 v[1:2], v5, off offset:-8
	scratch_load_b64 v[3:4], off, off offset:312
	s_wait_loadcnt 0x1
	scratch_store_b64 off, v[1:2], off offset:312
	s_wait_loadcnt 0x0
	scratch_store_b64 v5, v[3:4], off offset:-8
.LBB127_446:
	global_load_b32 v0, v0, s[2:3] offset:152
	s_wait_loadcnt 0x0
	v_cmp_eq_u32_e32 vcc_lo, 39, v0
	s_cbranch_vccnz .LBB127_448
; %bb.447:
	v_lshlrev_b32_e32 v0, 3, v0
	s_delay_alu instid0(VALU_DEP_1)
	v_mov_b32_e32 v4, v0
	scratch_load_b64 v[0:1], v4, off offset:-8
	scratch_load_b64 v[2:3], off, off offset:304
	s_wait_loadcnt 0x1
	scratch_store_b64 off, v[0:1], off offset:304
	s_wait_loadcnt 0x0
	scratch_store_b64 v4, v[2:3], off offset:-8
.LBB127_448:
	v_mov_b32_e32 v0, 0
	global_load_b32 v1, v0, s[2:3] offset:148
	s_wait_loadcnt 0x0
	v_cmp_eq_u32_e32 vcc_lo, 38, v1
	s_cbranch_vccnz .LBB127_450
; %bb.449:
	v_lshlrev_b32_e32 v1, 3, v1
	s_delay_alu instid0(VALU_DEP_1)
	v_mov_b32_e32 v5, v1
	scratch_load_b64 v[1:2], v5, off offset:-8
	scratch_load_b64 v[3:4], off, off offset:296
	s_wait_loadcnt 0x1
	scratch_store_b64 off, v[1:2], off offset:296
	s_wait_loadcnt 0x0
	scratch_store_b64 v5, v[3:4], off offset:-8
.LBB127_450:
	global_load_b32 v0, v0, s[2:3] offset:144
	s_wait_loadcnt 0x0
	v_cmp_eq_u32_e32 vcc_lo, 37, v0
	s_cbranch_vccnz .LBB127_452
; %bb.451:
	v_lshlrev_b32_e32 v0, 3, v0
	s_delay_alu instid0(VALU_DEP_1)
	v_mov_b32_e32 v4, v0
	scratch_load_b64 v[0:1], v4, off offset:-8
	scratch_load_b64 v[2:3], off, off offset:288
	s_wait_loadcnt 0x1
	scratch_store_b64 off, v[0:1], off offset:288
	s_wait_loadcnt 0x0
	scratch_store_b64 v4, v[2:3], off offset:-8
.LBB127_452:
	v_mov_b32_e32 v0, 0
	global_load_b32 v1, v0, s[2:3] offset:140
	s_wait_loadcnt 0x0
	v_cmp_eq_u32_e32 vcc_lo, 36, v1
	s_cbranch_vccnz .LBB127_454
; %bb.453:
	v_lshlrev_b32_e32 v1, 3, v1
	s_delay_alu instid0(VALU_DEP_1)
	v_mov_b32_e32 v5, v1
	scratch_load_b64 v[1:2], v5, off offset:-8
	scratch_load_b64 v[3:4], off, off offset:280
	s_wait_loadcnt 0x1
	scratch_store_b64 off, v[1:2], off offset:280
	s_wait_loadcnt 0x0
	scratch_store_b64 v5, v[3:4], off offset:-8
.LBB127_454:
	global_load_b32 v0, v0, s[2:3] offset:136
	s_wait_loadcnt 0x0
	v_cmp_eq_u32_e32 vcc_lo, 35, v0
	s_cbranch_vccnz .LBB127_456
; %bb.455:
	v_lshlrev_b32_e32 v0, 3, v0
	s_delay_alu instid0(VALU_DEP_1)
	v_mov_b32_e32 v4, v0
	scratch_load_b64 v[0:1], v4, off offset:-8
	scratch_load_b64 v[2:3], off, off offset:272
	s_wait_loadcnt 0x1
	scratch_store_b64 off, v[0:1], off offset:272
	s_wait_loadcnt 0x0
	scratch_store_b64 v4, v[2:3], off offset:-8
.LBB127_456:
	v_mov_b32_e32 v0, 0
	global_load_b32 v1, v0, s[2:3] offset:132
	s_wait_loadcnt 0x0
	v_cmp_eq_u32_e32 vcc_lo, 34, v1
	s_cbranch_vccnz .LBB127_458
; %bb.457:
	v_lshlrev_b32_e32 v1, 3, v1
	s_delay_alu instid0(VALU_DEP_1)
	v_mov_b32_e32 v5, v1
	scratch_load_b64 v[1:2], v5, off offset:-8
	scratch_load_b64 v[3:4], off, off offset:264
	s_wait_loadcnt 0x1
	scratch_store_b64 off, v[1:2], off offset:264
	s_wait_loadcnt 0x0
	scratch_store_b64 v5, v[3:4], off offset:-8
.LBB127_458:
	global_load_b32 v0, v0, s[2:3] offset:128
	s_wait_loadcnt 0x0
	v_cmp_eq_u32_e32 vcc_lo, 33, v0
	s_cbranch_vccnz .LBB127_460
; %bb.459:
	v_lshlrev_b32_e32 v0, 3, v0
	s_delay_alu instid0(VALU_DEP_1)
	v_mov_b32_e32 v4, v0
	scratch_load_b64 v[0:1], v4, off offset:-8
	scratch_load_b64 v[2:3], off, off offset:256
	s_wait_loadcnt 0x1
	scratch_store_b64 off, v[0:1], off offset:256
	s_wait_loadcnt 0x0
	scratch_store_b64 v4, v[2:3], off offset:-8
.LBB127_460:
	v_mov_b32_e32 v0, 0
	global_load_b32 v1, v0, s[2:3] offset:124
	s_wait_loadcnt 0x0
	v_cmp_eq_u32_e32 vcc_lo, 32, v1
	s_cbranch_vccnz .LBB127_462
; %bb.461:
	v_lshlrev_b32_e32 v1, 3, v1
	s_delay_alu instid0(VALU_DEP_1)
	v_mov_b32_e32 v5, v1
	scratch_load_b64 v[1:2], v5, off offset:-8
	scratch_load_b64 v[3:4], off, off offset:248
	s_wait_loadcnt 0x1
	scratch_store_b64 off, v[1:2], off offset:248
	s_wait_loadcnt 0x0
	scratch_store_b64 v5, v[3:4], off offset:-8
.LBB127_462:
	global_load_b32 v0, v0, s[2:3] offset:120
	s_wait_loadcnt 0x0
	v_cmp_eq_u32_e32 vcc_lo, 31, v0
	s_cbranch_vccnz .LBB127_464
; %bb.463:
	v_lshlrev_b32_e32 v0, 3, v0
	s_delay_alu instid0(VALU_DEP_1)
	v_mov_b32_e32 v4, v0
	scratch_load_b64 v[0:1], v4, off offset:-8
	scratch_load_b64 v[2:3], off, off offset:240
	s_wait_loadcnt 0x1
	scratch_store_b64 off, v[0:1], off offset:240
	s_wait_loadcnt 0x0
	scratch_store_b64 v4, v[2:3], off offset:-8
.LBB127_464:
	v_mov_b32_e32 v0, 0
	global_load_b32 v1, v0, s[2:3] offset:116
	s_wait_loadcnt 0x0
	v_cmp_eq_u32_e32 vcc_lo, 30, v1
	s_cbranch_vccnz .LBB127_466
; %bb.465:
	v_lshlrev_b32_e32 v1, 3, v1
	s_delay_alu instid0(VALU_DEP_1)
	v_mov_b32_e32 v5, v1
	scratch_load_b64 v[1:2], v5, off offset:-8
	scratch_load_b64 v[3:4], off, off offset:232
	s_wait_loadcnt 0x1
	scratch_store_b64 off, v[1:2], off offset:232
	s_wait_loadcnt 0x0
	scratch_store_b64 v5, v[3:4], off offset:-8
.LBB127_466:
	global_load_b32 v0, v0, s[2:3] offset:112
	s_wait_loadcnt 0x0
	v_cmp_eq_u32_e32 vcc_lo, 29, v0
	s_cbranch_vccnz .LBB127_468
; %bb.467:
	v_lshlrev_b32_e32 v0, 3, v0
	s_delay_alu instid0(VALU_DEP_1)
	v_mov_b32_e32 v4, v0
	scratch_load_b64 v[0:1], v4, off offset:-8
	scratch_load_b64 v[2:3], off, off offset:224
	s_wait_loadcnt 0x1
	scratch_store_b64 off, v[0:1], off offset:224
	s_wait_loadcnt 0x0
	scratch_store_b64 v4, v[2:3], off offset:-8
.LBB127_468:
	v_mov_b32_e32 v0, 0
	global_load_b32 v1, v0, s[2:3] offset:108
	s_wait_loadcnt 0x0
	v_cmp_eq_u32_e32 vcc_lo, 28, v1
	s_cbranch_vccnz .LBB127_470
; %bb.469:
	v_lshlrev_b32_e32 v1, 3, v1
	s_delay_alu instid0(VALU_DEP_1)
	v_mov_b32_e32 v5, v1
	scratch_load_b64 v[1:2], v5, off offset:-8
	scratch_load_b64 v[3:4], off, off offset:216
	s_wait_loadcnt 0x1
	scratch_store_b64 off, v[1:2], off offset:216
	s_wait_loadcnt 0x0
	scratch_store_b64 v5, v[3:4], off offset:-8
.LBB127_470:
	global_load_b32 v0, v0, s[2:3] offset:104
	s_wait_loadcnt 0x0
	v_cmp_eq_u32_e32 vcc_lo, 27, v0
	s_cbranch_vccnz .LBB127_472
; %bb.471:
	v_lshlrev_b32_e32 v0, 3, v0
	s_delay_alu instid0(VALU_DEP_1)
	v_mov_b32_e32 v4, v0
	scratch_load_b64 v[0:1], v4, off offset:-8
	scratch_load_b64 v[2:3], off, off offset:208
	s_wait_loadcnt 0x1
	scratch_store_b64 off, v[0:1], off offset:208
	s_wait_loadcnt 0x0
	scratch_store_b64 v4, v[2:3], off offset:-8
.LBB127_472:
	v_mov_b32_e32 v0, 0
	global_load_b32 v1, v0, s[2:3] offset:100
	s_wait_loadcnt 0x0
	v_cmp_eq_u32_e32 vcc_lo, 26, v1
	s_cbranch_vccnz .LBB127_474
; %bb.473:
	v_lshlrev_b32_e32 v1, 3, v1
	s_delay_alu instid0(VALU_DEP_1)
	v_mov_b32_e32 v5, v1
	scratch_load_b64 v[1:2], v5, off offset:-8
	scratch_load_b64 v[3:4], off, off offset:200
	s_wait_loadcnt 0x1
	scratch_store_b64 off, v[1:2], off offset:200
	s_wait_loadcnt 0x0
	scratch_store_b64 v5, v[3:4], off offset:-8
.LBB127_474:
	global_load_b32 v0, v0, s[2:3] offset:96
	s_wait_loadcnt 0x0
	v_cmp_eq_u32_e32 vcc_lo, 25, v0
	s_cbranch_vccnz .LBB127_476
; %bb.475:
	v_lshlrev_b32_e32 v0, 3, v0
	s_delay_alu instid0(VALU_DEP_1)
	v_mov_b32_e32 v4, v0
	scratch_load_b64 v[0:1], v4, off offset:-8
	scratch_load_b64 v[2:3], off, off offset:192
	s_wait_loadcnt 0x1
	scratch_store_b64 off, v[0:1], off offset:192
	s_wait_loadcnt 0x0
	scratch_store_b64 v4, v[2:3], off offset:-8
.LBB127_476:
	v_mov_b32_e32 v0, 0
	global_load_b32 v1, v0, s[2:3] offset:92
	s_wait_loadcnt 0x0
	v_cmp_eq_u32_e32 vcc_lo, 24, v1
	s_cbranch_vccnz .LBB127_478
; %bb.477:
	v_lshlrev_b32_e32 v1, 3, v1
	s_delay_alu instid0(VALU_DEP_1)
	v_mov_b32_e32 v5, v1
	scratch_load_b64 v[1:2], v5, off offset:-8
	scratch_load_b64 v[3:4], off, off offset:184
	s_wait_loadcnt 0x1
	scratch_store_b64 off, v[1:2], off offset:184
	s_wait_loadcnt 0x0
	scratch_store_b64 v5, v[3:4], off offset:-8
.LBB127_478:
	global_load_b32 v0, v0, s[2:3] offset:88
	s_wait_loadcnt 0x0
	v_cmp_eq_u32_e32 vcc_lo, 23, v0
	s_cbranch_vccnz .LBB127_480
; %bb.479:
	v_lshlrev_b32_e32 v0, 3, v0
	s_delay_alu instid0(VALU_DEP_1)
	v_mov_b32_e32 v4, v0
	scratch_load_b64 v[0:1], v4, off offset:-8
	scratch_load_b64 v[2:3], off, off offset:176
	s_wait_loadcnt 0x1
	scratch_store_b64 off, v[0:1], off offset:176
	s_wait_loadcnt 0x0
	scratch_store_b64 v4, v[2:3], off offset:-8
.LBB127_480:
	v_mov_b32_e32 v0, 0
	global_load_b32 v1, v0, s[2:3] offset:84
	s_wait_loadcnt 0x0
	v_cmp_eq_u32_e32 vcc_lo, 22, v1
	s_cbranch_vccnz .LBB127_482
; %bb.481:
	v_lshlrev_b32_e32 v1, 3, v1
	s_delay_alu instid0(VALU_DEP_1)
	v_mov_b32_e32 v5, v1
	scratch_load_b64 v[1:2], v5, off offset:-8
	scratch_load_b64 v[3:4], off, off offset:168
	s_wait_loadcnt 0x1
	scratch_store_b64 off, v[1:2], off offset:168
	s_wait_loadcnt 0x0
	scratch_store_b64 v5, v[3:4], off offset:-8
.LBB127_482:
	global_load_b32 v0, v0, s[2:3] offset:80
	s_wait_loadcnt 0x0
	v_cmp_eq_u32_e32 vcc_lo, 21, v0
	s_cbranch_vccnz .LBB127_484
; %bb.483:
	v_lshlrev_b32_e32 v0, 3, v0
	s_delay_alu instid0(VALU_DEP_1)
	v_mov_b32_e32 v4, v0
	scratch_load_b64 v[0:1], v4, off offset:-8
	scratch_load_b64 v[2:3], off, off offset:160
	s_wait_loadcnt 0x1
	scratch_store_b64 off, v[0:1], off offset:160
	s_wait_loadcnt 0x0
	scratch_store_b64 v4, v[2:3], off offset:-8
.LBB127_484:
	v_mov_b32_e32 v0, 0
	global_load_b32 v1, v0, s[2:3] offset:76
	s_wait_loadcnt 0x0
	v_cmp_eq_u32_e32 vcc_lo, 20, v1
	s_cbranch_vccnz .LBB127_486
; %bb.485:
	v_lshlrev_b32_e32 v1, 3, v1
	s_delay_alu instid0(VALU_DEP_1)
	v_mov_b32_e32 v5, v1
	scratch_load_b64 v[1:2], v5, off offset:-8
	scratch_load_b64 v[3:4], off, off offset:152
	s_wait_loadcnt 0x1
	scratch_store_b64 off, v[1:2], off offset:152
	s_wait_loadcnt 0x0
	scratch_store_b64 v5, v[3:4], off offset:-8
.LBB127_486:
	global_load_b32 v0, v0, s[2:3] offset:72
	s_wait_loadcnt 0x0
	v_cmp_eq_u32_e32 vcc_lo, 19, v0
	s_cbranch_vccnz .LBB127_488
; %bb.487:
	v_lshlrev_b32_e32 v0, 3, v0
	s_delay_alu instid0(VALU_DEP_1)
	v_mov_b32_e32 v4, v0
	scratch_load_b64 v[0:1], v4, off offset:-8
	scratch_load_b64 v[2:3], off, off offset:144
	s_wait_loadcnt 0x1
	scratch_store_b64 off, v[0:1], off offset:144
	s_wait_loadcnt 0x0
	scratch_store_b64 v4, v[2:3], off offset:-8
.LBB127_488:
	v_mov_b32_e32 v0, 0
	global_load_b32 v1, v0, s[2:3] offset:68
	s_wait_loadcnt 0x0
	v_cmp_eq_u32_e32 vcc_lo, 18, v1
	s_cbranch_vccnz .LBB127_490
; %bb.489:
	v_lshlrev_b32_e32 v1, 3, v1
	s_delay_alu instid0(VALU_DEP_1)
	v_mov_b32_e32 v5, v1
	scratch_load_b64 v[1:2], v5, off offset:-8
	scratch_load_b64 v[3:4], off, off offset:136
	s_wait_loadcnt 0x1
	scratch_store_b64 off, v[1:2], off offset:136
	s_wait_loadcnt 0x0
	scratch_store_b64 v5, v[3:4], off offset:-8
.LBB127_490:
	global_load_b32 v0, v0, s[2:3] offset:64
	s_wait_loadcnt 0x0
	v_cmp_eq_u32_e32 vcc_lo, 17, v0
	s_cbranch_vccnz .LBB127_492
; %bb.491:
	v_lshlrev_b32_e32 v0, 3, v0
	s_delay_alu instid0(VALU_DEP_1)
	v_mov_b32_e32 v4, v0
	scratch_load_b64 v[0:1], v4, off offset:-8
	scratch_load_b64 v[2:3], off, off offset:128
	s_wait_loadcnt 0x1
	scratch_store_b64 off, v[0:1], off offset:128
	s_wait_loadcnt 0x0
	scratch_store_b64 v4, v[2:3], off offset:-8
.LBB127_492:
	v_mov_b32_e32 v0, 0
	global_load_b32 v1, v0, s[2:3] offset:60
	s_wait_loadcnt 0x0
	v_cmp_eq_u32_e32 vcc_lo, 16, v1
	s_cbranch_vccnz .LBB127_494
; %bb.493:
	v_lshlrev_b32_e32 v1, 3, v1
	s_delay_alu instid0(VALU_DEP_1)
	v_mov_b32_e32 v5, v1
	scratch_load_b64 v[1:2], v5, off offset:-8
	scratch_load_b64 v[3:4], off, off offset:120
	s_wait_loadcnt 0x1
	scratch_store_b64 off, v[1:2], off offset:120
	s_wait_loadcnt 0x0
	scratch_store_b64 v5, v[3:4], off offset:-8
.LBB127_494:
	global_load_b32 v0, v0, s[2:3] offset:56
	s_wait_loadcnt 0x0
	v_cmp_eq_u32_e32 vcc_lo, 15, v0
	s_cbranch_vccnz .LBB127_496
; %bb.495:
	v_lshlrev_b32_e32 v0, 3, v0
	s_delay_alu instid0(VALU_DEP_1)
	v_mov_b32_e32 v4, v0
	scratch_load_b64 v[0:1], v4, off offset:-8
	scratch_load_b64 v[2:3], off, off offset:112
	s_wait_loadcnt 0x1
	scratch_store_b64 off, v[0:1], off offset:112
	s_wait_loadcnt 0x0
	scratch_store_b64 v4, v[2:3], off offset:-8
.LBB127_496:
	v_mov_b32_e32 v0, 0
	global_load_b32 v1, v0, s[2:3] offset:52
	s_wait_loadcnt 0x0
	v_cmp_eq_u32_e32 vcc_lo, 14, v1
	s_cbranch_vccnz .LBB127_498
; %bb.497:
	v_lshlrev_b32_e32 v1, 3, v1
	s_delay_alu instid0(VALU_DEP_1)
	v_mov_b32_e32 v5, v1
	scratch_load_b64 v[1:2], v5, off offset:-8
	scratch_load_b64 v[3:4], off, off offset:104
	s_wait_loadcnt 0x1
	scratch_store_b64 off, v[1:2], off offset:104
	s_wait_loadcnt 0x0
	scratch_store_b64 v5, v[3:4], off offset:-8
.LBB127_498:
	global_load_b32 v0, v0, s[2:3] offset:48
	s_wait_loadcnt 0x0
	v_cmp_eq_u32_e32 vcc_lo, 13, v0
	s_cbranch_vccnz .LBB127_500
; %bb.499:
	v_lshlrev_b32_e32 v0, 3, v0
	s_delay_alu instid0(VALU_DEP_1)
	v_mov_b32_e32 v4, v0
	scratch_load_b64 v[0:1], v4, off offset:-8
	scratch_load_b64 v[2:3], off, off offset:96
	s_wait_loadcnt 0x1
	scratch_store_b64 off, v[0:1], off offset:96
	s_wait_loadcnt 0x0
	scratch_store_b64 v4, v[2:3], off offset:-8
.LBB127_500:
	v_mov_b32_e32 v0, 0
	global_load_b32 v1, v0, s[2:3] offset:44
	s_wait_loadcnt 0x0
	v_cmp_eq_u32_e32 vcc_lo, 12, v1
	s_cbranch_vccnz .LBB127_502
; %bb.501:
	v_lshlrev_b32_e32 v1, 3, v1
	s_delay_alu instid0(VALU_DEP_1)
	v_mov_b32_e32 v5, v1
	scratch_load_b64 v[1:2], v5, off offset:-8
	scratch_load_b64 v[3:4], off, off offset:88
	s_wait_loadcnt 0x1
	scratch_store_b64 off, v[1:2], off offset:88
	s_wait_loadcnt 0x0
	scratch_store_b64 v5, v[3:4], off offset:-8
.LBB127_502:
	global_load_b32 v0, v0, s[2:3] offset:40
	s_wait_loadcnt 0x0
	v_cmp_eq_u32_e32 vcc_lo, 11, v0
	s_cbranch_vccnz .LBB127_504
; %bb.503:
	v_lshlrev_b32_e32 v0, 3, v0
	s_delay_alu instid0(VALU_DEP_1)
	v_mov_b32_e32 v4, v0
	scratch_load_b64 v[0:1], v4, off offset:-8
	scratch_load_b64 v[2:3], off, off offset:80
	s_wait_loadcnt 0x1
	scratch_store_b64 off, v[0:1], off offset:80
	s_wait_loadcnt 0x0
	scratch_store_b64 v4, v[2:3], off offset:-8
.LBB127_504:
	v_mov_b32_e32 v0, 0
	global_load_b32 v1, v0, s[2:3] offset:36
	s_wait_loadcnt 0x0
	v_cmp_eq_u32_e32 vcc_lo, 10, v1
	s_cbranch_vccnz .LBB127_506
; %bb.505:
	v_lshlrev_b32_e32 v1, 3, v1
	s_delay_alu instid0(VALU_DEP_1)
	v_mov_b32_e32 v5, v1
	scratch_load_b64 v[1:2], v5, off offset:-8
	scratch_load_b64 v[3:4], off, off offset:72
	s_wait_loadcnt 0x1
	scratch_store_b64 off, v[1:2], off offset:72
	s_wait_loadcnt 0x0
	scratch_store_b64 v5, v[3:4], off offset:-8
.LBB127_506:
	global_load_b32 v0, v0, s[2:3] offset:32
	s_wait_loadcnt 0x0
	v_cmp_eq_u32_e32 vcc_lo, 9, v0
	s_cbranch_vccnz .LBB127_508
; %bb.507:
	v_lshlrev_b32_e32 v0, 3, v0
	s_delay_alu instid0(VALU_DEP_1)
	v_mov_b32_e32 v4, v0
	scratch_load_b64 v[0:1], v4, off offset:-8
	scratch_load_b64 v[2:3], off, off offset:64
	s_wait_loadcnt 0x1
	scratch_store_b64 off, v[0:1], off offset:64
	s_wait_loadcnt 0x0
	scratch_store_b64 v4, v[2:3], off offset:-8
.LBB127_508:
	v_mov_b32_e32 v0, 0
	global_load_b32 v1, v0, s[2:3] offset:28
	s_wait_loadcnt 0x0
	v_cmp_eq_u32_e32 vcc_lo, 8, v1
	s_cbranch_vccnz .LBB127_510
; %bb.509:
	v_lshlrev_b32_e32 v1, 3, v1
	s_delay_alu instid0(VALU_DEP_1)
	v_mov_b32_e32 v5, v1
	scratch_load_b64 v[1:2], v5, off offset:-8
	scratch_load_b64 v[3:4], off, off offset:56
	s_wait_loadcnt 0x1
	scratch_store_b64 off, v[1:2], off offset:56
	s_wait_loadcnt 0x0
	scratch_store_b64 v5, v[3:4], off offset:-8
.LBB127_510:
	global_load_b32 v0, v0, s[2:3] offset:24
	s_wait_loadcnt 0x0
	v_cmp_eq_u32_e32 vcc_lo, 7, v0
	s_cbranch_vccnz .LBB127_512
; %bb.511:
	v_lshlrev_b32_e32 v0, 3, v0
	s_delay_alu instid0(VALU_DEP_1)
	v_mov_b32_e32 v4, v0
	scratch_load_b64 v[0:1], v4, off offset:-8
	scratch_load_b64 v[2:3], off, off offset:48
	s_wait_loadcnt 0x1
	scratch_store_b64 off, v[0:1], off offset:48
	s_wait_loadcnt 0x0
	scratch_store_b64 v4, v[2:3], off offset:-8
.LBB127_512:
	v_mov_b32_e32 v0, 0
	global_load_b32 v1, v0, s[2:3] offset:20
	s_wait_loadcnt 0x0
	v_cmp_eq_u32_e32 vcc_lo, 6, v1
	s_cbranch_vccnz .LBB127_514
; %bb.513:
	v_lshlrev_b32_e32 v1, 3, v1
	s_delay_alu instid0(VALU_DEP_1)
	v_mov_b32_e32 v5, v1
	scratch_load_b64 v[1:2], v5, off offset:-8
	scratch_load_b64 v[3:4], off, off offset:40
	s_wait_loadcnt 0x1
	scratch_store_b64 off, v[1:2], off offset:40
	s_wait_loadcnt 0x0
	scratch_store_b64 v5, v[3:4], off offset:-8
.LBB127_514:
	global_load_b32 v0, v0, s[2:3] offset:16
	s_wait_loadcnt 0x0
	v_cmp_eq_u32_e32 vcc_lo, 5, v0
	s_cbranch_vccnz .LBB127_516
; %bb.515:
	v_lshlrev_b32_e32 v0, 3, v0
	s_delay_alu instid0(VALU_DEP_1)
	v_mov_b32_e32 v4, v0
	scratch_load_b64 v[0:1], v4, off offset:-8
	scratch_load_b64 v[2:3], off, off offset:32
	s_wait_loadcnt 0x1
	scratch_store_b64 off, v[0:1], off offset:32
	s_wait_loadcnt 0x0
	scratch_store_b64 v4, v[2:3], off offset:-8
.LBB127_516:
	v_mov_b32_e32 v0, 0
	global_load_b32 v1, v0, s[2:3] offset:12
	s_wait_loadcnt 0x0
	v_cmp_eq_u32_e32 vcc_lo, 4, v1
	s_cbranch_vccnz .LBB127_518
; %bb.517:
	v_lshlrev_b32_e32 v1, 3, v1
	s_delay_alu instid0(VALU_DEP_1)
	v_mov_b32_e32 v5, v1
	scratch_load_b64 v[1:2], v5, off offset:-8
	scratch_load_b64 v[3:4], off, off offset:24
	s_wait_loadcnt 0x1
	scratch_store_b64 off, v[1:2], off offset:24
	s_wait_loadcnt 0x0
	scratch_store_b64 v5, v[3:4], off offset:-8
.LBB127_518:
	global_load_b32 v0, v0, s[2:3] offset:8
	s_wait_loadcnt 0x0
	v_cmp_eq_u32_e32 vcc_lo, 3, v0
	s_cbranch_vccnz .LBB127_520
; %bb.519:
	v_lshlrev_b32_e32 v0, 3, v0
	s_delay_alu instid0(VALU_DEP_1)
	v_mov_b32_e32 v4, v0
	scratch_load_b64 v[0:1], v4, off offset:-8
	scratch_load_b64 v[2:3], off, off offset:16
	s_wait_loadcnt 0x1
	scratch_store_b64 off, v[0:1], off offset:16
	s_wait_loadcnt 0x0
	scratch_store_b64 v4, v[2:3], off offset:-8
.LBB127_520:
	v_mov_b32_e32 v0, 0
	global_load_b32 v1, v0, s[2:3] offset:4
	s_wait_loadcnt 0x0
	v_cmp_eq_u32_e32 vcc_lo, 2, v1
	s_cbranch_vccnz .LBB127_522
; %bb.521:
	v_lshlrev_b32_e32 v1, 3, v1
	s_delay_alu instid0(VALU_DEP_1)
	v_mov_b32_e32 v5, v1
	scratch_load_b64 v[1:2], v5, off offset:-8
	scratch_load_b64 v[3:4], off, off offset:8
	s_wait_loadcnt 0x1
	scratch_store_b64 off, v[1:2], off offset:8
	s_wait_loadcnt 0x0
	scratch_store_b64 v5, v[3:4], off offset:-8
.LBB127_522:
	global_load_b32 v0, v0, s[2:3]
	s_wait_loadcnt 0x0
	v_cmp_eq_u32_e32 vcc_lo, 1, v0
	s_cbranch_vccnz .LBB127_524
; %bb.523:
	v_lshlrev_b32_e32 v0, 3, v0
	s_delay_alu instid0(VALU_DEP_1)
	v_mov_b32_e32 v4, v0
	scratch_load_b64 v[0:1], v4, off offset:-8
	scratch_load_b64 v[2:3], off, off
	s_wait_loadcnt 0x1
	scratch_store_b64 off, v[0:1], off
	s_wait_loadcnt 0x0
	scratch_store_b64 v4, v[2:3], off offset:-8
.LBB127_524:
	scratch_load_b64 v[0:1], off, off
	s_wait_loadcnt 0x0
	flat_store_b64 v[33:34], v[0:1]
	scratch_load_b64 v[0:1], off, off offset:8
	s_wait_loadcnt 0x0
	flat_store_b64 v[35:36], v[0:1]
	scratch_load_b64 v[0:1], off, off offset:16
	;; [unrolled: 3-line block ×63, first 2 shown]
	s_wait_loadcnt 0x0
	flat_store_b64 v[159:160], v[0:1]
	s_nop 0
	s_sendmsg sendmsg(MSG_DEALLOC_VGPRS)
	s_endpgm
	.section	.rodata,"a",@progbits
	.p2align	6, 0x0
	.amdhsa_kernel _ZN9rocsolver6v33100L18getri_kernel_smallILi64E19rocblas_complex_numIfEPKPS3_EEvT1_iilPiilS8_bb
		.amdhsa_group_segment_fixed_size 1028
		.amdhsa_private_segment_fixed_size 528
		.amdhsa_kernarg_size 60
		.amdhsa_user_sgpr_count 2
		.amdhsa_user_sgpr_dispatch_ptr 0
		.amdhsa_user_sgpr_queue_ptr 0
		.amdhsa_user_sgpr_kernarg_segment_ptr 1
		.amdhsa_user_sgpr_dispatch_id 0
		.amdhsa_user_sgpr_private_segment_size 0
		.amdhsa_wavefront_size32 1
		.amdhsa_uses_dynamic_stack 0
		.amdhsa_enable_private_segment 1
		.amdhsa_system_sgpr_workgroup_id_x 1
		.amdhsa_system_sgpr_workgroup_id_y 0
		.amdhsa_system_sgpr_workgroup_id_z 0
		.amdhsa_system_sgpr_workgroup_info 0
		.amdhsa_system_vgpr_workitem_id 0
		.amdhsa_next_free_vgpr 252
		.amdhsa_next_free_sgpr 19
		.amdhsa_reserve_vcc 1
		.amdhsa_float_round_mode_32 0
		.amdhsa_float_round_mode_16_64 0
		.amdhsa_float_denorm_mode_32 3
		.amdhsa_float_denorm_mode_16_64 3
		.amdhsa_fp16_overflow 0
		.amdhsa_workgroup_processor_mode 1
		.amdhsa_memory_ordered 1
		.amdhsa_forward_progress 1
		.amdhsa_inst_pref_size 255
		.amdhsa_round_robin_scheduling 0
		.amdhsa_exception_fp_ieee_invalid_op 0
		.amdhsa_exception_fp_denorm_src 0
		.amdhsa_exception_fp_ieee_div_zero 0
		.amdhsa_exception_fp_ieee_overflow 0
		.amdhsa_exception_fp_ieee_underflow 0
		.amdhsa_exception_fp_ieee_inexact 0
		.amdhsa_exception_int_div_zero 0
	.end_amdhsa_kernel
	.section	.text._ZN9rocsolver6v33100L18getri_kernel_smallILi64E19rocblas_complex_numIfEPKPS3_EEvT1_iilPiilS8_bb,"axG",@progbits,_ZN9rocsolver6v33100L18getri_kernel_smallILi64E19rocblas_complex_numIfEPKPS3_EEvT1_iilPiilS8_bb,comdat
.Lfunc_end127:
	.size	_ZN9rocsolver6v33100L18getri_kernel_smallILi64E19rocblas_complex_numIfEPKPS3_EEvT1_iilPiilS8_bb, .Lfunc_end127-_ZN9rocsolver6v33100L18getri_kernel_smallILi64E19rocblas_complex_numIfEPKPS3_EEvT1_iilPiilS8_bb
                                        ; -- End function
	.set _ZN9rocsolver6v33100L18getri_kernel_smallILi64E19rocblas_complex_numIfEPKPS3_EEvT1_iilPiilS8_bb.num_vgpr, 252
	.set _ZN9rocsolver6v33100L18getri_kernel_smallILi64E19rocblas_complex_numIfEPKPS3_EEvT1_iilPiilS8_bb.num_agpr, 0
	.set _ZN9rocsolver6v33100L18getri_kernel_smallILi64E19rocblas_complex_numIfEPKPS3_EEvT1_iilPiilS8_bb.numbered_sgpr, 19
	.set _ZN9rocsolver6v33100L18getri_kernel_smallILi64E19rocblas_complex_numIfEPKPS3_EEvT1_iilPiilS8_bb.num_named_barrier, 0
	.set _ZN9rocsolver6v33100L18getri_kernel_smallILi64E19rocblas_complex_numIfEPKPS3_EEvT1_iilPiilS8_bb.private_seg_size, 528
	.set _ZN9rocsolver6v33100L18getri_kernel_smallILi64E19rocblas_complex_numIfEPKPS3_EEvT1_iilPiilS8_bb.uses_vcc, 1
	.set _ZN9rocsolver6v33100L18getri_kernel_smallILi64E19rocblas_complex_numIfEPKPS3_EEvT1_iilPiilS8_bb.uses_flat_scratch, 1
	.set _ZN9rocsolver6v33100L18getri_kernel_smallILi64E19rocblas_complex_numIfEPKPS3_EEvT1_iilPiilS8_bb.has_dyn_sized_stack, 0
	.set _ZN9rocsolver6v33100L18getri_kernel_smallILi64E19rocblas_complex_numIfEPKPS3_EEvT1_iilPiilS8_bb.has_recursion, 0
	.set _ZN9rocsolver6v33100L18getri_kernel_smallILi64E19rocblas_complex_numIfEPKPS3_EEvT1_iilPiilS8_bb.has_indirect_call, 0
	.section	.AMDGPU.csdata,"",@progbits
; Kernel info:
; codeLenInByte = 131764
; TotalNumSgprs: 21
; NumVgprs: 252
; ScratchSize: 528
; MemoryBound: 0
; FloatMode: 240
; IeeeMode: 1
; LDSByteSize: 1028 bytes/workgroup (compile time only)
; SGPRBlocks: 0
; VGPRBlocks: 31
; NumSGPRsForWavesPerEU: 21
; NumVGPRsForWavesPerEU: 252
; Occupancy: 5
; WaveLimiterHint : 1
; COMPUTE_PGM_RSRC2:SCRATCH_EN: 1
; COMPUTE_PGM_RSRC2:USER_SGPR: 2
; COMPUTE_PGM_RSRC2:TRAP_HANDLER: 0
; COMPUTE_PGM_RSRC2:TGID_X_EN: 1
; COMPUTE_PGM_RSRC2:TGID_Y_EN: 0
; COMPUTE_PGM_RSRC2:TGID_Z_EN: 0
; COMPUTE_PGM_RSRC2:TIDIG_COMP_CNT: 0
	.section	.AMDGPU.gpr_maximums,"",@progbits
	.set amdgpu.max_num_vgpr, 0
	.set amdgpu.max_num_agpr, 0
	.set amdgpu.max_num_sgpr, 0
	.section	.AMDGPU.csdata,"",@progbits
	.type	__hip_cuid_b58e9921688eb410,@object ; @__hip_cuid_b58e9921688eb410
	.section	.bss,"aw",@nobits
	.globl	__hip_cuid_b58e9921688eb410
__hip_cuid_b58e9921688eb410:
	.byte	0                               ; 0x0
	.size	__hip_cuid_b58e9921688eb410, 1

	.ident	"AMD clang version 22.0.0git (https://github.com/RadeonOpenCompute/llvm-project roc-7.2.4 26084 f58b06dce1f9c15707c5f808fd002e18c2accf7e)"
	.section	".note.GNU-stack","",@progbits
	.addrsig
	.addrsig_sym __hip_cuid_b58e9921688eb410
	.amdgpu_metadata
---
amdhsa.kernels:
  - .args:
      - .address_space:  global
        .offset:         0
        .size:           8
        .value_kind:     global_buffer
      - .offset:         8
        .size:           4
        .value_kind:     by_value
      - .offset:         12
        .size:           4
        .value_kind:     by_value
      - .offset:         16
        .size:           8
        .value_kind:     by_value
      - .address_space:  global
        .offset:         24
        .size:           8
        .value_kind:     global_buffer
      - .offset:         32
        .size:           4
        .value_kind:     by_value
      - .offset:         40
        .size:           8
        .value_kind:     by_value
      - .address_space:  global
        .offset:         48
        .size:           8
        .value_kind:     global_buffer
      - .offset:         56
        .size:           1
        .value_kind:     by_value
      - .offset:         57
        .size:           1
        .value_kind:     by_value
    .group_segment_fixed_size: 4
    .kernarg_segment_align: 8
    .kernarg_segment_size: 60
    .language:       OpenCL C
    .language_version:
      - 2
      - 0
    .max_flat_workgroup_size: 64
    .name:           _ZN9rocsolver6v33100L18getri_kernel_smallILi1E19rocblas_complex_numIfEPS3_EEvT1_iilPiilS6_bb
    .private_segment_fixed_size: 0
    .sgpr_count:     17
    .sgpr_spill_count: 0
    .symbol:         _ZN9rocsolver6v33100L18getri_kernel_smallILi1E19rocblas_complex_numIfEPS3_EEvT1_iilPiilS6_bb.kd
    .uniform_work_group_size: 1
    .uses_dynamic_stack: false
    .vgpr_count:     7
    .vgpr_spill_count: 0
    .wavefront_size: 32
    .workgroup_processor_mode: 1
  - .args:
      - .address_space:  global
        .offset:         0
        .size:           8
        .value_kind:     global_buffer
      - .offset:         8
        .size:           4
        .value_kind:     by_value
      - .offset:         12
        .size:           4
        .value_kind:     by_value
      - .offset:         16
        .size:           8
        .value_kind:     by_value
      - .address_space:  global
        .offset:         24
        .size:           8
        .value_kind:     global_buffer
      - .offset:         32
        .size:           4
        .value_kind:     by_value
      - .offset:         40
        .size:           8
        .value_kind:     by_value
      - .address_space:  global
        .offset:         48
        .size:           8
        .value_kind:     global_buffer
      - .offset:         56
        .size:           1
        .value_kind:     by_value
      - .offset:         57
        .size:           1
        .value_kind:     by_value
    .group_segment_fixed_size: 36
    .kernarg_segment_align: 8
    .kernarg_segment_size: 60
    .language:       OpenCL C
    .language_version:
      - 2
      - 0
    .max_flat_workgroup_size: 64
    .name:           _ZN9rocsolver6v33100L18getri_kernel_smallILi2E19rocblas_complex_numIfEPS3_EEvT1_iilPiilS6_bb
    .private_segment_fixed_size: 32
    .sgpr_count:     22
    .sgpr_spill_count: 0
    .symbol:         _ZN9rocsolver6v33100L18getri_kernel_smallILi2E19rocblas_complex_numIfEPS3_EEvT1_iilPiilS6_bb.kd
    .uniform_work_group_size: 1
    .uses_dynamic_stack: false
    .vgpr_count:     14
    .vgpr_spill_count: 0
    .wavefront_size: 32
    .workgroup_processor_mode: 1
  - .args:
      - .address_space:  global
        .offset:         0
        .size:           8
        .value_kind:     global_buffer
      - .offset:         8
        .size:           4
        .value_kind:     by_value
      - .offset:         12
        .size:           4
        .value_kind:     by_value
      - .offset:         16
        .size:           8
        .value_kind:     by_value
      - .address_space:  global
        .offset:         24
        .size:           8
        .value_kind:     global_buffer
      - .offset:         32
        .size:           4
        .value_kind:     by_value
      - .offset:         40
        .size:           8
        .value_kind:     by_value
      - .address_space:  global
        .offset:         48
        .size:           8
        .value_kind:     global_buffer
      - .offset:         56
        .size:           1
        .value_kind:     by_value
      - .offset:         57
        .size:           1
        .value_kind:     by_value
    .group_segment_fixed_size: 56
    .kernarg_segment_align: 8
    .kernarg_segment_size: 60
    .language:       OpenCL C
    .language_version:
      - 2
      - 0
    .max_flat_workgroup_size: 64
    .name:           _ZN9rocsolver6v33100L18getri_kernel_smallILi3E19rocblas_complex_numIfEPS3_EEvT1_iilPiilS6_bb
    .private_segment_fixed_size: 32
    .sgpr_count:     22
    .sgpr_spill_count: 0
    .symbol:         _ZN9rocsolver6v33100L18getri_kernel_smallILi3E19rocblas_complex_numIfEPS3_EEvT1_iilPiilS6_bb.kd
    .uniform_work_group_size: 1
    .uses_dynamic_stack: false
    .vgpr_count:     19
    .vgpr_spill_count: 0
    .wavefront_size: 32
    .workgroup_processor_mode: 1
  - .args:
      - .address_space:  global
        .offset:         0
        .size:           8
        .value_kind:     global_buffer
      - .offset:         8
        .size:           4
        .value_kind:     by_value
      - .offset:         12
        .size:           4
        .value_kind:     by_value
      - .offset:         16
        .size:           8
        .value_kind:     by_value
      - .address_space:  global
        .offset:         24
        .size:           8
        .value_kind:     global_buffer
      - .offset:         32
        .size:           4
        .value_kind:     by_value
      - .offset:         40
        .size:           8
        .value_kind:     by_value
      - .address_space:  global
        .offset:         48
        .size:           8
        .value_kind:     global_buffer
      - .offset:         56
        .size:           1
        .value_kind:     by_value
      - .offset:         57
        .size:           1
        .value_kind:     by_value
    .group_segment_fixed_size: 68
    .kernarg_segment_align: 8
    .kernarg_segment_size: 60
    .language:       OpenCL C
    .language_version:
      - 2
      - 0
    .max_flat_workgroup_size: 64
    .name:           _ZN9rocsolver6v33100L18getri_kernel_smallILi4E19rocblas_complex_numIfEPS3_EEvT1_iilPiilS6_bb
    .private_segment_fixed_size: 48
    .sgpr_count:     21
    .sgpr_spill_count: 0
    .symbol:         _ZN9rocsolver6v33100L18getri_kernel_smallILi4E19rocblas_complex_numIfEPS3_EEvT1_iilPiilS6_bb.kd
    .uniform_work_group_size: 1
    .uses_dynamic_stack: false
    .vgpr_count:     27
    .vgpr_spill_count: 0
    .wavefront_size: 32
    .workgroup_processor_mode: 1
  - .args:
      - .address_space:  global
        .offset:         0
        .size:           8
        .value_kind:     global_buffer
      - .offset:         8
        .size:           4
        .value_kind:     by_value
      - .offset:         12
        .size:           4
        .value_kind:     by_value
      - .offset:         16
        .size:           8
        .value_kind:     by_value
      - .address_space:  global
        .offset:         24
        .size:           8
        .value_kind:     global_buffer
      - .offset:         32
        .size:           4
        .value_kind:     by_value
      - .offset:         40
        .size:           8
        .value_kind:     by_value
      - .address_space:  global
        .offset:         48
        .size:           8
        .value_kind:     global_buffer
      - .offset:         56
        .size:           1
        .value_kind:     by_value
      - .offset:         57
        .size:           1
        .value_kind:     by_value
    .group_segment_fixed_size: 88
    .kernarg_segment_align: 8
    .kernarg_segment_size: 60
    .language:       OpenCL C
    .language_version:
      - 2
      - 0
    .max_flat_workgroup_size: 64
    .name:           _ZN9rocsolver6v33100L18getri_kernel_smallILi5E19rocblas_complex_numIfEPS3_EEvT1_iilPiilS6_bb
    .private_segment_fixed_size: 48
    .sgpr_count:     21
    .sgpr_spill_count: 0
    .symbol:         _ZN9rocsolver6v33100L18getri_kernel_smallILi5E19rocblas_complex_numIfEPS3_EEvT1_iilPiilS6_bb.kd
    .uniform_work_group_size: 1
    .uses_dynamic_stack: false
    .vgpr_count:     32
    .vgpr_spill_count: 0
    .wavefront_size: 32
    .workgroup_processor_mode: 1
  - .args:
      - .address_space:  global
        .offset:         0
        .size:           8
        .value_kind:     global_buffer
      - .offset:         8
        .size:           4
        .value_kind:     by_value
      - .offset:         12
        .size:           4
        .value_kind:     by_value
      - .offset:         16
        .size:           8
        .value_kind:     by_value
      - .address_space:  global
        .offset:         24
        .size:           8
        .value_kind:     global_buffer
      - .offset:         32
        .size:           4
        .value_kind:     by_value
      - .offset:         40
        .size:           8
        .value_kind:     by_value
      - .address_space:  global
        .offset:         48
        .size:           8
        .value_kind:     global_buffer
      - .offset:         56
        .size:           1
        .value_kind:     by_value
      - .offset:         57
        .size:           1
        .value_kind:     by_value
    .group_segment_fixed_size: 100
    .kernarg_segment_align: 8
    .kernarg_segment_size: 60
    .language:       OpenCL C
    .language_version:
      - 2
      - 0
    .max_flat_workgroup_size: 64
    .name:           _ZN9rocsolver6v33100L18getri_kernel_smallILi6E19rocblas_complex_numIfEPS3_EEvT1_iilPiilS6_bb
    .private_segment_fixed_size: 64
    .sgpr_count:     21
    .sgpr_spill_count: 0
    .symbol:         _ZN9rocsolver6v33100L18getri_kernel_smallILi6E19rocblas_complex_numIfEPS3_EEvT1_iilPiilS6_bb.kd
    .uniform_work_group_size: 1
    .uses_dynamic_stack: false
    .vgpr_count:     40
    .vgpr_spill_count: 0
    .wavefront_size: 32
    .workgroup_processor_mode: 1
  - .args:
      - .address_space:  global
        .offset:         0
        .size:           8
        .value_kind:     global_buffer
      - .offset:         8
        .size:           4
        .value_kind:     by_value
      - .offset:         12
        .size:           4
        .value_kind:     by_value
      - .offset:         16
        .size:           8
        .value_kind:     by_value
      - .address_space:  global
        .offset:         24
        .size:           8
        .value_kind:     global_buffer
      - .offset:         32
        .size:           4
        .value_kind:     by_value
      - .offset:         40
        .size:           8
        .value_kind:     by_value
      - .address_space:  global
        .offset:         48
        .size:           8
        .value_kind:     global_buffer
      - .offset:         56
        .size:           1
        .value_kind:     by_value
      - .offset:         57
        .size:           1
        .value_kind:     by_value
    .group_segment_fixed_size: 120
    .kernarg_segment_align: 8
    .kernarg_segment_size: 60
    .language:       OpenCL C
    .language_version:
      - 2
      - 0
    .max_flat_workgroup_size: 64
    .name:           _ZN9rocsolver6v33100L18getri_kernel_smallILi7E19rocblas_complex_numIfEPS3_EEvT1_iilPiilS6_bb
    .private_segment_fixed_size: 64
    .sgpr_count:     21
    .sgpr_spill_count: 0
    .symbol:         _ZN9rocsolver6v33100L18getri_kernel_smallILi7E19rocblas_complex_numIfEPS3_EEvT1_iilPiilS6_bb.kd
    .uniform_work_group_size: 1
    .uses_dynamic_stack: false
    .vgpr_count:     46
    .vgpr_spill_count: 0
    .wavefront_size: 32
    .workgroup_processor_mode: 1
  - .args:
      - .address_space:  global
        .offset:         0
        .size:           8
        .value_kind:     global_buffer
      - .offset:         8
        .size:           4
        .value_kind:     by_value
      - .offset:         12
        .size:           4
        .value_kind:     by_value
      - .offset:         16
        .size:           8
        .value_kind:     by_value
      - .address_space:  global
        .offset:         24
        .size:           8
        .value_kind:     global_buffer
      - .offset:         32
        .size:           4
        .value_kind:     by_value
      - .offset:         40
        .size:           8
        .value_kind:     by_value
      - .address_space:  global
        .offset:         48
        .size:           8
        .value_kind:     global_buffer
      - .offset:         56
        .size:           1
        .value_kind:     by_value
      - .offset:         57
        .size:           1
        .value_kind:     by_value
    .group_segment_fixed_size: 132
    .kernarg_segment_align: 8
    .kernarg_segment_size: 60
    .language:       OpenCL C
    .language_version:
      - 2
      - 0
    .max_flat_workgroup_size: 64
    .name:           _ZN9rocsolver6v33100L18getri_kernel_smallILi8E19rocblas_complex_numIfEPS3_EEvT1_iilPiilS6_bb
    .private_segment_fixed_size: 80
    .sgpr_count:     21
    .sgpr_spill_count: 0
    .symbol:         _ZN9rocsolver6v33100L18getri_kernel_smallILi8E19rocblas_complex_numIfEPS3_EEvT1_iilPiilS6_bb.kd
    .uniform_work_group_size: 1
    .uses_dynamic_stack: false
    .vgpr_count:     54
    .vgpr_spill_count: 0
    .wavefront_size: 32
    .workgroup_processor_mode: 1
  - .args:
      - .address_space:  global
        .offset:         0
        .size:           8
        .value_kind:     global_buffer
      - .offset:         8
        .size:           4
        .value_kind:     by_value
      - .offset:         12
        .size:           4
        .value_kind:     by_value
      - .offset:         16
        .size:           8
        .value_kind:     by_value
      - .address_space:  global
        .offset:         24
        .size:           8
        .value_kind:     global_buffer
      - .offset:         32
        .size:           4
        .value_kind:     by_value
      - .offset:         40
        .size:           8
        .value_kind:     by_value
      - .address_space:  global
        .offset:         48
        .size:           8
        .value_kind:     global_buffer
      - .offset:         56
        .size:           1
        .value_kind:     by_value
      - .offset:         57
        .size:           1
        .value_kind:     by_value
    .group_segment_fixed_size: 152
    .kernarg_segment_align: 8
    .kernarg_segment_size: 60
    .language:       OpenCL C
    .language_version:
      - 2
      - 0
    .max_flat_workgroup_size: 64
    .name:           _ZN9rocsolver6v33100L18getri_kernel_smallILi9E19rocblas_complex_numIfEPS3_EEvT1_iilPiilS6_bb
    .private_segment_fixed_size: 80
    .sgpr_count:     21
    .sgpr_spill_count: 0
    .symbol:         _ZN9rocsolver6v33100L18getri_kernel_smallILi9E19rocblas_complex_numIfEPS3_EEvT1_iilPiilS6_bb.kd
    .uniform_work_group_size: 1
    .uses_dynamic_stack: false
    .vgpr_count:     60
    .vgpr_spill_count: 0
    .wavefront_size: 32
    .workgroup_processor_mode: 1
  - .args:
      - .address_space:  global
        .offset:         0
        .size:           8
        .value_kind:     global_buffer
      - .offset:         8
        .size:           4
        .value_kind:     by_value
      - .offset:         12
        .size:           4
        .value_kind:     by_value
      - .offset:         16
        .size:           8
        .value_kind:     by_value
      - .address_space:  global
        .offset:         24
        .size:           8
        .value_kind:     global_buffer
      - .offset:         32
        .size:           4
        .value_kind:     by_value
      - .offset:         40
        .size:           8
        .value_kind:     by_value
      - .address_space:  global
        .offset:         48
        .size:           8
        .value_kind:     global_buffer
      - .offset:         56
        .size:           1
        .value_kind:     by_value
      - .offset:         57
        .size:           1
        .value_kind:     by_value
    .group_segment_fixed_size: 164
    .kernarg_segment_align: 8
    .kernarg_segment_size: 60
    .language:       OpenCL C
    .language_version:
      - 2
      - 0
    .max_flat_workgroup_size: 64
    .name:           _ZN9rocsolver6v33100L18getri_kernel_smallILi10E19rocblas_complex_numIfEPS3_EEvT1_iilPiilS6_bb
    .private_segment_fixed_size: 96
    .sgpr_count:     21
    .sgpr_spill_count: 0
    .symbol:         _ZN9rocsolver6v33100L18getri_kernel_smallILi10E19rocblas_complex_numIfEPS3_EEvT1_iilPiilS6_bb.kd
    .uniform_work_group_size: 1
    .uses_dynamic_stack: false
    .vgpr_count:     68
    .vgpr_spill_count: 0
    .wavefront_size: 32
    .workgroup_processor_mode: 1
  - .args:
      - .address_space:  global
        .offset:         0
        .size:           8
        .value_kind:     global_buffer
      - .offset:         8
        .size:           4
        .value_kind:     by_value
      - .offset:         12
        .size:           4
        .value_kind:     by_value
      - .offset:         16
        .size:           8
        .value_kind:     by_value
      - .address_space:  global
        .offset:         24
        .size:           8
        .value_kind:     global_buffer
      - .offset:         32
        .size:           4
        .value_kind:     by_value
      - .offset:         40
        .size:           8
        .value_kind:     by_value
      - .address_space:  global
        .offset:         48
        .size:           8
        .value_kind:     global_buffer
      - .offset:         56
        .size:           1
        .value_kind:     by_value
      - .offset:         57
        .size:           1
        .value_kind:     by_value
    .group_segment_fixed_size: 184
    .kernarg_segment_align: 8
    .kernarg_segment_size: 60
    .language:       OpenCL C
    .language_version:
      - 2
      - 0
    .max_flat_workgroup_size: 64
    .name:           _ZN9rocsolver6v33100L18getri_kernel_smallILi11E19rocblas_complex_numIfEPS3_EEvT1_iilPiilS6_bb
    .private_segment_fixed_size: 96
    .sgpr_count:     21
    .sgpr_spill_count: 0
    .symbol:         _ZN9rocsolver6v33100L18getri_kernel_smallILi11E19rocblas_complex_numIfEPS3_EEvT1_iilPiilS6_bb.kd
    .uniform_work_group_size: 1
    .uses_dynamic_stack: false
    .vgpr_count:     74
    .vgpr_spill_count: 0
    .wavefront_size: 32
    .workgroup_processor_mode: 1
  - .args:
      - .address_space:  global
        .offset:         0
        .size:           8
        .value_kind:     global_buffer
      - .offset:         8
        .size:           4
        .value_kind:     by_value
      - .offset:         12
        .size:           4
        .value_kind:     by_value
      - .offset:         16
        .size:           8
        .value_kind:     by_value
      - .address_space:  global
        .offset:         24
        .size:           8
        .value_kind:     global_buffer
      - .offset:         32
        .size:           4
        .value_kind:     by_value
      - .offset:         40
        .size:           8
        .value_kind:     by_value
      - .address_space:  global
        .offset:         48
        .size:           8
        .value_kind:     global_buffer
      - .offset:         56
        .size:           1
        .value_kind:     by_value
      - .offset:         57
        .size:           1
        .value_kind:     by_value
    .group_segment_fixed_size: 196
    .kernarg_segment_align: 8
    .kernarg_segment_size: 60
    .language:       OpenCL C
    .language_version:
      - 2
      - 0
    .max_flat_workgroup_size: 64
    .name:           _ZN9rocsolver6v33100L18getri_kernel_smallILi12E19rocblas_complex_numIfEPS3_EEvT1_iilPiilS6_bb
    .private_segment_fixed_size: 112
    .sgpr_count:     21
    .sgpr_spill_count: 0
    .symbol:         _ZN9rocsolver6v33100L18getri_kernel_smallILi12E19rocblas_complex_numIfEPS3_EEvT1_iilPiilS6_bb.kd
    .uniform_work_group_size: 1
    .uses_dynamic_stack: false
    .vgpr_count:     82
    .vgpr_spill_count: 0
    .wavefront_size: 32
    .workgroup_processor_mode: 1
  - .args:
      - .address_space:  global
        .offset:         0
        .size:           8
        .value_kind:     global_buffer
      - .offset:         8
        .size:           4
        .value_kind:     by_value
      - .offset:         12
        .size:           4
        .value_kind:     by_value
      - .offset:         16
        .size:           8
        .value_kind:     by_value
      - .address_space:  global
        .offset:         24
        .size:           8
        .value_kind:     global_buffer
      - .offset:         32
        .size:           4
        .value_kind:     by_value
      - .offset:         40
        .size:           8
        .value_kind:     by_value
      - .address_space:  global
        .offset:         48
        .size:           8
        .value_kind:     global_buffer
      - .offset:         56
        .size:           1
        .value_kind:     by_value
      - .offset:         57
        .size:           1
        .value_kind:     by_value
    .group_segment_fixed_size: 216
    .kernarg_segment_align: 8
    .kernarg_segment_size: 60
    .language:       OpenCL C
    .language_version:
      - 2
      - 0
    .max_flat_workgroup_size: 64
    .name:           _ZN9rocsolver6v33100L18getri_kernel_smallILi13E19rocblas_complex_numIfEPS3_EEvT1_iilPiilS6_bb
    .private_segment_fixed_size: 112
    .sgpr_count:     21
    .sgpr_spill_count: 0
    .symbol:         _ZN9rocsolver6v33100L18getri_kernel_smallILi13E19rocblas_complex_numIfEPS3_EEvT1_iilPiilS6_bb.kd
    .uniform_work_group_size: 1
    .uses_dynamic_stack: false
    .vgpr_count:     88
    .vgpr_spill_count: 0
    .wavefront_size: 32
    .workgroup_processor_mode: 1
  - .args:
      - .address_space:  global
        .offset:         0
        .size:           8
        .value_kind:     global_buffer
      - .offset:         8
        .size:           4
        .value_kind:     by_value
      - .offset:         12
        .size:           4
        .value_kind:     by_value
      - .offset:         16
        .size:           8
        .value_kind:     by_value
      - .address_space:  global
        .offset:         24
        .size:           8
        .value_kind:     global_buffer
      - .offset:         32
        .size:           4
        .value_kind:     by_value
      - .offset:         40
        .size:           8
        .value_kind:     by_value
      - .address_space:  global
        .offset:         48
        .size:           8
        .value_kind:     global_buffer
      - .offset:         56
        .size:           1
        .value_kind:     by_value
      - .offset:         57
        .size:           1
        .value_kind:     by_value
    .group_segment_fixed_size: 228
    .kernarg_segment_align: 8
    .kernarg_segment_size: 60
    .language:       OpenCL C
    .language_version:
      - 2
      - 0
    .max_flat_workgroup_size: 64
    .name:           _ZN9rocsolver6v33100L18getri_kernel_smallILi14E19rocblas_complex_numIfEPS3_EEvT1_iilPiilS6_bb
    .private_segment_fixed_size: 128
    .sgpr_count:     21
    .sgpr_spill_count: 0
    .symbol:         _ZN9rocsolver6v33100L18getri_kernel_smallILi14E19rocblas_complex_numIfEPS3_EEvT1_iilPiilS6_bb.kd
    .uniform_work_group_size: 1
    .uses_dynamic_stack: false
    .vgpr_count:     96
    .vgpr_spill_count: 0
    .wavefront_size: 32
    .workgroup_processor_mode: 1
  - .args:
      - .address_space:  global
        .offset:         0
        .size:           8
        .value_kind:     global_buffer
      - .offset:         8
        .size:           4
        .value_kind:     by_value
      - .offset:         12
        .size:           4
        .value_kind:     by_value
      - .offset:         16
        .size:           8
        .value_kind:     by_value
      - .address_space:  global
        .offset:         24
        .size:           8
        .value_kind:     global_buffer
      - .offset:         32
        .size:           4
        .value_kind:     by_value
      - .offset:         40
        .size:           8
        .value_kind:     by_value
      - .address_space:  global
        .offset:         48
        .size:           8
        .value_kind:     global_buffer
      - .offset:         56
        .size:           1
        .value_kind:     by_value
      - .offset:         57
        .size:           1
        .value_kind:     by_value
    .group_segment_fixed_size: 248
    .kernarg_segment_align: 8
    .kernarg_segment_size: 60
    .language:       OpenCL C
    .language_version:
      - 2
      - 0
    .max_flat_workgroup_size: 64
    .name:           _ZN9rocsolver6v33100L18getri_kernel_smallILi15E19rocblas_complex_numIfEPS3_EEvT1_iilPiilS6_bb
    .private_segment_fixed_size: 128
    .sgpr_count:     21
    .sgpr_spill_count: 0
    .symbol:         _ZN9rocsolver6v33100L18getri_kernel_smallILi15E19rocblas_complex_numIfEPS3_EEvT1_iilPiilS6_bb.kd
    .uniform_work_group_size: 1
    .uses_dynamic_stack: false
    .vgpr_count:     102
    .vgpr_spill_count: 0
    .wavefront_size: 32
    .workgroup_processor_mode: 1
  - .args:
      - .address_space:  global
        .offset:         0
        .size:           8
        .value_kind:     global_buffer
      - .offset:         8
        .size:           4
        .value_kind:     by_value
      - .offset:         12
        .size:           4
        .value_kind:     by_value
      - .offset:         16
        .size:           8
        .value_kind:     by_value
      - .address_space:  global
        .offset:         24
        .size:           8
        .value_kind:     global_buffer
      - .offset:         32
        .size:           4
        .value_kind:     by_value
      - .offset:         40
        .size:           8
        .value_kind:     by_value
      - .address_space:  global
        .offset:         48
        .size:           8
        .value_kind:     global_buffer
      - .offset:         56
        .size:           1
        .value_kind:     by_value
      - .offset:         57
        .size:           1
        .value_kind:     by_value
    .group_segment_fixed_size: 260
    .kernarg_segment_align: 8
    .kernarg_segment_size: 60
    .language:       OpenCL C
    .language_version:
      - 2
      - 0
    .max_flat_workgroup_size: 64
    .name:           _ZN9rocsolver6v33100L18getri_kernel_smallILi16E19rocblas_complex_numIfEPS3_EEvT1_iilPiilS6_bb
    .private_segment_fixed_size: 144
    .sgpr_count:     21
    .sgpr_spill_count: 0
    .symbol:         _ZN9rocsolver6v33100L18getri_kernel_smallILi16E19rocblas_complex_numIfEPS3_EEvT1_iilPiilS6_bb.kd
    .uniform_work_group_size: 1
    .uses_dynamic_stack: false
    .vgpr_count:     110
    .vgpr_spill_count: 0
    .wavefront_size: 32
    .workgroup_processor_mode: 1
  - .args:
      - .address_space:  global
        .offset:         0
        .size:           8
        .value_kind:     global_buffer
      - .offset:         8
        .size:           4
        .value_kind:     by_value
      - .offset:         12
        .size:           4
        .value_kind:     by_value
      - .offset:         16
        .size:           8
        .value_kind:     by_value
      - .address_space:  global
        .offset:         24
        .size:           8
        .value_kind:     global_buffer
      - .offset:         32
        .size:           4
        .value_kind:     by_value
      - .offset:         40
        .size:           8
        .value_kind:     by_value
      - .address_space:  global
        .offset:         48
        .size:           8
        .value_kind:     global_buffer
      - .offset:         56
        .size:           1
        .value_kind:     by_value
      - .offset:         57
        .size:           1
        .value_kind:     by_value
    .group_segment_fixed_size: 280
    .kernarg_segment_align: 8
    .kernarg_segment_size: 60
    .language:       OpenCL C
    .language_version:
      - 2
      - 0
    .max_flat_workgroup_size: 64
    .name:           _ZN9rocsolver6v33100L18getri_kernel_smallILi17E19rocblas_complex_numIfEPS3_EEvT1_iilPiilS6_bb
    .private_segment_fixed_size: 144
    .sgpr_count:     21
    .sgpr_spill_count: 0
    .symbol:         _ZN9rocsolver6v33100L18getri_kernel_smallILi17E19rocblas_complex_numIfEPS3_EEvT1_iilPiilS6_bb.kd
    .uniform_work_group_size: 1
    .uses_dynamic_stack: false
    .vgpr_count:     116
    .vgpr_spill_count: 0
    .wavefront_size: 32
    .workgroup_processor_mode: 1
  - .args:
      - .address_space:  global
        .offset:         0
        .size:           8
        .value_kind:     global_buffer
      - .offset:         8
        .size:           4
        .value_kind:     by_value
      - .offset:         12
        .size:           4
        .value_kind:     by_value
      - .offset:         16
        .size:           8
        .value_kind:     by_value
      - .address_space:  global
        .offset:         24
        .size:           8
        .value_kind:     global_buffer
      - .offset:         32
        .size:           4
        .value_kind:     by_value
      - .offset:         40
        .size:           8
        .value_kind:     by_value
      - .address_space:  global
        .offset:         48
        .size:           8
        .value_kind:     global_buffer
      - .offset:         56
        .size:           1
        .value_kind:     by_value
      - .offset:         57
        .size:           1
        .value_kind:     by_value
    .group_segment_fixed_size: 292
    .kernarg_segment_align: 8
    .kernarg_segment_size: 60
    .language:       OpenCL C
    .language_version:
      - 2
      - 0
    .max_flat_workgroup_size: 64
    .name:           _ZN9rocsolver6v33100L18getri_kernel_smallILi18E19rocblas_complex_numIfEPS3_EEvT1_iilPiilS6_bb
    .private_segment_fixed_size: 160
    .sgpr_count:     21
    .sgpr_spill_count: 0
    .symbol:         _ZN9rocsolver6v33100L18getri_kernel_smallILi18E19rocblas_complex_numIfEPS3_EEvT1_iilPiilS6_bb.kd
    .uniform_work_group_size: 1
    .uses_dynamic_stack: false
    .vgpr_count:     124
    .vgpr_spill_count: 0
    .wavefront_size: 32
    .workgroup_processor_mode: 1
  - .args:
      - .address_space:  global
        .offset:         0
        .size:           8
        .value_kind:     global_buffer
      - .offset:         8
        .size:           4
        .value_kind:     by_value
      - .offset:         12
        .size:           4
        .value_kind:     by_value
      - .offset:         16
        .size:           8
        .value_kind:     by_value
      - .address_space:  global
        .offset:         24
        .size:           8
        .value_kind:     global_buffer
      - .offset:         32
        .size:           4
        .value_kind:     by_value
      - .offset:         40
        .size:           8
        .value_kind:     by_value
      - .address_space:  global
        .offset:         48
        .size:           8
        .value_kind:     global_buffer
      - .offset:         56
        .size:           1
        .value_kind:     by_value
      - .offset:         57
        .size:           1
        .value_kind:     by_value
    .group_segment_fixed_size: 312
    .kernarg_segment_align: 8
    .kernarg_segment_size: 60
    .language:       OpenCL C
    .language_version:
      - 2
      - 0
    .max_flat_workgroup_size: 64
    .name:           _ZN9rocsolver6v33100L18getri_kernel_smallILi19E19rocblas_complex_numIfEPS3_EEvT1_iilPiilS6_bb
    .private_segment_fixed_size: 160
    .sgpr_count:     21
    .sgpr_spill_count: 0
    .symbol:         _ZN9rocsolver6v33100L18getri_kernel_smallILi19E19rocblas_complex_numIfEPS3_EEvT1_iilPiilS6_bb.kd
    .uniform_work_group_size: 1
    .uses_dynamic_stack: false
    .vgpr_count:     130
    .vgpr_spill_count: 0
    .wavefront_size: 32
    .workgroup_processor_mode: 1
  - .args:
      - .address_space:  global
        .offset:         0
        .size:           8
        .value_kind:     global_buffer
      - .offset:         8
        .size:           4
        .value_kind:     by_value
      - .offset:         12
        .size:           4
        .value_kind:     by_value
      - .offset:         16
        .size:           8
        .value_kind:     by_value
      - .address_space:  global
        .offset:         24
        .size:           8
        .value_kind:     global_buffer
      - .offset:         32
        .size:           4
        .value_kind:     by_value
      - .offset:         40
        .size:           8
        .value_kind:     by_value
      - .address_space:  global
        .offset:         48
        .size:           8
        .value_kind:     global_buffer
      - .offset:         56
        .size:           1
        .value_kind:     by_value
      - .offset:         57
        .size:           1
        .value_kind:     by_value
    .group_segment_fixed_size: 324
    .kernarg_segment_align: 8
    .kernarg_segment_size: 60
    .language:       OpenCL C
    .language_version:
      - 2
      - 0
    .max_flat_workgroup_size: 64
    .name:           _ZN9rocsolver6v33100L18getri_kernel_smallILi20E19rocblas_complex_numIfEPS3_EEvT1_iilPiilS6_bb
    .private_segment_fixed_size: 176
    .sgpr_count:     21
    .sgpr_spill_count: 0
    .symbol:         _ZN9rocsolver6v33100L18getri_kernel_smallILi20E19rocblas_complex_numIfEPS3_EEvT1_iilPiilS6_bb.kd
    .uniform_work_group_size: 1
    .uses_dynamic_stack: false
    .vgpr_count:     138
    .vgpr_spill_count: 0
    .wavefront_size: 32
    .workgroup_processor_mode: 1
  - .args:
      - .address_space:  global
        .offset:         0
        .size:           8
        .value_kind:     global_buffer
      - .offset:         8
        .size:           4
        .value_kind:     by_value
      - .offset:         12
        .size:           4
        .value_kind:     by_value
      - .offset:         16
        .size:           8
        .value_kind:     by_value
      - .address_space:  global
        .offset:         24
        .size:           8
        .value_kind:     global_buffer
      - .offset:         32
        .size:           4
        .value_kind:     by_value
      - .offset:         40
        .size:           8
        .value_kind:     by_value
      - .address_space:  global
        .offset:         48
        .size:           8
        .value_kind:     global_buffer
      - .offset:         56
        .size:           1
        .value_kind:     by_value
      - .offset:         57
        .size:           1
        .value_kind:     by_value
    .group_segment_fixed_size: 344
    .kernarg_segment_align: 8
    .kernarg_segment_size: 60
    .language:       OpenCL C
    .language_version:
      - 2
      - 0
    .max_flat_workgroup_size: 64
    .name:           _ZN9rocsolver6v33100L18getri_kernel_smallILi21E19rocblas_complex_numIfEPS3_EEvT1_iilPiilS6_bb
    .private_segment_fixed_size: 176
    .sgpr_count:     21
    .sgpr_spill_count: 0
    .symbol:         _ZN9rocsolver6v33100L18getri_kernel_smallILi21E19rocblas_complex_numIfEPS3_EEvT1_iilPiilS6_bb.kd
    .uniform_work_group_size: 1
    .uses_dynamic_stack: false
    .vgpr_count:     144
    .vgpr_spill_count: 0
    .wavefront_size: 32
    .workgroup_processor_mode: 1
  - .args:
      - .address_space:  global
        .offset:         0
        .size:           8
        .value_kind:     global_buffer
      - .offset:         8
        .size:           4
        .value_kind:     by_value
      - .offset:         12
        .size:           4
        .value_kind:     by_value
      - .offset:         16
        .size:           8
        .value_kind:     by_value
      - .address_space:  global
        .offset:         24
        .size:           8
        .value_kind:     global_buffer
      - .offset:         32
        .size:           4
        .value_kind:     by_value
      - .offset:         40
        .size:           8
        .value_kind:     by_value
      - .address_space:  global
        .offset:         48
        .size:           8
        .value_kind:     global_buffer
      - .offset:         56
        .size:           1
        .value_kind:     by_value
      - .offset:         57
        .size:           1
        .value_kind:     by_value
    .group_segment_fixed_size: 356
    .kernarg_segment_align: 8
    .kernarg_segment_size: 60
    .language:       OpenCL C
    .language_version:
      - 2
      - 0
    .max_flat_workgroup_size: 64
    .name:           _ZN9rocsolver6v33100L18getri_kernel_smallILi22E19rocblas_complex_numIfEPS3_EEvT1_iilPiilS6_bb
    .private_segment_fixed_size: 192
    .sgpr_count:     21
    .sgpr_spill_count: 0
    .symbol:         _ZN9rocsolver6v33100L18getri_kernel_smallILi22E19rocblas_complex_numIfEPS3_EEvT1_iilPiilS6_bb.kd
    .uniform_work_group_size: 1
    .uses_dynamic_stack: false
    .vgpr_count:     152
    .vgpr_spill_count: 0
    .wavefront_size: 32
    .workgroup_processor_mode: 1
  - .args:
      - .address_space:  global
        .offset:         0
        .size:           8
        .value_kind:     global_buffer
      - .offset:         8
        .size:           4
        .value_kind:     by_value
      - .offset:         12
        .size:           4
        .value_kind:     by_value
      - .offset:         16
        .size:           8
        .value_kind:     by_value
      - .address_space:  global
        .offset:         24
        .size:           8
        .value_kind:     global_buffer
      - .offset:         32
        .size:           4
        .value_kind:     by_value
      - .offset:         40
        .size:           8
        .value_kind:     by_value
      - .address_space:  global
        .offset:         48
        .size:           8
        .value_kind:     global_buffer
      - .offset:         56
        .size:           1
        .value_kind:     by_value
      - .offset:         57
        .size:           1
        .value_kind:     by_value
    .group_segment_fixed_size: 376
    .kernarg_segment_align: 8
    .kernarg_segment_size: 60
    .language:       OpenCL C
    .language_version:
      - 2
      - 0
    .max_flat_workgroup_size: 64
    .name:           _ZN9rocsolver6v33100L18getri_kernel_smallILi23E19rocblas_complex_numIfEPS3_EEvT1_iilPiilS6_bb
    .private_segment_fixed_size: 192
    .sgpr_count:     21
    .sgpr_spill_count: 0
    .symbol:         _ZN9rocsolver6v33100L18getri_kernel_smallILi23E19rocblas_complex_numIfEPS3_EEvT1_iilPiilS6_bb.kd
    .uniform_work_group_size: 1
    .uses_dynamic_stack: false
    .vgpr_count:     158
    .vgpr_spill_count: 0
    .wavefront_size: 32
    .workgroup_processor_mode: 1
  - .args:
      - .address_space:  global
        .offset:         0
        .size:           8
        .value_kind:     global_buffer
      - .offset:         8
        .size:           4
        .value_kind:     by_value
      - .offset:         12
        .size:           4
        .value_kind:     by_value
      - .offset:         16
        .size:           8
        .value_kind:     by_value
      - .address_space:  global
        .offset:         24
        .size:           8
        .value_kind:     global_buffer
      - .offset:         32
        .size:           4
        .value_kind:     by_value
      - .offset:         40
        .size:           8
        .value_kind:     by_value
      - .address_space:  global
        .offset:         48
        .size:           8
        .value_kind:     global_buffer
      - .offset:         56
        .size:           1
        .value_kind:     by_value
      - .offset:         57
        .size:           1
        .value_kind:     by_value
    .group_segment_fixed_size: 388
    .kernarg_segment_align: 8
    .kernarg_segment_size: 60
    .language:       OpenCL C
    .language_version:
      - 2
      - 0
    .max_flat_workgroup_size: 64
    .name:           _ZN9rocsolver6v33100L18getri_kernel_smallILi24E19rocblas_complex_numIfEPS3_EEvT1_iilPiilS6_bb
    .private_segment_fixed_size: 208
    .sgpr_count:     21
    .sgpr_spill_count: 0
    .symbol:         _ZN9rocsolver6v33100L18getri_kernel_smallILi24E19rocblas_complex_numIfEPS3_EEvT1_iilPiilS6_bb.kd
    .uniform_work_group_size: 1
    .uses_dynamic_stack: false
    .vgpr_count:     166
    .vgpr_spill_count: 0
    .wavefront_size: 32
    .workgroup_processor_mode: 1
  - .args:
      - .address_space:  global
        .offset:         0
        .size:           8
        .value_kind:     global_buffer
      - .offset:         8
        .size:           4
        .value_kind:     by_value
      - .offset:         12
        .size:           4
        .value_kind:     by_value
      - .offset:         16
        .size:           8
        .value_kind:     by_value
      - .address_space:  global
        .offset:         24
        .size:           8
        .value_kind:     global_buffer
      - .offset:         32
        .size:           4
        .value_kind:     by_value
      - .offset:         40
        .size:           8
        .value_kind:     by_value
      - .address_space:  global
        .offset:         48
        .size:           8
        .value_kind:     global_buffer
      - .offset:         56
        .size:           1
        .value_kind:     by_value
      - .offset:         57
        .size:           1
        .value_kind:     by_value
    .group_segment_fixed_size: 408
    .kernarg_segment_align: 8
    .kernarg_segment_size: 60
    .language:       OpenCL C
    .language_version:
      - 2
      - 0
    .max_flat_workgroup_size: 64
    .name:           _ZN9rocsolver6v33100L18getri_kernel_smallILi25E19rocblas_complex_numIfEPS3_EEvT1_iilPiilS6_bb
    .private_segment_fixed_size: 208
    .sgpr_count:     21
    .sgpr_spill_count: 0
    .symbol:         _ZN9rocsolver6v33100L18getri_kernel_smallILi25E19rocblas_complex_numIfEPS3_EEvT1_iilPiilS6_bb.kd
    .uniform_work_group_size: 1
    .uses_dynamic_stack: false
    .vgpr_count:     172
    .vgpr_spill_count: 0
    .wavefront_size: 32
    .workgroup_processor_mode: 1
  - .args:
      - .address_space:  global
        .offset:         0
        .size:           8
        .value_kind:     global_buffer
      - .offset:         8
        .size:           4
        .value_kind:     by_value
      - .offset:         12
        .size:           4
        .value_kind:     by_value
      - .offset:         16
        .size:           8
        .value_kind:     by_value
      - .address_space:  global
        .offset:         24
        .size:           8
        .value_kind:     global_buffer
      - .offset:         32
        .size:           4
        .value_kind:     by_value
      - .offset:         40
        .size:           8
        .value_kind:     by_value
      - .address_space:  global
        .offset:         48
        .size:           8
        .value_kind:     global_buffer
      - .offset:         56
        .size:           1
        .value_kind:     by_value
      - .offset:         57
        .size:           1
        .value_kind:     by_value
    .group_segment_fixed_size: 420
    .kernarg_segment_align: 8
    .kernarg_segment_size: 60
    .language:       OpenCL C
    .language_version:
      - 2
      - 0
    .max_flat_workgroup_size: 64
    .name:           _ZN9rocsolver6v33100L18getri_kernel_smallILi26E19rocblas_complex_numIfEPS3_EEvT1_iilPiilS6_bb
    .private_segment_fixed_size: 224
    .sgpr_count:     21
    .sgpr_spill_count: 0
    .symbol:         _ZN9rocsolver6v33100L18getri_kernel_smallILi26E19rocblas_complex_numIfEPS3_EEvT1_iilPiilS6_bb.kd
    .uniform_work_group_size: 1
    .uses_dynamic_stack: false
    .vgpr_count:     180
    .vgpr_spill_count: 0
    .wavefront_size: 32
    .workgroup_processor_mode: 1
  - .args:
      - .address_space:  global
        .offset:         0
        .size:           8
        .value_kind:     global_buffer
      - .offset:         8
        .size:           4
        .value_kind:     by_value
      - .offset:         12
        .size:           4
        .value_kind:     by_value
      - .offset:         16
        .size:           8
        .value_kind:     by_value
      - .address_space:  global
        .offset:         24
        .size:           8
        .value_kind:     global_buffer
      - .offset:         32
        .size:           4
        .value_kind:     by_value
      - .offset:         40
        .size:           8
        .value_kind:     by_value
      - .address_space:  global
        .offset:         48
        .size:           8
        .value_kind:     global_buffer
      - .offset:         56
        .size:           1
        .value_kind:     by_value
      - .offset:         57
        .size:           1
        .value_kind:     by_value
    .group_segment_fixed_size: 440
    .kernarg_segment_align: 8
    .kernarg_segment_size: 60
    .language:       OpenCL C
    .language_version:
      - 2
      - 0
    .max_flat_workgroup_size: 64
    .name:           _ZN9rocsolver6v33100L18getri_kernel_smallILi27E19rocblas_complex_numIfEPS3_EEvT1_iilPiilS6_bb
    .private_segment_fixed_size: 224
    .sgpr_count:     21
    .sgpr_spill_count: 0
    .symbol:         _ZN9rocsolver6v33100L18getri_kernel_smallILi27E19rocblas_complex_numIfEPS3_EEvT1_iilPiilS6_bb.kd
    .uniform_work_group_size: 1
    .uses_dynamic_stack: false
    .vgpr_count:     186
    .vgpr_spill_count: 0
    .wavefront_size: 32
    .workgroup_processor_mode: 1
  - .args:
      - .address_space:  global
        .offset:         0
        .size:           8
        .value_kind:     global_buffer
      - .offset:         8
        .size:           4
        .value_kind:     by_value
      - .offset:         12
        .size:           4
        .value_kind:     by_value
      - .offset:         16
        .size:           8
        .value_kind:     by_value
      - .address_space:  global
        .offset:         24
        .size:           8
        .value_kind:     global_buffer
      - .offset:         32
        .size:           4
        .value_kind:     by_value
      - .offset:         40
        .size:           8
        .value_kind:     by_value
      - .address_space:  global
        .offset:         48
        .size:           8
        .value_kind:     global_buffer
      - .offset:         56
        .size:           1
        .value_kind:     by_value
      - .offset:         57
        .size:           1
        .value_kind:     by_value
    .group_segment_fixed_size: 452
    .kernarg_segment_align: 8
    .kernarg_segment_size: 60
    .language:       OpenCL C
    .language_version:
      - 2
      - 0
    .max_flat_workgroup_size: 64
    .name:           _ZN9rocsolver6v33100L18getri_kernel_smallILi28E19rocblas_complex_numIfEPS3_EEvT1_iilPiilS6_bb
    .private_segment_fixed_size: 240
    .sgpr_count:     21
    .sgpr_spill_count: 0
    .symbol:         _ZN9rocsolver6v33100L18getri_kernel_smallILi28E19rocblas_complex_numIfEPS3_EEvT1_iilPiilS6_bb.kd
    .uniform_work_group_size: 1
    .uses_dynamic_stack: false
    .vgpr_count:     194
    .vgpr_spill_count: 0
    .wavefront_size: 32
    .workgroup_processor_mode: 1
  - .args:
      - .address_space:  global
        .offset:         0
        .size:           8
        .value_kind:     global_buffer
      - .offset:         8
        .size:           4
        .value_kind:     by_value
      - .offset:         12
        .size:           4
        .value_kind:     by_value
      - .offset:         16
        .size:           8
        .value_kind:     by_value
      - .address_space:  global
        .offset:         24
        .size:           8
        .value_kind:     global_buffer
      - .offset:         32
        .size:           4
        .value_kind:     by_value
      - .offset:         40
        .size:           8
        .value_kind:     by_value
      - .address_space:  global
        .offset:         48
        .size:           8
        .value_kind:     global_buffer
      - .offset:         56
        .size:           1
        .value_kind:     by_value
      - .offset:         57
        .size:           1
        .value_kind:     by_value
    .group_segment_fixed_size: 472
    .kernarg_segment_align: 8
    .kernarg_segment_size: 60
    .language:       OpenCL C
    .language_version:
      - 2
      - 0
    .max_flat_workgroup_size: 64
    .name:           _ZN9rocsolver6v33100L18getri_kernel_smallILi29E19rocblas_complex_numIfEPS3_EEvT1_iilPiilS6_bb
    .private_segment_fixed_size: 240
    .sgpr_count:     21
    .sgpr_spill_count: 0
    .symbol:         _ZN9rocsolver6v33100L18getri_kernel_smallILi29E19rocblas_complex_numIfEPS3_EEvT1_iilPiilS6_bb.kd
    .uniform_work_group_size: 1
    .uses_dynamic_stack: false
    .vgpr_count:     200
    .vgpr_spill_count: 0
    .wavefront_size: 32
    .workgroup_processor_mode: 1
  - .args:
      - .address_space:  global
        .offset:         0
        .size:           8
        .value_kind:     global_buffer
      - .offset:         8
        .size:           4
        .value_kind:     by_value
      - .offset:         12
        .size:           4
        .value_kind:     by_value
      - .offset:         16
        .size:           8
        .value_kind:     by_value
      - .address_space:  global
        .offset:         24
        .size:           8
        .value_kind:     global_buffer
      - .offset:         32
        .size:           4
        .value_kind:     by_value
      - .offset:         40
        .size:           8
        .value_kind:     by_value
      - .address_space:  global
        .offset:         48
        .size:           8
        .value_kind:     global_buffer
      - .offset:         56
        .size:           1
        .value_kind:     by_value
      - .offset:         57
        .size:           1
        .value_kind:     by_value
    .group_segment_fixed_size: 484
    .kernarg_segment_align: 8
    .kernarg_segment_size: 60
    .language:       OpenCL C
    .language_version:
      - 2
      - 0
    .max_flat_workgroup_size: 64
    .name:           _ZN9rocsolver6v33100L18getri_kernel_smallILi30E19rocblas_complex_numIfEPS3_EEvT1_iilPiilS6_bb
    .private_segment_fixed_size: 256
    .sgpr_count:     21
    .sgpr_spill_count: 0
    .symbol:         _ZN9rocsolver6v33100L18getri_kernel_smallILi30E19rocblas_complex_numIfEPS3_EEvT1_iilPiilS6_bb.kd
    .uniform_work_group_size: 1
    .uses_dynamic_stack: false
    .vgpr_count:     208
    .vgpr_spill_count: 0
    .wavefront_size: 32
    .workgroup_processor_mode: 1
  - .args:
      - .address_space:  global
        .offset:         0
        .size:           8
        .value_kind:     global_buffer
      - .offset:         8
        .size:           4
        .value_kind:     by_value
      - .offset:         12
        .size:           4
        .value_kind:     by_value
      - .offset:         16
        .size:           8
        .value_kind:     by_value
      - .address_space:  global
        .offset:         24
        .size:           8
        .value_kind:     global_buffer
      - .offset:         32
        .size:           4
        .value_kind:     by_value
      - .offset:         40
        .size:           8
        .value_kind:     by_value
      - .address_space:  global
        .offset:         48
        .size:           8
        .value_kind:     global_buffer
      - .offset:         56
        .size:           1
        .value_kind:     by_value
      - .offset:         57
        .size:           1
        .value_kind:     by_value
    .group_segment_fixed_size: 504
    .kernarg_segment_align: 8
    .kernarg_segment_size: 60
    .language:       OpenCL C
    .language_version:
      - 2
      - 0
    .max_flat_workgroup_size: 64
    .name:           _ZN9rocsolver6v33100L18getri_kernel_smallILi31E19rocblas_complex_numIfEPS3_EEvT1_iilPiilS6_bb
    .private_segment_fixed_size: 256
    .sgpr_count:     21
    .sgpr_spill_count: 0
    .symbol:         _ZN9rocsolver6v33100L18getri_kernel_smallILi31E19rocblas_complex_numIfEPS3_EEvT1_iilPiilS6_bb.kd
    .uniform_work_group_size: 1
    .uses_dynamic_stack: false
    .vgpr_count:     214
    .vgpr_spill_count: 0
    .wavefront_size: 32
    .workgroup_processor_mode: 1
  - .args:
      - .address_space:  global
        .offset:         0
        .size:           8
        .value_kind:     global_buffer
      - .offset:         8
        .size:           4
        .value_kind:     by_value
      - .offset:         12
        .size:           4
        .value_kind:     by_value
      - .offset:         16
        .size:           8
        .value_kind:     by_value
      - .address_space:  global
        .offset:         24
        .size:           8
        .value_kind:     global_buffer
      - .offset:         32
        .size:           4
        .value_kind:     by_value
      - .offset:         40
        .size:           8
        .value_kind:     by_value
      - .address_space:  global
        .offset:         48
        .size:           8
        .value_kind:     global_buffer
      - .offset:         56
        .size:           1
        .value_kind:     by_value
      - .offset:         57
        .size:           1
        .value_kind:     by_value
    .group_segment_fixed_size: 516
    .kernarg_segment_align: 8
    .kernarg_segment_size: 60
    .language:       OpenCL C
    .language_version:
      - 2
      - 0
    .max_flat_workgroup_size: 64
    .name:           _ZN9rocsolver6v33100L18getri_kernel_smallILi32E19rocblas_complex_numIfEPS3_EEvT1_iilPiilS6_bb
    .private_segment_fixed_size: 272
    .sgpr_count:     21
    .sgpr_spill_count: 0
    .symbol:         _ZN9rocsolver6v33100L18getri_kernel_smallILi32E19rocblas_complex_numIfEPS3_EEvT1_iilPiilS6_bb.kd
    .uniform_work_group_size: 1
    .uses_dynamic_stack: false
    .vgpr_count:     222
    .vgpr_spill_count: 0
    .wavefront_size: 32
    .workgroup_processor_mode: 1
  - .args:
      - .address_space:  global
        .offset:         0
        .size:           8
        .value_kind:     global_buffer
      - .offset:         8
        .size:           4
        .value_kind:     by_value
      - .offset:         12
        .size:           4
        .value_kind:     by_value
      - .offset:         16
        .size:           8
        .value_kind:     by_value
      - .address_space:  global
        .offset:         24
        .size:           8
        .value_kind:     global_buffer
      - .offset:         32
        .size:           4
        .value_kind:     by_value
      - .offset:         40
        .size:           8
        .value_kind:     by_value
      - .address_space:  global
        .offset:         48
        .size:           8
        .value_kind:     global_buffer
      - .offset:         56
        .size:           1
        .value_kind:     by_value
      - .offset:         57
        .size:           1
        .value_kind:     by_value
    .group_segment_fixed_size: 536
    .kernarg_segment_align: 8
    .kernarg_segment_size: 60
    .language:       OpenCL C
    .language_version:
      - 2
      - 0
    .max_flat_workgroup_size: 64
    .name:           _ZN9rocsolver6v33100L18getri_kernel_smallILi33E19rocblas_complex_numIfEPS3_EEvT1_iilPiilS6_bb
    .private_segment_fixed_size: 272
    .sgpr_count:     21
    .sgpr_spill_count: 0
    .symbol:         _ZN9rocsolver6v33100L18getri_kernel_smallILi33E19rocblas_complex_numIfEPS3_EEvT1_iilPiilS6_bb.kd
    .uniform_work_group_size: 1
    .uses_dynamic_stack: false
    .vgpr_count:     228
    .vgpr_spill_count: 0
    .wavefront_size: 32
    .workgroup_processor_mode: 1
  - .args:
      - .address_space:  global
        .offset:         0
        .size:           8
        .value_kind:     global_buffer
      - .offset:         8
        .size:           4
        .value_kind:     by_value
      - .offset:         12
        .size:           4
        .value_kind:     by_value
      - .offset:         16
        .size:           8
        .value_kind:     by_value
      - .address_space:  global
        .offset:         24
        .size:           8
        .value_kind:     global_buffer
      - .offset:         32
        .size:           4
        .value_kind:     by_value
      - .offset:         40
        .size:           8
        .value_kind:     by_value
      - .address_space:  global
        .offset:         48
        .size:           8
        .value_kind:     global_buffer
      - .offset:         56
        .size:           1
        .value_kind:     by_value
      - .offset:         57
        .size:           1
        .value_kind:     by_value
    .group_segment_fixed_size: 548
    .kernarg_segment_align: 8
    .kernarg_segment_size: 60
    .language:       OpenCL C
    .language_version:
      - 2
      - 0
    .max_flat_workgroup_size: 64
    .name:           _ZN9rocsolver6v33100L18getri_kernel_smallILi34E19rocblas_complex_numIfEPS3_EEvT1_iilPiilS6_bb
    .private_segment_fixed_size: 288
    .sgpr_count:     21
    .sgpr_spill_count: 0
    .symbol:         _ZN9rocsolver6v33100L18getri_kernel_smallILi34E19rocblas_complex_numIfEPS3_EEvT1_iilPiilS6_bb.kd
    .uniform_work_group_size: 1
    .uses_dynamic_stack: false
    .vgpr_count:     236
    .vgpr_spill_count: 0
    .wavefront_size: 32
    .workgroup_processor_mode: 1
  - .args:
      - .address_space:  global
        .offset:         0
        .size:           8
        .value_kind:     global_buffer
      - .offset:         8
        .size:           4
        .value_kind:     by_value
      - .offset:         12
        .size:           4
        .value_kind:     by_value
      - .offset:         16
        .size:           8
        .value_kind:     by_value
      - .address_space:  global
        .offset:         24
        .size:           8
        .value_kind:     global_buffer
      - .offset:         32
        .size:           4
        .value_kind:     by_value
      - .offset:         40
        .size:           8
        .value_kind:     by_value
      - .address_space:  global
        .offset:         48
        .size:           8
        .value_kind:     global_buffer
      - .offset:         56
        .size:           1
        .value_kind:     by_value
      - .offset:         57
        .size:           1
        .value_kind:     by_value
    .group_segment_fixed_size: 568
    .kernarg_segment_align: 8
    .kernarg_segment_size: 60
    .language:       OpenCL C
    .language_version:
      - 2
      - 0
    .max_flat_workgroup_size: 64
    .name:           _ZN9rocsolver6v33100L18getri_kernel_smallILi35E19rocblas_complex_numIfEPS3_EEvT1_iilPiilS6_bb
    .private_segment_fixed_size: 288
    .sgpr_count:     21
    .sgpr_spill_count: 0
    .symbol:         _ZN9rocsolver6v33100L18getri_kernel_smallILi35E19rocblas_complex_numIfEPS3_EEvT1_iilPiilS6_bb.kd
    .uniform_work_group_size: 1
    .uses_dynamic_stack: false
    .vgpr_count:     242
    .vgpr_spill_count: 0
    .wavefront_size: 32
    .workgroup_processor_mode: 1
  - .args:
      - .address_space:  global
        .offset:         0
        .size:           8
        .value_kind:     global_buffer
      - .offset:         8
        .size:           4
        .value_kind:     by_value
      - .offset:         12
        .size:           4
        .value_kind:     by_value
      - .offset:         16
        .size:           8
        .value_kind:     by_value
      - .address_space:  global
        .offset:         24
        .size:           8
        .value_kind:     global_buffer
      - .offset:         32
        .size:           4
        .value_kind:     by_value
      - .offset:         40
        .size:           8
        .value_kind:     by_value
      - .address_space:  global
        .offset:         48
        .size:           8
        .value_kind:     global_buffer
      - .offset:         56
        .size:           1
        .value_kind:     by_value
      - .offset:         57
        .size:           1
        .value_kind:     by_value
    .group_segment_fixed_size: 580
    .kernarg_segment_align: 8
    .kernarg_segment_size: 60
    .language:       OpenCL C
    .language_version:
      - 2
      - 0
    .max_flat_workgroup_size: 64
    .name:           _ZN9rocsolver6v33100L18getri_kernel_smallILi36E19rocblas_complex_numIfEPS3_EEvT1_iilPiilS6_bb
    .private_segment_fixed_size: 304
    .sgpr_count:     21
    .sgpr_spill_count: 0
    .symbol:         _ZN9rocsolver6v33100L18getri_kernel_smallILi36E19rocblas_complex_numIfEPS3_EEvT1_iilPiilS6_bb.kd
    .uniform_work_group_size: 1
    .uses_dynamic_stack: false
    .vgpr_count:     250
    .vgpr_spill_count: 0
    .wavefront_size: 32
    .workgroup_processor_mode: 1
  - .args:
      - .address_space:  global
        .offset:         0
        .size:           8
        .value_kind:     global_buffer
      - .offset:         8
        .size:           4
        .value_kind:     by_value
      - .offset:         12
        .size:           4
        .value_kind:     by_value
      - .offset:         16
        .size:           8
        .value_kind:     by_value
      - .address_space:  global
        .offset:         24
        .size:           8
        .value_kind:     global_buffer
      - .offset:         32
        .size:           4
        .value_kind:     by_value
      - .offset:         40
        .size:           8
        .value_kind:     by_value
      - .address_space:  global
        .offset:         48
        .size:           8
        .value_kind:     global_buffer
      - .offset:         56
        .size:           1
        .value_kind:     by_value
      - .offset:         57
        .size:           1
        .value_kind:     by_value
    .group_segment_fixed_size: 600
    .kernarg_segment_align: 8
    .kernarg_segment_size: 60
    .language:       OpenCL C
    .language_version:
      - 2
      - 0
    .max_flat_workgroup_size: 64
    .name:           _ZN9rocsolver6v33100L18getri_kernel_smallILi37E19rocblas_complex_numIfEPS3_EEvT1_iilPiilS6_bb
    .private_segment_fixed_size: 304
    .sgpr_count:     21
    .sgpr_spill_count: 0
    .symbol:         _ZN9rocsolver6v33100L18getri_kernel_smallILi37E19rocblas_complex_numIfEPS3_EEvT1_iilPiilS6_bb.kd
    .uniform_work_group_size: 1
    .uses_dynamic_stack: false
    .vgpr_count:     254
    .vgpr_spill_count: 0
    .wavefront_size: 32
    .workgroup_processor_mode: 1
  - .args:
      - .address_space:  global
        .offset:         0
        .size:           8
        .value_kind:     global_buffer
      - .offset:         8
        .size:           4
        .value_kind:     by_value
      - .offset:         12
        .size:           4
        .value_kind:     by_value
      - .offset:         16
        .size:           8
        .value_kind:     by_value
      - .address_space:  global
        .offset:         24
        .size:           8
        .value_kind:     global_buffer
      - .offset:         32
        .size:           4
        .value_kind:     by_value
      - .offset:         40
        .size:           8
        .value_kind:     by_value
      - .address_space:  global
        .offset:         48
        .size:           8
        .value_kind:     global_buffer
      - .offset:         56
        .size:           1
        .value_kind:     by_value
      - .offset:         57
        .size:           1
        .value_kind:     by_value
    .group_segment_fixed_size: 612
    .kernarg_segment_align: 8
    .kernarg_segment_size: 60
    .language:       OpenCL C
    .language_version:
      - 2
      - 0
    .max_flat_workgroup_size: 64
    .name:           _ZN9rocsolver6v33100L18getri_kernel_smallILi38E19rocblas_complex_numIfEPS3_EEvT1_iilPiilS6_bb
    .private_segment_fixed_size: 320
    .sgpr_count:     21
    .sgpr_spill_count: 0
    .symbol:         _ZN9rocsolver6v33100L18getri_kernel_smallILi38E19rocblas_complex_numIfEPS3_EEvT1_iilPiilS6_bb.kd
    .uniform_work_group_size: 1
    .uses_dynamic_stack: false
    .vgpr_count:     250
    .vgpr_spill_count: 0
    .wavefront_size: 32
    .workgroup_processor_mode: 1
  - .args:
      - .address_space:  global
        .offset:         0
        .size:           8
        .value_kind:     global_buffer
      - .offset:         8
        .size:           4
        .value_kind:     by_value
      - .offset:         12
        .size:           4
        .value_kind:     by_value
      - .offset:         16
        .size:           8
        .value_kind:     by_value
      - .address_space:  global
        .offset:         24
        .size:           8
        .value_kind:     global_buffer
      - .offset:         32
        .size:           4
        .value_kind:     by_value
      - .offset:         40
        .size:           8
        .value_kind:     by_value
      - .address_space:  global
        .offset:         48
        .size:           8
        .value_kind:     global_buffer
      - .offset:         56
        .size:           1
        .value_kind:     by_value
      - .offset:         57
        .size:           1
        .value_kind:     by_value
    .group_segment_fixed_size: 632
    .kernarg_segment_align: 8
    .kernarg_segment_size: 60
    .language:       OpenCL C
    .language_version:
      - 2
      - 0
    .max_flat_workgroup_size: 64
    .name:           _ZN9rocsolver6v33100L18getri_kernel_smallILi39E19rocblas_complex_numIfEPS3_EEvT1_iilPiilS6_bb
    .private_segment_fixed_size: 320
    .sgpr_count:     21
    .sgpr_spill_count: 0
    .symbol:         _ZN9rocsolver6v33100L18getri_kernel_smallILi39E19rocblas_complex_numIfEPS3_EEvT1_iilPiilS6_bb.kd
    .uniform_work_group_size: 1
    .uses_dynamic_stack: false
    .vgpr_count:     252
    .vgpr_spill_count: 0
    .wavefront_size: 32
    .workgroup_processor_mode: 1
  - .args:
      - .address_space:  global
        .offset:         0
        .size:           8
        .value_kind:     global_buffer
      - .offset:         8
        .size:           4
        .value_kind:     by_value
      - .offset:         12
        .size:           4
        .value_kind:     by_value
      - .offset:         16
        .size:           8
        .value_kind:     by_value
      - .address_space:  global
        .offset:         24
        .size:           8
        .value_kind:     global_buffer
      - .offset:         32
        .size:           4
        .value_kind:     by_value
      - .offset:         40
        .size:           8
        .value_kind:     by_value
      - .address_space:  global
        .offset:         48
        .size:           8
        .value_kind:     global_buffer
      - .offset:         56
        .size:           1
        .value_kind:     by_value
      - .offset:         57
        .size:           1
        .value_kind:     by_value
    .group_segment_fixed_size: 644
    .kernarg_segment_align: 8
    .kernarg_segment_size: 60
    .language:       OpenCL C
    .language_version:
      - 2
      - 0
    .max_flat_workgroup_size: 64
    .name:           _ZN9rocsolver6v33100L18getri_kernel_smallILi40E19rocblas_complex_numIfEPS3_EEvT1_iilPiilS6_bb
    .private_segment_fixed_size: 336
    .sgpr_count:     21
    .sgpr_spill_count: 0
    .symbol:         _ZN9rocsolver6v33100L18getri_kernel_smallILi40E19rocblas_complex_numIfEPS3_EEvT1_iilPiilS6_bb.kd
    .uniform_work_group_size: 1
    .uses_dynamic_stack: false
    .vgpr_count:     254
    .vgpr_spill_count: 0
    .wavefront_size: 32
    .workgroup_processor_mode: 1
  - .args:
      - .address_space:  global
        .offset:         0
        .size:           8
        .value_kind:     global_buffer
      - .offset:         8
        .size:           4
        .value_kind:     by_value
      - .offset:         12
        .size:           4
        .value_kind:     by_value
      - .offset:         16
        .size:           8
        .value_kind:     by_value
      - .address_space:  global
        .offset:         24
        .size:           8
        .value_kind:     global_buffer
      - .offset:         32
        .size:           4
        .value_kind:     by_value
      - .offset:         40
        .size:           8
        .value_kind:     by_value
      - .address_space:  global
        .offset:         48
        .size:           8
        .value_kind:     global_buffer
      - .offset:         56
        .size:           1
        .value_kind:     by_value
      - .offset:         57
        .size:           1
        .value_kind:     by_value
    .group_segment_fixed_size: 664
    .kernarg_segment_align: 8
    .kernarg_segment_size: 60
    .language:       OpenCL C
    .language_version:
      - 2
      - 0
    .max_flat_workgroup_size: 64
    .name:           _ZN9rocsolver6v33100L18getri_kernel_smallILi41E19rocblas_complex_numIfEPS3_EEvT1_iilPiilS6_bb
    .private_segment_fixed_size: 336
    .sgpr_count:     21
    .sgpr_spill_count: 0
    .symbol:         _ZN9rocsolver6v33100L18getri_kernel_smallILi41E19rocblas_complex_numIfEPS3_EEvT1_iilPiilS6_bb.kd
    .uniform_work_group_size: 1
    .uses_dynamic_stack: false
    .vgpr_count:     252
    .vgpr_spill_count: 0
    .wavefront_size: 32
    .workgroup_processor_mode: 1
  - .args:
      - .address_space:  global
        .offset:         0
        .size:           8
        .value_kind:     global_buffer
      - .offset:         8
        .size:           4
        .value_kind:     by_value
      - .offset:         12
        .size:           4
        .value_kind:     by_value
      - .offset:         16
        .size:           8
        .value_kind:     by_value
      - .address_space:  global
        .offset:         24
        .size:           8
        .value_kind:     global_buffer
      - .offset:         32
        .size:           4
        .value_kind:     by_value
      - .offset:         40
        .size:           8
        .value_kind:     by_value
      - .address_space:  global
        .offset:         48
        .size:           8
        .value_kind:     global_buffer
      - .offset:         56
        .size:           1
        .value_kind:     by_value
      - .offset:         57
        .size:           1
        .value_kind:     by_value
    .group_segment_fixed_size: 676
    .kernarg_segment_align: 8
    .kernarg_segment_size: 60
    .language:       OpenCL C
    .language_version:
      - 2
      - 0
    .max_flat_workgroup_size: 64
    .name:           _ZN9rocsolver6v33100L18getri_kernel_smallILi42E19rocblas_complex_numIfEPS3_EEvT1_iilPiilS6_bb
    .private_segment_fixed_size: 352
    .sgpr_count:     21
    .sgpr_spill_count: 0
    .symbol:         _ZN9rocsolver6v33100L18getri_kernel_smallILi42E19rocblas_complex_numIfEPS3_EEvT1_iilPiilS6_bb.kd
    .uniform_work_group_size: 1
    .uses_dynamic_stack: false
    .vgpr_count:     254
    .vgpr_spill_count: 0
    .wavefront_size: 32
    .workgroup_processor_mode: 1
  - .args:
      - .address_space:  global
        .offset:         0
        .size:           8
        .value_kind:     global_buffer
      - .offset:         8
        .size:           4
        .value_kind:     by_value
      - .offset:         12
        .size:           4
        .value_kind:     by_value
      - .offset:         16
        .size:           8
        .value_kind:     by_value
      - .address_space:  global
        .offset:         24
        .size:           8
        .value_kind:     global_buffer
      - .offset:         32
        .size:           4
        .value_kind:     by_value
      - .offset:         40
        .size:           8
        .value_kind:     by_value
      - .address_space:  global
        .offset:         48
        .size:           8
        .value_kind:     global_buffer
      - .offset:         56
        .size:           1
        .value_kind:     by_value
      - .offset:         57
        .size:           1
        .value_kind:     by_value
    .group_segment_fixed_size: 696
    .kernarg_segment_align: 8
    .kernarg_segment_size: 60
    .language:       OpenCL C
    .language_version:
      - 2
      - 0
    .max_flat_workgroup_size: 64
    .name:           _ZN9rocsolver6v33100L18getri_kernel_smallILi43E19rocblas_complex_numIfEPS3_EEvT1_iilPiilS6_bb
    .private_segment_fixed_size: 352
    .sgpr_count:     21
    .sgpr_spill_count: 0
    .symbol:         _ZN9rocsolver6v33100L18getri_kernel_smallILi43E19rocblas_complex_numIfEPS3_EEvT1_iilPiilS6_bb.kd
    .uniform_work_group_size: 1
    .uses_dynamic_stack: false
    .vgpr_count:     250
    .vgpr_spill_count: 0
    .wavefront_size: 32
    .workgroup_processor_mode: 1
  - .args:
      - .address_space:  global
        .offset:         0
        .size:           8
        .value_kind:     global_buffer
      - .offset:         8
        .size:           4
        .value_kind:     by_value
      - .offset:         12
        .size:           4
        .value_kind:     by_value
      - .offset:         16
        .size:           8
        .value_kind:     by_value
      - .address_space:  global
        .offset:         24
        .size:           8
        .value_kind:     global_buffer
      - .offset:         32
        .size:           4
        .value_kind:     by_value
      - .offset:         40
        .size:           8
        .value_kind:     by_value
      - .address_space:  global
        .offset:         48
        .size:           8
        .value_kind:     global_buffer
      - .offset:         56
        .size:           1
        .value_kind:     by_value
      - .offset:         57
        .size:           1
        .value_kind:     by_value
    .group_segment_fixed_size: 708
    .kernarg_segment_align: 8
    .kernarg_segment_size: 60
    .language:       OpenCL C
    .language_version:
      - 2
      - 0
    .max_flat_workgroup_size: 64
    .name:           _ZN9rocsolver6v33100L18getri_kernel_smallILi44E19rocblas_complex_numIfEPS3_EEvT1_iilPiilS6_bb
    .private_segment_fixed_size: 368
    .sgpr_count:     21
    .sgpr_spill_count: 0
    .symbol:         _ZN9rocsolver6v33100L18getri_kernel_smallILi44E19rocblas_complex_numIfEPS3_EEvT1_iilPiilS6_bb.kd
    .uniform_work_group_size: 1
    .uses_dynamic_stack: false
    .vgpr_count:     252
    .vgpr_spill_count: 0
    .wavefront_size: 32
    .workgroup_processor_mode: 1
  - .args:
      - .address_space:  global
        .offset:         0
        .size:           8
        .value_kind:     global_buffer
      - .offset:         8
        .size:           4
        .value_kind:     by_value
      - .offset:         12
        .size:           4
        .value_kind:     by_value
      - .offset:         16
        .size:           8
        .value_kind:     by_value
      - .address_space:  global
        .offset:         24
        .size:           8
        .value_kind:     global_buffer
      - .offset:         32
        .size:           4
        .value_kind:     by_value
      - .offset:         40
        .size:           8
        .value_kind:     by_value
      - .address_space:  global
        .offset:         48
        .size:           8
        .value_kind:     global_buffer
      - .offset:         56
        .size:           1
        .value_kind:     by_value
      - .offset:         57
        .size:           1
        .value_kind:     by_value
    .group_segment_fixed_size: 728
    .kernarg_segment_align: 8
    .kernarg_segment_size: 60
    .language:       OpenCL C
    .language_version:
      - 2
      - 0
    .max_flat_workgroup_size: 64
    .name:           _ZN9rocsolver6v33100L18getri_kernel_smallILi45E19rocblas_complex_numIfEPS3_EEvT1_iilPiilS6_bb
    .private_segment_fixed_size: 368
    .sgpr_count:     21
    .sgpr_spill_count: 0
    .symbol:         _ZN9rocsolver6v33100L18getri_kernel_smallILi45E19rocblas_complex_numIfEPS3_EEvT1_iilPiilS6_bb.kd
    .uniform_work_group_size: 1
    .uses_dynamic_stack: false
    .vgpr_count:     254
    .vgpr_spill_count: 0
    .wavefront_size: 32
    .workgroup_processor_mode: 1
  - .args:
      - .address_space:  global
        .offset:         0
        .size:           8
        .value_kind:     global_buffer
      - .offset:         8
        .size:           4
        .value_kind:     by_value
      - .offset:         12
        .size:           4
        .value_kind:     by_value
      - .offset:         16
        .size:           8
        .value_kind:     by_value
      - .address_space:  global
        .offset:         24
        .size:           8
        .value_kind:     global_buffer
      - .offset:         32
        .size:           4
        .value_kind:     by_value
      - .offset:         40
        .size:           8
        .value_kind:     by_value
      - .address_space:  global
        .offset:         48
        .size:           8
        .value_kind:     global_buffer
      - .offset:         56
        .size:           1
        .value_kind:     by_value
      - .offset:         57
        .size:           1
        .value_kind:     by_value
    .group_segment_fixed_size: 740
    .kernarg_segment_align: 8
    .kernarg_segment_size: 60
    .language:       OpenCL C
    .language_version:
      - 2
      - 0
    .max_flat_workgroup_size: 64
    .name:           _ZN9rocsolver6v33100L18getri_kernel_smallILi46E19rocblas_complex_numIfEPS3_EEvT1_iilPiilS6_bb
    .private_segment_fixed_size: 384
    .sgpr_count:     21
    .sgpr_spill_count: 0
    .symbol:         _ZN9rocsolver6v33100L18getri_kernel_smallILi46E19rocblas_complex_numIfEPS3_EEvT1_iilPiilS6_bb.kd
    .uniform_work_group_size: 1
    .uses_dynamic_stack: false
    .vgpr_count:     252
    .vgpr_spill_count: 0
    .wavefront_size: 32
    .workgroup_processor_mode: 1
  - .args:
      - .address_space:  global
        .offset:         0
        .size:           8
        .value_kind:     global_buffer
      - .offset:         8
        .size:           4
        .value_kind:     by_value
      - .offset:         12
        .size:           4
        .value_kind:     by_value
      - .offset:         16
        .size:           8
        .value_kind:     by_value
      - .address_space:  global
        .offset:         24
        .size:           8
        .value_kind:     global_buffer
      - .offset:         32
        .size:           4
        .value_kind:     by_value
      - .offset:         40
        .size:           8
        .value_kind:     by_value
      - .address_space:  global
        .offset:         48
        .size:           8
        .value_kind:     global_buffer
      - .offset:         56
        .size:           1
        .value_kind:     by_value
      - .offset:         57
        .size:           1
        .value_kind:     by_value
    .group_segment_fixed_size: 760
    .kernarg_segment_align: 8
    .kernarg_segment_size: 60
    .language:       OpenCL C
    .language_version:
      - 2
      - 0
    .max_flat_workgroup_size: 64
    .name:           _ZN9rocsolver6v33100L18getri_kernel_smallILi47E19rocblas_complex_numIfEPS3_EEvT1_iilPiilS6_bb
    .private_segment_fixed_size: 384
    .sgpr_count:     21
    .sgpr_spill_count: 0
    .symbol:         _ZN9rocsolver6v33100L18getri_kernel_smallILi47E19rocblas_complex_numIfEPS3_EEvT1_iilPiilS6_bb.kd
    .uniform_work_group_size: 1
    .uses_dynamic_stack: false
    .vgpr_count:     254
    .vgpr_spill_count: 0
    .wavefront_size: 32
    .workgroup_processor_mode: 1
  - .args:
      - .address_space:  global
        .offset:         0
        .size:           8
        .value_kind:     global_buffer
      - .offset:         8
        .size:           4
        .value_kind:     by_value
      - .offset:         12
        .size:           4
        .value_kind:     by_value
      - .offset:         16
        .size:           8
        .value_kind:     by_value
      - .address_space:  global
        .offset:         24
        .size:           8
        .value_kind:     global_buffer
      - .offset:         32
        .size:           4
        .value_kind:     by_value
      - .offset:         40
        .size:           8
        .value_kind:     by_value
      - .address_space:  global
        .offset:         48
        .size:           8
        .value_kind:     global_buffer
      - .offset:         56
        .size:           1
        .value_kind:     by_value
      - .offset:         57
        .size:           1
        .value_kind:     by_value
    .group_segment_fixed_size: 772
    .kernarg_segment_align: 8
    .kernarg_segment_size: 60
    .language:       OpenCL C
    .language_version:
      - 2
      - 0
    .max_flat_workgroup_size: 64
    .name:           _ZN9rocsolver6v33100L18getri_kernel_smallILi48E19rocblas_complex_numIfEPS3_EEvT1_iilPiilS6_bb
    .private_segment_fixed_size: 400
    .sgpr_count:     21
    .sgpr_spill_count: 0
    .symbol:         _ZN9rocsolver6v33100L18getri_kernel_smallILi48E19rocblas_complex_numIfEPS3_EEvT1_iilPiilS6_bb.kd
    .uniform_work_group_size: 1
    .uses_dynamic_stack: false
    .vgpr_count:     250
    .vgpr_spill_count: 0
    .wavefront_size: 32
    .workgroup_processor_mode: 1
  - .args:
      - .address_space:  global
        .offset:         0
        .size:           8
        .value_kind:     global_buffer
      - .offset:         8
        .size:           4
        .value_kind:     by_value
      - .offset:         12
        .size:           4
        .value_kind:     by_value
      - .offset:         16
        .size:           8
        .value_kind:     by_value
      - .address_space:  global
        .offset:         24
        .size:           8
        .value_kind:     global_buffer
      - .offset:         32
        .size:           4
        .value_kind:     by_value
      - .offset:         40
        .size:           8
        .value_kind:     by_value
      - .address_space:  global
        .offset:         48
        .size:           8
        .value_kind:     global_buffer
      - .offset:         56
        .size:           1
        .value_kind:     by_value
      - .offset:         57
        .size:           1
        .value_kind:     by_value
    .group_segment_fixed_size: 792
    .kernarg_segment_align: 8
    .kernarg_segment_size: 60
    .language:       OpenCL C
    .language_version:
      - 2
      - 0
    .max_flat_workgroup_size: 64
    .name:           _ZN9rocsolver6v33100L18getri_kernel_smallILi49E19rocblas_complex_numIfEPS3_EEvT1_iilPiilS6_bb
    .private_segment_fixed_size: 400
    .sgpr_count:     21
    .sgpr_spill_count: 0
    .symbol:         _ZN9rocsolver6v33100L18getri_kernel_smallILi49E19rocblas_complex_numIfEPS3_EEvT1_iilPiilS6_bb.kd
    .uniform_work_group_size: 1
    .uses_dynamic_stack: false
    .vgpr_count:     252
    .vgpr_spill_count: 0
    .wavefront_size: 32
    .workgroup_processor_mode: 1
  - .args:
      - .address_space:  global
        .offset:         0
        .size:           8
        .value_kind:     global_buffer
      - .offset:         8
        .size:           4
        .value_kind:     by_value
      - .offset:         12
        .size:           4
        .value_kind:     by_value
      - .offset:         16
        .size:           8
        .value_kind:     by_value
      - .address_space:  global
        .offset:         24
        .size:           8
        .value_kind:     global_buffer
      - .offset:         32
        .size:           4
        .value_kind:     by_value
      - .offset:         40
        .size:           8
        .value_kind:     by_value
      - .address_space:  global
        .offset:         48
        .size:           8
        .value_kind:     global_buffer
      - .offset:         56
        .size:           1
        .value_kind:     by_value
      - .offset:         57
        .size:           1
        .value_kind:     by_value
    .group_segment_fixed_size: 804
    .kernarg_segment_align: 8
    .kernarg_segment_size: 60
    .language:       OpenCL C
    .language_version:
      - 2
      - 0
    .max_flat_workgroup_size: 64
    .name:           _ZN9rocsolver6v33100L18getri_kernel_smallILi50E19rocblas_complex_numIfEPS3_EEvT1_iilPiilS6_bb
    .private_segment_fixed_size: 416
    .sgpr_count:     21
    .sgpr_spill_count: 0
    .symbol:         _ZN9rocsolver6v33100L18getri_kernel_smallILi50E19rocblas_complex_numIfEPS3_EEvT1_iilPiilS6_bb.kd
    .uniform_work_group_size: 1
    .uses_dynamic_stack: false
    .vgpr_count:     254
    .vgpr_spill_count: 0
    .wavefront_size: 32
    .workgroup_processor_mode: 1
  - .args:
      - .address_space:  global
        .offset:         0
        .size:           8
        .value_kind:     global_buffer
      - .offset:         8
        .size:           4
        .value_kind:     by_value
      - .offset:         12
        .size:           4
        .value_kind:     by_value
      - .offset:         16
        .size:           8
        .value_kind:     by_value
      - .address_space:  global
        .offset:         24
        .size:           8
        .value_kind:     global_buffer
      - .offset:         32
        .size:           4
        .value_kind:     by_value
      - .offset:         40
        .size:           8
        .value_kind:     by_value
      - .address_space:  global
        .offset:         48
        .size:           8
        .value_kind:     global_buffer
      - .offset:         56
        .size:           1
        .value_kind:     by_value
      - .offset:         57
        .size:           1
        .value_kind:     by_value
    .group_segment_fixed_size: 824
    .kernarg_segment_align: 8
    .kernarg_segment_size: 60
    .language:       OpenCL C
    .language_version:
      - 2
      - 0
    .max_flat_workgroup_size: 64
    .name:           _ZN9rocsolver6v33100L18getri_kernel_smallILi51E19rocblas_complex_numIfEPS3_EEvT1_iilPiilS6_bb
    .private_segment_fixed_size: 416
    .sgpr_count:     21
    .sgpr_spill_count: 0
    .symbol:         _ZN9rocsolver6v33100L18getri_kernel_smallILi51E19rocblas_complex_numIfEPS3_EEvT1_iilPiilS6_bb.kd
    .uniform_work_group_size: 1
    .uses_dynamic_stack: false
    .vgpr_count:     252
    .vgpr_spill_count: 0
    .wavefront_size: 32
    .workgroup_processor_mode: 1
  - .args:
      - .address_space:  global
        .offset:         0
        .size:           8
        .value_kind:     global_buffer
      - .offset:         8
        .size:           4
        .value_kind:     by_value
      - .offset:         12
        .size:           4
        .value_kind:     by_value
      - .offset:         16
        .size:           8
        .value_kind:     by_value
      - .address_space:  global
        .offset:         24
        .size:           8
        .value_kind:     global_buffer
      - .offset:         32
        .size:           4
        .value_kind:     by_value
      - .offset:         40
        .size:           8
        .value_kind:     by_value
      - .address_space:  global
        .offset:         48
        .size:           8
        .value_kind:     global_buffer
      - .offset:         56
        .size:           1
        .value_kind:     by_value
      - .offset:         57
        .size:           1
        .value_kind:     by_value
    .group_segment_fixed_size: 836
    .kernarg_segment_align: 8
    .kernarg_segment_size: 60
    .language:       OpenCL C
    .language_version:
      - 2
      - 0
    .max_flat_workgroup_size: 64
    .name:           _ZN9rocsolver6v33100L18getri_kernel_smallILi52E19rocblas_complex_numIfEPS3_EEvT1_iilPiilS6_bb
    .private_segment_fixed_size: 432
    .sgpr_count:     21
    .sgpr_spill_count: 0
    .symbol:         _ZN9rocsolver6v33100L18getri_kernel_smallILi52E19rocblas_complex_numIfEPS3_EEvT1_iilPiilS6_bb.kd
    .uniform_work_group_size: 1
    .uses_dynamic_stack: false
    .vgpr_count:     254
    .vgpr_spill_count: 0
    .wavefront_size: 32
    .workgroup_processor_mode: 1
  - .args:
      - .address_space:  global
        .offset:         0
        .size:           8
        .value_kind:     global_buffer
      - .offset:         8
        .size:           4
        .value_kind:     by_value
      - .offset:         12
        .size:           4
        .value_kind:     by_value
      - .offset:         16
        .size:           8
        .value_kind:     by_value
      - .address_space:  global
        .offset:         24
        .size:           8
        .value_kind:     global_buffer
      - .offset:         32
        .size:           4
        .value_kind:     by_value
      - .offset:         40
        .size:           8
        .value_kind:     by_value
      - .address_space:  global
        .offset:         48
        .size:           8
        .value_kind:     global_buffer
      - .offset:         56
        .size:           1
        .value_kind:     by_value
      - .offset:         57
        .size:           1
        .value_kind:     by_value
    .group_segment_fixed_size: 856
    .kernarg_segment_align: 8
    .kernarg_segment_size: 60
    .language:       OpenCL C
    .language_version:
      - 2
      - 0
    .max_flat_workgroup_size: 64
    .name:           _ZN9rocsolver6v33100L18getri_kernel_smallILi53E19rocblas_complex_numIfEPS3_EEvT1_iilPiilS6_bb
    .private_segment_fixed_size: 432
    .sgpr_count:     21
    .sgpr_spill_count: 0
    .symbol:         _ZN9rocsolver6v33100L18getri_kernel_smallILi53E19rocblas_complex_numIfEPS3_EEvT1_iilPiilS6_bb.kd
    .uniform_work_group_size: 1
    .uses_dynamic_stack: false
    .vgpr_count:     250
    .vgpr_spill_count: 0
    .wavefront_size: 32
    .workgroup_processor_mode: 1
  - .args:
      - .address_space:  global
        .offset:         0
        .size:           8
        .value_kind:     global_buffer
      - .offset:         8
        .size:           4
        .value_kind:     by_value
      - .offset:         12
        .size:           4
        .value_kind:     by_value
      - .offset:         16
        .size:           8
        .value_kind:     by_value
      - .address_space:  global
        .offset:         24
        .size:           8
        .value_kind:     global_buffer
      - .offset:         32
        .size:           4
        .value_kind:     by_value
      - .offset:         40
        .size:           8
        .value_kind:     by_value
      - .address_space:  global
        .offset:         48
        .size:           8
        .value_kind:     global_buffer
      - .offset:         56
        .size:           1
        .value_kind:     by_value
      - .offset:         57
        .size:           1
        .value_kind:     by_value
    .group_segment_fixed_size: 868
    .kernarg_segment_align: 8
    .kernarg_segment_size: 60
    .language:       OpenCL C
    .language_version:
      - 2
      - 0
    .max_flat_workgroup_size: 64
    .name:           _ZN9rocsolver6v33100L18getri_kernel_smallILi54E19rocblas_complex_numIfEPS3_EEvT1_iilPiilS6_bb
    .private_segment_fixed_size: 448
    .sgpr_count:     21
    .sgpr_spill_count: 0
    .symbol:         _ZN9rocsolver6v33100L18getri_kernel_smallILi54E19rocblas_complex_numIfEPS3_EEvT1_iilPiilS6_bb.kd
    .uniform_work_group_size: 1
    .uses_dynamic_stack: false
    .vgpr_count:     252
    .vgpr_spill_count: 0
    .wavefront_size: 32
    .workgroup_processor_mode: 1
  - .args:
      - .address_space:  global
        .offset:         0
        .size:           8
        .value_kind:     global_buffer
      - .offset:         8
        .size:           4
        .value_kind:     by_value
      - .offset:         12
        .size:           4
        .value_kind:     by_value
      - .offset:         16
        .size:           8
        .value_kind:     by_value
      - .address_space:  global
        .offset:         24
        .size:           8
        .value_kind:     global_buffer
      - .offset:         32
        .size:           4
        .value_kind:     by_value
      - .offset:         40
        .size:           8
        .value_kind:     by_value
      - .address_space:  global
        .offset:         48
        .size:           8
        .value_kind:     global_buffer
      - .offset:         56
        .size:           1
        .value_kind:     by_value
      - .offset:         57
        .size:           1
        .value_kind:     by_value
    .group_segment_fixed_size: 888
    .kernarg_segment_align: 8
    .kernarg_segment_size: 60
    .language:       OpenCL C
    .language_version:
      - 2
      - 0
    .max_flat_workgroup_size: 64
    .name:           _ZN9rocsolver6v33100L18getri_kernel_smallILi55E19rocblas_complex_numIfEPS3_EEvT1_iilPiilS6_bb
    .private_segment_fixed_size: 448
    .sgpr_count:     21
    .sgpr_spill_count: 0
    .symbol:         _ZN9rocsolver6v33100L18getri_kernel_smallILi55E19rocblas_complex_numIfEPS3_EEvT1_iilPiilS6_bb.kd
    .uniform_work_group_size: 1
    .uses_dynamic_stack: false
    .vgpr_count:     254
    .vgpr_spill_count: 0
    .wavefront_size: 32
    .workgroup_processor_mode: 1
  - .args:
      - .address_space:  global
        .offset:         0
        .size:           8
        .value_kind:     global_buffer
      - .offset:         8
        .size:           4
        .value_kind:     by_value
      - .offset:         12
        .size:           4
        .value_kind:     by_value
      - .offset:         16
        .size:           8
        .value_kind:     by_value
      - .address_space:  global
        .offset:         24
        .size:           8
        .value_kind:     global_buffer
      - .offset:         32
        .size:           4
        .value_kind:     by_value
      - .offset:         40
        .size:           8
        .value_kind:     by_value
      - .address_space:  global
        .offset:         48
        .size:           8
        .value_kind:     global_buffer
      - .offset:         56
        .size:           1
        .value_kind:     by_value
      - .offset:         57
        .size:           1
        .value_kind:     by_value
    .group_segment_fixed_size: 900
    .kernarg_segment_align: 8
    .kernarg_segment_size: 60
    .language:       OpenCL C
    .language_version:
      - 2
      - 0
    .max_flat_workgroup_size: 64
    .name:           _ZN9rocsolver6v33100L18getri_kernel_smallILi56E19rocblas_complex_numIfEPS3_EEvT1_iilPiilS6_bb
    .private_segment_fixed_size: 464
    .sgpr_count:     21
    .sgpr_spill_count: 0
    .symbol:         _ZN9rocsolver6v33100L18getri_kernel_smallILi56E19rocblas_complex_numIfEPS3_EEvT1_iilPiilS6_bb.kd
    .uniform_work_group_size: 1
    .uses_dynamic_stack: false
    .vgpr_count:     252
    .vgpr_spill_count: 0
    .wavefront_size: 32
    .workgroup_processor_mode: 1
  - .args:
      - .address_space:  global
        .offset:         0
        .size:           8
        .value_kind:     global_buffer
      - .offset:         8
        .size:           4
        .value_kind:     by_value
      - .offset:         12
        .size:           4
        .value_kind:     by_value
      - .offset:         16
        .size:           8
        .value_kind:     by_value
      - .address_space:  global
        .offset:         24
        .size:           8
        .value_kind:     global_buffer
      - .offset:         32
        .size:           4
        .value_kind:     by_value
      - .offset:         40
        .size:           8
        .value_kind:     by_value
      - .address_space:  global
        .offset:         48
        .size:           8
        .value_kind:     global_buffer
      - .offset:         56
        .size:           1
        .value_kind:     by_value
      - .offset:         57
        .size:           1
        .value_kind:     by_value
    .group_segment_fixed_size: 920
    .kernarg_segment_align: 8
    .kernarg_segment_size: 60
    .language:       OpenCL C
    .language_version:
      - 2
      - 0
    .max_flat_workgroup_size: 64
    .name:           _ZN9rocsolver6v33100L18getri_kernel_smallILi57E19rocblas_complex_numIfEPS3_EEvT1_iilPiilS6_bb
    .private_segment_fixed_size: 464
    .sgpr_count:     21
    .sgpr_spill_count: 0
    .symbol:         _ZN9rocsolver6v33100L18getri_kernel_smallILi57E19rocblas_complex_numIfEPS3_EEvT1_iilPiilS6_bb.kd
    .uniform_work_group_size: 1
    .uses_dynamic_stack: false
    .vgpr_count:     254
    .vgpr_spill_count: 0
    .wavefront_size: 32
    .workgroup_processor_mode: 1
  - .args:
      - .address_space:  global
        .offset:         0
        .size:           8
        .value_kind:     global_buffer
      - .offset:         8
        .size:           4
        .value_kind:     by_value
      - .offset:         12
        .size:           4
        .value_kind:     by_value
      - .offset:         16
        .size:           8
        .value_kind:     by_value
      - .address_space:  global
        .offset:         24
        .size:           8
        .value_kind:     global_buffer
      - .offset:         32
        .size:           4
        .value_kind:     by_value
      - .offset:         40
        .size:           8
        .value_kind:     by_value
      - .address_space:  global
        .offset:         48
        .size:           8
        .value_kind:     global_buffer
      - .offset:         56
        .size:           1
        .value_kind:     by_value
      - .offset:         57
        .size:           1
        .value_kind:     by_value
    .group_segment_fixed_size: 932
    .kernarg_segment_align: 8
    .kernarg_segment_size: 60
    .language:       OpenCL C
    .language_version:
      - 2
      - 0
    .max_flat_workgroup_size: 64
    .name:           _ZN9rocsolver6v33100L18getri_kernel_smallILi58E19rocblas_complex_numIfEPS3_EEvT1_iilPiilS6_bb
    .private_segment_fixed_size: 480
    .sgpr_count:     21
    .sgpr_spill_count: 0
    .symbol:         _ZN9rocsolver6v33100L18getri_kernel_smallILi58E19rocblas_complex_numIfEPS3_EEvT1_iilPiilS6_bb.kd
    .uniform_work_group_size: 1
    .uses_dynamic_stack: false
    .vgpr_count:     250
    .vgpr_spill_count: 0
    .wavefront_size: 32
    .workgroup_processor_mode: 1
  - .args:
      - .address_space:  global
        .offset:         0
        .size:           8
        .value_kind:     global_buffer
      - .offset:         8
        .size:           4
        .value_kind:     by_value
      - .offset:         12
        .size:           4
        .value_kind:     by_value
      - .offset:         16
        .size:           8
        .value_kind:     by_value
      - .address_space:  global
        .offset:         24
        .size:           8
        .value_kind:     global_buffer
      - .offset:         32
        .size:           4
        .value_kind:     by_value
      - .offset:         40
        .size:           8
        .value_kind:     by_value
      - .address_space:  global
        .offset:         48
        .size:           8
        .value_kind:     global_buffer
      - .offset:         56
        .size:           1
        .value_kind:     by_value
      - .offset:         57
        .size:           1
        .value_kind:     by_value
    .group_segment_fixed_size: 952
    .kernarg_segment_align: 8
    .kernarg_segment_size: 60
    .language:       OpenCL C
    .language_version:
      - 2
      - 0
    .max_flat_workgroup_size: 64
    .name:           _ZN9rocsolver6v33100L18getri_kernel_smallILi59E19rocblas_complex_numIfEPS3_EEvT1_iilPiilS6_bb
    .private_segment_fixed_size: 480
    .sgpr_count:     21
    .sgpr_spill_count: 0
    .symbol:         _ZN9rocsolver6v33100L18getri_kernel_smallILi59E19rocblas_complex_numIfEPS3_EEvT1_iilPiilS6_bb.kd
    .uniform_work_group_size: 1
    .uses_dynamic_stack: false
    .vgpr_count:     252
    .vgpr_spill_count: 0
    .wavefront_size: 32
    .workgroup_processor_mode: 1
  - .args:
      - .address_space:  global
        .offset:         0
        .size:           8
        .value_kind:     global_buffer
      - .offset:         8
        .size:           4
        .value_kind:     by_value
      - .offset:         12
        .size:           4
        .value_kind:     by_value
      - .offset:         16
        .size:           8
        .value_kind:     by_value
      - .address_space:  global
        .offset:         24
        .size:           8
        .value_kind:     global_buffer
      - .offset:         32
        .size:           4
        .value_kind:     by_value
      - .offset:         40
        .size:           8
        .value_kind:     by_value
      - .address_space:  global
        .offset:         48
        .size:           8
        .value_kind:     global_buffer
      - .offset:         56
        .size:           1
        .value_kind:     by_value
      - .offset:         57
        .size:           1
        .value_kind:     by_value
    .group_segment_fixed_size: 964
    .kernarg_segment_align: 8
    .kernarg_segment_size: 60
    .language:       OpenCL C
    .language_version:
      - 2
      - 0
    .max_flat_workgroup_size: 64
    .name:           _ZN9rocsolver6v33100L18getri_kernel_smallILi60E19rocblas_complex_numIfEPS3_EEvT1_iilPiilS6_bb
    .private_segment_fixed_size: 496
    .sgpr_count:     21
    .sgpr_spill_count: 0
    .symbol:         _ZN9rocsolver6v33100L18getri_kernel_smallILi60E19rocblas_complex_numIfEPS3_EEvT1_iilPiilS6_bb.kd
    .uniform_work_group_size: 1
    .uses_dynamic_stack: false
    .vgpr_count:     254
    .vgpr_spill_count: 0
    .wavefront_size: 32
    .workgroup_processor_mode: 1
  - .args:
      - .address_space:  global
        .offset:         0
        .size:           8
        .value_kind:     global_buffer
      - .offset:         8
        .size:           4
        .value_kind:     by_value
      - .offset:         12
        .size:           4
        .value_kind:     by_value
      - .offset:         16
        .size:           8
        .value_kind:     by_value
      - .address_space:  global
        .offset:         24
        .size:           8
        .value_kind:     global_buffer
      - .offset:         32
        .size:           4
        .value_kind:     by_value
      - .offset:         40
        .size:           8
        .value_kind:     by_value
      - .address_space:  global
        .offset:         48
        .size:           8
        .value_kind:     global_buffer
      - .offset:         56
        .size:           1
        .value_kind:     by_value
      - .offset:         57
        .size:           1
        .value_kind:     by_value
    .group_segment_fixed_size: 984
    .kernarg_segment_align: 8
    .kernarg_segment_size: 60
    .language:       OpenCL C
    .language_version:
      - 2
      - 0
    .max_flat_workgroup_size: 64
    .name:           _ZN9rocsolver6v33100L18getri_kernel_smallILi61E19rocblas_complex_numIfEPS3_EEvT1_iilPiilS6_bb
    .private_segment_fixed_size: 496
    .sgpr_count:     21
    .sgpr_spill_count: 0
    .symbol:         _ZN9rocsolver6v33100L18getri_kernel_smallILi61E19rocblas_complex_numIfEPS3_EEvT1_iilPiilS6_bb.kd
    .uniform_work_group_size: 1
    .uses_dynamic_stack: false
    .vgpr_count:     252
    .vgpr_spill_count: 0
    .wavefront_size: 32
    .workgroup_processor_mode: 1
  - .args:
      - .address_space:  global
        .offset:         0
        .size:           8
        .value_kind:     global_buffer
      - .offset:         8
        .size:           4
        .value_kind:     by_value
      - .offset:         12
        .size:           4
        .value_kind:     by_value
      - .offset:         16
        .size:           8
        .value_kind:     by_value
      - .address_space:  global
        .offset:         24
        .size:           8
        .value_kind:     global_buffer
      - .offset:         32
        .size:           4
        .value_kind:     by_value
      - .offset:         40
        .size:           8
        .value_kind:     by_value
      - .address_space:  global
        .offset:         48
        .size:           8
        .value_kind:     global_buffer
      - .offset:         56
        .size:           1
        .value_kind:     by_value
      - .offset:         57
        .size:           1
        .value_kind:     by_value
    .group_segment_fixed_size: 996
    .kernarg_segment_align: 8
    .kernarg_segment_size: 60
    .language:       OpenCL C
    .language_version:
      - 2
      - 0
    .max_flat_workgroup_size: 64
    .name:           _ZN9rocsolver6v33100L18getri_kernel_smallILi62E19rocblas_complex_numIfEPS3_EEvT1_iilPiilS6_bb
    .private_segment_fixed_size: 512
    .sgpr_count:     21
    .sgpr_spill_count: 0
    .symbol:         _ZN9rocsolver6v33100L18getri_kernel_smallILi62E19rocblas_complex_numIfEPS3_EEvT1_iilPiilS6_bb.kd
    .uniform_work_group_size: 1
    .uses_dynamic_stack: false
    .vgpr_count:     254
    .vgpr_spill_count: 0
    .wavefront_size: 32
    .workgroup_processor_mode: 1
  - .args:
      - .address_space:  global
        .offset:         0
        .size:           8
        .value_kind:     global_buffer
      - .offset:         8
        .size:           4
        .value_kind:     by_value
      - .offset:         12
        .size:           4
        .value_kind:     by_value
      - .offset:         16
        .size:           8
        .value_kind:     by_value
      - .address_space:  global
        .offset:         24
        .size:           8
        .value_kind:     global_buffer
      - .offset:         32
        .size:           4
        .value_kind:     by_value
      - .offset:         40
        .size:           8
        .value_kind:     by_value
      - .address_space:  global
        .offset:         48
        .size:           8
        .value_kind:     global_buffer
      - .offset:         56
        .size:           1
        .value_kind:     by_value
      - .offset:         57
        .size:           1
        .value_kind:     by_value
    .group_segment_fixed_size: 1016
    .kernarg_segment_align: 8
    .kernarg_segment_size: 60
    .language:       OpenCL C
    .language_version:
      - 2
      - 0
    .max_flat_workgroup_size: 64
    .name:           _ZN9rocsolver6v33100L18getri_kernel_smallILi63E19rocblas_complex_numIfEPS3_EEvT1_iilPiilS6_bb
    .private_segment_fixed_size: 512
    .sgpr_count:     21
    .sgpr_spill_count: 0
    .symbol:         _ZN9rocsolver6v33100L18getri_kernel_smallILi63E19rocblas_complex_numIfEPS3_EEvT1_iilPiilS6_bb.kd
    .uniform_work_group_size: 1
    .uses_dynamic_stack: false
    .vgpr_count:     253
    .vgpr_spill_count: 0
    .wavefront_size: 32
    .workgroup_processor_mode: 1
  - .args:
      - .address_space:  global
        .offset:         0
        .size:           8
        .value_kind:     global_buffer
      - .offset:         8
        .size:           4
        .value_kind:     by_value
      - .offset:         12
        .size:           4
        .value_kind:     by_value
      - .offset:         16
        .size:           8
        .value_kind:     by_value
      - .address_space:  global
        .offset:         24
        .size:           8
        .value_kind:     global_buffer
      - .offset:         32
        .size:           4
        .value_kind:     by_value
      - .offset:         40
        .size:           8
        .value_kind:     by_value
      - .address_space:  global
        .offset:         48
        .size:           8
        .value_kind:     global_buffer
      - .offset:         56
        .size:           1
        .value_kind:     by_value
      - .offset:         57
        .size:           1
        .value_kind:     by_value
    .group_segment_fixed_size: 1028
    .kernarg_segment_align: 8
    .kernarg_segment_size: 60
    .language:       OpenCL C
    .language_version:
      - 2
      - 0
    .max_flat_workgroup_size: 64
    .name:           _ZN9rocsolver6v33100L18getri_kernel_smallILi64E19rocblas_complex_numIfEPS3_EEvT1_iilPiilS6_bb
    .private_segment_fixed_size: 528
    .sgpr_count:     21
    .sgpr_spill_count: 0
    .symbol:         _ZN9rocsolver6v33100L18getri_kernel_smallILi64E19rocblas_complex_numIfEPS3_EEvT1_iilPiilS6_bb.kd
    .uniform_work_group_size: 1
    .uses_dynamic_stack: false
    .vgpr_count:     253
    .vgpr_spill_count: 0
    .wavefront_size: 32
    .workgroup_processor_mode: 1
  - .args:
      - .address_space:  global
        .offset:         0
        .size:           8
        .value_kind:     global_buffer
      - .offset:         8
        .size:           4
        .value_kind:     by_value
      - .offset:         12
        .size:           4
        .value_kind:     by_value
      - .offset:         16
        .size:           8
        .value_kind:     by_value
      - .address_space:  global
        .offset:         24
        .size:           8
        .value_kind:     global_buffer
      - .offset:         32
        .size:           4
        .value_kind:     by_value
      - .offset:         40
        .size:           8
        .value_kind:     by_value
      - .address_space:  global
        .offset:         48
        .size:           8
        .value_kind:     global_buffer
      - .offset:         56
        .size:           1
        .value_kind:     by_value
      - .offset:         57
        .size:           1
        .value_kind:     by_value
    .group_segment_fixed_size: 4
    .kernarg_segment_align: 8
    .kernarg_segment_size: 60
    .language:       OpenCL C
    .language_version:
      - 2
      - 0
    .max_flat_workgroup_size: 64
    .name:           _ZN9rocsolver6v33100L18getri_kernel_smallILi1E19rocblas_complex_numIfEPKPS3_EEvT1_iilPiilS8_bb
    .private_segment_fixed_size: 0
    .sgpr_count:     17
    .sgpr_spill_count: 0
    .symbol:         _ZN9rocsolver6v33100L18getri_kernel_smallILi1E19rocblas_complex_numIfEPKPS3_EEvT1_iilPiilS8_bb.kd
    .uniform_work_group_size: 1
    .uses_dynamic_stack: false
    .vgpr_count:     7
    .vgpr_spill_count: 0
    .wavefront_size: 32
    .workgroup_processor_mode: 1
  - .args:
      - .address_space:  global
        .offset:         0
        .size:           8
        .value_kind:     global_buffer
      - .offset:         8
        .size:           4
        .value_kind:     by_value
      - .offset:         12
        .size:           4
        .value_kind:     by_value
      - .offset:         16
        .size:           8
        .value_kind:     by_value
      - .address_space:  global
        .offset:         24
        .size:           8
        .value_kind:     global_buffer
      - .offset:         32
        .size:           4
        .value_kind:     by_value
      - .offset:         40
        .size:           8
        .value_kind:     by_value
      - .address_space:  global
        .offset:         48
        .size:           8
        .value_kind:     global_buffer
      - .offset:         56
        .size:           1
        .value_kind:     by_value
      - .offset:         57
        .size:           1
        .value_kind:     by_value
    .group_segment_fixed_size: 36
    .kernarg_segment_align: 8
    .kernarg_segment_size: 60
    .language:       OpenCL C
    .language_version:
      - 2
      - 0
    .max_flat_workgroup_size: 64
    .name:           _ZN9rocsolver6v33100L18getri_kernel_smallILi2E19rocblas_complex_numIfEPKPS3_EEvT1_iilPiilS8_bb
    .private_segment_fixed_size: 32
    .sgpr_count:     21
    .sgpr_spill_count: 0
    .symbol:         _ZN9rocsolver6v33100L18getri_kernel_smallILi2E19rocblas_complex_numIfEPKPS3_EEvT1_iilPiilS8_bb.kd
    .uniform_work_group_size: 1
    .uses_dynamic_stack: false
    .vgpr_count:     14
    .vgpr_spill_count: 0
    .wavefront_size: 32
    .workgroup_processor_mode: 1
  - .args:
      - .address_space:  global
        .offset:         0
        .size:           8
        .value_kind:     global_buffer
      - .offset:         8
        .size:           4
        .value_kind:     by_value
      - .offset:         12
        .size:           4
        .value_kind:     by_value
      - .offset:         16
        .size:           8
        .value_kind:     by_value
      - .address_space:  global
        .offset:         24
        .size:           8
        .value_kind:     global_buffer
      - .offset:         32
        .size:           4
        .value_kind:     by_value
      - .offset:         40
        .size:           8
        .value_kind:     by_value
      - .address_space:  global
        .offset:         48
        .size:           8
        .value_kind:     global_buffer
      - .offset:         56
        .size:           1
        .value_kind:     by_value
      - .offset:         57
        .size:           1
        .value_kind:     by_value
    .group_segment_fixed_size: 56
    .kernarg_segment_align: 8
    .kernarg_segment_size: 60
    .language:       OpenCL C
    .language_version:
      - 2
      - 0
    .max_flat_workgroup_size: 64
    .name:           _ZN9rocsolver6v33100L18getri_kernel_smallILi3E19rocblas_complex_numIfEPKPS3_EEvT1_iilPiilS8_bb
    .private_segment_fixed_size: 32
    .sgpr_count:     21
    .sgpr_spill_count: 0
    .symbol:         _ZN9rocsolver6v33100L18getri_kernel_smallILi3E19rocblas_complex_numIfEPKPS3_EEvT1_iilPiilS8_bb.kd
    .uniform_work_group_size: 1
    .uses_dynamic_stack: false
    .vgpr_count:     19
    .vgpr_spill_count: 0
    .wavefront_size: 32
    .workgroup_processor_mode: 1
  - .args:
      - .address_space:  global
        .offset:         0
        .size:           8
        .value_kind:     global_buffer
      - .offset:         8
        .size:           4
        .value_kind:     by_value
      - .offset:         12
        .size:           4
        .value_kind:     by_value
      - .offset:         16
        .size:           8
        .value_kind:     by_value
      - .address_space:  global
        .offset:         24
        .size:           8
        .value_kind:     global_buffer
      - .offset:         32
        .size:           4
        .value_kind:     by_value
      - .offset:         40
        .size:           8
        .value_kind:     by_value
      - .address_space:  global
        .offset:         48
        .size:           8
        .value_kind:     global_buffer
      - .offset:         56
        .size:           1
        .value_kind:     by_value
      - .offset:         57
        .size:           1
        .value_kind:     by_value
    .group_segment_fixed_size: 68
    .kernarg_segment_align: 8
    .kernarg_segment_size: 60
    .language:       OpenCL C
    .language_version:
      - 2
      - 0
    .max_flat_workgroup_size: 64
    .name:           _ZN9rocsolver6v33100L18getri_kernel_smallILi4E19rocblas_complex_numIfEPKPS3_EEvT1_iilPiilS8_bb
    .private_segment_fixed_size: 48
    .sgpr_count:     21
    .sgpr_spill_count: 0
    .symbol:         _ZN9rocsolver6v33100L18getri_kernel_smallILi4E19rocblas_complex_numIfEPKPS3_EEvT1_iilPiilS8_bb.kd
    .uniform_work_group_size: 1
    .uses_dynamic_stack: false
    .vgpr_count:     27
    .vgpr_spill_count: 0
    .wavefront_size: 32
    .workgroup_processor_mode: 1
  - .args:
      - .address_space:  global
        .offset:         0
        .size:           8
        .value_kind:     global_buffer
      - .offset:         8
        .size:           4
        .value_kind:     by_value
      - .offset:         12
        .size:           4
        .value_kind:     by_value
      - .offset:         16
        .size:           8
        .value_kind:     by_value
      - .address_space:  global
        .offset:         24
        .size:           8
        .value_kind:     global_buffer
      - .offset:         32
        .size:           4
        .value_kind:     by_value
      - .offset:         40
        .size:           8
        .value_kind:     by_value
      - .address_space:  global
        .offset:         48
        .size:           8
        .value_kind:     global_buffer
      - .offset:         56
        .size:           1
        .value_kind:     by_value
      - .offset:         57
        .size:           1
        .value_kind:     by_value
    .group_segment_fixed_size: 88
    .kernarg_segment_align: 8
    .kernarg_segment_size: 60
    .language:       OpenCL C
    .language_version:
      - 2
      - 0
    .max_flat_workgroup_size: 64
    .name:           _ZN9rocsolver6v33100L18getri_kernel_smallILi5E19rocblas_complex_numIfEPKPS3_EEvT1_iilPiilS8_bb
    .private_segment_fixed_size: 48
    .sgpr_count:     21
    .sgpr_spill_count: 0
    .symbol:         _ZN9rocsolver6v33100L18getri_kernel_smallILi5E19rocblas_complex_numIfEPKPS3_EEvT1_iilPiilS8_bb.kd
    .uniform_work_group_size: 1
    .uses_dynamic_stack: false
    .vgpr_count:     32
    .vgpr_spill_count: 0
    .wavefront_size: 32
    .workgroup_processor_mode: 1
  - .args:
      - .address_space:  global
        .offset:         0
        .size:           8
        .value_kind:     global_buffer
      - .offset:         8
        .size:           4
        .value_kind:     by_value
      - .offset:         12
        .size:           4
        .value_kind:     by_value
      - .offset:         16
        .size:           8
        .value_kind:     by_value
      - .address_space:  global
        .offset:         24
        .size:           8
        .value_kind:     global_buffer
      - .offset:         32
        .size:           4
        .value_kind:     by_value
      - .offset:         40
        .size:           8
        .value_kind:     by_value
      - .address_space:  global
        .offset:         48
        .size:           8
        .value_kind:     global_buffer
      - .offset:         56
        .size:           1
        .value_kind:     by_value
      - .offset:         57
        .size:           1
        .value_kind:     by_value
    .group_segment_fixed_size: 100
    .kernarg_segment_align: 8
    .kernarg_segment_size: 60
    .language:       OpenCL C
    .language_version:
      - 2
      - 0
    .max_flat_workgroup_size: 64
    .name:           _ZN9rocsolver6v33100L18getri_kernel_smallILi6E19rocblas_complex_numIfEPKPS3_EEvT1_iilPiilS8_bb
    .private_segment_fixed_size: 64
    .sgpr_count:     21
    .sgpr_spill_count: 0
    .symbol:         _ZN9rocsolver6v33100L18getri_kernel_smallILi6E19rocblas_complex_numIfEPKPS3_EEvT1_iilPiilS8_bb.kd
    .uniform_work_group_size: 1
    .uses_dynamic_stack: false
    .vgpr_count:     40
    .vgpr_spill_count: 0
    .wavefront_size: 32
    .workgroup_processor_mode: 1
  - .args:
      - .address_space:  global
        .offset:         0
        .size:           8
        .value_kind:     global_buffer
      - .offset:         8
        .size:           4
        .value_kind:     by_value
      - .offset:         12
        .size:           4
        .value_kind:     by_value
      - .offset:         16
        .size:           8
        .value_kind:     by_value
      - .address_space:  global
        .offset:         24
        .size:           8
        .value_kind:     global_buffer
      - .offset:         32
        .size:           4
        .value_kind:     by_value
      - .offset:         40
        .size:           8
        .value_kind:     by_value
      - .address_space:  global
        .offset:         48
        .size:           8
        .value_kind:     global_buffer
      - .offset:         56
        .size:           1
        .value_kind:     by_value
      - .offset:         57
        .size:           1
        .value_kind:     by_value
    .group_segment_fixed_size: 120
    .kernarg_segment_align: 8
    .kernarg_segment_size: 60
    .language:       OpenCL C
    .language_version:
      - 2
      - 0
    .max_flat_workgroup_size: 64
    .name:           _ZN9rocsolver6v33100L18getri_kernel_smallILi7E19rocblas_complex_numIfEPKPS3_EEvT1_iilPiilS8_bb
    .private_segment_fixed_size: 64
    .sgpr_count:     21
    .sgpr_spill_count: 0
    .symbol:         _ZN9rocsolver6v33100L18getri_kernel_smallILi7E19rocblas_complex_numIfEPKPS3_EEvT1_iilPiilS8_bb.kd
    .uniform_work_group_size: 1
    .uses_dynamic_stack: false
    .vgpr_count:     46
    .vgpr_spill_count: 0
    .wavefront_size: 32
    .workgroup_processor_mode: 1
  - .args:
      - .address_space:  global
        .offset:         0
        .size:           8
        .value_kind:     global_buffer
      - .offset:         8
        .size:           4
        .value_kind:     by_value
      - .offset:         12
        .size:           4
        .value_kind:     by_value
      - .offset:         16
        .size:           8
        .value_kind:     by_value
      - .address_space:  global
        .offset:         24
        .size:           8
        .value_kind:     global_buffer
      - .offset:         32
        .size:           4
        .value_kind:     by_value
      - .offset:         40
        .size:           8
        .value_kind:     by_value
      - .address_space:  global
        .offset:         48
        .size:           8
        .value_kind:     global_buffer
      - .offset:         56
        .size:           1
        .value_kind:     by_value
      - .offset:         57
        .size:           1
        .value_kind:     by_value
    .group_segment_fixed_size: 132
    .kernarg_segment_align: 8
    .kernarg_segment_size: 60
    .language:       OpenCL C
    .language_version:
      - 2
      - 0
    .max_flat_workgroup_size: 64
    .name:           _ZN9rocsolver6v33100L18getri_kernel_smallILi8E19rocblas_complex_numIfEPKPS3_EEvT1_iilPiilS8_bb
    .private_segment_fixed_size: 80
    .sgpr_count:     21
    .sgpr_spill_count: 0
    .symbol:         _ZN9rocsolver6v33100L18getri_kernel_smallILi8E19rocblas_complex_numIfEPKPS3_EEvT1_iilPiilS8_bb.kd
    .uniform_work_group_size: 1
    .uses_dynamic_stack: false
    .vgpr_count:     54
    .vgpr_spill_count: 0
    .wavefront_size: 32
    .workgroup_processor_mode: 1
  - .args:
      - .address_space:  global
        .offset:         0
        .size:           8
        .value_kind:     global_buffer
      - .offset:         8
        .size:           4
        .value_kind:     by_value
      - .offset:         12
        .size:           4
        .value_kind:     by_value
      - .offset:         16
        .size:           8
        .value_kind:     by_value
      - .address_space:  global
        .offset:         24
        .size:           8
        .value_kind:     global_buffer
      - .offset:         32
        .size:           4
        .value_kind:     by_value
      - .offset:         40
        .size:           8
        .value_kind:     by_value
      - .address_space:  global
        .offset:         48
        .size:           8
        .value_kind:     global_buffer
      - .offset:         56
        .size:           1
        .value_kind:     by_value
      - .offset:         57
        .size:           1
        .value_kind:     by_value
    .group_segment_fixed_size: 152
    .kernarg_segment_align: 8
    .kernarg_segment_size: 60
    .language:       OpenCL C
    .language_version:
      - 2
      - 0
    .max_flat_workgroup_size: 64
    .name:           _ZN9rocsolver6v33100L18getri_kernel_smallILi9E19rocblas_complex_numIfEPKPS3_EEvT1_iilPiilS8_bb
    .private_segment_fixed_size: 80
    .sgpr_count:     21
    .sgpr_spill_count: 0
    .symbol:         _ZN9rocsolver6v33100L18getri_kernel_smallILi9E19rocblas_complex_numIfEPKPS3_EEvT1_iilPiilS8_bb.kd
    .uniform_work_group_size: 1
    .uses_dynamic_stack: false
    .vgpr_count:     60
    .vgpr_spill_count: 0
    .wavefront_size: 32
    .workgroup_processor_mode: 1
  - .args:
      - .address_space:  global
        .offset:         0
        .size:           8
        .value_kind:     global_buffer
      - .offset:         8
        .size:           4
        .value_kind:     by_value
      - .offset:         12
        .size:           4
        .value_kind:     by_value
      - .offset:         16
        .size:           8
        .value_kind:     by_value
      - .address_space:  global
        .offset:         24
        .size:           8
        .value_kind:     global_buffer
      - .offset:         32
        .size:           4
        .value_kind:     by_value
      - .offset:         40
        .size:           8
        .value_kind:     by_value
      - .address_space:  global
        .offset:         48
        .size:           8
        .value_kind:     global_buffer
      - .offset:         56
        .size:           1
        .value_kind:     by_value
      - .offset:         57
        .size:           1
        .value_kind:     by_value
    .group_segment_fixed_size: 164
    .kernarg_segment_align: 8
    .kernarg_segment_size: 60
    .language:       OpenCL C
    .language_version:
      - 2
      - 0
    .max_flat_workgroup_size: 64
    .name:           _ZN9rocsolver6v33100L18getri_kernel_smallILi10E19rocblas_complex_numIfEPKPS3_EEvT1_iilPiilS8_bb
    .private_segment_fixed_size: 96
    .sgpr_count:     21
    .sgpr_spill_count: 0
    .symbol:         _ZN9rocsolver6v33100L18getri_kernel_smallILi10E19rocblas_complex_numIfEPKPS3_EEvT1_iilPiilS8_bb.kd
    .uniform_work_group_size: 1
    .uses_dynamic_stack: false
    .vgpr_count:     68
    .vgpr_spill_count: 0
    .wavefront_size: 32
    .workgroup_processor_mode: 1
  - .args:
      - .address_space:  global
        .offset:         0
        .size:           8
        .value_kind:     global_buffer
      - .offset:         8
        .size:           4
        .value_kind:     by_value
      - .offset:         12
        .size:           4
        .value_kind:     by_value
      - .offset:         16
        .size:           8
        .value_kind:     by_value
      - .address_space:  global
        .offset:         24
        .size:           8
        .value_kind:     global_buffer
      - .offset:         32
        .size:           4
        .value_kind:     by_value
      - .offset:         40
        .size:           8
        .value_kind:     by_value
      - .address_space:  global
        .offset:         48
        .size:           8
        .value_kind:     global_buffer
      - .offset:         56
        .size:           1
        .value_kind:     by_value
      - .offset:         57
        .size:           1
        .value_kind:     by_value
    .group_segment_fixed_size: 184
    .kernarg_segment_align: 8
    .kernarg_segment_size: 60
    .language:       OpenCL C
    .language_version:
      - 2
      - 0
    .max_flat_workgroup_size: 64
    .name:           _ZN9rocsolver6v33100L18getri_kernel_smallILi11E19rocblas_complex_numIfEPKPS3_EEvT1_iilPiilS8_bb
    .private_segment_fixed_size: 96
    .sgpr_count:     21
    .sgpr_spill_count: 0
    .symbol:         _ZN9rocsolver6v33100L18getri_kernel_smallILi11E19rocblas_complex_numIfEPKPS3_EEvT1_iilPiilS8_bb.kd
    .uniform_work_group_size: 1
    .uses_dynamic_stack: false
    .vgpr_count:     74
    .vgpr_spill_count: 0
    .wavefront_size: 32
    .workgroup_processor_mode: 1
  - .args:
      - .address_space:  global
        .offset:         0
        .size:           8
        .value_kind:     global_buffer
      - .offset:         8
        .size:           4
        .value_kind:     by_value
      - .offset:         12
        .size:           4
        .value_kind:     by_value
      - .offset:         16
        .size:           8
        .value_kind:     by_value
      - .address_space:  global
        .offset:         24
        .size:           8
        .value_kind:     global_buffer
      - .offset:         32
        .size:           4
        .value_kind:     by_value
      - .offset:         40
        .size:           8
        .value_kind:     by_value
      - .address_space:  global
        .offset:         48
        .size:           8
        .value_kind:     global_buffer
      - .offset:         56
        .size:           1
        .value_kind:     by_value
      - .offset:         57
        .size:           1
        .value_kind:     by_value
    .group_segment_fixed_size: 196
    .kernarg_segment_align: 8
    .kernarg_segment_size: 60
    .language:       OpenCL C
    .language_version:
      - 2
      - 0
    .max_flat_workgroup_size: 64
    .name:           _ZN9rocsolver6v33100L18getri_kernel_smallILi12E19rocblas_complex_numIfEPKPS3_EEvT1_iilPiilS8_bb
    .private_segment_fixed_size: 112
    .sgpr_count:     21
    .sgpr_spill_count: 0
    .symbol:         _ZN9rocsolver6v33100L18getri_kernel_smallILi12E19rocblas_complex_numIfEPKPS3_EEvT1_iilPiilS8_bb.kd
    .uniform_work_group_size: 1
    .uses_dynamic_stack: false
    .vgpr_count:     82
    .vgpr_spill_count: 0
    .wavefront_size: 32
    .workgroup_processor_mode: 1
  - .args:
      - .address_space:  global
        .offset:         0
        .size:           8
        .value_kind:     global_buffer
      - .offset:         8
        .size:           4
        .value_kind:     by_value
      - .offset:         12
        .size:           4
        .value_kind:     by_value
      - .offset:         16
        .size:           8
        .value_kind:     by_value
      - .address_space:  global
        .offset:         24
        .size:           8
        .value_kind:     global_buffer
      - .offset:         32
        .size:           4
        .value_kind:     by_value
      - .offset:         40
        .size:           8
        .value_kind:     by_value
      - .address_space:  global
        .offset:         48
        .size:           8
        .value_kind:     global_buffer
      - .offset:         56
        .size:           1
        .value_kind:     by_value
      - .offset:         57
        .size:           1
        .value_kind:     by_value
    .group_segment_fixed_size: 216
    .kernarg_segment_align: 8
    .kernarg_segment_size: 60
    .language:       OpenCL C
    .language_version:
      - 2
      - 0
    .max_flat_workgroup_size: 64
    .name:           _ZN9rocsolver6v33100L18getri_kernel_smallILi13E19rocblas_complex_numIfEPKPS3_EEvT1_iilPiilS8_bb
    .private_segment_fixed_size: 112
    .sgpr_count:     21
    .sgpr_spill_count: 0
    .symbol:         _ZN9rocsolver6v33100L18getri_kernel_smallILi13E19rocblas_complex_numIfEPKPS3_EEvT1_iilPiilS8_bb.kd
    .uniform_work_group_size: 1
    .uses_dynamic_stack: false
    .vgpr_count:     88
    .vgpr_spill_count: 0
    .wavefront_size: 32
    .workgroup_processor_mode: 1
  - .args:
      - .address_space:  global
        .offset:         0
        .size:           8
        .value_kind:     global_buffer
      - .offset:         8
        .size:           4
        .value_kind:     by_value
      - .offset:         12
        .size:           4
        .value_kind:     by_value
      - .offset:         16
        .size:           8
        .value_kind:     by_value
      - .address_space:  global
        .offset:         24
        .size:           8
        .value_kind:     global_buffer
      - .offset:         32
        .size:           4
        .value_kind:     by_value
      - .offset:         40
        .size:           8
        .value_kind:     by_value
      - .address_space:  global
        .offset:         48
        .size:           8
        .value_kind:     global_buffer
      - .offset:         56
        .size:           1
        .value_kind:     by_value
      - .offset:         57
        .size:           1
        .value_kind:     by_value
    .group_segment_fixed_size: 228
    .kernarg_segment_align: 8
    .kernarg_segment_size: 60
    .language:       OpenCL C
    .language_version:
      - 2
      - 0
    .max_flat_workgroup_size: 64
    .name:           _ZN9rocsolver6v33100L18getri_kernel_smallILi14E19rocblas_complex_numIfEPKPS3_EEvT1_iilPiilS8_bb
    .private_segment_fixed_size: 128
    .sgpr_count:     21
    .sgpr_spill_count: 0
    .symbol:         _ZN9rocsolver6v33100L18getri_kernel_smallILi14E19rocblas_complex_numIfEPKPS3_EEvT1_iilPiilS8_bb.kd
    .uniform_work_group_size: 1
    .uses_dynamic_stack: false
    .vgpr_count:     96
    .vgpr_spill_count: 0
    .wavefront_size: 32
    .workgroup_processor_mode: 1
  - .args:
      - .address_space:  global
        .offset:         0
        .size:           8
        .value_kind:     global_buffer
      - .offset:         8
        .size:           4
        .value_kind:     by_value
      - .offset:         12
        .size:           4
        .value_kind:     by_value
      - .offset:         16
        .size:           8
        .value_kind:     by_value
      - .address_space:  global
        .offset:         24
        .size:           8
        .value_kind:     global_buffer
      - .offset:         32
        .size:           4
        .value_kind:     by_value
      - .offset:         40
        .size:           8
        .value_kind:     by_value
      - .address_space:  global
        .offset:         48
        .size:           8
        .value_kind:     global_buffer
      - .offset:         56
        .size:           1
        .value_kind:     by_value
      - .offset:         57
        .size:           1
        .value_kind:     by_value
    .group_segment_fixed_size: 248
    .kernarg_segment_align: 8
    .kernarg_segment_size: 60
    .language:       OpenCL C
    .language_version:
      - 2
      - 0
    .max_flat_workgroup_size: 64
    .name:           _ZN9rocsolver6v33100L18getri_kernel_smallILi15E19rocblas_complex_numIfEPKPS3_EEvT1_iilPiilS8_bb
    .private_segment_fixed_size: 128
    .sgpr_count:     21
    .sgpr_spill_count: 0
    .symbol:         _ZN9rocsolver6v33100L18getri_kernel_smallILi15E19rocblas_complex_numIfEPKPS3_EEvT1_iilPiilS8_bb.kd
    .uniform_work_group_size: 1
    .uses_dynamic_stack: false
    .vgpr_count:     102
    .vgpr_spill_count: 0
    .wavefront_size: 32
    .workgroup_processor_mode: 1
  - .args:
      - .address_space:  global
        .offset:         0
        .size:           8
        .value_kind:     global_buffer
      - .offset:         8
        .size:           4
        .value_kind:     by_value
      - .offset:         12
        .size:           4
        .value_kind:     by_value
      - .offset:         16
        .size:           8
        .value_kind:     by_value
      - .address_space:  global
        .offset:         24
        .size:           8
        .value_kind:     global_buffer
      - .offset:         32
        .size:           4
        .value_kind:     by_value
      - .offset:         40
        .size:           8
        .value_kind:     by_value
      - .address_space:  global
        .offset:         48
        .size:           8
        .value_kind:     global_buffer
      - .offset:         56
        .size:           1
        .value_kind:     by_value
      - .offset:         57
        .size:           1
        .value_kind:     by_value
    .group_segment_fixed_size: 260
    .kernarg_segment_align: 8
    .kernarg_segment_size: 60
    .language:       OpenCL C
    .language_version:
      - 2
      - 0
    .max_flat_workgroup_size: 64
    .name:           _ZN9rocsolver6v33100L18getri_kernel_smallILi16E19rocblas_complex_numIfEPKPS3_EEvT1_iilPiilS8_bb
    .private_segment_fixed_size: 144
    .sgpr_count:     21
    .sgpr_spill_count: 0
    .symbol:         _ZN9rocsolver6v33100L18getri_kernel_smallILi16E19rocblas_complex_numIfEPKPS3_EEvT1_iilPiilS8_bb.kd
    .uniform_work_group_size: 1
    .uses_dynamic_stack: false
    .vgpr_count:     110
    .vgpr_spill_count: 0
    .wavefront_size: 32
    .workgroup_processor_mode: 1
  - .args:
      - .address_space:  global
        .offset:         0
        .size:           8
        .value_kind:     global_buffer
      - .offset:         8
        .size:           4
        .value_kind:     by_value
      - .offset:         12
        .size:           4
        .value_kind:     by_value
      - .offset:         16
        .size:           8
        .value_kind:     by_value
      - .address_space:  global
        .offset:         24
        .size:           8
        .value_kind:     global_buffer
      - .offset:         32
        .size:           4
        .value_kind:     by_value
      - .offset:         40
        .size:           8
        .value_kind:     by_value
      - .address_space:  global
        .offset:         48
        .size:           8
        .value_kind:     global_buffer
      - .offset:         56
        .size:           1
        .value_kind:     by_value
      - .offset:         57
        .size:           1
        .value_kind:     by_value
    .group_segment_fixed_size: 280
    .kernarg_segment_align: 8
    .kernarg_segment_size: 60
    .language:       OpenCL C
    .language_version:
      - 2
      - 0
    .max_flat_workgroup_size: 64
    .name:           _ZN9rocsolver6v33100L18getri_kernel_smallILi17E19rocblas_complex_numIfEPKPS3_EEvT1_iilPiilS8_bb
    .private_segment_fixed_size: 144
    .sgpr_count:     21
    .sgpr_spill_count: 0
    .symbol:         _ZN9rocsolver6v33100L18getri_kernel_smallILi17E19rocblas_complex_numIfEPKPS3_EEvT1_iilPiilS8_bb.kd
    .uniform_work_group_size: 1
    .uses_dynamic_stack: false
    .vgpr_count:     116
    .vgpr_spill_count: 0
    .wavefront_size: 32
    .workgroup_processor_mode: 1
  - .args:
      - .address_space:  global
        .offset:         0
        .size:           8
        .value_kind:     global_buffer
      - .offset:         8
        .size:           4
        .value_kind:     by_value
      - .offset:         12
        .size:           4
        .value_kind:     by_value
      - .offset:         16
        .size:           8
        .value_kind:     by_value
      - .address_space:  global
        .offset:         24
        .size:           8
        .value_kind:     global_buffer
      - .offset:         32
        .size:           4
        .value_kind:     by_value
      - .offset:         40
        .size:           8
        .value_kind:     by_value
      - .address_space:  global
        .offset:         48
        .size:           8
        .value_kind:     global_buffer
      - .offset:         56
        .size:           1
        .value_kind:     by_value
      - .offset:         57
        .size:           1
        .value_kind:     by_value
    .group_segment_fixed_size: 292
    .kernarg_segment_align: 8
    .kernarg_segment_size: 60
    .language:       OpenCL C
    .language_version:
      - 2
      - 0
    .max_flat_workgroup_size: 64
    .name:           _ZN9rocsolver6v33100L18getri_kernel_smallILi18E19rocblas_complex_numIfEPKPS3_EEvT1_iilPiilS8_bb
    .private_segment_fixed_size: 160
    .sgpr_count:     21
    .sgpr_spill_count: 0
    .symbol:         _ZN9rocsolver6v33100L18getri_kernel_smallILi18E19rocblas_complex_numIfEPKPS3_EEvT1_iilPiilS8_bb.kd
    .uniform_work_group_size: 1
    .uses_dynamic_stack: false
    .vgpr_count:     124
    .vgpr_spill_count: 0
    .wavefront_size: 32
    .workgroup_processor_mode: 1
  - .args:
      - .address_space:  global
        .offset:         0
        .size:           8
        .value_kind:     global_buffer
      - .offset:         8
        .size:           4
        .value_kind:     by_value
      - .offset:         12
        .size:           4
        .value_kind:     by_value
      - .offset:         16
        .size:           8
        .value_kind:     by_value
      - .address_space:  global
        .offset:         24
        .size:           8
        .value_kind:     global_buffer
      - .offset:         32
        .size:           4
        .value_kind:     by_value
      - .offset:         40
        .size:           8
        .value_kind:     by_value
      - .address_space:  global
        .offset:         48
        .size:           8
        .value_kind:     global_buffer
      - .offset:         56
        .size:           1
        .value_kind:     by_value
      - .offset:         57
        .size:           1
        .value_kind:     by_value
    .group_segment_fixed_size: 312
    .kernarg_segment_align: 8
    .kernarg_segment_size: 60
    .language:       OpenCL C
    .language_version:
      - 2
      - 0
    .max_flat_workgroup_size: 64
    .name:           _ZN9rocsolver6v33100L18getri_kernel_smallILi19E19rocblas_complex_numIfEPKPS3_EEvT1_iilPiilS8_bb
    .private_segment_fixed_size: 160
    .sgpr_count:     21
    .sgpr_spill_count: 0
    .symbol:         _ZN9rocsolver6v33100L18getri_kernel_smallILi19E19rocblas_complex_numIfEPKPS3_EEvT1_iilPiilS8_bb.kd
    .uniform_work_group_size: 1
    .uses_dynamic_stack: false
    .vgpr_count:     130
    .vgpr_spill_count: 0
    .wavefront_size: 32
    .workgroup_processor_mode: 1
  - .args:
      - .address_space:  global
        .offset:         0
        .size:           8
        .value_kind:     global_buffer
      - .offset:         8
        .size:           4
        .value_kind:     by_value
      - .offset:         12
        .size:           4
        .value_kind:     by_value
      - .offset:         16
        .size:           8
        .value_kind:     by_value
      - .address_space:  global
        .offset:         24
        .size:           8
        .value_kind:     global_buffer
      - .offset:         32
        .size:           4
        .value_kind:     by_value
      - .offset:         40
        .size:           8
        .value_kind:     by_value
      - .address_space:  global
        .offset:         48
        .size:           8
        .value_kind:     global_buffer
      - .offset:         56
        .size:           1
        .value_kind:     by_value
      - .offset:         57
        .size:           1
        .value_kind:     by_value
    .group_segment_fixed_size: 324
    .kernarg_segment_align: 8
    .kernarg_segment_size: 60
    .language:       OpenCL C
    .language_version:
      - 2
      - 0
    .max_flat_workgroup_size: 64
    .name:           _ZN9rocsolver6v33100L18getri_kernel_smallILi20E19rocblas_complex_numIfEPKPS3_EEvT1_iilPiilS8_bb
    .private_segment_fixed_size: 176
    .sgpr_count:     21
    .sgpr_spill_count: 0
    .symbol:         _ZN9rocsolver6v33100L18getri_kernel_smallILi20E19rocblas_complex_numIfEPKPS3_EEvT1_iilPiilS8_bb.kd
    .uniform_work_group_size: 1
    .uses_dynamic_stack: false
    .vgpr_count:     138
    .vgpr_spill_count: 0
    .wavefront_size: 32
    .workgroup_processor_mode: 1
  - .args:
      - .address_space:  global
        .offset:         0
        .size:           8
        .value_kind:     global_buffer
      - .offset:         8
        .size:           4
        .value_kind:     by_value
      - .offset:         12
        .size:           4
        .value_kind:     by_value
      - .offset:         16
        .size:           8
        .value_kind:     by_value
      - .address_space:  global
        .offset:         24
        .size:           8
        .value_kind:     global_buffer
      - .offset:         32
        .size:           4
        .value_kind:     by_value
      - .offset:         40
        .size:           8
        .value_kind:     by_value
      - .address_space:  global
        .offset:         48
        .size:           8
        .value_kind:     global_buffer
      - .offset:         56
        .size:           1
        .value_kind:     by_value
      - .offset:         57
        .size:           1
        .value_kind:     by_value
    .group_segment_fixed_size: 344
    .kernarg_segment_align: 8
    .kernarg_segment_size: 60
    .language:       OpenCL C
    .language_version:
      - 2
      - 0
    .max_flat_workgroup_size: 64
    .name:           _ZN9rocsolver6v33100L18getri_kernel_smallILi21E19rocblas_complex_numIfEPKPS3_EEvT1_iilPiilS8_bb
    .private_segment_fixed_size: 176
    .sgpr_count:     21
    .sgpr_spill_count: 0
    .symbol:         _ZN9rocsolver6v33100L18getri_kernel_smallILi21E19rocblas_complex_numIfEPKPS3_EEvT1_iilPiilS8_bb.kd
    .uniform_work_group_size: 1
    .uses_dynamic_stack: false
    .vgpr_count:     144
    .vgpr_spill_count: 0
    .wavefront_size: 32
    .workgroup_processor_mode: 1
  - .args:
      - .address_space:  global
        .offset:         0
        .size:           8
        .value_kind:     global_buffer
      - .offset:         8
        .size:           4
        .value_kind:     by_value
      - .offset:         12
        .size:           4
        .value_kind:     by_value
      - .offset:         16
        .size:           8
        .value_kind:     by_value
      - .address_space:  global
        .offset:         24
        .size:           8
        .value_kind:     global_buffer
      - .offset:         32
        .size:           4
        .value_kind:     by_value
      - .offset:         40
        .size:           8
        .value_kind:     by_value
      - .address_space:  global
        .offset:         48
        .size:           8
        .value_kind:     global_buffer
      - .offset:         56
        .size:           1
        .value_kind:     by_value
      - .offset:         57
        .size:           1
        .value_kind:     by_value
    .group_segment_fixed_size: 356
    .kernarg_segment_align: 8
    .kernarg_segment_size: 60
    .language:       OpenCL C
    .language_version:
      - 2
      - 0
    .max_flat_workgroup_size: 64
    .name:           _ZN9rocsolver6v33100L18getri_kernel_smallILi22E19rocblas_complex_numIfEPKPS3_EEvT1_iilPiilS8_bb
    .private_segment_fixed_size: 192
    .sgpr_count:     21
    .sgpr_spill_count: 0
    .symbol:         _ZN9rocsolver6v33100L18getri_kernel_smallILi22E19rocblas_complex_numIfEPKPS3_EEvT1_iilPiilS8_bb.kd
    .uniform_work_group_size: 1
    .uses_dynamic_stack: false
    .vgpr_count:     152
    .vgpr_spill_count: 0
    .wavefront_size: 32
    .workgroup_processor_mode: 1
  - .args:
      - .address_space:  global
        .offset:         0
        .size:           8
        .value_kind:     global_buffer
      - .offset:         8
        .size:           4
        .value_kind:     by_value
      - .offset:         12
        .size:           4
        .value_kind:     by_value
      - .offset:         16
        .size:           8
        .value_kind:     by_value
      - .address_space:  global
        .offset:         24
        .size:           8
        .value_kind:     global_buffer
      - .offset:         32
        .size:           4
        .value_kind:     by_value
      - .offset:         40
        .size:           8
        .value_kind:     by_value
      - .address_space:  global
        .offset:         48
        .size:           8
        .value_kind:     global_buffer
      - .offset:         56
        .size:           1
        .value_kind:     by_value
      - .offset:         57
        .size:           1
        .value_kind:     by_value
    .group_segment_fixed_size: 376
    .kernarg_segment_align: 8
    .kernarg_segment_size: 60
    .language:       OpenCL C
    .language_version:
      - 2
      - 0
    .max_flat_workgroup_size: 64
    .name:           _ZN9rocsolver6v33100L18getri_kernel_smallILi23E19rocblas_complex_numIfEPKPS3_EEvT1_iilPiilS8_bb
    .private_segment_fixed_size: 192
    .sgpr_count:     21
    .sgpr_spill_count: 0
    .symbol:         _ZN9rocsolver6v33100L18getri_kernel_smallILi23E19rocblas_complex_numIfEPKPS3_EEvT1_iilPiilS8_bb.kd
    .uniform_work_group_size: 1
    .uses_dynamic_stack: false
    .vgpr_count:     158
    .vgpr_spill_count: 0
    .wavefront_size: 32
    .workgroup_processor_mode: 1
  - .args:
      - .address_space:  global
        .offset:         0
        .size:           8
        .value_kind:     global_buffer
      - .offset:         8
        .size:           4
        .value_kind:     by_value
      - .offset:         12
        .size:           4
        .value_kind:     by_value
      - .offset:         16
        .size:           8
        .value_kind:     by_value
      - .address_space:  global
        .offset:         24
        .size:           8
        .value_kind:     global_buffer
      - .offset:         32
        .size:           4
        .value_kind:     by_value
      - .offset:         40
        .size:           8
        .value_kind:     by_value
      - .address_space:  global
        .offset:         48
        .size:           8
        .value_kind:     global_buffer
      - .offset:         56
        .size:           1
        .value_kind:     by_value
      - .offset:         57
        .size:           1
        .value_kind:     by_value
    .group_segment_fixed_size: 388
    .kernarg_segment_align: 8
    .kernarg_segment_size: 60
    .language:       OpenCL C
    .language_version:
      - 2
      - 0
    .max_flat_workgroup_size: 64
    .name:           _ZN9rocsolver6v33100L18getri_kernel_smallILi24E19rocblas_complex_numIfEPKPS3_EEvT1_iilPiilS8_bb
    .private_segment_fixed_size: 208
    .sgpr_count:     21
    .sgpr_spill_count: 0
    .symbol:         _ZN9rocsolver6v33100L18getri_kernel_smallILi24E19rocblas_complex_numIfEPKPS3_EEvT1_iilPiilS8_bb.kd
    .uniform_work_group_size: 1
    .uses_dynamic_stack: false
    .vgpr_count:     166
    .vgpr_spill_count: 0
    .wavefront_size: 32
    .workgroup_processor_mode: 1
  - .args:
      - .address_space:  global
        .offset:         0
        .size:           8
        .value_kind:     global_buffer
      - .offset:         8
        .size:           4
        .value_kind:     by_value
      - .offset:         12
        .size:           4
        .value_kind:     by_value
      - .offset:         16
        .size:           8
        .value_kind:     by_value
      - .address_space:  global
        .offset:         24
        .size:           8
        .value_kind:     global_buffer
      - .offset:         32
        .size:           4
        .value_kind:     by_value
      - .offset:         40
        .size:           8
        .value_kind:     by_value
      - .address_space:  global
        .offset:         48
        .size:           8
        .value_kind:     global_buffer
      - .offset:         56
        .size:           1
        .value_kind:     by_value
      - .offset:         57
        .size:           1
        .value_kind:     by_value
    .group_segment_fixed_size: 408
    .kernarg_segment_align: 8
    .kernarg_segment_size: 60
    .language:       OpenCL C
    .language_version:
      - 2
      - 0
    .max_flat_workgroup_size: 64
    .name:           _ZN9rocsolver6v33100L18getri_kernel_smallILi25E19rocblas_complex_numIfEPKPS3_EEvT1_iilPiilS8_bb
    .private_segment_fixed_size: 208
    .sgpr_count:     21
    .sgpr_spill_count: 0
    .symbol:         _ZN9rocsolver6v33100L18getri_kernel_smallILi25E19rocblas_complex_numIfEPKPS3_EEvT1_iilPiilS8_bb.kd
    .uniform_work_group_size: 1
    .uses_dynamic_stack: false
    .vgpr_count:     172
    .vgpr_spill_count: 0
    .wavefront_size: 32
    .workgroup_processor_mode: 1
  - .args:
      - .address_space:  global
        .offset:         0
        .size:           8
        .value_kind:     global_buffer
      - .offset:         8
        .size:           4
        .value_kind:     by_value
      - .offset:         12
        .size:           4
        .value_kind:     by_value
      - .offset:         16
        .size:           8
        .value_kind:     by_value
      - .address_space:  global
        .offset:         24
        .size:           8
        .value_kind:     global_buffer
      - .offset:         32
        .size:           4
        .value_kind:     by_value
      - .offset:         40
        .size:           8
        .value_kind:     by_value
      - .address_space:  global
        .offset:         48
        .size:           8
        .value_kind:     global_buffer
      - .offset:         56
        .size:           1
        .value_kind:     by_value
      - .offset:         57
        .size:           1
        .value_kind:     by_value
    .group_segment_fixed_size: 420
    .kernarg_segment_align: 8
    .kernarg_segment_size: 60
    .language:       OpenCL C
    .language_version:
      - 2
      - 0
    .max_flat_workgroup_size: 64
    .name:           _ZN9rocsolver6v33100L18getri_kernel_smallILi26E19rocblas_complex_numIfEPKPS3_EEvT1_iilPiilS8_bb
    .private_segment_fixed_size: 224
    .sgpr_count:     21
    .sgpr_spill_count: 0
    .symbol:         _ZN9rocsolver6v33100L18getri_kernel_smallILi26E19rocblas_complex_numIfEPKPS3_EEvT1_iilPiilS8_bb.kd
    .uniform_work_group_size: 1
    .uses_dynamic_stack: false
    .vgpr_count:     180
    .vgpr_spill_count: 0
    .wavefront_size: 32
    .workgroup_processor_mode: 1
  - .args:
      - .address_space:  global
        .offset:         0
        .size:           8
        .value_kind:     global_buffer
      - .offset:         8
        .size:           4
        .value_kind:     by_value
      - .offset:         12
        .size:           4
        .value_kind:     by_value
      - .offset:         16
        .size:           8
        .value_kind:     by_value
      - .address_space:  global
        .offset:         24
        .size:           8
        .value_kind:     global_buffer
      - .offset:         32
        .size:           4
        .value_kind:     by_value
      - .offset:         40
        .size:           8
        .value_kind:     by_value
      - .address_space:  global
        .offset:         48
        .size:           8
        .value_kind:     global_buffer
      - .offset:         56
        .size:           1
        .value_kind:     by_value
      - .offset:         57
        .size:           1
        .value_kind:     by_value
    .group_segment_fixed_size: 440
    .kernarg_segment_align: 8
    .kernarg_segment_size: 60
    .language:       OpenCL C
    .language_version:
      - 2
      - 0
    .max_flat_workgroup_size: 64
    .name:           _ZN9rocsolver6v33100L18getri_kernel_smallILi27E19rocblas_complex_numIfEPKPS3_EEvT1_iilPiilS8_bb
    .private_segment_fixed_size: 224
    .sgpr_count:     21
    .sgpr_spill_count: 0
    .symbol:         _ZN9rocsolver6v33100L18getri_kernel_smallILi27E19rocblas_complex_numIfEPKPS3_EEvT1_iilPiilS8_bb.kd
    .uniform_work_group_size: 1
    .uses_dynamic_stack: false
    .vgpr_count:     186
    .vgpr_spill_count: 0
    .wavefront_size: 32
    .workgroup_processor_mode: 1
  - .args:
      - .address_space:  global
        .offset:         0
        .size:           8
        .value_kind:     global_buffer
      - .offset:         8
        .size:           4
        .value_kind:     by_value
      - .offset:         12
        .size:           4
        .value_kind:     by_value
      - .offset:         16
        .size:           8
        .value_kind:     by_value
      - .address_space:  global
        .offset:         24
        .size:           8
        .value_kind:     global_buffer
      - .offset:         32
        .size:           4
        .value_kind:     by_value
      - .offset:         40
        .size:           8
        .value_kind:     by_value
      - .address_space:  global
        .offset:         48
        .size:           8
        .value_kind:     global_buffer
      - .offset:         56
        .size:           1
        .value_kind:     by_value
      - .offset:         57
        .size:           1
        .value_kind:     by_value
    .group_segment_fixed_size: 452
    .kernarg_segment_align: 8
    .kernarg_segment_size: 60
    .language:       OpenCL C
    .language_version:
      - 2
      - 0
    .max_flat_workgroup_size: 64
    .name:           _ZN9rocsolver6v33100L18getri_kernel_smallILi28E19rocblas_complex_numIfEPKPS3_EEvT1_iilPiilS8_bb
    .private_segment_fixed_size: 240
    .sgpr_count:     21
    .sgpr_spill_count: 0
    .symbol:         _ZN9rocsolver6v33100L18getri_kernel_smallILi28E19rocblas_complex_numIfEPKPS3_EEvT1_iilPiilS8_bb.kd
    .uniform_work_group_size: 1
    .uses_dynamic_stack: false
    .vgpr_count:     194
    .vgpr_spill_count: 0
    .wavefront_size: 32
    .workgroup_processor_mode: 1
  - .args:
      - .address_space:  global
        .offset:         0
        .size:           8
        .value_kind:     global_buffer
      - .offset:         8
        .size:           4
        .value_kind:     by_value
      - .offset:         12
        .size:           4
        .value_kind:     by_value
      - .offset:         16
        .size:           8
        .value_kind:     by_value
      - .address_space:  global
        .offset:         24
        .size:           8
        .value_kind:     global_buffer
      - .offset:         32
        .size:           4
        .value_kind:     by_value
      - .offset:         40
        .size:           8
        .value_kind:     by_value
      - .address_space:  global
        .offset:         48
        .size:           8
        .value_kind:     global_buffer
      - .offset:         56
        .size:           1
        .value_kind:     by_value
      - .offset:         57
        .size:           1
        .value_kind:     by_value
    .group_segment_fixed_size: 472
    .kernarg_segment_align: 8
    .kernarg_segment_size: 60
    .language:       OpenCL C
    .language_version:
      - 2
      - 0
    .max_flat_workgroup_size: 64
    .name:           _ZN9rocsolver6v33100L18getri_kernel_smallILi29E19rocblas_complex_numIfEPKPS3_EEvT1_iilPiilS8_bb
    .private_segment_fixed_size: 240
    .sgpr_count:     21
    .sgpr_spill_count: 0
    .symbol:         _ZN9rocsolver6v33100L18getri_kernel_smallILi29E19rocblas_complex_numIfEPKPS3_EEvT1_iilPiilS8_bb.kd
    .uniform_work_group_size: 1
    .uses_dynamic_stack: false
    .vgpr_count:     200
    .vgpr_spill_count: 0
    .wavefront_size: 32
    .workgroup_processor_mode: 1
  - .args:
      - .address_space:  global
        .offset:         0
        .size:           8
        .value_kind:     global_buffer
      - .offset:         8
        .size:           4
        .value_kind:     by_value
      - .offset:         12
        .size:           4
        .value_kind:     by_value
      - .offset:         16
        .size:           8
        .value_kind:     by_value
      - .address_space:  global
        .offset:         24
        .size:           8
        .value_kind:     global_buffer
      - .offset:         32
        .size:           4
        .value_kind:     by_value
      - .offset:         40
        .size:           8
        .value_kind:     by_value
      - .address_space:  global
        .offset:         48
        .size:           8
        .value_kind:     global_buffer
      - .offset:         56
        .size:           1
        .value_kind:     by_value
      - .offset:         57
        .size:           1
        .value_kind:     by_value
    .group_segment_fixed_size: 484
    .kernarg_segment_align: 8
    .kernarg_segment_size: 60
    .language:       OpenCL C
    .language_version:
      - 2
      - 0
    .max_flat_workgroup_size: 64
    .name:           _ZN9rocsolver6v33100L18getri_kernel_smallILi30E19rocblas_complex_numIfEPKPS3_EEvT1_iilPiilS8_bb
    .private_segment_fixed_size: 256
    .sgpr_count:     21
    .sgpr_spill_count: 0
    .symbol:         _ZN9rocsolver6v33100L18getri_kernel_smallILi30E19rocblas_complex_numIfEPKPS3_EEvT1_iilPiilS8_bb.kd
    .uniform_work_group_size: 1
    .uses_dynamic_stack: false
    .vgpr_count:     208
    .vgpr_spill_count: 0
    .wavefront_size: 32
    .workgroup_processor_mode: 1
  - .args:
      - .address_space:  global
        .offset:         0
        .size:           8
        .value_kind:     global_buffer
      - .offset:         8
        .size:           4
        .value_kind:     by_value
      - .offset:         12
        .size:           4
        .value_kind:     by_value
      - .offset:         16
        .size:           8
        .value_kind:     by_value
      - .address_space:  global
        .offset:         24
        .size:           8
        .value_kind:     global_buffer
      - .offset:         32
        .size:           4
        .value_kind:     by_value
      - .offset:         40
        .size:           8
        .value_kind:     by_value
      - .address_space:  global
        .offset:         48
        .size:           8
        .value_kind:     global_buffer
      - .offset:         56
        .size:           1
        .value_kind:     by_value
      - .offset:         57
        .size:           1
        .value_kind:     by_value
    .group_segment_fixed_size: 504
    .kernarg_segment_align: 8
    .kernarg_segment_size: 60
    .language:       OpenCL C
    .language_version:
      - 2
      - 0
    .max_flat_workgroup_size: 64
    .name:           _ZN9rocsolver6v33100L18getri_kernel_smallILi31E19rocblas_complex_numIfEPKPS3_EEvT1_iilPiilS8_bb
    .private_segment_fixed_size: 256
    .sgpr_count:     21
    .sgpr_spill_count: 0
    .symbol:         _ZN9rocsolver6v33100L18getri_kernel_smallILi31E19rocblas_complex_numIfEPKPS3_EEvT1_iilPiilS8_bb.kd
    .uniform_work_group_size: 1
    .uses_dynamic_stack: false
    .vgpr_count:     214
    .vgpr_spill_count: 0
    .wavefront_size: 32
    .workgroup_processor_mode: 1
  - .args:
      - .address_space:  global
        .offset:         0
        .size:           8
        .value_kind:     global_buffer
      - .offset:         8
        .size:           4
        .value_kind:     by_value
      - .offset:         12
        .size:           4
        .value_kind:     by_value
      - .offset:         16
        .size:           8
        .value_kind:     by_value
      - .address_space:  global
        .offset:         24
        .size:           8
        .value_kind:     global_buffer
      - .offset:         32
        .size:           4
        .value_kind:     by_value
      - .offset:         40
        .size:           8
        .value_kind:     by_value
      - .address_space:  global
        .offset:         48
        .size:           8
        .value_kind:     global_buffer
      - .offset:         56
        .size:           1
        .value_kind:     by_value
      - .offset:         57
        .size:           1
        .value_kind:     by_value
    .group_segment_fixed_size: 516
    .kernarg_segment_align: 8
    .kernarg_segment_size: 60
    .language:       OpenCL C
    .language_version:
      - 2
      - 0
    .max_flat_workgroup_size: 64
    .name:           _ZN9rocsolver6v33100L18getri_kernel_smallILi32E19rocblas_complex_numIfEPKPS3_EEvT1_iilPiilS8_bb
    .private_segment_fixed_size: 272
    .sgpr_count:     21
    .sgpr_spill_count: 0
    .symbol:         _ZN9rocsolver6v33100L18getri_kernel_smallILi32E19rocblas_complex_numIfEPKPS3_EEvT1_iilPiilS8_bb.kd
    .uniform_work_group_size: 1
    .uses_dynamic_stack: false
    .vgpr_count:     222
    .vgpr_spill_count: 0
    .wavefront_size: 32
    .workgroup_processor_mode: 1
  - .args:
      - .address_space:  global
        .offset:         0
        .size:           8
        .value_kind:     global_buffer
      - .offset:         8
        .size:           4
        .value_kind:     by_value
      - .offset:         12
        .size:           4
        .value_kind:     by_value
      - .offset:         16
        .size:           8
        .value_kind:     by_value
      - .address_space:  global
        .offset:         24
        .size:           8
        .value_kind:     global_buffer
      - .offset:         32
        .size:           4
        .value_kind:     by_value
      - .offset:         40
        .size:           8
        .value_kind:     by_value
      - .address_space:  global
        .offset:         48
        .size:           8
        .value_kind:     global_buffer
      - .offset:         56
        .size:           1
        .value_kind:     by_value
      - .offset:         57
        .size:           1
        .value_kind:     by_value
    .group_segment_fixed_size: 536
    .kernarg_segment_align: 8
    .kernarg_segment_size: 60
    .language:       OpenCL C
    .language_version:
      - 2
      - 0
    .max_flat_workgroup_size: 64
    .name:           _ZN9rocsolver6v33100L18getri_kernel_smallILi33E19rocblas_complex_numIfEPKPS3_EEvT1_iilPiilS8_bb
    .private_segment_fixed_size: 272
    .sgpr_count:     21
    .sgpr_spill_count: 0
    .symbol:         _ZN9rocsolver6v33100L18getri_kernel_smallILi33E19rocblas_complex_numIfEPKPS3_EEvT1_iilPiilS8_bb.kd
    .uniform_work_group_size: 1
    .uses_dynamic_stack: false
    .vgpr_count:     228
    .vgpr_spill_count: 0
    .wavefront_size: 32
    .workgroup_processor_mode: 1
  - .args:
      - .address_space:  global
        .offset:         0
        .size:           8
        .value_kind:     global_buffer
      - .offset:         8
        .size:           4
        .value_kind:     by_value
      - .offset:         12
        .size:           4
        .value_kind:     by_value
      - .offset:         16
        .size:           8
        .value_kind:     by_value
      - .address_space:  global
        .offset:         24
        .size:           8
        .value_kind:     global_buffer
      - .offset:         32
        .size:           4
        .value_kind:     by_value
      - .offset:         40
        .size:           8
        .value_kind:     by_value
      - .address_space:  global
        .offset:         48
        .size:           8
        .value_kind:     global_buffer
      - .offset:         56
        .size:           1
        .value_kind:     by_value
      - .offset:         57
        .size:           1
        .value_kind:     by_value
    .group_segment_fixed_size: 548
    .kernarg_segment_align: 8
    .kernarg_segment_size: 60
    .language:       OpenCL C
    .language_version:
      - 2
      - 0
    .max_flat_workgroup_size: 64
    .name:           _ZN9rocsolver6v33100L18getri_kernel_smallILi34E19rocblas_complex_numIfEPKPS3_EEvT1_iilPiilS8_bb
    .private_segment_fixed_size: 288
    .sgpr_count:     21
    .sgpr_spill_count: 0
    .symbol:         _ZN9rocsolver6v33100L18getri_kernel_smallILi34E19rocblas_complex_numIfEPKPS3_EEvT1_iilPiilS8_bb.kd
    .uniform_work_group_size: 1
    .uses_dynamic_stack: false
    .vgpr_count:     236
    .vgpr_spill_count: 0
    .wavefront_size: 32
    .workgroup_processor_mode: 1
  - .args:
      - .address_space:  global
        .offset:         0
        .size:           8
        .value_kind:     global_buffer
      - .offset:         8
        .size:           4
        .value_kind:     by_value
      - .offset:         12
        .size:           4
        .value_kind:     by_value
      - .offset:         16
        .size:           8
        .value_kind:     by_value
      - .address_space:  global
        .offset:         24
        .size:           8
        .value_kind:     global_buffer
      - .offset:         32
        .size:           4
        .value_kind:     by_value
      - .offset:         40
        .size:           8
        .value_kind:     by_value
      - .address_space:  global
        .offset:         48
        .size:           8
        .value_kind:     global_buffer
      - .offset:         56
        .size:           1
        .value_kind:     by_value
      - .offset:         57
        .size:           1
        .value_kind:     by_value
    .group_segment_fixed_size: 568
    .kernarg_segment_align: 8
    .kernarg_segment_size: 60
    .language:       OpenCL C
    .language_version:
      - 2
      - 0
    .max_flat_workgroup_size: 64
    .name:           _ZN9rocsolver6v33100L18getri_kernel_smallILi35E19rocblas_complex_numIfEPKPS3_EEvT1_iilPiilS8_bb
    .private_segment_fixed_size: 288
    .sgpr_count:     21
    .sgpr_spill_count: 0
    .symbol:         _ZN9rocsolver6v33100L18getri_kernel_smallILi35E19rocblas_complex_numIfEPKPS3_EEvT1_iilPiilS8_bb.kd
    .uniform_work_group_size: 1
    .uses_dynamic_stack: false
    .vgpr_count:     242
    .vgpr_spill_count: 0
    .wavefront_size: 32
    .workgroup_processor_mode: 1
  - .args:
      - .address_space:  global
        .offset:         0
        .size:           8
        .value_kind:     global_buffer
      - .offset:         8
        .size:           4
        .value_kind:     by_value
      - .offset:         12
        .size:           4
        .value_kind:     by_value
      - .offset:         16
        .size:           8
        .value_kind:     by_value
      - .address_space:  global
        .offset:         24
        .size:           8
        .value_kind:     global_buffer
      - .offset:         32
        .size:           4
        .value_kind:     by_value
      - .offset:         40
        .size:           8
        .value_kind:     by_value
      - .address_space:  global
        .offset:         48
        .size:           8
        .value_kind:     global_buffer
      - .offset:         56
        .size:           1
        .value_kind:     by_value
      - .offset:         57
        .size:           1
        .value_kind:     by_value
    .group_segment_fixed_size: 580
    .kernarg_segment_align: 8
    .kernarg_segment_size: 60
    .language:       OpenCL C
    .language_version:
      - 2
      - 0
    .max_flat_workgroup_size: 64
    .name:           _ZN9rocsolver6v33100L18getri_kernel_smallILi36E19rocblas_complex_numIfEPKPS3_EEvT1_iilPiilS8_bb
    .private_segment_fixed_size: 304
    .sgpr_count:     21
    .sgpr_spill_count: 0
    .symbol:         _ZN9rocsolver6v33100L18getri_kernel_smallILi36E19rocblas_complex_numIfEPKPS3_EEvT1_iilPiilS8_bb.kd
    .uniform_work_group_size: 1
    .uses_dynamic_stack: false
    .vgpr_count:     250
    .vgpr_spill_count: 0
    .wavefront_size: 32
    .workgroup_processor_mode: 1
  - .args:
      - .address_space:  global
        .offset:         0
        .size:           8
        .value_kind:     global_buffer
      - .offset:         8
        .size:           4
        .value_kind:     by_value
      - .offset:         12
        .size:           4
        .value_kind:     by_value
      - .offset:         16
        .size:           8
        .value_kind:     by_value
      - .address_space:  global
        .offset:         24
        .size:           8
        .value_kind:     global_buffer
      - .offset:         32
        .size:           4
        .value_kind:     by_value
      - .offset:         40
        .size:           8
        .value_kind:     by_value
      - .address_space:  global
        .offset:         48
        .size:           8
        .value_kind:     global_buffer
      - .offset:         56
        .size:           1
        .value_kind:     by_value
      - .offset:         57
        .size:           1
        .value_kind:     by_value
    .group_segment_fixed_size: 600
    .kernarg_segment_align: 8
    .kernarg_segment_size: 60
    .language:       OpenCL C
    .language_version:
      - 2
      - 0
    .max_flat_workgroup_size: 64
    .name:           _ZN9rocsolver6v33100L18getri_kernel_smallILi37E19rocblas_complex_numIfEPKPS3_EEvT1_iilPiilS8_bb
    .private_segment_fixed_size: 304
    .sgpr_count:     21
    .sgpr_spill_count: 0
    .symbol:         _ZN9rocsolver6v33100L18getri_kernel_smallILi37E19rocblas_complex_numIfEPKPS3_EEvT1_iilPiilS8_bb.kd
    .uniform_work_group_size: 1
    .uses_dynamic_stack: false
    .vgpr_count:     254
    .vgpr_spill_count: 0
    .wavefront_size: 32
    .workgroup_processor_mode: 1
  - .args:
      - .address_space:  global
        .offset:         0
        .size:           8
        .value_kind:     global_buffer
      - .offset:         8
        .size:           4
        .value_kind:     by_value
      - .offset:         12
        .size:           4
        .value_kind:     by_value
      - .offset:         16
        .size:           8
        .value_kind:     by_value
      - .address_space:  global
        .offset:         24
        .size:           8
        .value_kind:     global_buffer
      - .offset:         32
        .size:           4
        .value_kind:     by_value
      - .offset:         40
        .size:           8
        .value_kind:     by_value
      - .address_space:  global
        .offset:         48
        .size:           8
        .value_kind:     global_buffer
      - .offset:         56
        .size:           1
        .value_kind:     by_value
      - .offset:         57
        .size:           1
        .value_kind:     by_value
    .group_segment_fixed_size: 612
    .kernarg_segment_align: 8
    .kernarg_segment_size: 60
    .language:       OpenCL C
    .language_version:
      - 2
      - 0
    .max_flat_workgroup_size: 64
    .name:           _ZN9rocsolver6v33100L18getri_kernel_smallILi38E19rocblas_complex_numIfEPKPS3_EEvT1_iilPiilS8_bb
    .private_segment_fixed_size: 320
    .sgpr_count:     21
    .sgpr_spill_count: 0
    .symbol:         _ZN9rocsolver6v33100L18getri_kernel_smallILi38E19rocblas_complex_numIfEPKPS3_EEvT1_iilPiilS8_bb.kd
    .uniform_work_group_size: 1
    .uses_dynamic_stack: false
    .vgpr_count:     250
    .vgpr_spill_count: 0
    .wavefront_size: 32
    .workgroup_processor_mode: 1
  - .args:
      - .address_space:  global
        .offset:         0
        .size:           8
        .value_kind:     global_buffer
      - .offset:         8
        .size:           4
        .value_kind:     by_value
      - .offset:         12
        .size:           4
        .value_kind:     by_value
      - .offset:         16
        .size:           8
        .value_kind:     by_value
      - .address_space:  global
        .offset:         24
        .size:           8
        .value_kind:     global_buffer
      - .offset:         32
        .size:           4
        .value_kind:     by_value
      - .offset:         40
        .size:           8
        .value_kind:     by_value
      - .address_space:  global
        .offset:         48
        .size:           8
        .value_kind:     global_buffer
      - .offset:         56
        .size:           1
        .value_kind:     by_value
      - .offset:         57
        .size:           1
        .value_kind:     by_value
    .group_segment_fixed_size: 632
    .kernarg_segment_align: 8
    .kernarg_segment_size: 60
    .language:       OpenCL C
    .language_version:
      - 2
      - 0
    .max_flat_workgroup_size: 64
    .name:           _ZN9rocsolver6v33100L18getri_kernel_smallILi39E19rocblas_complex_numIfEPKPS3_EEvT1_iilPiilS8_bb
    .private_segment_fixed_size: 320
    .sgpr_count:     21
    .sgpr_spill_count: 0
    .symbol:         _ZN9rocsolver6v33100L18getri_kernel_smallILi39E19rocblas_complex_numIfEPKPS3_EEvT1_iilPiilS8_bb.kd
    .uniform_work_group_size: 1
    .uses_dynamic_stack: false
    .vgpr_count:     252
    .vgpr_spill_count: 0
    .wavefront_size: 32
    .workgroup_processor_mode: 1
  - .args:
      - .address_space:  global
        .offset:         0
        .size:           8
        .value_kind:     global_buffer
      - .offset:         8
        .size:           4
        .value_kind:     by_value
      - .offset:         12
        .size:           4
        .value_kind:     by_value
      - .offset:         16
        .size:           8
        .value_kind:     by_value
      - .address_space:  global
        .offset:         24
        .size:           8
        .value_kind:     global_buffer
      - .offset:         32
        .size:           4
        .value_kind:     by_value
      - .offset:         40
        .size:           8
        .value_kind:     by_value
      - .address_space:  global
        .offset:         48
        .size:           8
        .value_kind:     global_buffer
      - .offset:         56
        .size:           1
        .value_kind:     by_value
      - .offset:         57
        .size:           1
        .value_kind:     by_value
    .group_segment_fixed_size: 644
    .kernarg_segment_align: 8
    .kernarg_segment_size: 60
    .language:       OpenCL C
    .language_version:
      - 2
      - 0
    .max_flat_workgroup_size: 64
    .name:           _ZN9rocsolver6v33100L18getri_kernel_smallILi40E19rocblas_complex_numIfEPKPS3_EEvT1_iilPiilS8_bb
    .private_segment_fixed_size: 336
    .sgpr_count:     21
    .sgpr_spill_count: 0
    .symbol:         _ZN9rocsolver6v33100L18getri_kernel_smallILi40E19rocblas_complex_numIfEPKPS3_EEvT1_iilPiilS8_bb.kd
    .uniform_work_group_size: 1
    .uses_dynamic_stack: false
    .vgpr_count:     254
    .vgpr_spill_count: 0
    .wavefront_size: 32
    .workgroup_processor_mode: 1
  - .args:
      - .address_space:  global
        .offset:         0
        .size:           8
        .value_kind:     global_buffer
      - .offset:         8
        .size:           4
        .value_kind:     by_value
      - .offset:         12
        .size:           4
        .value_kind:     by_value
      - .offset:         16
        .size:           8
        .value_kind:     by_value
      - .address_space:  global
        .offset:         24
        .size:           8
        .value_kind:     global_buffer
      - .offset:         32
        .size:           4
        .value_kind:     by_value
      - .offset:         40
        .size:           8
        .value_kind:     by_value
      - .address_space:  global
        .offset:         48
        .size:           8
        .value_kind:     global_buffer
      - .offset:         56
        .size:           1
        .value_kind:     by_value
      - .offset:         57
        .size:           1
        .value_kind:     by_value
    .group_segment_fixed_size: 664
    .kernarg_segment_align: 8
    .kernarg_segment_size: 60
    .language:       OpenCL C
    .language_version:
      - 2
      - 0
    .max_flat_workgroup_size: 64
    .name:           _ZN9rocsolver6v33100L18getri_kernel_smallILi41E19rocblas_complex_numIfEPKPS3_EEvT1_iilPiilS8_bb
    .private_segment_fixed_size: 336
    .sgpr_count:     21
    .sgpr_spill_count: 0
    .symbol:         _ZN9rocsolver6v33100L18getri_kernel_smallILi41E19rocblas_complex_numIfEPKPS3_EEvT1_iilPiilS8_bb.kd
    .uniform_work_group_size: 1
    .uses_dynamic_stack: false
    .vgpr_count:     252
    .vgpr_spill_count: 0
    .wavefront_size: 32
    .workgroup_processor_mode: 1
  - .args:
      - .address_space:  global
        .offset:         0
        .size:           8
        .value_kind:     global_buffer
      - .offset:         8
        .size:           4
        .value_kind:     by_value
      - .offset:         12
        .size:           4
        .value_kind:     by_value
      - .offset:         16
        .size:           8
        .value_kind:     by_value
      - .address_space:  global
        .offset:         24
        .size:           8
        .value_kind:     global_buffer
      - .offset:         32
        .size:           4
        .value_kind:     by_value
      - .offset:         40
        .size:           8
        .value_kind:     by_value
      - .address_space:  global
        .offset:         48
        .size:           8
        .value_kind:     global_buffer
      - .offset:         56
        .size:           1
        .value_kind:     by_value
      - .offset:         57
        .size:           1
        .value_kind:     by_value
    .group_segment_fixed_size: 676
    .kernarg_segment_align: 8
    .kernarg_segment_size: 60
    .language:       OpenCL C
    .language_version:
      - 2
      - 0
    .max_flat_workgroup_size: 64
    .name:           _ZN9rocsolver6v33100L18getri_kernel_smallILi42E19rocblas_complex_numIfEPKPS3_EEvT1_iilPiilS8_bb
    .private_segment_fixed_size: 352
    .sgpr_count:     21
    .sgpr_spill_count: 0
    .symbol:         _ZN9rocsolver6v33100L18getri_kernel_smallILi42E19rocblas_complex_numIfEPKPS3_EEvT1_iilPiilS8_bb.kd
    .uniform_work_group_size: 1
    .uses_dynamic_stack: false
    .vgpr_count:     254
    .vgpr_spill_count: 0
    .wavefront_size: 32
    .workgroup_processor_mode: 1
  - .args:
      - .address_space:  global
        .offset:         0
        .size:           8
        .value_kind:     global_buffer
      - .offset:         8
        .size:           4
        .value_kind:     by_value
      - .offset:         12
        .size:           4
        .value_kind:     by_value
      - .offset:         16
        .size:           8
        .value_kind:     by_value
      - .address_space:  global
        .offset:         24
        .size:           8
        .value_kind:     global_buffer
      - .offset:         32
        .size:           4
        .value_kind:     by_value
      - .offset:         40
        .size:           8
        .value_kind:     by_value
      - .address_space:  global
        .offset:         48
        .size:           8
        .value_kind:     global_buffer
      - .offset:         56
        .size:           1
        .value_kind:     by_value
      - .offset:         57
        .size:           1
        .value_kind:     by_value
    .group_segment_fixed_size: 696
    .kernarg_segment_align: 8
    .kernarg_segment_size: 60
    .language:       OpenCL C
    .language_version:
      - 2
      - 0
    .max_flat_workgroup_size: 64
    .name:           _ZN9rocsolver6v33100L18getri_kernel_smallILi43E19rocblas_complex_numIfEPKPS3_EEvT1_iilPiilS8_bb
    .private_segment_fixed_size: 352
    .sgpr_count:     21
    .sgpr_spill_count: 0
    .symbol:         _ZN9rocsolver6v33100L18getri_kernel_smallILi43E19rocblas_complex_numIfEPKPS3_EEvT1_iilPiilS8_bb.kd
    .uniform_work_group_size: 1
    .uses_dynamic_stack: false
    .vgpr_count:     250
    .vgpr_spill_count: 0
    .wavefront_size: 32
    .workgroup_processor_mode: 1
  - .args:
      - .address_space:  global
        .offset:         0
        .size:           8
        .value_kind:     global_buffer
      - .offset:         8
        .size:           4
        .value_kind:     by_value
      - .offset:         12
        .size:           4
        .value_kind:     by_value
      - .offset:         16
        .size:           8
        .value_kind:     by_value
      - .address_space:  global
        .offset:         24
        .size:           8
        .value_kind:     global_buffer
      - .offset:         32
        .size:           4
        .value_kind:     by_value
      - .offset:         40
        .size:           8
        .value_kind:     by_value
      - .address_space:  global
        .offset:         48
        .size:           8
        .value_kind:     global_buffer
      - .offset:         56
        .size:           1
        .value_kind:     by_value
      - .offset:         57
        .size:           1
        .value_kind:     by_value
    .group_segment_fixed_size: 708
    .kernarg_segment_align: 8
    .kernarg_segment_size: 60
    .language:       OpenCL C
    .language_version:
      - 2
      - 0
    .max_flat_workgroup_size: 64
    .name:           _ZN9rocsolver6v33100L18getri_kernel_smallILi44E19rocblas_complex_numIfEPKPS3_EEvT1_iilPiilS8_bb
    .private_segment_fixed_size: 368
    .sgpr_count:     21
    .sgpr_spill_count: 0
    .symbol:         _ZN9rocsolver6v33100L18getri_kernel_smallILi44E19rocblas_complex_numIfEPKPS3_EEvT1_iilPiilS8_bb.kd
    .uniform_work_group_size: 1
    .uses_dynamic_stack: false
    .vgpr_count:     252
    .vgpr_spill_count: 0
    .wavefront_size: 32
    .workgroup_processor_mode: 1
  - .args:
      - .address_space:  global
        .offset:         0
        .size:           8
        .value_kind:     global_buffer
      - .offset:         8
        .size:           4
        .value_kind:     by_value
      - .offset:         12
        .size:           4
        .value_kind:     by_value
      - .offset:         16
        .size:           8
        .value_kind:     by_value
      - .address_space:  global
        .offset:         24
        .size:           8
        .value_kind:     global_buffer
      - .offset:         32
        .size:           4
        .value_kind:     by_value
      - .offset:         40
        .size:           8
        .value_kind:     by_value
      - .address_space:  global
        .offset:         48
        .size:           8
        .value_kind:     global_buffer
      - .offset:         56
        .size:           1
        .value_kind:     by_value
      - .offset:         57
        .size:           1
        .value_kind:     by_value
    .group_segment_fixed_size: 728
    .kernarg_segment_align: 8
    .kernarg_segment_size: 60
    .language:       OpenCL C
    .language_version:
      - 2
      - 0
    .max_flat_workgroup_size: 64
    .name:           _ZN9rocsolver6v33100L18getri_kernel_smallILi45E19rocblas_complex_numIfEPKPS3_EEvT1_iilPiilS8_bb
    .private_segment_fixed_size: 368
    .sgpr_count:     21
    .sgpr_spill_count: 0
    .symbol:         _ZN9rocsolver6v33100L18getri_kernel_smallILi45E19rocblas_complex_numIfEPKPS3_EEvT1_iilPiilS8_bb.kd
    .uniform_work_group_size: 1
    .uses_dynamic_stack: false
    .vgpr_count:     254
    .vgpr_spill_count: 0
    .wavefront_size: 32
    .workgroup_processor_mode: 1
  - .args:
      - .address_space:  global
        .offset:         0
        .size:           8
        .value_kind:     global_buffer
      - .offset:         8
        .size:           4
        .value_kind:     by_value
      - .offset:         12
        .size:           4
        .value_kind:     by_value
      - .offset:         16
        .size:           8
        .value_kind:     by_value
      - .address_space:  global
        .offset:         24
        .size:           8
        .value_kind:     global_buffer
      - .offset:         32
        .size:           4
        .value_kind:     by_value
      - .offset:         40
        .size:           8
        .value_kind:     by_value
      - .address_space:  global
        .offset:         48
        .size:           8
        .value_kind:     global_buffer
      - .offset:         56
        .size:           1
        .value_kind:     by_value
      - .offset:         57
        .size:           1
        .value_kind:     by_value
    .group_segment_fixed_size: 740
    .kernarg_segment_align: 8
    .kernarg_segment_size: 60
    .language:       OpenCL C
    .language_version:
      - 2
      - 0
    .max_flat_workgroup_size: 64
    .name:           _ZN9rocsolver6v33100L18getri_kernel_smallILi46E19rocblas_complex_numIfEPKPS3_EEvT1_iilPiilS8_bb
    .private_segment_fixed_size: 384
    .sgpr_count:     21
    .sgpr_spill_count: 0
    .symbol:         _ZN9rocsolver6v33100L18getri_kernel_smallILi46E19rocblas_complex_numIfEPKPS3_EEvT1_iilPiilS8_bb.kd
    .uniform_work_group_size: 1
    .uses_dynamic_stack: false
    .vgpr_count:     252
    .vgpr_spill_count: 0
    .wavefront_size: 32
    .workgroup_processor_mode: 1
  - .args:
      - .address_space:  global
        .offset:         0
        .size:           8
        .value_kind:     global_buffer
      - .offset:         8
        .size:           4
        .value_kind:     by_value
      - .offset:         12
        .size:           4
        .value_kind:     by_value
      - .offset:         16
        .size:           8
        .value_kind:     by_value
      - .address_space:  global
        .offset:         24
        .size:           8
        .value_kind:     global_buffer
      - .offset:         32
        .size:           4
        .value_kind:     by_value
      - .offset:         40
        .size:           8
        .value_kind:     by_value
      - .address_space:  global
        .offset:         48
        .size:           8
        .value_kind:     global_buffer
      - .offset:         56
        .size:           1
        .value_kind:     by_value
      - .offset:         57
        .size:           1
        .value_kind:     by_value
    .group_segment_fixed_size: 760
    .kernarg_segment_align: 8
    .kernarg_segment_size: 60
    .language:       OpenCL C
    .language_version:
      - 2
      - 0
    .max_flat_workgroup_size: 64
    .name:           _ZN9rocsolver6v33100L18getri_kernel_smallILi47E19rocblas_complex_numIfEPKPS3_EEvT1_iilPiilS8_bb
    .private_segment_fixed_size: 384
    .sgpr_count:     21
    .sgpr_spill_count: 0
    .symbol:         _ZN9rocsolver6v33100L18getri_kernel_smallILi47E19rocblas_complex_numIfEPKPS3_EEvT1_iilPiilS8_bb.kd
    .uniform_work_group_size: 1
    .uses_dynamic_stack: false
    .vgpr_count:     254
    .vgpr_spill_count: 0
    .wavefront_size: 32
    .workgroup_processor_mode: 1
  - .args:
      - .address_space:  global
        .offset:         0
        .size:           8
        .value_kind:     global_buffer
      - .offset:         8
        .size:           4
        .value_kind:     by_value
      - .offset:         12
        .size:           4
        .value_kind:     by_value
      - .offset:         16
        .size:           8
        .value_kind:     by_value
      - .address_space:  global
        .offset:         24
        .size:           8
        .value_kind:     global_buffer
      - .offset:         32
        .size:           4
        .value_kind:     by_value
      - .offset:         40
        .size:           8
        .value_kind:     by_value
      - .address_space:  global
        .offset:         48
        .size:           8
        .value_kind:     global_buffer
      - .offset:         56
        .size:           1
        .value_kind:     by_value
      - .offset:         57
        .size:           1
        .value_kind:     by_value
    .group_segment_fixed_size: 772
    .kernarg_segment_align: 8
    .kernarg_segment_size: 60
    .language:       OpenCL C
    .language_version:
      - 2
      - 0
    .max_flat_workgroup_size: 64
    .name:           _ZN9rocsolver6v33100L18getri_kernel_smallILi48E19rocblas_complex_numIfEPKPS3_EEvT1_iilPiilS8_bb
    .private_segment_fixed_size: 400
    .sgpr_count:     21
    .sgpr_spill_count: 0
    .symbol:         _ZN9rocsolver6v33100L18getri_kernel_smallILi48E19rocblas_complex_numIfEPKPS3_EEvT1_iilPiilS8_bb.kd
    .uniform_work_group_size: 1
    .uses_dynamic_stack: false
    .vgpr_count:     250
    .vgpr_spill_count: 0
    .wavefront_size: 32
    .workgroup_processor_mode: 1
  - .args:
      - .address_space:  global
        .offset:         0
        .size:           8
        .value_kind:     global_buffer
      - .offset:         8
        .size:           4
        .value_kind:     by_value
      - .offset:         12
        .size:           4
        .value_kind:     by_value
      - .offset:         16
        .size:           8
        .value_kind:     by_value
      - .address_space:  global
        .offset:         24
        .size:           8
        .value_kind:     global_buffer
      - .offset:         32
        .size:           4
        .value_kind:     by_value
      - .offset:         40
        .size:           8
        .value_kind:     by_value
      - .address_space:  global
        .offset:         48
        .size:           8
        .value_kind:     global_buffer
      - .offset:         56
        .size:           1
        .value_kind:     by_value
      - .offset:         57
        .size:           1
        .value_kind:     by_value
    .group_segment_fixed_size: 792
    .kernarg_segment_align: 8
    .kernarg_segment_size: 60
    .language:       OpenCL C
    .language_version:
      - 2
      - 0
    .max_flat_workgroup_size: 64
    .name:           _ZN9rocsolver6v33100L18getri_kernel_smallILi49E19rocblas_complex_numIfEPKPS3_EEvT1_iilPiilS8_bb
    .private_segment_fixed_size: 400
    .sgpr_count:     21
    .sgpr_spill_count: 0
    .symbol:         _ZN9rocsolver6v33100L18getri_kernel_smallILi49E19rocblas_complex_numIfEPKPS3_EEvT1_iilPiilS8_bb.kd
    .uniform_work_group_size: 1
    .uses_dynamic_stack: false
    .vgpr_count:     252
    .vgpr_spill_count: 0
    .wavefront_size: 32
    .workgroup_processor_mode: 1
  - .args:
      - .address_space:  global
        .offset:         0
        .size:           8
        .value_kind:     global_buffer
      - .offset:         8
        .size:           4
        .value_kind:     by_value
      - .offset:         12
        .size:           4
        .value_kind:     by_value
      - .offset:         16
        .size:           8
        .value_kind:     by_value
      - .address_space:  global
        .offset:         24
        .size:           8
        .value_kind:     global_buffer
      - .offset:         32
        .size:           4
        .value_kind:     by_value
      - .offset:         40
        .size:           8
        .value_kind:     by_value
      - .address_space:  global
        .offset:         48
        .size:           8
        .value_kind:     global_buffer
      - .offset:         56
        .size:           1
        .value_kind:     by_value
      - .offset:         57
        .size:           1
        .value_kind:     by_value
    .group_segment_fixed_size: 804
    .kernarg_segment_align: 8
    .kernarg_segment_size: 60
    .language:       OpenCL C
    .language_version:
      - 2
      - 0
    .max_flat_workgroup_size: 64
    .name:           _ZN9rocsolver6v33100L18getri_kernel_smallILi50E19rocblas_complex_numIfEPKPS3_EEvT1_iilPiilS8_bb
    .private_segment_fixed_size: 416
    .sgpr_count:     21
    .sgpr_spill_count: 0
    .symbol:         _ZN9rocsolver6v33100L18getri_kernel_smallILi50E19rocblas_complex_numIfEPKPS3_EEvT1_iilPiilS8_bb.kd
    .uniform_work_group_size: 1
    .uses_dynamic_stack: false
    .vgpr_count:     254
    .vgpr_spill_count: 0
    .wavefront_size: 32
    .workgroup_processor_mode: 1
  - .args:
      - .address_space:  global
        .offset:         0
        .size:           8
        .value_kind:     global_buffer
      - .offset:         8
        .size:           4
        .value_kind:     by_value
      - .offset:         12
        .size:           4
        .value_kind:     by_value
      - .offset:         16
        .size:           8
        .value_kind:     by_value
      - .address_space:  global
        .offset:         24
        .size:           8
        .value_kind:     global_buffer
      - .offset:         32
        .size:           4
        .value_kind:     by_value
      - .offset:         40
        .size:           8
        .value_kind:     by_value
      - .address_space:  global
        .offset:         48
        .size:           8
        .value_kind:     global_buffer
      - .offset:         56
        .size:           1
        .value_kind:     by_value
      - .offset:         57
        .size:           1
        .value_kind:     by_value
    .group_segment_fixed_size: 824
    .kernarg_segment_align: 8
    .kernarg_segment_size: 60
    .language:       OpenCL C
    .language_version:
      - 2
      - 0
    .max_flat_workgroup_size: 64
    .name:           _ZN9rocsolver6v33100L18getri_kernel_smallILi51E19rocblas_complex_numIfEPKPS3_EEvT1_iilPiilS8_bb
    .private_segment_fixed_size: 416
    .sgpr_count:     21
    .sgpr_spill_count: 0
    .symbol:         _ZN9rocsolver6v33100L18getri_kernel_smallILi51E19rocblas_complex_numIfEPKPS3_EEvT1_iilPiilS8_bb.kd
    .uniform_work_group_size: 1
    .uses_dynamic_stack: false
    .vgpr_count:     252
    .vgpr_spill_count: 0
    .wavefront_size: 32
    .workgroup_processor_mode: 1
  - .args:
      - .address_space:  global
        .offset:         0
        .size:           8
        .value_kind:     global_buffer
      - .offset:         8
        .size:           4
        .value_kind:     by_value
      - .offset:         12
        .size:           4
        .value_kind:     by_value
      - .offset:         16
        .size:           8
        .value_kind:     by_value
      - .address_space:  global
        .offset:         24
        .size:           8
        .value_kind:     global_buffer
      - .offset:         32
        .size:           4
        .value_kind:     by_value
      - .offset:         40
        .size:           8
        .value_kind:     by_value
      - .address_space:  global
        .offset:         48
        .size:           8
        .value_kind:     global_buffer
      - .offset:         56
        .size:           1
        .value_kind:     by_value
      - .offset:         57
        .size:           1
        .value_kind:     by_value
    .group_segment_fixed_size: 836
    .kernarg_segment_align: 8
    .kernarg_segment_size: 60
    .language:       OpenCL C
    .language_version:
      - 2
      - 0
    .max_flat_workgroup_size: 64
    .name:           _ZN9rocsolver6v33100L18getri_kernel_smallILi52E19rocblas_complex_numIfEPKPS3_EEvT1_iilPiilS8_bb
    .private_segment_fixed_size: 432
    .sgpr_count:     21
    .sgpr_spill_count: 0
    .symbol:         _ZN9rocsolver6v33100L18getri_kernel_smallILi52E19rocblas_complex_numIfEPKPS3_EEvT1_iilPiilS8_bb.kd
    .uniform_work_group_size: 1
    .uses_dynamic_stack: false
    .vgpr_count:     254
    .vgpr_spill_count: 0
    .wavefront_size: 32
    .workgroup_processor_mode: 1
  - .args:
      - .address_space:  global
        .offset:         0
        .size:           8
        .value_kind:     global_buffer
      - .offset:         8
        .size:           4
        .value_kind:     by_value
      - .offset:         12
        .size:           4
        .value_kind:     by_value
      - .offset:         16
        .size:           8
        .value_kind:     by_value
      - .address_space:  global
        .offset:         24
        .size:           8
        .value_kind:     global_buffer
      - .offset:         32
        .size:           4
        .value_kind:     by_value
      - .offset:         40
        .size:           8
        .value_kind:     by_value
      - .address_space:  global
        .offset:         48
        .size:           8
        .value_kind:     global_buffer
      - .offset:         56
        .size:           1
        .value_kind:     by_value
      - .offset:         57
        .size:           1
        .value_kind:     by_value
    .group_segment_fixed_size: 856
    .kernarg_segment_align: 8
    .kernarg_segment_size: 60
    .language:       OpenCL C
    .language_version:
      - 2
      - 0
    .max_flat_workgroup_size: 64
    .name:           _ZN9rocsolver6v33100L18getri_kernel_smallILi53E19rocblas_complex_numIfEPKPS3_EEvT1_iilPiilS8_bb
    .private_segment_fixed_size: 432
    .sgpr_count:     21
    .sgpr_spill_count: 0
    .symbol:         _ZN9rocsolver6v33100L18getri_kernel_smallILi53E19rocblas_complex_numIfEPKPS3_EEvT1_iilPiilS8_bb.kd
    .uniform_work_group_size: 1
    .uses_dynamic_stack: false
    .vgpr_count:     250
    .vgpr_spill_count: 0
    .wavefront_size: 32
    .workgroup_processor_mode: 1
  - .args:
      - .address_space:  global
        .offset:         0
        .size:           8
        .value_kind:     global_buffer
      - .offset:         8
        .size:           4
        .value_kind:     by_value
      - .offset:         12
        .size:           4
        .value_kind:     by_value
      - .offset:         16
        .size:           8
        .value_kind:     by_value
      - .address_space:  global
        .offset:         24
        .size:           8
        .value_kind:     global_buffer
      - .offset:         32
        .size:           4
        .value_kind:     by_value
      - .offset:         40
        .size:           8
        .value_kind:     by_value
      - .address_space:  global
        .offset:         48
        .size:           8
        .value_kind:     global_buffer
      - .offset:         56
        .size:           1
        .value_kind:     by_value
      - .offset:         57
        .size:           1
        .value_kind:     by_value
    .group_segment_fixed_size: 868
    .kernarg_segment_align: 8
    .kernarg_segment_size: 60
    .language:       OpenCL C
    .language_version:
      - 2
      - 0
    .max_flat_workgroup_size: 64
    .name:           _ZN9rocsolver6v33100L18getri_kernel_smallILi54E19rocblas_complex_numIfEPKPS3_EEvT1_iilPiilS8_bb
    .private_segment_fixed_size: 448
    .sgpr_count:     21
    .sgpr_spill_count: 0
    .symbol:         _ZN9rocsolver6v33100L18getri_kernel_smallILi54E19rocblas_complex_numIfEPKPS3_EEvT1_iilPiilS8_bb.kd
    .uniform_work_group_size: 1
    .uses_dynamic_stack: false
    .vgpr_count:     252
    .vgpr_spill_count: 0
    .wavefront_size: 32
    .workgroup_processor_mode: 1
  - .args:
      - .address_space:  global
        .offset:         0
        .size:           8
        .value_kind:     global_buffer
      - .offset:         8
        .size:           4
        .value_kind:     by_value
      - .offset:         12
        .size:           4
        .value_kind:     by_value
      - .offset:         16
        .size:           8
        .value_kind:     by_value
      - .address_space:  global
        .offset:         24
        .size:           8
        .value_kind:     global_buffer
      - .offset:         32
        .size:           4
        .value_kind:     by_value
      - .offset:         40
        .size:           8
        .value_kind:     by_value
      - .address_space:  global
        .offset:         48
        .size:           8
        .value_kind:     global_buffer
      - .offset:         56
        .size:           1
        .value_kind:     by_value
      - .offset:         57
        .size:           1
        .value_kind:     by_value
    .group_segment_fixed_size: 888
    .kernarg_segment_align: 8
    .kernarg_segment_size: 60
    .language:       OpenCL C
    .language_version:
      - 2
      - 0
    .max_flat_workgroup_size: 64
    .name:           _ZN9rocsolver6v33100L18getri_kernel_smallILi55E19rocblas_complex_numIfEPKPS3_EEvT1_iilPiilS8_bb
    .private_segment_fixed_size: 448
    .sgpr_count:     21
    .sgpr_spill_count: 0
    .symbol:         _ZN9rocsolver6v33100L18getri_kernel_smallILi55E19rocblas_complex_numIfEPKPS3_EEvT1_iilPiilS8_bb.kd
    .uniform_work_group_size: 1
    .uses_dynamic_stack: false
    .vgpr_count:     254
    .vgpr_spill_count: 0
    .wavefront_size: 32
    .workgroup_processor_mode: 1
  - .args:
      - .address_space:  global
        .offset:         0
        .size:           8
        .value_kind:     global_buffer
      - .offset:         8
        .size:           4
        .value_kind:     by_value
      - .offset:         12
        .size:           4
        .value_kind:     by_value
      - .offset:         16
        .size:           8
        .value_kind:     by_value
      - .address_space:  global
        .offset:         24
        .size:           8
        .value_kind:     global_buffer
      - .offset:         32
        .size:           4
        .value_kind:     by_value
      - .offset:         40
        .size:           8
        .value_kind:     by_value
      - .address_space:  global
        .offset:         48
        .size:           8
        .value_kind:     global_buffer
      - .offset:         56
        .size:           1
        .value_kind:     by_value
      - .offset:         57
        .size:           1
        .value_kind:     by_value
    .group_segment_fixed_size: 900
    .kernarg_segment_align: 8
    .kernarg_segment_size: 60
    .language:       OpenCL C
    .language_version:
      - 2
      - 0
    .max_flat_workgroup_size: 64
    .name:           _ZN9rocsolver6v33100L18getri_kernel_smallILi56E19rocblas_complex_numIfEPKPS3_EEvT1_iilPiilS8_bb
    .private_segment_fixed_size: 464
    .sgpr_count:     21
    .sgpr_spill_count: 0
    .symbol:         _ZN9rocsolver6v33100L18getri_kernel_smallILi56E19rocblas_complex_numIfEPKPS3_EEvT1_iilPiilS8_bb.kd
    .uniform_work_group_size: 1
    .uses_dynamic_stack: false
    .vgpr_count:     252
    .vgpr_spill_count: 0
    .wavefront_size: 32
    .workgroup_processor_mode: 1
  - .args:
      - .address_space:  global
        .offset:         0
        .size:           8
        .value_kind:     global_buffer
      - .offset:         8
        .size:           4
        .value_kind:     by_value
      - .offset:         12
        .size:           4
        .value_kind:     by_value
      - .offset:         16
        .size:           8
        .value_kind:     by_value
      - .address_space:  global
        .offset:         24
        .size:           8
        .value_kind:     global_buffer
      - .offset:         32
        .size:           4
        .value_kind:     by_value
      - .offset:         40
        .size:           8
        .value_kind:     by_value
      - .address_space:  global
        .offset:         48
        .size:           8
        .value_kind:     global_buffer
      - .offset:         56
        .size:           1
        .value_kind:     by_value
      - .offset:         57
        .size:           1
        .value_kind:     by_value
    .group_segment_fixed_size: 920
    .kernarg_segment_align: 8
    .kernarg_segment_size: 60
    .language:       OpenCL C
    .language_version:
      - 2
      - 0
    .max_flat_workgroup_size: 64
    .name:           _ZN9rocsolver6v33100L18getri_kernel_smallILi57E19rocblas_complex_numIfEPKPS3_EEvT1_iilPiilS8_bb
    .private_segment_fixed_size: 464
    .sgpr_count:     21
    .sgpr_spill_count: 0
    .symbol:         _ZN9rocsolver6v33100L18getri_kernel_smallILi57E19rocblas_complex_numIfEPKPS3_EEvT1_iilPiilS8_bb.kd
    .uniform_work_group_size: 1
    .uses_dynamic_stack: false
    .vgpr_count:     254
    .vgpr_spill_count: 0
    .wavefront_size: 32
    .workgroup_processor_mode: 1
  - .args:
      - .address_space:  global
        .offset:         0
        .size:           8
        .value_kind:     global_buffer
      - .offset:         8
        .size:           4
        .value_kind:     by_value
      - .offset:         12
        .size:           4
        .value_kind:     by_value
      - .offset:         16
        .size:           8
        .value_kind:     by_value
      - .address_space:  global
        .offset:         24
        .size:           8
        .value_kind:     global_buffer
      - .offset:         32
        .size:           4
        .value_kind:     by_value
      - .offset:         40
        .size:           8
        .value_kind:     by_value
      - .address_space:  global
        .offset:         48
        .size:           8
        .value_kind:     global_buffer
      - .offset:         56
        .size:           1
        .value_kind:     by_value
      - .offset:         57
        .size:           1
        .value_kind:     by_value
    .group_segment_fixed_size: 932
    .kernarg_segment_align: 8
    .kernarg_segment_size: 60
    .language:       OpenCL C
    .language_version:
      - 2
      - 0
    .max_flat_workgroup_size: 64
    .name:           _ZN9rocsolver6v33100L18getri_kernel_smallILi58E19rocblas_complex_numIfEPKPS3_EEvT1_iilPiilS8_bb
    .private_segment_fixed_size: 480
    .sgpr_count:     21
    .sgpr_spill_count: 0
    .symbol:         _ZN9rocsolver6v33100L18getri_kernel_smallILi58E19rocblas_complex_numIfEPKPS3_EEvT1_iilPiilS8_bb.kd
    .uniform_work_group_size: 1
    .uses_dynamic_stack: false
    .vgpr_count:     250
    .vgpr_spill_count: 0
    .wavefront_size: 32
    .workgroup_processor_mode: 1
  - .args:
      - .address_space:  global
        .offset:         0
        .size:           8
        .value_kind:     global_buffer
      - .offset:         8
        .size:           4
        .value_kind:     by_value
      - .offset:         12
        .size:           4
        .value_kind:     by_value
      - .offset:         16
        .size:           8
        .value_kind:     by_value
      - .address_space:  global
        .offset:         24
        .size:           8
        .value_kind:     global_buffer
      - .offset:         32
        .size:           4
        .value_kind:     by_value
      - .offset:         40
        .size:           8
        .value_kind:     by_value
      - .address_space:  global
        .offset:         48
        .size:           8
        .value_kind:     global_buffer
      - .offset:         56
        .size:           1
        .value_kind:     by_value
      - .offset:         57
        .size:           1
        .value_kind:     by_value
    .group_segment_fixed_size: 952
    .kernarg_segment_align: 8
    .kernarg_segment_size: 60
    .language:       OpenCL C
    .language_version:
      - 2
      - 0
    .max_flat_workgroup_size: 64
    .name:           _ZN9rocsolver6v33100L18getri_kernel_smallILi59E19rocblas_complex_numIfEPKPS3_EEvT1_iilPiilS8_bb
    .private_segment_fixed_size: 480
    .sgpr_count:     21
    .sgpr_spill_count: 0
    .symbol:         _ZN9rocsolver6v33100L18getri_kernel_smallILi59E19rocblas_complex_numIfEPKPS3_EEvT1_iilPiilS8_bb.kd
    .uniform_work_group_size: 1
    .uses_dynamic_stack: false
    .vgpr_count:     252
    .vgpr_spill_count: 0
    .wavefront_size: 32
    .workgroup_processor_mode: 1
  - .args:
      - .address_space:  global
        .offset:         0
        .size:           8
        .value_kind:     global_buffer
      - .offset:         8
        .size:           4
        .value_kind:     by_value
      - .offset:         12
        .size:           4
        .value_kind:     by_value
      - .offset:         16
        .size:           8
        .value_kind:     by_value
      - .address_space:  global
        .offset:         24
        .size:           8
        .value_kind:     global_buffer
      - .offset:         32
        .size:           4
        .value_kind:     by_value
      - .offset:         40
        .size:           8
        .value_kind:     by_value
      - .address_space:  global
        .offset:         48
        .size:           8
        .value_kind:     global_buffer
      - .offset:         56
        .size:           1
        .value_kind:     by_value
      - .offset:         57
        .size:           1
        .value_kind:     by_value
    .group_segment_fixed_size: 964
    .kernarg_segment_align: 8
    .kernarg_segment_size: 60
    .language:       OpenCL C
    .language_version:
      - 2
      - 0
    .max_flat_workgroup_size: 64
    .name:           _ZN9rocsolver6v33100L18getri_kernel_smallILi60E19rocblas_complex_numIfEPKPS3_EEvT1_iilPiilS8_bb
    .private_segment_fixed_size: 496
    .sgpr_count:     21
    .sgpr_spill_count: 0
    .symbol:         _ZN9rocsolver6v33100L18getri_kernel_smallILi60E19rocblas_complex_numIfEPKPS3_EEvT1_iilPiilS8_bb.kd
    .uniform_work_group_size: 1
    .uses_dynamic_stack: false
    .vgpr_count:     254
    .vgpr_spill_count: 0
    .wavefront_size: 32
    .workgroup_processor_mode: 1
  - .args:
      - .address_space:  global
        .offset:         0
        .size:           8
        .value_kind:     global_buffer
      - .offset:         8
        .size:           4
        .value_kind:     by_value
      - .offset:         12
        .size:           4
        .value_kind:     by_value
      - .offset:         16
        .size:           8
        .value_kind:     by_value
      - .address_space:  global
        .offset:         24
        .size:           8
        .value_kind:     global_buffer
      - .offset:         32
        .size:           4
        .value_kind:     by_value
      - .offset:         40
        .size:           8
        .value_kind:     by_value
      - .address_space:  global
        .offset:         48
        .size:           8
        .value_kind:     global_buffer
      - .offset:         56
        .size:           1
        .value_kind:     by_value
      - .offset:         57
        .size:           1
        .value_kind:     by_value
    .group_segment_fixed_size: 984
    .kernarg_segment_align: 8
    .kernarg_segment_size: 60
    .language:       OpenCL C
    .language_version:
      - 2
      - 0
    .max_flat_workgroup_size: 64
    .name:           _ZN9rocsolver6v33100L18getri_kernel_smallILi61E19rocblas_complex_numIfEPKPS3_EEvT1_iilPiilS8_bb
    .private_segment_fixed_size: 496
    .sgpr_count:     21
    .sgpr_spill_count: 0
    .symbol:         _ZN9rocsolver6v33100L18getri_kernel_smallILi61E19rocblas_complex_numIfEPKPS3_EEvT1_iilPiilS8_bb.kd
    .uniform_work_group_size: 1
    .uses_dynamic_stack: false
    .vgpr_count:     252
    .vgpr_spill_count: 0
    .wavefront_size: 32
    .workgroup_processor_mode: 1
  - .args:
      - .address_space:  global
        .offset:         0
        .size:           8
        .value_kind:     global_buffer
      - .offset:         8
        .size:           4
        .value_kind:     by_value
      - .offset:         12
        .size:           4
        .value_kind:     by_value
      - .offset:         16
        .size:           8
        .value_kind:     by_value
      - .address_space:  global
        .offset:         24
        .size:           8
        .value_kind:     global_buffer
      - .offset:         32
        .size:           4
        .value_kind:     by_value
      - .offset:         40
        .size:           8
        .value_kind:     by_value
      - .address_space:  global
        .offset:         48
        .size:           8
        .value_kind:     global_buffer
      - .offset:         56
        .size:           1
        .value_kind:     by_value
      - .offset:         57
        .size:           1
        .value_kind:     by_value
    .group_segment_fixed_size: 996
    .kernarg_segment_align: 8
    .kernarg_segment_size: 60
    .language:       OpenCL C
    .language_version:
      - 2
      - 0
    .max_flat_workgroup_size: 64
    .name:           _ZN9rocsolver6v33100L18getri_kernel_smallILi62E19rocblas_complex_numIfEPKPS3_EEvT1_iilPiilS8_bb
    .private_segment_fixed_size: 512
    .sgpr_count:     21
    .sgpr_spill_count: 0
    .symbol:         _ZN9rocsolver6v33100L18getri_kernel_smallILi62E19rocblas_complex_numIfEPKPS3_EEvT1_iilPiilS8_bb.kd
    .uniform_work_group_size: 1
    .uses_dynamic_stack: false
    .vgpr_count:     254
    .vgpr_spill_count: 0
    .wavefront_size: 32
    .workgroup_processor_mode: 1
  - .args:
      - .address_space:  global
        .offset:         0
        .size:           8
        .value_kind:     global_buffer
      - .offset:         8
        .size:           4
        .value_kind:     by_value
      - .offset:         12
        .size:           4
        .value_kind:     by_value
      - .offset:         16
        .size:           8
        .value_kind:     by_value
      - .address_space:  global
        .offset:         24
        .size:           8
        .value_kind:     global_buffer
      - .offset:         32
        .size:           4
        .value_kind:     by_value
      - .offset:         40
        .size:           8
        .value_kind:     by_value
      - .address_space:  global
        .offset:         48
        .size:           8
        .value_kind:     global_buffer
      - .offset:         56
        .size:           1
        .value_kind:     by_value
      - .offset:         57
        .size:           1
        .value_kind:     by_value
    .group_segment_fixed_size: 1016
    .kernarg_segment_align: 8
    .kernarg_segment_size: 60
    .language:       OpenCL C
    .language_version:
      - 2
      - 0
    .max_flat_workgroup_size: 64
    .name:           _ZN9rocsolver6v33100L18getri_kernel_smallILi63E19rocblas_complex_numIfEPKPS3_EEvT1_iilPiilS8_bb
    .private_segment_fixed_size: 512
    .sgpr_count:     21
    .sgpr_spill_count: 0
    .symbol:         _ZN9rocsolver6v33100L18getri_kernel_smallILi63E19rocblas_complex_numIfEPKPS3_EEvT1_iilPiilS8_bb.kd
    .uniform_work_group_size: 1
    .uses_dynamic_stack: false
    .vgpr_count:     250
    .vgpr_spill_count: 0
    .wavefront_size: 32
    .workgroup_processor_mode: 1
  - .args:
      - .address_space:  global
        .offset:         0
        .size:           8
        .value_kind:     global_buffer
      - .offset:         8
        .size:           4
        .value_kind:     by_value
      - .offset:         12
        .size:           4
        .value_kind:     by_value
      - .offset:         16
        .size:           8
        .value_kind:     by_value
      - .address_space:  global
        .offset:         24
        .size:           8
        .value_kind:     global_buffer
      - .offset:         32
        .size:           4
        .value_kind:     by_value
      - .offset:         40
        .size:           8
        .value_kind:     by_value
      - .address_space:  global
        .offset:         48
        .size:           8
        .value_kind:     global_buffer
      - .offset:         56
        .size:           1
        .value_kind:     by_value
      - .offset:         57
        .size:           1
        .value_kind:     by_value
    .group_segment_fixed_size: 1028
    .kernarg_segment_align: 8
    .kernarg_segment_size: 60
    .language:       OpenCL C
    .language_version:
      - 2
      - 0
    .max_flat_workgroup_size: 64
    .name:           _ZN9rocsolver6v33100L18getri_kernel_smallILi64E19rocblas_complex_numIfEPKPS3_EEvT1_iilPiilS8_bb
    .private_segment_fixed_size: 528
    .sgpr_count:     21
    .sgpr_spill_count: 0
    .symbol:         _ZN9rocsolver6v33100L18getri_kernel_smallILi64E19rocblas_complex_numIfEPKPS3_EEvT1_iilPiilS8_bb.kd
    .uniform_work_group_size: 1
    .uses_dynamic_stack: false
    .vgpr_count:     252
    .vgpr_spill_count: 0
    .wavefront_size: 32
    .workgroup_processor_mode: 1
amdhsa.target:   amdgcn-amd-amdhsa--gfx1201
amdhsa.version:
  - 1
  - 2
...

	.end_amdgpu_metadata
